;; amdgpu-corpus repo=ROCm/rocSOLVER kind=compiled arch=gfx90a opt=O3
	.text
	.amdgcn_target "amdgcn-amd-amdhsa--gfx90a"
	.amdhsa_code_object_version 6
	.section	.text._ZN9rocsolver6v33100L18getri_kernel_smallILi1E19rocblas_complex_numIdEPS3_EEvT1_iilPiilS6_bb,"axG",@progbits,_ZN9rocsolver6v33100L18getri_kernel_smallILi1E19rocblas_complex_numIdEPS3_EEvT1_iilPiilS6_bb,comdat
	.globl	_ZN9rocsolver6v33100L18getri_kernel_smallILi1E19rocblas_complex_numIdEPS3_EEvT1_iilPiilS6_bb ; -- Begin function _ZN9rocsolver6v33100L18getri_kernel_smallILi1E19rocblas_complex_numIdEPS3_EEvT1_iilPiilS6_bb
	.p2align	8
	.type	_ZN9rocsolver6v33100L18getri_kernel_smallILi1E19rocblas_complex_numIdEPS3_EEvT1_iilPiilS6_bb,@function
_ZN9rocsolver6v33100L18getri_kernel_smallILi1E19rocblas_complex_numIdEPS3_EEvT1_iilPiilS6_bb: ; @_ZN9rocsolver6v33100L18getri_kernel_smallILi1E19rocblas_complex_numIdEPS3_EEvT1_iilPiilS6_bb
; %bb.0:
	v_cmp_eq_u32_e32 vcc, 0, v0
	s_and_saveexec_b64 s[0:1], vcc
	s_cbranch_execz .LBB0_13
; %bb.1:
	s_load_dword s0, s[4:5], 0x8
	s_load_dword s7, s[4:5], 0x38
	s_load_dwordx2 s[2:3], s[4:5], 0x0
	s_load_dwordx2 s[8:9], s[4:5], 0x10
	;; [unrolled: 1-line block ×3, first 2 shown]
	s_waitcnt lgkmcnt(0)
	s_ashr_i32 s1, s0, 31
	s_bitcmp1_b32 s7, 0
	s_cselect_b64 s[4:5], -1, 0
	s_ashr_i32 s7, s6, 31
	s_mul_i32 s9, s6, s9
	s_mul_hi_u32 s10, s6, s8
	s_add_i32 s9, s10, s9
	s_mul_i32 s10, s7, s8
	s_add_i32 s9, s9, s10
	s_mul_i32 s8, s6, s8
	s_lshl_b64 s[8:9], s[8:9], 4
	s_add_u32 s2, s2, s8
	s_addc_u32 s3, s3, s9
	s_lshl_b64 s[0:1], s[0:1], 4
	s_add_u32 s2, s2, s0
	s_addc_u32 s3, s3, s1
	s_load_dwordx4 s[8:11], s[2:3], 0x0
	s_and_b64 vcc, exec, s[4:5]
	s_cbranch_vccnz .LBB0_4
; %bb.2:
	s_lshl_b64 s[0:1], s[6:7], 2
	s_add_u32 s0, s12, s0
	s_addc_u32 s1, s13, s1
	s_load_dword s4, s[0:1], 0x0
	s_waitcnt lgkmcnt(0)
	s_cmp_eq_u32 s4, 0
	s_cselect_b64 s[4:5], -1, 0
	s_cbranch_execz .LBB0_5
; %bb.3:
	s_waitcnt lgkmcnt(0)
	v_pk_mov_b32 v[2:3], s[10:11], s[10:11] op_sel:[0,1]
	v_pk_mov_b32 v[0:1], s[8:9], s[8:9] op_sel:[0,1]
	s_and_b64 vcc, exec, s[4:5]
	s_cbranch_vccnz .LBB0_12
	s_branch .LBB0_13
.LBB0_4:
	s_mov_b64 s[4:5], 0
.LBB0_5:
	s_waitcnt lgkmcnt(0)
	v_cmp_eq_f64_e64 s[0:1], s[8:9], 0
	v_cmp_eq_f64_e64 s[14:15], s[10:11], 0
	s_and_b64 s[0:1], s[0:1], s[14:15]
	v_mov_b32_e32 v0, 0
	s_andn2_b64 vcc, exec, s[0:1]
	ds_write_b32 v0, v0
	s_waitcnt lgkmcnt(0)
	; wave barrier
	s_waitcnt lgkmcnt(0)
	s_cbranch_vccnz .LBB0_10
; %bb.6:
	ds_read_b32 v1, v0
	s_waitcnt lgkmcnt(0)
	v_readfirstlane_b32 s14, v1
	s_cmp_lg_u32 s14, 0
	s_cselect_b64 s[0:1], -1, 0
	s_cmp_lt_i32 s14, 2
	s_cselect_b64 s[14:15], -1, 0
	s_and_b64 s[0:1], s[0:1], s[14:15]
	s_and_b64 vcc, exec, s[0:1]
	s_cbranch_vccnz .LBB0_10
; %bb.7:
	s_mov_b64 s[14:15], 0
	v_mov_b32_e32 v2, 1
	v_mov_b32_e32 v3, 0
.LBB0_8:                                ; =>This Inner Loop Header: Depth=1
	ds_cmpst_rtn_b32 v1, v3, v1, v2
	s_waitcnt lgkmcnt(0)
	v_cmp_ne_u32_e32 vcc, 0, v1
	v_cmp_gt_i32_e64 s[0:1], 2, v1
	s_and_b64 s[0:1], vcc, s[0:1]
	s_and_b64 s[0:1], exec, s[0:1]
	s_or_b64 s[14:15], s[0:1], s[14:15]
	s_andn2_b64 exec, exec, s[14:15]
	s_cbranch_execnz .LBB0_8
; %bb.9:
	s_or_b64 exec, exec, s[14:15]
.LBB0_10:
	s_waitcnt lgkmcnt(0)
	; wave barrier
	ds_read_b32 v1, v0
	s_lshl_b64 s[0:1], s[6:7], 2
	s_add_u32 s0, s12, s0
	s_addc_u32 s1, s13, s1
	s_waitcnt lgkmcnt(0)
	v_cmp_ne_u32_e32 vcc, 0, v1
	global_store_dword v0, v1, s[0:1]
	s_cbranch_vccz .LBB0_14
; %bb.11:
                                        ; implicit-def: $vgpr0_vgpr1
	s_and_b64 vcc, exec, s[4:5]
	s_cbranch_vccz .LBB0_13
.LBB0_12:
	v_mov_b32_e32 v4, 0
	global_store_dwordx4 v4, v[0:3], s[2:3]
.LBB0_13:
	s_endpgm
.LBB0_14:
	v_cmp_lt_f64_e64 s[4:5], s[8:9], 0
	s_xor_b32 s6, s9, 0x80000000
	s_and_b64 s[4:5], s[4:5], exec
	s_cselect_b32 s5, s6, s9
	s_cselect_b32 s4, s8, s8
	v_cmp_lt_f64_e64 s[6:7], s[10:11], 0
	s_xor_b32 s12, s11, 0x80000000
	s_and_b64 s[6:7], s[6:7], exec
	s_cselect_b32 s6, s12, s11
	s_cselect_b32 s7, s10, s10
	v_mov_b32_e32 v0, s7
	v_mov_b32_e32 v1, s6
	v_cmp_ngt_f64_e32 vcc, s[4:5], v[0:1]
	s_mov_b64 s[0:1], 0
	s_cbranch_vccz .LBB0_16
; %bb.15:
	v_pk_mov_b32 v[0:1], s[8:9], s[8:9] op_sel:[0,1]
	v_div_scale_f64 v[2:3], s[4:5], s[10:11], s[10:11], v[0:1]
	v_rcp_f64_e32 v[4:5], v[2:3]
	v_pk_mov_b32 v[6:7], s[10:11], s[10:11] op_sel:[0,1]
	v_fma_f64 v[8:9], -v[2:3], v[4:5], 1.0
	v_fmac_f64_e32 v[4:5], v[4:5], v[8:9]
	v_fma_f64 v[8:9], -v[2:3], v[4:5], 1.0
	v_fmac_f64_e32 v[4:5], v[4:5], v[8:9]
	v_div_scale_f64 v[8:9], vcc, s[8:9], v[6:7], s[8:9]
	v_mul_f64 v[10:11], v[8:9], v[4:5]
	v_fma_f64 v[2:3], -v[2:3], v[10:11], v[8:9]
	s_nop 1
	v_div_fmas_f64 v[2:3], v[2:3], v[4:5], v[10:11]
	v_div_fixup_f64 v[0:1], v[2:3], s[10:11], v[0:1]
	v_fma_f64 v[2:3], s[8:9], v[0:1], v[6:7]
	v_div_scale_f64 v[4:5], s[4:5], v[2:3], v[2:3], 1.0
	v_rcp_f64_e32 v[6:7], v[4:5]
	v_fma_f64 v[8:9], -v[4:5], v[6:7], 1.0
	v_fmac_f64_e32 v[6:7], v[6:7], v[8:9]
	v_fma_f64 v[8:9], -v[4:5], v[6:7], 1.0
	v_fmac_f64_e32 v[6:7], v[6:7], v[8:9]
	v_div_scale_f64 v[8:9], vcc, 1.0, v[2:3], 1.0
	v_mul_f64 v[10:11], v[8:9], v[6:7]
	v_fma_f64 v[4:5], -v[4:5], v[10:11], v[8:9]
	s_nop 1
	v_div_fmas_f64 v[4:5], v[4:5], v[6:7], v[10:11]
	v_div_fixup_f64 v[2:3], v[4:5], v[2:3], 1.0
	v_mul_f64 v[0:1], v[0:1], v[2:3]
	v_xor_b32_e32 v3, 0x80000000, v3
	s_andn2_b64 vcc, exec, s[0:1]
	s_cbranch_vccz .LBB0_17
	s_branch .LBB0_18
.LBB0_16:
                                        ; implicit-def: $vgpr0_vgpr1
.LBB0_17:
	v_pk_mov_b32 v[0:1], s[10:11], s[10:11] op_sel:[0,1]
	v_div_scale_f64 v[2:3], s[0:1], s[8:9], s[8:9], v[0:1]
	v_rcp_f64_e32 v[4:5], v[2:3]
	v_pk_mov_b32 v[6:7], s[8:9], s[8:9] op_sel:[0,1]
	v_fma_f64 v[8:9], -v[2:3], v[4:5], 1.0
	v_fmac_f64_e32 v[4:5], v[4:5], v[8:9]
	v_fma_f64 v[8:9], -v[2:3], v[4:5], 1.0
	v_fmac_f64_e32 v[4:5], v[4:5], v[8:9]
	v_div_scale_f64 v[8:9], vcc, s[10:11], v[6:7], s[10:11]
	v_mul_f64 v[10:11], v[8:9], v[4:5]
	v_fma_f64 v[2:3], -v[2:3], v[10:11], v[8:9]
	s_nop 1
	v_div_fmas_f64 v[2:3], v[2:3], v[4:5], v[10:11]
	v_div_fixup_f64 v[2:3], v[2:3], s[8:9], v[0:1]
	v_fma_f64 v[0:1], s[10:11], v[2:3], v[6:7]
	v_div_scale_f64 v[4:5], s[0:1], v[0:1], v[0:1], 1.0
	v_rcp_f64_e32 v[6:7], v[4:5]
	v_fma_f64 v[8:9], -v[4:5], v[6:7], 1.0
	v_fmac_f64_e32 v[6:7], v[6:7], v[8:9]
	v_fma_f64 v[8:9], -v[4:5], v[6:7], 1.0
	v_fmac_f64_e32 v[6:7], v[6:7], v[8:9]
	v_div_scale_f64 v[8:9], vcc, 1.0, v[0:1], 1.0
	v_mul_f64 v[10:11], v[8:9], v[6:7]
	v_fma_f64 v[4:5], -v[4:5], v[10:11], v[8:9]
	s_nop 1
	v_div_fmas_f64 v[4:5], v[4:5], v[6:7], v[10:11]
	v_div_fixup_f64 v[0:1], v[4:5], v[0:1], 1.0
	v_mul_f64 v[2:3], v[2:3], -v[0:1]
.LBB0_18:
	s_cbranch_execnz .LBB0_12
	s_branch .LBB0_13
	.section	.rodata,"a",@progbits
	.p2align	6, 0x0
	.amdhsa_kernel _ZN9rocsolver6v33100L18getri_kernel_smallILi1E19rocblas_complex_numIdEPS3_EEvT1_iilPiilS6_bb
		.amdhsa_group_segment_fixed_size 4
		.amdhsa_private_segment_fixed_size 0
		.amdhsa_kernarg_size 60
		.amdhsa_user_sgpr_count 6
		.amdhsa_user_sgpr_private_segment_buffer 1
		.amdhsa_user_sgpr_dispatch_ptr 0
		.amdhsa_user_sgpr_queue_ptr 0
		.amdhsa_user_sgpr_kernarg_segment_ptr 1
		.amdhsa_user_sgpr_dispatch_id 0
		.amdhsa_user_sgpr_flat_scratch_init 0
		.amdhsa_user_sgpr_kernarg_preload_length 0
		.amdhsa_user_sgpr_kernarg_preload_offset 0
		.amdhsa_user_sgpr_private_segment_size 0
		.amdhsa_uses_dynamic_stack 0
		.amdhsa_system_sgpr_private_segment_wavefront_offset 0
		.amdhsa_system_sgpr_workgroup_id_x 1
		.amdhsa_system_sgpr_workgroup_id_y 0
		.amdhsa_system_sgpr_workgroup_id_z 0
		.amdhsa_system_sgpr_workgroup_info 0
		.amdhsa_system_vgpr_workitem_id 0
		.amdhsa_next_free_vgpr 12
		.amdhsa_next_free_sgpr 16
		.amdhsa_accum_offset 12
		.amdhsa_reserve_vcc 1
		.amdhsa_reserve_flat_scratch 0
		.amdhsa_float_round_mode_32 0
		.amdhsa_float_round_mode_16_64 0
		.amdhsa_float_denorm_mode_32 3
		.amdhsa_float_denorm_mode_16_64 3
		.amdhsa_dx10_clamp 1
		.amdhsa_ieee_mode 1
		.amdhsa_fp16_overflow 0
		.amdhsa_tg_split 0
		.amdhsa_exception_fp_ieee_invalid_op 0
		.amdhsa_exception_fp_denorm_src 0
		.amdhsa_exception_fp_ieee_div_zero 0
		.amdhsa_exception_fp_ieee_overflow 0
		.amdhsa_exception_fp_ieee_underflow 0
		.amdhsa_exception_fp_ieee_inexact 0
		.amdhsa_exception_int_div_zero 0
	.end_amdhsa_kernel
	.section	.text._ZN9rocsolver6v33100L18getri_kernel_smallILi1E19rocblas_complex_numIdEPS3_EEvT1_iilPiilS6_bb,"axG",@progbits,_ZN9rocsolver6v33100L18getri_kernel_smallILi1E19rocblas_complex_numIdEPS3_EEvT1_iilPiilS6_bb,comdat
.Lfunc_end0:
	.size	_ZN9rocsolver6v33100L18getri_kernel_smallILi1E19rocblas_complex_numIdEPS3_EEvT1_iilPiilS6_bb, .Lfunc_end0-_ZN9rocsolver6v33100L18getri_kernel_smallILi1E19rocblas_complex_numIdEPS3_EEvT1_iilPiilS6_bb
                                        ; -- End function
	.section	.AMDGPU.csdata,"",@progbits
; Kernel info:
; codeLenInByte = 920
; NumSgprs: 20
; NumVgprs: 12
; NumAgprs: 0
; TotalNumVgprs: 12
; ScratchSize: 0
; MemoryBound: 0
; FloatMode: 240
; IeeeMode: 1
; LDSByteSize: 4 bytes/workgroup (compile time only)
; SGPRBlocks: 2
; VGPRBlocks: 1
; NumSGPRsForWavesPerEU: 20
; NumVGPRsForWavesPerEU: 12
; AccumOffset: 12
; Occupancy: 8
; WaveLimiterHint : 0
; COMPUTE_PGM_RSRC2:SCRATCH_EN: 0
; COMPUTE_PGM_RSRC2:USER_SGPR: 6
; COMPUTE_PGM_RSRC2:TRAP_HANDLER: 0
; COMPUTE_PGM_RSRC2:TGID_X_EN: 1
; COMPUTE_PGM_RSRC2:TGID_Y_EN: 0
; COMPUTE_PGM_RSRC2:TGID_Z_EN: 0
; COMPUTE_PGM_RSRC2:TIDIG_COMP_CNT: 0
; COMPUTE_PGM_RSRC3_GFX90A:ACCUM_OFFSET: 2
; COMPUTE_PGM_RSRC3_GFX90A:TG_SPLIT: 0
	.section	.text._ZN9rocsolver6v33100L18getri_kernel_smallILi2E19rocblas_complex_numIdEPS3_EEvT1_iilPiilS6_bb,"axG",@progbits,_ZN9rocsolver6v33100L18getri_kernel_smallILi2E19rocblas_complex_numIdEPS3_EEvT1_iilPiilS6_bb,comdat
	.globl	_ZN9rocsolver6v33100L18getri_kernel_smallILi2E19rocblas_complex_numIdEPS3_EEvT1_iilPiilS6_bb ; -- Begin function _ZN9rocsolver6v33100L18getri_kernel_smallILi2E19rocblas_complex_numIdEPS3_EEvT1_iilPiilS6_bb
	.p2align	8
	.type	_ZN9rocsolver6v33100L18getri_kernel_smallILi2E19rocblas_complex_numIdEPS3_EEvT1_iilPiilS6_bb,@function
_ZN9rocsolver6v33100L18getri_kernel_smallILi2E19rocblas_complex_numIdEPS3_EEvT1_iilPiilS6_bb: ; @_ZN9rocsolver6v33100L18getri_kernel_smallILi2E19rocblas_complex_numIdEPS3_EEvT1_iilPiilS6_bb
; %bb.0:
	s_add_u32 flat_scratch_lo, s8, s11
	s_addc_u32 flat_scratch_hi, s9, 0
	s_add_u32 s0, s0, s11
	v_and_b32_e32 v1, 0x3ff, v0
	s_addc_u32 s1, s1, 0
	v_cmp_gt_u32_e32 vcc, 2, v1
	s_and_saveexec_b64 s[8:9], vcc
	s_cbranch_execz .LBB1_22
; %bb.1:
	s_load_dword s8, s[6:7], 0x38
	s_load_dwordx4 s[16:19], s[6:7], 0x10
	s_load_dwordx4 s[12:15], s[6:7], 0x28
                                        ; implicit-def: $sgpr22_sgpr23
	s_waitcnt lgkmcnt(0)
	s_bitcmp1_b32 s8, 8
	s_cselect_b64 s[20:21], -1, 0
	s_ashr_i32 s11, s10, 31
	s_bfe_u32 s9, s8, 0x10008
	s_cmp_eq_u32 s9, 0
	s_cbranch_scc1 .LBB1_3
; %bb.2:
	s_load_dword s22, s[6:7], 0x20
	s_mul_i32 s9, s10, s13
	s_mul_hi_u32 s13, s10, s12
	s_mul_i32 s24, s11, s12
	s_add_i32 s9, s13, s9
	s_add_i32 s13, s9, s24
	s_mul_i32 s12, s10, s12
	s_waitcnt lgkmcnt(0)
	s_ashr_i32 s23, s22, 31
	s_lshl_b64 s[12:13], s[12:13], 2
	s_add_u32 s9, s18, s12
	s_addc_u32 s18, s19, s13
	s_lshl_b64 s[12:13], s[22:23], 2
	s_add_u32 s22, s9, s12
	s_addc_u32 s23, s18, s13
.LBB1_3:
	s_load_dwordx4 s[24:27], s[6:7], 0x0
	s_mul_i32 s6, s10, s17
	s_mul_hi_u32 s7, s10, s16
	s_add_i32 s9, s7, s6
	s_mul_i32 s12, s11, s16
	s_add_i32 s13, s9, s12
	s_mul_i32 s12, s10, s16
	s_waitcnt lgkmcnt(0)
	s_ashr_i32 s7, s26, 31
	s_lshl_b64 s[12:13], s[12:13], 4
	s_mov_b32 s6, s26
	s_add_u32 s9, s24, s12
	s_addc_u32 s12, s25, s13
	s_lshl_b64 s[6:7], s[6:7], 4
	s_add_u32 s6, s9, s6
	s_addc_u32 s7, s12, s7
	v_lshlrev_b32_e32 v17, 4, v1
	v_mov_b32_e32 v2, s7
	v_add_co_u32_e32 v6, vcc, s6, v17
	v_addc_co_u32_e32 v7, vcc, 0, v2, vcc
	global_load_dwordx4 v[2:5], v17, s[6:7]
	s_ashr_i32 s7, s27, 31
	s_mov_b32 s6, s27
	s_lshl_b64 s[6:7], s[6:7], 4
	v_mov_b32_e32 v9, s7
	v_add_co_u32_e32 v8, vcc, s6, v6
	v_addc_co_u32_e32 v9, vcc, v7, v9, vcc
	global_load_dwordx4 v[10:13], v[8:9], off
	v_mov_b32_e32 v14, 0
	v_add_u32_e32 v16, 16, v14
	s_bitcmp0_b32 s8, 0
	s_mov_b64 s[8:9], -1
	s_waitcnt vmcnt(1)
	buffer_store_dword v5, off, s[0:3], 0 offset:12
	buffer_store_dword v4, off, s[0:3], 0 offset:8
	;; [unrolled: 1-line block ×3, first 2 shown]
	buffer_store_dword v2, off, s[0:3], 0
	s_waitcnt vmcnt(4)
	buffer_store_dword v13, off, s[0:3], 0 offset:28
	buffer_store_dword v12, off, s[0:3], 0 offset:24
	;; [unrolled: 1-line block ×4, first 2 shown]
	s_cbranch_scc1 .LBB1_20
; %bb.4:
	v_cmp_eq_u32_e64 s[6:7], 0, v1
	s_and_saveexec_b64 s[8:9], s[6:7]
	s_cbranch_execz .LBB1_6
; %bb.5:
	v_mov_b32_e32 v2, 0
	ds_write_b32 v2, v2 offset:64
.LBB1_6:
	s_or_b64 exec, exec, s[8:9]
	v_mov_b32_e32 v2, 0
	v_lshl_add_u32 v18, v1, 4, v2
	s_waitcnt lgkmcnt(0)
	; wave barrier
	s_waitcnt lgkmcnt(0)
	buffer_load_dword v2, v18, s[0:3], 0 offen
	buffer_load_dword v3, v18, s[0:3], 0 offen offset:4
	buffer_load_dword v4, v18, s[0:3], 0 offen offset:8
	;; [unrolled: 1-line block ×3, first 2 shown]
	s_waitcnt vmcnt(2)
	v_cmp_eq_f64_e32 vcc, 0, v[2:3]
	s_waitcnt vmcnt(0)
	v_cmp_eq_f64_e64 s[8:9], 0, v[4:5]
	s_and_b64 s[8:9], vcc, s[8:9]
	s_and_saveexec_b64 s[12:13], s[8:9]
	s_cbranch_execz .LBB1_10
; %bb.7:
	v_mov_b32_e32 v2, 0
	ds_read_b32 v4, v2 offset:64
	v_add_u32_e32 v3, 1, v1
	s_waitcnt lgkmcnt(0)
	v_readfirstlane_b32 s8, v4
	s_cmp_eq_u32 s8, 0
	s_cselect_b64 s[16:17], -1, 0
	v_cmp_gt_i32_e32 vcc, s8, v3
	s_or_b64 s[16:17], s[16:17], vcc
	s_and_b64 exec, exec, s[16:17]
	s_cbranch_execz .LBB1_10
; %bb.8:
	s_mov_b64 s[16:17], 0
	v_mov_b32_e32 v4, s8
.LBB1_9:                                ; =>This Inner Loop Header: Depth=1
	ds_cmpst_rtn_b32 v4, v2, v4, v3 offset:64
	s_waitcnt lgkmcnt(0)
	v_cmp_ne_u32_e32 vcc, 0, v4
	v_cmp_le_i32_e64 s[8:9], v4, v3
	s_and_b64 s[8:9], vcc, s[8:9]
	s_and_b64 s[8:9], exec, s[8:9]
	s_or_b64 s[16:17], s[8:9], s[16:17]
	s_andn2_b64 exec, exec, s[16:17]
	s_cbranch_execnz .LBB1_9
.LBB1_10:
	s_or_b64 exec, exec, s[12:13]
	v_mov_b32_e32 v3, 0
	s_waitcnt lgkmcnt(0)
	; wave barrier
	ds_read_b32 v2, v3 offset:64
	s_and_saveexec_b64 s[8:9], s[6:7]
	s_cbranch_execz .LBB1_12
; %bb.11:
	s_lshl_b64 s[12:13], s[10:11], 2
	s_add_u32 s12, s14, s12
	s_addc_u32 s13, s15, s13
	s_waitcnt lgkmcnt(0)
	global_store_dword v3, v2, s[12:13]
.LBB1_12:
	s_or_b64 exec, exec, s[8:9]
	s_waitcnt lgkmcnt(0)
	v_cmp_ne_u32_e32 vcc, 0, v2
	s_mov_b64 s[8:9], 0
	s_cbranch_vccnz .LBB1_20
; %bb.13:
	buffer_load_dword v11, v18, s[0:3], 0 offen offset:4
	buffer_load_dword v10, v18, s[0:3], 0 offen
	buffer_load_dword v13, v18, s[0:3], 0 offen offset:12
	buffer_load_dword v12, v18, s[0:3], 0 offen offset:8
                                        ; implicit-def: $vgpr14_vgpr15
	s_waitcnt vmcnt(3)
	v_xor_b32_e32 v3, 0x80000000, v11
	s_waitcnt vmcnt(2)
	v_cmp_gt_f64_e32 vcc, 0, v[10:11]
	s_waitcnt vmcnt(1)
	v_xor_b32_e32 v4, 0x80000000, v13
	v_cndmask_b32_e32 v3, v11, v3, vcc
	s_waitcnt vmcnt(0)
	v_cmp_gt_f64_e32 vcc, 0, v[12:13]
	v_mov_b32_e32 v2, v10
	v_cndmask_b32_e32 v5, v13, v4, vcc
	v_mov_b32_e32 v4, v12
	v_cmp_ngt_f64_e32 vcc, v[2:3], v[4:5]
                                        ; implicit-def: $vgpr4_vgpr5
	s_and_saveexec_b64 s[8:9], vcc
	s_xor_b64 s[8:9], exec, s[8:9]
	s_cbranch_execz .LBB1_15
; %bb.14:
	v_div_scale_f64 v[2:3], s[12:13], v[12:13], v[12:13], v[10:11]
	v_rcp_f64_e32 v[4:5], v[2:3]
	v_div_scale_f64 v[14:15], vcc, v[10:11], v[12:13], v[10:11]
	v_fma_f64 v[20:21], -v[2:3], v[4:5], 1.0
	v_fmac_f64_e32 v[4:5], v[4:5], v[20:21]
	v_fma_f64 v[20:21], -v[2:3], v[4:5], 1.0
	v_fmac_f64_e32 v[4:5], v[4:5], v[20:21]
	v_mul_f64 v[20:21], v[14:15], v[4:5]
	v_fma_f64 v[2:3], -v[2:3], v[20:21], v[14:15]
	v_div_fmas_f64 v[2:3], v[2:3], v[4:5], v[20:21]
	v_div_fixup_f64 v[2:3], v[2:3], v[12:13], v[10:11]
	v_fmac_f64_e32 v[12:13], v[10:11], v[2:3]
	v_div_scale_f64 v[4:5], s[12:13], v[12:13], v[12:13], 1.0
	v_rcp_f64_e32 v[10:11], v[4:5]
	v_fma_f64 v[14:15], -v[4:5], v[10:11], 1.0
	v_fmac_f64_e32 v[10:11], v[10:11], v[14:15]
	v_fma_f64 v[14:15], -v[4:5], v[10:11], 1.0
	v_fmac_f64_e32 v[10:11], v[10:11], v[14:15]
	v_div_scale_f64 v[14:15], vcc, 1.0, v[12:13], 1.0
	v_mul_f64 v[20:21], v[14:15], v[10:11]
	v_fma_f64 v[4:5], -v[4:5], v[20:21], v[14:15]
	s_nop 1
	v_div_fmas_f64 v[4:5], v[4:5], v[10:11], v[20:21]
	v_div_fixup_f64 v[4:5], v[4:5], v[12:13], 1.0
	v_mul_f64 v[14:15], v[2:3], v[4:5]
	v_xor_b32_e32 v5, 0x80000000, v5
	v_xor_b32_e32 v3, 0x80000000, v15
	v_mov_b32_e32 v2, v14
                                        ; implicit-def: $vgpr10_vgpr11
                                        ; implicit-def: $vgpr12_vgpr13
.LBB1_15:
	s_andn2_saveexec_b64 s[8:9], s[8:9]
	s_cbranch_execz .LBB1_17
; %bb.16:
	v_div_scale_f64 v[2:3], s[12:13], v[10:11], v[10:11], v[12:13]
	v_rcp_f64_e32 v[4:5], v[2:3]
	v_div_scale_f64 v[14:15], vcc, v[12:13], v[10:11], v[12:13]
	v_fma_f64 v[20:21], -v[2:3], v[4:5], 1.0
	v_fmac_f64_e32 v[4:5], v[4:5], v[20:21]
	v_fma_f64 v[20:21], -v[2:3], v[4:5], 1.0
	v_fmac_f64_e32 v[4:5], v[4:5], v[20:21]
	v_mul_f64 v[20:21], v[14:15], v[4:5]
	v_fma_f64 v[2:3], -v[2:3], v[20:21], v[14:15]
	v_div_fmas_f64 v[2:3], v[2:3], v[4:5], v[20:21]
	v_div_fixup_f64 v[4:5], v[2:3], v[10:11], v[12:13]
	v_fmac_f64_e32 v[10:11], v[12:13], v[4:5]
	v_div_scale_f64 v[2:3], s[12:13], v[10:11], v[10:11], 1.0
	v_rcp_f64_e32 v[12:13], v[2:3]
	v_fma_f64 v[14:15], -v[2:3], v[12:13], 1.0
	v_fmac_f64_e32 v[12:13], v[12:13], v[14:15]
	v_fma_f64 v[14:15], -v[2:3], v[12:13], 1.0
	v_fmac_f64_e32 v[12:13], v[12:13], v[14:15]
	v_div_scale_f64 v[14:15], vcc, 1.0, v[10:11], 1.0
	v_mul_f64 v[20:21], v[14:15], v[12:13]
	v_fma_f64 v[2:3], -v[2:3], v[20:21], v[14:15]
	s_nop 1
	v_div_fmas_f64 v[2:3], v[2:3], v[12:13], v[20:21]
	v_div_fixup_f64 v[14:15], v[2:3], v[10:11], 1.0
	v_xor_b32_e32 v3, 0x80000000, v15
	v_mov_b32_e32 v2, v14
	v_mul_f64 v[4:5], v[4:5], -v[14:15]
.LBB1_17:
	s_or_b64 exec, exec, s[8:9]
	buffer_store_dword v15, v18, s[0:3], 0 offen offset:4
	buffer_store_dword v14, v18, s[0:3], 0 offen
	buffer_store_dword v5, v18, s[0:3], 0 offen offset:12
	buffer_store_dword v4, v18, s[0:3], 0 offen offset:8
	buffer_load_dword v13, v16, s[0:3], 0 offen offset:12
	buffer_load_dword v12, v16, s[0:3], 0 offen offset:8
	;; [unrolled: 1-line block ×3, first 2 shown]
	buffer_load_dword v10, v16, s[0:3], 0 offen
	v_xor_b32_e32 v5, 0x80000000, v5
	ds_write_b128 v17, v[2:5]
	s_waitcnt vmcnt(0)
	ds_write_b128 v17, v[10:13] offset:32
	s_waitcnt lgkmcnt(0)
	; wave barrier
	s_waitcnt lgkmcnt(0)
	s_and_saveexec_b64 s[8:9], s[6:7]
	s_cbranch_execz .LBB1_19
; %bb.18:
	buffer_load_dword v14, off, s[0:3], 0 offset:8
	buffer_load_dword v15, off, s[0:3], 0 offset:12
	buffer_load_dword v18, off, s[0:3], 0
	buffer_load_dword v19, off, s[0:3], 0 offset:4
	v_mov_b32_e32 v10, 0
	ds_read_b128 v[2:5], v10 offset:32
	ds_read_b128 v[10:13], v10 offset:16
	s_waitcnt vmcnt(2) lgkmcnt(1)
	v_mul_f64 v[20:21], v[4:5], v[14:15]
	v_mul_f64 v[14:15], v[2:3], v[14:15]
	s_waitcnt vmcnt(0)
	v_fmac_f64_e32 v[14:15], v[4:5], v[18:19]
	v_fma_f64 v[2:3], v[2:3], v[18:19], -v[20:21]
	v_add_f64 v[4:5], v[14:15], 0
	v_add_f64 v[2:3], v[2:3], 0
	s_waitcnt lgkmcnt(0)
	v_mul_f64 v[14:15], v[4:5], v[12:13]
	v_mul_f64 v[12:13], v[2:3], v[12:13]
	v_fma_f64 v[2:3], v[2:3], v[10:11], -v[14:15]
	v_fmac_f64_e32 v[12:13], v[4:5], v[10:11]
	buffer_store_dword v3, off, s[0:3], 0 offset:20
	buffer_store_dword v2, off, s[0:3], 0 offset:16
	;; [unrolled: 1-line block ×4, first 2 shown]
.LBB1_19:
	s_or_b64 exec, exec, s[8:9]
	s_mov_b64 s[8:9], -1
	s_waitcnt lgkmcnt(0)
	; wave barrier
.LBB1_20:
	s_and_b64 vcc, exec, s[8:9]
	s_cbranch_vccz .LBB1_22
; %bb.21:
	s_lshl_b64 s[6:7], s[10:11], 2
	s_add_u32 s6, s14, s6
	s_addc_u32 s7, s15, s7
	v_mov_b32_e32 v2, 0
	global_load_dword v2, v2, s[6:7]
	s_waitcnt vmcnt(0)
	v_cmp_ne_u32_e32 vcc, 0, v2
	s_cbranch_vccz .LBB1_23
.LBB1_22:
	s_endpgm
.LBB1_23:
	v_cmp_eq_u32_e32 vcc, 1, v1
	s_and_saveexec_b64 s[6:7], vcc
	s_cbranch_execz .LBB1_25
; %bb.24:
	buffer_load_dword v2, off, s[0:3], 0
	buffer_load_dword v3, off, s[0:3], 0 offset:4
	buffer_load_dword v4, off, s[0:3], 0 offset:8
	buffer_load_dword v5, off, s[0:3], 0 offset:12
	v_mov_b32_e32 v10, 0
	buffer_store_dword v10, off, s[0:3], 0
	buffer_store_dword v10, off, s[0:3], 0 offset:4
	buffer_store_dword v10, off, s[0:3], 0 offset:8
	;; [unrolled: 1-line block ×3, first 2 shown]
	s_waitcnt vmcnt(4)
	ds_write_b128 v10, v[2:5] offset:48
.LBB1_25:
	s_or_b64 exec, exec, s[6:7]
	s_waitcnt lgkmcnt(0)
	; wave barrier
	s_waitcnt lgkmcnt(0)
	buffer_load_dword v10, off, s[0:3], 0 offset:24
	buffer_load_dword v11, off, s[0:3], 0 offset:28
	;; [unrolled: 1-line block ×4, first 2 shown]
	buffer_load_dword v14, off, s[0:3], 0
	buffer_load_dword v15, off, s[0:3], 0 offset:4
	buffer_load_dword v18, off, s[0:3], 0 offset:8
	;; [unrolled: 1-line block ×3, first 2 shown]
	v_mov_b32_e32 v2, 0
	ds_read_b128 v[2:5], v2 offset:48
	s_andn2_b64 vcc, exec, s[20:21]
	s_waitcnt vmcnt(6) lgkmcnt(0)
	v_mul_f64 v[20:21], v[4:5], v[10:11]
	v_mul_f64 v[10:11], v[2:3], v[10:11]
	s_waitcnt vmcnt(4)
	v_fma_f64 v[2:3], v[2:3], v[12:13], -v[20:21]
	v_fmac_f64_e32 v[10:11], v[4:5], v[12:13]
	v_add_f64 v[2:3], v[2:3], 0
	v_add_f64 v[4:5], v[10:11], 0
	s_waitcnt vmcnt(2)
	v_add_f64 v[2:3], v[14:15], -v[2:3]
	s_waitcnt vmcnt(0)
	v_add_f64 v[4:5], v[18:19], -v[4:5]
	buffer_store_dword v2, off, s[0:3], 0
	buffer_store_dword v3, off, s[0:3], 0 offset:4
	buffer_store_dword v4, off, s[0:3], 0 offset:8
	;; [unrolled: 1-line block ×3, first 2 shown]
	s_cbranch_vccnz .LBB1_29
; %bb.26:
	v_pk_mov_b32 v[2:3], s[22:23], s[22:23] op_sel:[0,1]
	flat_load_dword v2, v[2:3]
	s_waitcnt vmcnt(0) lgkmcnt(0)
	v_add_u32_e32 v2, -1, v2
	v_cmp_ne_u32_e32 vcc, 0, v2
	s_and_saveexec_b64 s[6:7], vcc
	s_cbranch_execz .LBB1_28
; %bb.27:
	v_mov_b32_e32 v3, 0
	v_lshl_add_u32 v10, v2, 4, v3
	buffer_load_dword v2, off, s[0:3], 0
	buffer_load_dword v3, off, s[0:3], 0 offset:4
	buffer_load_dword v4, off, s[0:3], 0 offset:8
	;; [unrolled: 1-line block ×3, first 2 shown]
	buffer_load_dword v11, v10, s[0:3], 0 offen
	buffer_load_dword v12, v10, s[0:3], 0 offen offset:4
	buffer_load_dword v13, v10, s[0:3], 0 offen offset:8
	;; [unrolled: 1-line block ×3, first 2 shown]
	s_load_dwordx2 s[4:5], s[4:5], 0x4
	v_bfe_u32 v15, v0, 10, 10
	v_bfe_u32 v0, v0, 20, 10
	s_waitcnt lgkmcnt(0)
	s_lshr_b32 s4, s4, 16
	v_mul_u32_u24_e32 v15, s5, v15
	s_mul_i32 s4, s4, s5
	v_mad_u32_u24 v1, s4, v1, v15
	v_add_lshl_u32 v0, v1, v0, 4
	s_waitcnt vmcnt(4)
	ds_write2_b64 v0, v[2:3], v[4:5] offset0:9 offset1:10
	s_waitcnt vmcnt(3)
	buffer_store_dword v11, off, s[0:3], 0
	s_waitcnt vmcnt(3)
	buffer_store_dword v12, off, s[0:3], 0 offset:4
	s_waitcnt vmcnt(3)
	buffer_store_dword v13, off, s[0:3], 0 offset:8
	;; [unrolled: 2-line block ×3, first 2 shown]
	buffer_store_dword v5, v10, s[0:3], 0 offen offset:12
	buffer_store_dword v4, v10, s[0:3], 0 offen offset:8
	;; [unrolled: 1-line block ×3, first 2 shown]
	buffer_store_dword v2, v10, s[0:3], 0 offen
.LBB1_28:
	s_or_b64 exec, exec, s[6:7]
.LBB1_29:
	buffer_load_dword v0, off, s[0:3], 0
	buffer_load_dword v1, off, s[0:3], 0 offset:4
	buffer_load_dword v2, off, s[0:3], 0 offset:8
	;; [unrolled: 1-line block ×3, first 2 shown]
	buffer_load_dword v10, v16, s[0:3], 0 offen
	buffer_load_dword v11, v16, s[0:3], 0 offen offset:4
	buffer_load_dword v12, v16, s[0:3], 0 offen offset:8
	;; [unrolled: 1-line block ×3, first 2 shown]
	s_waitcnt vmcnt(4)
	global_store_dwordx4 v[6:7], v[0:3], off
	s_waitcnt vmcnt(1)
	global_store_dwordx4 v[8:9], v[10:13], off
	s_endpgm
	.section	.rodata,"a",@progbits
	.p2align	6, 0x0
	.amdhsa_kernel _ZN9rocsolver6v33100L18getri_kernel_smallILi2E19rocblas_complex_numIdEPS3_EEvT1_iilPiilS6_bb
		.amdhsa_group_segment_fixed_size 1096
		.amdhsa_private_segment_fixed_size 48
		.amdhsa_kernarg_size 60
		.amdhsa_user_sgpr_count 10
		.amdhsa_user_sgpr_private_segment_buffer 1
		.amdhsa_user_sgpr_dispatch_ptr 1
		.amdhsa_user_sgpr_queue_ptr 0
		.amdhsa_user_sgpr_kernarg_segment_ptr 1
		.amdhsa_user_sgpr_dispatch_id 0
		.amdhsa_user_sgpr_flat_scratch_init 1
		.amdhsa_user_sgpr_kernarg_preload_length 0
		.amdhsa_user_sgpr_kernarg_preload_offset 0
		.amdhsa_user_sgpr_private_segment_size 0
		.amdhsa_uses_dynamic_stack 0
		.amdhsa_system_sgpr_private_segment_wavefront_offset 1
		.amdhsa_system_sgpr_workgroup_id_x 1
		.amdhsa_system_sgpr_workgroup_id_y 0
		.amdhsa_system_sgpr_workgroup_id_z 0
		.amdhsa_system_sgpr_workgroup_info 0
		.amdhsa_system_vgpr_workitem_id 2
		.amdhsa_next_free_vgpr 22
		.amdhsa_next_free_sgpr 28
		.amdhsa_accum_offset 24
		.amdhsa_reserve_vcc 1
		.amdhsa_reserve_flat_scratch 1
		.amdhsa_float_round_mode_32 0
		.amdhsa_float_round_mode_16_64 0
		.amdhsa_float_denorm_mode_32 3
		.amdhsa_float_denorm_mode_16_64 3
		.amdhsa_dx10_clamp 1
		.amdhsa_ieee_mode 1
		.amdhsa_fp16_overflow 0
		.amdhsa_tg_split 0
		.amdhsa_exception_fp_ieee_invalid_op 0
		.amdhsa_exception_fp_denorm_src 0
		.amdhsa_exception_fp_ieee_div_zero 0
		.amdhsa_exception_fp_ieee_overflow 0
		.amdhsa_exception_fp_ieee_underflow 0
		.amdhsa_exception_fp_ieee_inexact 0
		.amdhsa_exception_int_div_zero 0
	.end_amdhsa_kernel
	.section	.text._ZN9rocsolver6v33100L18getri_kernel_smallILi2E19rocblas_complex_numIdEPS3_EEvT1_iilPiilS6_bb,"axG",@progbits,_ZN9rocsolver6v33100L18getri_kernel_smallILi2E19rocblas_complex_numIdEPS3_EEvT1_iilPiilS6_bb,comdat
.Lfunc_end1:
	.size	_ZN9rocsolver6v33100L18getri_kernel_smallILi2E19rocblas_complex_numIdEPS3_EEvT1_iilPiilS6_bb, .Lfunc_end1-_ZN9rocsolver6v33100L18getri_kernel_smallILi2E19rocblas_complex_numIdEPS3_EEvT1_iilPiilS6_bb
                                        ; -- End function
	.section	.AMDGPU.csdata,"",@progbits
; Kernel info:
; codeLenInByte = 2132
; NumSgprs: 34
; NumVgprs: 22
; NumAgprs: 0
; TotalNumVgprs: 22
; ScratchSize: 48
; MemoryBound: 0
; FloatMode: 240
; IeeeMode: 1
; LDSByteSize: 1096 bytes/workgroup (compile time only)
; SGPRBlocks: 4
; VGPRBlocks: 2
; NumSGPRsForWavesPerEU: 34
; NumVGPRsForWavesPerEU: 22
; AccumOffset: 24
; Occupancy: 8
; WaveLimiterHint : 0
; COMPUTE_PGM_RSRC2:SCRATCH_EN: 1
; COMPUTE_PGM_RSRC2:USER_SGPR: 10
; COMPUTE_PGM_RSRC2:TRAP_HANDLER: 0
; COMPUTE_PGM_RSRC2:TGID_X_EN: 1
; COMPUTE_PGM_RSRC2:TGID_Y_EN: 0
; COMPUTE_PGM_RSRC2:TGID_Z_EN: 0
; COMPUTE_PGM_RSRC2:TIDIG_COMP_CNT: 2
; COMPUTE_PGM_RSRC3_GFX90A:ACCUM_OFFSET: 5
; COMPUTE_PGM_RSRC3_GFX90A:TG_SPLIT: 0
	.section	.text._ZN9rocsolver6v33100L18getri_kernel_smallILi3E19rocblas_complex_numIdEPS3_EEvT1_iilPiilS6_bb,"axG",@progbits,_ZN9rocsolver6v33100L18getri_kernel_smallILi3E19rocblas_complex_numIdEPS3_EEvT1_iilPiilS6_bb,comdat
	.globl	_ZN9rocsolver6v33100L18getri_kernel_smallILi3E19rocblas_complex_numIdEPS3_EEvT1_iilPiilS6_bb ; -- Begin function _ZN9rocsolver6v33100L18getri_kernel_smallILi3E19rocblas_complex_numIdEPS3_EEvT1_iilPiilS6_bb
	.p2align	8
	.type	_ZN9rocsolver6v33100L18getri_kernel_smallILi3E19rocblas_complex_numIdEPS3_EEvT1_iilPiilS6_bb,@function
_ZN9rocsolver6v33100L18getri_kernel_smallILi3E19rocblas_complex_numIdEPS3_EEvT1_iilPiilS6_bb: ; @_ZN9rocsolver6v33100L18getri_kernel_smallILi3E19rocblas_complex_numIdEPS3_EEvT1_iilPiilS6_bb
; %bb.0:
	s_add_u32 flat_scratch_lo, s8, s11
	s_addc_u32 flat_scratch_hi, s9, 0
	s_add_u32 s0, s0, s11
	v_and_b32_e32 v1, 0x3ff, v0
	s_addc_u32 s1, s1, 0
	v_cmp_gt_u32_e32 vcc, 3, v1
	s_and_saveexec_b64 s[8:9], vcc
	s_cbranch_execz .LBB2_26
; %bb.1:
	s_load_dword s8, s[6:7], 0x38
	s_load_dwordx4 s[20:23], s[6:7], 0x10
	s_load_dwordx4 s[12:15], s[6:7], 0x28
                                        ; implicit-def: $sgpr24_sgpr25
	s_waitcnt lgkmcnt(0)
	s_bitcmp1_b32 s8, 8
	s_cselect_b64 s[26:27], -1, 0
	s_ashr_i32 s11, s10, 31
	s_bfe_u32 s9, s8, 0x10008
	s_cmp_eq_u32 s9, 0
	s_cbranch_scc1 .LBB2_3
; %bb.2:
	s_load_dword s16, s[6:7], 0x20
	s_mul_i32 s9, s10, s13
	s_mul_hi_u32 s13, s10, s12
	s_mul_i32 s18, s11, s12
	s_add_i32 s9, s13, s9
	s_add_i32 s13, s9, s18
	s_mul_i32 s12, s10, s12
	s_waitcnt lgkmcnt(0)
	s_ashr_i32 s17, s16, 31
	s_lshl_b64 s[12:13], s[12:13], 2
	s_add_u32 s9, s22, s12
	s_addc_u32 s18, s23, s13
	s_lshl_b64 s[12:13], s[16:17], 2
	s_add_u32 s24, s9, s12
	s_addc_u32 s25, s18, s13
.LBB2_3:
	s_load_dwordx4 s[16:19], s[6:7], 0x0
	s_mul_i32 s6, s10, s21
	s_mul_hi_u32 s7, s10, s20
	s_add_i32 s9, s7, s6
	s_mul_i32 s12, s11, s20
	s_add_i32 s13, s9, s12
	s_mul_i32 s12, s10, s20
	s_waitcnt lgkmcnt(0)
	s_ashr_i32 s7, s18, 31
	s_lshl_b64 s[12:13], s[12:13], 4
	s_mov_b32 s6, s18
	s_add_u32 s9, s16, s12
	s_addc_u32 s12, s17, s13
	s_lshl_b64 s[6:7], s[6:7], 4
	s_add_u32 s6, s9, s6
	s_addc_u32 s7, s12, s7
	v_lshlrev_b32_e32 v21, 4, v1
	v_mov_b32_e32 v2, s7
	v_add_co_u32_e32 v6, vcc, s6, v21
	v_addc_co_u32_e32 v7, vcc, 0, v2, vcc
	global_load_dwordx4 v[2:5], v21, s[6:7]
	s_ashr_i32 s13, s19, 31
	s_mov_b32 s12, s19
	s_lshl_b64 s[12:13], s[12:13], 4
	v_mov_b32_e32 v9, s13
	v_add_co_u32_e32 v8, vcc, s12, v6
	s_add_i32 s9, s19, s19
	v_addc_co_u32_e32 v9, vcc, v7, v9, vcc
	global_load_dwordx4 v[12:15], v[8:9], off
	v_add_u32_e32 v10, s9, v1
	v_ashrrev_i32_e32 v11, 31, v10
	v_lshlrev_b64 v[10:11], 4, v[10:11]
	v_mov_b32_e32 v16, s7
	v_add_co_u32_e32 v10, vcc, s6, v10
	v_addc_co_u32_e32 v11, vcc, v16, v11, vcc
	global_load_dwordx4 v[22:25], v[10:11], off
	v_mov_b32_e32 v16, 0
	v_add_u32_e32 v19, 16, v16
	v_add_u32_e32 v18, 32, v16
	s_bitcmp0_b32 s8, 0
	s_mov_b64 s[8:9], -1
	s_waitcnt vmcnt(2)
	buffer_store_dword v5, off, s[0:3], 0 offset:12
	buffer_store_dword v4, off, s[0:3], 0 offset:8
	;; [unrolled: 1-line block ×3, first 2 shown]
	buffer_store_dword v2, off, s[0:3], 0
	s_waitcnt vmcnt(5)
	buffer_store_dword v15, off, s[0:3], 0 offset:28
	buffer_store_dword v14, off, s[0:3], 0 offset:24
	;; [unrolled: 1-line block ×4, first 2 shown]
	s_waitcnt vmcnt(8)
	buffer_store_dword v25, off, s[0:3], 0 offset:44
	buffer_store_dword v24, off, s[0:3], 0 offset:40
	;; [unrolled: 1-line block ×4, first 2 shown]
	s_cbranch_scc1 .LBB2_24
; %bb.4:
	v_cmp_eq_u32_e64 s[6:7], 0, v1
	s_and_saveexec_b64 s[8:9], s[6:7]
	s_cbranch_execz .LBB2_6
; %bb.5:
	v_mov_b32_e32 v2, 0
	ds_write_b32 v2, v2 offset:96
.LBB2_6:
	s_or_b64 exec, exec, s[8:9]
	v_mov_b32_e32 v2, 0
	v_lshl_add_u32 v20, v1, 4, v2
	s_waitcnt lgkmcnt(0)
	; wave barrier
	s_waitcnt lgkmcnt(0)
	buffer_load_dword v2, v20, s[0:3], 0 offen
	buffer_load_dword v3, v20, s[0:3], 0 offen offset:4
	buffer_load_dword v4, v20, s[0:3], 0 offen offset:8
	;; [unrolled: 1-line block ×3, first 2 shown]
	s_waitcnt vmcnt(2)
	v_cmp_eq_f64_e32 vcc, 0, v[2:3]
	s_waitcnt vmcnt(0)
	v_cmp_eq_f64_e64 s[8:9], 0, v[4:5]
	s_and_b64 s[8:9], vcc, s[8:9]
	s_and_saveexec_b64 s[12:13], s[8:9]
	s_cbranch_execz .LBB2_10
; %bb.7:
	v_mov_b32_e32 v2, 0
	ds_read_b32 v4, v2 offset:96
	v_add_u32_e32 v3, 1, v1
	s_waitcnt lgkmcnt(0)
	v_readfirstlane_b32 s8, v4
	s_cmp_eq_u32 s8, 0
	s_cselect_b64 s[16:17], -1, 0
	v_cmp_gt_i32_e32 vcc, s8, v3
	s_or_b64 s[16:17], s[16:17], vcc
	s_and_b64 exec, exec, s[16:17]
	s_cbranch_execz .LBB2_10
; %bb.8:
	s_mov_b64 s[16:17], 0
	v_mov_b32_e32 v4, s8
.LBB2_9:                                ; =>This Inner Loop Header: Depth=1
	ds_cmpst_rtn_b32 v4, v2, v4, v3 offset:96
	s_waitcnt lgkmcnt(0)
	v_cmp_ne_u32_e32 vcc, 0, v4
	v_cmp_le_i32_e64 s[8:9], v4, v3
	s_and_b64 s[8:9], vcc, s[8:9]
	s_and_b64 s[8:9], exec, s[8:9]
	s_or_b64 s[16:17], s[8:9], s[16:17]
	s_andn2_b64 exec, exec, s[16:17]
	s_cbranch_execnz .LBB2_9
.LBB2_10:
	s_or_b64 exec, exec, s[12:13]
	v_mov_b32_e32 v3, 0
	s_waitcnt lgkmcnt(0)
	; wave barrier
	ds_read_b32 v2, v3 offset:96
	s_and_saveexec_b64 s[8:9], s[6:7]
	s_cbranch_execz .LBB2_12
; %bb.11:
	s_lshl_b64 s[12:13], s[10:11], 2
	s_add_u32 s12, s14, s12
	s_addc_u32 s13, s15, s13
	s_waitcnt lgkmcnt(0)
	global_store_dword v3, v2, s[12:13]
.LBB2_12:
	s_or_b64 exec, exec, s[8:9]
	s_waitcnt lgkmcnt(0)
	v_cmp_ne_u32_e32 vcc, 0, v2
	s_mov_b64 s[8:9], 0
	s_cbranch_vccnz .LBB2_24
; %bb.13:
	buffer_load_dword v13, v20, s[0:3], 0 offen offset:4
	buffer_load_dword v12, v20, s[0:3], 0 offen
	buffer_load_dword v15, v20, s[0:3], 0 offen offset:12
	buffer_load_dword v14, v20, s[0:3], 0 offen offset:8
                                        ; implicit-def: $vgpr16_vgpr17
	s_waitcnt vmcnt(3)
	v_xor_b32_e32 v3, 0x80000000, v13
	s_waitcnt vmcnt(2)
	v_cmp_gt_f64_e32 vcc, 0, v[12:13]
	s_waitcnt vmcnt(1)
	v_xor_b32_e32 v4, 0x80000000, v15
	v_cndmask_b32_e32 v3, v13, v3, vcc
	s_waitcnt vmcnt(0)
	v_cmp_gt_f64_e32 vcc, 0, v[14:15]
	v_mov_b32_e32 v2, v12
	v_cndmask_b32_e32 v5, v15, v4, vcc
	v_mov_b32_e32 v4, v14
	v_cmp_ngt_f64_e32 vcc, v[2:3], v[4:5]
                                        ; implicit-def: $vgpr4_vgpr5
	s_and_saveexec_b64 s[8:9], vcc
	s_xor_b64 s[8:9], exec, s[8:9]
	s_cbranch_execz .LBB2_15
; %bb.14:
	v_div_scale_f64 v[2:3], s[12:13], v[14:15], v[14:15], v[12:13]
	v_rcp_f64_e32 v[4:5], v[2:3]
	v_div_scale_f64 v[16:17], vcc, v[12:13], v[14:15], v[12:13]
	v_fma_f64 v[22:23], -v[2:3], v[4:5], 1.0
	v_fmac_f64_e32 v[4:5], v[4:5], v[22:23]
	v_fma_f64 v[22:23], -v[2:3], v[4:5], 1.0
	v_fmac_f64_e32 v[4:5], v[4:5], v[22:23]
	v_mul_f64 v[22:23], v[16:17], v[4:5]
	v_fma_f64 v[2:3], -v[2:3], v[22:23], v[16:17]
	v_div_fmas_f64 v[2:3], v[2:3], v[4:5], v[22:23]
	v_div_fixup_f64 v[2:3], v[2:3], v[14:15], v[12:13]
	v_fmac_f64_e32 v[14:15], v[12:13], v[2:3]
	v_div_scale_f64 v[4:5], s[12:13], v[14:15], v[14:15], 1.0
	v_rcp_f64_e32 v[12:13], v[4:5]
	v_fma_f64 v[16:17], -v[4:5], v[12:13], 1.0
	v_fmac_f64_e32 v[12:13], v[12:13], v[16:17]
	v_fma_f64 v[16:17], -v[4:5], v[12:13], 1.0
	v_fmac_f64_e32 v[12:13], v[12:13], v[16:17]
	v_div_scale_f64 v[16:17], vcc, 1.0, v[14:15], 1.0
	v_mul_f64 v[22:23], v[16:17], v[12:13]
	v_fma_f64 v[4:5], -v[4:5], v[22:23], v[16:17]
	s_nop 1
	v_div_fmas_f64 v[4:5], v[4:5], v[12:13], v[22:23]
	v_div_fixup_f64 v[4:5], v[4:5], v[14:15], 1.0
	v_mul_f64 v[16:17], v[2:3], v[4:5]
	v_xor_b32_e32 v5, 0x80000000, v5
	v_xor_b32_e32 v3, 0x80000000, v17
	v_mov_b32_e32 v2, v16
                                        ; implicit-def: $vgpr12_vgpr13
                                        ; implicit-def: $vgpr14_vgpr15
.LBB2_15:
	s_andn2_saveexec_b64 s[8:9], s[8:9]
	s_cbranch_execz .LBB2_17
; %bb.16:
	v_div_scale_f64 v[2:3], s[12:13], v[12:13], v[12:13], v[14:15]
	v_rcp_f64_e32 v[4:5], v[2:3]
	v_div_scale_f64 v[16:17], vcc, v[14:15], v[12:13], v[14:15]
	v_fma_f64 v[22:23], -v[2:3], v[4:5], 1.0
	v_fmac_f64_e32 v[4:5], v[4:5], v[22:23]
	v_fma_f64 v[22:23], -v[2:3], v[4:5], 1.0
	v_fmac_f64_e32 v[4:5], v[4:5], v[22:23]
	v_mul_f64 v[22:23], v[16:17], v[4:5]
	v_fma_f64 v[2:3], -v[2:3], v[22:23], v[16:17]
	v_div_fmas_f64 v[2:3], v[2:3], v[4:5], v[22:23]
	v_div_fixup_f64 v[4:5], v[2:3], v[12:13], v[14:15]
	v_fmac_f64_e32 v[12:13], v[14:15], v[4:5]
	v_div_scale_f64 v[2:3], s[12:13], v[12:13], v[12:13], 1.0
	v_rcp_f64_e32 v[14:15], v[2:3]
	v_fma_f64 v[16:17], -v[2:3], v[14:15], 1.0
	v_fmac_f64_e32 v[14:15], v[14:15], v[16:17]
	v_fma_f64 v[16:17], -v[2:3], v[14:15], 1.0
	v_fmac_f64_e32 v[14:15], v[14:15], v[16:17]
	v_div_scale_f64 v[16:17], vcc, 1.0, v[12:13], 1.0
	v_mul_f64 v[22:23], v[16:17], v[14:15]
	v_fma_f64 v[2:3], -v[2:3], v[22:23], v[16:17]
	s_nop 1
	v_div_fmas_f64 v[2:3], v[2:3], v[14:15], v[22:23]
	v_div_fixup_f64 v[16:17], v[2:3], v[12:13], 1.0
	v_xor_b32_e32 v3, 0x80000000, v17
	v_mov_b32_e32 v2, v16
	v_mul_f64 v[4:5], v[4:5], -v[16:17]
.LBB2_17:
	s_or_b64 exec, exec, s[8:9]
	buffer_store_dword v17, v20, s[0:3], 0 offen offset:4
	buffer_store_dword v16, v20, s[0:3], 0 offen
	buffer_store_dword v5, v20, s[0:3], 0 offen offset:12
	buffer_store_dword v4, v20, s[0:3], 0 offen offset:8
	buffer_load_dword v17, v19, s[0:3], 0 offen offset:12
	s_nop 0
	buffer_load_dword v16, v19, s[0:3], 0 offen offset:8
	buffer_load_dword v15, v19, s[0:3], 0 offen offset:4
	buffer_load_dword v14, v19, s[0:3], 0 offen
	v_xor_b32_e32 v5, 0x80000000, v5
	v_add_u32_e32 v12, 48, v21
	ds_write_b128 v21, v[2:5]
	s_waitcnt vmcnt(0)
	ds_write_b128 v21, v[14:17] offset:48
	s_waitcnt lgkmcnt(0)
	; wave barrier
	s_waitcnt lgkmcnt(0)
	s_and_saveexec_b64 s[8:9], s[6:7]
	s_cbranch_execz .LBB2_19
; %bb.18:
	buffer_load_dword v22, v20, s[0:3], 0 offen offset:8
	buffer_load_dword v23, v20, s[0:3], 0 offen offset:12
	buffer_load_dword v24, v20, s[0:3], 0 offen
	buffer_load_dword v25, v20, s[0:3], 0 offen offset:4
	ds_read_b128 v[2:5], v12
	v_mov_b32_e32 v13, 0
	ds_read_b128 v[14:17], v13 offset:16
	s_waitcnt vmcnt(2) lgkmcnt(1)
	v_mul_f64 v[26:27], v[4:5], v[22:23]
	v_mul_f64 v[22:23], v[2:3], v[22:23]
	s_waitcnt vmcnt(0)
	v_fmac_f64_e32 v[22:23], v[4:5], v[24:25]
	v_fma_f64 v[2:3], v[2:3], v[24:25], -v[26:27]
	v_add_f64 v[4:5], v[22:23], 0
	v_add_f64 v[2:3], v[2:3], 0
	s_waitcnt lgkmcnt(0)
	v_mul_f64 v[22:23], v[4:5], v[16:17]
	v_mul_f64 v[16:17], v[2:3], v[16:17]
	v_fma_f64 v[2:3], v[2:3], v[14:15], -v[22:23]
	v_fmac_f64_e32 v[16:17], v[4:5], v[14:15]
	buffer_store_dword v2, off, s[0:3], 0 offset:16
	buffer_store_dword v3, off, s[0:3], 0 offset:20
	;; [unrolled: 1-line block ×4, first 2 shown]
.LBB2_19:
	s_or_b64 exec, exec, s[8:9]
	s_waitcnt lgkmcnt(0)
	; wave barrier
	buffer_load_dword v2, v18, s[0:3], 0 offen
	buffer_load_dword v3, v18, s[0:3], 0 offen offset:4
	buffer_load_dword v4, v18, s[0:3], 0 offen offset:8
	;; [unrolled: 1-line block ×3, first 2 shown]
	v_cmp_ne_u32_e32 vcc, 2, v1
	s_waitcnt vmcnt(0)
	ds_write_b128 v12, v[2:5]
	s_waitcnt lgkmcnt(0)
	; wave barrier
	s_waitcnt lgkmcnt(0)
	s_and_saveexec_b64 s[8:9], vcc
	s_cbranch_execz .LBB2_23
; %bb.20:
	buffer_load_dword v14, v20, s[0:3], 0 offen offset:8
	buffer_load_dword v15, v20, s[0:3], 0 offen offset:12
	buffer_load_dword v16, v20, s[0:3], 0 offen
	buffer_load_dword v17, v20, s[0:3], 0 offen offset:4
	ds_read_b128 v[2:5], v12
	s_waitcnt vmcnt(2) lgkmcnt(0)
	v_mul_f64 v[12:13], v[4:5], v[14:15]
	v_mul_f64 v[14:15], v[2:3], v[14:15]
	s_waitcnt vmcnt(0)
	v_fma_f64 v[2:3], v[2:3], v[16:17], -v[12:13]
	v_fmac_f64_e32 v[14:15], v[4:5], v[16:17]
	v_add_f64 v[4:5], v[2:3], 0
	v_add_f64 v[2:3], v[14:15], 0
	s_and_saveexec_b64 s[12:13], s[6:7]
	s_cbranch_execz .LBB2_22
; %bb.21:
	buffer_load_dword v16, off, s[0:3], 0 offset:24
	buffer_load_dword v17, off, s[0:3], 0 offset:28
	;; [unrolled: 1-line block ×4, first 2 shown]
	v_mov_b32_e32 v12, 0
	ds_read_b128 v[12:15], v12 offset:64
	s_waitcnt vmcnt(2) lgkmcnt(0)
	v_mul_f64 v[22:23], v[12:13], v[16:17]
	v_mul_f64 v[16:17], v[14:15], v[16:17]
	s_waitcnt vmcnt(0)
	v_fmac_f64_e32 v[22:23], v[14:15], v[20:21]
	v_fma_f64 v[12:13], v[12:13], v[20:21], -v[16:17]
	v_add_f64 v[2:3], v[2:3], v[22:23]
	v_add_f64 v[4:5], v[4:5], v[12:13]
.LBB2_22:
	s_or_b64 exec, exec, s[12:13]
	v_mov_b32_e32 v12, 0
	ds_read_b128 v[12:15], v12 offset:32
	s_waitcnt lgkmcnt(0)
	v_mul_f64 v[16:17], v[2:3], v[14:15]
	v_mul_f64 v[14:15], v[4:5], v[14:15]
	v_fma_f64 v[4:5], v[4:5], v[12:13], -v[16:17]
	v_fmac_f64_e32 v[14:15], v[2:3], v[12:13]
	buffer_store_dword v5, off, s[0:3], 0 offset:36
	buffer_store_dword v4, off, s[0:3], 0 offset:32
	;; [unrolled: 1-line block ×4, first 2 shown]
.LBB2_23:
	s_or_b64 exec, exec, s[8:9]
	s_mov_b64 s[8:9], -1
	s_waitcnt lgkmcnt(0)
	; wave barrier
.LBB2_24:
	s_and_b64 vcc, exec, s[8:9]
	s_cbranch_vccz .LBB2_26
; %bb.25:
	s_lshl_b64 s[6:7], s[10:11], 2
	s_add_u32 s6, s14, s6
	s_addc_u32 s7, s15, s7
	v_mov_b32_e32 v2, 0
	global_load_dword v2, v2, s[6:7]
	s_waitcnt vmcnt(0)
	v_cmp_ne_u32_e32 vcc, 0, v2
	s_cbranch_vccz .LBB2_27
.LBB2_26:
	s_endpgm
.LBB2_27:
	v_lshl_add_u32 v2, v1, 4, 48
	v_cmp_eq_u32_e32 vcc, 2, v1
	s_and_saveexec_b64 s[6:7], vcc
	s_cbranch_execz .LBB2_29
; %bb.28:
	buffer_load_dword v12, v19, s[0:3], 0 offen
	buffer_load_dword v13, v19, s[0:3], 0 offen offset:4
	buffer_load_dword v14, v19, s[0:3], 0 offen offset:8
	;; [unrolled: 1-line block ×3, first 2 shown]
	v_mov_b32_e32 v3, 0
	buffer_store_dword v3, off, s[0:3], 0 offset:16
	buffer_store_dword v3, off, s[0:3], 0 offset:20
	;; [unrolled: 1-line block ×4, first 2 shown]
	s_waitcnt vmcnt(4)
	ds_write_b128 v2, v[12:15]
.LBB2_29:
	s_or_b64 exec, exec, s[6:7]
	s_waitcnt lgkmcnt(0)
	; wave barrier
	s_waitcnt lgkmcnt(0)
	buffer_load_dword v4, off, s[0:3], 0 offset:40
	buffer_load_dword v5, off, s[0:3], 0 offset:44
	;; [unrolled: 1-line block ×8, first 2 shown]
	v_mov_b32_e32 v3, 0
	ds_read_b128 v[12:15], v3 offset:80
	v_cmp_ne_u32_e32 vcc, 0, v1
	s_waitcnt vmcnt(6) lgkmcnt(0)
	v_mul_f64 v[24:25], v[12:13], v[4:5]
	v_mul_f64 v[4:5], v[14:15], v[4:5]
	s_waitcnt vmcnt(4)
	v_fma_f64 v[4:5], v[12:13], v[16:17], -v[4:5]
	v_fmac_f64_e32 v[24:25], v[14:15], v[16:17]
	v_add_f64 v[4:5], v[4:5], 0
	v_add_f64 v[12:13], v[24:25], 0
	s_waitcnt vmcnt(2)
	v_add_f64 v[4:5], v[20:21], -v[4:5]
	s_waitcnt vmcnt(0)
	v_add_f64 v[12:13], v[22:23], -v[12:13]
	buffer_store_dword v4, off, s[0:3], 0 offset:16
	buffer_store_dword v5, off, s[0:3], 0 offset:20
	;; [unrolled: 1-line block ×4, first 2 shown]
	s_and_saveexec_b64 s[6:7], vcc
	s_cbranch_execz .LBB2_31
; %bb.30:
	buffer_load_dword v12, off, s[0:3], 0
	buffer_load_dword v13, off, s[0:3], 0 offset:4
	buffer_load_dword v14, off, s[0:3], 0 offset:8
	;; [unrolled: 1-line block ×3, first 2 shown]
	s_nop 0
	buffer_store_dword v3, off, s[0:3], 0
	buffer_store_dword v3, off, s[0:3], 0 offset:4
	buffer_store_dword v3, off, s[0:3], 0 offset:8
	;; [unrolled: 1-line block ×3, first 2 shown]
	s_waitcnt vmcnt(4)
	ds_write_b128 v2, v[12:15]
.LBB2_31:
	s_or_b64 exec, exec, s[6:7]
	s_waitcnt lgkmcnt(0)
	; wave barrier
	s_waitcnt lgkmcnt(0)
	buffer_load_dword v16, off, s[0:3], 0 offset:24
	buffer_load_dword v17, off, s[0:3], 0 offset:28
	;; [unrolled: 1-line block ×8, first 2 shown]
	buffer_load_dword v26, off, s[0:3], 0
	buffer_load_dword v27, off, s[0:3], 0 offset:4
	buffer_load_dword v28, off, s[0:3], 0 offset:8
	;; [unrolled: 1-line block ×3, first 2 shown]
	ds_read_b128 v[12:15], v3 offset:64
	ds_read_b128 v[2:5], v3 offset:80
	s_and_b64 vcc, exec, s[26:27]
	s_waitcnt vmcnt(10) lgkmcnt(1)
	v_mul_f64 v[30:31], v[12:13], v[16:17]
	v_mul_f64 v[16:17], v[14:15], v[16:17]
	s_waitcnt vmcnt(8) lgkmcnt(0)
	v_mul_f64 v[32:33], v[2:3], v[20:21]
	v_mul_f64 v[20:21], v[4:5], v[20:21]
	s_waitcnt vmcnt(6)
	v_fmac_f64_e32 v[30:31], v[14:15], v[22:23]
	s_waitcnt vmcnt(4)
	v_fmac_f64_e32 v[32:33], v[4:5], v[24:25]
	v_fma_f64 v[4:5], v[12:13], v[22:23], -v[16:17]
	v_fma_f64 v[2:3], v[2:3], v[24:25], -v[20:21]
	v_add_f64 v[4:5], v[4:5], 0
	v_add_f64 v[12:13], v[30:31], 0
	;; [unrolled: 1-line block ×4, first 2 shown]
	s_waitcnt vmcnt(2)
	v_add_f64 v[2:3], v[26:27], -v[2:3]
	s_waitcnt vmcnt(0)
	v_add_f64 v[4:5], v[28:29], -v[12:13]
	buffer_store_dword v2, off, s[0:3], 0
	buffer_store_dword v3, off, s[0:3], 0 offset:4
	buffer_store_dword v4, off, s[0:3], 0 offset:8
	;; [unrolled: 1-line block ×3, first 2 shown]
	s_cbranch_vccz .LBB2_37
; %bb.32:
	v_pk_mov_b32 v[2:3], s[24:25], s[24:25] op_sel:[0,1]
	flat_load_dword v2, v[2:3] offset:4
	s_load_dwordx2 s[4:5], s[4:5], 0x4
	v_bfe_u32 v3, v0, 10, 10
	v_bfe_u32 v0, v0, 20, 10
	s_waitcnt lgkmcnt(0)
	s_lshr_b32 s4, s4, 16
	s_mul_i32 s4, s4, s5
	v_mul_u32_u24_e32 v1, s4, v1
	v_mul_u32_u24_e32 v3, s5, v3
	v_add3_u32 v0, v1, v3, v0
	v_mov_b32_e32 v1, 0x68
	v_lshl_add_u32 v0, v0, 4, v1
	s_waitcnt vmcnt(0)
	v_add_u32_e32 v1, -1, v2
	v_cmp_ne_u32_e32 vcc, 1, v1
	s_and_saveexec_b64 s[4:5], vcc
	s_cbranch_execz .LBB2_34
; %bb.33:
	v_mov_b32_e32 v2, 0
	v_lshl_add_u32 v1, v1, 4, v2
	buffer_load_dword v2, v19, s[0:3], 0 offen
	buffer_load_dword v3, v19, s[0:3], 0 offen offset:4
	buffer_load_dword v4, v19, s[0:3], 0 offen offset:8
	;; [unrolled: 1-line block ×3, first 2 shown]
	buffer_load_dword v12, v1, s[0:3], 0 offen
	buffer_load_dword v13, v1, s[0:3], 0 offen offset:4
	buffer_load_dword v14, v1, s[0:3], 0 offen offset:8
	buffer_load_dword v15, v1, s[0:3], 0 offen offset:12
	s_waitcnt vmcnt(4)
	ds_write2_b64 v0, v[2:3], v[4:5] offset1:1
	s_waitcnt vmcnt(3)
	buffer_store_dword v12, v19, s[0:3], 0 offen
	s_waitcnt vmcnt(3)
	buffer_store_dword v13, v19, s[0:3], 0 offen offset:4
	s_waitcnt vmcnt(3)
	buffer_store_dword v14, v19, s[0:3], 0 offen offset:8
	;; [unrolled: 2-line block ×3, first 2 shown]
	buffer_store_dword v5, v1, s[0:3], 0 offen offset:12
	buffer_store_dword v4, v1, s[0:3], 0 offen offset:8
	;; [unrolled: 1-line block ×3, first 2 shown]
	buffer_store_dword v2, v1, s[0:3], 0 offen
.LBB2_34:
	s_or_b64 exec, exec, s[4:5]
	v_pk_mov_b32 v[2:3], s[24:25], s[24:25] op_sel:[0,1]
	flat_load_dword v1, v[2:3]
	s_waitcnt vmcnt(0) lgkmcnt(0)
	v_add_u32_e32 v1, -1, v1
	v_cmp_ne_u32_e32 vcc, 0, v1
	s_and_saveexec_b64 s[4:5], vcc
	s_cbranch_execz .LBB2_36
; %bb.35:
	v_mov_b32_e32 v2, 0
	v_lshl_add_u32 v1, v1, 4, v2
	buffer_load_dword v2, off, s[0:3], 0
	buffer_load_dword v3, off, s[0:3], 0 offset:4
	buffer_load_dword v4, off, s[0:3], 0 offset:8
	;; [unrolled: 1-line block ×3, first 2 shown]
	buffer_load_dword v12, v1, s[0:3], 0 offen
	buffer_load_dword v13, v1, s[0:3], 0 offen offset:4
	buffer_load_dword v14, v1, s[0:3], 0 offen offset:8
	;; [unrolled: 1-line block ×3, first 2 shown]
	s_waitcnt vmcnt(4)
	ds_write2_b64 v0, v[2:3], v[4:5] offset1:1
	s_waitcnt vmcnt(3)
	buffer_store_dword v12, off, s[0:3], 0
	s_waitcnt vmcnt(3)
	buffer_store_dword v13, off, s[0:3], 0 offset:4
	s_waitcnt vmcnt(3)
	buffer_store_dword v14, off, s[0:3], 0 offset:8
	;; [unrolled: 2-line block ×3, first 2 shown]
	buffer_store_dword v5, v1, s[0:3], 0 offen offset:12
	buffer_store_dword v4, v1, s[0:3], 0 offen offset:8
	;; [unrolled: 1-line block ×3, first 2 shown]
	buffer_store_dword v2, v1, s[0:3], 0 offen
.LBB2_36:
	s_or_b64 exec, exec, s[4:5]
.LBB2_37:
	buffer_load_dword v0, v19, s[0:3], 0 offen
	buffer_load_dword v1, v19, s[0:3], 0 offen offset:4
	buffer_load_dword v2, v19, s[0:3], 0 offen offset:8
	buffer_load_dword v3, v19, s[0:3], 0 offen offset:12
                                        ; kill: killed $vgpr19
	buffer_load_dword v12, off, s[0:3], 0
	buffer_load_dword v13, off, s[0:3], 0 offset:4
	buffer_load_dword v14, off, s[0:3], 0 offset:8
	buffer_load_dword v15, off, s[0:3], 0 offset:12
	buffer_load_dword v20, v18, s[0:3], 0 offen
	buffer_load_dword v21, v18, s[0:3], 0 offen offset:4
	buffer_load_dword v22, v18, s[0:3], 0 offen offset:8
	;; [unrolled: 1-line block ×3, first 2 shown]
	s_waitcnt vmcnt(4)
	global_store_dwordx4 v[6:7], v[12:15], off
	global_store_dwordx4 v[8:9], v[0:3], off
	s_waitcnt vmcnt(2)
	global_store_dwordx4 v[10:11], v[20:23], off
	s_endpgm
	.section	.rodata,"a",@progbits
	.p2align	6, 0x0
	.amdhsa_kernel _ZN9rocsolver6v33100L18getri_kernel_smallILi3E19rocblas_complex_numIdEPS3_EEvT1_iilPiilS6_bb
		.amdhsa_group_segment_fixed_size 1128
		.amdhsa_private_segment_fixed_size 64
		.amdhsa_kernarg_size 60
		.amdhsa_user_sgpr_count 10
		.amdhsa_user_sgpr_private_segment_buffer 1
		.amdhsa_user_sgpr_dispatch_ptr 1
		.amdhsa_user_sgpr_queue_ptr 0
		.amdhsa_user_sgpr_kernarg_segment_ptr 1
		.amdhsa_user_sgpr_dispatch_id 0
		.amdhsa_user_sgpr_flat_scratch_init 1
		.amdhsa_user_sgpr_kernarg_preload_length 0
		.amdhsa_user_sgpr_kernarg_preload_offset 0
		.amdhsa_user_sgpr_private_segment_size 0
		.amdhsa_uses_dynamic_stack 0
		.amdhsa_system_sgpr_private_segment_wavefront_offset 1
		.amdhsa_system_sgpr_workgroup_id_x 1
		.amdhsa_system_sgpr_workgroup_id_y 0
		.amdhsa_system_sgpr_workgroup_id_z 0
		.amdhsa_system_sgpr_workgroup_info 0
		.amdhsa_system_vgpr_workitem_id 2
		.amdhsa_next_free_vgpr 34
		.amdhsa_next_free_sgpr 28
		.amdhsa_accum_offset 36
		.amdhsa_reserve_vcc 1
		.amdhsa_reserve_flat_scratch 1
		.amdhsa_float_round_mode_32 0
		.amdhsa_float_round_mode_16_64 0
		.amdhsa_float_denorm_mode_32 3
		.amdhsa_float_denorm_mode_16_64 3
		.amdhsa_dx10_clamp 1
		.amdhsa_ieee_mode 1
		.amdhsa_fp16_overflow 0
		.amdhsa_tg_split 0
		.amdhsa_exception_fp_ieee_invalid_op 0
		.amdhsa_exception_fp_denorm_src 0
		.amdhsa_exception_fp_ieee_div_zero 0
		.amdhsa_exception_fp_ieee_overflow 0
		.amdhsa_exception_fp_ieee_underflow 0
		.amdhsa_exception_fp_ieee_inexact 0
		.amdhsa_exception_int_div_zero 0
	.end_amdhsa_kernel
	.section	.text._ZN9rocsolver6v33100L18getri_kernel_smallILi3E19rocblas_complex_numIdEPS3_EEvT1_iilPiilS6_bb,"axG",@progbits,_ZN9rocsolver6v33100L18getri_kernel_smallILi3E19rocblas_complex_numIdEPS3_EEvT1_iilPiilS6_bb,comdat
.Lfunc_end2:
	.size	_ZN9rocsolver6v33100L18getri_kernel_smallILi3E19rocblas_complex_numIdEPS3_EEvT1_iilPiilS6_bb, .Lfunc_end2-_ZN9rocsolver6v33100L18getri_kernel_smallILi3E19rocblas_complex_numIdEPS3_EEvT1_iilPiilS6_bb
                                        ; -- End function
	.section	.AMDGPU.csdata,"",@progbits
; Kernel info:
; codeLenInByte = 3212
; NumSgprs: 34
; NumVgprs: 34
; NumAgprs: 0
; TotalNumVgprs: 34
; ScratchSize: 64
; MemoryBound: 0
; FloatMode: 240
; IeeeMode: 1
; LDSByteSize: 1128 bytes/workgroup (compile time only)
; SGPRBlocks: 4
; VGPRBlocks: 4
; NumSGPRsForWavesPerEU: 34
; NumVGPRsForWavesPerEU: 34
; AccumOffset: 36
; Occupancy: 8
; WaveLimiterHint : 0
; COMPUTE_PGM_RSRC2:SCRATCH_EN: 1
; COMPUTE_PGM_RSRC2:USER_SGPR: 10
; COMPUTE_PGM_RSRC2:TRAP_HANDLER: 0
; COMPUTE_PGM_RSRC2:TGID_X_EN: 1
; COMPUTE_PGM_RSRC2:TGID_Y_EN: 0
; COMPUTE_PGM_RSRC2:TGID_Z_EN: 0
; COMPUTE_PGM_RSRC2:TIDIG_COMP_CNT: 2
; COMPUTE_PGM_RSRC3_GFX90A:ACCUM_OFFSET: 8
; COMPUTE_PGM_RSRC3_GFX90A:TG_SPLIT: 0
	.section	.text._ZN9rocsolver6v33100L18getri_kernel_smallILi4E19rocblas_complex_numIdEPS3_EEvT1_iilPiilS6_bb,"axG",@progbits,_ZN9rocsolver6v33100L18getri_kernel_smallILi4E19rocblas_complex_numIdEPS3_EEvT1_iilPiilS6_bb,comdat
	.globl	_ZN9rocsolver6v33100L18getri_kernel_smallILi4E19rocblas_complex_numIdEPS3_EEvT1_iilPiilS6_bb ; -- Begin function _ZN9rocsolver6v33100L18getri_kernel_smallILi4E19rocblas_complex_numIdEPS3_EEvT1_iilPiilS6_bb
	.p2align	8
	.type	_ZN9rocsolver6v33100L18getri_kernel_smallILi4E19rocblas_complex_numIdEPS3_EEvT1_iilPiilS6_bb,@function
_ZN9rocsolver6v33100L18getri_kernel_smallILi4E19rocblas_complex_numIdEPS3_EEvT1_iilPiilS6_bb: ; @_ZN9rocsolver6v33100L18getri_kernel_smallILi4E19rocblas_complex_numIdEPS3_EEvT1_iilPiilS6_bb
; %bb.0:
	s_add_u32 flat_scratch_lo, s8, s11
	s_addc_u32 flat_scratch_hi, s9, 0
	s_add_u32 s0, s0, s11
	v_and_b32_e32 v22, 0x3ff, v0
	s_addc_u32 s1, s1, 0
	v_cmp_gt_u32_e32 vcc, 4, v22
	s_and_saveexec_b64 s[8:9], vcc
	s_cbranch_execz .LBB3_30
; %bb.1:
	s_load_dword s8, s[6:7], 0x38
	s_load_dwordx4 s[20:23], s[6:7], 0x10
	s_load_dwordx4 s[12:15], s[6:7], 0x28
                                        ; implicit-def: $sgpr24_sgpr25
	s_waitcnt lgkmcnt(0)
	s_bitcmp1_b32 s8, 8
	s_cselect_b64 s[26:27], -1, 0
	s_ashr_i32 s11, s10, 31
	s_bfe_u32 s9, s8, 0x10008
	s_cmp_eq_u32 s9, 0
	s_cbranch_scc1 .LBB3_3
; %bb.2:
	s_load_dword s16, s[6:7], 0x20
	s_mul_i32 s9, s10, s13
	s_mul_hi_u32 s13, s10, s12
	s_mul_i32 s18, s11, s12
	s_add_i32 s9, s13, s9
	s_add_i32 s13, s9, s18
	s_mul_i32 s12, s10, s12
	s_waitcnt lgkmcnt(0)
	s_ashr_i32 s17, s16, 31
	s_lshl_b64 s[12:13], s[12:13], 2
	s_add_u32 s9, s22, s12
	s_addc_u32 s18, s23, s13
	s_lshl_b64 s[12:13], s[16:17], 2
	s_add_u32 s24, s9, s12
	s_addc_u32 s25, s18, s13
.LBB3_3:
	s_load_dwordx4 s[16:19], s[6:7], 0x0
	s_mul_i32 s6, s10, s21
	s_mul_hi_u32 s7, s10, s20
	s_add_i32 s9, s7, s6
	s_mul_i32 s12, s11, s20
	s_add_i32 s13, s9, s12
	s_mul_i32 s12, s10, s20
	s_waitcnt lgkmcnt(0)
	s_ashr_i32 s7, s18, 31
	s_lshl_b64 s[12:13], s[12:13], 4
	s_mov_b32 s6, s18
	s_add_u32 s9, s16, s12
	s_addc_u32 s12, s17, s13
	s_lshl_b64 s[6:7], s[6:7], 4
	s_add_u32 s6, s9, s6
	s_addc_u32 s7, s12, s7
	v_lshlrev_b32_e32 v23, 4, v22
	v_mov_b32_e32 v1, s7
	v_add_co_u32_e32 v6, vcc, s6, v23
	s_ashr_i32 s13, s19, 31
	s_mov_b32 s12, s19
	s_add_i32 s9, s19, s19
	v_addc_co_u32_e32 v7, vcc, 0, v1, vcc
	s_lshl_b64 s[12:13], s[12:13], 4
	v_add_u32_e32 v12, s9, v22
	v_mov_b32_e32 v1, s13
	v_add_co_u32_e32 v8, vcc, s12, v6
	v_ashrrev_i32_e32 v13, 31, v12
	v_addc_co_u32_e32 v9, vcc, v7, v1, vcc
	v_lshlrev_b64 v[10:11], 4, v[12:13]
	v_mov_b32_e32 v1, s7
	v_add_co_u32_e32 v10, vcc, s6, v10
	global_load_dwordx4 v[2:5], v23, s[6:7]
	v_addc_co_u32_e32 v11, vcc, v1, v11, vcc
	global_load_dwordx4 v[14:17], v[8:9], off
	global_load_dwordx4 v[24:27], v[10:11], off
	v_add_u32_e32 v12, s19, v12
	v_ashrrev_i32_e32 v13, 31, v12
	v_lshlrev_b64 v[12:13], 4, v[12:13]
	v_add_co_u32_e32 v12, vcc, s6, v12
	v_addc_co_u32_e32 v13, vcc, v1, v13, vcc
	global_load_dwordx4 v[28:31], v[12:13], off
	v_mov_b32_e32 v1, 0
	v_add_u32_e32 v21, 16, v1
	v_add_u32_e32 v20, 32, v1
	;; [unrolled: 1-line block ×3, first 2 shown]
	s_bitcmp0_b32 s8, 0
	s_mov_b64 s[8:9], -1
	s_waitcnt vmcnt(3)
	buffer_store_dword v5, off, s[0:3], 0 offset:12
	buffer_store_dword v4, off, s[0:3], 0 offset:8
	;; [unrolled: 1-line block ×3, first 2 shown]
	buffer_store_dword v2, off, s[0:3], 0
	s_waitcnt vmcnt(6)
	buffer_store_dword v17, off, s[0:3], 0 offset:28
	buffer_store_dword v16, off, s[0:3], 0 offset:24
	buffer_store_dword v15, off, s[0:3], 0 offset:20
	buffer_store_dword v14, off, s[0:3], 0 offset:16
	s_waitcnt vmcnt(9)
	buffer_store_dword v27, off, s[0:3], 0 offset:44
	buffer_store_dword v26, off, s[0:3], 0 offset:40
	buffer_store_dword v25, off, s[0:3], 0 offset:36
	buffer_store_dword v24, off, s[0:3], 0 offset:32
	;; [unrolled: 5-line block ×3, first 2 shown]
	s_cbranch_scc1 .LBB3_28
; %bb.4:
	v_cmp_eq_u32_e64 s[6:7], 0, v22
	s_and_saveexec_b64 s[8:9], s[6:7]
	s_cbranch_execz .LBB3_6
; %bb.5:
	v_mov_b32_e32 v2, 0
	ds_write_b32 v2, v2 offset:128
.LBB3_6:
	s_or_b64 exec, exec, s[8:9]
	v_mov_b32_e32 v2, 0
	v_lshl_add_u32 v24, v22, 4, v2
	s_waitcnt lgkmcnt(0)
	; wave barrier
	s_waitcnt lgkmcnt(0)
	buffer_load_dword v2, v24, s[0:3], 0 offen
	buffer_load_dword v3, v24, s[0:3], 0 offen offset:4
	buffer_load_dword v4, v24, s[0:3], 0 offen offset:8
	;; [unrolled: 1-line block ×3, first 2 shown]
	s_waitcnt vmcnt(2)
	v_cmp_eq_f64_e32 vcc, 0, v[2:3]
	s_waitcnt vmcnt(0)
	v_cmp_eq_f64_e64 s[8:9], 0, v[4:5]
	s_and_b64 s[8:9], vcc, s[8:9]
	s_and_saveexec_b64 s[12:13], s[8:9]
	s_cbranch_execz .LBB3_10
; %bb.7:
	v_mov_b32_e32 v2, 0
	ds_read_b32 v4, v2 offset:128
	v_add_u32_e32 v3, 1, v22
	s_waitcnt lgkmcnt(0)
	v_readfirstlane_b32 s8, v4
	s_cmp_eq_u32 s8, 0
	s_cselect_b64 s[16:17], -1, 0
	v_cmp_gt_i32_e32 vcc, s8, v3
	s_or_b64 s[16:17], s[16:17], vcc
	s_and_b64 exec, exec, s[16:17]
	s_cbranch_execz .LBB3_10
; %bb.8:
	s_mov_b64 s[16:17], 0
	v_mov_b32_e32 v4, s8
.LBB3_9:                                ; =>This Inner Loop Header: Depth=1
	ds_cmpst_rtn_b32 v4, v2, v4, v3 offset:128
	s_waitcnt lgkmcnt(0)
	v_cmp_ne_u32_e32 vcc, 0, v4
	v_cmp_le_i32_e64 s[8:9], v4, v3
	s_and_b64 s[8:9], vcc, s[8:9]
	s_and_b64 s[8:9], exec, s[8:9]
	s_or_b64 s[16:17], s[8:9], s[16:17]
	s_andn2_b64 exec, exec, s[16:17]
	s_cbranch_execnz .LBB3_9
.LBB3_10:
	s_or_b64 exec, exec, s[12:13]
	v_mov_b32_e32 v3, 0
	s_waitcnt lgkmcnt(0)
	; wave barrier
	ds_read_b32 v2, v3 offset:128
	s_and_saveexec_b64 s[8:9], s[6:7]
	s_cbranch_execz .LBB3_12
; %bb.11:
	s_lshl_b64 s[12:13], s[10:11], 2
	s_add_u32 s12, s14, s12
	s_addc_u32 s13, s15, s13
	s_waitcnt lgkmcnt(0)
	global_store_dword v3, v2, s[12:13]
.LBB3_12:
	s_or_b64 exec, exec, s[8:9]
	s_waitcnt lgkmcnt(0)
	v_cmp_ne_u32_e32 vcc, 0, v2
	s_mov_b64 s[8:9], 0
	s_cbranch_vccnz .LBB3_28
; %bb.13:
	buffer_load_dword v15, v24, s[0:3], 0 offen offset:4
	buffer_load_dword v14, v24, s[0:3], 0 offen
	buffer_load_dword v17, v24, s[0:3], 0 offen offset:12
	buffer_load_dword v16, v24, s[0:3], 0 offen offset:8
                                        ; implicit-def: $vgpr18_vgpr19
	s_waitcnt vmcnt(3)
	v_xor_b32_e32 v3, 0x80000000, v15
	s_waitcnt vmcnt(2)
	v_cmp_gt_f64_e32 vcc, 0, v[14:15]
	s_waitcnt vmcnt(1)
	v_xor_b32_e32 v4, 0x80000000, v17
	v_cndmask_b32_e32 v3, v15, v3, vcc
	s_waitcnt vmcnt(0)
	v_cmp_gt_f64_e32 vcc, 0, v[16:17]
	v_mov_b32_e32 v2, v14
	v_cndmask_b32_e32 v5, v17, v4, vcc
	v_mov_b32_e32 v4, v16
	v_cmp_ngt_f64_e32 vcc, v[2:3], v[4:5]
                                        ; implicit-def: $vgpr4_vgpr5
	s_and_saveexec_b64 s[8:9], vcc
	s_xor_b64 s[8:9], exec, s[8:9]
	s_cbranch_execz .LBB3_15
; %bb.14:
	v_div_scale_f64 v[2:3], s[12:13], v[16:17], v[16:17], v[14:15]
	v_rcp_f64_e32 v[4:5], v[2:3]
	v_div_scale_f64 v[18:19], vcc, v[14:15], v[16:17], v[14:15]
	v_fma_f64 v[26:27], -v[2:3], v[4:5], 1.0
	v_fmac_f64_e32 v[4:5], v[4:5], v[26:27]
	v_fma_f64 v[26:27], -v[2:3], v[4:5], 1.0
	v_fmac_f64_e32 v[4:5], v[4:5], v[26:27]
	v_mul_f64 v[26:27], v[18:19], v[4:5]
	v_fma_f64 v[2:3], -v[2:3], v[26:27], v[18:19]
	v_div_fmas_f64 v[2:3], v[2:3], v[4:5], v[26:27]
	v_div_fixup_f64 v[2:3], v[2:3], v[16:17], v[14:15]
	v_fmac_f64_e32 v[16:17], v[14:15], v[2:3]
	v_div_scale_f64 v[4:5], s[12:13], v[16:17], v[16:17], 1.0
	v_rcp_f64_e32 v[14:15], v[4:5]
	v_fma_f64 v[18:19], -v[4:5], v[14:15], 1.0
	v_fmac_f64_e32 v[14:15], v[14:15], v[18:19]
	v_fma_f64 v[18:19], -v[4:5], v[14:15], 1.0
	v_fmac_f64_e32 v[14:15], v[14:15], v[18:19]
	v_div_scale_f64 v[18:19], vcc, 1.0, v[16:17], 1.0
	v_mul_f64 v[26:27], v[18:19], v[14:15]
	v_fma_f64 v[4:5], -v[4:5], v[26:27], v[18:19]
	s_nop 1
	v_div_fmas_f64 v[4:5], v[4:5], v[14:15], v[26:27]
	v_div_fixup_f64 v[4:5], v[4:5], v[16:17], 1.0
	v_mul_f64 v[18:19], v[2:3], v[4:5]
	v_xor_b32_e32 v5, 0x80000000, v5
	v_xor_b32_e32 v3, 0x80000000, v19
	v_mov_b32_e32 v2, v18
                                        ; implicit-def: $vgpr14_vgpr15
                                        ; implicit-def: $vgpr16_vgpr17
.LBB3_15:
	s_andn2_saveexec_b64 s[8:9], s[8:9]
	s_cbranch_execz .LBB3_17
; %bb.16:
	v_div_scale_f64 v[2:3], s[12:13], v[14:15], v[14:15], v[16:17]
	v_rcp_f64_e32 v[4:5], v[2:3]
	v_div_scale_f64 v[18:19], vcc, v[16:17], v[14:15], v[16:17]
	v_fma_f64 v[26:27], -v[2:3], v[4:5], 1.0
	v_fmac_f64_e32 v[4:5], v[4:5], v[26:27]
	v_fma_f64 v[26:27], -v[2:3], v[4:5], 1.0
	v_fmac_f64_e32 v[4:5], v[4:5], v[26:27]
	v_mul_f64 v[26:27], v[18:19], v[4:5]
	v_fma_f64 v[2:3], -v[2:3], v[26:27], v[18:19]
	v_div_fmas_f64 v[2:3], v[2:3], v[4:5], v[26:27]
	v_div_fixup_f64 v[4:5], v[2:3], v[14:15], v[16:17]
	v_fmac_f64_e32 v[14:15], v[16:17], v[4:5]
	v_div_scale_f64 v[2:3], s[12:13], v[14:15], v[14:15], 1.0
	v_rcp_f64_e32 v[16:17], v[2:3]
	v_fma_f64 v[18:19], -v[2:3], v[16:17], 1.0
	v_fmac_f64_e32 v[16:17], v[16:17], v[18:19]
	v_fma_f64 v[18:19], -v[2:3], v[16:17], 1.0
	v_fmac_f64_e32 v[16:17], v[16:17], v[18:19]
	v_div_scale_f64 v[18:19], vcc, 1.0, v[14:15], 1.0
	v_mul_f64 v[26:27], v[18:19], v[16:17]
	v_fma_f64 v[2:3], -v[2:3], v[26:27], v[18:19]
	s_nop 1
	v_div_fmas_f64 v[2:3], v[2:3], v[16:17], v[26:27]
	v_div_fixup_f64 v[18:19], v[2:3], v[14:15], 1.0
	v_xor_b32_e32 v3, 0x80000000, v19
	v_mov_b32_e32 v2, v18
	v_mul_f64 v[4:5], v[4:5], -v[18:19]
.LBB3_17:
	s_or_b64 exec, exec, s[8:9]
	buffer_store_dword v19, v24, s[0:3], 0 offen offset:4
	buffer_store_dword v18, v24, s[0:3], 0 offen
	buffer_store_dword v5, v24, s[0:3], 0 offen offset:12
	buffer_store_dword v4, v24, s[0:3], 0 offen offset:8
	buffer_load_dword v19, v21, s[0:3], 0 offen offset:12
	s_nop 0
	buffer_load_dword v18, v21, s[0:3], 0 offen offset:8
	buffer_load_dword v17, v21, s[0:3], 0 offen offset:4
	buffer_load_dword v16, v21, s[0:3], 0 offen
	v_xor_b32_e32 v5, 0x80000000, v5
	v_add_u32_e32 v14, 64, v23
	ds_write_b128 v23, v[2:5]
	s_waitcnt vmcnt(0)
	ds_write_b128 v23, v[16:19] offset:64
	s_waitcnt lgkmcnt(0)
	; wave barrier
	s_waitcnt lgkmcnt(0)
	s_and_saveexec_b64 s[8:9], s[6:7]
	s_cbranch_execz .LBB3_19
; %bb.18:
	buffer_load_dword v26, v24, s[0:3], 0 offen offset:8
	buffer_load_dword v27, v24, s[0:3], 0 offen offset:12
	buffer_load_dword v28, v24, s[0:3], 0 offen
	buffer_load_dword v29, v24, s[0:3], 0 offen offset:4
	ds_read_b128 v[2:5], v14
	v_mov_b32_e32 v15, 0
	ds_read_b128 v[16:19], v15 offset:16
	s_waitcnt vmcnt(2) lgkmcnt(1)
	v_mul_f64 v[30:31], v[4:5], v[26:27]
	v_mul_f64 v[26:27], v[2:3], v[26:27]
	s_waitcnt vmcnt(0)
	v_fmac_f64_e32 v[26:27], v[4:5], v[28:29]
	v_fma_f64 v[2:3], v[2:3], v[28:29], -v[30:31]
	v_add_f64 v[4:5], v[26:27], 0
	v_add_f64 v[2:3], v[2:3], 0
	s_waitcnt lgkmcnt(0)
	v_mul_f64 v[26:27], v[4:5], v[18:19]
	v_mul_f64 v[18:19], v[2:3], v[18:19]
	v_fma_f64 v[2:3], v[2:3], v[16:17], -v[26:27]
	v_fmac_f64_e32 v[18:19], v[4:5], v[16:17]
	buffer_store_dword v2, off, s[0:3], 0 offset:16
	buffer_store_dword v3, off, s[0:3], 0 offset:20
	;; [unrolled: 1-line block ×4, first 2 shown]
.LBB3_19:
	s_or_b64 exec, exec, s[8:9]
	s_waitcnt lgkmcnt(0)
	; wave barrier
	buffer_load_dword v2, v20, s[0:3], 0 offen
	buffer_load_dword v3, v20, s[0:3], 0 offen offset:4
	buffer_load_dword v4, v20, s[0:3], 0 offen offset:8
	;; [unrolled: 1-line block ×3, first 2 shown]
	v_cmp_gt_u32_e32 vcc, 2, v22
	s_waitcnt vmcnt(0)
	ds_write_b128 v14, v[2:5]
	s_waitcnt lgkmcnt(0)
	; wave barrier
	s_waitcnt lgkmcnt(0)
	s_and_saveexec_b64 s[8:9], vcc
	s_cbranch_execz .LBB3_23
; %bb.20:
	buffer_load_dword v16, v24, s[0:3], 0 offen offset:8
	buffer_load_dword v17, v24, s[0:3], 0 offen offset:12
	buffer_load_dword v18, v24, s[0:3], 0 offen
	buffer_load_dword v19, v24, s[0:3], 0 offen offset:4
	ds_read_b128 v[2:5], v14
	s_waitcnt vmcnt(2) lgkmcnt(0)
	v_mul_f64 v[24:25], v[4:5], v[16:17]
	v_mul_f64 v[16:17], v[2:3], v[16:17]
	s_waitcnt vmcnt(0)
	v_fma_f64 v[2:3], v[2:3], v[18:19], -v[24:25]
	v_fmac_f64_e32 v[16:17], v[4:5], v[18:19]
	v_add_f64 v[4:5], v[2:3], 0
	v_add_f64 v[2:3], v[16:17], 0
	s_and_saveexec_b64 s[12:13], s[6:7]
	s_cbranch_execz .LBB3_22
; %bb.21:
	buffer_load_dword v24, off, s[0:3], 0 offset:24
	buffer_load_dword v25, off, s[0:3], 0 offset:28
	;; [unrolled: 1-line block ×4, first 2 shown]
	v_mov_b32_e32 v15, 0
	ds_read_b128 v[16:19], v15 offset:80
	s_waitcnt vmcnt(2) lgkmcnt(0)
	v_mul_f64 v[28:29], v[16:17], v[24:25]
	v_mul_f64 v[24:25], v[18:19], v[24:25]
	s_waitcnt vmcnt(0)
	v_fmac_f64_e32 v[28:29], v[18:19], v[26:27]
	v_fma_f64 v[16:17], v[16:17], v[26:27], -v[24:25]
	v_add_f64 v[2:3], v[2:3], v[28:29]
	v_add_f64 v[4:5], v[4:5], v[16:17]
.LBB3_22:
	s_or_b64 exec, exec, s[12:13]
	v_mov_b32_e32 v15, 0
	ds_read_b128 v[16:19], v15 offset:32
	s_waitcnt lgkmcnt(0)
	v_mul_f64 v[24:25], v[2:3], v[18:19]
	v_mul_f64 v[18:19], v[4:5], v[18:19]
	v_fma_f64 v[4:5], v[4:5], v[16:17], -v[24:25]
	v_fmac_f64_e32 v[18:19], v[2:3], v[16:17]
	buffer_store_dword v5, off, s[0:3], 0 offset:36
	buffer_store_dword v4, off, s[0:3], 0 offset:32
	;; [unrolled: 1-line block ×4, first 2 shown]
.LBB3_23:
	s_or_b64 exec, exec, s[8:9]
	s_waitcnt lgkmcnt(0)
	; wave barrier
	buffer_load_dword v2, v1, s[0:3], 0 offen
	buffer_load_dword v3, v1, s[0:3], 0 offen offset:4
	buffer_load_dword v4, v1, s[0:3], 0 offen offset:8
	;; [unrolled: 1-line block ×3, first 2 shown]
	v_cmp_ne_u32_e32 vcc, 3, v22
	s_waitcnt vmcnt(0)
	ds_write_b128 v14, v[2:5]
	s_waitcnt lgkmcnt(0)
	; wave barrier
	s_waitcnt lgkmcnt(0)
	s_and_saveexec_b64 s[6:7], vcc
	s_cbranch_execz .LBB3_27
; %bb.24:
	v_pk_mov_b32 v[2:3], 0, 0
	v_add_u32_e32 v15, -1, v22
	v_add_u32_e32 v16, 0, v23
	s_mov_b64 s[8:9], 0
	v_pk_mov_b32 v[4:5], v[2:3], v[2:3] op_sel:[0,1]
.LBB3_25:                               ; =>This Inner Loop Header: Depth=1
	buffer_load_dword v18, v16, s[0:3], 0 offen offset:8
	buffer_load_dword v19, v16, s[0:3], 0 offen offset:12
	buffer_load_dword v28, v16, s[0:3], 0 offen
	buffer_load_dword v29, v16, s[0:3], 0 offen offset:4
	ds_read_b128 v[24:27], v14
	v_add_u32_e32 v15, 1, v15
	v_cmp_lt_u32_e32 vcc, 1, v15
	v_add_u32_e32 v14, 16, v14
	v_add_u32_e32 v16, 16, v16
	s_or_b64 s[8:9], vcc, s[8:9]
	s_waitcnt vmcnt(2) lgkmcnt(0)
	v_mul_f64 v[30:31], v[26:27], v[18:19]
	v_mul_f64 v[18:19], v[24:25], v[18:19]
	s_waitcnt vmcnt(0)
	v_fma_f64 v[24:25], v[24:25], v[28:29], -v[30:31]
	v_fmac_f64_e32 v[18:19], v[26:27], v[28:29]
	v_add_f64 v[4:5], v[4:5], v[24:25]
	v_add_f64 v[2:3], v[2:3], v[18:19]
	s_andn2_b64 exec, exec, s[8:9]
	s_cbranch_execnz .LBB3_25
; %bb.26:
	s_or_b64 exec, exec, s[8:9]
	v_mov_b32_e32 v14, 0
	ds_read_b128 v[14:17], v14 offset:48
	s_waitcnt lgkmcnt(0)
	v_mul_f64 v[18:19], v[2:3], v[16:17]
	v_mul_f64 v[16:17], v[4:5], v[16:17]
	v_fma_f64 v[4:5], v[4:5], v[14:15], -v[18:19]
	v_fmac_f64_e32 v[16:17], v[2:3], v[14:15]
	buffer_store_dword v5, off, s[0:3], 0 offset:52
	buffer_store_dword v4, off, s[0:3], 0 offset:48
	buffer_store_dword v17, off, s[0:3], 0 offset:60
	buffer_store_dword v16, off, s[0:3], 0 offset:56
.LBB3_27:
	s_or_b64 exec, exec, s[6:7]
	s_mov_b64 s[8:9], -1
	s_waitcnt lgkmcnt(0)
	; wave barrier
.LBB3_28:
	s_and_b64 vcc, exec, s[8:9]
	s_cbranch_vccz .LBB3_30
; %bb.29:
	s_lshl_b64 s[6:7], s[10:11], 2
	s_add_u32 s6, s14, s6
	s_addc_u32 s7, s15, s7
	v_mov_b32_e32 v2, 0
	global_load_dword v2, v2, s[6:7]
	s_waitcnt vmcnt(0)
	v_cmp_ne_u32_e32 vcc, 0, v2
	s_cbranch_vccz .LBB3_31
.LBB3_30:
	s_endpgm
.LBB3_31:
	v_lshl_add_u32 v2, v22, 4, 64
	v_cmp_eq_u32_e32 vcc, 3, v22
	s_and_saveexec_b64 s[6:7], vcc
	s_cbranch_execz .LBB3_33
; %bb.32:
	buffer_load_dword v14, v20, s[0:3], 0 offen
	buffer_load_dword v15, v20, s[0:3], 0 offen offset:4
	buffer_load_dword v16, v20, s[0:3], 0 offen offset:8
	;; [unrolled: 1-line block ×3, first 2 shown]
	v_mov_b32_e32 v3, 0
	buffer_store_dword v3, off, s[0:3], 0 offset:32
	buffer_store_dword v3, off, s[0:3], 0 offset:36
	;; [unrolled: 1-line block ×4, first 2 shown]
	s_waitcnt vmcnt(4)
	ds_write_b128 v2, v[14:17]
.LBB3_33:
	s_or_b64 exec, exec, s[6:7]
	s_waitcnt lgkmcnt(0)
	; wave barrier
	s_waitcnt lgkmcnt(0)
	buffer_load_dword v4, off, s[0:3], 0 offset:56
	buffer_load_dword v5, off, s[0:3], 0 offset:60
	;; [unrolled: 1-line block ×8, first 2 shown]
	v_mov_b32_e32 v3, 0
	ds_read_b128 v[14:17], v3 offset:112
	v_cmp_lt_u32_e32 vcc, 1, v22
	s_waitcnt vmcnt(6) lgkmcnt(0)
	v_mul_f64 v[28:29], v[14:15], v[4:5]
	v_mul_f64 v[4:5], v[16:17], v[4:5]
	s_waitcnt vmcnt(4)
	v_fma_f64 v[4:5], v[14:15], v[18:19], -v[4:5]
	v_fmac_f64_e32 v[28:29], v[16:17], v[18:19]
	v_add_f64 v[4:5], v[4:5], 0
	v_add_f64 v[14:15], v[28:29], 0
	s_waitcnt vmcnt(2)
	v_add_f64 v[4:5], v[24:25], -v[4:5]
	s_waitcnt vmcnt(0)
	v_add_f64 v[14:15], v[26:27], -v[14:15]
	buffer_store_dword v4, off, s[0:3], 0 offset:32
	buffer_store_dword v5, off, s[0:3], 0 offset:36
	buffer_store_dword v14, off, s[0:3], 0 offset:40
	buffer_store_dword v15, off, s[0:3], 0 offset:44
	s_and_saveexec_b64 s[6:7], vcc
	s_cbranch_execz .LBB3_35
; %bb.34:
	buffer_load_dword v14, v21, s[0:3], 0 offen
	buffer_load_dword v15, v21, s[0:3], 0 offen offset:4
	buffer_load_dword v16, v21, s[0:3], 0 offen offset:8
	;; [unrolled: 1-line block ×3, first 2 shown]
	s_nop 0
	buffer_store_dword v3, off, s[0:3], 0 offset:16
	buffer_store_dword v3, off, s[0:3], 0 offset:20
	;; [unrolled: 1-line block ×4, first 2 shown]
	s_waitcnt vmcnt(4)
	ds_write_b128 v2, v[14:17]
.LBB3_35:
	s_or_b64 exec, exec, s[6:7]
	s_waitcnt lgkmcnt(0)
	; wave barrier
	s_waitcnt lgkmcnt(0)
	buffer_load_dword v4, off, s[0:3], 0 offset:40
	buffer_load_dword v5, off, s[0:3], 0 offset:44
	;; [unrolled: 1-line block ×12, first 2 shown]
	ds_read_b128 v[14:17], v3 offset:96
	ds_read_b128 v[24:27], v3 offset:112
	v_cmp_ne_u32_e32 vcc, 0, v22
	s_waitcnt vmcnt(10) lgkmcnt(1)
	v_mul_f64 v[36:37], v[14:15], v[4:5]
	v_mul_f64 v[4:5], v[16:17], v[4:5]
	s_waitcnt vmcnt(8) lgkmcnt(0)
	v_mul_f64 v[38:39], v[24:25], v[18:19]
	v_mul_f64 v[18:19], v[26:27], v[18:19]
	s_waitcnt vmcnt(6)
	v_fma_f64 v[4:5], v[14:15], v[28:29], -v[4:5]
	v_fmac_f64_e32 v[36:37], v[16:17], v[28:29]
	s_waitcnt vmcnt(4)
	v_fma_f64 v[14:15], v[24:25], v[30:31], -v[18:19]
	v_add_f64 v[4:5], v[4:5], 0
	v_fmac_f64_e32 v[38:39], v[26:27], v[30:31]
	v_add_f64 v[16:17], v[36:37], 0
	v_add_f64 v[4:5], v[4:5], v[14:15]
	;; [unrolled: 1-line block ×3, first 2 shown]
	s_waitcnt vmcnt(2)
	v_add_f64 v[4:5], v[32:33], -v[4:5]
	s_waitcnt vmcnt(0)
	v_add_f64 v[14:15], v[34:35], -v[16:17]
	buffer_store_dword v4, off, s[0:3], 0 offset:16
	buffer_store_dword v5, off, s[0:3], 0 offset:20
	;; [unrolled: 1-line block ×4, first 2 shown]
	s_and_saveexec_b64 s[6:7], vcc
	s_cbranch_execz .LBB3_37
; %bb.36:
	buffer_load_dword v14, off, s[0:3], 0
	buffer_load_dword v15, off, s[0:3], 0 offset:4
	buffer_load_dword v16, off, s[0:3], 0 offset:8
	;; [unrolled: 1-line block ×3, first 2 shown]
	v_mov_b32_e32 v3, 0
	buffer_store_dword v3, off, s[0:3], 0
	buffer_store_dword v3, off, s[0:3], 0 offset:4
	buffer_store_dword v3, off, s[0:3], 0 offset:8
	;; [unrolled: 1-line block ×3, first 2 shown]
	s_waitcnt vmcnt(4)
	ds_write_b128 v2, v[14:17]
.LBB3_37:
	s_or_b64 exec, exec, s[6:7]
	s_waitcnt lgkmcnt(0)
	; wave barrier
	s_waitcnt lgkmcnt(0)
	buffer_load_dword v18, off, s[0:3], 0 offset:24
	buffer_load_dword v19, off, s[0:3], 0 offset:28
	;; [unrolled: 1-line block ×12, first 2 shown]
	buffer_load_dword v38, off, s[0:3], 0
	buffer_load_dword v39, off, s[0:3], 0 offset:4
	buffer_load_dword v40, off, s[0:3], 0 offset:8
	;; [unrolled: 1-line block ×3, first 2 shown]
	v_mov_b32_e32 v23, 0
	ds_read_b128 v[2:5], v23 offset:80
	ds_read_b128 v[14:17], v23 offset:96
	;; [unrolled: 1-line block ×3, first 2 shown]
	s_and_b64 vcc, exec, s[26:27]
	s_waitcnt vmcnt(14) lgkmcnt(2)
	v_mul_f64 v[42:43], v[2:3], v[18:19]
	v_mul_f64 v[18:19], v[4:5], v[18:19]
	s_waitcnt vmcnt(12) lgkmcnt(1)
	v_mul_f64 v[44:45], v[14:15], v[28:29]
	v_mul_f64 v[28:29], v[16:17], v[28:29]
	;; [unrolled: 3-line block ×3, first 2 shown]
	s_waitcnt vmcnt(8)
	v_fma_f64 v[2:3], v[2:3], v[32:33], -v[18:19]
	v_fmac_f64_e32 v[42:43], v[4:5], v[32:33]
	s_waitcnt vmcnt(6)
	v_fma_f64 v[4:5], v[14:15], v[34:35], -v[28:29]
	v_add_f64 v[2:3], v[2:3], 0
	v_fmac_f64_e32 v[44:45], v[16:17], v[34:35]
	s_waitcnt vmcnt(4)
	v_fma_f64 v[14:15], v[24:25], v[36:37], -v[30:31]
	v_add_f64 v[16:17], v[42:43], 0
	v_add_f64 v[2:3], v[2:3], v[4:5]
	v_fmac_f64_e32 v[46:47], v[26:27], v[36:37]
	v_add_f64 v[16:17], v[16:17], v[44:45]
	v_add_f64 v[2:3], v[2:3], v[14:15]
	;; [unrolled: 1-line block ×3, first 2 shown]
	s_waitcnt vmcnt(2)
	v_add_f64 v[2:3], v[38:39], -v[2:3]
	s_waitcnt vmcnt(0)
	v_add_f64 v[4:5], v[40:41], -v[4:5]
	buffer_store_dword v2, off, s[0:3], 0
	buffer_store_dword v3, off, s[0:3], 0 offset:4
	buffer_store_dword v4, off, s[0:3], 0 offset:8
	;; [unrolled: 1-line block ×3, first 2 shown]
	s_cbranch_vccz .LBB3_45
; %bb.38:
	v_pk_mov_b32 v[2:3], s[24:25], s[24:25] op_sel:[0,1]
	flat_load_dword v2, v[2:3] offset:8
	s_load_dwordx2 s[4:5], s[4:5], 0x4
	v_bfe_u32 v4, v0, 10, 10
	v_bfe_u32 v0, v0, 20, 10
	s_waitcnt lgkmcnt(0)
	s_lshr_b32 s4, s4, 16
	s_mul_i32 s4, s4, s5
	v_mul_u32_u24_e32 v3, s4, v22
	v_mul_u32_u24_e32 v4, s5, v4
	v_add3_u32 v0, v3, v4, v0
	v_mov_b32_e32 v3, 0x88
	v_lshl_add_u32 v0, v0, 4, v3
	s_waitcnt vmcnt(0)
	v_add_u32_e32 v2, -1, v2
	v_cmp_ne_u32_e32 vcc, 2, v2
	s_and_saveexec_b64 s[4:5], vcc
	s_cbranch_execz .LBB3_40
; %bb.39:
	v_mov_b32_e32 v3, 0
	v_lshl_add_u32 v14, v2, 4, v3
	buffer_load_dword v2, v20, s[0:3], 0 offen
	buffer_load_dword v3, v20, s[0:3], 0 offen offset:4
	buffer_load_dword v4, v20, s[0:3], 0 offen offset:8
	;; [unrolled: 1-line block ×3, first 2 shown]
	buffer_load_dword v15, v14, s[0:3], 0 offen
	buffer_load_dword v16, v14, s[0:3], 0 offen offset:4
	buffer_load_dword v17, v14, s[0:3], 0 offen offset:8
	;; [unrolled: 1-line block ×3, first 2 shown]
	s_waitcnt vmcnt(4)
	ds_write2_b64 v0, v[2:3], v[4:5] offset1:1
	s_waitcnt vmcnt(3)
	buffer_store_dword v15, v20, s[0:3], 0 offen
	s_waitcnt vmcnt(3)
	buffer_store_dword v16, v20, s[0:3], 0 offen offset:4
	s_waitcnt vmcnt(3)
	buffer_store_dword v17, v20, s[0:3], 0 offen offset:8
	;; [unrolled: 2-line block ×3, first 2 shown]
	buffer_store_dword v5, v14, s[0:3], 0 offen offset:12
	buffer_store_dword v4, v14, s[0:3], 0 offen offset:8
	;; [unrolled: 1-line block ×3, first 2 shown]
	buffer_store_dword v2, v14, s[0:3], 0 offen
.LBB3_40:
	s_or_b64 exec, exec, s[4:5]
	v_pk_mov_b32 v[2:3], s[24:25], s[24:25] op_sel:[0,1]
	flat_load_dword v2, v[2:3] offset:4
	s_waitcnt vmcnt(0) lgkmcnt(0)
	v_add_u32_e32 v2, -1, v2
	v_cmp_ne_u32_e32 vcc, 1, v2
	s_and_saveexec_b64 s[4:5], vcc
	s_cbranch_execz .LBB3_42
; %bb.41:
	v_mov_b32_e32 v3, 0
	v_lshl_add_u32 v14, v2, 4, v3
	buffer_load_dword v2, v21, s[0:3], 0 offen
	buffer_load_dword v3, v21, s[0:3], 0 offen offset:4
	buffer_load_dword v4, v21, s[0:3], 0 offen offset:8
	;; [unrolled: 1-line block ×3, first 2 shown]
	buffer_load_dword v15, v14, s[0:3], 0 offen
	buffer_load_dword v16, v14, s[0:3], 0 offen offset:4
	buffer_load_dword v17, v14, s[0:3], 0 offen offset:8
	buffer_load_dword v18, v14, s[0:3], 0 offen offset:12
	s_waitcnt vmcnt(4)
	ds_write2_b64 v0, v[2:3], v[4:5] offset1:1
	s_waitcnt vmcnt(3)
	buffer_store_dword v15, v21, s[0:3], 0 offen
	s_waitcnt vmcnt(3)
	buffer_store_dword v16, v21, s[0:3], 0 offen offset:4
	s_waitcnt vmcnt(3)
	buffer_store_dword v17, v21, s[0:3], 0 offen offset:8
	;; [unrolled: 2-line block ×3, first 2 shown]
	buffer_store_dword v5, v14, s[0:3], 0 offen offset:12
	buffer_store_dword v4, v14, s[0:3], 0 offen offset:8
	;; [unrolled: 1-line block ×3, first 2 shown]
	buffer_store_dword v2, v14, s[0:3], 0 offen
.LBB3_42:
	s_or_b64 exec, exec, s[4:5]
	v_pk_mov_b32 v[2:3], s[24:25], s[24:25] op_sel:[0,1]
	flat_load_dword v2, v[2:3]
	s_waitcnt vmcnt(0) lgkmcnt(0)
	v_add_u32_e32 v2, -1, v2
	v_cmp_ne_u32_e32 vcc, 0, v2
	s_and_saveexec_b64 s[4:5], vcc
	s_cbranch_execz .LBB3_44
; %bb.43:
	v_mov_b32_e32 v3, 0
	v_lshl_add_u32 v14, v2, 4, v3
	buffer_load_dword v2, off, s[0:3], 0
	buffer_load_dword v3, off, s[0:3], 0 offset:4
	buffer_load_dword v4, off, s[0:3], 0 offset:8
	;; [unrolled: 1-line block ×3, first 2 shown]
	buffer_load_dword v15, v14, s[0:3], 0 offen
	buffer_load_dword v16, v14, s[0:3], 0 offen offset:4
	buffer_load_dword v17, v14, s[0:3], 0 offen offset:8
	;; [unrolled: 1-line block ×3, first 2 shown]
	s_waitcnt vmcnt(4)
	ds_write2_b64 v0, v[2:3], v[4:5] offset1:1
	s_waitcnt vmcnt(3)
	buffer_store_dword v15, off, s[0:3], 0
	s_waitcnt vmcnt(3)
	buffer_store_dword v16, off, s[0:3], 0 offset:4
	s_waitcnt vmcnt(3)
	buffer_store_dword v17, off, s[0:3], 0 offset:8
	;; [unrolled: 2-line block ×3, first 2 shown]
	buffer_store_dword v5, v14, s[0:3], 0 offen offset:12
	buffer_store_dword v4, v14, s[0:3], 0 offen offset:8
	;; [unrolled: 1-line block ×3, first 2 shown]
	buffer_store_dword v2, v14, s[0:3], 0 offen
.LBB3_44:
	s_or_b64 exec, exec, s[4:5]
.LBB3_45:
	buffer_load_dword v3, v21, s[0:3], 0 offen offset:4
	buffer_load_dword v4, v21, s[0:3], 0 offen offset:8
	;; [unrolled: 1-line block ×3, first 2 shown]
	buffer_load_dword v14, v20, s[0:3], 0 offen
	buffer_load_dword v15, v20, s[0:3], 0 offen offset:4
	buffer_load_dword v16, v20, s[0:3], 0 offen offset:8
	buffer_load_dword v2, v21, s[0:3], 0 offen
	buffer_load_dword v17, v20, s[0:3], 0 offen offset:12
                                        ; kill: killed $vgpr21
                                        ; kill: killed $vgpr20
	buffer_load_dword v18, off, s[0:3], 0
	buffer_load_dword v19, off, s[0:3], 0 offset:4
	s_nop 0
	buffer_load_dword v20, off, s[0:3], 0 offset:8
	buffer_load_dword v21, off, s[0:3], 0 offset:12
	buffer_load_dword v22, v1, s[0:3], 0 offen
	buffer_load_dword v23, v1, s[0:3], 0 offen offset:4
	buffer_load_dword v24, v1, s[0:3], 0 offen offset:8
	;; [unrolled: 1-line block ×3, first 2 shown]
	s_waitcnt vmcnt(4)
	global_store_dwordx4 v[6:7], v[18:21], off
	global_store_dwordx4 v[8:9], v[2:5], off
	;; [unrolled: 1-line block ×3, first 2 shown]
	s_waitcnt vmcnt(3)
	global_store_dwordx4 v[12:13], v[22:25], off
	s_endpgm
	.section	.rodata,"a",@progbits
	.p2align	6, 0x0
	.amdhsa_kernel _ZN9rocsolver6v33100L18getri_kernel_smallILi4E19rocblas_complex_numIdEPS3_EEvT1_iilPiilS6_bb
		.amdhsa_group_segment_fixed_size 1160
		.amdhsa_private_segment_fixed_size 80
		.amdhsa_kernarg_size 60
		.amdhsa_user_sgpr_count 10
		.amdhsa_user_sgpr_private_segment_buffer 1
		.amdhsa_user_sgpr_dispatch_ptr 1
		.amdhsa_user_sgpr_queue_ptr 0
		.amdhsa_user_sgpr_kernarg_segment_ptr 1
		.amdhsa_user_sgpr_dispatch_id 0
		.amdhsa_user_sgpr_flat_scratch_init 1
		.amdhsa_user_sgpr_kernarg_preload_length 0
		.amdhsa_user_sgpr_kernarg_preload_offset 0
		.amdhsa_user_sgpr_private_segment_size 0
		.amdhsa_uses_dynamic_stack 0
		.amdhsa_system_sgpr_private_segment_wavefront_offset 1
		.amdhsa_system_sgpr_workgroup_id_x 1
		.amdhsa_system_sgpr_workgroup_id_y 0
		.amdhsa_system_sgpr_workgroup_id_z 0
		.amdhsa_system_sgpr_workgroup_info 0
		.amdhsa_system_vgpr_workitem_id 2
		.amdhsa_next_free_vgpr 48
		.amdhsa_next_free_sgpr 28
		.amdhsa_accum_offset 48
		.amdhsa_reserve_vcc 1
		.amdhsa_reserve_flat_scratch 1
		.amdhsa_float_round_mode_32 0
		.amdhsa_float_round_mode_16_64 0
		.amdhsa_float_denorm_mode_32 3
		.amdhsa_float_denorm_mode_16_64 3
		.amdhsa_dx10_clamp 1
		.amdhsa_ieee_mode 1
		.amdhsa_fp16_overflow 0
		.amdhsa_tg_split 0
		.amdhsa_exception_fp_ieee_invalid_op 0
		.amdhsa_exception_fp_denorm_src 0
		.amdhsa_exception_fp_ieee_div_zero 0
		.amdhsa_exception_fp_ieee_overflow 0
		.amdhsa_exception_fp_ieee_underflow 0
		.amdhsa_exception_fp_ieee_inexact 0
		.amdhsa_exception_int_div_zero 0
	.end_amdhsa_kernel
	.section	.text._ZN9rocsolver6v33100L18getri_kernel_smallILi4E19rocblas_complex_numIdEPS3_EEvT1_iilPiilS6_bb,"axG",@progbits,_ZN9rocsolver6v33100L18getri_kernel_smallILi4E19rocblas_complex_numIdEPS3_EEvT1_iilPiilS6_bb,comdat
.Lfunc_end3:
	.size	_ZN9rocsolver6v33100L18getri_kernel_smallILi4E19rocblas_complex_numIdEPS3_EEvT1_iilPiilS6_bb, .Lfunc_end3-_ZN9rocsolver6v33100L18getri_kernel_smallILi4E19rocblas_complex_numIdEPS3_EEvT1_iilPiilS6_bb
                                        ; -- End function
	.section	.AMDGPU.csdata,"",@progbits
; Kernel info:
; codeLenInByte = 4308
; NumSgprs: 34
; NumVgprs: 48
; NumAgprs: 0
; TotalNumVgprs: 48
; ScratchSize: 80
; MemoryBound: 0
; FloatMode: 240
; IeeeMode: 1
; LDSByteSize: 1160 bytes/workgroup (compile time only)
; SGPRBlocks: 4
; VGPRBlocks: 5
; NumSGPRsForWavesPerEU: 34
; NumVGPRsForWavesPerEU: 48
; AccumOffset: 48
; Occupancy: 8
; WaveLimiterHint : 0
; COMPUTE_PGM_RSRC2:SCRATCH_EN: 1
; COMPUTE_PGM_RSRC2:USER_SGPR: 10
; COMPUTE_PGM_RSRC2:TRAP_HANDLER: 0
; COMPUTE_PGM_RSRC2:TGID_X_EN: 1
; COMPUTE_PGM_RSRC2:TGID_Y_EN: 0
; COMPUTE_PGM_RSRC2:TGID_Z_EN: 0
; COMPUTE_PGM_RSRC2:TIDIG_COMP_CNT: 2
; COMPUTE_PGM_RSRC3_GFX90A:ACCUM_OFFSET: 11
; COMPUTE_PGM_RSRC3_GFX90A:TG_SPLIT: 0
	.section	.text._ZN9rocsolver6v33100L18getri_kernel_smallILi5E19rocblas_complex_numIdEPS3_EEvT1_iilPiilS6_bb,"axG",@progbits,_ZN9rocsolver6v33100L18getri_kernel_smallILi5E19rocblas_complex_numIdEPS3_EEvT1_iilPiilS6_bb,comdat
	.globl	_ZN9rocsolver6v33100L18getri_kernel_smallILi5E19rocblas_complex_numIdEPS3_EEvT1_iilPiilS6_bb ; -- Begin function _ZN9rocsolver6v33100L18getri_kernel_smallILi5E19rocblas_complex_numIdEPS3_EEvT1_iilPiilS6_bb
	.p2align	8
	.type	_ZN9rocsolver6v33100L18getri_kernel_smallILi5E19rocblas_complex_numIdEPS3_EEvT1_iilPiilS6_bb,@function
_ZN9rocsolver6v33100L18getri_kernel_smallILi5E19rocblas_complex_numIdEPS3_EEvT1_iilPiilS6_bb: ; @_ZN9rocsolver6v33100L18getri_kernel_smallILi5E19rocblas_complex_numIdEPS3_EEvT1_iilPiilS6_bb
; %bb.0:
	s_add_u32 flat_scratch_lo, s8, s11
	s_addc_u32 flat_scratch_hi, s9, 0
	s_add_u32 s0, s0, s11
	v_and_b32_e32 v25, 0x3ff, v0
	s_addc_u32 s1, s1, 0
	v_cmp_gt_u32_e32 vcc, 5, v25
	s_and_saveexec_b64 s[8:9], vcc
	s_cbranch_execz .LBB4_34
; %bb.1:
	s_load_dword s8, s[6:7], 0x38
	s_load_dwordx4 s[20:23], s[6:7], 0x10
	s_load_dwordx4 s[12:15], s[6:7], 0x28
                                        ; implicit-def: $sgpr24_sgpr25
	s_waitcnt lgkmcnt(0)
	s_bitcmp1_b32 s8, 8
	s_cselect_b64 s[26:27], -1, 0
	s_ashr_i32 s11, s10, 31
	s_bfe_u32 s9, s8, 0x10008
	s_cmp_eq_u32 s9, 0
	s_cbranch_scc1 .LBB4_3
; %bb.2:
	s_load_dword s16, s[6:7], 0x20
	s_mul_i32 s9, s10, s13
	s_mul_hi_u32 s13, s10, s12
	s_mul_i32 s18, s11, s12
	s_add_i32 s9, s13, s9
	s_add_i32 s13, s9, s18
	s_mul_i32 s12, s10, s12
	s_waitcnt lgkmcnt(0)
	s_ashr_i32 s17, s16, 31
	s_lshl_b64 s[12:13], s[12:13], 2
	s_add_u32 s9, s22, s12
	s_addc_u32 s18, s23, s13
	s_lshl_b64 s[12:13], s[16:17], 2
	s_add_u32 s24, s9, s12
	s_addc_u32 s25, s18, s13
.LBB4_3:
	s_load_dwordx4 s[16:19], s[6:7], 0x0
	s_mul_i32 s6, s10, s21
	s_mul_hi_u32 s7, s10, s20
	s_add_i32 s9, s7, s6
	s_mul_i32 s12, s11, s20
	s_add_i32 s13, s9, s12
	s_mul_i32 s12, s10, s20
	s_waitcnt lgkmcnt(0)
	s_ashr_i32 s7, s18, 31
	s_lshl_b64 s[12:13], s[12:13], 4
	s_mov_b32 s6, s18
	s_add_u32 s9, s16, s12
	s_addc_u32 s12, s17, s13
	s_lshl_b64 s[6:7], s[6:7], 4
	s_add_u32 s6, s9, s6
	s_addc_u32 s7, s12, s7
	v_lshlrev_b32_e32 v26, 4, v25
	v_mov_b32_e32 v1, s7
	v_add_co_u32_e32 v6, vcc, s6, v26
	s_ashr_i32 s13, s19, 31
	s_mov_b32 s12, s19
	s_add_i32 s9, s19, s19
	v_addc_co_u32_e32 v7, vcc, 0, v1, vcc
	s_lshl_b64 s[12:13], s[12:13], 4
	v_add_u32_e32 v12, s9, v25
	v_mov_b32_e32 v1, s13
	v_add_co_u32_e32 v8, vcc, s12, v6
	v_ashrrev_i32_e32 v13, 31, v12
	v_addc_co_u32_e32 v9, vcc, v7, v1, vcc
	v_lshlrev_b64 v[10:11], 4, v[12:13]
	v_mov_b32_e32 v1, s7
	v_add_co_u32_e32 v10, vcc, s6, v10
	global_load_dwordx4 v[2:5], v26, s[6:7]
	v_addc_co_u32_e32 v11, vcc, v1, v11, vcc
	global_load_dwordx4 v[16:19], v[8:9], off
	global_load_dwordx4 v[28:31], v[10:11], off
	v_add_u32_e32 v14, s19, v12
	v_ashrrev_i32_e32 v15, 31, v14
	v_lshlrev_b64 v[12:13], 4, v[14:15]
	v_add_co_u32_e32 v12, vcc, s6, v12
	v_addc_co_u32_e32 v13, vcc, v1, v13, vcc
	v_add_u32_e32 v14, s19, v14
	global_load_dwordx4 v[32:35], v[12:13], off
	v_ashrrev_i32_e32 v15, 31, v14
	v_lshlrev_b64 v[14:15], 4, v[14:15]
	v_add_co_u32_e32 v14, vcc, s6, v14
	v_addc_co_u32_e32 v15, vcc, v1, v15, vcc
	global_load_dwordx4 v[36:39], v[14:15], off
	v_mov_b32_e32 v1, 0
	v_add_u32_e32 v23, 16, v1
	v_add_u32_e32 v22, 32, v1
	;; [unrolled: 1-line block ×4, first 2 shown]
	s_bitcmp0_b32 s8, 0
	s_mov_b64 s[8:9], -1
	s_waitcnt vmcnt(4)
	buffer_store_dword v5, off, s[0:3], 0 offset:12
	buffer_store_dword v4, off, s[0:3], 0 offset:8
	;; [unrolled: 1-line block ×3, first 2 shown]
	buffer_store_dword v2, off, s[0:3], 0
	s_waitcnt vmcnt(7)
	buffer_store_dword v19, off, s[0:3], 0 offset:28
	buffer_store_dword v18, off, s[0:3], 0 offset:24
	buffer_store_dword v17, off, s[0:3], 0 offset:20
	buffer_store_dword v16, off, s[0:3], 0 offset:16
	s_waitcnt vmcnt(10)
	buffer_store_dword v31, off, s[0:3], 0 offset:44
	buffer_store_dword v30, off, s[0:3], 0 offset:40
	buffer_store_dword v29, off, s[0:3], 0 offset:36
	buffer_store_dword v28, off, s[0:3], 0 offset:32
	;; [unrolled: 5-line block ×4, first 2 shown]
	s_cbranch_scc1 .LBB4_32
; %bb.4:
	v_cmp_eq_u32_e64 s[6:7], 0, v25
	s_and_saveexec_b64 s[8:9], s[6:7]
	s_cbranch_execz .LBB4_6
; %bb.5:
	v_mov_b32_e32 v2, 0
	ds_write_b32 v2, v2 offset:160
.LBB4_6:
	s_or_b64 exec, exec, s[8:9]
	v_mov_b32_e32 v2, 0
	v_lshl_add_u32 v27, v25, 4, v2
	s_waitcnt lgkmcnt(0)
	; wave barrier
	s_waitcnt lgkmcnt(0)
	buffer_load_dword v2, v27, s[0:3], 0 offen
	buffer_load_dword v3, v27, s[0:3], 0 offen offset:4
	buffer_load_dword v4, v27, s[0:3], 0 offen offset:8
	;; [unrolled: 1-line block ×3, first 2 shown]
	s_waitcnt vmcnt(2)
	v_cmp_eq_f64_e32 vcc, 0, v[2:3]
	s_waitcnt vmcnt(0)
	v_cmp_eq_f64_e64 s[8:9], 0, v[4:5]
	s_and_b64 s[8:9], vcc, s[8:9]
	s_and_saveexec_b64 s[12:13], s[8:9]
	s_cbranch_execz .LBB4_10
; %bb.7:
	v_mov_b32_e32 v2, 0
	ds_read_b32 v4, v2 offset:160
	v_add_u32_e32 v3, 1, v25
	s_waitcnt lgkmcnt(0)
	v_readfirstlane_b32 s8, v4
	s_cmp_eq_u32 s8, 0
	s_cselect_b64 s[16:17], -1, 0
	v_cmp_gt_i32_e32 vcc, s8, v3
	s_or_b64 s[16:17], s[16:17], vcc
	s_and_b64 exec, exec, s[16:17]
	s_cbranch_execz .LBB4_10
; %bb.8:
	s_mov_b64 s[16:17], 0
	v_mov_b32_e32 v4, s8
.LBB4_9:                                ; =>This Inner Loop Header: Depth=1
	ds_cmpst_rtn_b32 v4, v2, v4, v3 offset:160
	s_waitcnt lgkmcnt(0)
	v_cmp_ne_u32_e32 vcc, 0, v4
	v_cmp_le_i32_e64 s[8:9], v4, v3
	s_and_b64 s[8:9], vcc, s[8:9]
	s_and_b64 s[8:9], exec, s[8:9]
	s_or_b64 s[16:17], s[8:9], s[16:17]
	s_andn2_b64 exec, exec, s[16:17]
	s_cbranch_execnz .LBB4_9
.LBB4_10:
	s_or_b64 exec, exec, s[12:13]
	v_mov_b32_e32 v3, 0
	s_waitcnt lgkmcnt(0)
	; wave barrier
	ds_read_b32 v2, v3 offset:160
	s_and_saveexec_b64 s[8:9], s[6:7]
	s_cbranch_execz .LBB4_12
; %bb.11:
	s_lshl_b64 s[12:13], s[10:11], 2
	s_add_u32 s12, s14, s12
	s_addc_u32 s13, s15, s13
	s_waitcnt lgkmcnt(0)
	global_store_dword v3, v2, s[12:13]
.LBB4_12:
	s_or_b64 exec, exec, s[8:9]
	s_waitcnt lgkmcnt(0)
	v_cmp_ne_u32_e32 vcc, 0, v2
	s_mov_b64 s[8:9], 0
	s_cbranch_vccnz .LBB4_32
; %bb.13:
	buffer_load_dword v17, v27, s[0:3], 0 offen offset:4
	buffer_load_dword v16, v27, s[0:3], 0 offen
	buffer_load_dword v19, v27, s[0:3], 0 offen offset:12
	buffer_load_dword v18, v27, s[0:3], 0 offen offset:8
                                        ; implicit-def: $vgpr20_vgpr21
	s_waitcnt vmcnt(3)
	v_xor_b32_e32 v3, 0x80000000, v17
	s_waitcnt vmcnt(2)
	v_cmp_gt_f64_e32 vcc, 0, v[16:17]
	s_waitcnt vmcnt(1)
	v_xor_b32_e32 v4, 0x80000000, v19
	v_cndmask_b32_e32 v3, v17, v3, vcc
	s_waitcnt vmcnt(0)
	v_cmp_gt_f64_e32 vcc, 0, v[18:19]
	v_mov_b32_e32 v2, v16
	v_cndmask_b32_e32 v5, v19, v4, vcc
	v_mov_b32_e32 v4, v18
	v_cmp_ngt_f64_e32 vcc, v[2:3], v[4:5]
                                        ; implicit-def: $vgpr4_vgpr5
	s_and_saveexec_b64 s[8:9], vcc
	s_xor_b64 s[8:9], exec, s[8:9]
	s_cbranch_execz .LBB4_15
; %bb.14:
	v_div_scale_f64 v[2:3], s[12:13], v[18:19], v[18:19], v[16:17]
	v_rcp_f64_e32 v[4:5], v[2:3]
	v_div_scale_f64 v[20:21], vcc, v[16:17], v[18:19], v[16:17]
	v_fma_f64 v[28:29], -v[2:3], v[4:5], 1.0
	v_fmac_f64_e32 v[4:5], v[4:5], v[28:29]
	v_fma_f64 v[28:29], -v[2:3], v[4:5], 1.0
	v_fmac_f64_e32 v[4:5], v[4:5], v[28:29]
	v_mul_f64 v[28:29], v[20:21], v[4:5]
	v_fma_f64 v[2:3], -v[2:3], v[28:29], v[20:21]
	v_div_fmas_f64 v[2:3], v[2:3], v[4:5], v[28:29]
	v_div_fixup_f64 v[2:3], v[2:3], v[18:19], v[16:17]
	v_fmac_f64_e32 v[18:19], v[16:17], v[2:3]
	v_div_scale_f64 v[4:5], s[12:13], v[18:19], v[18:19], 1.0
	v_rcp_f64_e32 v[16:17], v[4:5]
	v_fma_f64 v[20:21], -v[4:5], v[16:17], 1.0
	v_fmac_f64_e32 v[16:17], v[16:17], v[20:21]
	v_fma_f64 v[20:21], -v[4:5], v[16:17], 1.0
	v_fmac_f64_e32 v[16:17], v[16:17], v[20:21]
	v_div_scale_f64 v[20:21], vcc, 1.0, v[18:19], 1.0
	v_mul_f64 v[28:29], v[20:21], v[16:17]
	v_fma_f64 v[4:5], -v[4:5], v[28:29], v[20:21]
	s_nop 1
	v_div_fmas_f64 v[4:5], v[4:5], v[16:17], v[28:29]
	v_div_fixup_f64 v[4:5], v[4:5], v[18:19], 1.0
	v_mul_f64 v[20:21], v[2:3], v[4:5]
	v_xor_b32_e32 v5, 0x80000000, v5
	v_xor_b32_e32 v3, 0x80000000, v21
	v_mov_b32_e32 v2, v20
                                        ; implicit-def: $vgpr16_vgpr17
                                        ; implicit-def: $vgpr18_vgpr19
.LBB4_15:
	s_andn2_saveexec_b64 s[8:9], s[8:9]
	s_cbranch_execz .LBB4_17
; %bb.16:
	v_div_scale_f64 v[2:3], s[12:13], v[16:17], v[16:17], v[18:19]
	v_rcp_f64_e32 v[4:5], v[2:3]
	v_div_scale_f64 v[20:21], vcc, v[18:19], v[16:17], v[18:19]
	v_fma_f64 v[28:29], -v[2:3], v[4:5], 1.0
	v_fmac_f64_e32 v[4:5], v[4:5], v[28:29]
	v_fma_f64 v[28:29], -v[2:3], v[4:5], 1.0
	v_fmac_f64_e32 v[4:5], v[4:5], v[28:29]
	v_mul_f64 v[28:29], v[20:21], v[4:5]
	v_fma_f64 v[2:3], -v[2:3], v[28:29], v[20:21]
	v_div_fmas_f64 v[2:3], v[2:3], v[4:5], v[28:29]
	v_div_fixup_f64 v[4:5], v[2:3], v[16:17], v[18:19]
	v_fmac_f64_e32 v[16:17], v[18:19], v[4:5]
	v_div_scale_f64 v[2:3], s[12:13], v[16:17], v[16:17], 1.0
	v_rcp_f64_e32 v[18:19], v[2:3]
	v_fma_f64 v[20:21], -v[2:3], v[18:19], 1.0
	v_fmac_f64_e32 v[18:19], v[18:19], v[20:21]
	v_fma_f64 v[20:21], -v[2:3], v[18:19], 1.0
	v_fmac_f64_e32 v[18:19], v[18:19], v[20:21]
	v_div_scale_f64 v[20:21], vcc, 1.0, v[16:17], 1.0
	v_mul_f64 v[28:29], v[20:21], v[18:19]
	v_fma_f64 v[2:3], -v[2:3], v[28:29], v[20:21]
	s_nop 1
	v_div_fmas_f64 v[2:3], v[2:3], v[18:19], v[28:29]
	v_div_fixup_f64 v[20:21], v[2:3], v[16:17], 1.0
	v_xor_b32_e32 v3, 0x80000000, v21
	v_mov_b32_e32 v2, v20
	v_mul_f64 v[4:5], v[4:5], -v[20:21]
.LBB4_17:
	s_or_b64 exec, exec, s[8:9]
	buffer_store_dword v21, v27, s[0:3], 0 offen offset:4
	buffer_store_dword v20, v27, s[0:3], 0 offen
	buffer_store_dword v5, v27, s[0:3], 0 offen offset:12
	buffer_store_dword v4, v27, s[0:3], 0 offen offset:8
	buffer_load_dword v21, v23, s[0:3], 0 offen offset:12
	s_nop 0
	buffer_load_dword v20, v23, s[0:3], 0 offen offset:8
	buffer_load_dword v19, v23, s[0:3], 0 offen offset:4
	buffer_load_dword v18, v23, s[0:3], 0 offen
	v_xor_b32_e32 v5, 0x80000000, v5
	v_add_u32_e32 v16, 0x50, v26
	ds_write_b128 v26, v[2:5]
	s_waitcnt vmcnt(0)
	ds_write_b128 v26, v[18:21] offset:80
	s_waitcnt lgkmcnt(0)
	; wave barrier
	s_waitcnt lgkmcnt(0)
	s_and_saveexec_b64 s[8:9], s[6:7]
	s_cbranch_execz .LBB4_19
; %bb.18:
	buffer_load_dword v28, v27, s[0:3], 0 offen offset:8
	buffer_load_dword v29, v27, s[0:3], 0 offen offset:12
	buffer_load_dword v30, v27, s[0:3], 0 offen
	buffer_load_dword v31, v27, s[0:3], 0 offen offset:4
	ds_read_b128 v[2:5], v16
	v_mov_b32_e32 v17, 0
	ds_read_b128 v[18:21], v17 offset:16
	s_waitcnt vmcnt(2) lgkmcnt(1)
	v_mul_f64 v[32:33], v[4:5], v[28:29]
	v_mul_f64 v[28:29], v[2:3], v[28:29]
	s_waitcnt vmcnt(0)
	v_fmac_f64_e32 v[28:29], v[4:5], v[30:31]
	v_fma_f64 v[2:3], v[2:3], v[30:31], -v[32:33]
	v_add_f64 v[4:5], v[28:29], 0
	v_add_f64 v[2:3], v[2:3], 0
	s_waitcnt lgkmcnt(0)
	v_mul_f64 v[28:29], v[4:5], v[20:21]
	v_mul_f64 v[20:21], v[2:3], v[20:21]
	v_fma_f64 v[2:3], v[2:3], v[18:19], -v[28:29]
	v_fmac_f64_e32 v[20:21], v[4:5], v[18:19]
	buffer_store_dword v2, off, s[0:3], 0 offset:16
	buffer_store_dword v3, off, s[0:3], 0 offset:20
	buffer_store_dword v20, off, s[0:3], 0 offset:24
	buffer_store_dword v21, off, s[0:3], 0 offset:28
.LBB4_19:
	s_or_b64 exec, exec, s[8:9]
	s_waitcnt lgkmcnt(0)
	; wave barrier
	buffer_load_dword v2, v22, s[0:3], 0 offen
	buffer_load_dword v3, v22, s[0:3], 0 offen offset:4
	buffer_load_dword v4, v22, s[0:3], 0 offen offset:8
	;; [unrolled: 1-line block ×3, first 2 shown]
	v_cmp_gt_u32_e32 vcc, 2, v25
	s_waitcnt vmcnt(0)
	ds_write_b128 v16, v[2:5]
	s_waitcnt lgkmcnt(0)
	; wave barrier
	s_waitcnt lgkmcnt(0)
	s_and_saveexec_b64 s[8:9], vcc
	s_cbranch_execz .LBB4_23
; %bb.20:
	buffer_load_dword v18, v27, s[0:3], 0 offen offset:8
	buffer_load_dword v19, v27, s[0:3], 0 offen offset:12
	buffer_load_dword v20, v27, s[0:3], 0 offen
	buffer_load_dword v21, v27, s[0:3], 0 offen offset:4
	ds_read_b128 v[2:5], v16
	s_waitcnt vmcnt(2) lgkmcnt(0)
	v_mul_f64 v[28:29], v[4:5], v[18:19]
	v_mul_f64 v[18:19], v[2:3], v[18:19]
	s_waitcnt vmcnt(0)
	v_fma_f64 v[2:3], v[2:3], v[20:21], -v[28:29]
	v_fmac_f64_e32 v[18:19], v[4:5], v[20:21]
	v_add_f64 v[4:5], v[2:3], 0
	v_add_f64 v[2:3], v[18:19], 0
	s_and_saveexec_b64 s[12:13], s[6:7]
	s_cbranch_execz .LBB4_22
; %bb.21:
	buffer_load_dword v28, off, s[0:3], 0 offset:24
	buffer_load_dword v29, off, s[0:3], 0 offset:28
	;; [unrolled: 1-line block ×4, first 2 shown]
	v_mov_b32_e32 v17, 0
	ds_read_b128 v[18:21], v17 offset:96
	s_waitcnt vmcnt(2) lgkmcnt(0)
	v_mul_f64 v[32:33], v[18:19], v[28:29]
	v_mul_f64 v[28:29], v[20:21], v[28:29]
	s_waitcnt vmcnt(0)
	v_fmac_f64_e32 v[32:33], v[20:21], v[30:31]
	v_fma_f64 v[18:19], v[18:19], v[30:31], -v[28:29]
	v_add_f64 v[2:3], v[2:3], v[32:33]
	v_add_f64 v[4:5], v[4:5], v[18:19]
.LBB4_22:
	s_or_b64 exec, exec, s[12:13]
	v_mov_b32_e32 v17, 0
	ds_read_b128 v[18:21], v17 offset:32
	s_waitcnt lgkmcnt(0)
	v_mul_f64 v[28:29], v[2:3], v[20:21]
	v_mul_f64 v[20:21], v[4:5], v[20:21]
	v_fma_f64 v[4:5], v[4:5], v[18:19], -v[28:29]
	v_fmac_f64_e32 v[20:21], v[2:3], v[18:19]
	buffer_store_dword v5, off, s[0:3], 0 offset:36
	buffer_store_dword v4, off, s[0:3], 0 offset:32
	;; [unrolled: 1-line block ×4, first 2 shown]
.LBB4_23:
	s_or_b64 exec, exec, s[8:9]
	s_waitcnt lgkmcnt(0)
	; wave barrier
	buffer_load_dword v2, v24, s[0:3], 0 offen
	buffer_load_dword v3, v24, s[0:3], 0 offen offset:4
	buffer_load_dword v4, v24, s[0:3], 0 offen offset:8
	;; [unrolled: 1-line block ×3, first 2 shown]
	v_cmp_gt_u32_e32 vcc, 3, v25
	v_add_u32_e32 v17, -1, v25
	s_waitcnt vmcnt(0)
	ds_write_b128 v16, v[2:5]
	s_waitcnt lgkmcnt(0)
	; wave barrier
	s_waitcnt lgkmcnt(0)
	s_and_saveexec_b64 s[6:7], vcc
	s_cbranch_execz .LBB4_27
; %bb.24:
	v_pk_mov_b32 v[2:3], 0, 0
	v_add_u32_e32 v18, -1, v25
	v_add_u32_e32 v19, 0x50, v26
	v_add_u32_e32 v20, 0, v26
	s_mov_b64 s[8:9], 0
	v_pk_mov_b32 v[4:5], v[2:3], v[2:3] op_sel:[0,1]
.LBB4_25:                               ; =>This Inner Loop Header: Depth=1
	buffer_load_dword v32, v20, s[0:3], 0 offen offset:8
	buffer_load_dword v33, v20, s[0:3], 0 offen offset:12
	buffer_load_dword v34, v20, s[0:3], 0 offen
	buffer_load_dword v35, v20, s[0:3], 0 offen offset:4
	ds_read_b128 v[28:31], v19
	v_add_u32_e32 v18, 1, v18
	v_cmp_lt_u32_e32 vcc, 1, v18
	v_add_u32_e32 v19, 16, v19
	v_add_u32_e32 v20, 16, v20
	s_or_b64 s[8:9], vcc, s[8:9]
	s_waitcnt vmcnt(2) lgkmcnt(0)
	v_mul_f64 v[36:37], v[30:31], v[32:33]
	v_mul_f64 v[32:33], v[28:29], v[32:33]
	s_waitcnt vmcnt(0)
	v_fma_f64 v[28:29], v[28:29], v[34:35], -v[36:37]
	v_fmac_f64_e32 v[32:33], v[30:31], v[34:35]
	v_add_f64 v[4:5], v[4:5], v[28:29]
	v_add_f64 v[2:3], v[2:3], v[32:33]
	s_andn2_b64 exec, exec, s[8:9]
	s_cbranch_execnz .LBB4_25
; %bb.26:
	s_or_b64 exec, exec, s[8:9]
	v_mov_b32_e32 v18, 0
	ds_read_b128 v[18:21], v18 offset:48
	s_waitcnt lgkmcnt(0)
	v_mul_f64 v[28:29], v[2:3], v[20:21]
	v_mul_f64 v[20:21], v[4:5], v[20:21]
	v_fma_f64 v[4:5], v[4:5], v[18:19], -v[28:29]
	v_fmac_f64_e32 v[20:21], v[2:3], v[18:19]
	buffer_store_dword v5, off, s[0:3], 0 offset:52
	buffer_store_dword v4, off, s[0:3], 0 offset:48
	;; [unrolled: 1-line block ×4, first 2 shown]
.LBB4_27:
	s_or_b64 exec, exec, s[6:7]
	s_waitcnt lgkmcnt(0)
	; wave barrier
	buffer_load_dword v2, v1, s[0:3], 0 offen
	buffer_load_dword v3, v1, s[0:3], 0 offen offset:4
	buffer_load_dword v4, v1, s[0:3], 0 offen offset:8
	;; [unrolled: 1-line block ×3, first 2 shown]
	v_cmp_ne_u32_e32 vcc, 4, v25
	s_waitcnt vmcnt(0)
	ds_write_b128 v16, v[2:5]
	s_waitcnt lgkmcnt(0)
	; wave barrier
	s_waitcnt lgkmcnt(0)
	s_and_saveexec_b64 s[6:7], vcc
	s_cbranch_execz .LBB4_31
; %bb.28:
	v_pk_mov_b32 v[2:3], 0, 0
	v_add_u32_e32 v16, 0x50, v26
	v_add_u32_e32 v18, 0, v26
	s_mov_b64 s[8:9], 0
	v_pk_mov_b32 v[4:5], v[2:3], v[2:3] op_sel:[0,1]
.LBB4_29:                               ; =>This Inner Loop Header: Depth=1
	buffer_load_dword v20, v18, s[0:3], 0 offen offset:8
	buffer_load_dword v21, v18, s[0:3], 0 offen offset:12
	buffer_load_dword v30, v18, s[0:3], 0 offen
	buffer_load_dword v31, v18, s[0:3], 0 offen offset:4
	ds_read_b128 v[26:29], v16
	v_add_u32_e32 v17, 1, v17
	v_cmp_lt_u32_e32 vcc, 2, v17
	v_add_u32_e32 v16, 16, v16
	v_add_u32_e32 v18, 16, v18
	s_or_b64 s[8:9], vcc, s[8:9]
	s_waitcnt vmcnt(2) lgkmcnt(0)
	v_mul_f64 v[32:33], v[28:29], v[20:21]
	v_mul_f64 v[20:21], v[26:27], v[20:21]
	s_waitcnt vmcnt(0)
	v_fma_f64 v[26:27], v[26:27], v[30:31], -v[32:33]
	v_fmac_f64_e32 v[20:21], v[28:29], v[30:31]
	v_add_f64 v[4:5], v[4:5], v[26:27]
	v_add_f64 v[2:3], v[2:3], v[20:21]
	s_andn2_b64 exec, exec, s[8:9]
	s_cbranch_execnz .LBB4_29
; %bb.30:
	s_or_b64 exec, exec, s[8:9]
	v_mov_b32_e32 v16, 0
	ds_read_b128 v[16:19], v16 offset:64
	s_waitcnt lgkmcnt(0)
	v_mul_f64 v[20:21], v[2:3], v[18:19]
	v_mul_f64 v[18:19], v[4:5], v[18:19]
	v_fma_f64 v[4:5], v[4:5], v[16:17], -v[20:21]
	v_fmac_f64_e32 v[18:19], v[2:3], v[16:17]
	buffer_store_dword v5, off, s[0:3], 0 offset:68
	buffer_store_dword v4, off, s[0:3], 0 offset:64
	;; [unrolled: 1-line block ×4, first 2 shown]
.LBB4_31:
	s_or_b64 exec, exec, s[6:7]
	s_mov_b64 s[8:9], -1
	s_waitcnt lgkmcnt(0)
	; wave barrier
.LBB4_32:
	s_and_b64 vcc, exec, s[8:9]
	s_cbranch_vccz .LBB4_34
; %bb.33:
	s_lshl_b64 s[6:7], s[10:11], 2
	s_add_u32 s6, s14, s6
	s_addc_u32 s7, s15, s7
	v_mov_b32_e32 v2, 0
	global_load_dword v2, v2, s[6:7]
	s_waitcnt vmcnt(0)
	v_cmp_ne_u32_e32 vcc, 0, v2
	s_cbranch_vccz .LBB4_35
.LBB4_34:
	s_endpgm
.LBB4_35:
	v_mov_b32_e32 v2, 0x50
	v_lshl_add_u32 v2, v25, 4, v2
	v_cmp_eq_u32_e32 vcc, 4, v25
	s_and_saveexec_b64 s[6:7], vcc
	s_cbranch_execz .LBB4_37
; %bb.36:
	buffer_load_dword v16, v24, s[0:3], 0 offen
	buffer_load_dword v17, v24, s[0:3], 0 offen offset:4
	buffer_load_dword v18, v24, s[0:3], 0 offen offset:8
	;; [unrolled: 1-line block ×3, first 2 shown]
	v_mov_b32_e32 v3, 0
	buffer_store_dword v3, off, s[0:3], 0 offset:48
	buffer_store_dword v3, off, s[0:3], 0 offset:52
	;; [unrolled: 1-line block ×4, first 2 shown]
	s_waitcnt vmcnt(4)
	ds_write_b128 v2, v[16:19]
.LBB4_37:
	s_or_b64 exec, exec, s[6:7]
	s_waitcnt lgkmcnt(0)
	; wave barrier
	s_waitcnt lgkmcnt(0)
	buffer_load_dword v4, off, s[0:3], 0 offset:72
	buffer_load_dword v5, off, s[0:3], 0 offset:76
	;; [unrolled: 1-line block ×8, first 2 shown]
	v_mov_b32_e32 v3, 0
	ds_read_b128 v[16:19], v3 offset:144
	v_cmp_lt_u32_e32 vcc, 2, v25
	s_waitcnt vmcnt(6) lgkmcnt(0)
	v_mul_f64 v[30:31], v[16:17], v[4:5]
	v_mul_f64 v[4:5], v[18:19], v[4:5]
	s_waitcnt vmcnt(4)
	v_fma_f64 v[4:5], v[16:17], v[20:21], -v[4:5]
	v_fmac_f64_e32 v[30:31], v[18:19], v[20:21]
	v_add_f64 v[4:5], v[4:5], 0
	v_add_f64 v[16:17], v[30:31], 0
	s_waitcnt vmcnt(2)
	v_add_f64 v[4:5], v[26:27], -v[4:5]
	s_waitcnt vmcnt(0)
	v_add_f64 v[16:17], v[28:29], -v[16:17]
	buffer_store_dword v4, off, s[0:3], 0 offset:48
	buffer_store_dword v5, off, s[0:3], 0 offset:52
	;; [unrolled: 1-line block ×4, first 2 shown]
	s_and_saveexec_b64 s[6:7], vcc
	s_cbranch_execz .LBB4_39
; %bb.38:
	buffer_load_dword v16, v22, s[0:3], 0 offen
	buffer_load_dword v17, v22, s[0:3], 0 offen offset:4
	buffer_load_dword v18, v22, s[0:3], 0 offen offset:8
	;; [unrolled: 1-line block ×3, first 2 shown]
	s_nop 0
	buffer_store_dword v3, off, s[0:3], 0 offset:32
	buffer_store_dword v3, off, s[0:3], 0 offset:36
	;; [unrolled: 1-line block ×4, first 2 shown]
	s_waitcnt vmcnt(4)
	ds_write_b128 v2, v[16:19]
.LBB4_39:
	s_or_b64 exec, exec, s[6:7]
	s_waitcnt lgkmcnt(0)
	; wave barrier
	s_waitcnt lgkmcnt(0)
	buffer_load_dword v4, off, s[0:3], 0 offset:56
	buffer_load_dword v5, off, s[0:3], 0 offset:60
	;; [unrolled: 1-line block ×12, first 2 shown]
	ds_read_b128 v[16:19], v3 offset:128
	ds_read_b128 v[26:29], v3 offset:144
	v_cmp_lt_u32_e32 vcc, 1, v25
	s_waitcnt vmcnt(10) lgkmcnt(1)
	v_mul_f64 v[38:39], v[16:17], v[4:5]
	v_mul_f64 v[4:5], v[18:19], v[4:5]
	s_waitcnt vmcnt(8) lgkmcnt(0)
	v_mul_f64 v[40:41], v[26:27], v[20:21]
	v_mul_f64 v[20:21], v[28:29], v[20:21]
	s_waitcnt vmcnt(6)
	v_fma_f64 v[4:5], v[16:17], v[30:31], -v[4:5]
	v_fmac_f64_e32 v[38:39], v[18:19], v[30:31]
	s_waitcnt vmcnt(4)
	v_fma_f64 v[16:17], v[26:27], v[32:33], -v[20:21]
	v_add_f64 v[4:5], v[4:5], 0
	v_fmac_f64_e32 v[40:41], v[28:29], v[32:33]
	v_add_f64 v[18:19], v[38:39], 0
	v_add_f64 v[4:5], v[4:5], v[16:17]
	;; [unrolled: 1-line block ×3, first 2 shown]
	s_waitcnt vmcnt(2)
	v_add_f64 v[4:5], v[34:35], -v[4:5]
	s_waitcnt vmcnt(0)
	v_add_f64 v[16:17], v[36:37], -v[18:19]
	buffer_store_dword v4, off, s[0:3], 0 offset:32
	buffer_store_dword v5, off, s[0:3], 0 offset:36
	;; [unrolled: 1-line block ×4, first 2 shown]
	s_and_saveexec_b64 s[6:7], vcc
	s_cbranch_execz .LBB4_41
; %bb.40:
	buffer_load_dword v16, v23, s[0:3], 0 offen
	buffer_load_dword v17, v23, s[0:3], 0 offen offset:4
	buffer_load_dword v18, v23, s[0:3], 0 offen offset:8
	;; [unrolled: 1-line block ×3, first 2 shown]
	v_mov_b32_e32 v3, 0
	buffer_store_dword v3, off, s[0:3], 0 offset:16
	buffer_store_dword v3, off, s[0:3], 0 offset:20
	;; [unrolled: 1-line block ×4, first 2 shown]
	s_waitcnt vmcnt(4)
	ds_write_b128 v2, v[16:19]
.LBB4_41:
	s_or_b64 exec, exec, s[6:7]
	s_waitcnt lgkmcnt(0)
	; wave barrier
	s_waitcnt lgkmcnt(0)
	buffer_load_dword v4, off, s[0:3], 0 offset:40
	buffer_load_dword v5, off, s[0:3], 0 offset:44
	;; [unrolled: 1-line block ×16, first 2 shown]
	v_mov_b32_e32 v3, 0
	ds_read_b128 v[16:19], v3 offset:112
	ds_read_b128 v[26:29], v3 offset:128
	;; [unrolled: 1-line block ×3, first 2 shown]
	v_cmp_ne_u32_e32 vcc, 0, v25
	s_waitcnt vmcnt(14) lgkmcnt(2)
	v_mul_f64 v[46:47], v[16:17], v[4:5]
	v_mul_f64 v[4:5], v[18:19], v[4:5]
	s_waitcnt vmcnt(12) lgkmcnt(1)
	v_mul_f64 v[48:49], v[26:27], v[20:21]
	v_mul_f64 v[20:21], v[28:29], v[20:21]
	;; [unrolled: 3-line block ×3, first 2 shown]
	s_waitcnt vmcnt(8)
	v_fma_f64 v[4:5], v[16:17], v[36:37], -v[4:5]
	v_fmac_f64_e32 v[46:47], v[18:19], v[36:37]
	s_waitcnt vmcnt(6)
	v_fma_f64 v[16:17], v[26:27], v[38:39], -v[20:21]
	v_add_f64 v[4:5], v[4:5], 0
	v_fmac_f64_e32 v[48:49], v[28:29], v[38:39]
	s_waitcnt vmcnt(4)
	v_fma_f64 v[18:19], v[30:31], v[40:41], -v[34:35]
	v_add_f64 v[20:21], v[46:47], 0
	v_add_f64 v[4:5], v[4:5], v[16:17]
	v_fmac_f64_e32 v[50:51], v[32:33], v[40:41]
	v_add_f64 v[20:21], v[20:21], v[48:49]
	v_add_f64 v[4:5], v[4:5], v[18:19]
	;; [unrolled: 1-line block ×3, first 2 shown]
	s_waitcnt vmcnt(2)
	v_add_f64 v[4:5], v[42:43], -v[4:5]
	s_waitcnt vmcnt(0)
	v_add_f64 v[16:17], v[44:45], -v[16:17]
	buffer_store_dword v4, off, s[0:3], 0 offset:16
	buffer_store_dword v5, off, s[0:3], 0 offset:20
	;; [unrolled: 1-line block ×4, first 2 shown]
	s_and_saveexec_b64 s[6:7], vcc
	s_cbranch_execz .LBB4_43
; %bb.42:
	buffer_load_dword v16, off, s[0:3], 0
	buffer_load_dword v17, off, s[0:3], 0 offset:4
	buffer_load_dword v18, off, s[0:3], 0 offset:8
	;; [unrolled: 1-line block ×3, first 2 shown]
	s_nop 0
	buffer_store_dword v3, off, s[0:3], 0
	buffer_store_dword v3, off, s[0:3], 0 offset:4
	buffer_store_dword v3, off, s[0:3], 0 offset:8
	;; [unrolled: 1-line block ×3, first 2 shown]
	s_waitcnt vmcnt(4)
	ds_write_b128 v2, v[16:19]
.LBB4_43:
	s_or_b64 exec, exec, s[6:7]
	s_waitcnt lgkmcnt(0)
	; wave barrier
	s_waitcnt lgkmcnt(0)
	buffer_load_dword v20, off, s[0:3], 0 offset:24
	buffer_load_dword v21, off, s[0:3], 0 offset:28
	;; [unrolled: 1-line block ×16, first 2 shown]
	buffer_load_dword v48, off, s[0:3], 0
	buffer_load_dword v49, off, s[0:3], 0 offset:4
	buffer_load_dword v50, off, s[0:3], 0 offset:8
	;; [unrolled: 1-line block ×3, first 2 shown]
	ds_read_b128 v[16:19], v3 offset:96
	ds_read_b128 v[26:29], v3 offset:112
	;; [unrolled: 1-line block ×4, first 2 shown]
	s_and_b64 vcc, exec, s[26:27]
	s_waitcnt vmcnt(18) lgkmcnt(3)
	v_mul_f64 v[52:53], v[16:17], v[20:21]
	v_mul_f64 v[20:21], v[18:19], v[20:21]
	s_waitcnt vmcnt(16) lgkmcnt(2)
	v_mul_f64 v[54:55], v[26:27], v[34:35]
	v_mul_f64 v[34:35], v[28:29], v[34:35]
	;; [unrolled: 3-line block ×4, first 2 shown]
	s_waitcnt vmcnt(10)
	v_fmac_f64_e32 v[52:53], v[18:19], v[40:41]
	s_waitcnt vmcnt(8)
	v_fmac_f64_e32 v[54:55], v[28:29], v[42:43]
	s_waitcnt vmcnt(6)
	v_fma_f64 v[18:19], v[30:31], v[44:45], -v[36:37]
	v_fmac_f64_e32 v[56:57], v[32:33], v[44:45]
	s_waitcnt vmcnt(4)
	v_fmac_f64_e32 v[58:59], v[4:5], v[46:47]
	v_fma_f64 v[4:5], v[16:17], v[40:41], -v[20:21]
	v_fma_f64 v[16:17], v[26:27], v[42:43], -v[34:35]
	v_add_f64 v[4:5], v[4:5], 0
	v_add_f64 v[20:21], v[52:53], 0
	;; [unrolled: 1-line block ×3, first 2 shown]
	v_fma_f64 v[2:3], v[2:3], v[46:47], -v[38:39]
	v_add_f64 v[20:21], v[20:21], v[54:55]
	v_add_f64 v[4:5], v[4:5], v[18:19]
	;; [unrolled: 1-line block ×5, first 2 shown]
	s_waitcnt vmcnt(2)
	v_add_f64 v[2:3], v[48:49], -v[2:3]
	s_waitcnt vmcnt(0)
	v_add_f64 v[4:5], v[50:51], -v[16:17]
	buffer_store_dword v2, off, s[0:3], 0
	buffer_store_dword v3, off, s[0:3], 0 offset:4
	buffer_store_dword v4, off, s[0:3], 0 offset:8
	;; [unrolled: 1-line block ×3, first 2 shown]
	s_cbranch_vccz .LBB4_53
; %bb.44:
	v_pk_mov_b32 v[2:3], s[24:25], s[24:25] op_sel:[0,1]
	flat_load_dword v2, v[2:3] offset:12
	s_load_dwordx2 s[4:5], s[4:5], 0x4
	v_bfe_u32 v4, v0, 10, 10
	v_bfe_u32 v0, v0, 20, 10
	s_waitcnt lgkmcnt(0)
	s_lshr_b32 s4, s4, 16
	s_mul_i32 s4, s4, s5
	v_mul_u32_u24_e32 v3, s4, v25
	v_mul_u32_u24_e32 v4, s5, v4
	v_add3_u32 v0, v3, v4, v0
	v_mov_b32_e32 v3, 0xa8
	v_lshl_add_u32 v0, v0, 4, v3
	s_waitcnt vmcnt(0)
	v_add_u32_e32 v2, -1, v2
	v_cmp_ne_u32_e32 vcc, 3, v2
	s_and_saveexec_b64 s[4:5], vcc
	s_cbranch_execz .LBB4_46
; %bb.45:
	v_mov_b32_e32 v3, 0
	v_lshl_add_u32 v16, v2, 4, v3
	buffer_load_dword v2, v24, s[0:3], 0 offen
	buffer_load_dword v3, v24, s[0:3], 0 offen offset:4
	buffer_load_dword v4, v24, s[0:3], 0 offen offset:8
	;; [unrolled: 1-line block ×3, first 2 shown]
	buffer_load_dword v17, v16, s[0:3], 0 offen
	buffer_load_dword v18, v16, s[0:3], 0 offen offset:4
	buffer_load_dword v19, v16, s[0:3], 0 offen offset:8
	buffer_load_dword v20, v16, s[0:3], 0 offen offset:12
	s_waitcnt vmcnt(4)
	ds_write2_b64 v0, v[2:3], v[4:5] offset1:1
	s_waitcnt vmcnt(3)
	buffer_store_dword v17, v24, s[0:3], 0 offen
	s_waitcnt vmcnt(3)
	buffer_store_dword v18, v24, s[0:3], 0 offen offset:4
	s_waitcnt vmcnt(3)
	buffer_store_dword v19, v24, s[0:3], 0 offen offset:8
	;; [unrolled: 2-line block ×3, first 2 shown]
	buffer_store_dword v5, v16, s[0:3], 0 offen offset:12
	buffer_store_dword v4, v16, s[0:3], 0 offen offset:8
	;; [unrolled: 1-line block ×3, first 2 shown]
	buffer_store_dword v2, v16, s[0:3], 0 offen
.LBB4_46:
	s_or_b64 exec, exec, s[4:5]
	v_pk_mov_b32 v[2:3], s[24:25], s[24:25] op_sel:[0,1]
	flat_load_dword v2, v[2:3] offset:8
	s_waitcnt vmcnt(0) lgkmcnt(0)
	v_add_u32_e32 v2, -1, v2
	v_cmp_ne_u32_e32 vcc, 2, v2
	s_and_saveexec_b64 s[4:5], vcc
	s_cbranch_execz .LBB4_48
; %bb.47:
	v_mov_b32_e32 v3, 0
	v_lshl_add_u32 v16, v2, 4, v3
	buffer_load_dword v2, v22, s[0:3], 0 offen
	buffer_load_dword v3, v22, s[0:3], 0 offen offset:4
	buffer_load_dword v4, v22, s[0:3], 0 offen offset:8
	;; [unrolled: 1-line block ×3, first 2 shown]
	buffer_load_dword v17, v16, s[0:3], 0 offen
	buffer_load_dword v18, v16, s[0:3], 0 offen offset:4
	buffer_load_dword v19, v16, s[0:3], 0 offen offset:8
	buffer_load_dword v20, v16, s[0:3], 0 offen offset:12
	s_waitcnt vmcnt(4)
	ds_write2_b64 v0, v[2:3], v[4:5] offset1:1
	s_waitcnt vmcnt(3)
	buffer_store_dword v17, v22, s[0:3], 0 offen
	s_waitcnt vmcnt(3)
	buffer_store_dword v18, v22, s[0:3], 0 offen offset:4
	s_waitcnt vmcnt(3)
	buffer_store_dword v19, v22, s[0:3], 0 offen offset:8
	;; [unrolled: 2-line block ×3, first 2 shown]
	buffer_store_dword v5, v16, s[0:3], 0 offen offset:12
	buffer_store_dword v4, v16, s[0:3], 0 offen offset:8
	buffer_store_dword v3, v16, s[0:3], 0 offen offset:4
	buffer_store_dword v2, v16, s[0:3], 0 offen
.LBB4_48:
	s_or_b64 exec, exec, s[4:5]
	v_pk_mov_b32 v[2:3], s[24:25], s[24:25] op_sel:[0,1]
	flat_load_dword v2, v[2:3] offset:4
	s_waitcnt vmcnt(0) lgkmcnt(0)
	v_add_u32_e32 v2, -1, v2
	v_cmp_ne_u32_e32 vcc, 1, v2
	s_and_saveexec_b64 s[4:5], vcc
	s_cbranch_execz .LBB4_50
; %bb.49:
	v_mov_b32_e32 v3, 0
	v_lshl_add_u32 v16, v2, 4, v3
	buffer_load_dword v2, v23, s[0:3], 0 offen
	buffer_load_dword v3, v23, s[0:3], 0 offen offset:4
	buffer_load_dword v4, v23, s[0:3], 0 offen offset:8
	;; [unrolled: 1-line block ×3, first 2 shown]
	buffer_load_dword v17, v16, s[0:3], 0 offen
	buffer_load_dword v18, v16, s[0:3], 0 offen offset:4
	buffer_load_dword v19, v16, s[0:3], 0 offen offset:8
	;; [unrolled: 1-line block ×3, first 2 shown]
	s_waitcnt vmcnt(4)
	ds_write2_b64 v0, v[2:3], v[4:5] offset1:1
	s_waitcnt vmcnt(3)
	buffer_store_dword v17, v23, s[0:3], 0 offen
	s_waitcnt vmcnt(3)
	buffer_store_dword v18, v23, s[0:3], 0 offen offset:4
	s_waitcnt vmcnt(3)
	buffer_store_dword v19, v23, s[0:3], 0 offen offset:8
	;; [unrolled: 2-line block ×3, first 2 shown]
	buffer_store_dword v5, v16, s[0:3], 0 offen offset:12
	buffer_store_dword v4, v16, s[0:3], 0 offen offset:8
	;; [unrolled: 1-line block ×3, first 2 shown]
	buffer_store_dword v2, v16, s[0:3], 0 offen
.LBB4_50:
	s_or_b64 exec, exec, s[4:5]
	v_pk_mov_b32 v[2:3], s[24:25], s[24:25] op_sel:[0,1]
	flat_load_dword v2, v[2:3]
	s_waitcnt vmcnt(0) lgkmcnt(0)
	v_add_u32_e32 v2, -1, v2
	v_cmp_ne_u32_e32 vcc, 0, v2
	s_and_saveexec_b64 s[4:5], vcc
	s_cbranch_execz .LBB4_52
; %bb.51:
	v_mov_b32_e32 v3, 0
	v_lshl_add_u32 v16, v2, 4, v3
	buffer_load_dword v2, off, s[0:3], 0
	buffer_load_dword v3, off, s[0:3], 0 offset:4
	buffer_load_dword v4, off, s[0:3], 0 offset:8
	;; [unrolled: 1-line block ×3, first 2 shown]
	buffer_load_dword v17, v16, s[0:3], 0 offen
	buffer_load_dword v18, v16, s[0:3], 0 offen offset:4
	buffer_load_dword v19, v16, s[0:3], 0 offen offset:8
	;; [unrolled: 1-line block ×3, first 2 shown]
	s_waitcnt vmcnt(4)
	ds_write2_b64 v0, v[2:3], v[4:5] offset1:1
	s_waitcnt vmcnt(3)
	buffer_store_dword v17, off, s[0:3], 0
	s_waitcnt vmcnt(3)
	buffer_store_dword v18, off, s[0:3], 0 offset:4
	s_waitcnt vmcnt(3)
	buffer_store_dword v19, off, s[0:3], 0 offset:8
	;; [unrolled: 2-line block ×3, first 2 shown]
	buffer_store_dword v5, v16, s[0:3], 0 offen offset:12
	buffer_store_dword v4, v16, s[0:3], 0 offen offset:8
	;; [unrolled: 1-line block ×3, first 2 shown]
	buffer_store_dword v2, v16, s[0:3], 0 offen
.LBB4_52:
	s_or_b64 exec, exec, s[4:5]
.LBB4_53:
	buffer_load_dword v2, v23, s[0:3], 0 offen
	buffer_load_dword v3, v23, s[0:3], 0 offen offset:4
	buffer_load_dword v4, v23, s[0:3], 0 offen offset:8
	;; [unrolled: 1-line block ×6, first 2 shown]
	buffer_load_dword v26, v24, s[0:3], 0 offen
	buffer_load_dword v27, v24, s[0:3], 0 offen offset:4
	buffer_load_dword v28, v24, s[0:3], 0 offen offset:8
	buffer_load_dword v16, v22, s[0:3], 0 offen
	buffer_load_dword v29, v24, s[0:3], 0 offen offset:12
                                        ; kill: killed $vgpr23
                                        ; kill: killed $vgpr24
                                        ; kill: killed $vgpr22
	buffer_load_dword v20, off, s[0:3], 0
	buffer_load_dword v21, off, s[0:3], 0 offset:4
	s_nop 0
	buffer_load_dword v22, off, s[0:3], 0 offset:8
	buffer_load_dword v23, off, s[0:3], 0 offset:12
	buffer_load_dword v30, v1, s[0:3], 0 offen
	buffer_load_dword v31, v1, s[0:3], 0 offen offset:4
	buffer_load_dword v32, v1, s[0:3], 0 offen offset:8
	;; [unrolled: 1-line block ×3, first 2 shown]
	s_waitcnt vmcnt(4)
	global_store_dwordx4 v[6:7], v[20:23], off
	global_store_dwordx4 v[8:9], v[2:5], off
	;; [unrolled: 1-line block ×4, first 2 shown]
	s_waitcnt vmcnt(4)
	global_store_dwordx4 v[14:15], v[30:33], off
	s_endpgm
	.section	.rodata,"a",@progbits
	.p2align	6, 0x0
	.amdhsa_kernel _ZN9rocsolver6v33100L18getri_kernel_smallILi5E19rocblas_complex_numIdEPS3_EEvT1_iilPiilS6_bb
		.amdhsa_group_segment_fixed_size 1192
		.amdhsa_private_segment_fixed_size 96
		.amdhsa_kernarg_size 60
		.amdhsa_user_sgpr_count 10
		.amdhsa_user_sgpr_private_segment_buffer 1
		.amdhsa_user_sgpr_dispatch_ptr 1
		.amdhsa_user_sgpr_queue_ptr 0
		.amdhsa_user_sgpr_kernarg_segment_ptr 1
		.amdhsa_user_sgpr_dispatch_id 0
		.amdhsa_user_sgpr_flat_scratch_init 1
		.amdhsa_user_sgpr_kernarg_preload_length 0
		.amdhsa_user_sgpr_kernarg_preload_offset 0
		.amdhsa_user_sgpr_private_segment_size 0
		.amdhsa_uses_dynamic_stack 0
		.amdhsa_system_sgpr_private_segment_wavefront_offset 1
		.amdhsa_system_sgpr_workgroup_id_x 1
		.amdhsa_system_sgpr_workgroup_id_y 0
		.amdhsa_system_sgpr_workgroup_id_z 0
		.amdhsa_system_sgpr_workgroup_info 0
		.amdhsa_system_vgpr_workitem_id 2
		.amdhsa_next_free_vgpr 60
		.amdhsa_next_free_sgpr 28
		.amdhsa_accum_offset 60
		.amdhsa_reserve_vcc 1
		.amdhsa_reserve_flat_scratch 1
		.amdhsa_float_round_mode_32 0
		.amdhsa_float_round_mode_16_64 0
		.amdhsa_float_denorm_mode_32 3
		.amdhsa_float_denorm_mode_16_64 3
		.amdhsa_dx10_clamp 1
		.amdhsa_ieee_mode 1
		.amdhsa_fp16_overflow 0
		.amdhsa_tg_split 0
		.amdhsa_exception_fp_ieee_invalid_op 0
		.amdhsa_exception_fp_denorm_src 0
		.amdhsa_exception_fp_ieee_div_zero 0
		.amdhsa_exception_fp_ieee_overflow 0
		.amdhsa_exception_fp_ieee_underflow 0
		.amdhsa_exception_fp_ieee_inexact 0
		.amdhsa_exception_int_div_zero 0
	.end_amdhsa_kernel
	.section	.text._ZN9rocsolver6v33100L18getri_kernel_smallILi5E19rocblas_complex_numIdEPS3_EEvT1_iilPiilS6_bb,"axG",@progbits,_ZN9rocsolver6v33100L18getri_kernel_smallILi5E19rocblas_complex_numIdEPS3_EEvT1_iilPiilS6_bb,comdat
.Lfunc_end4:
	.size	_ZN9rocsolver6v33100L18getri_kernel_smallILi5E19rocblas_complex_numIdEPS3_EEvT1_iilPiilS6_bb, .Lfunc_end4-_ZN9rocsolver6v33100L18getri_kernel_smallILi5E19rocblas_complex_numIdEPS3_EEvT1_iilPiilS6_bb
                                        ; -- End function
	.section	.AMDGPU.csdata,"",@progbits
; Kernel info:
; codeLenInByte = 5516
; NumSgprs: 34
; NumVgprs: 60
; NumAgprs: 0
; TotalNumVgprs: 60
; ScratchSize: 96
; MemoryBound: 0
; FloatMode: 240
; IeeeMode: 1
; LDSByteSize: 1192 bytes/workgroup (compile time only)
; SGPRBlocks: 4
; VGPRBlocks: 7
; NumSGPRsForWavesPerEU: 34
; NumVGPRsForWavesPerEU: 60
; AccumOffset: 60
; Occupancy: 8
; WaveLimiterHint : 1
; COMPUTE_PGM_RSRC2:SCRATCH_EN: 1
; COMPUTE_PGM_RSRC2:USER_SGPR: 10
; COMPUTE_PGM_RSRC2:TRAP_HANDLER: 0
; COMPUTE_PGM_RSRC2:TGID_X_EN: 1
; COMPUTE_PGM_RSRC2:TGID_Y_EN: 0
; COMPUTE_PGM_RSRC2:TGID_Z_EN: 0
; COMPUTE_PGM_RSRC2:TIDIG_COMP_CNT: 2
; COMPUTE_PGM_RSRC3_GFX90A:ACCUM_OFFSET: 14
; COMPUTE_PGM_RSRC3_GFX90A:TG_SPLIT: 0
	.section	.text._ZN9rocsolver6v33100L18getri_kernel_smallILi6E19rocblas_complex_numIdEPS3_EEvT1_iilPiilS6_bb,"axG",@progbits,_ZN9rocsolver6v33100L18getri_kernel_smallILi6E19rocblas_complex_numIdEPS3_EEvT1_iilPiilS6_bb,comdat
	.globl	_ZN9rocsolver6v33100L18getri_kernel_smallILi6E19rocblas_complex_numIdEPS3_EEvT1_iilPiilS6_bb ; -- Begin function _ZN9rocsolver6v33100L18getri_kernel_smallILi6E19rocblas_complex_numIdEPS3_EEvT1_iilPiilS6_bb
	.p2align	8
	.type	_ZN9rocsolver6v33100L18getri_kernel_smallILi6E19rocblas_complex_numIdEPS3_EEvT1_iilPiilS6_bb,@function
_ZN9rocsolver6v33100L18getri_kernel_smallILi6E19rocblas_complex_numIdEPS3_EEvT1_iilPiilS6_bb: ; @_ZN9rocsolver6v33100L18getri_kernel_smallILi6E19rocblas_complex_numIdEPS3_EEvT1_iilPiilS6_bb
; %bb.0:
	s_add_u32 flat_scratch_lo, s8, s11
	s_addc_u32 flat_scratch_hi, s9, 0
	s_add_u32 s0, s0, s11
	v_and_b32_e32 v28, 0x3ff, v0
	s_addc_u32 s1, s1, 0
	v_cmp_gt_u32_e32 vcc, 6, v28
	s_and_saveexec_b64 s[8:9], vcc
	s_cbranch_execz .LBB5_38
; %bb.1:
	s_load_dword s8, s[6:7], 0x38
	s_load_dwordx4 s[20:23], s[6:7], 0x10
	s_load_dwordx4 s[12:15], s[6:7], 0x28
                                        ; implicit-def: $sgpr24_sgpr25
	s_waitcnt lgkmcnt(0)
	s_bitcmp1_b32 s8, 8
	s_cselect_b64 s[26:27], -1, 0
	s_ashr_i32 s11, s10, 31
	s_bfe_u32 s9, s8, 0x10008
	s_cmp_eq_u32 s9, 0
	s_cbranch_scc1 .LBB5_3
; %bb.2:
	s_load_dword s16, s[6:7], 0x20
	s_mul_i32 s9, s10, s13
	s_mul_hi_u32 s13, s10, s12
	s_mul_i32 s18, s11, s12
	s_add_i32 s9, s13, s9
	s_add_i32 s13, s9, s18
	s_mul_i32 s12, s10, s12
	s_waitcnt lgkmcnt(0)
	s_ashr_i32 s17, s16, 31
	s_lshl_b64 s[12:13], s[12:13], 2
	s_add_u32 s9, s22, s12
	s_addc_u32 s18, s23, s13
	s_lshl_b64 s[12:13], s[16:17], 2
	s_add_u32 s24, s9, s12
	s_addc_u32 s25, s18, s13
.LBB5_3:
	s_load_dwordx4 s[16:19], s[6:7], 0x0
	s_mul_i32 s6, s10, s21
	s_mul_hi_u32 s7, s10, s20
	s_add_i32 s9, s7, s6
	s_mul_i32 s12, s11, s20
	s_add_i32 s13, s9, s12
	s_mul_i32 s12, s10, s20
	s_waitcnt lgkmcnt(0)
	s_ashr_i32 s7, s18, 31
	s_lshl_b64 s[12:13], s[12:13], 4
	s_mov_b32 s6, s18
	s_add_u32 s9, s16, s12
	s_addc_u32 s12, s17, s13
	s_lshl_b64 s[6:7], s[6:7], 4
	s_add_u32 s6, s9, s6
	s_addc_u32 s7, s12, s7
	v_lshlrev_b32_e32 v29, 4, v28
	v_mov_b32_e32 v1, s7
	v_add_co_u32_e32 v6, vcc, s6, v29
	s_ashr_i32 s13, s19, 31
	s_mov_b32 s12, s19
	s_add_i32 s9, s19, s19
	v_addc_co_u32_e32 v7, vcc, 0, v1, vcc
	s_lshl_b64 s[12:13], s[12:13], 4
	v_add_u32_e32 v12, s9, v28
	v_mov_b32_e32 v1, s13
	v_add_co_u32_e32 v8, vcc, s12, v6
	v_ashrrev_i32_e32 v13, 31, v12
	v_addc_co_u32_e32 v9, vcc, v7, v1, vcc
	v_lshlrev_b64 v[10:11], 4, v[12:13]
	v_add_u32_e32 v14, s19, v12
	v_mov_b32_e32 v1, s7
	v_add_co_u32_e32 v10, vcc, s6, v10
	v_ashrrev_i32_e32 v15, 31, v14
	v_addc_co_u32_e32 v11, vcc, v1, v11, vcc
	v_lshlrev_b64 v[12:13], 4, v[14:15]
	v_add_u32_e32 v16, s19, v14
	v_add_co_u32_e32 v12, vcc, s6, v12
	v_ashrrev_i32_e32 v17, 31, v16
	v_addc_co_u32_e32 v13, vcc, v1, v13, vcc
	v_lshlrev_b64 v[14:15], 4, v[16:17]
	v_add_co_u32_e32 v14, vcc, s6, v14
	global_load_dwordx4 v[2:5], v29, s[6:7]
	global_load_dwordx4 v[18:21], v[8:9], off
	global_load_dwordx4 v[30:33], v[10:11], off
	v_addc_co_u32_e32 v15, vcc, v1, v15, vcc
	global_load_dwordx4 v[34:37], v[12:13], off
	global_load_dwordx4 v[38:41], v[14:15], off
	v_add_u32_e32 v16, s19, v16
	v_ashrrev_i32_e32 v17, 31, v16
	v_lshlrev_b64 v[16:17], 4, v[16:17]
	v_add_co_u32_e32 v16, vcc, s6, v16
	v_addc_co_u32_e32 v17, vcc, v1, v17, vcc
	global_load_dwordx4 v[42:45], v[16:17], off
	v_mov_b32_e32 v22, 0
	v_add_u32_e32 v25, 16, v22
	v_add_u32_e32 v27, 32, v22
	;; [unrolled: 1-line block ×5, first 2 shown]
	s_bitcmp0_b32 s8, 0
	s_mov_b64 s[8:9], -1
	s_waitcnt vmcnt(5)
	buffer_store_dword v5, off, s[0:3], 0 offset:12
	buffer_store_dword v4, off, s[0:3], 0 offset:8
	;; [unrolled: 1-line block ×3, first 2 shown]
	buffer_store_dword v2, off, s[0:3], 0
	s_waitcnt vmcnt(8)
	buffer_store_dword v21, off, s[0:3], 0 offset:28
	buffer_store_dword v20, off, s[0:3], 0 offset:24
	buffer_store_dword v19, off, s[0:3], 0 offset:20
	buffer_store_dword v18, off, s[0:3], 0 offset:16
	s_waitcnt vmcnt(11)
	buffer_store_dword v33, off, s[0:3], 0 offset:44
	buffer_store_dword v32, off, s[0:3], 0 offset:40
	buffer_store_dword v31, off, s[0:3], 0 offset:36
	buffer_store_dword v30, off, s[0:3], 0 offset:32
	;; [unrolled: 5-line block ×5, first 2 shown]
	s_cbranch_scc1 .LBB5_36
; %bb.4:
	v_cmp_eq_u32_e64 s[6:7], 0, v28
	s_and_saveexec_b64 s[8:9], s[6:7]
	s_cbranch_execz .LBB5_6
; %bb.5:
	v_mov_b32_e32 v2, 0
	ds_write_b32 v2, v2 offset:192
.LBB5_6:
	s_or_b64 exec, exec, s[8:9]
	v_mov_b32_e32 v2, 0
	v_lshl_add_u32 v30, v28, 4, v2
	s_waitcnt lgkmcnt(0)
	; wave barrier
	s_waitcnt lgkmcnt(0)
	buffer_load_dword v2, v30, s[0:3], 0 offen
	buffer_load_dword v3, v30, s[0:3], 0 offen offset:4
	buffer_load_dword v4, v30, s[0:3], 0 offen offset:8
	;; [unrolled: 1-line block ×3, first 2 shown]
	s_waitcnt vmcnt(2)
	v_cmp_eq_f64_e32 vcc, 0, v[2:3]
	s_waitcnt vmcnt(0)
	v_cmp_eq_f64_e64 s[8:9], 0, v[4:5]
	s_and_b64 s[8:9], vcc, s[8:9]
	s_and_saveexec_b64 s[12:13], s[8:9]
	s_cbranch_execz .LBB5_10
; %bb.7:
	v_mov_b32_e32 v2, 0
	ds_read_b32 v4, v2 offset:192
	v_add_u32_e32 v3, 1, v28
	s_waitcnt lgkmcnt(0)
	v_readfirstlane_b32 s8, v4
	s_cmp_eq_u32 s8, 0
	s_cselect_b64 s[16:17], -1, 0
	v_cmp_gt_i32_e32 vcc, s8, v3
	s_or_b64 s[16:17], s[16:17], vcc
	s_and_b64 exec, exec, s[16:17]
	s_cbranch_execz .LBB5_10
; %bb.8:
	s_mov_b64 s[16:17], 0
	v_mov_b32_e32 v4, s8
.LBB5_9:                                ; =>This Inner Loop Header: Depth=1
	ds_cmpst_rtn_b32 v4, v2, v4, v3 offset:192
	s_waitcnt lgkmcnt(0)
	v_cmp_ne_u32_e32 vcc, 0, v4
	v_cmp_le_i32_e64 s[8:9], v4, v3
	s_and_b64 s[8:9], vcc, s[8:9]
	s_and_b64 s[8:9], exec, s[8:9]
	s_or_b64 s[16:17], s[8:9], s[16:17]
	s_andn2_b64 exec, exec, s[16:17]
	s_cbranch_execnz .LBB5_9
.LBB5_10:
	s_or_b64 exec, exec, s[12:13]
	v_mov_b32_e32 v3, 0
	s_waitcnt lgkmcnt(0)
	; wave barrier
	ds_read_b32 v2, v3 offset:192
	s_and_saveexec_b64 s[8:9], s[6:7]
	s_cbranch_execz .LBB5_12
; %bb.11:
	s_lshl_b64 s[12:13], s[10:11], 2
	s_add_u32 s12, s14, s12
	s_addc_u32 s13, s15, s13
	s_waitcnt lgkmcnt(0)
	global_store_dword v3, v2, s[12:13]
.LBB5_12:
	s_or_b64 exec, exec, s[8:9]
	s_waitcnt lgkmcnt(0)
	v_cmp_ne_u32_e32 vcc, 0, v2
	s_mov_b64 s[8:9], 0
	s_cbranch_vccnz .LBB5_36
; %bb.13:
	buffer_load_dword v19, v30, s[0:3], 0 offen offset:4
	buffer_load_dword v18, v30, s[0:3], 0 offen
	buffer_load_dword v21, v30, s[0:3], 0 offen offset:12
	buffer_load_dword v20, v30, s[0:3], 0 offen offset:8
                                        ; implicit-def: $vgpr22_vgpr23
	s_waitcnt vmcnt(3)
	v_xor_b32_e32 v3, 0x80000000, v19
	s_waitcnt vmcnt(2)
	v_cmp_gt_f64_e32 vcc, 0, v[18:19]
	s_waitcnt vmcnt(1)
	v_xor_b32_e32 v4, 0x80000000, v21
	v_cndmask_b32_e32 v3, v19, v3, vcc
	s_waitcnt vmcnt(0)
	v_cmp_gt_f64_e32 vcc, 0, v[20:21]
	v_mov_b32_e32 v2, v18
	v_cndmask_b32_e32 v5, v21, v4, vcc
	v_mov_b32_e32 v4, v20
	v_cmp_ngt_f64_e32 vcc, v[2:3], v[4:5]
                                        ; implicit-def: $vgpr4_vgpr5
	s_and_saveexec_b64 s[8:9], vcc
	s_xor_b64 s[8:9], exec, s[8:9]
	s_cbranch_execz .LBB5_15
; %bb.14:
	v_div_scale_f64 v[2:3], s[12:13], v[20:21], v[20:21], v[18:19]
	v_rcp_f64_e32 v[4:5], v[2:3]
	v_div_scale_f64 v[22:23], vcc, v[18:19], v[20:21], v[18:19]
	v_fma_f64 v[32:33], -v[2:3], v[4:5], 1.0
	v_fmac_f64_e32 v[4:5], v[4:5], v[32:33]
	v_fma_f64 v[32:33], -v[2:3], v[4:5], 1.0
	v_fmac_f64_e32 v[4:5], v[4:5], v[32:33]
	v_mul_f64 v[32:33], v[22:23], v[4:5]
	v_fma_f64 v[2:3], -v[2:3], v[32:33], v[22:23]
	v_div_fmas_f64 v[2:3], v[2:3], v[4:5], v[32:33]
	v_div_fixup_f64 v[2:3], v[2:3], v[20:21], v[18:19]
	v_fmac_f64_e32 v[20:21], v[18:19], v[2:3]
	v_div_scale_f64 v[4:5], s[12:13], v[20:21], v[20:21], 1.0
	v_rcp_f64_e32 v[18:19], v[4:5]
	v_fma_f64 v[22:23], -v[4:5], v[18:19], 1.0
	v_fmac_f64_e32 v[18:19], v[18:19], v[22:23]
	v_fma_f64 v[22:23], -v[4:5], v[18:19], 1.0
	v_fmac_f64_e32 v[18:19], v[18:19], v[22:23]
	v_div_scale_f64 v[22:23], vcc, 1.0, v[20:21], 1.0
	v_mul_f64 v[32:33], v[22:23], v[18:19]
	v_fma_f64 v[4:5], -v[4:5], v[32:33], v[22:23]
	s_nop 1
	v_div_fmas_f64 v[4:5], v[4:5], v[18:19], v[32:33]
	v_div_fixup_f64 v[4:5], v[4:5], v[20:21], 1.0
	v_mul_f64 v[22:23], v[2:3], v[4:5]
	v_xor_b32_e32 v5, 0x80000000, v5
	v_xor_b32_e32 v3, 0x80000000, v23
	v_mov_b32_e32 v2, v22
                                        ; implicit-def: $vgpr18_vgpr19
                                        ; implicit-def: $vgpr20_vgpr21
.LBB5_15:
	s_andn2_saveexec_b64 s[8:9], s[8:9]
	s_cbranch_execz .LBB5_17
; %bb.16:
	v_div_scale_f64 v[2:3], s[12:13], v[18:19], v[18:19], v[20:21]
	v_rcp_f64_e32 v[4:5], v[2:3]
	v_div_scale_f64 v[22:23], vcc, v[20:21], v[18:19], v[20:21]
	v_fma_f64 v[32:33], -v[2:3], v[4:5], 1.0
	v_fmac_f64_e32 v[4:5], v[4:5], v[32:33]
	v_fma_f64 v[32:33], -v[2:3], v[4:5], 1.0
	v_fmac_f64_e32 v[4:5], v[4:5], v[32:33]
	v_mul_f64 v[32:33], v[22:23], v[4:5]
	v_fma_f64 v[2:3], -v[2:3], v[32:33], v[22:23]
	v_div_fmas_f64 v[2:3], v[2:3], v[4:5], v[32:33]
	v_div_fixup_f64 v[4:5], v[2:3], v[18:19], v[20:21]
	v_fmac_f64_e32 v[18:19], v[20:21], v[4:5]
	v_div_scale_f64 v[2:3], s[12:13], v[18:19], v[18:19], 1.0
	v_rcp_f64_e32 v[20:21], v[2:3]
	v_fma_f64 v[22:23], -v[2:3], v[20:21], 1.0
	v_fmac_f64_e32 v[20:21], v[20:21], v[22:23]
	v_fma_f64 v[22:23], -v[2:3], v[20:21], 1.0
	v_fmac_f64_e32 v[20:21], v[20:21], v[22:23]
	v_div_scale_f64 v[22:23], vcc, 1.0, v[18:19], 1.0
	v_mul_f64 v[32:33], v[22:23], v[20:21]
	v_fma_f64 v[2:3], -v[2:3], v[32:33], v[22:23]
	s_nop 1
	v_div_fmas_f64 v[2:3], v[2:3], v[20:21], v[32:33]
	v_div_fixup_f64 v[22:23], v[2:3], v[18:19], 1.0
	v_xor_b32_e32 v3, 0x80000000, v23
	v_mov_b32_e32 v2, v22
	v_mul_f64 v[4:5], v[4:5], -v[22:23]
.LBB5_17:
	s_or_b64 exec, exec, s[8:9]
	buffer_store_dword v23, v30, s[0:3], 0 offen offset:4
	buffer_store_dword v22, v30, s[0:3], 0 offen
	buffer_store_dword v5, v30, s[0:3], 0 offen offset:12
	buffer_store_dword v4, v30, s[0:3], 0 offen offset:8
	buffer_load_dword v23, v25, s[0:3], 0 offen offset:12
	s_nop 0
	buffer_load_dword v22, v25, s[0:3], 0 offen offset:8
	buffer_load_dword v21, v25, s[0:3], 0 offen offset:4
	buffer_load_dword v20, v25, s[0:3], 0 offen
	v_xor_b32_e32 v5, 0x80000000, v5
	v_add_u32_e32 v18, 0x60, v29
	ds_write_b128 v29, v[2:5]
	s_waitcnt vmcnt(0)
	ds_write_b128 v29, v[20:23] offset:96
	s_waitcnt lgkmcnt(0)
	; wave barrier
	s_waitcnt lgkmcnt(0)
	s_and_saveexec_b64 s[8:9], s[6:7]
	s_cbranch_execz .LBB5_19
; %bb.18:
	buffer_load_dword v32, v30, s[0:3], 0 offen offset:8
	buffer_load_dword v33, v30, s[0:3], 0 offen offset:12
	buffer_load_dword v34, v30, s[0:3], 0 offen
	buffer_load_dword v35, v30, s[0:3], 0 offen offset:4
	ds_read_b128 v[2:5], v18
	v_mov_b32_e32 v19, 0
	ds_read_b128 v[20:23], v19 offset:16
	s_waitcnt vmcnt(2) lgkmcnt(1)
	v_mul_f64 v[36:37], v[4:5], v[32:33]
	v_mul_f64 v[32:33], v[2:3], v[32:33]
	s_waitcnt vmcnt(0)
	v_fmac_f64_e32 v[32:33], v[4:5], v[34:35]
	v_fma_f64 v[2:3], v[2:3], v[34:35], -v[36:37]
	v_add_f64 v[4:5], v[32:33], 0
	v_add_f64 v[2:3], v[2:3], 0
	s_waitcnt lgkmcnt(0)
	v_mul_f64 v[32:33], v[4:5], v[22:23]
	v_mul_f64 v[22:23], v[2:3], v[22:23]
	v_fma_f64 v[2:3], v[2:3], v[20:21], -v[32:33]
	v_fmac_f64_e32 v[22:23], v[4:5], v[20:21]
	buffer_store_dword v2, off, s[0:3], 0 offset:16
	buffer_store_dword v3, off, s[0:3], 0 offset:20
	;; [unrolled: 1-line block ×4, first 2 shown]
.LBB5_19:
	s_or_b64 exec, exec, s[8:9]
	s_waitcnt lgkmcnt(0)
	; wave barrier
	buffer_load_dword v2, v27, s[0:3], 0 offen
	buffer_load_dword v3, v27, s[0:3], 0 offen offset:4
	buffer_load_dword v4, v27, s[0:3], 0 offen offset:8
	;; [unrolled: 1-line block ×3, first 2 shown]
	v_cmp_gt_u32_e32 vcc, 2, v28
	s_waitcnt vmcnt(0)
	ds_write_b128 v18, v[2:5]
	s_waitcnt lgkmcnt(0)
	; wave barrier
	s_waitcnt lgkmcnt(0)
	s_and_saveexec_b64 s[8:9], vcc
	s_cbranch_execz .LBB5_23
; %bb.20:
	buffer_load_dword v20, v30, s[0:3], 0 offen offset:8
	buffer_load_dword v21, v30, s[0:3], 0 offen offset:12
	buffer_load_dword v22, v30, s[0:3], 0 offen
	buffer_load_dword v23, v30, s[0:3], 0 offen offset:4
	ds_read_b128 v[2:5], v18
	s_waitcnt vmcnt(2) lgkmcnt(0)
	v_mul_f64 v[30:31], v[4:5], v[20:21]
	v_mul_f64 v[20:21], v[2:3], v[20:21]
	s_waitcnt vmcnt(0)
	v_fma_f64 v[2:3], v[2:3], v[22:23], -v[30:31]
	v_fmac_f64_e32 v[20:21], v[4:5], v[22:23]
	v_add_f64 v[4:5], v[2:3], 0
	v_add_f64 v[2:3], v[20:21], 0
	s_and_saveexec_b64 s[12:13], s[6:7]
	s_cbranch_execz .LBB5_22
; %bb.21:
	buffer_load_dword v30, off, s[0:3], 0 offset:24
	buffer_load_dword v31, off, s[0:3], 0 offset:28
	buffer_load_dword v32, off, s[0:3], 0 offset:16
	buffer_load_dword v33, off, s[0:3], 0 offset:20
	v_mov_b32_e32 v19, 0
	ds_read_b128 v[20:23], v19 offset:112
	s_waitcnt vmcnt(2) lgkmcnt(0)
	v_mul_f64 v[34:35], v[20:21], v[30:31]
	v_mul_f64 v[30:31], v[22:23], v[30:31]
	s_waitcnt vmcnt(0)
	v_fmac_f64_e32 v[34:35], v[22:23], v[32:33]
	v_fma_f64 v[20:21], v[20:21], v[32:33], -v[30:31]
	v_add_f64 v[2:3], v[2:3], v[34:35]
	v_add_f64 v[4:5], v[4:5], v[20:21]
.LBB5_22:
	s_or_b64 exec, exec, s[12:13]
	v_mov_b32_e32 v19, 0
	ds_read_b128 v[20:23], v19 offset:32
	s_waitcnt lgkmcnt(0)
	v_mul_f64 v[30:31], v[2:3], v[22:23]
	v_mul_f64 v[22:23], v[4:5], v[22:23]
	v_fma_f64 v[4:5], v[4:5], v[20:21], -v[30:31]
	v_fmac_f64_e32 v[22:23], v[2:3], v[20:21]
	buffer_store_dword v5, off, s[0:3], 0 offset:36
	buffer_store_dword v4, off, s[0:3], 0 offset:32
	;; [unrolled: 1-line block ×4, first 2 shown]
.LBB5_23:
	s_or_b64 exec, exec, s[8:9]
	s_waitcnt lgkmcnt(0)
	; wave barrier
	buffer_load_dword v2, v26, s[0:3], 0 offen
	buffer_load_dword v3, v26, s[0:3], 0 offen offset:4
	buffer_load_dword v4, v26, s[0:3], 0 offen offset:8
	buffer_load_dword v5, v26, s[0:3], 0 offen offset:12
	v_cmp_gt_u32_e32 vcc, 3, v28
	v_add_u32_e32 v19, -1, v28
	s_waitcnt vmcnt(0)
	ds_write_b128 v18, v[2:5]
	s_waitcnt lgkmcnt(0)
	; wave barrier
	s_waitcnt lgkmcnt(0)
	s_and_saveexec_b64 s[6:7], vcc
	s_cbranch_execz .LBB5_27
; %bb.24:
	v_pk_mov_b32 v[2:3], 0, 0
	v_add_u32_e32 v20, -1, v28
	v_add_u32_e32 v21, 0x60, v29
	v_add_u32_e32 v22, 0, v29
	s_mov_b64 s[8:9], 0
	v_pk_mov_b32 v[4:5], v[2:3], v[2:3] op_sel:[0,1]
.LBB5_25:                               ; =>This Inner Loop Header: Depth=1
	buffer_load_dword v34, v22, s[0:3], 0 offen offset:8
	buffer_load_dword v35, v22, s[0:3], 0 offen offset:12
	buffer_load_dword v36, v22, s[0:3], 0 offen
	buffer_load_dword v37, v22, s[0:3], 0 offen offset:4
	ds_read_b128 v[30:33], v21
	v_add_u32_e32 v20, 1, v20
	v_cmp_lt_u32_e32 vcc, 1, v20
	v_add_u32_e32 v21, 16, v21
	v_add_u32_e32 v22, 16, v22
	s_or_b64 s[8:9], vcc, s[8:9]
	s_waitcnt vmcnt(2) lgkmcnt(0)
	v_mul_f64 v[38:39], v[32:33], v[34:35]
	v_mul_f64 v[34:35], v[30:31], v[34:35]
	s_waitcnt vmcnt(0)
	v_fma_f64 v[30:31], v[30:31], v[36:37], -v[38:39]
	v_fmac_f64_e32 v[34:35], v[32:33], v[36:37]
	v_add_f64 v[4:5], v[4:5], v[30:31]
	v_add_f64 v[2:3], v[2:3], v[34:35]
	s_andn2_b64 exec, exec, s[8:9]
	s_cbranch_execnz .LBB5_25
; %bb.26:
	s_or_b64 exec, exec, s[8:9]
	v_mov_b32_e32 v20, 0
	ds_read_b128 v[20:23], v20 offset:48
	s_waitcnt lgkmcnt(0)
	v_mul_f64 v[30:31], v[2:3], v[22:23]
	v_mul_f64 v[22:23], v[4:5], v[22:23]
	v_fma_f64 v[4:5], v[4:5], v[20:21], -v[30:31]
	v_fmac_f64_e32 v[22:23], v[2:3], v[20:21]
	buffer_store_dword v5, off, s[0:3], 0 offset:52
	buffer_store_dword v4, off, s[0:3], 0 offset:48
	;; [unrolled: 1-line block ×4, first 2 shown]
.LBB5_27:
	s_or_b64 exec, exec, s[6:7]
	s_waitcnt lgkmcnt(0)
	; wave barrier
	buffer_load_dword v2, v1, s[0:3], 0 offen
	buffer_load_dword v3, v1, s[0:3], 0 offen offset:4
	buffer_load_dword v4, v1, s[0:3], 0 offen offset:8
	;; [unrolled: 1-line block ×3, first 2 shown]
	v_cmp_gt_u32_e32 vcc, 4, v28
	s_waitcnt vmcnt(0)
	ds_write_b128 v18, v[2:5]
	s_waitcnt lgkmcnt(0)
	; wave barrier
	s_waitcnt lgkmcnt(0)
	s_and_saveexec_b64 s[6:7], vcc
	s_cbranch_execz .LBB5_31
; %bb.28:
	v_pk_mov_b32 v[2:3], 0, 0
	v_add_u32_e32 v20, -1, v28
	v_add_u32_e32 v21, 0x60, v29
	v_add_u32_e32 v22, 0, v29
	s_mov_b64 s[8:9], 0
	v_pk_mov_b32 v[4:5], v[2:3], v[2:3] op_sel:[0,1]
.LBB5_29:                               ; =>This Inner Loop Header: Depth=1
	buffer_load_dword v34, v22, s[0:3], 0 offen offset:8
	buffer_load_dword v35, v22, s[0:3], 0 offen offset:12
	buffer_load_dword v36, v22, s[0:3], 0 offen
	buffer_load_dword v37, v22, s[0:3], 0 offen offset:4
	ds_read_b128 v[30:33], v21
	v_add_u32_e32 v20, 1, v20
	v_cmp_lt_u32_e32 vcc, 2, v20
	v_add_u32_e32 v21, 16, v21
	v_add_u32_e32 v22, 16, v22
	s_or_b64 s[8:9], vcc, s[8:9]
	s_waitcnt vmcnt(2) lgkmcnt(0)
	v_mul_f64 v[38:39], v[32:33], v[34:35]
	v_mul_f64 v[34:35], v[30:31], v[34:35]
	s_waitcnt vmcnt(0)
	v_fma_f64 v[30:31], v[30:31], v[36:37], -v[38:39]
	v_fmac_f64_e32 v[34:35], v[32:33], v[36:37]
	v_add_f64 v[4:5], v[4:5], v[30:31]
	v_add_f64 v[2:3], v[2:3], v[34:35]
	s_andn2_b64 exec, exec, s[8:9]
	s_cbranch_execnz .LBB5_29
; %bb.30:
	s_or_b64 exec, exec, s[8:9]
	v_mov_b32_e32 v20, 0
	ds_read_b128 v[20:23], v20 offset:64
	s_waitcnt lgkmcnt(0)
	v_mul_f64 v[30:31], v[2:3], v[22:23]
	v_mul_f64 v[22:23], v[4:5], v[22:23]
	v_fma_f64 v[4:5], v[4:5], v[20:21], -v[30:31]
	v_fmac_f64_e32 v[22:23], v[2:3], v[20:21]
	buffer_store_dword v5, off, s[0:3], 0 offset:68
	buffer_store_dword v4, off, s[0:3], 0 offset:64
	;; [unrolled: 1-line block ×4, first 2 shown]
.LBB5_31:
	s_or_b64 exec, exec, s[6:7]
	s_waitcnt lgkmcnt(0)
	; wave barrier
	buffer_load_dword v2, v24, s[0:3], 0 offen
	buffer_load_dword v3, v24, s[0:3], 0 offen offset:4
	buffer_load_dword v4, v24, s[0:3], 0 offen offset:8
	;; [unrolled: 1-line block ×3, first 2 shown]
	v_cmp_ne_u32_e32 vcc, 5, v28
	s_waitcnt vmcnt(0)
	ds_write_b128 v18, v[2:5]
	s_waitcnt lgkmcnt(0)
	; wave barrier
	s_waitcnt lgkmcnt(0)
	s_and_saveexec_b64 s[6:7], vcc
	s_cbranch_execz .LBB5_35
; %bb.32:
	v_pk_mov_b32 v[2:3], 0, 0
	v_add_u32_e32 v18, 0x60, v29
	v_add_u32_e32 v20, 0, v29
	s_mov_b64 s[8:9], 0
	v_pk_mov_b32 v[4:5], v[2:3], v[2:3] op_sel:[0,1]
.LBB5_33:                               ; =>This Inner Loop Header: Depth=1
	buffer_load_dword v22, v20, s[0:3], 0 offen offset:8
	buffer_load_dword v23, v20, s[0:3], 0 offen offset:12
	buffer_load_dword v34, v20, s[0:3], 0 offen
	buffer_load_dword v35, v20, s[0:3], 0 offen offset:4
	ds_read_b128 v[30:33], v18
	v_add_u32_e32 v19, 1, v19
	v_cmp_lt_u32_e32 vcc, 3, v19
	v_add_u32_e32 v18, 16, v18
	v_add_u32_e32 v20, 16, v20
	s_or_b64 s[8:9], vcc, s[8:9]
	s_waitcnt vmcnt(2) lgkmcnt(0)
	v_mul_f64 v[36:37], v[32:33], v[22:23]
	v_mul_f64 v[22:23], v[30:31], v[22:23]
	s_waitcnt vmcnt(0)
	v_fma_f64 v[30:31], v[30:31], v[34:35], -v[36:37]
	v_fmac_f64_e32 v[22:23], v[32:33], v[34:35]
	v_add_f64 v[4:5], v[4:5], v[30:31]
	v_add_f64 v[2:3], v[2:3], v[22:23]
	s_andn2_b64 exec, exec, s[8:9]
	s_cbranch_execnz .LBB5_33
; %bb.34:
	s_or_b64 exec, exec, s[8:9]
	v_mov_b32_e32 v18, 0
	ds_read_b128 v[18:21], v18 offset:80
	s_waitcnt lgkmcnt(0)
	v_mul_f64 v[22:23], v[2:3], v[20:21]
	v_mul_f64 v[20:21], v[4:5], v[20:21]
	v_fma_f64 v[4:5], v[4:5], v[18:19], -v[22:23]
	v_fmac_f64_e32 v[20:21], v[2:3], v[18:19]
	buffer_store_dword v5, off, s[0:3], 0 offset:84
	buffer_store_dword v4, off, s[0:3], 0 offset:80
	;; [unrolled: 1-line block ×4, first 2 shown]
.LBB5_35:
	s_or_b64 exec, exec, s[6:7]
	s_mov_b64 s[8:9], -1
	s_waitcnt lgkmcnt(0)
	; wave barrier
.LBB5_36:
	s_and_b64 vcc, exec, s[8:9]
	s_cbranch_vccz .LBB5_38
; %bb.37:
	s_lshl_b64 s[6:7], s[10:11], 2
	s_add_u32 s6, s14, s6
	s_addc_u32 s7, s15, s7
	v_mov_b32_e32 v2, 0
	global_load_dword v2, v2, s[6:7]
	s_waitcnt vmcnt(0)
	v_cmp_ne_u32_e32 vcc, 0, v2
	s_cbranch_vccz .LBB5_39
.LBB5_38:
	s_endpgm
.LBB5_39:
	v_mov_b32_e32 v2, 0x60
	v_lshl_add_u32 v2, v28, 4, v2
	v_cmp_eq_u32_e32 vcc, 5, v28
	s_and_saveexec_b64 s[6:7], vcc
	s_cbranch_execz .LBB5_41
; %bb.40:
	buffer_load_dword v18, v1, s[0:3], 0 offen
	buffer_load_dword v19, v1, s[0:3], 0 offen offset:4
	buffer_load_dword v20, v1, s[0:3], 0 offen offset:8
	;; [unrolled: 1-line block ×3, first 2 shown]
	v_mov_b32_e32 v3, 0
	buffer_store_dword v3, off, s[0:3], 0 offset:64
	buffer_store_dword v3, off, s[0:3], 0 offset:68
	buffer_store_dword v3, off, s[0:3], 0 offset:72
	buffer_store_dword v3, off, s[0:3], 0 offset:76
	s_waitcnt vmcnt(4)
	ds_write_b128 v2, v[18:21]
.LBB5_41:
	s_or_b64 exec, exec, s[6:7]
	s_waitcnt lgkmcnt(0)
	; wave barrier
	s_waitcnt lgkmcnt(0)
	buffer_load_dword v4, off, s[0:3], 0 offset:88
	buffer_load_dword v5, off, s[0:3], 0 offset:92
	;; [unrolled: 1-line block ×8, first 2 shown]
	v_mov_b32_e32 v3, 0
	ds_read_b128 v[18:21], v3 offset:176
	v_cmp_lt_u32_e32 vcc, 3, v28
	s_waitcnt vmcnt(6) lgkmcnt(0)
	v_mul_f64 v[34:35], v[18:19], v[4:5]
	v_mul_f64 v[4:5], v[20:21], v[4:5]
	s_waitcnt vmcnt(4)
	v_fma_f64 v[4:5], v[18:19], v[22:23], -v[4:5]
	v_fmac_f64_e32 v[34:35], v[20:21], v[22:23]
	v_add_f64 v[4:5], v[4:5], 0
	v_add_f64 v[18:19], v[34:35], 0
	s_waitcnt vmcnt(2)
	v_add_f64 v[4:5], v[30:31], -v[4:5]
	s_waitcnt vmcnt(0)
	v_add_f64 v[18:19], v[32:33], -v[18:19]
	buffer_store_dword v4, off, s[0:3], 0 offset:64
	buffer_store_dword v5, off, s[0:3], 0 offset:68
	;; [unrolled: 1-line block ×4, first 2 shown]
	s_and_saveexec_b64 s[6:7], vcc
	s_cbranch_execz .LBB5_43
; %bb.42:
	buffer_load_dword v18, v26, s[0:3], 0 offen
	buffer_load_dword v19, v26, s[0:3], 0 offen offset:4
	buffer_load_dword v20, v26, s[0:3], 0 offen offset:8
	;; [unrolled: 1-line block ×3, first 2 shown]
	s_nop 0
	buffer_store_dword v3, off, s[0:3], 0 offset:48
	buffer_store_dword v3, off, s[0:3], 0 offset:52
	;; [unrolled: 1-line block ×4, first 2 shown]
	s_waitcnt vmcnt(4)
	ds_write_b128 v2, v[18:21]
.LBB5_43:
	s_or_b64 exec, exec, s[6:7]
	s_waitcnt lgkmcnt(0)
	; wave barrier
	s_waitcnt lgkmcnt(0)
	buffer_load_dword v4, off, s[0:3], 0 offset:72
	buffer_load_dword v5, off, s[0:3], 0 offset:76
	buffer_load_dword v22, off, s[0:3], 0 offset:88
	buffer_load_dword v23, off, s[0:3], 0 offset:92
	buffer_load_dword v34, off, s[0:3], 0 offset:64
	buffer_load_dword v35, off, s[0:3], 0 offset:68
	buffer_load_dword v36, off, s[0:3], 0 offset:80
	buffer_load_dword v37, off, s[0:3], 0 offset:84
	buffer_load_dword v38, off, s[0:3], 0 offset:48
	buffer_load_dword v39, off, s[0:3], 0 offset:52
	buffer_load_dword v40, off, s[0:3], 0 offset:56
	buffer_load_dword v41, off, s[0:3], 0 offset:60
	ds_read_b128 v[18:21], v3 offset:160
	ds_read_b128 v[30:33], v3 offset:176
	v_cmp_lt_u32_e32 vcc, 2, v28
	s_waitcnt vmcnt(10) lgkmcnt(1)
	v_mul_f64 v[42:43], v[18:19], v[4:5]
	v_mul_f64 v[4:5], v[20:21], v[4:5]
	s_waitcnt vmcnt(8) lgkmcnt(0)
	v_mul_f64 v[44:45], v[30:31], v[22:23]
	v_mul_f64 v[22:23], v[32:33], v[22:23]
	s_waitcnt vmcnt(6)
	v_fma_f64 v[4:5], v[18:19], v[34:35], -v[4:5]
	v_fmac_f64_e32 v[42:43], v[20:21], v[34:35]
	s_waitcnt vmcnt(4)
	v_fma_f64 v[18:19], v[30:31], v[36:37], -v[22:23]
	v_add_f64 v[4:5], v[4:5], 0
	v_fmac_f64_e32 v[44:45], v[32:33], v[36:37]
	v_add_f64 v[20:21], v[42:43], 0
	v_add_f64 v[4:5], v[4:5], v[18:19]
	;; [unrolled: 1-line block ×3, first 2 shown]
	s_waitcnt vmcnt(2)
	v_add_f64 v[4:5], v[38:39], -v[4:5]
	s_waitcnt vmcnt(0)
	v_add_f64 v[18:19], v[40:41], -v[20:21]
	buffer_store_dword v4, off, s[0:3], 0 offset:48
	buffer_store_dword v5, off, s[0:3], 0 offset:52
	;; [unrolled: 1-line block ×4, first 2 shown]
	s_and_saveexec_b64 s[6:7], vcc
	s_cbranch_execz .LBB5_45
; %bb.44:
	buffer_load_dword v18, v27, s[0:3], 0 offen
	buffer_load_dword v19, v27, s[0:3], 0 offen offset:4
	buffer_load_dword v20, v27, s[0:3], 0 offen offset:8
	;; [unrolled: 1-line block ×3, first 2 shown]
	v_mov_b32_e32 v3, 0
	buffer_store_dword v3, off, s[0:3], 0 offset:32
	buffer_store_dword v3, off, s[0:3], 0 offset:36
	;; [unrolled: 1-line block ×4, first 2 shown]
	s_waitcnt vmcnt(4)
	ds_write_b128 v2, v[18:21]
.LBB5_45:
	s_or_b64 exec, exec, s[6:7]
	s_waitcnt lgkmcnt(0)
	; wave barrier
	s_waitcnt lgkmcnt(0)
	buffer_load_dword v4, off, s[0:3], 0 offset:56
	buffer_load_dword v5, off, s[0:3], 0 offset:60
	;; [unrolled: 1-line block ×16, first 2 shown]
	v_mov_b32_e32 v3, 0
	ds_read_b128 v[18:21], v3 offset:144
	ds_read_b128 v[30:33], v3 offset:160
	;; [unrolled: 1-line block ×3, first 2 shown]
	v_cmp_lt_u32_e32 vcc, 1, v28
	s_waitcnt vmcnt(14) lgkmcnt(2)
	v_mul_f64 v[50:51], v[18:19], v[4:5]
	v_mul_f64 v[4:5], v[20:21], v[4:5]
	s_waitcnt vmcnt(12) lgkmcnt(1)
	v_mul_f64 v[52:53], v[30:31], v[22:23]
	v_mul_f64 v[22:23], v[32:33], v[22:23]
	;; [unrolled: 3-line block ×3, first 2 shown]
	s_waitcnt vmcnt(8)
	v_fma_f64 v[4:5], v[18:19], v[40:41], -v[4:5]
	v_fmac_f64_e32 v[50:51], v[20:21], v[40:41]
	s_waitcnt vmcnt(6)
	v_fma_f64 v[18:19], v[30:31], v[42:43], -v[22:23]
	v_add_f64 v[4:5], v[4:5], 0
	v_fmac_f64_e32 v[52:53], v[32:33], v[42:43]
	s_waitcnt vmcnt(4)
	v_fma_f64 v[20:21], v[34:35], v[44:45], -v[38:39]
	v_add_f64 v[22:23], v[50:51], 0
	v_add_f64 v[4:5], v[4:5], v[18:19]
	v_fmac_f64_e32 v[54:55], v[36:37], v[44:45]
	v_add_f64 v[22:23], v[22:23], v[52:53]
	v_add_f64 v[4:5], v[4:5], v[20:21]
	;; [unrolled: 1-line block ×3, first 2 shown]
	s_waitcnt vmcnt(2)
	v_add_f64 v[4:5], v[46:47], -v[4:5]
	s_waitcnt vmcnt(0)
	v_add_f64 v[18:19], v[48:49], -v[18:19]
	buffer_store_dword v4, off, s[0:3], 0 offset:32
	buffer_store_dword v5, off, s[0:3], 0 offset:36
	;; [unrolled: 1-line block ×4, first 2 shown]
	s_and_saveexec_b64 s[6:7], vcc
	s_cbranch_execz .LBB5_47
; %bb.46:
	buffer_load_dword v18, v25, s[0:3], 0 offen
	buffer_load_dword v19, v25, s[0:3], 0 offen offset:4
	buffer_load_dword v20, v25, s[0:3], 0 offen offset:8
	;; [unrolled: 1-line block ×3, first 2 shown]
	s_nop 0
	buffer_store_dword v3, off, s[0:3], 0 offset:16
	buffer_store_dword v3, off, s[0:3], 0 offset:20
	;; [unrolled: 1-line block ×4, first 2 shown]
	s_waitcnt vmcnt(4)
	ds_write_b128 v2, v[18:21]
.LBB5_47:
	s_or_b64 exec, exec, s[6:7]
	s_waitcnt lgkmcnt(0)
	; wave barrier
	s_waitcnt lgkmcnt(0)
	buffer_load_dword v4, off, s[0:3], 0 offset:40
	buffer_load_dword v5, off, s[0:3], 0 offset:44
	;; [unrolled: 1-line block ×20, first 2 shown]
	ds_read_b128 v[18:21], v3 offset:128
	ds_read_b128 v[30:33], v3 offset:144
	;; [unrolled: 1-line block ×4, first 2 shown]
	v_cmp_ne_u32_e32 vcc, 0, v28
	s_waitcnt vmcnt(18) lgkmcnt(3)
	v_mul_f64 v[58:59], v[18:19], v[4:5]
	v_mul_f64 v[4:5], v[20:21], v[4:5]
	s_waitcnt vmcnt(16) lgkmcnt(2)
	v_mul_f64 v[60:61], v[30:31], v[22:23]
	v_mul_f64 v[22:23], v[32:33], v[22:23]
	;; [unrolled: 3-line block ×4, first 2 shown]
	s_waitcnt vmcnt(10)
	v_fma_f64 v[4:5], v[18:19], v[46:47], -v[4:5]
	v_fmac_f64_e32 v[58:59], v[20:21], v[46:47]
	s_waitcnt vmcnt(8)
	v_fma_f64 v[18:19], v[30:31], v[48:49], -v[22:23]
	v_add_f64 v[4:5], v[4:5], 0
	v_fmac_f64_e32 v[60:61], v[32:33], v[48:49]
	s_waitcnt vmcnt(6)
	v_fma_f64 v[20:21], v[34:35], v[50:51], -v[42:43]
	v_add_f64 v[30:31], v[58:59], 0
	v_add_f64 v[4:5], v[4:5], v[18:19]
	v_fmac_f64_e32 v[62:63], v[36:37], v[50:51]
	s_waitcnt vmcnt(4)
	v_fma_f64 v[22:23], v[38:39], v[52:53], -v[44:45]
	v_add_f64 v[30:31], v[30:31], v[60:61]
	v_add_f64 v[4:5], v[4:5], v[20:21]
	v_fmac_f64_e32 v[64:65], v[40:41], v[52:53]
	v_add_f64 v[18:19], v[30:31], v[62:63]
	v_add_f64 v[4:5], v[4:5], v[22:23]
	v_add_f64 v[18:19], v[18:19], v[64:65]
	s_waitcnt vmcnt(2)
	v_add_f64 v[4:5], v[54:55], -v[4:5]
	s_waitcnt vmcnt(0)
	v_add_f64 v[18:19], v[56:57], -v[18:19]
	buffer_store_dword v4, off, s[0:3], 0 offset:16
	buffer_store_dword v5, off, s[0:3], 0 offset:20
	;; [unrolled: 1-line block ×4, first 2 shown]
	s_and_saveexec_b64 s[6:7], vcc
	s_cbranch_execz .LBB5_49
; %bb.48:
	buffer_load_dword v18, off, s[0:3], 0
	buffer_load_dword v19, off, s[0:3], 0 offset:4
	buffer_load_dword v20, off, s[0:3], 0 offset:8
	;; [unrolled: 1-line block ×3, first 2 shown]
	v_mov_b32_e32 v3, 0
	buffer_store_dword v3, off, s[0:3], 0
	buffer_store_dword v3, off, s[0:3], 0 offset:4
	buffer_store_dword v3, off, s[0:3], 0 offset:8
	;; [unrolled: 1-line block ×3, first 2 shown]
	s_waitcnt vmcnt(4)
	ds_write_b128 v2, v[18:21]
.LBB5_49:
	s_or_b64 exec, exec, s[6:7]
	s_waitcnt lgkmcnt(0)
	; wave barrier
	s_waitcnt lgkmcnt(0)
	buffer_load_dword v22, off, s[0:3], 0 offset:24
	buffer_load_dword v23, off, s[0:3], 0 offset:28
	;; [unrolled: 1-line block ×20, first 2 shown]
	buffer_load_dword v60, off, s[0:3], 0
	buffer_load_dword v61, off, s[0:3], 0 offset:4
	buffer_load_dword v62, off, s[0:3], 0 offset:8
	;; [unrolled: 1-line block ×3, first 2 shown]
	v_mov_b32_e32 v29, 0
	ds_read_b128 v[2:5], v29 offset:112
	ds_read_b128 v[18:21], v29 offset:128
	;; [unrolled: 1-line block ×5, first 2 shown]
	s_and_b64 vcc, exec, s[26:27]
	s_waitcnt vmcnt(22) lgkmcnt(4)
	v_mul_f64 v[64:65], v[2:3], v[22:23]
	v_mul_f64 v[22:23], v[4:5], v[22:23]
	s_waitcnt vmcnt(20) lgkmcnt(3)
	v_mul_f64 v[66:67], v[18:19], v[42:43]
	v_mul_f64 v[42:43], v[20:21], v[42:43]
	;; [unrolled: 3-line block ×4, first 2 shown]
	s_waitcnt vmcnt(13) lgkmcnt(0)
	v_mul_f64 v[72:73], v[38:39], v[46:47]
	s_waitcnt vmcnt(11)
	v_fma_f64 v[2:3], v[2:3], v[52:53], -v[22:23]
	v_fmac_f64_e32 v[64:65], v[4:5], v[52:53]
	s_waitcnt vmcnt(9)
	v_fma_f64 v[4:5], v[18:19], v[54:55], -v[42:43]
	v_add_f64 v[2:3], v[2:3], 0
	v_fmac_f64_e32 v[66:67], v[20:21], v[54:55]
	s_waitcnt vmcnt(7)
	v_fma_f64 v[18:19], v[30:31], v[56:57], -v[44:45]
	v_add_f64 v[30:31], v[64:65], 0
	v_add_f64 v[2:3], v[2:3], v[4:5]
	v_mul_f64 v[46:47], v[40:41], v[46:47]
	v_fmac_f64_e32 v[68:69], v[32:33], v[56:57]
	s_waitcnt vmcnt(5)
	v_fma_f64 v[20:21], v[34:35], v[58:59], -v[50:51]
	v_add_f64 v[30:31], v[30:31], v[66:67]
	v_add_f64 v[2:3], v[2:3], v[18:19]
	v_fmac_f64_e32 v[70:71], v[36:37], v[58:59]
	s_waitcnt vmcnt(4)
	v_fma_f64 v[22:23], v[38:39], v[48:49], -v[46:47]
	v_add_f64 v[4:5], v[30:31], v[68:69]
	v_add_f64 v[2:3], v[2:3], v[20:21]
	v_fmac_f64_e32 v[72:73], v[40:41], v[48:49]
	v_add_f64 v[4:5], v[4:5], v[70:71]
	v_add_f64 v[2:3], v[2:3], v[22:23]
	;; [unrolled: 1-line block ×3, first 2 shown]
	s_waitcnt vmcnt(2)
	v_add_f64 v[2:3], v[60:61], -v[2:3]
	s_waitcnt vmcnt(0)
	v_add_f64 v[4:5], v[62:63], -v[4:5]
	buffer_store_dword v3, off, s[0:3], 0 offset:4
	buffer_store_dword v2, off, s[0:3], 0
	buffer_store_dword v5, off, s[0:3], 0 offset:12
	buffer_store_dword v4, off, s[0:3], 0 offset:8
	s_cbranch_vccz .LBB5_61
; %bb.50:
	v_pk_mov_b32 v[2:3], s[24:25], s[24:25] op_sel:[0,1]
	flat_load_dword v2, v[2:3] offset:16
	s_load_dwordx2 s[4:5], s[4:5], 0x4
	v_bfe_u32 v4, v0, 10, 10
	v_bfe_u32 v0, v0, 20, 10
	s_waitcnt lgkmcnt(0)
	s_lshr_b32 s4, s4, 16
	s_mul_i32 s4, s4, s5
	v_mul_u32_u24_e32 v3, s4, v28
	v_mul_u32_u24_e32 v4, s5, v4
	v_add3_u32 v0, v3, v4, v0
	v_mov_b32_e32 v3, 0xc8
	v_lshl_add_u32 v0, v0, 4, v3
	s_waitcnt vmcnt(0)
	v_add_u32_e32 v2, -1, v2
	v_cmp_ne_u32_e32 vcc, 4, v2
	s_and_saveexec_b64 s[4:5], vcc
	s_cbranch_execz .LBB5_52
; %bb.51:
	v_mov_b32_e32 v3, 0
	v_lshl_add_u32 v18, v2, 4, v3
	buffer_load_dword v2, v1, s[0:3], 0 offen
	buffer_load_dword v3, v1, s[0:3], 0 offen offset:4
	buffer_load_dword v4, v1, s[0:3], 0 offen offset:8
	buffer_load_dword v5, v1, s[0:3], 0 offen offset:12
	buffer_load_dword v19, v18, s[0:3], 0 offen
	buffer_load_dword v20, v18, s[0:3], 0 offen offset:4
	buffer_load_dword v21, v18, s[0:3], 0 offen offset:8
	buffer_load_dword v22, v18, s[0:3], 0 offen offset:12
	s_waitcnt vmcnt(4)
	ds_write2_b64 v0, v[2:3], v[4:5] offset1:1
	s_waitcnt vmcnt(3)
	buffer_store_dword v19, v1, s[0:3], 0 offen
	s_waitcnt vmcnt(3)
	buffer_store_dword v20, v1, s[0:3], 0 offen offset:4
	s_waitcnt vmcnt(3)
	buffer_store_dword v21, v1, s[0:3], 0 offen offset:8
	s_waitcnt vmcnt(3)
	buffer_store_dword v22, v1, s[0:3], 0 offen offset:12
	buffer_store_dword v5, v18, s[0:3], 0 offen offset:12
	buffer_store_dword v4, v18, s[0:3], 0 offen offset:8
	buffer_store_dword v3, v18, s[0:3], 0 offen offset:4
	buffer_store_dword v2, v18, s[0:3], 0 offen
.LBB5_52:
	s_or_b64 exec, exec, s[4:5]
	v_pk_mov_b32 v[2:3], s[24:25], s[24:25] op_sel:[0,1]
	flat_load_dword v2, v[2:3] offset:12
	s_waitcnt vmcnt(0) lgkmcnt(0)
	v_add_u32_e32 v2, -1, v2
	v_cmp_ne_u32_e32 vcc, 3, v2
	s_and_saveexec_b64 s[4:5], vcc
	s_cbranch_execz .LBB5_54
; %bb.53:
	v_mov_b32_e32 v3, 0
	v_lshl_add_u32 v18, v2, 4, v3
	buffer_load_dword v2, v26, s[0:3], 0 offen
	buffer_load_dword v3, v26, s[0:3], 0 offen offset:4
	buffer_load_dword v4, v26, s[0:3], 0 offen offset:8
	buffer_load_dword v5, v26, s[0:3], 0 offen offset:12
	buffer_load_dword v19, v18, s[0:3], 0 offen
	buffer_load_dword v20, v18, s[0:3], 0 offen offset:4
	buffer_load_dword v21, v18, s[0:3], 0 offen offset:8
	buffer_load_dword v22, v18, s[0:3], 0 offen offset:12
	s_waitcnt vmcnt(4)
	ds_write2_b64 v0, v[2:3], v[4:5] offset1:1
	s_waitcnt vmcnt(3)
	buffer_store_dword v19, v26, s[0:3], 0 offen
	s_waitcnt vmcnt(3)
	buffer_store_dword v20, v26, s[0:3], 0 offen offset:4
	s_waitcnt vmcnt(3)
	buffer_store_dword v21, v26, s[0:3], 0 offen offset:8
	s_waitcnt vmcnt(3)
	buffer_store_dword v22, v26, s[0:3], 0 offen offset:12
	buffer_store_dword v5, v18, s[0:3], 0 offen offset:12
	buffer_store_dword v4, v18, s[0:3], 0 offen offset:8
	buffer_store_dword v3, v18, s[0:3], 0 offen offset:4
	buffer_store_dword v2, v18, s[0:3], 0 offen
.LBB5_54:
	s_or_b64 exec, exec, s[4:5]
	v_pk_mov_b32 v[2:3], s[24:25], s[24:25] op_sel:[0,1]
	flat_load_dword v2, v[2:3] offset:8
	s_waitcnt vmcnt(0) lgkmcnt(0)
	;; [unrolled: 34-line block ×3, first 2 shown]
	v_add_u32_e32 v2, -1, v2
	v_cmp_ne_u32_e32 vcc, 1, v2
	s_and_saveexec_b64 s[4:5], vcc
	s_cbranch_execz .LBB5_58
; %bb.57:
	v_mov_b32_e32 v3, 0
	v_lshl_add_u32 v18, v2, 4, v3
	buffer_load_dword v2, v25, s[0:3], 0 offen
	buffer_load_dword v3, v25, s[0:3], 0 offen offset:4
	buffer_load_dword v4, v25, s[0:3], 0 offen offset:8
	;; [unrolled: 1-line block ×3, first 2 shown]
	buffer_load_dword v19, v18, s[0:3], 0 offen
	buffer_load_dword v20, v18, s[0:3], 0 offen offset:4
	buffer_load_dword v21, v18, s[0:3], 0 offen offset:8
	;; [unrolled: 1-line block ×3, first 2 shown]
	s_waitcnt vmcnt(4)
	ds_write2_b64 v0, v[2:3], v[4:5] offset1:1
	s_waitcnt vmcnt(3)
	buffer_store_dword v19, v25, s[0:3], 0 offen
	s_waitcnt vmcnt(3)
	buffer_store_dword v20, v25, s[0:3], 0 offen offset:4
	s_waitcnt vmcnt(3)
	buffer_store_dword v21, v25, s[0:3], 0 offen offset:8
	;; [unrolled: 2-line block ×3, first 2 shown]
	buffer_store_dword v5, v18, s[0:3], 0 offen offset:12
	buffer_store_dword v4, v18, s[0:3], 0 offen offset:8
	;; [unrolled: 1-line block ×3, first 2 shown]
	buffer_store_dword v2, v18, s[0:3], 0 offen
.LBB5_58:
	s_or_b64 exec, exec, s[4:5]
	v_pk_mov_b32 v[2:3], s[24:25], s[24:25] op_sel:[0,1]
	flat_load_dword v2, v[2:3]
	s_waitcnt vmcnt(0) lgkmcnt(0)
	v_add_u32_e32 v2, -1, v2
	v_cmp_ne_u32_e32 vcc, 0, v2
	s_and_saveexec_b64 s[4:5], vcc
	s_cbranch_execz .LBB5_60
; %bb.59:
	v_mov_b32_e32 v3, 0
	v_lshl_add_u32 v18, v2, 4, v3
	buffer_load_dword v2, off, s[0:3], 0
	buffer_load_dword v3, off, s[0:3], 0 offset:4
	buffer_load_dword v4, off, s[0:3], 0 offset:8
	;; [unrolled: 1-line block ×3, first 2 shown]
	buffer_load_dword v19, v18, s[0:3], 0 offen
	buffer_load_dword v20, v18, s[0:3], 0 offen offset:4
	buffer_load_dword v21, v18, s[0:3], 0 offen offset:8
	;; [unrolled: 1-line block ×3, first 2 shown]
	s_waitcnt vmcnt(4)
	ds_write2_b64 v0, v[2:3], v[4:5] offset1:1
	s_waitcnt vmcnt(3)
	buffer_store_dword v19, off, s[0:3], 0
	s_waitcnt vmcnt(3)
	buffer_store_dword v20, off, s[0:3], 0 offset:4
	s_waitcnt vmcnt(3)
	buffer_store_dword v21, off, s[0:3], 0 offset:8
	;; [unrolled: 2-line block ×3, first 2 shown]
	buffer_store_dword v5, v18, s[0:3], 0 offen offset:12
	buffer_store_dword v4, v18, s[0:3], 0 offen offset:8
	;; [unrolled: 1-line block ×3, first 2 shown]
	buffer_store_dword v2, v18, s[0:3], 0 offen
.LBB5_60:
	s_or_b64 exec, exec, s[4:5]
.LBB5_61:
	buffer_load_dword v2, off, s[0:3], 0
	buffer_load_dword v3, off, s[0:3], 0 offset:4
	buffer_load_dword v4, off, s[0:3], 0 offset:8
	;; [unrolled: 1-line block ×3, first 2 shown]
	buffer_load_dword v19, v25, s[0:3], 0 offen offset:4
	buffer_load_dword v20, v25, s[0:3], 0 offen offset:8
	buffer_load_dword v21, v25, s[0:3], 0 offen offset:12
	buffer_load_dword v28, v27, s[0:3], 0 offen
	buffer_load_dword v29, v27, s[0:3], 0 offen offset:4
	buffer_load_dword v30, v27, s[0:3], 0 offen offset:8
	buffer_load_dword v18, v25, s[0:3], 0 offen
	buffer_load_dword v31, v27, s[0:3], 0 offen offset:12
	buffer_load_dword v33, v26, s[0:3], 0 offen offset:4
	;; [unrolled: 1-line block ×4, first 2 shown]
	buffer_load_dword v36, v1, s[0:3], 0 offen
	buffer_load_dword v37, v1, s[0:3], 0 offen offset:4
	buffer_load_dword v38, v1, s[0:3], 0 offen offset:8
	buffer_load_dword v32, v26, s[0:3], 0 offen
                                        ; kill: killed $vgpr27
                                        ; kill: killed $vgpr25
                                        ; kill: killed $vgpr26
	buffer_load_dword v39, v1, s[0:3], 0 offen offset:12
	buffer_load_dword v40, v24, s[0:3], 0 offen
	buffer_load_dword v41, v24, s[0:3], 0 offen offset:4
	buffer_load_dword v42, v24, s[0:3], 0 offen offset:8
	;; [unrolled: 1-line block ×3, first 2 shown]
	s_waitcnt vmcnt(20)
	global_store_dwordx4 v[6:7], v[2:5], off
	s_waitcnt vmcnt(14)
	global_store_dwordx4 v[8:9], v[18:21], off
	;; [unrolled: 2-line block ×6, first 2 shown]
	s_endpgm
	.section	.rodata,"a",@progbits
	.p2align	6, 0x0
	.amdhsa_kernel _ZN9rocsolver6v33100L18getri_kernel_smallILi6E19rocblas_complex_numIdEPS3_EEvT1_iilPiilS6_bb
		.amdhsa_group_segment_fixed_size 1224
		.amdhsa_private_segment_fixed_size 112
		.amdhsa_kernarg_size 60
		.amdhsa_user_sgpr_count 10
		.amdhsa_user_sgpr_private_segment_buffer 1
		.amdhsa_user_sgpr_dispatch_ptr 1
		.amdhsa_user_sgpr_queue_ptr 0
		.amdhsa_user_sgpr_kernarg_segment_ptr 1
		.amdhsa_user_sgpr_dispatch_id 0
		.amdhsa_user_sgpr_flat_scratch_init 1
		.amdhsa_user_sgpr_kernarg_preload_length 0
		.amdhsa_user_sgpr_kernarg_preload_offset 0
		.amdhsa_user_sgpr_private_segment_size 0
		.amdhsa_uses_dynamic_stack 0
		.amdhsa_system_sgpr_private_segment_wavefront_offset 1
		.amdhsa_system_sgpr_workgroup_id_x 1
		.amdhsa_system_sgpr_workgroup_id_y 0
		.amdhsa_system_sgpr_workgroup_id_z 0
		.amdhsa_system_sgpr_workgroup_info 0
		.amdhsa_system_vgpr_workitem_id 2
		.amdhsa_next_free_vgpr 74
		.amdhsa_next_free_sgpr 28
		.amdhsa_accum_offset 76
		.amdhsa_reserve_vcc 1
		.amdhsa_reserve_flat_scratch 1
		.amdhsa_float_round_mode_32 0
		.amdhsa_float_round_mode_16_64 0
		.amdhsa_float_denorm_mode_32 3
		.amdhsa_float_denorm_mode_16_64 3
		.amdhsa_dx10_clamp 1
		.amdhsa_ieee_mode 1
		.amdhsa_fp16_overflow 0
		.amdhsa_tg_split 0
		.amdhsa_exception_fp_ieee_invalid_op 0
		.amdhsa_exception_fp_denorm_src 0
		.amdhsa_exception_fp_ieee_div_zero 0
		.amdhsa_exception_fp_ieee_overflow 0
		.amdhsa_exception_fp_ieee_underflow 0
		.amdhsa_exception_fp_ieee_inexact 0
		.amdhsa_exception_int_div_zero 0
	.end_amdhsa_kernel
	.section	.text._ZN9rocsolver6v33100L18getri_kernel_smallILi6E19rocblas_complex_numIdEPS3_EEvT1_iilPiilS6_bb,"axG",@progbits,_ZN9rocsolver6v33100L18getri_kernel_smallILi6E19rocblas_complex_numIdEPS3_EEvT1_iilPiilS6_bb,comdat
.Lfunc_end5:
	.size	_ZN9rocsolver6v33100L18getri_kernel_smallILi6E19rocblas_complex_numIdEPS3_EEvT1_iilPiilS6_bb, .Lfunc_end5-_ZN9rocsolver6v33100L18getri_kernel_smallILi6E19rocblas_complex_numIdEPS3_EEvT1_iilPiilS6_bb
                                        ; -- End function
	.section	.AMDGPU.csdata,"",@progbits
; Kernel info:
; codeLenInByte = 6816
; NumSgprs: 34
; NumVgprs: 74
; NumAgprs: 0
; TotalNumVgprs: 74
; ScratchSize: 112
; MemoryBound: 0
; FloatMode: 240
; IeeeMode: 1
; LDSByteSize: 1224 bytes/workgroup (compile time only)
; SGPRBlocks: 4
; VGPRBlocks: 9
; NumSGPRsForWavesPerEU: 34
; NumVGPRsForWavesPerEU: 74
; AccumOffset: 76
; Occupancy: 6
; WaveLimiterHint : 1
; COMPUTE_PGM_RSRC2:SCRATCH_EN: 1
; COMPUTE_PGM_RSRC2:USER_SGPR: 10
; COMPUTE_PGM_RSRC2:TRAP_HANDLER: 0
; COMPUTE_PGM_RSRC2:TGID_X_EN: 1
; COMPUTE_PGM_RSRC2:TGID_Y_EN: 0
; COMPUTE_PGM_RSRC2:TGID_Z_EN: 0
; COMPUTE_PGM_RSRC2:TIDIG_COMP_CNT: 2
; COMPUTE_PGM_RSRC3_GFX90A:ACCUM_OFFSET: 18
; COMPUTE_PGM_RSRC3_GFX90A:TG_SPLIT: 0
	.section	.text._ZN9rocsolver6v33100L18getri_kernel_smallILi7E19rocblas_complex_numIdEPS3_EEvT1_iilPiilS6_bb,"axG",@progbits,_ZN9rocsolver6v33100L18getri_kernel_smallILi7E19rocblas_complex_numIdEPS3_EEvT1_iilPiilS6_bb,comdat
	.globl	_ZN9rocsolver6v33100L18getri_kernel_smallILi7E19rocblas_complex_numIdEPS3_EEvT1_iilPiilS6_bb ; -- Begin function _ZN9rocsolver6v33100L18getri_kernel_smallILi7E19rocblas_complex_numIdEPS3_EEvT1_iilPiilS6_bb
	.p2align	8
	.type	_ZN9rocsolver6v33100L18getri_kernel_smallILi7E19rocblas_complex_numIdEPS3_EEvT1_iilPiilS6_bb,@function
_ZN9rocsolver6v33100L18getri_kernel_smallILi7E19rocblas_complex_numIdEPS3_EEvT1_iilPiilS6_bb: ; @_ZN9rocsolver6v33100L18getri_kernel_smallILi7E19rocblas_complex_numIdEPS3_EEvT1_iilPiilS6_bb
; %bb.0:
	s_add_u32 flat_scratch_lo, s8, s11
	s_addc_u32 flat_scratch_hi, s9, 0
	s_add_u32 s0, s0, s11
	v_and_b32_e32 v31, 0x3ff, v0
	s_addc_u32 s1, s1, 0
	v_cmp_gt_u32_e32 vcc, 7, v31
	s_and_saveexec_b64 s[8:9], vcc
	s_cbranch_execz .LBB6_42
; %bb.1:
	s_load_dword s8, s[6:7], 0x38
	s_load_dwordx4 s[20:23], s[6:7], 0x10
	s_load_dwordx4 s[12:15], s[6:7], 0x28
                                        ; implicit-def: $sgpr24_sgpr25
	s_waitcnt lgkmcnt(0)
	s_bitcmp1_b32 s8, 8
	s_cselect_b64 s[26:27], -1, 0
	s_ashr_i32 s11, s10, 31
	s_bfe_u32 s9, s8, 0x10008
	s_cmp_eq_u32 s9, 0
	s_cbranch_scc1 .LBB6_3
; %bb.2:
	s_load_dword s16, s[6:7], 0x20
	s_mul_i32 s9, s10, s13
	s_mul_hi_u32 s13, s10, s12
	s_mul_i32 s18, s11, s12
	s_add_i32 s9, s13, s9
	s_add_i32 s13, s9, s18
	s_mul_i32 s12, s10, s12
	s_waitcnt lgkmcnt(0)
	s_ashr_i32 s17, s16, 31
	s_lshl_b64 s[12:13], s[12:13], 2
	s_add_u32 s9, s22, s12
	s_addc_u32 s18, s23, s13
	s_lshl_b64 s[12:13], s[16:17], 2
	s_add_u32 s24, s9, s12
	s_addc_u32 s25, s18, s13
.LBB6_3:
	s_load_dwordx4 s[16:19], s[6:7], 0x0
	s_mul_i32 s6, s10, s21
	s_mul_hi_u32 s7, s10, s20
	s_add_i32 s9, s7, s6
	s_mul_i32 s12, s11, s20
	s_add_i32 s13, s9, s12
	s_mul_i32 s12, s10, s20
	s_waitcnt lgkmcnt(0)
	s_ashr_i32 s7, s18, 31
	s_lshl_b64 s[12:13], s[12:13], 4
	s_mov_b32 s6, s18
	s_add_u32 s9, s16, s12
	s_addc_u32 s12, s17, s13
	s_lshl_b64 s[6:7], s[6:7], 4
	s_add_u32 s6, s9, s6
	s_addc_u32 s7, s12, s7
	v_lshlrev_b32_e32 v32, 4, v31
	v_mov_b32_e32 v1, s7
	v_add_co_u32_e32 v6, vcc, s6, v32
	s_ashr_i32 s13, s19, 31
	s_mov_b32 s12, s19
	s_add_i32 s9, s19, s19
	v_addc_co_u32_e32 v7, vcc, 0, v1, vcc
	s_lshl_b64 s[12:13], s[12:13], 4
	v_add_u32_e32 v12, s9, v31
	v_mov_b32_e32 v1, s13
	v_add_co_u32_e32 v8, vcc, s12, v6
	v_ashrrev_i32_e32 v13, 31, v12
	v_addc_co_u32_e32 v9, vcc, v7, v1, vcc
	v_lshlrev_b64 v[10:11], 4, v[12:13]
	v_add_u32_e32 v14, s19, v12
	v_mov_b32_e32 v1, s7
	v_add_co_u32_e32 v10, vcc, s6, v10
	v_ashrrev_i32_e32 v15, 31, v14
	v_addc_co_u32_e32 v11, vcc, v1, v11, vcc
	v_lshlrev_b64 v[12:13], 4, v[14:15]
	v_add_u32_e32 v16, s19, v14
	v_add_co_u32_e32 v12, vcc, s6, v12
	v_ashrrev_i32_e32 v17, 31, v16
	v_addc_co_u32_e32 v13, vcc, v1, v13, vcc
	v_lshlrev_b64 v[14:15], 4, v[16:17]
	v_add_u32_e32 v18, s19, v16
	;; [unrolled: 5-line block ×3, first 2 shown]
	v_add_co_u32_e32 v16, vcc, s6, v16
	v_ashrrev_i32_e32 v19, 31, v18
	v_addc_co_u32_e32 v17, vcc, v1, v17, vcc
	v_lshlrev_b64 v[18:19], 4, v[18:19]
	v_add_co_u32_e32 v18, vcc, s6, v18
	v_addc_co_u32_e32 v19, vcc, v1, v19, vcc
	global_load_dwordx4 v[2:5], v32, s[6:7]
	global_load_dwordx4 v[20:23], v[8:9], off
	global_load_dwordx4 v[34:37], v[10:11], off
	;; [unrolled: 1-line block ×6, first 2 shown]
	v_mov_b32_e32 v24, 0
	v_add_u32_e32 v27, 16, v24
	v_add_u32_e32 v26, 32, v24
	;; [unrolled: 1-line block ×6, first 2 shown]
	s_bitcmp0_b32 s8, 0
	s_mov_b64 s[8:9], -1
	s_waitcnt vmcnt(6)
	buffer_store_dword v5, off, s[0:3], 0 offset:12
	buffer_store_dword v4, off, s[0:3], 0 offset:8
	buffer_store_dword v3, off, s[0:3], 0 offset:4
	buffer_store_dword v2, off, s[0:3], 0
	s_waitcnt vmcnt(9)
	buffer_store_dword v23, off, s[0:3], 0 offset:28
	buffer_store_dword v22, off, s[0:3], 0 offset:24
	buffer_store_dword v21, off, s[0:3], 0 offset:20
	buffer_store_dword v20, off, s[0:3], 0 offset:16
	s_waitcnt vmcnt(12)
	buffer_store_dword v37, off, s[0:3], 0 offset:44
	buffer_store_dword v36, off, s[0:3], 0 offset:40
	buffer_store_dword v35, off, s[0:3], 0 offset:36
	buffer_store_dword v34, off, s[0:3], 0 offset:32
	s_waitcnt vmcnt(15)
	buffer_store_dword v41, off, s[0:3], 0 offset:60
	buffer_store_dword v40, off, s[0:3], 0 offset:56
	buffer_store_dword v39, off, s[0:3], 0 offset:52
	buffer_store_dword v38, off, s[0:3], 0 offset:48
	s_waitcnt vmcnt(18)
	buffer_store_dword v45, off, s[0:3], 0 offset:76
	buffer_store_dword v44, off, s[0:3], 0 offset:72
	buffer_store_dword v43, off, s[0:3], 0 offset:68
	buffer_store_dword v42, off, s[0:3], 0 offset:64
	s_waitcnt vmcnt(21)
	buffer_store_dword v49, off, s[0:3], 0 offset:92
	buffer_store_dword v48, off, s[0:3], 0 offset:88
	buffer_store_dword v47, off, s[0:3], 0 offset:84
	buffer_store_dword v46, off, s[0:3], 0 offset:80
	s_waitcnt vmcnt(24)
	buffer_store_dword v53, off, s[0:3], 0 offset:108
	buffer_store_dword v52, off, s[0:3], 0 offset:104
	buffer_store_dword v51, off, s[0:3], 0 offset:100
	buffer_store_dword v50, off, s[0:3], 0 offset:96
	s_cbranch_scc1 .LBB6_40
; %bb.4:
	v_cmp_eq_u32_e64 s[6:7], 0, v31
	s_and_saveexec_b64 s[8:9], s[6:7]
	s_cbranch_execz .LBB6_6
; %bb.5:
	v_mov_b32_e32 v2, 0
	ds_write_b32 v2, v2 offset:224
.LBB6_6:
	s_or_b64 exec, exec, s[8:9]
	v_mov_b32_e32 v2, 0
	v_lshl_add_u32 v33, v31, 4, v2
	s_waitcnt lgkmcnt(0)
	; wave barrier
	s_waitcnt lgkmcnt(0)
	buffer_load_dword v2, v33, s[0:3], 0 offen
	buffer_load_dword v3, v33, s[0:3], 0 offen offset:4
	buffer_load_dword v4, v33, s[0:3], 0 offen offset:8
	;; [unrolled: 1-line block ×3, first 2 shown]
	s_waitcnt vmcnt(2)
	v_cmp_eq_f64_e32 vcc, 0, v[2:3]
	s_waitcnt vmcnt(0)
	v_cmp_eq_f64_e64 s[8:9], 0, v[4:5]
	s_and_b64 s[8:9], vcc, s[8:9]
	s_and_saveexec_b64 s[12:13], s[8:9]
	s_cbranch_execz .LBB6_10
; %bb.7:
	v_mov_b32_e32 v2, 0
	ds_read_b32 v4, v2 offset:224
	v_add_u32_e32 v3, 1, v31
	s_waitcnt lgkmcnt(0)
	v_readfirstlane_b32 s8, v4
	s_cmp_eq_u32 s8, 0
	s_cselect_b64 s[16:17], -1, 0
	v_cmp_gt_i32_e32 vcc, s8, v3
	s_or_b64 s[16:17], s[16:17], vcc
	s_and_b64 exec, exec, s[16:17]
	s_cbranch_execz .LBB6_10
; %bb.8:
	s_mov_b64 s[16:17], 0
	v_mov_b32_e32 v4, s8
.LBB6_9:                                ; =>This Inner Loop Header: Depth=1
	ds_cmpst_rtn_b32 v4, v2, v4, v3 offset:224
	s_waitcnt lgkmcnt(0)
	v_cmp_ne_u32_e32 vcc, 0, v4
	v_cmp_le_i32_e64 s[8:9], v4, v3
	s_and_b64 s[8:9], vcc, s[8:9]
	s_and_b64 s[8:9], exec, s[8:9]
	s_or_b64 s[16:17], s[8:9], s[16:17]
	s_andn2_b64 exec, exec, s[16:17]
	s_cbranch_execnz .LBB6_9
.LBB6_10:
	s_or_b64 exec, exec, s[12:13]
	v_mov_b32_e32 v3, 0
	s_waitcnt lgkmcnt(0)
	; wave barrier
	ds_read_b32 v2, v3 offset:224
	s_and_saveexec_b64 s[8:9], s[6:7]
	s_cbranch_execz .LBB6_12
; %bb.11:
	s_lshl_b64 s[12:13], s[10:11], 2
	s_add_u32 s12, s14, s12
	s_addc_u32 s13, s15, s13
	s_waitcnt lgkmcnt(0)
	global_store_dword v3, v2, s[12:13]
.LBB6_12:
	s_or_b64 exec, exec, s[8:9]
	s_waitcnt lgkmcnt(0)
	v_cmp_ne_u32_e32 vcc, 0, v2
	s_mov_b64 s[8:9], 0
	s_cbranch_vccnz .LBB6_40
; %bb.13:
	buffer_load_dword v21, v33, s[0:3], 0 offen offset:4
	buffer_load_dword v20, v33, s[0:3], 0 offen
	buffer_load_dword v23, v33, s[0:3], 0 offen offset:12
	buffer_load_dword v22, v33, s[0:3], 0 offen offset:8
                                        ; implicit-def: $vgpr24_vgpr25
	s_waitcnt vmcnt(3)
	v_xor_b32_e32 v3, 0x80000000, v21
	s_waitcnt vmcnt(2)
	v_cmp_gt_f64_e32 vcc, 0, v[20:21]
	s_waitcnt vmcnt(1)
	v_xor_b32_e32 v4, 0x80000000, v23
	v_cndmask_b32_e32 v3, v21, v3, vcc
	s_waitcnt vmcnt(0)
	v_cmp_gt_f64_e32 vcc, 0, v[22:23]
	v_mov_b32_e32 v2, v20
	v_cndmask_b32_e32 v5, v23, v4, vcc
	v_mov_b32_e32 v4, v22
	v_cmp_ngt_f64_e32 vcc, v[2:3], v[4:5]
                                        ; implicit-def: $vgpr4_vgpr5
	s_and_saveexec_b64 s[8:9], vcc
	s_xor_b64 s[8:9], exec, s[8:9]
	s_cbranch_execz .LBB6_15
; %bb.14:
	v_div_scale_f64 v[2:3], s[12:13], v[22:23], v[22:23], v[20:21]
	v_rcp_f64_e32 v[4:5], v[2:3]
	v_div_scale_f64 v[24:25], vcc, v[20:21], v[22:23], v[20:21]
	v_fma_f64 v[34:35], -v[2:3], v[4:5], 1.0
	v_fmac_f64_e32 v[4:5], v[4:5], v[34:35]
	v_fma_f64 v[34:35], -v[2:3], v[4:5], 1.0
	v_fmac_f64_e32 v[4:5], v[4:5], v[34:35]
	v_mul_f64 v[34:35], v[24:25], v[4:5]
	v_fma_f64 v[2:3], -v[2:3], v[34:35], v[24:25]
	v_div_fmas_f64 v[2:3], v[2:3], v[4:5], v[34:35]
	v_div_fixup_f64 v[2:3], v[2:3], v[22:23], v[20:21]
	v_fmac_f64_e32 v[22:23], v[20:21], v[2:3]
	v_div_scale_f64 v[4:5], s[12:13], v[22:23], v[22:23], 1.0
	v_rcp_f64_e32 v[20:21], v[4:5]
	v_fma_f64 v[24:25], -v[4:5], v[20:21], 1.0
	v_fmac_f64_e32 v[20:21], v[20:21], v[24:25]
	v_fma_f64 v[24:25], -v[4:5], v[20:21], 1.0
	v_fmac_f64_e32 v[20:21], v[20:21], v[24:25]
	v_div_scale_f64 v[24:25], vcc, 1.0, v[22:23], 1.0
	v_mul_f64 v[34:35], v[24:25], v[20:21]
	v_fma_f64 v[4:5], -v[4:5], v[34:35], v[24:25]
	s_nop 1
	v_div_fmas_f64 v[4:5], v[4:5], v[20:21], v[34:35]
	v_div_fixup_f64 v[4:5], v[4:5], v[22:23], 1.0
	v_mul_f64 v[24:25], v[2:3], v[4:5]
	v_xor_b32_e32 v5, 0x80000000, v5
	v_xor_b32_e32 v3, 0x80000000, v25
	v_mov_b32_e32 v2, v24
                                        ; implicit-def: $vgpr20_vgpr21
                                        ; implicit-def: $vgpr22_vgpr23
.LBB6_15:
	s_andn2_saveexec_b64 s[8:9], s[8:9]
	s_cbranch_execz .LBB6_17
; %bb.16:
	v_div_scale_f64 v[2:3], s[12:13], v[20:21], v[20:21], v[22:23]
	v_rcp_f64_e32 v[4:5], v[2:3]
	v_div_scale_f64 v[24:25], vcc, v[22:23], v[20:21], v[22:23]
	v_fma_f64 v[34:35], -v[2:3], v[4:5], 1.0
	v_fmac_f64_e32 v[4:5], v[4:5], v[34:35]
	v_fma_f64 v[34:35], -v[2:3], v[4:5], 1.0
	v_fmac_f64_e32 v[4:5], v[4:5], v[34:35]
	v_mul_f64 v[34:35], v[24:25], v[4:5]
	v_fma_f64 v[2:3], -v[2:3], v[34:35], v[24:25]
	v_div_fmas_f64 v[2:3], v[2:3], v[4:5], v[34:35]
	v_div_fixup_f64 v[4:5], v[2:3], v[20:21], v[22:23]
	v_fmac_f64_e32 v[20:21], v[22:23], v[4:5]
	v_div_scale_f64 v[2:3], s[12:13], v[20:21], v[20:21], 1.0
	v_rcp_f64_e32 v[22:23], v[2:3]
	v_fma_f64 v[24:25], -v[2:3], v[22:23], 1.0
	v_fmac_f64_e32 v[22:23], v[22:23], v[24:25]
	v_fma_f64 v[24:25], -v[2:3], v[22:23], 1.0
	v_fmac_f64_e32 v[22:23], v[22:23], v[24:25]
	v_div_scale_f64 v[24:25], vcc, 1.0, v[20:21], 1.0
	v_mul_f64 v[34:35], v[24:25], v[22:23]
	v_fma_f64 v[2:3], -v[2:3], v[34:35], v[24:25]
	s_nop 1
	v_div_fmas_f64 v[2:3], v[2:3], v[22:23], v[34:35]
	v_div_fixup_f64 v[24:25], v[2:3], v[20:21], 1.0
	v_xor_b32_e32 v3, 0x80000000, v25
	v_mov_b32_e32 v2, v24
	v_mul_f64 v[4:5], v[4:5], -v[24:25]
.LBB6_17:
	s_or_b64 exec, exec, s[8:9]
	buffer_store_dword v25, v33, s[0:3], 0 offen offset:4
	buffer_store_dword v24, v33, s[0:3], 0 offen
	buffer_store_dword v5, v33, s[0:3], 0 offen offset:12
	buffer_store_dword v4, v33, s[0:3], 0 offen offset:8
	buffer_load_dword v25, v27, s[0:3], 0 offen offset:12
	s_nop 0
	buffer_load_dword v24, v27, s[0:3], 0 offen offset:8
	buffer_load_dword v23, v27, s[0:3], 0 offen offset:4
	buffer_load_dword v22, v27, s[0:3], 0 offen
	v_xor_b32_e32 v5, 0x80000000, v5
	v_add_u32_e32 v20, 0x70, v32
	ds_write_b128 v32, v[2:5]
	s_waitcnt vmcnt(0)
	ds_write_b128 v32, v[22:25] offset:112
	s_waitcnt lgkmcnt(0)
	; wave barrier
	s_waitcnt lgkmcnt(0)
	s_and_saveexec_b64 s[8:9], s[6:7]
	s_cbranch_execz .LBB6_19
; %bb.18:
	buffer_load_dword v34, v33, s[0:3], 0 offen offset:8
	buffer_load_dword v35, v33, s[0:3], 0 offen offset:12
	buffer_load_dword v36, v33, s[0:3], 0 offen
	buffer_load_dword v37, v33, s[0:3], 0 offen offset:4
	ds_read_b128 v[2:5], v20
	v_mov_b32_e32 v21, 0
	ds_read_b128 v[22:25], v21 offset:16
	s_waitcnt vmcnt(2) lgkmcnt(1)
	v_mul_f64 v[38:39], v[4:5], v[34:35]
	v_mul_f64 v[34:35], v[2:3], v[34:35]
	s_waitcnt vmcnt(0)
	v_fmac_f64_e32 v[34:35], v[4:5], v[36:37]
	v_fma_f64 v[2:3], v[2:3], v[36:37], -v[38:39]
	v_add_f64 v[4:5], v[34:35], 0
	v_add_f64 v[2:3], v[2:3], 0
	s_waitcnt lgkmcnt(0)
	v_mul_f64 v[34:35], v[4:5], v[24:25]
	v_mul_f64 v[24:25], v[2:3], v[24:25]
	v_fma_f64 v[2:3], v[2:3], v[22:23], -v[34:35]
	v_fmac_f64_e32 v[24:25], v[4:5], v[22:23]
	buffer_store_dword v2, off, s[0:3], 0 offset:16
	buffer_store_dword v3, off, s[0:3], 0 offset:20
	;; [unrolled: 1-line block ×4, first 2 shown]
.LBB6_19:
	s_or_b64 exec, exec, s[8:9]
	s_waitcnt lgkmcnt(0)
	; wave barrier
	buffer_load_dword v2, v26, s[0:3], 0 offen
	buffer_load_dword v3, v26, s[0:3], 0 offen offset:4
	buffer_load_dword v4, v26, s[0:3], 0 offen offset:8
	;; [unrolled: 1-line block ×3, first 2 shown]
	v_cmp_gt_u32_e32 vcc, 2, v31
	s_waitcnt vmcnt(0)
	ds_write_b128 v20, v[2:5]
	s_waitcnt lgkmcnt(0)
	; wave barrier
	s_waitcnt lgkmcnt(0)
	s_and_saveexec_b64 s[8:9], vcc
	s_cbranch_execz .LBB6_23
; %bb.20:
	buffer_load_dword v22, v33, s[0:3], 0 offen offset:8
	buffer_load_dword v23, v33, s[0:3], 0 offen offset:12
	buffer_load_dword v24, v33, s[0:3], 0 offen
	buffer_load_dword v25, v33, s[0:3], 0 offen offset:4
	ds_read_b128 v[2:5], v20
	s_waitcnt vmcnt(2) lgkmcnt(0)
	v_mul_f64 v[34:35], v[4:5], v[22:23]
	v_mul_f64 v[22:23], v[2:3], v[22:23]
	s_waitcnt vmcnt(0)
	v_fma_f64 v[2:3], v[2:3], v[24:25], -v[34:35]
	v_fmac_f64_e32 v[22:23], v[4:5], v[24:25]
	v_add_f64 v[4:5], v[2:3], 0
	v_add_f64 v[2:3], v[22:23], 0
	s_and_saveexec_b64 s[12:13], s[6:7]
	s_cbranch_execz .LBB6_22
; %bb.21:
	buffer_load_dword v34, off, s[0:3], 0 offset:24
	buffer_load_dword v35, off, s[0:3], 0 offset:28
	buffer_load_dword v36, off, s[0:3], 0 offset:16
	buffer_load_dword v37, off, s[0:3], 0 offset:20
	v_mov_b32_e32 v21, 0
	ds_read_b128 v[22:25], v21 offset:128
	s_waitcnt vmcnt(2) lgkmcnt(0)
	v_mul_f64 v[38:39], v[22:23], v[34:35]
	v_mul_f64 v[34:35], v[24:25], v[34:35]
	s_waitcnt vmcnt(0)
	v_fmac_f64_e32 v[38:39], v[24:25], v[36:37]
	v_fma_f64 v[22:23], v[22:23], v[36:37], -v[34:35]
	v_add_f64 v[2:3], v[2:3], v[38:39]
	v_add_f64 v[4:5], v[4:5], v[22:23]
.LBB6_22:
	s_or_b64 exec, exec, s[12:13]
	v_mov_b32_e32 v21, 0
	ds_read_b128 v[22:25], v21 offset:32
	s_waitcnt lgkmcnt(0)
	v_mul_f64 v[34:35], v[2:3], v[24:25]
	v_mul_f64 v[24:25], v[4:5], v[24:25]
	v_fma_f64 v[4:5], v[4:5], v[22:23], -v[34:35]
	v_fmac_f64_e32 v[24:25], v[2:3], v[22:23]
	buffer_store_dword v5, off, s[0:3], 0 offset:36
	buffer_store_dword v4, off, s[0:3], 0 offset:32
	;; [unrolled: 1-line block ×4, first 2 shown]
.LBB6_23:
	s_or_b64 exec, exec, s[8:9]
	s_waitcnt lgkmcnt(0)
	; wave barrier
	buffer_load_dword v2, v29, s[0:3], 0 offen
	buffer_load_dword v3, v29, s[0:3], 0 offen offset:4
	buffer_load_dword v4, v29, s[0:3], 0 offen offset:8
	;; [unrolled: 1-line block ×3, first 2 shown]
	v_cmp_gt_u32_e32 vcc, 3, v31
	v_add_u32_e32 v21, -1, v31
	s_waitcnt vmcnt(0)
	ds_write_b128 v20, v[2:5]
	s_waitcnt lgkmcnt(0)
	; wave barrier
	s_waitcnt lgkmcnt(0)
	s_and_saveexec_b64 s[6:7], vcc
	s_cbranch_execz .LBB6_27
; %bb.24:
	v_pk_mov_b32 v[2:3], 0, 0
	v_add_u32_e32 v22, -1, v31
	v_add_u32_e32 v23, 0x70, v32
	v_add_u32_e32 v24, 0, v32
	s_mov_b64 s[8:9], 0
	v_pk_mov_b32 v[4:5], v[2:3], v[2:3] op_sel:[0,1]
.LBB6_25:                               ; =>This Inner Loop Header: Depth=1
	buffer_load_dword v38, v24, s[0:3], 0 offen offset:8
	buffer_load_dword v39, v24, s[0:3], 0 offen offset:12
	buffer_load_dword v40, v24, s[0:3], 0 offen
	buffer_load_dword v41, v24, s[0:3], 0 offen offset:4
	ds_read_b128 v[34:37], v23
	v_add_u32_e32 v22, 1, v22
	v_cmp_lt_u32_e32 vcc, 1, v22
	v_add_u32_e32 v23, 16, v23
	v_add_u32_e32 v24, 16, v24
	s_or_b64 s[8:9], vcc, s[8:9]
	s_waitcnt vmcnt(2) lgkmcnt(0)
	v_mul_f64 v[42:43], v[36:37], v[38:39]
	v_mul_f64 v[38:39], v[34:35], v[38:39]
	s_waitcnt vmcnt(0)
	v_fma_f64 v[34:35], v[34:35], v[40:41], -v[42:43]
	v_fmac_f64_e32 v[38:39], v[36:37], v[40:41]
	v_add_f64 v[4:5], v[4:5], v[34:35]
	v_add_f64 v[2:3], v[2:3], v[38:39]
	s_andn2_b64 exec, exec, s[8:9]
	s_cbranch_execnz .LBB6_25
; %bb.26:
	s_or_b64 exec, exec, s[8:9]
	v_mov_b32_e32 v22, 0
	ds_read_b128 v[22:25], v22 offset:48
	s_waitcnt lgkmcnt(0)
	v_mul_f64 v[34:35], v[2:3], v[24:25]
	v_mul_f64 v[24:25], v[4:5], v[24:25]
	v_fma_f64 v[4:5], v[4:5], v[22:23], -v[34:35]
	v_fmac_f64_e32 v[24:25], v[2:3], v[22:23]
	buffer_store_dword v5, off, s[0:3], 0 offset:52
	buffer_store_dword v4, off, s[0:3], 0 offset:48
	;; [unrolled: 1-line block ×4, first 2 shown]
.LBB6_27:
	s_or_b64 exec, exec, s[6:7]
	s_waitcnt lgkmcnt(0)
	; wave barrier
	buffer_load_dword v2, v1, s[0:3], 0 offen
	buffer_load_dword v3, v1, s[0:3], 0 offen offset:4
	buffer_load_dword v4, v1, s[0:3], 0 offen offset:8
	buffer_load_dword v5, v1, s[0:3], 0 offen offset:12
	v_cmp_gt_u32_e32 vcc, 4, v31
	s_waitcnt vmcnt(0)
	ds_write_b128 v20, v[2:5]
	s_waitcnt lgkmcnt(0)
	; wave barrier
	s_waitcnt lgkmcnt(0)
	s_and_saveexec_b64 s[6:7], vcc
	s_cbranch_execz .LBB6_31
; %bb.28:
	v_pk_mov_b32 v[2:3], 0, 0
	v_add_u32_e32 v22, -1, v31
	v_add_u32_e32 v23, 0x70, v32
	v_add_u32_e32 v24, 0, v32
	s_mov_b64 s[8:9], 0
	v_pk_mov_b32 v[4:5], v[2:3], v[2:3] op_sel:[0,1]
.LBB6_29:                               ; =>This Inner Loop Header: Depth=1
	buffer_load_dword v38, v24, s[0:3], 0 offen offset:8
	buffer_load_dword v39, v24, s[0:3], 0 offen offset:12
	buffer_load_dword v40, v24, s[0:3], 0 offen
	buffer_load_dword v41, v24, s[0:3], 0 offen offset:4
	ds_read_b128 v[34:37], v23
	v_add_u32_e32 v22, 1, v22
	v_cmp_lt_u32_e32 vcc, 2, v22
	v_add_u32_e32 v23, 16, v23
	v_add_u32_e32 v24, 16, v24
	s_or_b64 s[8:9], vcc, s[8:9]
	s_waitcnt vmcnt(2) lgkmcnt(0)
	v_mul_f64 v[42:43], v[36:37], v[38:39]
	v_mul_f64 v[38:39], v[34:35], v[38:39]
	s_waitcnt vmcnt(0)
	v_fma_f64 v[34:35], v[34:35], v[40:41], -v[42:43]
	v_fmac_f64_e32 v[38:39], v[36:37], v[40:41]
	v_add_f64 v[4:5], v[4:5], v[34:35]
	v_add_f64 v[2:3], v[2:3], v[38:39]
	s_andn2_b64 exec, exec, s[8:9]
	s_cbranch_execnz .LBB6_29
; %bb.30:
	s_or_b64 exec, exec, s[8:9]
	v_mov_b32_e32 v22, 0
	ds_read_b128 v[22:25], v22 offset:64
	s_waitcnt lgkmcnt(0)
	v_mul_f64 v[34:35], v[2:3], v[24:25]
	v_mul_f64 v[24:25], v[4:5], v[24:25]
	v_fma_f64 v[4:5], v[4:5], v[22:23], -v[34:35]
	v_fmac_f64_e32 v[24:25], v[2:3], v[22:23]
	buffer_store_dword v5, off, s[0:3], 0 offset:68
	buffer_store_dword v4, off, s[0:3], 0 offset:64
	;; [unrolled: 1-line block ×4, first 2 shown]
.LBB6_31:
	s_or_b64 exec, exec, s[6:7]
	s_waitcnt lgkmcnt(0)
	; wave barrier
	buffer_load_dword v2, v28, s[0:3], 0 offen
	buffer_load_dword v3, v28, s[0:3], 0 offen offset:4
	buffer_load_dword v4, v28, s[0:3], 0 offen offset:8
	;; [unrolled: 1-line block ×3, first 2 shown]
	v_cmp_gt_u32_e32 vcc, 5, v31
	s_waitcnt vmcnt(0)
	ds_write_b128 v20, v[2:5]
	s_waitcnt lgkmcnt(0)
	; wave barrier
	s_waitcnt lgkmcnt(0)
	s_and_saveexec_b64 s[6:7], vcc
	s_cbranch_execz .LBB6_35
; %bb.32:
	v_pk_mov_b32 v[2:3], 0, 0
	v_add_u32_e32 v22, -1, v31
	v_add_u32_e32 v23, 0x70, v32
	v_add_u32_e32 v24, 0, v32
	s_mov_b64 s[8:9], 0
	v_pk_mov_b32 v[4:5], v[2:3], v[2:3] op_sel:[0,1]
.LBB6_33:                               ; =>This Inner Loop Header: Depth=1
	buffer_load_dword v38, v24, s[0:3], 0 offen offset:8
	buffer_load_dword v39, v24, s[0:3], 0 offen offset:12
	buffer_load_dword v40, v24, s[0:3], 0 offen
	buffer_load_dword v41, v24, s[0:3], 0 offen offset:4
	ds_read_b128 v[34:37], v23
	v_add_u32_e32 v22, 1, v22
	v_cmp_lt_u32_e32 vcc, 3, v22
	v_add_u32_e32 v23, 16, v23
	v_add_u32_e32 v24, 16, v24
	s_or_b64 s[8:9], vcc, s[8:9]
	s_waitcnt vmcnt(2) lgkmcnt(0)
	v_mul_f64 v[42:43], v[36:37], v[38:39]
	v_mul_f64 v[38:39], v[34:35], v[38:39]
	s_waitcnt vmcnt(0)
	v_fma_f64 v[34:35], v[34:35], v[40:41], -v[42:43]
	v_fmac_f64_e32 v[38:39], v[36:37], v[40:41]
	v_add_f64 v[4:5], v[4:5], v[34:35]
	v_add_f64 v[2:3], v[2:3], v[38:39]
	s_andn2_b64 exec, exec, s[8:9]
	s_cbranch_execnz .LBB6_33
; %bb.34:
	s_or_b64 exec, exec, s[8:9]
	v_mov_b32_e32 v22, 0
	ds_read_b128 v[22:25], v22 offset:80
	s_waitcnt lgkmcnt(0)
	v_mul_f64 v[34:35], v[2:3], v[24:25]
	v_mul_f64 v[24:25], v[4:5], v[24:25]
	v_fma_f64 v[4:5], v[4:5], v[22:23], -v[34:35]
	v_fmac_f64_e32 v[24:25], v[2:3], v[22:23]
	buffer_store_dword v5, off, s[0:3], 0 offset:84
	buffer_store_dword v4, off, s[0:3], 0 offset:80
	;; [unrolled: 1-line block ×4, first 2 shown]
.LBB6_35:
	s_or_b64 exec, exec, s[6:7]
	s_waitcnt lgkmcnt(0)
	; wave barrier
	buffer_load_dword v2, v30, s[0:3], 0 offen
	buffer_load_dword v3, v30, s[0:3], 0 offen offset:4
	buffer_load_dword v4, v30, s[0:3], 0 offen offset:8
	buffer_load_dword v5, v30, s[0:3], 0 offen offset:12
	v_cmp_ne_u32_e32 vcc, 6, v31
	s_waitcnt vmcnt(0)
	ds_write_b128 v20, v[2:5]
	s_waitcnt lgkmcnt(0)
	; wave barrier
	s_waitcnt lgkmcnt(0)
	s_and_saveexec_b64 s[6:7], vcc
	s_cbranch_execz .LBB6_39
; %bb.36:
	v_pk_mov_b32 v[2:3], 0, 0
	v_add_u32_e32 v20, 0x70, v32
	v_add_u32_e32 v22, 0, v32
	s_mov_b64 s[8:9], 0
	v_pk_mov_b32 v[4:5], v[2:3], v[2:3] op_sel:[0,1]
.LBB6_37:                               ; =>This Inner Loop Header: Depth=1
	buffer_load_dword v24, v22, s[0:3], 0 offen offset:8
	buffer_load_dword v25, v22, s[0:3], 0 offen offset:12
	buffer_load_dword v36, v22, s[0:3], 0 offen
	buffer_load_dword v37, v22, s[0:3], 0 offen offset:4
	ds_read_b128 v[32:35], v20
	v_add_u32_e32 v21, 1, v21
	v_cmp_lt_u32_e32 vcc, 4, v21
	v_add_u32_e32 v20, 16, v20
	v_add_u32_e32 v22, 16, v22
	s_or_b64 s[8:9], vcc, s[8:9]
	s_waitcnt vmcnt(2) lgkmcnt(0)
	v_mul_f64 v[38:39], v[34:35], v[24:25]
	v_mul_f64 v[24:25], v[32:33], v[24:25]
	s_waitcnt vmcnt(0)
	v_fma_f64 v[32:33], v[32:33], v[36:37], -v[38:39]
	v_fmac_f64_e32 v[24:25], v[34:35], v[36:37]
	v_add_f64 v[4:5], v[4:5], v[32:33]
	v_add_f64 v[2:3], v[2:3], v[24:25]
	s_andn2_b64 exec, exec, s[8:9]
	s_cbranch_execnz .LBB6_37
; %bb.38:
	s_or_b64 exec, exec, s[8:9]
	v_mov_b32_e32 v20, 0
	ds_read_b128 v[20:23], v20 offset:96
	s_waitcnt lgkmcnt(0)
	v_mul_f64 v[24:25], v[2:3], v[22:23]
	v_mul_f64 v[22:23], v[4:5], v[22:23]
	v_fma_f64 v[4:5], v[4:5], v[20:21], -v[24:25]
	v_fmac_f64_e32 v[22:23], v[2:3], v[20:21]
	buffer_store_dword v5, off, s[0:3], 0 offset:100
	buffer_store_dword v4, off, s[0:3], 0 offset:96
	;; [unrolled: 1-line block ×4, first 2 shown]
.LBB6_39:
	s_or_b64 exec, exec, s[6:7]
	s_mov_b64 s[8:9], -1
	s_waitcnt lgkmcnt(0)
	; wave barrier
.LBB6_40:
	s_and_b64 vcc, exec, s[8:9]
	s_cbranch_vccz .LBB6_42
; %bb.41:
	s_lshl_b64 s[6:7], s[10:11], 2
	s_add_u32 s6, s14, s6
	s_addc_u32 s7, s15, s7
	v_mov_b32_e32 v2, 0
	global_load_dword v2, v2, s[6:7]
	s_waitcnt vmcnt(0)
	v_cmp_ne_u32_e32 vcc, 0, v2
	s_cbranch_vccz .LBB6_43
.LBB6_42:
	s_endpgm
.LBB6_43:
	v_mov_b32_e32 v2, 0x70
	v_lshl_add_u32 v2, v31, 4, v2
	v_cmp_eq_u32_e32 vcc, 6, v31
	s_and_saveexec_b64 s[6:7], vcc
	s_cbranch_execz .LBB6_45
; %bb.44:
	buffer_load_dword v20, v28, s[0:3], 0 offen
	buffer_load_dword v21, v28, s[0:3], 0 offen offset:4
	buffer_load_dword v22, v28, s[0:3], 0 offen offset:8
	;; [unrolled: 1-line block ×3, first 2 shown]
	v_mov_b32_e32 v3, 0
	buffer_store_dword v3, off, s[0:3], 0 offset:80
	buffer_store_dword v3, off, s[0:3], 0 offset:84
	;; [unrolled: 1-line block ×4, first 2 shown]
	s_waitcnt vmcnt(4)
	ds_write_b128 v2, v[20:23]
.LBB6_45:
	s_or_b64 exec, exec, s[6:7]
	s_waitcnt lgkmcnt(0)
	; wave barrier
	s_waitcnt lgkmcnt(0)
	buffer_load_dword v4, off, s[0:3], 0 offset:104
	buffer_load_dword v5, off, s[0:3], 0 offset:108
	;; [unrolled: 1-line block ×8, first 2 shown]
	v_mov_b32_e32 v3, 0
	ds_read_b128 v[20:23], v3 offset:208
	v_cmp_lt_u32_e32 vcc, 4, v31
	s_waitcnt vmcnt(6) lgkmcnt(0)
	v_mul_f64 v[36:37], v[20:21], v[4:5]
	v_mul_f64 v[4:5], v[22:23], v[4:5]
	s_waitcnt vmcnt(4)
	v_fma_f64 v[4:5], v[20:21], v[24:25], -v[4:5]
	v_fmac_f64_e32 v[36:37], v[22:23], v[24:25]
	v_add_f64 v[4:5], v[4:5], 0
	v_add_f64 v[20:21], v[36:37], 0
	s_waitcnt vmcnt(2)
	v_add_f64 v[4:5], v[32:33], -v[4:5]
	s_waitcnt vmcnt(0)
	v_add_f64 v[20:21], v[34:35], -v[20:21]
	buffer_store_dword v4, off, s[0:3], 0 offset:80
	buffer_store_dword v5, off, s[0:3], 0 offset:84
	;; [unrolled: 1-line block ×4, first 2 shown]
	s_and_saveexec_b64 s[6:7], vcc
	s_cbranch_execz .LBB6_47
; %bb.46:
	buffer_load_dword v20, v1, s[0:3], 0 offen
	buffer_load_dword v21, v1, s[0:3], 0 offen offset:4
	buffer_load_dword v22, v1, s[0:3], 0 offen offset:8
	;; [unrolled: 1-line block ×3, first 2 shown]
	s_nop 0
	buffer_store_dword v3, off, s[0:3], 0 offset:64
	buffer_store_dword v3, off, s[0:3], 0 offset:68
	;; [unrolled: 1-line block ×4, first 2 shown]
	s_waitcnt vmcnt(4)
	ds_write_b128 v2, v[20:23]
.LBB6_47:
	s_or_b64 exec, exec, s[6:7]
	s_waitcnt lgkmcnt(0)
	; wave barrier
	s_waitcnt lgkmcnt(0)
	buffer_load_dword v4, off, s[0:3], 0 offset:88
	buffer_load_dword v5, off, s[0:3], 0 offset:92
	buffer_load_dword v24, off, s[0:3], 0 offset:104
	buffer_load_dword v25, off, s[0:3], 0 offset:108
	buffer_load_dword v36, off, s[0:3], 0 offset:80
	buffer_load_dword v37, off, s[0:3], 0 offset:84
	buffer_load_dword v38, off, s[0:3], 0 offset:96
	buffer_load_dword v39, off, s[0:3], 0 offset:100
	buffer_load_dword v40, off, s[0:3], 0 offset:64
	buffer_load_dword v41, off, s[0:3], 0 offset:68
	buffer_load_dword v42, off, s[0:3], 0 offset:72
	buffer_load_dword v43, off, s[0:3], 0 offset:76
	ds_read_b128 v[20:23], v3 offset:192
	ds_read_b128 v[32:35], v3 offset:208
	v_cmp_lt_u32_e32 vcc, 3, v31
	s_waitcnt vmcnt(10) lgkmcnt(1)
	v_mul_f64 v[44:45], v[20:21], v[4:5]
	v_mul_f64 v[4:5], v[22:23], v[4:5]
	s_waitcnt vmcnt(8) lgkmcnt(0)
	v_mul_f64 v[46:47], v[32:33], v[24:25]
	v_mul_f64 v[24:25], v[34:35], v[24:25]
	s_waitcnt vmcnt(6)
	v_fma_f64 v[4:5], v[20:21], v[36:37], -v[4:5]
	v_fmac_f64_e32 v[44:45], v[22:23], v[36:37]
	s_waitcnt vmcnt(4)
	v_fma_f64 v[20:21], v[32:33], v[38:39], -v[24:25]
	v_add_f64 v[4:5], v[4:5], 0
	v_fmac_f64_e32 v[46:47], v[34:35], v[38:39]
	v_add_f64 v[22:23], v[44:45], 0
	v_add_f64 v[4:5], v[4:5], v[20:21]
	v_add_f64 v[22:23], v[22:23], v[46:47]
	s_waitcnt vmcnt(2)
	v_add_f64 v[4:5], v[40:41], -v[4:5]
	s_waitcnt vmcnt(0)
	v_add_f64 v[20:21], v[42:43], -v[22:23]
	buffer_store_dword v4, off, s[0:3], 0 offset:64
	buffer_store_dword v5, off, s[0:3], 0 offset:68
	;; [unrolled: 1-line block ×4, first 2 shown]
	s_and_saveexec_b64 s[6:7], vcc
	s_cbranch_execz .LBB6_49
; %bb.48:
	buffer_load_dword v20, v29, s[0:3], 0 offen
	buffer_load_dword v21, v29, s[0:3], 0 offen offset:4
	buffer_load_dword v22, v29, s[0:3], 0 offen offset:8
	;; [unrolled: 1-line block ×3, first 2 shown]
	v_mov_b32_e32 v3, 0
	buffer_store_dword v3, off, s[0:3], 0 offset:48
	buffer_store_dword v3, off, s[0:3], 0 offset:52
	;; [unrolled: 1-line block ×4, first 2 shown]
	s_waitcnt vmcnt(4)
	ds_write_b128 v2, v[20:23]
.LBB6_49:
	s_or_b64 exec, exec, s[6:7]
	s_waitcnt lgkmcnt(0)
	; wave barrier
	s_waitcnt lgkmcnt(0)
	buffer_load_dword v4, off, s[0:3], 0 offset:72
	buffer_load_dword v5, off, s[0:3], 0 offset:76
	;; [unrolled: 1-line block ×16, first 2 shown]
	v_mov_b32_e32 v3, 0
	ds_read_b128 v[20:23], v3 offset:176
	ds_read_b128 v[32:35], v3 offset:192
	;; [unrolled: 1-line block ×3, first 2 shown]
	v_cmp_lt_u32_e32 vcc, 2, v31
	s_waitcnt vmcnt(14) lgkmcnt(2)
	v_mul_f64 v[52:53], v[20:21], v[4:5]
	v_mul_f64 v[4:5], v[22:23], v[4:5]
	s_waitcnt vmcnt(12) lgkmcnt(1)
	v_mul_f64 v[54:55], v[32:33], v[24:25]
	v_mul_f64 v[24:25], v[34:35], v[24:25]
	;; [unrolled: 3-line block ×3, first 2 shown]
	s_waitcnt vmcnt(8)
	v_fma_f64 v[4:5], v[20:21], v[42:43], -v[4:5]
	v_fmac_f64_e32 v[52:53], v[22:23], v[42:43]
	s_waitcnt vmcnt(6)
	v_fma_f64 v[20:21], v[32:33], v[44:45], -v[24:25]
	v_add_f64 v[4:5], v[4:5], 0
	v_fmac_f64_e32 v[54:55], v[34:35], v[44:45]
	s_waitcnt vmcnt(4)
	v_fma_f64 v[22:23], v[36:37], v[46:47], -v[40:41]
	v_add_f64 v[24:25], v[52:53], 0
	v_add_f64 v[4:5], v[4:5], v[20:21]
	v_fmac_f64_e32 v[56:57], v[38:39], v[46:47]
	v_add_f64 v[24:25], v[24:25], v[54:55]
	v_add_f64 v[4:5], v[4:5], v[22:23]
	;; [unrolled: 1-line block ×3, first 2 shown]
	s_waitcnt vmcnt(2)
	v_add_f64 v[4:5], v[48:49], -v[4:5]
	s_waitcnt vmcnt(0)
	v_add_f64 v[20:21], v[50:51], -v[20:21]
	buffer_store_dword v4, off, s[0:3], 0 offset:48
	buffer_store_dword v5, off, s[0:3], 0 offset:52
	;; [unrolled: 1-line block ×4, first 2 shown]
	s_and_saveexec_b64 s[6:7], vcc
	s_cbranch_execz .LBB6_51
; %bb.50:
	buffer_load_dword v20, v26, s[0:3], 0 offen
	buffer_load_dword v21, v26, s[0:3], 0 offen offset:4
	buffer_load_dword v22, v26, s[0:3], 0 offen offset:8
	;; [unrolled: 1-line block ×3, first 2 shown]
	s_nop 0
	buffer_store_dword v3, off, s[0:3], 0 offset:32
	buffer_store_dword v3, off, s[0:3], 0 offset:36
	;; [unrolled: 1-line block ×4, first 2 shown]
	s_waitcnt vmcnt(4)
	ds_write_b128 v2, v[20:23]
.LBB6_51:
	s_or_b64 exec, exec, s[6:7]
	s_waitcnt lgkmcnt(0)
	; wave barrier
	s_waitcnt lgkmcnt(0)
	buffer_load_dword v4, off, s[0:3], 0 offset:56
	buffer_load_dword v5, off, s[0:3], 0 offset:60
	;; [unrolled: 1-line block ×20, first 2 shown]
	ds_read_b128 v[20:23], v3 offset:160
	ds_read_b128 v[32:35], v3 offset:176
	;; [unrolled: 1-line block ×4, first 2 shown]
	v_cmp_lt_u32_e32 vcc, 1, v31
	s_waitcnt vmcnt(18) lgkmcnt(3)
	v_mul_f64 v[60:61], v[20:21], v[4:5]
	v_mul_f64 v[4:5], v[22:23], v[4:5]
	s_waitcnt vmcnt(16) lgkmcnt(2)
	v_mul_f64 v[62:63], v[32:33], v[24:25]
	v_mul_f64 v[24:25], v[34:35], v[24:25]
	;; [unrolled: 3-line block ×4, first 2 shown]
	s_waitcnt vmcnt(10)
	v_fma_f64 v[4:5], v[20:21], v[48:49], -v[4:5]
	v_fmac_f64_e32 v[60:61], v[22:23], v[48:49]
	s_waitcnt vmcnt(8)
	v_fma_f64 v[20:21], v[32:33], v[50:51], -v[24:25]
	v_add_f64 v[4:5], v[4:5], 0
	v_fmac_f64_e32 v[62:63], v[34:35], v[50:51]
	s_waitcnt vmcnt(6)
	v_fma_f64 v[22:23], v[36:37], v[52:53], -v[44:45]
	v_add_f64 v[32:33], v[60:61], 0
	v_add_f64 v[4:5], v[4:5], v[20:21]
	v_fmac_f64_e32 v[64:65], v[38:39], v[52:53]
	s_waitcnt vmcnt(4)
	v_fma_f64 v[24:25], v[40:41], v[54:55], -v[46:47]
	v_add_f64 v[32:33], v[32:33], v[62:63]
	v_add_f64 v[4:5], v[4:5], v[22:23]
	v_fmac_f64_e32 v[66:67], v[42:43], v[54:55]
	v_add_f64 v[20:21], v[32:33], v[64:65]
	v_add_f64 v[4:5], v[4:5], v[24:25]
	;; [unrolled: 1-line block ×3, first 2 shown]
	s_waitcnt vmcnt(2)
	v_add_f64 v[4:5], v[56:57], -v[4:5]
	s_waitcnt vmcnt(0)
	v_add_f64 v[20:21], v[58:59], -v[20:21]
	buffer_store_dword v4, off, s[0:3], 0 offset:32
	buffer_store_dword v5, off, s[0:3], 0 offset:36
	;; [unrolled: 1-line block ×4, first 2 shown]
	s_and_saveexec_b64 s[6:7], vcc
	s_cbranch_execz .LBB6_53
; %bb.52:
	buffer_load_dword v20, v27, s[0:3], 0 offen
	buffer_load_dword v21, v27, s[0:3], 0 offen offset:4
	buffer_load_dword v22, v27, s[0:3], 0 offen offset:8
	;; [unrolled: 1-line block ×3, first 2 shown]
	v_mov_b32_e32 v3, 0
	buffer_store_dword v3, off, s[0:3], 0 offset:16
	buffer_store_dword v3, off, s[0:3], 0 offset:20
	;; [unrolled: 1-line block ×4, first 2 shown]
	s_waitcnt vmcnt(4)
	ds_write_b128 v2, v[20:23]
.LBB6_53:
	s_or_b64 exec, exec, s[6:7]
	s_waitcnt lgkmcnt(0)
	; wave barrier
	s_waitcnt lgkmcnt(0)
	buffer_load_dword v4, off, s[0:3], 0 offset:40
	buffer_load_dword v5, off, s[0:3], 0 offset:44
	;; [unrolled: 1-line block ×24, first 2 shown]
	v_mov_b32_e32 v3, 0
	ds_read_b128 v[20:23], v3 offset:144
	ds_read_b128 v[32:35], v3 offset:160
	;; [unrolled: 1-line block ×5, first 2 shown]
	v_cmp_ne_u32_e32 vcc, 0, v31
	s_waitcnt vmcnt(22) lgkmcnt(4)
	v_mul_f64 v[68:69], v[20:21], v[4:5]
	v_mul_f64 v[4:5], v[22:23], v[4:5]
	s_waitcnt vmcnt(20) lgkmcnt(3)
	v_mul_f64 v[70:71], v[32:33], v[24:25]
	v_mul_f64 v[24:25], v[34:35], v[24:25]
	;; [unrolled: 3-line block ×4, first 2 shown]
	s_waitcnt vmcnt(13) lgkmcnt(0)
	v_mul_f64 v[76:77], v[44:45], v[50:51]
	s_waitcnt vmcnt(11)
	v_fma_f64 v[4:5], v[20:21], v[56:57], -v[4:5]
	v_fmac_f64_e32 v[68:69], v[22:23], v[56:57]
	s_waitcnt vmcnt(9)
	v_fma_f64 v[20:21], v[32:33], v[58:59], -v[24:25]
	v_add_f64 v[4:5], v[4:5], 0
	v_fmac_f64_e32 v[70:71], v[34:35], v[58:59]
	s_waitcnt vmcnt(7)
	v_fma_f64 v[22:23], v[36:37], v[60:61], -v[48:49]
	v_add_f64 v[34:35], v[68:69], 0
	v_add_f64 v[4:5], v[4:5], v[20:21]
	v_mul_f64 v[50:51], v[46:47], v[50:51]
	v_fmac_f64_e32 v[72:73], v[38:39], v[60:61]
	s_waitcnt vmcnt(5)
	v_fma_f64 v[24:25], v[40:41], v[62:63], -v[54:55]
	v_add_f64 v[34:35], v[34:35], v[70:71]
	v_add_f64 v[4:5], v[4:5], v[22:23]
	v_fmac_f64_e32 v[74:75], v[42:43], v[62:63]
	s_waitcnt vmcnt(4)
	v_fma_f64 v[32:33], v[44:45], v[52:53], -v[50:51]
	v_add_f64 v[20:21], v[34:35], v[72:73]
	v_add_f64 v[4:5], v[4:5], v[24:25]
	v_fmac_f64_e32 v[76:77], v[46:47], v[52:53]
	v_add_f64 v[20:21], v[20:21], v[74:75]
	v_add_f64 v[4:5], v[4:5], v[32:33]
	;; [unrolled: 1-line block ×3, first 2 shown]
	s_waitcnt vmcnt(2)
	v_add_f64 v[4:5], v[64:65], -v[4:5]
	s_waitcnt vmcnt(0)
	v_add_f64 v[20:21], v[66:67], -v[20:21]
	buffer_store_dword v5, off, s[0:3], 0 offset:20
	buffer_store_dword v4, off, s[0:3], 0 offset:16
	;; [unrolled: 1-line block ×4, first 2 shown]
	s_and_saveexec_b64 s[6:7], vcc
	s_cbranch_execz .LBB6_55
; %bb.54:
	buffer_load_dword v20, off, s[0:3], 0
	buffer_load_dword v21, off, s[0:3], 0 offset:4
	buffer_load_dword v22, off, s[0:3], 0 offset:8
	;; [unrolled: 1-line block ×3, first 2 shown]
	s_nop 0
	buffer_store_dword v3, off, s[0:3], 0
	buffer_store_dword v3, off, s[0:3], 0 offset:4
	buffer_store_dword v3, off, s[0:3], 0 offset:8
	;; [unrolled: 1-line block ×3, first 2 shown]
	s_waitcnt vmcnt(4)
	ds_write_b128 v2, v[20:23]
.LBB6_55:
	s_or_b64 exec, exec, s[6:7]
	s_waitcnt lgkmcnt(0)
	; wave barrier
	s_waitcnt lgkmcnt(0)
	buffer_load_dword v24, off, s[0:3], 0 offset:24
	buffer_load_dword v25, off, s[0:3], 0 offset:28
	;; [unrolled: 1-line block ×24, first 2 shown]
	buffer_load_dword v70, off, s[0:3], 0
	buffer_load_dword v71, off, s[0:3], 0 offset:4
	buffer_load_dword v72, off, s[0:3], 0 offset:8
	;; [unrolled: 1-line block ×3, first 2 shown]
	ds_read_b128 v[20:23], v3 offset:128
	ds_read_b128 v[32:35], v3 offset:144
	;; [unrolled: 1-line block ×6, first 2 shown]
	s_and_b64 vcc, exec, s[26:27]
	s_waitcnt vmcnt(26) lgkmcnt(5)
	v_mul_f64 v[74:75], v[20:21], v[24:25]
	v_mul_f64 v[24:25], v[22:23], v[24:25]
	s_waitcnt vmcnt(24) lgkmcnt(4)
	v_mul_f64 v[76:77], v[32:33], v[48:49]
	v_mul_f64 v[48:49], v[34:35], v[48:49]
	;; [unrolled: 3-line block ×4, first 2 shown]
	s_waitcnt vmcnt(17)
	v_mul_f64 v[80:81], v[40:41], v[56:57]
	v_mul_f64 v[56:57], v[42:43], v[56:57]
	s_waitcnt vmcnt(15) lgkmcnt(0)
	v_mul_f64 v[84:85], v[2:3], v[58:59]
	v_mul_f64 v[58:59], v[4:5], v[58:59]
	s_waitcnt vmcnt(14)
	v_fmac_f64_e32 v[82:83], v[46:47], v[54:55]
	s_waitcnt vmcnt(12)
	v_fmac_f64_e32 v[74:75], v[22:23], v[60:61]
	;; [unrolled: 2-line block ×3, first 2 shown]
	v_add_f64 v[34:35], v[74:75], 0
	s_waitcnt vmcnt(8)
	v_fma_f64 v[22:23], v[36:37], v[64:65], -v[50:51]
	v_fmac_f64_e32 v[78:79], v[38:39], v[64:65]
	v_add_f64 v[34:35], v[34:35], v[76:77]
	s_waitcnt vmcnt(6)
	v_fmac_f64_e32 v[80:81], v[42:43], v[66:67]
	s_waitcnt vmcnt(4)
	v_fmac_f64_e32 v[84:85], v[4:5], v[68:69]
	v_fma_f64 v[4:5], v[20:21], v[60:61], -v[24:25]
	v_fma_f64 v[20:21], v[32:33], v[62:63], -v[48:49]
	v_add_f64 v[4:5], v[4:5], 0
	v_add_f64 v[4:5], v[4:5], v[20:21]
	v_fma_f64 v[24:25], v[40:41], v[66:67], -v[56:57]
	v_add_f64 v[4:5], v[4:5], v[22:23]
	v_fma_f64 v[32:33], v[44:45], v[54:55], -v[52:53]
	v_add_f64 v[20:21], v[34:35], v[78:79]
	v_add_f64 v[4:5], v[4:5], v[24:25]
	v_fma_f64 v[2:3], v[2:3], v[68:69], -v[58:59]
	v_add_f64 v[20:21], v[20:21], v[80:81]
	v_add_f64 v[4:5], v[4:5], v[32:33]
	v_add_f64 v[20:21], v[20:21], v[82:83]
	v_add_f64 v[2:3], v[4:5], v[2:3]
	v_add_f64 v[20:21], v[20:21], v[84:85]
	s_waitcnt vmcnt(2)
	v_add_f64 v[2:3], v[70:71], -v[2:3]
	s_waitcnt vmcnt(0)
	v_add_f64 v[4:5], v[72:73], -v[20:21]
	buffer_store_dword v3, off, s[0:3], 0 offset:4
	buffer_store_dword v2, off, s[0:3], 0
	buffer_store_dword v5, off, s[0:3], 0 offset:12
	buffer_store_dword v4, off, s[0:3], 0 offset:8
	s_cbranch_vccz .LBB6_69
; %bb.56:
	v_pk_mov_b32 v[2:3], s[24:25], s[24:25] op_sel:[0,1]
	flat_load_dword v2, v[2:3] offset:20
	s_load_dwordx2 s[4:5], s[4:5], 0x4
	v_bfe_u32 v4, v0, 10, 10
	v_bfe_u32 v0, v0, 20, 10
	s_waitcnt lgkmcnt(0)
	s_lshr_b32 s4, s4, 16
	s_mul_i32 s4, s4, s5
	v_mul_u32_u24_e32 v3, s4, v31
	v_mul_u32_u24_e32 v4, s5, v4
	v_add3_u32 v0, v3, v4, v0
	v_mov_b32_e32 v3, 0xe8
	v_lshl_add_u32 v0, v0, 4, v3
	s_waitcnt vmcnt(0)
	v_add_u32_e32 v2, -1, v2
	v_cmp_ne_u32_e32 vcc, 5, v2
	s_and_saveexec_b64 s[4:5], vcc
	s_cbranch_execz .LBB6_58
; %bb.57:
	v_mov_b32_e32 v3, 0
	v_lshl_add_u32 v20, v2, 4, v3
	buffer_load_dword v2, v28, s[0:3], 0 offen
	buffer_load_dword v3, v28, s[0:3], 0 offen offset:4
	buffer_load_dword v4, v28, s[0:3], 0 offen offset:8
	buffer_load_dword v5, v28, s[0:3], 0 offen offset:12
	buffer_load_dword v21, v20, s[0:3], 0 offen
	buffer_load_dword v22, v20, s[0:3], 0 offen offset:4
	buffer_load_dword v23, v20, s[0:3], 0 offen offset:8
	buffer_load_dword v24, v20, s[0:3], 0 offen offset:12
	s_waitcnt vmcnt(4)
	ds_write2_b64 v0, v[2:3], v[4:5] offset1:1
	s_waitcnt vmcnt(3)
	buffer_store_dword v21, v28, s[0:3], 0 offen
	s_waitcnt vmcnt(3)
	buffer_store_dword v22, v28, s[0:3], 0 offen offset:4
	s_waitcnt vmcnt(3)
	buffer_store_dword v23, v28, s[0:3], 0 offen offset:8
	s_waitcnt vmcnt(3)
	buffer_store_dword v24, v28, s[0:3], 0 offen offset:12
	buffer_store_dword v5, v20, s[0:3], 0 offen offset:12
	buffer_store_dword v4, v20, s[0:3], 0 offen offset:8
	buffer_store_dword v3, v20, s[0:3], 0 offen offset:4
	buffer_store_dword v2, v20, s[0:3], 0 offen
.LBB6_58:
	s_or_b64 exec, exec, s[4:5]
	v_pk_mov_b32 v[2:3], s[24:25], s[24:25] op_sel:[0,1]
	flat_load_dword v2, v[2:3] offset:16
	s_waitcnt vmcnt(0) lgkmcnt(0)
	v_add_u32_e32 v2, -1, v2
	v_cmp_ne_u32_e32 vcc, 4, v2
	s_and_saveexec_b64 s[4:5], vcc
	s_cbranch_execz .LBB6_60
; %bb.59:
	v_mov_b32_e32 v3, 0
	v_lshl_add_u32 v20, v2, 4, v3
	buffer_load_dword v2, v1, s[0:3], 0 offen
	buffer_load_dword v3, v1, s[0:3], 0 offen offset:4
	buffer_load_dword v4, v1, s[0:3], 0 offen offset:8
	buffer_load_dword v5, v1, s[0:3], 0 offen offset:12
	buffer_load_dword v21, v20, s[0:3], 0 offen
	buffer_load_dword v22, v20, s[0:3], 0 offen offset:4
	buffer_load_dword v23, v20, s[0:3], 0 offen offset:8
	buffer_load_dword v24, v20, s[0:3], 0 offen offset:12
	s_waitcnt vmcnt(4)
	ds_write2_b64 v0, v[2:3], v[4:5] offset1:1
	s_waitcnt vmcnt(3)
	buffer_store_dword v21, v1, s[0:3], 0 offen
	s_waitcnt vmcnt(3)
	buffer_store_dword v22, v1, s[0:3], 0 offen offset:4
	s_waitcnt vmcnt(3)
	buffer_store_dword v23, v1, s[0:3], 0 offen offset:8
	s_waitcnt vmcnt(3)
	buffer_store_dword v24, v1, s[0:3], 0 offen offset:12
	buffer_store_dword v5, v20, s[0:3], 0 offen offset:12
	buffer_store_dword v4, v20, s[0:3], 0 offen offset:8
	buffer_store_dword v3, v20, s[0:3], 0 offen offset:4
	buffer_store_dword v2, v20, s[0:3], 0 offen
.LBB6_60:
	s_or_b64 exec, exec, s[4:5]
	v_pk_mov_b32 v[2:3], s[24:25], s[24:25] op_sel:[0,1]
	flat_load_dword v2, v[2:3] offset:12
	s_waitcnt vmcnt(0) lgkmcnt(0)
	;; [unrolled: 34-line block ×4, first 2 shown]
	v_add_u32_e32 v2, -1, v2
	v_cmp_ne_u32_e32 vcc, 1, v2
	s_and_saveexec_b64 s[4:5], vcc
	s_cbranch_execz .LBB6_66
; %bb.65:
	v_mov_b32_e32 v3, 0
	v_lshl_add_u32 v20, v2, 4, v3
	buffer_load_dword v2, v27, s[0:3], 0 offen
	buffer_load_dword v3, v27, s[0:3], 0 offen offset:4
	buffer_load_dword v4, v27, s[0:3], 0 offen offset:8
	;; [unrolled: 1-line block ×3, first 2 shown]
	buffer_load_dword v21, v20, s[0:3], 0 offen
	buffer_load_dword v22, v20, s[0:3], 0 offen offset:4
	buffer_load_dword v23, v20, s[0:3], 0 offen offset:8
	;; [unrolled: 1-line block ×3, first 2 shown]
	s_waitcnt vmcnt(4)
	ds_write2_b64 v0, v[2:3], v[4:5] offset1:1
	s_waitcnt vmcnt(3)
	buffer_store_dword v21, v27, s[0:3], 0 offen
	s_waitcnt vmcnt(3)
	buffer_store_dword v22, v27, s[0:3], 0 offen offset:4
	s_waitcnt vmcnt(3)
	buffer_store_dword v23, v27, s[0:3], 0 offen offset:8
	;; [unrolled: 2-line block ×3, first 2 shown]
	buffer_store_dword v5, v20, s[0:3], 0 offen offset:12
	buffer_store_dword v4, v20, s[0:3], 0 offen offset:8
	;; [unrolled: 1-line block ×3, first 2 shown]
	buffer_store_dword v2, v20, s[0:3], 0 offen
.LBB6_66:
	s_or_b64 exec, exec, s[4:5]
	v_pk_mov_b32 v[2:3], s[24:25], s[24:25] op_sel:[0,1]
	flat_load_dword v2, v[2:3]
	s_waitcnt vmcnt(0) lgkmcnt(0)
	v_add_u32_e32 v2, -1, v2
	v_cmp_ne_u32_e32 vcc, 0, v2
	s_and_saveexec_b64 s[4:5], vcc
	s_cbranch_execz .LBB6_68
; %bb.67:
	v_mov_b32_e32 v3, 0
	v_lshl_add_u32 v20, v2, 4, v3
	buffer_load_dword v2, off, s[0:3], 0
	buffer_load_dword v3, off, s[0:3], 0 offset:4
	buffer_load_dword v4, off, s[0:3], 0 offset:8
	;; [unrolled: 1-line block ×3, first 2 shown]
	buffer_load_dword v21, v20, s[0:3], 0 offen
	buffer_load_dword v22, v20, s[0:3], 0 offen offset:4
	buffer_load_dword v23, v20, s[0:3], 0 offen offset:8
	;; [unrolled: 1-line block ×3, first 2 shown]
	s_waitcnt vmcnt(4)
	ds_write2_b64 v0, v[2:3], v[4:5] offset1:1
	s_waitcnt vmcnt(3)
	buffer_store_dword v21, off, s[0:3], 0
	s_waitcnt vmcnt(3)
	buffer_store_dword v22, off, s[0:3], 0 offset:4
	s_waitcnt vmcnt(3)
	buffer_store_dword v23, off, s[0:3], 0 offset:8
	;; [unrolled: 2-line block ×3, first 2 shown]
	buffer_store_dword v5, v20, s[0:3], 0 offen offset:12
	buffer_store_dword v4, v20, s[0:3], 0 offen offset:8
	;; [unrolled: 1-line block ×3, first 2 shown]
	buffer_store_dword v2, v20, s[0:3], 0 offen
.LBB6_68:
	s_or_b64 exec, exec, s[4:5]
.LBB6_69:
	buffer_load_dword v2, off, s[0:3], 0
	buffer_load_dword v3, off, s[0:3], 0 offset:4
	buffer_load_dword v4, off, s[0:3], 0 offset:8
	;; [unrolled: 1-line block ×3, first 2 shown]
	buffer_load_dword v20, v27, s[0:3], 0 offen
	buffer_load_dword v21, v27, s[0:3], 0 offen offset:4
	buffer_load_dword v22, v27, s[0:3], 0 offen offset:8
	;; [unrolled: 1-line block ×6, first 2 shown]
	buffer_load_dword v36, v29, s[0:3], 0 offen
	buffer_load_dword v37, v29, s[0:3], 0 offen offset:4
	buffer_load_dword v38, v29, s[0:3], 0 offen offset:8
	buffer_load_dword v32, v26, s[0:3], 0 offen
	buffer_load_dword v39, v29, s[0:3], 0 offen offset:12
	buffer_load_dword v41, v1, s[0:3], 0 offen offset:4
	;; [unrolled: 1-line block ×4, first 2 shown]
                                        ; kill: killed $vgpr27
                                        ; kill: killed $vgpr29
                                        ; kill: killed $vgpr26
	buffer_load_dword v24, v28, s[0:3], 0 offen
	buffer_load_dword v25, v28, s[0:3], 0 offen offset:4
	buffer_load_dword v26, v28, s[0:3], 0 offen offset:8
	buffer_load_dword v40, v1, s[0:3], 0 offen
	buffer_load_dword v27, v28, s[0:3], 0 offen offset:12
	buffer_load_dword v44, v30, s[0:3], 0 offen
	buffer_load_dword v45, v30, s[0:3], 0 offen offset:4
	buffer_load_dword v46, v30, s[0:3], 0 offen offset:8
	;; [unrolled: 1-line block ×3, first 2 shown]
	s_waitcnt vmcnt(24)
	global_store_dwordx4 v[6:7], v[2:5], off
	s_waitcnt vmcnt(21)
	global_store_dwordx4 v[8:9], v[20:23], off
	;; [unrolled: 2-line block ×7, first 2 shown]
	s_endpgm
	.section	.rodata,"a",@progbits
	.p2align	6, 0x0
	.amdhsa_kernel _ZN9rocsolver6v33100L18getri_kernel_smallILi7E19rocblas_complex_numIdEPS3_EEvT1_iilPiilS6_bb
		.amdhsa_group_segment_fixed_size 1256
		.amdhsa_private_segment_fixed_size 128
		.amdhsa_kernarg_size 60
		.amdhsa_user_sgpr_count 10
		.amdhsa_user_sgpr_private_segment_buffer 1
		.amdhsa_user_sgpr_dispatch_ptr 1
		.amdhsa_user_sgpr_queue_ptr 0
		.amdhsa_user_sgpr_kernarg_segment_ptr 1
		.amdhsa_user_sgpr_dispatch_id 0
		.amdhsa_user_sgpr_flat_scratch_init 1
		.amdhsa_user_sgpr_kernarg_preload_length 0
		.amdhsa_user_sgpr_kernarg_preload_offset 0
		.amdhsa_user_sgpr_private_segment_size 0
		.amdhsa_uses_dynamic_stack 0
		.amdhsa_system_sgpr_private_segment_wavefront_offset 1
		.amdhsa_system_sgpr_workgroup_id_x 1
		.amdhsa_system_sgpr_workgroup_id_y 0
		.amdhsa_system_sgpr_workgroup_id_z 0
		.amdhsa_system_sgpr_workgroup_info 0
		.amdhsa_system_vgpr_workitem_id 2
		.amdhsa_next_free_vgpr 86
		.amdhsa_next_free_sgpr 28
		.amdhsa_accum_offset 88
		.amdhsa_reserve_vcc 1
		.amdhsa_reserve_flat_scratch 1
		.amdhsa_float_round_mode_32 0
		.amdhsa_float_round_mode_16_64 0
		.amdhsa_float_denorm_mode_32 3
		.amdhsa_float_denorm_mode_16_64 3
		.amdhsa_dx10_clamp 1
		.amdhsa_ieee_mode 1
		.amdhsa_fp16_overflow 0
		.amdhsa_tg_split 0
		.amdhsa_exception_fp_ieee_invalid_op 0
		.amdhsa_exception_fp_denorm_src 0
		.amdhsa_exception_fp_ieee_div_zero 0
		.amdhsa_exception_fp_ieee_overflow 0
		.amdhsa_exception_fp_ieee_underflow 0
		.amdhsa_exception_fp_ieee_inexact 0
		.amdhsa_exception_int_div_zero 0
	.end_amdhsa_kernel
	.section	.text._ZN9rocsolver6v33100L18getri_kernel_smallILi7E19rocblas_complex_numIdEPS3_EEvT1_iilPiilS6_bb,"axG",@progbits,_ZN9rocsolver6v33100L18getri_kernel_smallILi7E19rocblas_complex_numIdEPS3_EEvT1_iilPiilS6_bb,comdat
.Lfunc_end6:
	.size	_ZN9rocsolver6v33100L18getri_kernel_smallILi7E19rocblas_complex_numIdEPS3_EEvT1_iilPiilS6_bb, .Lfunc_end6-_ZN9rocsolver6v33100L18getri_kernel_smallILi7E19rocblas_complex_numIdEPS3_EEvT1_iilPiilS6_bb
                                        ; -- End function
	.section	.AMDGPU.csdata,"",@progbits
; Kernel info:
; codeLenInByte = 8196
; NumSgprs: 34
; NumVgprs: 86
; NumAgprs: 0
; TotalNumVgprs: 86
; ScratchSize: 128
; MemoryBound: 0
; FloatMode: 240
; IeeeMode: 1
; LDSByteSize: 1256 bytes/workgroup (compile time only)
; SGPRBlocks: 4
; VGPRBlocks: 10
; NumSGPRsForWavesPerEU: 34
; NumVGPRsForWavesPerEU: 86
; AccumOffset: 88
; Occupancy: 5
; WaveLimiterHint : 1
; COMPUTE_PGM_RSRC2:SCRATCH_EN: 1
; COMPUTE_PGM_RSRC2:USER_SGPR: 10
; COMPUTE_PGM_RSRC2:TRAP_HANDLER: 0
; COMPUTE_PGM_RSRC2:TGID_X_EN: 1
; COMPUTE_PGM_RSRC2:TGID_Y_EN: 0
; COMPUTE_PGM_RSRC2:TGID_Z_EN: 0
; COMPUTE_PGM_RSRC2:TIDIG_COMP_CNT: 2
; COMPUTE_PGM_RSRC3_GFX90A:ACCUM_OFFSET: 21
; COMPUTE_PGM_RSRC3_GFX90A:TG_SPLIT: 0
	.section	.text._ZN9rocsolver6v33100L18getri_kernel_smallILi8E19rocblas_complex_numIdEPS3_EEvT1_iilPiilS6_bb,"axG",@progbits,_ZN9rocsolver6v33100L18getri_kernel_smallILi8E19rocblas_complex_numIdEPS3_EEvT1_iilPiilS6_bb,comdat
	.globl	_ZN9rocsolver6v33100L18getri_kernel_smallILi8E19rocblas_complex_numIdEPS3_EEvT1_iilPiilS6_bb ; -- Begin function _ZN9rocsolver6v33100L18getri_kernel_smallILi8E19rocblas_complex_numIdEPS3_EEvT1_iilPiilS6_bb
	.p2align	8
	.type	_ZN9rocsolver6v33100L18getri_kernel_smallILi8E19rocblas_complex_numIdEPS3_EEvT1_iilPiilS6_bb,@function
_ZN9rocsolver6v33100L18getri_kernel_smallILi8E19rocblas_complex_numIdEPS3_EEvT1_iilPiilS6_bb: ; @_ZN9rocsolver6v33100L18getri_kernel_smallILi8E19rocblas_complex_numIdEPS3_EEvT1_iilPiilS6_bb
; %bb.0:
	s_add_u32 flat_scratch_lo, s8, s11
	s_addc_u32 flat_scratch_hi, s9, 0
	s_add_u32 s0, s0, s11
	v_and_b32_e32 v34, 0x3ff, v0
	s_addc_u32 s1, s1, 0
	v_cmp_gt_u32_e32 vcc, 8, v34
	s_and_saveexec_b64 s[8:9], vcc
	s_cbranch_execz .LBB7_46
; %bb.1:
	s_load_dword s8, s[6:7], 0x38
	s_load_dwordx4 s[20:23], s[6:7], 0x10
	s_load_dwordx4 s[12:15], s[6:7], 0x28
                                        ; implicit-def: $sgpr24_sgpr25
	s_waitcnt lgkmcnt(0)
	s_bitcmp1_b32 s8, 8
	s_cselect_b64 s[26:27], -1, 0
	s_ashr_i32 s11, s10, 31
	s_bfe_u32 s9, s8, 0x10008
	s_cmp_eq_u32 s9, 0
	s_cbranch_scc1 .LBB7_3
; %bb.2:
	s_load_dword s16, s[6:7], 0x20
	s_mul_i32 s9, s10, s13
	s_mul_hi_u32 s13, s10, s12
	s_mul_i32 s18, s11, s12
	s_add_i32 s9, s13, s9
	s_add_i32 s13, s9, s18
	s_mul_i32 s12, s10, s12
	s_waitcnt lgkmcnt(0)
	s_ashr_i32 s17, s16, 31
	s_lshl_b64 s[12:13], s[12:13], 2
	s_add_u32 s9, s22, s12
	s_addc_u32 s18, s23, s13
	s_lshl_b64 s[12:13], s[16:17], 2
	s_add_u32 s24, s9, s12
	s_addc_u32 s25, s18, s13
.LBB7_3:
	s_load_dwordx4 s[16:19], s[6:7], 0x0
	s_mul_i32 s6, s10, s21
	s_mul_hi_u32 s7, s10, s20
	s_add_i32 s9, s7, s6
	s_mul_i32 s12, s11, s20
	s_add_i32 s13, s9, s12
	s_mul_i32 s12, s10, s20
	s_waitcnt lgkmcnt(0)
	s_ashr_i32 s7, s18, 31
	s_lshl_b64 s[12:13], s[12:13], 4
	s_mov_b32 s6, s18
	s_add_u32 s9, s16, s12
	s_addc_u32 s12, s17, s13
	s_lshl_b64 s[6:7], s[6:7], 4
	s_add_u32 s6, s9, s6
	s_addc_u32 s7, s12, s7
	v_lshlrev_b32_e32 v35, 4, v34
	v_mov_b32_e32 v1, s7
	v_add_co_u32_e32 v6, vcc, s6, v35
	s_ashr_i32 s13, s19, 31
	s_mov_b32 s12, s19
	s_add_i32 s9, s19, s19
	v_addc_co_u32_e32 v7, vcc, 0, v1, vcc
	s_lshl_b64 s[12:13], s[12:13], 4
	v_add_u32_e32 v12, s9, v34
	v_mov_b32_e32 v1, s13
	v_add_co_u32_e32 v8, vcc, s12, v6
	v_ashrrev_i32_e32 v13, 31, v12
	v_addc_co_u32_e32 v9, vcc, v7, v1, vcc
	v_lshlrev_b64 v[10:11], 4, v[12:13]
	v_add_u32_e32 v14, s19, v12
	v_mov_b32_e32 v1, s7
	v_add_co_u32_e32 v10, vcc, s6, v10
	v_ashrrev_i32_e32 v15, 31, v14
	v_addc_co_u32_e32 v11, vcc, v1, v11, vcc
	v_lshlrev_b64 v[12:13], 4, v[14:15]
	v_add_u32_e32 v16, s19, v14
	v_add_co_u32_e32 v12, vcc, s6, v12
	v_ashrrev_i32_e32 v17, 31, v16
	v_addc_co_u32_e32 v13, vcc, v1, v13, vcc
	v_lshlrev_b64 v[14:15], 4, v[16:17]
	v_add_u32_e32 v18, s19, v16
	;; [unrolled: 5-line block ×4, first 2 shown]
	v_add_co_u32_e32 v18, vcc, s6, v18
	v_ashrrev_i32_e32 v21, 31, v20
	v_addc_co_u32_e32 v19, vcc, v1, v19, vcc
	v_lshlrev_b64 v[20:21], 4, v[20:21]
	v_add_co_u32_e32 v20, vcc, s6, v20
	global_load_dwordx4 v[2:5], v35, s[6:7]
	global_load_dwordx4 v[22:25], v[8:9], off
	global_load_dwordx4 v[26:29], v[10:11], off
	v_addc_co_u32_e32 v21, vcc, v1, v21, vcc
	global_load_dwordx4 v[36:39], v[12:13], off
	global_load_dwordx4 v[40:43], v[14:15], off
	;; [unrolled: 1-line block ×5, first 2 shown]
	v_mov_b32_e32 v31, 0
	v_add_u32_e32 v30, 16, v31
	v_add_u32_e32 v32, 32, v31
	;; [unrolled: 1-line block ×4, first 2 shown]
	s_bitcmp0_b32 s8, 0
	s_mov_b64 s[8:9], -1
	s_waitcnt vmcnt(7)
	buffer_store_dword v5, off, s[0:3], 0 offset:12
	buffer_store_dword v4, off, s[0:3], 0 offset:8
	;; [unrolled: 1-line block ×3, first 2 shown]
	buffer_store_dword v2, off, s[0:3], 0
	s_waitcnt vmcnt(10)
	buffer_store_dword v25, off, s[0:3], 0 offset:28
	buffer_store_dword v24, off, s[0:3], 0 offset:24
	;; [unrolled: 1-line block ×4, first 2 shown]
	s_waitcnt vmcnt(13)
	buffer_store_dword v29, off, s[0:3], 0 offset:44
	buffer_store_dword v28, off, s[0:3], 0 offset:40
	;; [unrolled: 1-line block ×4, first 2 shown]
	v_add_u32_e32 v28, 0x50, v31
	v_add_u32_e32 v29, 0x60, v31
	;; [unrolled: 1-line block ×3, first 2 shown]
	s_waitcnt vmcnt(16)
	buffer_store_dword v39, off, s[0:3], 0 offset:60
	buffer_store_dword v38, off, s[0:3], 0 offset:56
	buffer_store_dword v37, off, s[0:3], 0 offset:52
	buffer_store_dword v36, off, s[0:3], 0 offset:48
	s_waitcnt vmcnt(19)
	buffer_store_dword v43, off, s[0:3], 0 offset:76
	buffer_store_dword v42, off, s[0:3], 0 offset:72
	buffer_store_dword v41, off, s[0:3], 0 offset:68
	buffer_store_dword v40, off, s[0:3], 0 offset:64
	;; [unrolled: 5-line block ×5, first 2 shown]
	s_cbranch_scc1 .LBB7_44
; %bb.4:
	v_cmp_eq_u32_e64 s[6:7], 0, v34
	s_and_saveexec_b64 s[8:9], s[6:7]
	s_cbranch_execz .LBB7_6
; %bb.5:
	v_mov_b32_e32 v2, 0
	ds_write_b32 v2, v2 offset:256
.LBB7_6:
	s_or_b64 exec, exec, s[8:9]
	v_mov_b32_e32 v2, 0
	v_lshl_add_u32 v36, v34, 4, v2
	s_waitcnt lgkmcnt(0)
	; wave barrier
	s_waitcnt lgkmcnt(0)
	buffer_load_dword v2, v36, s[0:3], 0 offen
	buffer_load_dword v3, v36, s[0:3], 0 offen offset:4
	buffer_load_dword v4, v36, s[0:3], 0 offen offset:8
	;; [unrolled: 1-line block ×3, first 2 shown]
	s_waitcnt vmcnt(2)
	v_cmp_eq_f64_e32 vcc, 0, v[2:3]
	s_waitcnt vmcnt(0)
	v_cmp_eq_f64_e64 s[8:9], 0, v[4:5]
	s_and_b64 s[8:9], vcc, s[8:9]
	s_and_saveexec_b64 s[12:13], s[8:9]
	s_cbranch_execz .LBB7_10
; %bb.7:
	v_mov_b32_e32 v2, 0
	ds_read_b32 v4, v2 offset:256
	v_add_u32_e32 v3, 1, v34
	s_waitcnt lgkmcnt(0)
	v_readfirstlane_b32 s8, v4
	s_cmp_eq_u32 s8, 0
	s_cselect_b64 s[16:17], -1, 0
	v_cmp_gt_i32_e32 vcc, s8, v3
	s_or_b64 s[16:17], s[16:17], vcc
	s_and_b64 exec, exec, s[16:17]
	s_cbranch_execz .LBB7_10
; %bb.8:
	s_mov_b64 s[16:17], 0
	v_mov_b32_e32 v4, s8
.LBB7_9:                                ; =>This Inner Loop Header: Depth=1
	ds_cmpst_rtn_b32 v4, v2, v4, v3 offset:256
	s_waitcnt lgkmcnt(0)
	v_cmp_ne_u32_e32 vcc, 0, v4
	v_cmp_le_i32_e64 s[8:9], v4, v3
	s_and_b64 s[8:9], vcc, s[8:9]
	s_and_b64 s[8:9], exec, s[8:9]
	s_or_b64 s[16:17], s[8:9], s[16:17]
	s_andn2_b64 exec, exec, s[16:17]
	s_cbranch_execnz .LBB7_9
.LBB7_10:
	s_or_b64 exec, exec, s[12:13]
	v_mov_b32_e32 v3, 0
	s_waitcnt lgkmcnt(0)
	; wave barrier
	ds_read_b32 v2, v3 offset:256
	s_and_saveexec_b64 s[8:9], s[6:7]
	s_cbranch_execz .LBB7_12
; %bb.11:
	s_lshl_b64 s[12:13], s[10:11], 2
	s_add_u32 s12, s14, s12
	s_addc_u32 s13, s15, s13
	s_waitcnt lgkmcnt(0)
	global_store_dword v3, v2, s[12:13]
.LBB7_12:
	s_or_b64 exec, exec, s[8:9]
	s_waitcnt lgkmcnt(0)
	v_cmp_ne_u32_e32 vcc, 0, v2
	s_mov_b64 s[8:9], 0
	s_cbranch_vccnz .LBB7_44
; %bb.13:
	buffer_load_dword v23, v36, s[0:3], 0 offen offset:4
	buffer_load_dword v22, v36, s[0:3], 0 offen
	buffer_load_dword v25, v36, s[0:3], 0 offen offset:12
	buffer_load_dword v24, v36, s[0:3], 0 offen offset:8
                                        ; implicit-def: $vgpr26_vgpr27
	s_waitcnt vmcnt(3)
	v_xor_b32_e32 v3, 0x80000000, v23
	s_waitcnt vmcnt(2)
	v_cmp_gt_f64_e32 vcc, 0, v[22:23]
	s_waitcnt vmcnt(1)
	v_xor_b32_e32 v4, 0x80000000, v25
	v_cndmask_b32_e32 v3, v23, v3, vcc
	s_waitcnt vmcnt(0)
	v_cmp_gt_f64_e32 vcc, 0, v[24:25]
	v_mov_b32_e32 v2, v22
	v_cndmask_b32_e32 v5, v25, v4, vcc
	v_mov_b32_e32 v4, v24
	v_cmp_ngt_f64_e32 vcc, v[2:3], v[4:5]
                                        ; implicit-def: $vgpr4_vgpr5
	s_and_saveexec_b64 s[8:9], vcc
	s_xor_b64 s[8:9], exec, s[8:9]
	s_cbranch_execz .LBB7_15
; %bb.14:
	v_div_scale_f64 v[2:3], s[12:13], v[24:25], v[24:25], v[22:23]
	v_rcp_f64_e32 v[4:5], v[2:3]
	v_div_scale_f64 v[26:27], vcc, v[22:23], v[24:25], v[22:23]
	v_fma_f64 v[38:39], -v[2:3], v[4:5], 1.0
	v_fmac_f64_e32 v[4:5], v[4:5], v[38:39]
	v_fma_f64 v[38:39], -v[2:3], v[4:5], 1.0
	v_fmac_f64_e32 v[4:5], v[4:5], v[38:39]
	v_mul_f64 v[38:39], v[26:27], v[4:5]
	v_fma_f64 v[2:3], -v[2:3], v[38:39], v[26:27]
	v_div_fmas_f64 v[2:3], v[2:3], v[4:5], v[38:39]
	v_div_fixup_f64 v[2:3], v[2:3], v[24:25], v[22:23]
	v_fmac_f64_e32 v[24:25], v[22:23], v[2:3]
	v_div_scale_f64 v[4:5], s[12:13], v[24:25], v[24:25], 1.0
	v_rcp_f64_e32 v[22:23], v[4:5]
	v_fma_f64 v[26:27], -v[4:5], v[22:23], 1.0
	v_fmac_f64_e32 v[22:23], v[22:23], v[26:27]
	v_fma_f64 v[26:27], -v[4:5], v[22:23], 1.0
	v_fmac_f64_e32 v[22:23], v[22:23], v[26:27]
	v_div_scale_f64 v[26:27], vcc, 1.0, v[24:25], 1.0
	v_mul_f64 v[38:39], v[26:27], v[22:23]
	v_fma_f64 v[4:5], -v[4:5], v[38:39], v[26:27]
	s_nop 1
	v_div_fmas_f64 v[4:5], v[4:5], v[22:23], v[38:39]
	v_div_fixup_f64 v[4:5], v[4:5], v[24:25], 1.0
	v_mul_f64 v[26:27], v[2:3], v[4:5]
	v_xor_b32_e32 v5, 0x80000000, v5
	v_xor_b32_e32 v3, 0x80000000, v27
	v_mov_b32_e32 v2, v26
                                        ; implicit-def: $vgpr22_vgpr23
                                        ; implicit-def: $vgpr24_vgpr25
.LBB7_15:
	s_andn2_saveexec_b64 s[8:9], s[8:9]
	s_cbranch_execz .LBB7_17
; %bb.16:
	v_div_scale_f64 v[2:3], s[12:13], v[22:23], v[22:23], v[24:25]
	v_rcp_f64_e32 v[4:5], v[2:3]
	v_div_scale_f64 v[26:27], vcc, v[24:25], v[22:23], v[24:25]
	v_fma_f64 v[38:39], -v[2:3], v[4:5], 1.0
	v_fmac_f64_e32 v[4:5], v[4:5], v[38:39]
	v_fma_f64 v[38:39], -v[2:3], v[4:5], 1.0
	v_fmac_f64_e32 v[4:5], v[4:5], v[38:39]
	v_mul_f64 v[38:39], v[26:27], v[4:5]
	v_fma_f64 v[2:3], -v[2:3], v[38:39], v[26:27]
	v_div_fmas_f64 v[2:3], v[2:3], v[4:5], v[38:39]
	v_div_fixup_f64 v[4:5], v[2:3], v[22:23], v[24:25]
	v_fmac_f64_e32 v[22:23], v[24:25], v[4:5]
	v_div_scale_f64 v[2:3], s[12:13], v[22:23], v[22:23], 1.0
	v_rcp_f64_e32 v[24:25], v[2:3]
	v_fma_f64 v[26:27], -v[2:3], v[24:25], 1.0
	v_fmac_f64_e32 v[24:25], v[24:25], v[26:27]
	v_fma_f64 v[26:27], -v[2:3], v[24:25], 1.0
	v_fmac_f64_e32 v[24:25], v[24:25], v[26:27]
	v_div_scale_f64 v[26:27], vcc, 1.0, v[22:23], 1.0
	v_mul_f64 v[38:39], v[26:27], v[24:25]
	v_fma_f64 v[2:3], -v[2:3], v[38:39], v[26:27]
	s_nop 1
	v_div_fmas_f64 v[2:3], v[2:3], v[24:25], v[38:39]
	v_div_fixup_f64 v[26:27], v[2:3], v[22:23], 1.0
	v_xor_b32_e32 v3, 0x80000000, v27
	v_mov_b32_e32 v2, v26
	v_mul_f64 v[4:5], v[4:5], -v[26:27]
.LBB7_17:
	s_or_b64 exec, exec, s[8:9]
	buffer_store_dword v27, v36, s[0:3], 0 offen offset:4
	buffer_store_dword v26, v36, s[0:3], 0 offen
	buffer_store_dword v5, v36, s[0:3], 0 offen offset:12
	buffer_store_dword v4, v36, s[0:3], 0 offen offset:8
	buffer_load_dword v27, v30, s[0:3], 0 offen offset:12
	s_nop 0
	buffer_load_dword v26, v30, s[0:3], 0 offen offset:8
	buffer_load_dword v25, v30, s[0:3], 0 offen offset:4
	buffer_load_dword v24, v30, s[0:3], 0 offen
	v_xor_b32_e32 v5, 0x80000000, v5
	v_add_u32_e32 v22, 0x80, v35
	ds_write_b128 v35, v[2:5]
	s_waitcnt vmcnt(0)
	ds_write_b128 v35, v[24:27] offset:128
	s_waitcnt lgkmcnt(0)
	; wave barrier
	s_waitcnt lgkmcnt(0)
	s_and_saveexec_b64 s[8:9], s[6:7]
	s_cbranch_execz .LBB7_19
; %bb.18:
	buffer_load_dword v38, v36, s[0:3], 0 offen offset:8
	buffer_load_dword v39, v36, s[0:3], 0 offen offset:12
	buffer_load_dword v40, v36, s[0:3], 0 offen
	buffer_load_dword v41, v36, s[0:3], 0 offen offset:4
	ds_read_b128 v[2:5], v22
	v_mov_b32_e32 v23, 0
	ds_read_b128 v[24:27], v23 offset:16
	s_waitcnt vmcnt(2) lgkmcnt(1)
	v_mul_f64 v[42:43], v[4:5], v[38:39]
	v_mul_f64 v[38:39], v[2:3], v[38:39]
	s_waitcnt vmcnt(0)
	v_fmac_f64_e32 v[38:39], v[4:5], v[40:41]
	v_fma_f64 v[2:3], v[2:3], v[40:41], -v[42:43]
	v_add_f64 v[4:5], v[38:39], 0
	v_add_f64 v[2:3], v[2:3], 0
	s_waitcnt lgkmcnt(0)
	v_mul_f64 v[38:39], v[4:5], v[26:27]
	v_mul_f64 v[26:27], v[2:3], v[26:27]
	v_fma_f64 v[2:3], v[2:3], v[24:25], -v[38:39]
	v_fmac_f64_e32 v[26:27], v[4:5], v[24:25]
	buffer_store_dword v2, off, s[0:3], 0 offset:16
	buffer_store_dword v3, off, s[0:3], 0 offset:20
	;; [unrolled: 1-line block ×4, first 2 shown]
.LBB7_19:
	s_or_b64 exec, exec, s[8:9]
	s_waitcnt lgkmcnt(0)
	; wave barrier
	buffer_load_dword v2, v32, s[0:3], 0 offen
	buffer_load_dword v3, v32, s[0:3], 0 offen offset:4
	buffer_load_dword v4, v32, s[0:3], 0 offen offset:8
	buffer_load_dword v5, v32, s[0:3], 0 offen offset:12
	v_cmp_gt_u32_e32 vcc, 2, v34
	s_waitcnt vmcnt(0)
	ds_write_b128 v22, v[2:5]
	s_waitcnt lgkmcnt(0)
	; wave barrier
	s_waitcnt lgkmcnt(0)
	s_and_saveexec_b64 s[8:9], vcc
	s_cbranch_execz .LBB7_23
; %bb.20:
	buffer_load_dword v24, v36, s[0:3], 0 offen offset:8
	buffer_load_dword v25, v36, s[0:3], 0 offen offset:12
	buffer_load_dword v26, v36, s[0:3], 0 offen
	buffer_load_dword v27, v36, s[0:3], 0 offen offset:4
	ds_read_b128 v[2:5], v22
	s_waitcnt vmcnt(2) lgkmcnt(0)
	v_mul_f64 v[36:37], v[4:5], v[24:25]
	v_mul_f64 v[24:25], v[2:3], v[24:25]
	s_waitcnt vmcnt(0)
	v_fma_f64 v[2:3], v[2:3], v[26:27], -v[36:37]
	v_fmac_f64_e32 v[24:25], v[4:5], v[26:27]
	v_add_f64 v[4:5], v[2:3], 0
	v_add_f64 v[2:3], v[24:25], 0
	s_and_saveexec_b64 s[12:13], s[6:7]
	s_cbranch_execz .LBB7_22
; %bb.21:
	buffer_load_dword v36, off, s[0:3], 0 offset:24
	buffer_load_dword v37, off, s[0:3], 0 offset:28
	;; [unrolled: 1-line block ×4, first 2 shown]
	v_mov_b32_e32 v23, 0
	ds_read_b128 v[24:27], v23 offset:144
	s_waitcnt vmcnt(2) lgkmcnt(0)
	v_mul_f64 v[40:41], v[24:25], v[36:37]
	v_mul_f64 v[36:37], v[26:27], v[36:37]
	s_waitcnt vmcnt(0)
	v_fmac_f64_e32 v[40:41], v[26:27], v[38:39]
	v_fma_f64 v[24:25], v[24:25], v[38:39], -v[36:37]
	v_add_f64 v[2:3], v[2:3], v[40:41]
	v_add_f64 v[4:5], v[4:5], v[24:25]
.LBB7_22:
	s_or_b64 exec, exec, s[12:13]
	v_mov_b32_e32 v23, 0
	ds_read_b128 v[24:27], v23 offset:32
	s_waitcnt lgkmcnt(0)
	v_mul_f64 v[36:37], v[2:3], v[26:27]
	v_mul_f64 v[26:27], v[4:5], v[26:27]
	v_fma_f64 v[4:5], v[4:5], v[24:25], -v[36:37]
	v_fmac_f64_e32 v[26:27], v[2:3], v[24:25]
	buffer_store_dword v5, off, s[0:3], 0 offset:36
	buffer_store_dword v4, off, s[0:3], 0 offset:32
	;; [unrolled: 1-line block ×4, first 2 shown]
.LBB7_23:
	s_or_b64 exec, exec, s[8:9]
	s_waitcnt lgkmcnt(0)
	; wave barrier
	buffer_load_dword v2, v33, s[0:3], 0 offen
	buffer_load_dword v3, v33, s[0:3], 0 offen offset:4
	buffer_load_dword v4, v33, s[0:3], 0 offen offset:8
	;; [unrolled: 1-line block ×3, first 2 shown]
	v_cmp_gt_u32_e32 vcc, 3, v34
	v_add_u32_e32 v23, -1, v34
	s_waitcnt vmcnt(0)
	ds_write_b128 v22, v[2:5]
	s_waitcnt lgkmcnt(0)
	; wave barrier
	s_waitcnt lgkmcnt(0)
	s_and_saveexec_b64 s[6:7], vcc
	s_cbranch_execz .LBB7_27
; %bb.24:
	v_pk_mov_b32 v[2:3], 0, 0
	v_add_u32_e32 v24, -1, v34
	v_add_u32_e32 v25, 0x80, v35
	v_add_u32_e32 v26, 0, v35
	s_mov_b64 s[8:9], 0
	v_pk_mov_b32 v[4:5], v[2:3], v[2:3] op_sel:[0,1]
.LBB7_25:                               ; =>This Inner Loop Header: Depth=1
	buffer_load_dword v40, v26, s[0:3], 0 offen offset:8
	buffer_load_dword v41, v26, s[0:3], 0 offen offset:12
	buffer_load_dword v42, v26, s[0:3], 0 offen
	buffer_load_dword v43, v26, s[0:3], 0 offen offset:4
	ds_read_b128 v[36:39], v25
	v_add_u32_e32 v24, 1, v24
	v_cmp_lt_u32_e32 vcc, 1, v24
	v_add_u32_e32 v25, 16, v25
	v_add_u32_e32 v26, 16, v26
	s_or_b64 s[8:9], vcc, s[8:9]
	s_waitcnt vmcnt(2) lgkmcnt(0)
	v_mul_f64 v[44:45], v[38:39], v[40:41]
	v_mul_f64 v[40:41], v[36:37], v[40:41]
	s_waitcnt vmcnt(0)
	v_fma_f64 v[36:37], v[36:37], v[42:43], -v[44:45]
	v_fmac_f64_e32 v[40:41], v[38:39], v[42:43]
	v_add_f64 v[4:5], v[4:5], v[36:37]
	v_add_f64 v[2:3], v[2:3], v[40:41]
	s_andn2_b64 exec, exec, s[8:9]
	s_cbranch_execnz .LBB7_25
; %bb.26:
	s_or_b64 exec, exec, s[8:9]
	v_mov_b32_e32 v24, 0
	ds_read_b128 v[24:27], v24 offset:48
	s_waitcnt lgkmcnt(0)
	v_mul_f64 v[36:37], v[2:3], v[26:27]
	v_mul_f64 v[26:27], v[4:5], v[26:27]
	v_fma_f64 v[4:5], v[4:5], v[24:25], -v[36:37]
	v_fmac_f64_e32 v[26:27], v[2:3], v[24:25]
	buffer_store_dword v5, off, s[0:3], 0 offset:52
	buffer_store_dword v4, off, s[0:3], 0 offset:48
	buffer_store_dword v27, off, s[0:3], 0 offset:60
	buffer_store_dword v26, off, s[0:3], 0 offset:56
.LBB7_27:
	s_or_b64 exec, exec, s[6:7]
	s_waitcnt lgkmcnt(0)
	; wave barrier
	buffer_load_dword v2, v1, s[0:3], 0 offen
	buffer_load_dword v3, v1, s[0:3], 0 offen offset:4
	buffer_load_dword v4, v1, s[0:3], 0 offen offset:8
	buffer_load_dword v5, v1, s[0:3], 0 offen offset:12
	v_cmp_gt_u32_e32 vcc, 4, v34
	s_waitcnt vmcnt(0)
	ds_write_b128 v22, v[2:5]
	s_waitcnt lgkmcnt(0)
	; wave barrier
	s_waitcnt lgkmcnt(0)
	s_and_saveexec_b64 s[6:7], vcc
	s_cbranch_execz .LBB7_31
; %bb.28:
	v_pk_mov_b32 v[2:3], 0, 0
	v_add_u32_e32 v24, -1, v34
	v_add_u32_e32 v25, 0x80, v35
	v_add_u32_e32 v26, 0, v35
	s_mov_b64 s[8:9], 0
	v_pk_mov_b32 v[4:5], v[2:3], v[2:3] op_sel:[0,1]
.LBB7_29:                               ; =>This Inner Loop Header: Depth=1
	buffer_load_dword v40, v26, s[0:3], 0 offen offset:8
	buffer_load_dword v41, v26, s[0:3], 0 offen offset:12
	buffer_load_dword v42, v26, s[0:3], 0 offen
	buffer_load_dword v43, v26, s[0:3], 0 offen offset:4
	ds_read_b128 v[36:39], v25
	v_add_u32_e32 v24, 1, v24
	v_cmp_lt_u32_e32 vcc, 2, v24
	v_add_u32_e32 v25, 16, v25
	v_add_u32_e32 v26, 16, v26
	s_or_b64 s[8:9], vcc, s[8:9]
	s_waitcnt vmcnt(2) lgkmcnt(0)
	v_mul_f64 v[44:45], v[38:39], v[40:41]
	v_mul_f64 v[40:41], v[36:37], v[40:41]
	s_waitcnt vmcnt(0)
	v_fma_f64 v[36:37], v[36:37], v[42:43], -v[44:45]
	v_fmac_f64_e32 v[40:41], v[38:39], v[42:43]
	v_add_f64 v[4:5], v[4:5], v[36:37]
	v_add_f64 v[2:3], v[2:3], v[40:41]
	s_andn2_b64 exec, exec, s[8:9]
	s_cbranch_execnz .LBB7_29
; %bb.30:
	s_or_b64 exec, exec, s[8:9]
	v_mov_b32_e32 v24, 0
	ds_read_b128 v[24:27], v24 offset:64
	s_waitcnt lgkmcnt(0)
	v_mul_f64 v[36:37], v[2:3], v[26:27]
	v_mul_f64 v[26:27], v[4:5], v[26:27]
	v_fma_f64 v[4:5], v[4:5], v[24:25], -v[36:37]
	v_fmac_f64_e32 v[26:27], v[2:3], v[24:25]
	buffer_store_dword v5, off, s[0:3], 0 offset:68
	buffer_store_dword v4, off, s[0:3], 0 offset:64
	buffer_store_dword v27, off, s[0:3], 0 offset:76
	buffer_store_dword v26, off, s[0:3], 0 offset:72
.LBB7_31:
	s_or_b64 exec, exec, s[6:7]
	s_waitcnt lgkmcnt(0)
	; wave barrier
	buffer_load_dword v2, v28, s[0:3], 0 offen
	buffer_load_dword v3, v28, s[0:3], 0 offen offset:4
	buffer_load_dword v4, v28, s[0:3], 0 offen offset:8
	buffer_load_dword v5, v28, s[0:3], 0 offen offset:12
	v_cmp_gt_u32_e32 vcc, 5, v34
	;; [unrolled: 57-line block ×3, first 2 shown]
	s_waitcnt vmcnt(0)
	ds_write_b128 v22, v[2:5]
	s_waitcnt lgkmcnt(0)
	; wave barrier
	s_waitcnt lgkmcnt(0)
	s_and_saveexec_b64 s[6:7], vcc
	s_cbranch_execz .LBB7_39
; %bb.36:
	v_pk_mov_b32 v[2:3], 0, 0
	v_add_u32_e32 v24, -1, v34
	v_add_u32_e32 v25, 0x80, v35
	v_add_u32_e32 v26, 0, v35
	s_mov_b64 s[8:9], 0
	v_pk_mov_b32 v[4:5], v[2:3], v[2:3] op_sel:[0,1]
.LBB7_37:                               ; =>This Inner Loop Header: Depth=1
	buffer_load_dword v40, v26, s[0:3], 0 offen offset:8
	buffer_load_dword v41, v26, s[0:3], 0 offen offset:12
	buffer_load_dword v42, v26, s[0:3], 0 offen
	buffer_load_dword v43, v26, s[0:3], 0 offen offset:4
	ds_read_b128 v[36:39], v25
	v_add_u32_e32 v24, 1, v24
	v_cmp_lt_u32_e32 vcc, 4, v24
	v_add_u32_e32 v25, 16, v25
	v_add_u32_e32 v26, 16, v26
	s_or_b64 s[8:9], vcc, s[8:9]
	s_waitcnt vmcnt(2) lgkmcnt(0)
	v_mul_f64 v[44:45], v[38:39], v[40:41]
	v_mul_f64 v[40:41], v[36:37], v[40:41]
	s_waitcnt vmcnt(0)
	v_fma_f64 v[36:37], v[36:37], v[42:43], -v[44:45]
	v_fmac_f64_e32 v[40:41], v[38:39], v[42:43]
	v_add_f64 v[4:5], v[4:5], v[36:37]
	v_add_f64 v[2:3], v[2:3], v[40:41]
	s_andn2_b64 exec, exec, s[8:9]
	s_cbranch_execnz .LBB7_37
; %bb.38:
	s_or_b64 exec, exec, s[8:9]
	v_mov_b32_e32 v24, 0
	ds_read_b128 v[24:27], v24 offset:96
	s_waitcnt lgkmcnt(0)
	v_mul_f64 v[36:37], v[2:3], v[26:27]
	v_mul_f64 v[26:27], v[4:5], v[26:27]
	v_fma_f64 v[4:5], v[4:5], v[24:25], -v[36:37]
	v_fmac_f64_e32 v[26:27], v[2:3], v[24:25]
	buffer_store_dword v5, off, s[0:3], 0 offset:100
	buffer_store_dword v4, off, s[0:3], 0 offset:96
	;; [unrolled: 1-line block ×4, first 2 shown]
.LBB7_39:
	s_or_b64 exec, exec, s[6:7]
	s_waitcnt lgkmcnt(0)
	; wave barrier
	buffer_load_dword v2, v31, s[0:3], 0 offen
	buffer_load_dword v3, v31, s[0:3], 0 offen offset:4
	buffer_load_dword v4, v31, s[0:3], 0 offen offset:8
	;; [unrolled: 1-line block ×3, first 2 shown]
	v_cmp_ne_u32_e32 vcc, 7, v34
	s_waitcnt vmcnt(0)
	ds_write_b128 v22, v[2:5]
	s_waitcnt lgkmcnt(0)
	; wave barrier
	s_waitcnt lgkmcnt(0)
	s_and_saveexec_b64 s[6:7], vcc
	s_cbranch_execz .LBB7_43
; %bb.40:
	v_pk_mov_b32 v[2:3], 0, 0
	v_add_u32_e32 v22, 0x80, v35
	v_add_u32_e32 v24, 0, v35
	s_mov_b64 s[8:9], 0
	v_pk_mov_b32 v[4:5], v[2:3], v[2:3] op_sel:[0,1]
.LBB7_41:                               ; =>This Inner Loop Header: Depth=1
	buffer_load_dword v26, v24, s[0:3], 0 offen offset:8
	buffer_load_dword v27, v24, s[0:3], 0 offen offset:12
	buffer_load_dword v40, v24, s[0:3], 0 offen
	buffer_load_dword v41, v24, s[0:3], 0 offen offset:4
	ds_read_b128 v[36:39], v22
	v_add_u32_e32 v23, 1, v23
	v_cmp_lt_u32_e32 vcc, 5, v23
	v_add_u32_e32 v22, 16, v22
	v_add_u32_e32 v24, 16, v24
	s_or_b64 s[8:9], vcc, s[8:9]
	s_waitcnt vmcnt(2) lgkmcnt(0)
	v_mul_f64 v[42:43], v[38:39], v[26:27]
	v_mul_f64 v[26:27], v[36:37], v[26:27]
	s_waitcnt vmcnt(0)
	v_fma_f64 v[36:37], v[36:37], v[40:41], -v[42:43]
	v_fmac_f64_e32 v[26:27], v[38:39], v[40:41]
	v_add_f64 v[4:5], v[4:5], v[36:37]
	v_add_f64 v[2:3], v[2:3], v[26:27]
	s_andn2_b64 exec, exec, s[8:9]
	s_cbranch_execnz .LBB7_41
; %bb.42:
	s_or_b64 exec, exec, s[8:9]
	v_mov_b32_e32 v22, 0
	ds_read_b128 v[22:25], v22 offset:112
	s_waitcnt lgkmcnt(0)
	v_mul_f64 v[26:27], v[2:3], v[24:25]
	v_mul_f64 v[24:25], v[4:5], v[24:25]
	v_fma_f64 v[4:5], v[4:5], v[22:23], -v[26:27]
	v_fmac_f64_e32 v[24:25], v[2:3], v[22:23]
	buffer_store_dword v5, off, s[0:3], 0 offset:116
	buffer_store_dword v4, off, s[0:3], 0 offset:112
	;; [unrolled: 1-line block ×4, first 2 shown]
.LBB7_43:
	s_or_b64 exec, exec, s[6:7]
	s_mov_b64 s[8:9], -1
	s_waitcnt lgkmcnt(0)
	; wave barrier
.LBB7_44:
	s_and_b64 vcc, exec, s[8:9]
	s_cbranch_vccz .LBB7_46
; %bb.45:
	s_lshl_b64 s[6:7], s[10:11], 2
	s_add_u32 s6, s14, s6
	s_addc_u32 s7, s15, s7
	v_mov_b32_e32 v2, 0
	global_load_dword v2, v2, s[6:7]
	s_waitcnt vmcnt(0)
	v_cmp_ne_u32_e32 vcc, 0, v2
	s_cbranch_vccz .LBB7_47
.LBB7_46:
	s_endpgm
.LBB7_47:
	v_mov_b32_e32 v2, 0x80
	v_lshl_add_u32 v2, v34, 4, v2
	v_cmp_eq_u32_e32 vcc, 7, v34
	s_and_saveexec_b64 s[6:7], vcc
	s_cbranch_execz .LBB7_49
; %bb.48:
	buffer_load_dword v22, v29, s[0:3], 0 offen
	buffer_load_dword v23, v29, s[0:3], 0 offen offset:4
	buffer_load_dword v24, v29, s[0:3], 0 offen offset:8
	;; [unrolled: 1-line block ×3, first 2 shown]
	v_mov_b32_e32 v3, 0
	buffer_store_dword v3, off, s[0:3], 0 offset:96
	buffer_store_dword v3, off, s[0:3], 0 offset:100
	buffer_store_dword v3, off, s[0:3], 0 offset:104
	buffer_store_dword v3, off, s[0:3], 0 offset:108
	s_waitcnt vmcnt(4)
	ds_write_b128 v2, v[22:25]
.LBB7_49:
	s_or_b64 exec, exec, s[6:7]
	s_waitcnt lgkmcnt(0)
	; wave barrier
	s_waitcnt lgkmcnt(0)
	buffer_load_dword v4, off, s[0:3], 0 offset:120
	buffer_load_dword v5, off, s[0:3], 0 offset:124
	;; [unrolled: 1-line block ×8, first 2 shown]
	v_mov_b32_e32 v3, 0
	ds_read_b128 v[22:25], v3 offset:240
	v_cmp_lt_u32_e32 vcc, 5, v34
	s_waitcnt vmcnt(6) lgkmcnt(0)
	v_mul_f64 v[40:41], v[22:23], v[4:5]
	v_mul_f64 v[4:5], v[24:25], v[4:5]
	s_waitcnt vmcnt(4)
	v_fma_f64 v[4:5], v[22:23], v[26:27], -v[4:5]
	v_fmac_f64_e32 v[40:41], v[24:25], v[26:27]
	v_add_f64 v[4:5], v[4:5], 0
	v_add_f64 v[22:23], v[40:41], 0
	s_waitcnt vmcnt(2)
	v_add_f64 v[4:5], v[36:37], -v[4:5]
	s_waitcnt vmcnt(0)
	v_add_f64 v[22:23], v[38:39], -v[22:23]
	buffer_store_dword v4, off, s[0:3], 0 offset:96
	buffer_store_dword v5, off, s[0:3], 0 offset:100
	;; [unrolled: 1-line block ×4, first 2 shown]
	s_and_saveexec_b64 s[6:7], vcc
	s_cbranch_execz .LBB7_51
; %bb.50:
	buffer_load_dword v22, v28, s[0:3], 0 offen
	buffer_load_dword v23, v28, s[0:3], 0 offen offset:4
	buffer_load_dword v24, v28, s[0:3], 0 offen offset:8
	;; [unrolled: 1-line block ×3, first 2 shown]
	s_nop 0
	buffer_store_dword v3, off, s[0:3], 0 offset:80
	buffer_store_dword v3, off, s[0:3], 0 offset:84
	buffer_store_dword v3, off, s[0:3], 0 offset:88
	buffer_store_dword v3, off, s[0:3], 0 offset:92
	s_waitcnt vmcnt(4)
	ds_write_b128 v2, v[22:25]
.LBB7_51:
	s_or_b64 exec, exec, s[6:7]
	s_waitcnt lgkmcnt(0)
	; wave barrier
	s_waitcnt lgkmcnt(0)
	buffer_load_dword v4, off, s[0:3], 0 offset:104
	buffer_load_dword v5, off, s[0:3], 0 offset:108
	;; [unrolled: 1-line block ×12, first 2 shown]
	ds_read_b128 v[22:25], v3 offset:224
	ds_read_b128 v[36:39], v3 offset:240
	v_cmp_lt_u32_e32 vcc, 4, v34
	s_waitcnt vmcnt(10) lgkmcnt(1)
	v_mul_f64 v[48:49], v[22:23], v[4:5]
	v_mul_f64 v[4:5], v[24:25], v[4:5]
	s_waitcnt vmcnt(8) lgkmcnt(0)
	v_mul_f64 v[50:51], v[36:37], v[26:27]
	v_mul_f64 v[26:27], v[38:39], v[26:27]
	s_waitcnt vmcnt(6)
	v_fma_f64 v[4:5], v[22:23], v[40:41], -v[4:5]
	v_fmac_f64_e32 v[48:49], v[24:25], v[40:41]
	s_waitcnt vmcnt(4)
	v_fma_f64 v[22:23], v[36:37], v[42:43], -v[26:27]
	v_add_f64 v[4:5], v[4:5], 0
	v_fmac_f64_e32 v[50:51], v[38:39], v[42:43]
	v_add_f64 v[24:25], v[48:49], 0
	v_add_f64 v[4:5], v[4:5], v[22:23]
	;; [unrolled: 1-line block ×3, first 2 shown]
	s_waitcnt vmcnt(2)
	v_add_f64 v[4:5], v[44:45], -v[4:5]
	s_waitcnt vmcnt(0)
	v_add_f64 v[22:23], v[46:47], -v[24:25]
	buffer_store_dword v4, off, s[0:3], 0 offset:80
	buffer_store_dword v5, off, s[0:3], 0 offset:84
	buffer_store_dword v22, off, s[0:3], 0 offset:88
	buffer_store_dword v23, off, s[0:3], 0 offset:92
	s_and_saveexec_b64 s[6:7], vcc
	s_cbranch_execz .LBB7_53
; %bb.52:
	buffer_load_dword v22, v1, s[0:3], 0 offen
	buffer_load_dword v23, v1, s[0:3], 0 offen offset:4
	buffer_load_dword v24, v1, s[0:3], 0 offen offset:8
	;; [unrolled: 1-line block ×3, first 2 shown]
	v_mov_b32_e32 v3, 0
	buffer_store_dword v3, off, s[0:3], 0 offset:64
	buffer_store_dword v3, off, s[0:3], 0 offset:68
	;; [unrolled: 1-line block ×4, first 2 shown]
	s_waitcnt vmcnt(4)
	ds_write_b128 v2, v[22:25]
.LBB7_53:
	s_or_b64 exec, exec, s[6:7]
	s_waitcnt lgkmcnt(0)
	; wave barrier
	s_waitcnt lgkmcnt(0)
	buffer_load_dword v4, off, s[0:3], 0 offset:88
	buffer_load_dword v5, off, s[0:3], 0 offset:92
	;; [unrolled: 1-line block ×16, first 2 shown]
	v_mov_b32_e32 v3, 0
	ds_read_b128 v[22:25], v3 offset:208
	ds_read_b128 v[36:39], v3 offset:224
	;; [unrolled: 1-line block ×3, first 2 shown]
	v_cmp_lt_u32_e32 vcc, 3, v34
	s_waitcnt vmcnt(14) lgkmcnt(2)
	v_mul_f64 v[56:57], v[22:23], v[4:5]
	v_mul_f64 v[4:5], v[24:25], v[4:5]
	s_waitcnt vmcnt(12) lgkmcnt(1)
	v_mul_f64 v[58:59], v[36:37], v[26:27]
	v_mul_f64 v[26:27], v[38:39], v[26:27]
	;; [unrolled: 3-line block ×3, first 2 shown]
	s_waitcnt vmcnt(8)
	v_fma_f64 v[4:5], v[22:23], v[46:47], -v[4:5]
	v_fmac_f64_e32 v[56:57], v[24:25], v[46:47]
	s_waitcnt vmcnt(6)
	v_fma_f64 v[22:23], v[36:37], v[48:49], -v[26:27]
	v_add_f64 v[4:5], v[4:5], 0
	v_fmac_f64_e32 v[58:59], v[38:39], v[48:49]
	s_waitcnt vmcnt(4)
	v_fma_f64 v[24:25], v[40:41], v[50:51], -v[44:45]
	v_add_f64 v[26:27], v[56:57], 0
	v_add_f64 v[4:5], v[4:5], v[22:23]
	v_fmac_f64_e32 v[60:61], v[42:43], v[50:51]
	v_add_f64 v[26:27], v[26:27], v[58:59]
	v_add_f64 v[4:5], v[4:5], v[24:25]
	;; [unrolled: 1-line block ×3, first 2 shown]
	s_waitcnt vmcnt(2)
	v_add_f64 v[4:5], v[52:53], -v[4:5]
	s_waitcnt vmcnt(0)
	v_add_f64 v[22:23], v[54:55], -v[22:23]
	buffer_store_dword v4, off, s[0:3], 0 offset:64
	buffer_store_dword v5, off, s[0:3], 0 offset:68
	;; [unrolled: 1-line block ×4, first 2 shown]
	s_and_saveexec_b64 s[6:7], vcc
	s_cbranch_execz .LBB7_55
; %bb.54:
	buffer_load_dword v22, v33, s[0:3], 0 offen
	buffer_load_dword v23, v33, s[0:3], 0 offen offset:4
	buffer_load_dword v24, v33, s[0:3], 0 offen offset:8
	;; [unrolled: 1-line block ×3, first 2 shown]
	s_nop 0
	buffer_store_dword v3, off, s[0:3], 0 offset:48
	buffer_store_dword v3, off, s[0:3], 0 offset:52
	buffer_store_dword v3, off, s[0:3], 0 offset:56
	buffer_store_dword v3, off, s[0:3], 0 offset:60
	s_waitcnt vmcnt(4)
	ds_write_b128 v2, v[22:25]
.LBB7_55:
	s_or_b64 exec, exec, s[6:7]
	s_waitcnt lgkmcnt(0)
	; wave barrier
	s_waitcnt lgkmcnt(0)
	buffer_load_dword v4, off, s[0:3], 0 offset:72
	buffer_load_dword v5, off, s[0:3], 0 offset:76
	;; [unrolled: 1-line block ×20, first 2 shown]
	ds_read_b128 v[22:25], v3 offset:192
	ds_read_b128 v[36:39], v3 offset:208
	;; [unrolled: 1-line block ×4, first 2 shown]
	v_cmp_lt_u32_e32 vcc, 2, v34
	s_waitcnt vmcnt(18) lgkmcnt(3)
	v_mul_f64 v[64:65], v[22:23], v[4:5]
	v_mul_f64 v[4:5], v[24:25], v[4:5]
	s_waitcnt vmcnt(16) lgkmcnt(2)
	v_mul_f64 v[66:67], v[36:37], v[26:27]
	v_mul_f64 v[26:27], v[38:39], v[26:27]
	;; [unrolled: 3-line block ×4, first 2 shown]
	s_waitcnt vmcnt(10)
	v_fma_f64 v[4:5], v[22:23], v[52:53], -v[4:5]
	v_fmac_f64_e32 v[64:65], v[24:25], v[52:53]
	s_waitcnt vmcnt(8)
	v_fma_f64 v[22:23], v[36:37], v[54:55], -v[26:27]
	v_add_f64 v[4:5], v[4:5], 0
	v_fmac_f64_e32 v[66:67], v[38:39], v[54:55]
	s_waitcnt vmcnt(6)
	v_fma_f64 v[24:25], v[40:41], v[56:57], -v[48:49]
	v_add_f64 v[36:37], v[64:65], 0
	v_add_f64 v[4:5], v[4:5], v[22:23]
	v_fmac_f64_e32 v[68:69], v[42:43], v[56:57]
	s_waitcnt vmcnt(4)
	v_fma_f64 v[26:27], v[44:45], v[58:59], -v[50:51]
	v_add_f64 v[36:37], v[36:37], v[66:67]
	v_add_f64 v[4:5], v[4:5], v[24:25]
	v_fmac_f64_e32 v[70:71], v[46:47], v[58:59]
	v_add_f64 v[22:23], v[36:37], v[68:69]
	v_add_f64 v[4:5], v[4:5], v[26:27]
	;; [unrolled: 1-line block ×3, first 2 shown]
	s_waitcnt vmcnt(2)
	v_add_f64 v[4:5], v[60:61], -v[4:5]
	s_waitcnt vmcnt(0)
	v_add_f64 v[22:23], v[62:63], -v[22:23]
	buffer_store_dword v4, off, s[0:3], 0 offset:48
	buffer_store_dword v5, off, s[0:3], 0 offset:52
	;; [unrolled: 1-line block ×4, first 2 shown]
	s_and_saveexec_b64 s[6:7], vcc
	s_cbranch_execz .LBB7_57
; %bb.56:
	buffer_load_dword v22, v32, s[0:3], 0 offen
	buffer_load_dword v23, v32, s[0:3], 0 offen offset:4
	buffer_load_dword v24, v32, s[0:3], 0 offen offset:8
	;; [unrolled: 1-line block ×3, first 2 shown]
	v_mov_b32_e32 v3, 0
	buffer_store_dword v3, off, s[0:3], 0 offset:32
	buffer_store_dword v3, off, s[0:3], 0 offset:36
	buffer_store_dword v3, off, s[0:3], 0 offset:40
	buffer_store_dword v3, off, s[0:3], 0 offset:44
	s_waitcnt vmcnt(4)
	ds_write_b128 v2, v[22:25]
.LBB7_57:
	s_or_b64 exec, exec, s[6:7]
	s_waitcnt lgkmcnt(0)
	; wave barrier
	s_waitcnt lgkmcnt(0)
	buffer_load_dword v4, off, s[0:3], 0 offset:56
	buffer_load_dword v5, off, s[0:3], 0 offset:60
	;; [unrolled: 1-line block ×24, first 2 shown]
	v_mov_b32_e32 v3, 0
	ds_read_b128 v[22:25], v3 offset:176
	ds_read_b128 v[36:39], v3 offset:192
	;; [unrolled: 1-line block ×5, first 2 shown]
	v_cmp_lt_u32_e32 vcc, 1, v34
	s_waitcnt vmcnt(22) lgkmcnt(4)
	v_mul_f64 v[72:73], v[22:23], v[4:5]
	v_mul_f64 v[4:5], v[24:25], v[4:5]
	s_waitcnt vmcnt(20) lgkmcnt(3)
	v_mul_f64 v[74:75], v[36:37], v[26:27]
	v_mul_f64 v[26:27], v[38:39], v[26:27]
	;; [unrolled: 3-line block ×4, first 2 shown]
	s_waitcnt vmcnt(13) lgkmcnt(0)
	v_mul_f64 v[80:81], v[48:49], v[54:55]
	s_waitcnt vmcnt(11)
	v_fma_f64 v[4:5], v[22:23], v[60:61], -v[4:5]
	v_fmac_f64_e32 v[72:73], v[24:25], v[60:61]
	s_waitcnt vmcnt(9)
	v_fma_f64 v[22:23], v[36:37], v[62:63], -v[26:27]
	v_add_f64 v[4:5], v[4:5], 0
	v_fmac_f64_e32 v[74:75], v[38:39], v[62:63]
	s_waitcnt vmcnt(7)
	v_fma_f64 v[24:25], v[40:41], v[64:65], -v[52:53]
	v_add_f64 v[38:39], v[72:73], 0
	v_add_f64 v[4:5], v[4:5], v[22:23]
	v_mul_f64 v[54:55], v[50:51], v[54:55]
	v_fmac_f64_e32 v[76:77], v[42:43], v[64:65]
	s_waitcnt vmcnt(5)
	v_fma_f64 v[26:27], v[44:45], v[66:67], -v[58:59]
	v_add_f64 v[38:39], v[38:39], v[74:75]
	v_add_f64 v[4:5], v[4:5], v[24:25]
	v_fmac_f64_e32 v[78:79], v[46:47], v[66:67]
	s_waitcnt vmcnt(4)
	v_fma_f64 v[36:37], v[48:49], v[56:57], -v[54:55]
	v_add_f64 v[22:23], v[38:39], v[76:77]
	v_add_f64 v[4:5], v[4:5], v[26:27]
	v_fmac_f64_e32 v[80:81], v[50:51], v[56:57]
	v_add_f64 v[22:23], v[22:23], v[78:79]
	v_add_f64 v[4:5], v[4:5], v[36:37]
	;; [unrolled: 1-line block ×3, first 2 shown]
	s_waitcnt vmcnt(2)
	v_add_f64 v[4:5], v[68:69], -v[4:5]
	s_waitcnt vmcnt(0)
	v_add_f64 v[22:23], v[70:71], -v[22:23]
	buffer_store_dword v5, off, s[0:3], 0 offset:36
	buffer_store_dword v4, off, s[0:3], 0 offset:32
	;; [unrolled: 1-line block ×4, first 2 shown]
	s_and_saveexec_b64 s[6:7], vcc
	s_cbranch_execz .LBB7_59
; %bb.58:
	buffer_load_dword v22, v30, s[0:3], 0 offen
	buffer_load_dword v23, v30, s[0:3], 0 offen offset:4
	buffer_load_dword v24, v30, s[0:3], 0 offen offset:8
	;; [unrolled: 1-line block ×3, first 2 shown]
	s_nop 0
	buffer_store_dword v3, off, s[0:3], 0 offset:16
	buffer_store_dword v3, off, s[0:3], 0 offset:20
	;; [unrolled: 1-line block ×4, first 2 shown]
	s_waitcnt vmcnt(4)
	ds_write_b128 v2, v[22:25]
.LBB7_59:
	s_or_b64 exec, exec, s[6:7]
	s_waitcnt lgkmcnt(0)
	; wave barrier
	s_waitcnt lgkmcnt(0)
	buffer_load_dword v4, off, s[0:3], 0 offset:40
	buffer_load_dword v5, off, s[0:3], 0 offset:44
	;; [unrolled: 1-line block ×28, first 2 shown]
	ds_read_b128 v[22:25], v3 offset:160
	ds_read_b128 v[36:39], v3 offset:176
	;; [unrolled: 1-line block ×6, first 2 shown]
	v_cmp_ne_u32_e32 vcc, 0, v34
	s_waitcnt vmcnt(26) lgkmcnt(5)
	v_mul_f64 v[80:81], v[22:23], v[4:5]
	v_mul_f64 v[4:5], v[24:25], v[4:5]
	s_waitcnt vmcnt(24) lgkmcnt(4)
	v_mul_f64 v[82:83], v[36:37], v[26:27]
	v_mul_f64 v[26:27], v[38:39], v[26:27]
	;; [unrolled: 3-line block ×4, first 2 shown]
	s_waitcnt vmcnt(17)
	v_mul_f64 v[86:87], v[44:45], v[62:63]
	v_mul_f64 v[62:63], v[46:47], v[62:63]
	s_waitcnt vmcnt(15) lgkmcnt(0)
	v_mul_f64 v[90:91], v[52:53], v[64:65]
	v_mul_f64 v[64:65], v[54:55], v[64:65]
	s_waitcnt vmcnt(14)
	v_fmac_f64_e32 v[88:89], v[50:51], v[60:61]
	s_waitcnt vmcnt(12)
	v_fma_f64 v[4:5], v[22:23], v[66:67], -v[4:5]
	v_fmac_f64_e32 v[80:81], v[24:25], v[66:67]
	s_waitcnt vmcnt(10)
	v_fma_f64 v[22:23], v[36:37], v[68:69], -v[26:27]
	v_add_f64 v[4:5], v[4:5], 0
	v_fmac_f64_e32 v[82:83], v[38:39], v[68:69]
	s_waitcnt vmcnt(8)
	v_fma_f64 v[24:25], v[40:41], v[70:71], -v[56:57]
	v_add_f64 v[40:41], v[80:81], 0
	v_add_f64 v[4:5], v[4:5], v[22:23]
	v_fmac_f64_e32 v[84:85], v[42:43], v[70:71]
	s_waitcnt vmcnt(6)
	v_fma_f64 v[26:27], v[44:45], v[72:73], -v[62:63]
	v_add_f64 v[40:41], v[40:41], v[82:83]
	v_add_f64 v[4:5], v[4:5], v[24:25]
	v_fmac_f64_e32 v[86:87], v[46:47], v[72:73]
	v_fma_f64 v[36:37], v[48:49], v[60:61], -v[58:59]
	v_add_f64 v[22:23], v[40:41], v[84:85]
	v_add_f64 v[4:5], v[4:5], v[26:27]
	s_waitcnt vmcnt(4)
	v_fma_f64 v[38:39], v[52:53], v[74:75], -v[64:65]
	v_add_f64 v[22:23], v[22:23], v[86:87]
	v_add_f64 v[4:5], v[4:5], v[36:37]
	v_fmac_f64_e32 v[90:91], v[54:55], v[74:75]
	v_add_f64 v[22:23], v[22:23], v[88:89]
	v_add_f64 v[4:5], v[4:5], v[38:39]
	;; [unrolled: 1-line block ×3, first 2 shown]
	s_waitcnt vmcnt(2)
	v_add_f64 v[4:5], v[76:77], -v[4:5]
	s_waitcnt vmcnt(0)
	v_add_f64 v[22:23], v[78:79], -v[22:23]
	buffer_store_dword v5, off, s[0:3], 0 offset:20
	buffer_store_dword v4, off, s[0:3], 0 offset:16
	;; [unrolled: 1-line block ×4, first 2 shown]
	s_and_saveexec_b64 s[6:7], vcc
	s_cbranch_execz .LBB7_61
; %bb.60:
	buffer_load_dword v22, off, s[0:3], 0
	buffer_load_dword v23, off, s[0:3], 0 offset:4
	buffer_load_dword v24, off, s[0:3], 0 offset:8
	;; [unrolled: 1-line block ×3, first 2 shown]
	v_mov_b32_e32 v3, 0
	buffer_store_dword v3, off, s[0:3], 0
	buffer_store_dword v3, off, s[0:3], 0 offset:4
	buffer_store_dword v3, off, s[0:3], 0 offset:8
	;; [unrolled: 1-line block ×3, first 2 shown]
	s_waitcnt vmcnt(4)
	ds_write_b128 v2, v[22:25]
.LBB7_61:
	s_or_b64 exec, exec, s[6:7]
	s_waitcnt lgkmcnt(0)
	; wave barrier
	s_waitcnt lgkmcnt(0)
	buffer_load_dword v26, off, s[0:3], 0 offset:24
	buffer_load_dword v27, off, s[0:3], 0 offset:28
	;; [unrolled: 1-line block ×28, first 2 shown]
	buffer_load_dword v82, off, s[0:3], 0
	buffer_load_dword v83, off, s[0:3], 0 offset:4
	buffer_load_dword v84, off, s[0:3], 0 offset:8
	;; [unrolled: 1-line block ×3, first 2 shown]
	v_mov_b32_e32 v35, 0
	ds_read_b128 v[2:5], v35 offset:144
	ds_read_b128 v[22:25], v35 offset:160
	;; [unrolled: 1-line block ×7, first 2 shown]
	s_and_b64 vcc, exec, s[26:27]
	s_waitcnt vmcnt(30) lgkmcnt(6)
	v_mul_f64 v[86:87], v[2:3], v[26:27]
	v_mul_f64 v[26:27], v[4:5], v[26:27]
	s_waitcnt vmcnt(28) lgkmcnt(5)
	v_mul_f64 v[88:89], v[22:23], v[56:57]
	v_mul_f64 v[56:57], v[24:25], v[56:57]
	;; [unrolled: 3-line block ×4, first 2 shown]
	s_waitcnt vmcnt(21)
	v_mul_f64 v[92:93], v[40:41], v[64:65]
	v_mul_f64 v[64:65], v[42:43], v[64:65]
	s_waitcnt vmcnt(17) lgkmcnt(1)
	v_mul_f64 v[96:97], v[48:49], v[70:71]
	v_mul_f64 v[70:71], v[50:51], v[70:71]
	s_waitcnt vmcnt(16) lgkmcnt(0)
	v_mul_f64 v[98:99], v[52:53], v[66:67]
	v_mul_f64 v[66:67], v[54:55], v[66:67]
	s_waitcnt vmcnt(13)
	v_fma_f64 v[2:3], v[2:3], v[72:73], -v[26:27]
	v_fmac_f64_e32 v[86:87], v[4:5], v[72:73]
	s_waitcnt vmcnt(11)
	v_fma_f64 v[4:5], v[22:23], v[74:75], -v[56:57]
	v_add_f64 v[2:3], v[2:3], 0
	v_fmac_f64_e32 v[88:89], v[24:25], v[74:75]
	s_waitcnt vmcnt(9)
	v_fma_f64 v[22:23], v[36:37], v[76:77], -v[58:59]
	s_waitcnt vmcnt(7)
	v_fma_f64 v[24:25], v[40:41], v[78:79], -v[64:65]
	v_add_f64 v[40:41], v[86:87], 0
	v_add_f64 v[2:3], v[2:3], v[4:5]
	v_fmac_f64_e32 v[90:91], v[38:39], v[76:77]
	v_add_f64 v[40:41], v[40:41], v[88:89]
	v_add_f64 v[2:3], v[2:3], v[22:23]
	v_fmac_f64_e32 v[92:93], v[42:43], v[78:79]
	v_fma_f64 v[26:27], v[44:45], v[62:63], -v[60:61]
	v_add_f64 v[4:5], v[40:41], v[90:91]
	v_add_f64 v[2:3], v[2:3], v[24:25]
	v_fmac_f64_e32 v[94:95], v[46:47], v[62:63]
	s_waitcnt vmcnt(5)
	v_fma_f64 v[36:37], v[48:49], v[80:81], -v[70:71]
	v_add_f64 v[4:5], v[4:5], v[92:93]
	v_add_f64 v[2:3], v[2:3], v[26:27]
	v_fmac_f64_e32 v[96:97], v[50:51], v[80:81]
	s_waitcnt vmcnt(4)
	v_fma_f64 v[38:39], v[52:53], v[68:69], -v[66:67]
	v_add_f64 v[4:5], v[4:5], v[94:95]
	v_add_f64 v[2:3], v[2:3], v[36:37]
	v_fmac_f64_e32 v[98:99], v[54:55], v[68:69]
	v_add_f64 v[4:5], v[4:5], v[96:97]
	v_add_f64 v[2:3], v[2:3], v[38:39]
	;; [unrolled: 1-line block ×3, first 2 shown]
	s_waitcnt vmcnt(2)
	v_add_f64 v[2:3], v[82:83], -v[2:3]
	s_waitcnt vmcnt(0)
	v_add_f64 v[4:5], v[84:85], -v[4:5]
	buffer_store_dword v3, off, s[0:3], 0 offset:4
	buffer_store_dword v2, off, s[0:3], 0
	buffer_store_dword v5, off, s[0:3], 0 offset:12
	buffer_store_dword v4, off, s[0:3], 0 offset:8
	s_cbranch_vccz .LBB7_77
; %bb.62:
	v_pk_mov_b32 v[2:3], s[24:25], s[24:25] op_sel:[0,1]
	flat_load_dword v2, v[2:3] offset:24
	s_load_dwordx2 s[4:5], s[4:5], 0x4
	v_bfe_u32 v4, v0, 10, 10
	v_bfe_u32 v0, v0, 20, 10
	s_waitcnt lgkmcnt(0)
	s_lshr_b32 s4, s4, 16
	s_mul_i32 s4, s4, s5
	v_mul_u32_u24_e32 v3, s4, v34
	v_mul_u32_u24_e32 v4, s5, v4
	v_add3_u32 v0, v3, v4, v0
	v_mov_b32_e32 v3, 0x108
	v_lshl_add_u32 v0, v0, 4, v3
	s_waitcnt vmcnt(0)
	v_add_u32_e32 v2, -1, v2
	v_cmp_ne_u32_e32 vcc, 6, v2
	s_and_saveexec_b64 s[4:5], vcc
	s_cbranch_execz .LBB7_64
; %bb.63:
	v_mov_b32_e32 v3, 0
	v_lshl_add_u32 v22, v2, 4, v3
	buffer_load_dword v2, v29, s[0:3], 0 offen
	buffer_load_dword v3, v29, s[0:3], 0 offen offset:4
	buffer_load_dword v4, v29, s[0:3], 0 offen offset:8
	buffer_load_dword v5, v29, s[0:3], 0 offen offset:12
	buffer_load_dword v23, v22, s[0:3], 0 offen
	buffer_load_dword v24, v22, s[0:3], 0 offen offset:4
	buffer_load_dword v25, v22, s[0:3], 0 offen offset:8
	buffer_load_dword v26, v22, s[0:3], 0 offen offset:12
	s_waitcnt vmcnt(4)
	ds_write2_b64 v0, v[2:3], v[4:5] offset1:1
	s_waitcnt vmcnt(3)
	buffer_store_dword v23, v29, s[0:3], 0 offen
	s_waitcnt vmcnt(3)
	buffer_store_dword v24, v29, s[0:3], 0 offen offset:4
	s_waitcnt vmcnt(3)
	buffer_store_dword v25, v29, s[0:3], 0 offen offset:8
	s_waitcnt vmcnt(3)
	buffer_store_dword v26, v29, s[0:3], 0 offen offset:12
	buffer_store_dword v5, v22, s[0:3], 0 offen offset:12
	buffer_store_dword v4, v22, s[0:3], 0 offen offset:8
	buffer_store_dword v3, v22, s[0:3], 0 offen offset:4
	buffer_store_dword v2, v22, s[0:3], 0 offen
.LBB7_64:
	s_or_b64 exec, exec, s[4:5]
	v_pk_mov_b32 v[2:3], s[24:25], s[24:25] op_sel:[0,1]
	flat_load_dword v2, v[2:3] offset:20
	s_waitcnt vmcnt(0) lgkmcnt(0)
	v_add_u32_e32 v2, -1, v2
	v_cmp_ne_u32_e32 vcc, 5, v2
	s_and_saveexec_b64 s[4:5], vcc
	s_cbranch_execz .LBB7_66
; %bb.65:
	v_mov_b32_e32 v3, 0
	v_lshl_add_u32 v22, v2, 4, v3
	buffer_load_dword v2, v28, s[0:3], 0 offen
	buffer_load_dword v3, v28, s[0:3], 0 offen offset:4
	buffer_load_dword v4, v28, s[0:3], 0 offen offset:8
	buffer_load_dword v5, v28, s[0:3], 0 offen offset:12
	buffer_load_dword v23, v22, s[0:3], 0 offen
	buffer_load_dword v24, v22, s[0:3], 0 offen offset:4
	buffer_load_dword v25, v22, s[0:3], 0 offen offset:8
	buffer_load_dword v26, v22, s[0:3], 0 offen offset:12
	s_waitcnt vmcnt(4)
	ds_write2_b64 v0, v[2:3], v[4:5] offset1:1
	s_waitcnt vmcnt(3)
	buffer_store_dword v23, v28, s[0:3], 0 offen
	s_waitcnt vmcnt(3)
	buffer_store_dword v24, v28, s[0:3], 0 offen offset:4
	s_waitcnt vmcnt(3)
	buffer_store_dword v25, v28, s[0:3], 0 offen offset:8
	s_waitcnt vmcnt(3)
	buffer_store_dword v26, v28, s[0:3], 0 offen offset:12
	buffer_store_dword v5, v22, s[0:3], 0 offen offset:12
	buffer_store_dword v4, v22, s[0:3], 0 offen offset:8
	buffer_store_dword v3, v22, s[0:3], 0 offen offset:4
	buffer_store_dword v2, v22, s[0:3], 0 offen
.LBB7_66:
	s_or_b64 exec, exec, s[4:5]
	v_pk_mov_b32 v[2:3], s[24:25], s[24:25] op_sel:[0,1]
	flat_load_dword v2, v[2:3] offset:16
	s_waitcnt vmcnt(0) lgkmcnt(0)
	;; [unrolled: 34-line block ×5, first 2 shown]
	v_add_u32_e32 v2, -1, v2
	v_cmp_ne_u32_e32 vcc, 1, v2
	s_and_saveexec_b64 s[4:5], vcc
	s_cbranch_execz .LBB7_74
; %bb.73:
	v_mov_b32_e32 v3, 0
	v_lshl_add_u32 v22, v2, 4, v3
	buffer_load_dword v2, v30, s[0:3], 0 offen
	buffer_load_dword v3, v30, s[0:3], 0 offen offset:4
	buffer_load_dword v4, v30, s[0:3], 0 offen offset:8
	;; [unrolled: 1-line block ×3, first 2 shown]
	buffer_load_dword v23, v22, s[0:3], 0 offen
	buffer_load_dword v24, v22, s[0:3], 0 offen offset:4
	buffer_load_dword v25, v22, s[0:3], 0 offen offset:8
	;; [unrolled: 1-line block ×3, first 2 shown]
	s_waitcnt vmcnt(4)
	ds_write2_b64 v0, v[2:3], v[4:5] offset1:1
	s_waitcnt vmcnt(3)
	buffer_store_dword v23, v30, s[0:3], 0 offen
	s_waitcnt vmcnt(3)
	buffer_store_dword v24, v30, s[0:3], 0 offen offset:4
	s_waitcnt vmcnt(3)
	buffer_store_dword v25, v30, s[0:3], 0 offen offset:8
	s_waitcnt vmcnt(3)
	buffer_store_dword v26, v30, s[0:3], 0 offen offset:12
	buffer_store_dword v5, v22, s[0:3], 0 offen offset:12
	buffer_store_dword v4, v22, s[0:3], 0 offen offset:8
	;; [unrolled: 1-line block ×3, first 2 shown]
	buffer_store_dword v2, v22, s[0:3], 0 offen
.LBB7_74:
	s_or_b64 exec, exec, s[4:5]
	v_pk_mov_b32 v[2:3], s[24:25], s[24:25] op_sel:[0,1]
	flat_load_dword v2, v[2:3]
	s_waitcnt vmcnt(0) lgkmcnt(0)
	v_add_u32_e32 v2, -1, v2
	v_cmp_ne_u32_e32 vcc, 0, v2
	s_and_saveexec_b64 s[4:5], vcc
	s_cbranch_execz .LBB7_76
; %bb.75:
	v_mov_b32_e32 v3, 0
	v_lshl_add_u32 v22, v2, 4, v3
	buffer_load_dword v2, off, s[0:3], 0
	buffer_load_dword v3, off, s[0:3], 0 offset:4
	buffer_load_dword v4, off, s[0:3], 0 offset:8
	buffer_load_dword v5, off, s[0:3], 0 offset:12
	buffer_load_dword v23, v22, s[0:3], 0 offen
	buffer_load_dword v24, v22, s[0:3], 0 offen offset:4
	buffer_load_dword v25, v22, s[0:3], 0 offen offset:8
	;; [unrolled: 1-line block ×3, first 2 shown]
	s_waitcnt vmcnt(4)
	ds_write2_b64 v0, v[2:3], v[4:5] offset1:1
	s_waitcnt vmcnt(3)
	buffer_store_dword v23, off, s[0:3], 0
	s_waitcnt vmcnt(3)
	buffer_store_dword v24, off, s[0:3], 0 offset:4
	s_waitcnt vmcnt(3)
	buffer_store_dword v25, off, s[0:3], 0 offset:8
	;; [unrolled: 2-line block ×3, first 2 shown]
	buffer_store_dword v5, v22, s[0:3], 0 offen offset:12
	buffer_store_dword v4, v22, s[0:3], 0 offen offset:8
	;; [unrolled: 1-line block ×3, first 2 shown]
	buffer_store_dword v2, v22, s[0:3], 0 offen
.LBB7_76:
	s_or_b64 exec, exec, s[4:5]
.LBB7_77:
	buffer_load_dword v2, off, s[0:3], 0
	buffer_load_dword v3, off, s[0:3], 0 offset:4
	buffer_load_dword v4, off, s[0:3], 0 offset:8
	;; [unrolled: 1-line block ×3, first 2 shown]
	buffer_load_dword v23, v30, s[0:3], 0 offen offset:4
	buffer_load_dword v24, v30, s[0:3], 0 offen offset:8
	;; [unrolled: 1-line block ×3, first 2 shown]
	buffer_load_dword v34, v32, s[0:3], 0 offen
	buffer_load_dword v35, v32, s[0:3], 0 offen offset:4
	buffer_load_dword v36, v32, s[0:3], 0 offen offset:8
	buffer_load_dword v22, v30, s[0:3], 0 offen
	buffer_load_dword v37, v32, s[0:3], 0 offen offset:12
	buffer_load_dword v39, v33, s[0:3], 0 offen offset:4
	;; [unrolled: 1-line block ×4, first 2 shown]
	buffer_load_dword v42, v1, s[0:3], 0 offen
	buffer_load_dword v43, v1, s[0:3], 0 offen offset:4
	buffer_load_dword v44, v1, s[0:3], 0 offen offset:8
	buffer_load_dword v38, v33, s[0:3], 0 offen
                                        ; kill: killed $vgpr30
                                        ; kill: killed $vgpr33
                                        ; kill: killed $vgpr32
	buffer_load_dword v45, v1, s[0:3], 0 offen offset:12
	buffer_load_dword v47, v28, s[0:3], 0 offen offset:4
	;; [unrolled: 1-line block ×4, first 2 shown]
	buffer_load_dword v50, v29, s[0:3], 0 offen
	buffer_load_dword v51, v29, s[0:3], 0 offen offset:4
	buffer_load_dword v52, v29, s[0:3], 0 offen offset:8
	buffer_load_dword v46, v28, s[0:3], 0 offen
	buffer_load_dword v53, v29, s[0:3], 0 offen offset:12
	buffer_load_dword v54, v31, s[0:3], 0 offen
	buffer_load_dword v55, v31, s[0:3], 0 offen offset:4
	buffer_load_dword v56, v31, s[0:3], 0 offen offset:8
	;; [unrolled: 1-line block ×3, first 2 shown]
	s_waitcnt vmcnt(28)
	global_store_dwordx4 v[6:7], v[2:5], off
	s_waitcnt vmcnt(22)
	global_store_dwordx4 v[8:9], v[22:25], off
	;; [unrolled: 2-line block ×8, first 2 shown]
	s_endpgm
	.section	.rodata,"a",@progbits
	.p2align	6, 0x0
	.amdhsa_kernel _ZN9rocsolver6v33100L18getri_kernel_smallILi8E19rocblas_complex_numIdEPS3_EEvT1_iilPiilS6_bb
		.amdhsa_group_segment_fixed_size 1288
		.amdhsa_private_segment_fixed_size 144
		.amdhsa_kernarg_size 60
		.amdhsa_user_sgpr_count 10
		.amdhsa_user_sgpr_private_segment_buffer 1
		.amdhsa_user_sgpr_dispatch_ptr 1
		.amdhsa_user_sgpr_queue_ptr 0
		.amdhsa_user_sgpr_kernarg_segment_ptr 1
		.amdhsa_user_sgpr_dispatch_id 0
		.amdhsa_user_sgpr_flat_scratch_init 1
		.amdhsa_user_sgpr_kernarg_preload_length 0
		.amdhsa_user_sgpr_kernarg_preload_offset 0
		.amdhsa_user_sgpr_private_segment_size 0
		.amdhsa_uses_dynamic_stack 0
		.amdhsa_system_sgpr_private_segment_wavefront_offset 1
		.amdhsa_system_sgpr_workgroup_id_x 1
		.amdhsa_system_sgpr_workgroup_id_y 0
		.amdhsa_system_sgpr_workgroup_id_z 0
		.amdhsa_system_sgpr_workgroup_info 0
		.amdhsa_system_vgpr_workitem_id 2
		.amdhsa_next_free_vgpr 100
		.amdhsa_next_free_sgpr 28
		.amdhsa_accum_offset 100
		.amdhsa_reserve_vcc 1
		.amdhsa_reserve_flat_scratch 1
		.amdhsa_float_round_mode_32 0
		.amdhsa_float_round_mode_16_64 0
		.amdhsa_float_denorm_mode_32 3
		.amdhsa_float_denorm_mode_16_64 3
		.amdhsa_dx10_clamp 1
		.amdhsa_ieee_mode 1
		.amdhsa_fp16_overflow 0
		.amdhsa_tg_split 0
		.amdhsa_exception_fp_ieee_invalid_op 0
		.amdhsa_exception_fp_denorm_src 0
		.amdhsa_exception_fp_ieee_div_zero 0
		.amdhsa_exception_fp_ieee_overflow 0
		.amdhsa_exception_fp_ieee_underflow 0
		.amdhsa_exception_fp_ieee_inexact 0
		.amdhsa_exception_int_div_zero 0
	.end_amdhsa_kernel
	.section	.text._ZN9rocsolver6v33100L18getri_kernel_smallILi8E19rocblas_complex_numIdEPS3_EEvT1_iilPiilS6_bb,"axG",@progbits,_ZN9rocsolver6v33100L18getri_kernel_smallILi8E19rocblas_complex_numIdEPS3_EEvT1_iilPiilS6_bb,comdat
.Lfunc_end7:
	.size	_ZN9rocsolver6v33100L18getri_kernel_smallILi8E19rocblas_complex_numIdEPS3_EEvT1_iilPiilS6_bb, .Lfunc_end7-_ZN9rocsolver6v33100L18getri_kernel_smallILi8E19rocblas_complex_numIdEPS3_EEvT1_iilPiilS6_bb
                                        ; -- End function
	.section	.AMDGPU.csdata,"",@progbits
; Kernel info:
; codeLenInByte = 9668
; NumSgprs: 34
; NumVgprs: 100
; NumAgprs: 0
; TotalNumVgprs: 100
; ScratchSize: 144
; MemoryBound: 0
; FloatMode: 240
; IeeeMode: 1
; LDSByteSize: 1288 bytes/workgroup (compile time only)
; SGPRBlocks: 4
; VGPRBlocks: 12
; NumSGPRsForWavesPerEU: 34
; NumVGPRsForWavesPerEU: 100
; AccumOffset: 100
; Occupancy: 4
; WaveLimiterHint : 1
; COMPUTE_PGM_RSRC2:SCRATCH_EN: 1
; COMPUTE_PGM_RSRC2:USER_SGPR: 10
; COMPUTE_PGM_RSRC2:TRAP_HANDLER: 0
; COMPUTE_PGM_RSRC2:TGID_X_EN: 1
; COMPUTE_PGM_RSRC2:TGID_Y_EN: 0
; COMPUTE_PGM_RSRC2:TGID_Z_EN: 0
; COMPUTE_PGM_RSRC2:TIDIG_COMP_CNT: 2
; COMPUTE_PGM_RSRC3_GFX90A:ACCUM_OFFSET: 24
; COMPUTE_PGM_RSRC3_GFX90A:TG_SPLIT: 0
	.section	.text._ZN9rocsolver6v33100L18getri_kernel_smallILi9E19rocblas_complex_numIdEPS3_EEvT1_iilPiilS6_bb,"axG",@progbits,_ZN9rocsolver6v33100L18getri_kernel_smallILi9E19rocblas_complex_numIdEPS3_EEvT1_iilPiilS6_bb,comdat
	.globl	_ZN9rocsolver6v33100L18getri_kernel_smallILi9E19rocblas_complex_numIdEPS3_EEvT1_iilPiilS6_bb ; -- Begin function _ZN9rocsolver6v33100L18getri_kernel_smallILi9E19rocblas_complex_numIdEPS3_EEvT1_iilPiilS6_bb
	.p2align	8
	.type	_ZN9rocsolver6v33100L18getri_kernel_smallILi9E19rocblas_complex_numIdEPS3_EEvT1_iilPiilS6_bb,@function
_ZN9rocsolver6v33100L18getri_kernel_smallILi9E19rocblas_complex_numIdEPS3_EEvT1_iilPiilS6_bb: ; @_ZN9rocsolver6v33100L18getri_kernel_smallILi9E19rocblas_complex_numIdEPS3_EEvT1_iilPiilS6_bb
; %bb.0:
	s_add_u32 flat_scratch_lo, s8, s11
	s_addc_u32 flat_scratch_hi, s9, 0
	s_add_u32 s0, s0, s11
	v_and_b32_e32 v37, 0x3ff, v0
	s_addc_u32 s1, s1, 0
	v_cmp_gt_u32_e32 vcc, 9, v37
	s_and_saveexec_b64 s[8:9], vcc
	s_cbranch_execz .LBB8_50
; %bb.1:
	s_load_dword s8, s[6:7], 0x38
	s_load_dwordx4 s[20:23], s[6:7], 0x10
	s_load_dwordx4 s[12:15], s[6:7], 0x28
                                        ; implicit-def: $sgpr24_sgpr25
	s_waitcnt lgkmcnt(0)
	s_bitcmp1_b32 s8, 8
	s_cselect_b64 s[26:27], -1, 0
	s_ashr_i32 s11, s10, 31
	s_bfe_u32 s9, s8, 0x10008
	s_cmp_eq_u32 s9, 0
	s_cbranch_scc1 .LBB8_3
; %bb.2:
	s_load_dword s16, s[6:7], 0x20
	s_mul_i32 s9, s10, s13
	s_mul_hi_u32 s13, s10, s12
	s_mul_i32 s18, s11, s12
	s_add_i32 s9, s13, s9
	s_add_i32 s13, s9, s18
	s_mul_i32 s12, s10, s12
	s_waitcnt lgkmcnt(0)
	s_ashr_i32 s17, s16, 31
	s_lshl_b64 s[12:13], s[12:13], 2
	s_add_u32 s9, s22, s12
	s_addc_u32 s18, s23, s13
	s_lshl_b64 s[12:13], s[16:17], 2
	s_add_u32 s24, s9, s12
	s_addc_u32 s25, s18, s13
.LBB8_3:
	s_load_dwordx4 s[16:19], s[6:7], 0x0
	s_mul_i32 s6, s10, s21
	s_mul_hi_u32 s7, s10, s20
	s_add_i32 s9, s7, s6
	s_mul_i32 s12, s11, s20
	s_add_i32 s13, s9, s12
	s_mul_i32 s12, s10, s20
	s_waitcnt lgkmcnt(0)
	s_ashr_i32 s7, s18, 31
	s_lshl_b64 s[12:13], s[12:13], 4
	s_mov_b32 s6, s18
	s_add_u32 s9, s16, s12
	s_addc_u32 s12, s17, s13
	s_lshl_b64 s[6:7], s[6:7], 4
	s_add_u32 s6, s9, s6
	s_addc_u32 s7, s12, s7
	v_lshlrev_b32_e32 v38, 4, v37
	v_mov_b32_e32 v1, s7
	v_add_co_u32_e32 v6, vcc, s6, v38
	s_ashr_i32 s13, s19, 31
	s_mov_b32 s12, s19
	s_add_i32 s9, s19, s19
	v_addc_co_u32_e32 v7, vcc, 0, v1, vcc
	s_lshl_b64 s[12:13], s[12:13], 4
	v_add_u32_e32 v12, s9, v37
	v_mov_b32_e32 v1, s13
	v_add_co_u32_e32 v8, vcc, s12, v6
	v_ashrrev_i32_e32 v13, 31, v12
	v_addc_co_u32_e32 v9, vcc, v7, v1, vcc
	v_lshlrev_b64 v[10:11], 4, v[12:13]
	v_add_u32_e32 v14, s19, v12
	v_mov_b32_e32 v1, s7
	v_add_co_u32_e32 v10, vcc, s6, v10
	v_ashrrev_i32_e32 v15, 31, v14
	v_addc_co_u32_e32 v11, vcc, v1, v11, vcc
	v_lshlrev_b64 v[12:13], 4, v[14:15]
	v_add_u32_e32 v16, s19, v14
	v_add_co_u32_e32 v12, vcc, s6, v12
	v_ashrrev_i32_e32 v17, 31, v16
	v_addc_co_u32_e32 v13, vcc, v1, v13, vcc
	v_lshlrev_b64 v[14:15], 4, v[16:17]
	v_add_u32_e32 v18, s19, v16
	;; [unrolled: 5-line block ×5, first 2 shown]
	v_add_co_u32_e32 v20, vcc, s6, v20
	v_ashrrev_i32_e32 v23, 31, v22
	v_addc_co_u32_e32 v21, vcc, v1, v21, vcc
	v_lshlrev_b64 v[22:23], 4, v[22:23]
	global_load_dwordx4 v[2:5], v38, s[6:7]
	v_add_co_u32_e32 v22, vcc, s6, v22
	global_load_dwordx4 v[24:27], v[8:9], off
	global_load_dwordx4 v[28:31], v[10:11], off
	v_addc_co_u32_e32 v23, vcc, v1, v23, vcc
	global_load_dwordx4 v[40:43], v[12:13], off
	global_load_dwordx4 v[44:47], v[14:15], off
	;; [unrolled: 1-line block ×6, first 2 shown]
	s_bitcmp0_b32 s8, 0
	s_mov_b64 s[8:9], -1
	s_waitcnt vmcnt(8)
	buffer_store_dword v5, off, s[0:3], 0 offset:12
	buffer_store_dword v4, off, s[0:3], 0 offset:8
	;; [unrolled: 1-line block ×3, first 2 shown]
	buffer_store_dword v2, off, s[0:3], 0
	v_mov_b32_e32 v2, 0
	v_add_u32_e32 v34, 16, v2
	s_waitcnt vmcnt(11)
	buffer_store_dword v27, off, s[0:3], 0 offset:28
	buffer_store_dword v26, off, s[0:3], 0 offset:24
	;; [unrolled: 1-line block ×4, first 2 shown]
	v_add_u32_e32 v35, 32, v2
	s_waitcnt vmcnt(14)
	buffer_store_dword v31, off, s[0:3], 0 offset:44
	buffer_store_dword v30, off, s[0:3], 0 offset:40
	;; [unrolled: 1-line block ×4, first 2 shown]
	v_add_u32_e32 v36, 48, v2
	v_add_u32_e32 v1, 64, v2
	;; [unrolled: 1-line block ×6, first 2 shown]
	s_waitcnt vmcnt(17)
	buffer_store_dword v43, off, s[0:3], 0 offset:60
	buffer_store_dword v42, off, s[0:3], 0 offset:56
	buffer_store_dword v41, off, s[0:3], 0 offset:52
	buffer_store_dword v40, off, s[0:3], 0 offset:48
	s_waitcnt vmcnt(20)
	buffer_store_dword v47, off, s[0:3], 0 offset:76
	buffer_store_dword v46, off, s[0:3], 0 offset:72
	buffer_store_dword v45, off, s[0:3], 0 offset:68
	buffer_store_dword v44, off, s[0:3], 0 offset:64
	;; [unrolled: 5-line block ×6, first 2 shown]
	s_cbranch_scc1 .LBB8_48
; %bb.4:
	v_cmp_eq_u32_e64 s[6:7], 0, v37
	s_and_saveexec_b64 s[8:9], s[6:7]
	s_cbranch_execz .LBB8_6
; %bb.5:
	v_mov_b32_e32 v2, 0
	ds_write_b32 v2, v2 offset:288
.LBB8_6:
	s_or_b64 exec, exec, s[8:9]
	v_mov_b32_e32 v2, 0
	v_lshl_add_u32 v39, v37, 4, v2
	s_waitcnt lgkmcnt(0)
	; wave barrier
	s_waitcnt lgkmcnt(0)
	buffer_load_dword v2, v39, s[0:3], 0 offen
	buffer_load_dword v3, v39, s[0:3], 0 offen offset:4
	buffer_load_dword v4, v39, s[0:3], 0 offen offset:8
	;; [unrolled: 1-line block ×3, first 2 shown]
	s_waitcnt vmcnt(2)
	v_cmp_eq_f64_e32 vcc, 0, v[2:3]
	s_waitcnt vmcnt(0)
	v_cmp_eq_f64_e64 s[8:9], 0, v[4:5]
	s_and_b64 s[8:9], vcc, s[8:9]
	s_and_saveexec_b64 s[12:13], s[8:9]
	s_cbranch_execz .LBB8_10
; %bb.7:
	v_mov_b32_e32 v2, 0
	ds_read_b32 v4, v2 offset:288
	v_add_u32_e32 v3, 1, v37
	s_waitcnt lgkmcnt(0)
	v_readfirstlane_b32 s8, v4
	s_cmp_eq_u32 s8, 0
	s_cselect_b64 s[16:17], -1, 0
	v_cmp_gt_i32_e32 vcc, s8, v3
	s_or_b64 s[16:17], s[16:17], vcc
	s_and_b64 exec, exec, s[16:17]
	s_cbranch_execz .LBB8_10
; %bb.8:
	s_mov_b64 s[16:17], 0
	v_mov_b32_e32 v4, s8
.LBB8_9:                                ; =>This Inner Loop Header: Depth=1
	ds_cmpst_rtn_b32 v4, v2, v4, v3 offset:288
	s_waitcnt lgkmcnt(0)
	v_cmp_ne_u32_e32 vcc, 0, v4
	v_cmp_le_i32_e64 s[8:9], v4, v3
	s_and_b64 s[8:9], vcc, s[8:9]
	s_and_b64 s[8:9], exec, s[8:9]
	s_or_b64 s[16:17], s[8:9], s[16:17]
	s_andn2_b64 exec, exec, s[16:17]
	s_cbranch_execnz .LBB8_9
.LBB8_10:
	s_or_b64 exec, exec, s[12:13]
	v_mov_b32_e32 v3, 0
	s_waitcnt lgkmcnt(0)
	; wave barrier
	ds_read_b32 v2, v3 offset:288
	s_and_saveexec_b64 s[8:9], s[6:7]
	s_cbranch_execz .LBB8_12
; %bb.11:
	s_lshl_b64 s[12:13], s[10:11], 2
	s_add_u32 s12, s14, s12
	s_addc_u32 s13, s15, s13
	s_waitcnt lgkmcnt(0)
	global_store_dword v3, v2, s[12:13]
.LBB8_12:
	s_or_b64 exec, exec, s[8:9]
	s_waitcnt lgkmcnt(0)
	v_cmp_ne_u32_e32 vcc, 0, v2
	s_mov_b64 s[8:9], 0
	s_cbranch_vccnz .LBB8_48
; %bb.13:
	buffer_load_dword v25, v39, s[0:3], 0 offen offset:4
	buffer_load_dword v24, v39, s[0:3], 0 offen
	buffer_load_dword v27, v39, s[0:3], 0 offen offset:12
	buffer_load_dword v26, v39, s[0:3], 0 offen offset:8
                                        ; implicit-def: $vgpr28_vgpr29
	s_waitcnt vmcnt(3)
	v_xor_b32_e32 v3, 0x80000000, v25
	s_waitcnt vmcnt(2)
	v_cmp_gt_f64_e32 vcc, 0, v[24:25]
	s_waitcnt vmcnt(1)
	v_xor_b32_e32 v4, 0x80000000, v27
	v_cndmask_b32_e32 v3, v25, v3, vcc
	s_waitcnt vmcnt(0)
	v_cmp_gt_f64_e32 vcc, 0, v[26:27]
	v_mov_b32_e32 v2, v24
	v_cndmask_b32_e32 v5, v27, v4, vcc
	v_mov_b32_e32 v4, v26
	v_cmp_ngt_f64_e32 vcc, v[2:3], v[4:5]
                                        ; implicit-def: $vgpr4_vgpr5
	s_and_saveexec_b64 s[8:9], vcc
	s_xor_b64 s[8:9], exec, s[8:9]
	s_cbranch_execz .LBB8_15
; %bb.14:
	v_div_scale_f64 v[2:3], s[12:13], v[26:27], v[26:27], v[24:25]
	v_rcp_f64_e32 v[4:5], v[2:3]
	v_div_scale_f64 v[28:29], vcc, v[24:25], v[26:27], v[24:25]
	v_fma_f64 v[40:41], -v[2:3], v[4:5], 1.0
	v_fmac_f64_e32 v[4:5], v[4:5], v[40:41]
	v_fma_f64 v[40:41], -v[2:3], v[4:5], 1.0
	v_fmac_f64_e32 v[4:5], v[4:5], v[40:41]
	v_mul_f64 v[40:41], v[28:29], v[4:5]
	v_fma_f64 v[2:3], -v[2:3], v[40:41], v[28:29]
	v_div_fmas_f64 v[2:3], v[2:3], v[4:5], v[40:41]
	v_div_fixup_f64 v[2:3], v[2:3], v[26:27], v[24:25]
	v_fmac_f64_e32 v[26:27], v[24:25], v[2:3]
	v_div_scale_f64 v[4:5], s[12:13], v[26:27], v[26:27], 1.0
	v_rcp_f64_e32 v[24:25], v[4:5]
	v_fma_f64 v[28:29], -v[4:5], v[24:25], 1.0
	v_fmac_f64_e32 v[24:25], v[24:25], v[28:29]
	v_fma_f64 v[28:29], -v[4:5], v[24:25], 1.0
	v_fmac_f64_e32 v[24:25], v[24:25], v[28:29]
	v_div_scale_f64 v[28:29], vcc, 1.0, v[26:27], 1.0
	v_mul_f64 v[40:41], v[28:29], v[24:25]
	v_fma_f64 v[4:5], -v[4:5], v[40:41], v[28:29]
	s_nop 1
	v_div_fmas_f64 v[4:5], v[4:5], v[24:25], v[40:41]
	v_div_fixup_f64 v[4:5], v[4:5], v[26:27], 1.0
	v_mul_f64 v[28:29], v[2:3], v[4:5]
	v_xor_b32_e32 v5, 0x80000000, v5
	v_xor_b32_e32 v3, 0x80000000, v29
	v_mov_b32_e32 v2, v28
                                        ; implicit-def: $vgpr24_vgpr25
                                        ; implicit-def: $vgpr26_vgpr27
.LBB8_15:
	s_andn2_saveexec_b64 s[8:9], s[8:9]
	s_cbranch_execz .LBB8_17
; %bb.16:
	v_div_scale_f64 v[2:3], s[12:13], v[24:25], v[24:25], v[26:27]
	v_rcp_f64_e32 v[4:5], v[2:3]
	v_div_scale_f64 v[28:29], vcc, v[26:27], v[24:25], v[26:27]
	v_fma_f64 v[40:41], -v[2:3], v[4:5], 1.0
	v_fmac_f64_e32 v[4:5], v[4:5], v[40:41]
	v_fma_f64 v[40:41], -v[2:3], v[4:5], 1.0
	v_fmac_f64_e32 v[4:5], v[4:5], v[40:41]
	v_mul_f64 v[40:41], v[28:29], v[4:5]
	v_fma_f64 v[2:3], -v[2:3], v[40:41], v[28:29]
	v_div_fmas_f64 v[2:3], v[2:3], v[4:5], v[40:41]
	v_div_fixup_f64 v[4:5], v[2:3], v[24:25], v[26:27]
	v_fmac_f64_e32 v[24:25], v[26:27], v[4:5]
	v_div_scale_f64 v[2:3], s[12:13], v[24:25], v[24:25], 1.0
	v_rcp_f64_e32 v[26:27], v[2:3]
	v_fma_f64 v[28:29], -v[2:3], v[26:27], 1.0
	v_fmac_f64_e32 v[26:27], v[26:27], v[28:29]
	v_fma_f64 v[28:29], -v[2:3], v[26:27], 1.0
	v_fmac_f64_e32 v[26:27], v[26:27], v[28:29]
	v_div_scale_f64 v[28:29], vcc, 1.0, v[24:25], 1.0
	v_mul_f64 v[40:41], v[28:29], v[26:27]
	v_fma_f64 v[2:3], -v[2:3], v[40:41], v[28:29]
	s_nop 1
	v_div_fmas_f64 v[2:3], v[2:3], v[26:27], v[40:41]
	v_div_fixup_f64 v[28:29], v[2:3], v[24:25], 1.0
	v_xor_b32_e32 v3, 0x80000000, v29
	v_mov_b32_e32 v2, v28
	v_mul_f64 v[4:5], v[4:5], -v[28:29]
.LBB8_17:
	s_or_b64 exec, exec, s[8:9]
	buffer_store_dword v29, v39, s[0:3], 0 offen offset:4
	buffer_store_dword v28, v39, s[0:3], 0 offen
	buffer_store_dword v5, v39, s[0:3], 0 offen offset:12
	buffer_store_dword v4, v39, s[0:3], 0 offen offset:8
	buffer_load_dword v29, v34, s[0:3], 0 offen offset:12
	s_nop 0
	buffer_load_dword v28, v34, s[0:3], 0 offen offset:8
	buffer_load_dword v27, v34, s[0:3], 0 offen offset:4
	buffer_load_dword v26, v34, s[0:3], 0 offen
	v_xor_b32_e32 v5, 0x80000000, v5
	v_add_u32_e32 v24, 0x90, v38
	ds_write_b128 v38, v[2:5]
	s_waitcnt vmcnt(0)
	ds_write_b128 v38, v[26:29] offset:144
	s_waitcnt lgkmcnt(0)
	; wave barrier
	s_waitcnt lgkmcnt(0)
	s_and_saveexec_b64 s[8:9], s[6:7]
	s_cbranch_execz .LBB8_19
; %bb.18:
	buffer_load_dword v40, v39, s[0:3], 0 offen offset:8
	buffer_load_dword v41, v39, s[0:3], 0 offen offset:12
	buffer_load_dword v42, v39, s[0:3], 0 offen
	buffer_load_dword v43, v39, s[0:3], 0 offen offset:4
	ds_read_b128 v[2:5], v24
	v_mov_b32_e32 v25, 0
	ds_read_b128 v[26:29], v25 offset:16
	s_waitcnt vmcnt(2) lgkmcnt(1)
	v_mul_f64 v[44:45], v[4:5], v[40:41]
	v_mul_f64 v[40:41], v[2:3], v[40:41]
	s_waitcnt vmcnt(0)
	v_fmac_f64_e32 v[40:41], v[4:5], v[42:43]
	v_fma_f64 v[2:3], v[2:3], v[42:43], -v[44:45]
	v_add_f64 v[4:5], v[40:41], 0
	v_add_f64 v[2:3], v[2:3], 0
	s_waitcnt lgkmcnt(0)
	v_mul_f64 v[40:41], v[4:5], v[28:29]
	v_mul_f64 v[28:29], v[2:3], v[28:29]
	v_fma_f64 v[2:3], v[2:3], v[26:27], -v[40:41]
	v_fmac_f64_e32 v[28:29], v[4:5], v[26:27]
	buffer_store_dword v2, off, s[0:3], 0 offset:16
	buffer_store_dword v3, off, s[0:3], 0 offset:20
	;; [unrolled: 1-line block ×4, first 2 shown]
.LBB8_19:
	s_or_b64 exec, exec, s[8:9]
	s_waitcnt lgkmcnt(0)
	; wave barrier
	buffer_load_dword v2, v35, s[0:3], 0 offen
	buffer_load_dword v3, v35, s[0:3], 0 offen offset:4
	buffer_load_dword v4, v35, s[0:3], 0 offen offset:8
	;; [unrolled: 1-line block ×3, first 2 shown]
	v_cmp_gt_u32_e32 vcc, 2, v37
	s_waitcnt vmcnt(0)
	ds_write_b128 v24, v[2:5]
	s_waitcnt lgkmcnt(0)
	; wave barrier
	s_waitcnt lgkmcnt(0)
	s_and_saveexec_b64 s[8:9], vcc
	s_cbranch_execz .LBB8_23
; %bb.20:
	buffer_load_dword v26, v39, s[0:3], 0 offen offset:8
	buffer_load_dword v27, v39, s[0:3], 0 offen offset:12
	buffer_load_dword v28, v39, s[0:3], 0 offen
	buffer_load_dword v29, v39, s[0:3], 0 offen offset:4
	ds_read_b128 v[2:5], v24
	s_waitcnt vmcnt(2) lgkmcnt(0)
	v_mul_f64 v[40:41], v[4:5], v[26:27]
	v_mul_f64 v[26:27], v[2:3], v[26:27]
	s_waitcnt vmcnt(0)
	v_fma_f64 v[2:3], v[2:3], v[28:29], -v[40:41]
	v_fmac_f64_e32 v[26:27], v[4:5], v[28:29]
	v_add_f64 v[4:5], v[2:3], 0
	v_add_f64 v[2:3], v[26:27], 0
	s_and_saveexec_b64 s[12:13], s[6:7]
	s_cbranch_execz .LBB8_22
; %bb.21:
	buffer_load_dword v40, off, s[0:3], 0 offset:24
	buffer_load_dword v41, off, s[0:3], 0 offset:28
	;; [unrolled: 1-line block ×4, first 2 shown]
	v_mov_b32_e32 v25, 0
	ds_read_b128 v[26:29], v25 offset:160
	s_waitcnt vmcnt(2) lgkmcnt(0)
	v_mul_f64 v[44:45], v[26:27], v[40:41]
	v_mul_f64 v[40:41], v[28:29], v[40:41]
	s_waitcnt vmcnt(0)
	v_fmac_f64_e32 v[44:45], v[28:29], v[42:43]
	v_fma_f64 v[26:27], v[26:27], v[42:43], -v[40:41]
	v_add_f64 v[2:3], v[2:3], v[44:45]
	v_add_f64 v[4:5], v[4:5], v[26:27]
.LBB8_22:
	s_or_b64 exec, exec, s[12:13]
	v_mov_b32_e32 v25, 0
	ds_read_b128 v[26:29], v25 offset:32
	s_waitcnt lgkmcnt(0)
	v_mul_f64 v[40:41], v[2:3], v[28:29]
	v_mul_f64 v[28:29], v[4:5], v[28:29]
	v_fma_f64 v[4:5], v[4:5], v[26:27], -v[40:41]
	v_fmac_f64_e32 v[28:29], v[2:3], v[26:27]
	buffer_store_dword v5, off, s[0:3], 0 offset:36
	buffer_store_dword v4, off, s[0:3], 0 offset:32
	buffer_store_dword v29, off, s[0:3], 0 offset:44
	buffer_store_dword v28, off, s[0:3], 0 offset:40
.LBB8_23:
	s_or_b64 exec, exec, s[8:9]
	s_waitcnt lgkmcnt(0)
	; wave barrier
	buffer_load_dword v2, v36, s[0:3], 0 offen
	buffer_load_dword v3, v36, s[0:3], 0 offen offset:4
	buffer_load_dword v4, v36, s[0:3], 0 offen offset:8
	;; [unrolled: 1-line block ×3, first 2 shown]
	v_cmp_gt_u32_e32 vcc, 3, v37
	v_add_u32_e32 v25, -1, v37
	s_waitcnt vmcnt(0)
	ds_write_b128 v24, v[2:5]
	s_waitcnt lgkmcnt(0)
	; wave barrier
	s_waitcnt lgkmcnt(0)
	s_and_saveexec_b64 s[6:7], vcc
	s_cbranch_execz .LBB8_27
; %bb.24:
	v_pk_mov_b32 v[2:3], 0, 0
	v_add_u32_e32 v26, -1, v37
	v_add_u32_e32 v27, 0x90, v38
	v_add_u32_e32 v28, 0, v38
	s_mov_b64 s[8:9], 0
	v_pk_mov_b32 v[4:5], v[2:3], v[2:3] op_sel:[0,1]
.LBB8_25:                               ; =>This Inner Loop Header: Depth=1
	buffer_load_dword v44, v28, s[0:3], 0 offen offset:8
	buffer_load_dword v45, v28, s[0:3], 0 offen offset:12
	buffer_load_dword v46, v28, s[0:3], 0 offen
	buffer_load_dword v47, v28, s[0:3], 0 offen offset:4
	ds_read_b128 v[40:43], v27
	v_add_u32_e32 v26, 1, v26
	v_cmp_lt_u32_e32 vcc, 1, v26
	v_add_u32_e32 v27, 16, v27
	v_add_u32_e32 v28, 16, v28
	s_or_b64 s[8:9], vcc, s[8:9]
	s_waitcnt vmcnt(2) lgkmcnt(0)
	v_mul_f64 v[48:49], v[42:43], v[44:45]
	v_mul_f64 v[44:45], v[40:41], v[44:45]
	s_waitcnt vmcnt(0)
	v_fma_f64 v[40:41], v[40:41], v[46:47], -v[48:49]
	v_fmac_f64_e32 v[44:45], v[42:43], v[46:47]
	v_add_f64 v[4:5], v[4:5], v[40:41]
	v_add_f64 v[2:3], v[2:3], v[44:45]
	s_andn2_b64 exec, exec, s[8:9]
	s_cbranch_execnz .LBB8_25
; %bb.26:
	s_or_b64 exec, exec, s[8:9]
	v_mov_b32_e32 v26, 0
	ds_read_b128 v[26:29], v26 offset:48
	s_waitcnt lgkmcnt(0)
	v_mul_f64 v[40:41], v[2:3], v[28:29]
	v_mul_f64 v[28:29], v[4:5], v[28:29]
	v_fma_f64 v[4:5], v[4:5], v[26:27], -v[40:41]
	v_fmac_f64_e32 v[28:29], v[2:3], v[26:27]
	buffer_store_dword v5, off, s[0:3], 0 offset:52
	buffer_store_dword v4, off, s[0:3], 0 offset:48
	buffer_store_dword v29, off, s[0:3], 0 offset:60
	buffer_store_dword v28, off, s[0:3], 0 offset:56
.LBB8_27:
	s_or_b64 exec, exec, s[6:7]
	s_waitcnt lgkmcnt(0)
	; wave barrier
	buffer_load_dword v2, v1, s[0:3], 0 offen
	buffer_load_dword v3, v1, s[0:3], 0 offen offset:4
	buffer_load_dword v4, v1, s[0:3], 0 offen offset:8
	buffer_load_dword v5, v1, s[0:3], 0 offen offset:12
	v_cmp_gt_u32_e32 vcc, 4, v37
	s_waitcnt vmcnt(0)
	ds_write_b128 v24, v[2:5]
	s_waitcnt lgkmcnt(0)
	; wave barrier
	s_waitcnt lgkmcnt(0)
	s_and_saveexec_b64 s[6:7], vcc
	s_cbranch_execz .LBB8_31
; %bb.28:
	v_pk_mov_b32 v[2:3], 0, 0
	v_add_u32_e32 v26, -1, v37
	v_add_u32_e32 v27, 0x90, v38
	v_add_u32_e32 v28, 0, v38
	s_mov_b64 s[8:9], 0
	v_pk_mov_b32 v[4:5], v[2:3], v[2:3] op_sel:[0,1]
.LBB8_29:                               ; =>This Inner Loop Header: Depth=1
	buffer_load_dword v44, v28, s[0:3], 0 offen offset:8
	buffer_load_dword v45, v28, s[0:3], 0 offen offset:12
	buffer_load_dword v46, v28, s[0:3], 0 offen
	buffer_load_dword v47, v28, s[0:3], 0 offen offset:4
	ds_read_b128 v[40:43], v27
	v_add_u32_e32 v26, 1, v26
	v_cmp_lt_u32_e32 vcc, 2, v26
	v_add_u32_e32 v27, 16, v27
	v_add_u32_e32 v28, 16, v28
	s_or_b64 s[8:9], vcc, s[8:9]
	s_waitcnt vmcnt(2) lgkmcnt(0)
	v_mul_f64 v[48:49], v[42:43], v[44:45]
	v_mul_f64 v[44:45], v[40:41], v[44:45]
	s_waitcnt vmcnt(0)
	v_fma_f64 v[40:41], v[40:41], v[46:47], -v[48:49]
	v_fmac_f64_e32 v[44:45], v[42:43], v[46:47]
	v_add_f64 v[4:5], v[4:5], v[40:41]
	v_add_f64 v[2:3], v[2:3], v[44:45]
	s_andn2_b64 exec, exec, s[8:9]
	s_cbranch_execnz .LBB8_29
; %bb.30:
	s_or_b64 exec, exec, s[8:9]
	v_mov_b32_e32 v26, 0
	ds_read_b128 v[26:29], v26 offset:64
	s_waitcnt lgkmcnt(0)
	v_mul_f64 v[40:41], v[2:3], v[28:29]
	v_mul_f64 v[28:29], v[4:5], v[28:29]
	v_fma_f64 v[4:5], v[4:5], v[26:27], -v[40:41]
	v_fmac_f64_e32 v[28:29], v[2:3], v[26:27]
	buffer_store_dword v5, off, s[0:3], 0 offset:68
	buffer_store_dword v4, off, s[0:3], 0 offset:64
	buffer_store_dword v29, off, s[0:3], 0 offset:76
	buffer_store_dword v28, off, s[0:3], 0 offset:72
.LBB8_31:
	s_or_b64 exec, exec, s[6:7]
	s_waitcnt lgkmcnt(0)
	; wave barrier
	buffer_load_dword v2, v30, s[0:3], 0 offen
	buffer_load_dword v3, v30, s[0:3], 0 offen offset:4
	buffer_load_dword v4, v30, s[0:3], 0 offen offset:8
	buffer_load_dword v5, v30, s[0:3], 0 offen offset:12
	v_cmp_gt_u32_e32 vcc, 5, v37
	;; [unrolled: 57-line block ×4, first 2 shown]
	s_waitcnt vmcnt(0)
	ds_write_b128 v24, v[2:5]
	s_waitcnt lgkmcnt(0)
	; wave barrier
	s_waitcnt lgkmcnt(0)
	s_and_saveexec_b64 s[6:7], vcc
	s_cbranch_execz .LBB8_43
; %bb.40:
	v_pk_mov_b32 v[2:3], 0, 0
	v_add_u32_e32 v26, -1, v37
	v_add_u32_e32 v27, 0x90, v38
	v_add_u32_e32 v28, 0, v38
	s_mov_b64 s[8:9], 0
	v_pk_mov_b32 v[4:5], v[2:3], v[2:3] op_sel:[0,1]
.LBB8_41:                               ; =>This Inner Loop Header: Depth=1
	buffer_load_dword v44, v28, s[0:3], 0 offen offset:8
	buffer_load_dword v45, v28, s[0:3], 0 offen offset:12
	buffer_load_dword v46, v28, s[0:3], 0 offen
	buffer_load_dword v47, v28, s[0:3], 0 offen offset:4
	ds_read_b128 v[40:43], v27
	v_add_u32_e32 v26, 1, v26
	v_cmp_lt_u32_e32 vcc, 5, v26
	v_add_u32_e32 v27, 16, v27
	v_add_u32_e32 v28, 16, v28
	s_or_b64 s[8:9], vcc, s[8:9]
	s_waitcnt vmcnt(2) lgkmcnt(0)
	v_mul_f64 v[48:49], v[42:43], v[44:45]
	v_mul_f64 v[44:45], v[40:41], v[44:45]
	s_waitcnt vmcnt(0)
	v_fma_f64 v[40:41], v[40:41], v[46:47], -v[48:49]
	v_fmac_f64_e32 v[44:45], v[42:43], v[46:47]
	v_add_f64 v[4:5], v[4:5], v[40:41]
	v_add_f64 v[2:3], v[2:3], v[44:45]
	s_andn2_b64 exec, exec, s[8:9]
	s_cbranch_execnz .LBB8_41
; %bb.42:
	s_or_b64 exec, exec, s[8:9]
	v_mov_b32_e32 v26, 0
	ds_read_b128 v[26:29], v26 offset:112
	s_waitcnt lgkmcnt(0)
	v_mul_f64 v[40:41], v[2:3], v[28:29]
	v_mul_f64 v[28:29], v[4:5], v[28:29]
	v_fma_f64 v[4:5], v[4:5], v[26:27], -v[40:41]
	v_fmac_f64_e32 v[28:29], v[2:3], v[26:27]
	buffer_store_dword v5, off, s[0:3], 0 offset:116
	buffer_store_dword v4, off, s[0:3], 0 offset:112
	;; [unrolled: 1-line block ×4, first 2 shown]
.LBB8_43:
	s_or_b64 exec, exec, s[6:7]
	s_waitcnt lgkmcnt(0)
	; wave barrier
	buffer_load_dword v2, v32, s[0:3], 0 offen
	buffer_load_dword v3, v32, s[0:3], 0 offen offset:4
	buffer_load_dword v4, v32, s[0:3], 0 offen offset:8
	;; [unrolled: 1-line block ×3, first 2 shown]
	v_cmp_ne_u32_e32 vcc, 8, v37
	s_waitcnt vmcnt(0)
	ds_write_b128 v24, v[2:5]
	s_waitcnt lgkmcnt(0)
	; wave barrier
	s_waitcnt lgkmcnt(0)
	s_and_saveexec_b64 s[6:7], vcc
	s_cbranch_execz .LBB8_47
; %bb.44:
	v_pk_mov_b32 v[2:3], 0, 0
	v_add_u32_e32 v24, 0x90, v38
	v_add_u32_e32 v26, 0, v38
	s_mov_b64 s[8:9], 0
	v_pk_mov_b32 v[4:5], v[2:3], v[2:3] op_sel:[0,1]
.LBB8_45:                               ; =>This Inner Loop Header: Depth=1
	buffer_load_dword v28, v26, s[0:3], 0 offen offset:8
	buffer_load_dword v29, v26, s[0:3], 0 offen offset:12
	buffer_load_dword v42, v26, s[0:3], 0 offen
	buffer_load_dword v43, v26, s[0:3], 0 offen offset:4
	ds_read_b128 v[38:41], v24
	v_add_u32_e32 v25, 1, v25
	v_cmp_lt_u32_e32 vcc, 6, v25
	v_add_u32_e32 v24, 16, v24
	v_add_u32_e32 v26, 16, v26
	s_or_b64 s[8:9], vcc, s[8:9]
	s_waitcnt vmcnt(2) lgkmcnt(0)
	v_mul_f64 v[44:45], v[40:41], v[28:29]
	v_mul_f64 v[28:29], v[38:39], v[28:29]
	s_waitcnt vmcnt(0)
	v_fma_f64 v[38:39], v[38:39], v[42:43], -v[44:45]
	v_fmac_f64_e32 v[28:29], v[40:41], v[42:43]
	v_add_f64 v[4:5], v[4:5], v[38:39]
	v_add_f64 v[2:3], v[2:3], v[28:29]
	s_andn2_b64 exec, exec, s[8:9]
	s_cbranch_execnz .LBB8_45
; %bb.46:
	s_or_b64 exec, exec, s[8:9]
	v_mov_b32_e32 v24, 0
	ds_read_b128 v[24:27], v24 offset:128
	s_waitcnt lgkmcnt(0)
	v_mul_f64 v[28:29], v[2:3], v[26:27]
	v_mul_f64 v[26:27], v[4:5], v[26:27]
	v_fma_f64 v[4:5], v[4:5], v[24:25], -v[28:29]
	v_fmac_f64_e32 v[26:27], v[2:3], v[24:25]
	buffer_store_dword v5, off, s[0:3], 0 offset:132
	buffer_store_dword v4, off, s[0:3], 0 offset:128
	;; [unrolled: 1-line block ×4, first 2 shown]
.LBB8_47:
	s_or_b64 exec, exec, s[6:7]
	s_mov_b64 s[8:9], -1
	s_waitcnt lgkmcnt(0)
	; wave barrier
.LBB8_48:
	s_and_b64 vcc, exec, s[8:9]
	s_cbranch_vccz .LBB8_50
; %bb.49:
	s_lshl_b64 s[6:7], s[10:11], 2
	s_add_u32 s6, s14, s6
	s_addc_u32 s7, s15, s7
	v_mov_b32_e32 v2, 0
	global_load_dword v2, v2, s[6:7]
	s_waitcnt vmcnt(0)
	v_cmp_ne_u32_e32 vcc, 0, v2
	s_cbranch_vccz .LBB8_51
.LBB8_50:
	s_endpgm
.LBB8_51:
	v_mov_b32_e32 v2, 0x90
	v_lshl_add_u32 v2, v37, 4, v2
	v_cmp_eq_u32_e32 vcc, 8, v37
	s_and_saveexec_b64 s[6:7], vcc
	s_cbranch_execz .LBB8_53
; %bb.52:
	buffer_load_dword v24, v33, s[0:3], 0 offen
	buffer_load_dword v25, v33, s[0:3], 0 offen offset:4
	buffer_load_dword v26, v33, s[0:3], 0 offen offset:8
	;; [unrolled: 1-line block ×3, first 2 shown]
	v_mov_b32_e32 v3, 0
	buffer_store_dword v3, off, s[0:3], 0 offset:112
	buffer_store_dword v3, off, s[0:3], 0 offset:116
	;; [unrolled: 1-line block ×4, first 2 shown]
	s_waitcnt vmcnt(4)
	ds_write_b128 v2, v[24:27]
.LBB8_53:
	s_or_b64 exec, exec, s[6:7]
	s_waitcnt lgkmcnt(0)
	; wave barrier
	s_waitcnt lgkmcnt(0)
	buffer_load_dword v4, off, s[0:3], 0 offset:136
	buffer_load_dword v5, off, s[0:3], 0 offset:140
	;; [unrolled: 1-line block ×8, first 2 shown]
	v_mov_b32_e32 v3, 0
	ds_read_b128 v[24:27], v3 offset:272
	v_cmp_lt_u32_e32 vcc, 6, v37
	s_waitcnt vmcnt(6) lgkmcnt(0)
	v_mul_f64 v[42:43], v[24:25], v[4:5]
	v_mul_f64 v[4:5], v[26:27], v[4:5]
	s_waitcnt vmcnt(4)
	v_fma_f64 v[4:5], v[24:25], v[28:29], -v[4:5]
	v_fmac_f64_e32 v[42:43], v[26:27], v[28:29]
	v_add_f64 v[4:5], v[4:5], 0
	v_add_f64 v[24:25], v[42:43], 0
	s_waitcnt vmcnt(2)
	v_add_f64 v[4:5], v[38:39], -v[4:5]
	s_waitcnt vmcnt(0)
	v_add_f64 v[24:25], v[40:41], -v[24:25]
	buffer_store_dword v4, off, s[0:3], 0 offset:112
	buffer_store_dword v5, off, s[0:3], 0 offset:116
	;; [unrolled: 1-line block ×4, first 2 shown]
	s_and_saveexec_b64 s[6:7], vcc
	s_cbranch_execz .LBB8_55
; %bb.54:
	buffer_load_dword v24, v31, s[0:3], 0 offen
	buffer_load_dword v25, v31, s[0:3], 0 offen offset:4
	buffer_load_dword v26, v31, s[0:3], 0 offen offset:8
	;; [unrolled: 1-line block ×3, first 2 shown]
	s_nop 0
	buffer_store_dword v3, off, s[0:3], 0 offset:96
	buffer_store_dword v3, off, s[0:3], 0 offset:100
	;; [unrolled: 1-line block ×4, first 2 shown]
	s_waitcnt vmcnt(4)
	ds_write_b128 v2, v[24:27]
.LBB8_55:
	s_or_b64 exec, exec, s[6:7]
	s_waitcnt lgkmcnt(0)
	; wave barrier
	s_waitcnt lgkmcnt(0)
	buffer_load_dword v4, off, s[0:3], 0 offset:120
	buffer_load_dword v5, off, s[0:3], 0 offset:124
	;; [unrolled: 1-line block ×12, first 2 shown]
	ds_read_b128 v[24:27], v3 offset:256
	ds_read_b128 v[38:41], v3 offset:272
	v_cmp_lt_u32_e32 vcc, 5, v37
	s_waitcnt vmcnt(10) lgkmcnt(1)
	v_mul_f64 v[50:51], v[24:25], v[4:5]
	v_mul_f64 v[4:5], v[26:27], v[4:5]
	s_waitcnt vmcnt(8) lgkmcnt(0)
	v_mul_f64 v[52:53], v[38:39], v[28:29]
	v_mul_f64 v[28:29], v[40:41], v[28:29]
	s_waitcnt vmcnt(6)
	v_fma_f64 v[4:5], v[24:25], v[42:43], -v[4:5]
	v_fmac_f64_e32 v[50:51], v[26:27], v[42:43]
	s_waitcnt vmcnt(4)
	v_fma_f64 v[24:25], v[38:39], v[44:45], -v[28:29]
	v_add_f64 v[4:5], v[4:5], 0
	v_fmac_f64_e32 v[52:53], v[40:41], v[44:45]
	v_add_f64 v[26:27], v[50:51], 0
	v_add_f64 v[4:5], v[4:5], v[24:25]
	;; [unrolled: 1-line block ×3, first 2 shown]
	s_waitcnt vmcnt(2)
	v_add_f64 v[4:5], v[46:47], -v[4:5]
	s_waitcnt vmcnt(0)
	v_add_f64 v[24:25], v[48:49], -v[26:27]
	buffer_store_dword v4, off, s[0:3], 0 offset:96
	buffer_store_dword v5, off, s[0:3], 0 offset:100
	;; [unrolled: 1-line block ×4, first 2 shown]
	s_and_saveexec_b64 s[6:7], vcc
	s_cbranch_execz .LBB8_57
; %bb.56:
	buffer_load_dword v24, v30, s[0:3], 0 offen
	buffer_load_dword v25, v30, s[0:3], 0 offen offset:4
	buffer_load_dword v26, v30, s[0:3], 0 offen offset:8
	;; [unrolled: 1-line block ×3, first 2 shown]
	v_mov_b32_e32 v3, 0
	buffer_store_dword v3, off, s[0:3], 0 offset:80
	buffer_store_dword v3, off, s[0:3], 0 offset:84
	buffer_store_dword v3, off, s[0:3], 0 offset:88
	buffer_store_dword v3, off, s[0:3], 0 offset:92
	s_waitcnt vmcnt(4)
	ds_write_b128 v2, v[24:27]
.LBB8_57:
	s_or_b64 exec, exec, s[6:7]
	s_waitcnt lgkmcnt(0)
	; wave barrier
	s_waitcnt lgkmcnt(0)
	buffer_load_dword v4, off, s[0:3], 0 offset:104
	buffer_load_dword v5, off, s[0:3], 0 offset:108
	;; [unrolled: 1-line block ×16, first 2 shown]
	v_mov_b32_e32 v3, 0
	ds_read_b128 v[24:27], v3 offset:240
	ds_read_b128 v[38:41], v3 offset:256
	;; [unrolled: 1-line block ×3, first 2 shown]
	v_cmp_lt_u32_e32 vcc, 4, v37
	s_waitcnt vmcnt(14) lgkmcnt(2)
	v_mul_f64 v[58:59], v[24:25], v[4:5]
	v_mul_f64 v[4:5], v[26:27], v[4:5]
	s_waitcnt vmcnt(12) lgkmcnt(1)
	v_mul_f64 v[60:61], v[38:39], v[28:29]
	v_mul_f64 v[28:29], v[40:41], v[28:29]
	s_waitcnt vmcnt(10) lgkmcnt(0)
	v_mul_f64 v[62:63], v[42:43], v[46:47]
	v_mul_f64 v[46:47], v[44:45], v[46:47]
	s_waitcnt vmcnt(8)
	v_fma_f64 v[4:5], v[24:25], v[48:49], -v[4:5]
	v_fmac_f64_e32 v[58:59], v[26:27], v[48:49]
	s_waitcnt vmcnt(6)
	v_fma_f64 v[24:25], v[38:39], v[50:51], -v[28:29]
	v_add_f64 v[4:5], v[4:5], 0
	v_fmac_f64_e32 v[60:61], v[40:41], v[50:51]
	s_waitcnt vmcnt(4)
	v_fma_f64 v[26:27], v[42:43], v[52:53], -v[46:47]
	v_add_f64 v[28:29], v[58:59], 0
	v_add_f64 v[4:5], v[4:5], v[24:25]
	v_fmac_f64_e32 v[62:63], v[44:45], v[52:53]
	v_add_f64 v[28:29], v[28:29], v[60:61]
	v_add_f64 v[4:5], v[4:5], v[26:27]
	;; [unrolled: 1-line block ×3, first 2 shown]
	s_waitcnt vmcnt(2)
	v_add_f64 v[4:5], v[54:55], -v[4:5]
	s_waitcnt vmcnt(0)
	v_add_f64 v[24:25], v[56:57], -v[24:25]
	buffer_store_dword v4, off, s[0:3], 0 offset:80
	buffer_store_dword v5, off, s[0:3], 0 offset:84
	buffer_store_dword v24, off, s[0:3], 0 offset:88
	buffer_store_dword v25, off, s[0:3], 0 offset:92
	s_and_saveexec_b64 s[6:7], vcc
	s_cbranch_execz .LBB8_59
; %bb.58:
	buffer_load_dword v24, v1, s[0:3], 0 offen
	buffer_load_dword v25, v1, s[0:3], 0 offen offset:4
	buffer_load_dword v26, v1, s[0:3], 0 offen offset:8
	;; [unrolled: 1-line block ×3, first 2 shown]
	s_nop 0
	buffer_store_dword v3, off, s[0:3], 0 offset:64
	buffer_store_dword v3, off, s[0:3], 0 offset:68
	;; [unrolled: 1-line block ×4, first 2 shown]
	s_waitcnt vmcnt(4)
	ds_write_b128 v2, v[24:27]
.LBB8_59:
	s_or_b64 exec, exec, s[6:7]
	s_waitcnt lgkmcnt(0)
	; wave barrier
	s_waitcnt lgkmcnt(0)
	buffer_load_dword v4, off, s[0:3], 0 offset:88
	buffer_load_dword v5, off, s[0:3], 0 offset:92
	;; [unrolled: 1-line block ×20, first 2 shown]
	ds_read_b128 v[24:27], v3 offset:224
	ds_read_b128 v[38:41], v3 offset:240
	;; [unrolled: 1-line block ×4, first 2 shown]
	v_cmp_lt_u32_e32 vcc, 3, v37
	s_waitcnt vmcnt(18) lgkmcnt(3)
	v_mul_f64 v[66:67], v[24:25], v[4:5]
	v_mul_f64 v[4:5], v[26:27], v[4:5]
	s_waitcnt vmcnt(16) lgkmcnt(2)
	v_mul_f64 v[68:69], v[38:39], v[28:29]
	v_mul_f64 v[28:29], v[40:41], v[28:29]
	;; [unrolled: 3-line block ×4, first 2 shown]
	s_waitcnt vmcnt(10)
	v_fma_f64 v[4:5], v[24:25], v[54:55], -v[4:5]
	v_fmac_f64_e32 v[66:67], v[26:27], v[54:55]
	s_waitcnt vmcnt(8)
	v_fma_f64 v[24:25], v[38:39], v[56:57], -v[28:29]
	v_add_f64 v[4:5], v[4:5], 0
	v_fmac_f64_e32 v[68:69], v[40:41], v[56:57]
	s_waitcnt vmcnt(6)
	v_fma_f64 v[26:27], v[42:43], v[58:59], -v[50:51]
	v_add_f64 v[38:39], v[66:67], 0
	v_add_f64 v[4:5], v[4:5], v[24:25]
	v_fmac_f64_e32 v[70:71], v[44:45], v[58:59]
	s_waitcnt vmcnt(4)
	v_fma_f64 v[28:29], v[46:47], v[60:61], -v[52:53]
	v_add_f64 v[38:39], v[38:39], v[68:69]
	v_add_f64 v[4:5], v[4:5], v[26:27]
	v_fmac_f64_e32 v[72:73], v[48:49], v[60:61]
	v_add_f64 v[24:25], v[38:39], v[70:71]
	v_add_f64 v[4:5], v[4:5], v[28:29]
	;; [unrolled: 1-line block ×3, first 2 shown]
	s_waitcnt vmcnt(2)
	v_add_f64 v[4:5], v[62:63], -v[4:5]
	s_waitcnt vmcnt(0)
	v_add_f64 v[24:25], v[64:65], -v[24:25]
	buffer_store_dword v4, off, s[0:3], 0 offset:64
	buffer_store_dword v5, off, s[0:3], 0 offset:68
	;; [unrolled: 1-line block ×4, first 2 shown]
	s_and_saveexec_b64 s[6:7], vcc
	s_cbranch_execz .LBB8_61
; %bb.60:
	buffer_load_dword v24, v36, s[0:3], 0 offen
	buffer_load_dword v25, v36, s[0:3], 0 offen offset:4
	buffer_load_dword v26, v36, s[0:3], 0 offen offset:8
	;; [unrolled: 1-line block ×3, first 2 shown]
	v_mov_b32_e32 v3, 0
	buffer_store_dword v3, off, s[0:3], 0 offset:48
	buffer_store_dword v3, off, s[0:3], 0 offset:52
	buffer_store_dword v3, off, s[0:3], 0 offset:56
	buffer_store_dword v3, off, s[0:3], 0 offset:60
	s_waitcnt vmcnt(4)
	ds_write_b128 v2, v[24:27]
.LBB8_61:
	s_or_b64 exec, exec, s[6:7]
	s_waitcnt lgkmcnt(0)
	; wave barrier
	s_waitcnt lgkmcnt(0)
	buffer_load_dword v4, off, s[0:3], 0 offset:72
	buffer_load_dword v5, off, s[0:3], 0 offset:76
	;; [unrolled: 1-line block ×24, first 2 shown]
	v_mov_b32_e32 v3, 0
	ds_read_b128 v[24:27], v3 offset:208
	ds_read_b128 v[38:41], v3 offset:224
	;; [unrolled: 1-line block ×5, first 2 shown]
	v_cmp_lt_u32_e32 vcc, 2, v37
	s_waitcnt vmcnt(22) lgkmcnt(4)
	v_mul_f64 v[74:75], v[24:25], v[4:5]
	v_mul_f64 v[4:5], v[26:27], v[4:5]
	s_waitcnt vmcnt(20) lgkmcnt(3)
	v_mul_f64 v[76:77], v[38:39], v[28:29]
	v_mul_f64 v[28:29], v[40:41], v[28:29]
	s_waitcnt vmcnt(18) lgkmcnt(2)
	v_mul_f64 v[78:79], v[42:43], v[54:55]
	v_mul_f64 v[54:55], v[44:45], v[54:55]
	s_waitcnt vmcnt(14) lgkmcnt(1)
	v_mul_f64 v[80:81], v[46:47], v[60:61]
	v_mul_f64 v[60:61], v[48:49], v[60:61]
	s_waitcnt vmcnt(13) lgkmcnt(0)
	v_mul_f64 v[82:83], v[50:51], v[56:57]
	s_waitcnt vmcnt(11)
	v_fma_f64 v[4:5], v[24:25], v[62:63], -v[4:5]
	v_fmac_f64_e32 v[74:75], v[26:27], v[62:63]
	s_waitcnt vmcnt(9)
	v_fma_f64 v[24:25], v[38:39], v[64:65], -v[28:29]
	v_add_f64 v[4:5], v[4:5], 0
	v_fmac_f64_e32 v[76:77], v[40:41], v[64:65]
	s_waitcnt vmcnt(7)
	v_fma_f64 v[26:27], v[42:43], v[66:67], -v[54:55]
	v_add_f64 v[40:41], v[74:75], 0
	v_add_f64 v[4:5], v[4:5], v[24:25]
	v_mul_f64 v[56:57], v[52:53], v[56:57]
	v_fmac_f64_e32 v[78:79], v[44:45], v[66:67]
	s_waitcnt vmcnt(5)
	v_fma_f64 v[28:29], v[46:47], v[68:69], -v[60:61]
	v_add_f64 v[40:41], v[40:41], v[76:77]
	v_add_f64 v[4:5], v[4:5], v[26:27]
	v_fmac_f64_e32 v[80:81], v[48:49], v[68:69]
	s_waitcnt vmcnt(4)
	v_fma_f64 v[38:39], v[50:51], v[58:59], -v[56:57]
	v_add_f64 v[24:25], v[40:41], v[78:79]
	v_add_f64 v[4:5], v[4:5], v[28:29]
	v_fmac_f64_e32 v[82:83], v[52:53], v[58:59]
	v_add_f64 v[24:25], v[24:25], v[80:81]
	v_add_f64 v[4:5], v[4:5], v[38:39]
	;; [unrolled: 1-line block ×3, first 2 shown]
	s_waitcnt vmcnt(2)
	v_add_f64 v[4:5], v[70:71], -v[4:5]
	s_waitcnt vmcnt(0)
	v_add_f64 v[24:25], v[72:73], -v[24:25]
	buffer_store_dword v5, off, s[0:3], 0 offset:52
	buffer_store_dword v4, off, s[0:3], 0 offset:48
	;; [unrolled: 1-line block ×4, first 2 shown]
	s_and_saveexec_b64 s[6:7], vcc
	s_cbranch_execz .LBB8_63
; %bb.62:
	buffer_load_dword v24, v35, s[0:3], 0 offen
	buffer_load_dword v25, v35, s[0:3], 0 offen offset:4
	buffer_load_dword v26, v35, s[0:3], 0 offen offset:8
	;; [unrolled: 1-line block ×3, first 2 shown]
	s_nop 0
	buffer_store_dword v3, off, s[0:3], 0 offset:32
	buffer_store_dword v3, off, s[0:3], 0 offset:36
	;; [unrolled: 1-line block ×4, first 2 shown]
	s_waitcnt vmcnt(4)
	ds_write_b128 v2, v[24:27]
.LBB8_63:
	s_or_b64 exec, exec, s[6:7]
	s_waitcnt lgkmcnt(0)
	; wave barrier
	s_waitcnt lgkmcnt(0)
	buffer_load_dword v4, off, s[0:3], 0 offset:56
	buffer_load_dword v5, off, s[0:3], 0 offset:60
	buffer_load_dword v28, off, s[0:3], 0 offset:72
	buffer_load_dword v29, off, s[0:3], 0 offset:76
	buffer_load_dword v58, off, s[0:3], 0 offset:88
	buffer_load_dword v59, off, s[0:3], 0 offset:92
	buffer_load_dword v61, off, s[0:3], 0 offset:124
	buffer_load_dword v60, off, s[0:3], 0 offset:120
	buffer_load_dword v62, off, s[0:3], 0 offset:112
	buffer_load_dword v65, off, s[0:3], 0 offset:108
	buffer_load_dword v64, off, s[0:3], 0 offset:104
	buffer_load_dword v67, off, s[0:3], 0 offset:140
	buffer_load_dword v66, off, s[0:3], 0 offset:136
	buffer_load_dword v63, off, s[0:3], 0 offset:116
	buffer_load_dword v68, off, s[0:3], 0 offset:48
	buffer_load_dword v69, off, s[0:3], 0 offset:52
	buffer_load_dword v70, off, s[0:3], 0 offset:64
	buffer_load_dword v71, off, s[0:3], 0 offset:68
	buffer_load_dword v72, off, s[0:3], 0 offset:80
	buffer_load_dword v73, off, s[0:3], 0 offset:84
	buffer_load_dword v75, off, s[0:3], 0 offset:100
	buffer_load_dword v74, off, s[0:3], 0 offset:96
	buffer_load_dword v77, off, s[0:3], 0 offset:132
	buffer_load_dword v76, off, s[0:3], 0 offset:128
	buffer_load_dword v78, off, s[0:3], 0 offset:32
	buffer_load_dword v79, off, s[0:3], 0 offset:36
	buffer_load_dword v80, off, s[0:3], 0 offset:40
	buffer_load_dword v81, off, s[0:3], 0 offset:44
	ds_read_b128 v[24:27], v3 offset:192
	ds_read_b128 v[38:41], v3 offset:208
	;; [unrolled: 1-line block ×6, first 2 shown]
	v_cmp_lt_u32_e32 vcc, 1, v37
	s_waitcnt vmcnt(26) lgkmcnt(5)
	v_mul_f64 v[82:83], v[24:25], v[4:5]
	v_mul_f64 v[4:5], v[26:27], v[4:5]
	s_waitcnt vmcnt(24) lgkmcnt(4)
	v_mul_f64 v[84:85], v[38:39], v[28:29]
	v_mul_f64 v[28:29], v[40:41], v[28:29]
	;; [unrolled: 3-line block ×4, first 2 shown]
	s_waitcnt vmcnt(17)
	v_mul_f64 v[88:89], v[46:47], v[64:65]
	v_mul_f64 v[64:65], v[48:49], v[64:65]
	s_waitcnt vmcnt(15) lgkmcnt(0)
	v_mul_f64 v[92:93], v[54:55], v[66:67]
	v_mul_f64 v[66:67], v[56:57], v[66:67]
	s_waitcnt vmcnt(14)
	v_fmac_f64_e32 v[90:91], v[52:53], v[62:63]
	s_waitcnt vmcnt(12)
	v_fma_f64 v[4:5], v[24:25], v[68:69], -v[4:5]
	v_fmac_f64_e32 v[82:83], v[26:27], v[68:69]
	s_waitcnt vmcnt(10)
	v_fma_f64 v[24:25], v[38:39], v[70:71], -v[28:29]
	v_add_f64 v[4:5], v[4:5], 0
	v_fmac_f64_e32 v[84:85], v[40:41], v[70:71]
	s_waitcnt vmcnt(8)
	v_fma_f64 v[26:27], v[42:43], v[72:73], -v[58:59]
	v_add_f64 v[42:43], v[82:83], 0
	v_add_f64 v[4:5], v[4:5], v[24:25]
	v_fmac_f64_e32 v[86:87], v[44:45], v[72:73]
	s_waitcnt vmcnt(6)
	v_fma_f64 v[28:29], v[46:47], v[74:75], -v[64:65]
	v_add_f64 v[42:43], v[42:43], v[84:85]
	v_add_f64 v[4:5], v[4:5], v[26:27]
	v_fmac_f64_e32 v[88:89], v[48:49], v[74:75]
	v_fma_f64 v[38:39], v[50:51], v[62:63], -v[60:61]
	v_add_f64 v[24:25], v[42:43], v[86:87]
	v_add_f64 v[4:5], v[4:5], v[28:29]
	s_waitcnt vmcnt(4)
	v_fma_f64 v[40:41], v[54:55], v[76:77], -v[66:67]
	v_add_f64 v[24:25], v[24:25], v[88:89]
	v_add_f64 v[4:5], v[4:5], v[38:39]
	v_fmac_f64_e32 v[92:93], v[56:57], v[76:77]
	v_add_f64 v[24:25], v[24:25], v[90:91]
	v_add_f64 v[4:5], v[4:5], v[40:41]
	;; [unrolled: 1-line block ×3, first 2 shown]
	s_waitcnt vmcnt(2)
	v_add_f64 v[4:5], v[78:79], -v[4:5]
	s_waitcnt vmcnt(0)
	v_add_f64 v[24:25], v[80:81], -v[24:25]
	buffer_store_dword v5, off, s[0:3], 0 offset:36
	buffer_store_dword v4, off, s[0:3], 0 offset:32
	;; [unrolled: 1-line block ×4, first 2 shown]
	s_and_saveexec_b64 s[6:7], vcc
	s_cbranch_execz .LBB8_65
; %bb.64:
	buffer_load_dword v24, v34, s[0:3], 0 offen
	buffer_load_dword v25, v34, s[0:3], 0 offen offset:4
	buffer_load_dword v26, v34, s[0:3], 0 offen offset:8
	;; [unrolled: 1-line block ×3, first 2 shown]
	v_mov_b32_e32 v3, 0
	buffer_store_dword v3, off, s[0:3], 0 offset:16
	buffer_store_dword v3, off, s[0:3], 0 offset:20
	;; [unrolled: 1-line block ×4, first 2 shown]
	s_waitcnt vmcnt(4)
	ds_write_b128 v2, v[24:27]
.LBB8_65:
	s_or_b64 exec, exec, s[6:7]
	s_waitcnt lgkmcnt(0)
	; wave barrier
	s_waitcnt lgkmcnt(0)
	buffer_load_dword v4, off, s[0:3], 0 offset:40
	buffer_load_dword v5, off, s[0:3], 0 offset:44
	;; [unrolled: 1-line block ×32, first 2 shown]
	v_mov_b32_e32 v3, 0
	ds_read_b128 v[24:27], v3 offset:176
	ds_read_b128 v[38:41], v3 offset:192
	;; [unrolled: 1-line block ×7, first 2 shown]
	v_cmp_ne_u32_e32 vcc, 0, v37
	s_waitcnt vmcnt(30) lgkmcnt(6)
	v_mul_f64 v[90:91], v[24:25], v[4:5]
	v_mul_f64 v[4:5], v[26:27], v[4:5]
	s_waitcnt vmcnt(28) lgkmcnt(5)
	v_mul_f64 v[92:93], v[38:39], v[28:29]
	v_mul_f64 v[28:29], v[40:41], v[28:29]
	;; [unrolled: 3-line block ×4, first 2 shown]
	s_waitcnt vmcnt(21)
	v_mul_f64 v[96:97], v[46:47], v[68:69]
	v_mul_f64 v[68:69], v[48:49], v[68:69]
	s_waitcnt vmcnt(17) lgkmcnt(1)
	v_mul_f64 v[100:101], v[54:55], v[74:75]
	v_mul_f64 v[74:75], v[56:57], v[74:75]
	s_waitcnt vmcnt(16) lgkmcnt(0)
	v_mul_f64 v[102:103], v[58:59], v[70:71]
	v_mul_f64 v[70:71], v[60:61], v[70:71]
	s_waitcnt vmcnt(13)
	v_fma_f64 v[4:5], v[24:25], v[76:77], -v[4:5]
	v_fmac_f64_e32 v[90:91], v[26:27], v[76:77]
	s_waitcnt vmcnt(11)
	v_fma_f64 v[24:25], v[38:39], v[78:79], -v[28:29]
	v_add_f64 v[4:5], v[4:5], 0
	v_fmac_f64_e32 v[92:93], v[40:41], v[78:79]
	s_waitcnt vmcnt(9)
	v_fmac_f64_e32 v[94:95], v[44:45], v[80:81]
	v_fma_f64 v[26:27], v[42:43], v[80:81], -v[62:63]
	v_add_f64 v[44:45], v[90:91], 0
	v_add_f64 v[4:5], v[4:5], v[24:25]
	s_waitcnt vmcnt(7)
	v_fma_f64 v[28:29], v[46:47], v[82:83], -v[68:69]
	v_add_f64 v[44:45], v[44:45], v[92:93]
	v_add_f64 v[4:5], v[4:5], v[26:27]
	v_fmac_f64_e32 v[96:97], v[48:49], v[82:83]
	v_fma_f64 v[38:39], v[50:51], v[66:67], -v[64:65]
	v_add_f64 v[24:25], v[44:45], v[94:95]
	v_add_f64 v[4:5], v[4:5], v[28:29]
	v_fmac_f64_e32 v[98:99], v[52:53], v[66:67]
	s_waitcnt vmcnt(5)
	v_fma_f64 v[40:41], v[54:55], v[84:85], -v[74:75]
	v_add_f64 v[24:25], v[24:25], v[96:97]
	v_add_f64 v[4:5], v[4:5], v[38:39]
	v_fmac_f64_e32 v[100:101], v[56:57], v[84:85]
	s_waitcnt vmcnt(4)
	v_fma_f64 v[42:43], v[58:59], v[72:73], -v[70:71]
	v_add_f64 v[24:25], v[24:25], v[98:99]
	v_add_f64 v[4:5], v[4:5], v[40:41]
	v_fmac_f64_e32 v[102:103], v[60:61], v[72:73]
	v_add_f64 v[24:25], v[24:25], v[100:101]
	v_add_f64 v[4:5], v[4:5], v[42:43]
	;; [unrolled: 1-line block ×3, first 2 shown]
	s_waitcnt vmcnt(2)
	v_add_f64 v[4:5], v[86:87], -v[4:5]
	s_waitcnt vmcnt(0)
	v_add_f64 v[24:25], v[88:89], -v[24:25]
	buffer_store_dword v5, off, s[0:3], 0 offset:20
	buffer_store_dword v4, off, s[0:3], 0 offset:16
	buffer_store_dword v25, off, s[0:3], 0 offset:28
	buffer_store_dword v24, off, s[0:3], 0 offset:24
	s_and_saveexec_b64 s[6:7], vcc
	s_cbranch_execz .LBB8_67
; %bb.66:
	buffer_load_dword v24, off, s[0:3], 0
	buffer_load_dword v25, off, s[0:3], 0 offset:4
	buffer_load_dword v26, off, s[0:3], 0 offset:8
	;; [unrolled: 1-line block ×3, first 2 shown]
	s_nop 0
	buffer_store_dword v3, off, s[0:3], 0
	buffer_store_dword v3, off, s[0:3], 0 offset:4
	buffer_store_dword v3, off, s[0:3], 0 offset:8
	buffer_store_dword v3, off, s[0:3], 0 offset:12
	s_waitcnt vmcnt(4)
	ds_write_b128 v2, v[24:27]
.LBB8_67:
	s_or_b64 exec, exec, s[6:7]
	s_waitcnt lgkmcnt(0)
	; wave barrier
	s_waitcnt lgkmcnt(0)
	buffer_load_dword v28, off, s[0:3], 0 offset:24
	buffer_load_dword v29, off, s[0:3], 0 offset:28
	;; [unrolled: 1-line block ×32, first 2 shown]
	buffer_load_dword v92, off, s[0:3], 0
	buffer_load_dword v93, off, s[0:3], 0 offset:4
	buffer_load_dword v94, off, s[0:3], 0 offset:8
	;; [unrolled: 1-line block ×3, first 2 shown]
	ds_read_b128 v[24:27], v3 offset:160
	ds_read_b128 v[38:41], v3 offset:176
	;; [unrolled: 1-line block ×8, first 2 shown]
	s_and_b64 vcc, exec, s[26:27]
	s_waitcnt vmcnt(34) lgkmcnt(7)
	v_mul_f64 v[96:97], v[24:25], v[28:29]
	v_mul_f64 v[28:29], v[26:27], v[28:29]
	s_waitcnt vmcnt(32) lgkmcnt(6)
	v_mul_f64 v[98:99], v[38:39], v[62:63]
	v_mul_f64 v[62:63], v[40:41], v[62:63]
	;; [unrolled: 3-line block ×4, first 2 shown]
	s_waitcnt vmcnt(25)
	v_mul_f64 v[102:103], v[46:47], v[70:71]
	v_mul_f64 v[70:71], v[48:49], v[70:71]
	s_waitcnt vmcnt(23) lgkmcnt(1)
	v_mul_f64 v[108:109], v[58:59], v[72:73]
	v_mul_f64 v[72:73], v[60:61], v[72:73]
	s_waitcnt vmcnt(20)
	v_mul_f64 v[106:107], v[54:55], v[76:77]
	v_mul_f64 v[76:77], v[56:57], v[76:77]
	s_waitcnt vmcnt(18) lgkmcnt(0)
	v_mul_f64 v[110:111], v[2:3], v[78:79]
	s_waitcnt vmcnt(17)
	v_fmac_f64_e32 v[104:105], v[52:53], v[68:69]
	s_waitcnt vmcnt(16)
	v_fmac_f64_e32 v[108:109], v[60:61], v[74:75]
	s_waitcnt vmcnt(14)
	v_fma_f64 v[24:25], v[24:25], v[80:81], -v[28:29]
	v_fmac_f64_e32 v[96:97], v[26:27], v[80:81]
	s_waitcnt vmcnt(12)
	v_fma_f64 v[26:27], v[38:39], v[82:83], -v[62:63]
	v_add_f64 v[24:25], v[24:25], 0
	v_fmac_f64_e32 v[98:99], v[40:41], v[82:83]
	s_waitcnt vmcnt(10)
	v_fma_f64 v[28:29], v[42:43], v[84:85], -v[64:65]
	s_waitcnt vmcnt(8)
	v_fma_f64 v[38:39], v[46:47], v[86:87], -v[70:71]
	v_add_f64 v[46:47], v[96:97], 0
	v_add_f64 v[24:25], v[24:25], v[26:27]
	v_fmac_f64_e32 v[100:101], v[44:45], v[84:85]
	v_add_f64 v[46:47], v[46:47], v[98:99]
	v_add_f64 v[24:25], v[24:25], v[28:29]
	v_fmac_f64_e32 v[102:103], v[48:49], v[86:87]
	v_fma_f64 v[40:41], v[50:51], v[68:69], -v[66:67]
	v_add_f64 v[26:27], v[46:47], v[100:101]
	v_add_f64 v[24:25], v[24:25], v[38:39]
	s_waitcnt vmcnt(6)
	v_fma_f64 v[42:43], v[54:55], v[88:89], -v[76:77]
	v_add_f64 v[26:27], v[26:27], v[102:103]
	v_add_f64 v[24:25], v[24:25], v[40:41]
	v_fmac_f64_e32 v[106:107], v[56:57], v[88:89]
	s_waitcnt vmcnt(4)
	v_fmac_f64_e32 v[110:111], v[4:5], v[90:91]
	v_fma_f64 v[44:45], v[58:59], v[74:75], -v[72:73]
	v_add_f64 v[26:27], v[26:27], v[104:105]
	v_add_f64 v[24:25], v[24:25], v[42:43]
	v_mul_f64 v[4:5], v[4:5], v[78:79]
	v_add_f64 v[26:27], v[26:27], v[106:107]
	v_add_f64 v[24:25], v[24:25], v[44:45]
	v_fma_f64 v[2:3], v[2:3], v[90:91], -v[4:5]
	v_add_f64 v[26:27], v[26:27], v[108:109]
	v_add_f64 v[2:3], v[24:25], v[2:3]
	;; [unrolled: 1-line block ×3, first 2 shown]
	s_waitcnt vmcnt(2)
	v_add_f64 v[2:3], v[92:93], -v[2:3]
	s_waitcnt vmcnt(0)
	v_add_f64 v[4:5], v[94:95], -v[26:27]
	buffer_store_dword v3, off, s[0:3], 0 offset:4
	buffer_store_dword v2, off, s[0:3], 0
	buffer_store_dword v5, off, s[0:3], 0 offset:12
	buffer_store_dword v4, off, s[0:3], 0 offset:8
	s_cbranch_vccz .LBB8_85
; %bb.68:
	v_pk_mov_b32 v[2:3], s[24:25], s[24:25] op_sel:[0,1]
	flat_load_dword v2, v[2:3] offset:28
	s_load_dwordx2 s[4:5], s[4:5], 0x4
	v_bfe_u32 v4, v0, 10, 10
	v_bfe_u32 v0, v0, 20, 10
	s_waitcnt lgkmcnt(0)
	s_lshr_b32 s4, s4, 16
	s_mul_i32 s4, s4, s5
	v_mul_u32_u24_e32 v3, s4, v37
	v_mul_u32_u24_e32 v4, s5, v4
	v_add3_u32 v0, v3, v4, v0
	v_mov_b32_e32 v3, 0x128
	v_lshl_add_u32 v0, v0, 4, v3
	s_waitcnt vmcnt(0)
	v_add_u32_e32 v2, -1, v2
	v_cmp_ne_u32_e32 vcc, 7, v2
	s_and_saveexec_b64 s[4:5], vcc
	s_cbranch_execz .LBB8_70
; %bb.69:
	v_mov_b32_e32 v3, 0
	v_lshl_add_u32 v24, v2, 4, v3
	buffer_load_dword v2, v33, s[0:3], 0 offen
	buffer_load_dword v3, v33, s[0:3], 0 offen offset:4
	buffer_load_dword v4, v33, s[0:3], 0 offen offset:8
	buffer_load_dword v5, v33, s[0:3], 0 offen offset:12
	buffer_load_dword v25, v24, s[0:3], 0 offen
	buffer_load_dword v26, v24, s[0:3], 0 offen offset:4
	buffer_load_dword v27, v24, s[0:3], 0 offen offset:8
	buffer_load_dword v28, v24, s[0:3], 0 offen offset:12
	s_waitcnt vmcnt(4)
	ds_write2_b64 v0, v[2:3], v[4:5] offset1:1
	s_waitcnt vmcnt(3)
	buffer_store_dword v25, v33, s[0:3], 0 offen
	s_waitcnt vmcnt(3)
	buffer_store_dword v26, v33, s[0:3], 0 offen offset:4
	s_waitcnt vmcnt(3)
	buffer_store_dword v27, v33, s[0:3], 0 offen offset:8
	s_waitcnt vmcnt(3)
	buffer_store_dword v28, v33, s[0:3], 0 offen offset:12
	buffer_store_dword v5, v24, s[0:3], 0 offen offset:12
	buffer_store_dword v4, v24, s[0:3], 0 offen offset:8
	buffer_store_dword v3, v24, s[0:3], 0 offen offset:4
	buffer_store_dword v2, v24, s[0:3], 0 offen
.LBB8_70:
	s_or_b64 exec, exec, s[4:5]
	v_pk_mov_b32 v[2:3], s[24:25], s[24:25] op_sel:[0,1]
	flat_load_dword v2, v[2:3] offset:24
	s_waitcnt vmcnt(0) lgkmcnt(0)
	v_add_u32_e32 v2, -1, v2
	v_cmp_ne_u32_e32 vcc, 6, v2
	s_and_saveexec_b64 s[4:5], vcc
	s_cbranch_execz .LBB8_72
; %bb.71:
	v_mov_b32_e32 v3, 0
	v_lshl_add_u32 v24, v2, 4, v3
	buffer_load_dword v2, v31, s[0:3], 0 offen
	buffer_load_dword v3, v31, s[0:3], 0 offen offset:4
	buffer_load_dword v4, v31, s[0:3], 0 offen offset:8
	buffer_load_dword v5, v31, s[0:3], 0 offen offset:12
	buffer_load_dword v25, v24, s[0:3], 0 offen
	buffer_load_dword v26, v24, s[0:3], 0 offen offset:4
	buffer_load_dword v27, v24, s[0:3], 0 offen offset:8
	buffer_load_dword v28, v24, s[0:3], 0 offen offset:12
	s_waitcnt vmcnt(4)
	ds_write2_b64 v0, v[2:3], v[4:5] offset1:1
	s_waitcnt vmcnt(3)
	buffer_store_dword v25, v31, s[0:3], 0 offen
	s_waitcnt vmcnt(3)
	buffer_store_dword v26, v31, s[0:3], 0 offen offset:4
	s_waitcnt vmcnt(3)
	buffer_store_dword v27, v31, s[0:3], 0 offen offset:8
	s_waitcnt vmcnt(3)
	buffer_store_dword v28, v31, s[0:3], 0 offen offset:12
	buffer_store_dword v5, v24, s[0:3], 0 offen offset:12
	buffer_store_dword v4, v24, s[0:3], 0 offen offset:8
	buffer_store_dword v3, v24, s[0:3], 0 offen offset:4
	buffer_store_dword v2, v24, s[0:3], 0 offen
.LBB8_72:
	s_or_b64 exec, exec, s[4:5]
	v_pk_mov_b32 v[2:3], s[24:25], s[24:25] op_sel:[0,1]
	flat_load_dword v2, v[2:3] offset:20
	s_waitcnt vmcnt(0) lgkmcnt(0)
	;; [unrolled: 34-line block ×6, first 2 shown]
	v_add_u32_e32 v2, -1, v2
	v_cmp_ne_u32_e32 vcc, 1, v2
	s_and_saveexec_b64 s[4:5], vcc
	s_cbranch_execz .LBB8_82
; %bb.81:
	v_mov_b32_e32 v3, 0
	v_lshl_add_u32 v24, v2, 4, v3
	buffer_load_dword v2, v34, s[0:3], 0 offen
	buffer_load_dword v3, v34, s[0:3], 0 offen offset:4
	buffer_load_dword v4, v34, s[0:3], 0 offen offset:8
	;; [unrolled: 1-line block ×3, first 2 shown]
	buffer_load_dword v25, v24, s[0:3], 0 offen
	buffer_load_dword v26, v24, s[0:3], 0 offen offset:4
	buffer_load_dword v27, v24, s[0:3], 0 offen offset:8
	;; [unrolled: 1-line block ×3, first 2 shown]
	s_waitcnt vmcnt(4)
	ds_write2_b64 v0, v[2:3], v[4:5] offset1:1
	s_waitcnt vmcnt(3)
	buffer_store_dword v25, v34, s[0:3], 0 offen
	s_waitcnt vmcnt(3)
	buffer_store_dword v26, v34, s[0:3], 0 offen offset:4
	s_waitcnt vmcnt(3)
	buffer_store_dword v27, v34, s[0:3], 0 offen offset:8
	;; [unrolled: 2-line block ×3, first 2 shown]
	buffer_store_dword v5, v24, s[0:3], 0 offen offset:12
	buffer_store_dword v4, v24, s[0:3], 0 offen offset:8
	;; [unrolled: 1-line block ×3, first 2 shown]
	buffer_store_dword v2, v24, s[0:3], 0 offen
.LBB8_82:
	s_or_b64 exec, exec, s[4:5]
	v_pk_mov_b32 v[2:3], s[24:25], s[24:25] op_sel:[0,1]
	flat_load_dword v2, v[2:3]
	s_waitcnt vmcnt(0) lgkmcnt(0)
	v_add_u32_e32 v2, -1, v2
	v_cmp_ne_u32_e32 vcc, 0, v2
	s_and_saveexec_b64 s[4:5], vcc
	s_cbranch_execz .LBB8_84
; %bb.83:
	v_mov_b32_e32 v3, 0
	v_lshl_add_u32 v24, v2, 4, v3
	buffer_load_dword v2, off, s[0:3], 0
	buffer_load_dword v3, off, s[0:3], 0 offset:4
	buffer_load_dword v4, off, s[0:3], 0 offset:8
	;; [unrolled: 1-line block ×3, first 2 shown]
	buffer_load_dword v25, v24, s[0:3], 0 offen
	buffer_load_dword v26, v24, s[0:3], 0 offen offset:4
	buffer_load_dword v27, v24, s[0:3], 0 offen offset:8
	buffer_load_dword v28, v24, s[0:3], 0 offen offset:12
	s_waitcnt vmcnt(4)
	ds_write2_b64 v0, v[2:3], v[4:5] offset1:1
	s_waitcnt vmcnt(3)
	buffer_store_dword v25, off, s[0:3], 0
	s_waitcnt vmcnt(3)
	buffer_store_dword v26, off, s[0:3], 0 offset:4
	s_waitcnt vmcnt(3)
	buffer_store_dword v27, off, s[0:3], 0 offset:8
	;; [unrolled: 2-line block ×3, first 2 shown]
	buffer_store_dword v5, v24, s[0:3], 0 offen offset:12
	buffer_store_dword v4, v24, s[0:3], 0 offen offset:8
	;; [unrolled: 1-line block ×3, first 2 shown]
	buffer_store_dword v2, v24, s[0:3], 0 offen
.LBB8_84:
	s_or_b64 exec, exec, s[4:5]
.LBB8_85:
	buffer_load_dword v2, off, s[0:3], 0
	buffer_load_dword v3, off, s[0:3], 0 offset:4
	buffer_load_dword v4, off, s[0:3], 0 offset:8
	;; [unrolled: 1-line block ×3, first 2 shown]
	buffer_load_dword v24, v34, s[0:3], 0 offen
	buffer_load_dword v25, v34, s[0:3], 0 offen offset:4
	buffer_load_dword v26, v34, s[0:3], 0 offen offset:8
	;; [unrolled: 1-line block ×6, first 2 shown]
	buffer_load_dword v42, v36, s[0:3], 0 offen
	buffer_load_dword v43, v36, s[0:3], 0 offen offset:4
	buffer_load_dword v44, v36, s[0:3], 0 offen offset:8
	buffer_load_dword v38, v35, s[0:3], 0 offen
	buffer_load_dword v45, v36, s[0:3], 0 offen offset:12
	buffer_load_dword v47, v1, s[0:3], 0 offen offset:4
	;; [unrolled: 1-line block ×4, first 2 shown]
                                        ; kill: killed $vgpr35
                                        ; kill: killed $vgpr34
                                        ; kill: killed $vgpr36
	buffer_load_dword v34, v30, s[0:3], 0 offen
	buffer_load_dword v35, v30, s[0:3], 0 offen offset:4
	buffer_load_dword v36, v30, s[0:3], 0 offen offset:8
	buffer_load_dword v46, v1, s[0:3], 0 offen
	buffer_load_dword v37, v30, s[0:3], 0 offen offset:12
	buffer_load_dword v51, v31, s[0:3], 0 offen offset:4
	;; [unrolled: 1-line block ×4, first 2 shown]
	buffer_load_dword v54, v33, s[0:3], 0 offen
	buffer_load_dword v55, v33, s[0:3], 0 offen offset:4
	buffer_load_dword v56, v33, s[0:3], 0 offen offset:8
	buffer_load_dword v50, v31, s[0:3], 0 offen
	buffer_load_dword v57, v33, s[0:3], 0 offen offset:12
	buffer_load_dword v28, v32, s[0:3], 0 offen
	buffer_load_dword v29, v32, s[0:3], 0 offen offset:4
                                        ; kill: killed $vgpr33
                                        ; kill: killed $vgpr1
                                        ; kill: killed $vgpr31
                                        ; kill: killed $vgpr30
	buffer_load_dword v30, v32, s[0:3], 0 offen offset:8
	s_nop 0
	buffer_load_dword v31, v32, s[0:3], 0 offen offset:12
	s_waitcnt vmcnt(32)
	global_store_dwordx4 v[6:7], v[2:5], off
	s_waitcnt vmcnt(29)
	global_store_dwordx4 v[8:9], v[24:27], off
	s_waitcnt vmcnt(23)
	global_store_dwordx4 v[10:11], v[38:41], off
	s_waitcnt vmcnt(23)
	global_store_dwordx4 v[12:13], v[42:45], off
	s_waitcnt vmcnt(17)
	global_store_dwordx4 v[14:15], v[46:49], off
	s_waitcnt vmcnt(17)
	global_store_dwordx4 v[16:17], v[34:37], off
	s_waitcnt vmcnt(11)
	global_store_dwordx4 v[18:19], v[50:53], off
	s_waitcnt vmcnt(11)
	global_store_dwordx4 v[20:21], v[54:57], off
	s_waitcnt vmcnt(8)
	global_store_dwordx4 v[22:23], v[28:31], off
	s_endpgm
	.section	.rodata,"a",@progbits
	.p2align	6, 0x0
	.amdhsa_kernel _ZN9rocsolver6v33100L18getri_kernel_smallILi9E19rocblas_complex_numIdEPS3_EEvT1_iilPiilS6_bb
		.amdhsa_group_segment_fixed_size 1320
		.amdhsa_private_segment_fixed_size 160
		.amdhsa_kernarg_size 60
		.amdhsa_user_sgpr_count 10
		.amdhsa_user_sgpr_private_segment_buffer 1
		.amdhsa_user_sgpr_dispatch_ptr 1
		.amdhsa_user_sgpr_queue_ptr 0
		.amdhsa_user_sgpr_kernarg_segment_ptr 1
		.amdhsa_user_sgpr_dispatch_id 0
		.amdhsa_user_sgpr_flat_scratch_init 1
		.amdhsa_user_sgpr_kernarg_preload_length 0
		.amdhsa_user_sgpr_kernarg_preload_offset 0
		.amdhsa_user_sgpr_private_segment_size 0
		.amdhsa_uses_dynamic_stack 0
		.amdhsa_system_sgpr_private_segment_wavefront_offset 1
		.amdhsa_system_sgpr_workgroup_id_x 1
		.amdhsa_system_sgpr_workgroup_id_y 0
		.amdhsa_system_sgpr_workgroup_id_z 0
		.amdhsa_system_sgpr_workgroup_info 0
		.amdhsa_system_vgpr_workitem_id 2
		.amdhsa_next_free_vgpr 112
		.amdhsa_next_free_sgpr 28
		.amdhsa_accum_offset 112
		.amdhsa_reserve_vcc 1
		.amdhsa_reserve_flat_scratch 1
		.amdhsa_float_round_mode_32 0
		.amdhsa_float_round_mode_16_64 0
		.amdhsa_float_denorm_mode_32 3
		.amdhsa_float_denorm_mode_16_64 3
		.amdhsa_dx10_clamp 1
		.amdhsa_ieee_mode 1
		.amdhsa_fp16_overflow 0
		.amdhsa_tg_split 0
		.amdhsa_exception_fp_ieee_invalid_op 0
		.amdhsa_exception_fp_denorm_src 0
		.amdhsa_exception_fp_ieee_div_zero 0
		.amdhsa_exception_fp_ieee_overflow 0
		.amdhsa_exception_fp_ieee_underflow 0
		.amdhsa_exception_fp_ieee_inexact 0
		.amdhsa_exception_int_div_zero 0
	.end_amdhsa_kernel
	.section	.text._ZN9rocsolver6v33100L18getri_kernel_smallILi9E19rocblas_complex_numIdEPS3_EEvT1_iilPiilS6_bb,"axG",@progbits,_ZN9rocsolver6v33100L18getri_kernel_smallILi9E19rocblas_complex_numIdEPS3_EEvT1_iilPiilS6_bb,comdat
.Lfunc_end8:
	.size	_ZN9rocsolver6v33100L18getri_kernel_smallILi9E19rocblas_complex_numIdEPS3_EEvT1_iilPiilS6_bb, .Lfunc_end8-_ZN9rocsolver6v33100L18getri_kernel_smallILi9E19rocblas_complex_numIdEPS3_EEvT1_iilPiilS6_bb
                                        ; -- End function
	.section	.AMDGPU.csdata,"",@progbits
; Kernel info:
; codeLenInByte = 11236
; NumSgprs: 34
; NumVgprs: 112
; NumAgprs: 0
; TotalNumVgprs: 112
; ScratchSize: 160
; MemoryBound: 0
; FloatMode: 240
; IeeeMode: 1
; LDSByteSize: 1320 bytes/workgroup (compile time only)
; SGPRBlocks: 4
; VGPRBlocks: 13
; NumSGPRsForWavesPerEU: 34
; NumVGPRsForWavesPerEU: 112
; AccumOffset: 112
; Occupancy: 4
; WaveLimiterHint : 1
; COMPUTE_PGM_RSRC2:SCRATCH_EN: 1
; COMPUTE_PGM_RSRC2:USER_SGPR: 10
; COMPUTE_PGM_RSRC2:TRAP_HANDLER: 0
; COMPUTE_PGM_RSRC2:TGID_X_EN: 1
; COMPUTE_PGM_RSRC2:TGID_Y_EN: 0
; COMPUTE_PGM_RSRC2:TGID_Z_EN: 0
; COMPUTE_PGM_RSRC2:TIDIG_COMP_CNT: 2
; COMPUTE_PGM_RSRC3_GFX90A:ACCUM_OFFSET: 27
; COMPUTE_PGM_RSRC3_GFX90A:TG_SPLIT: 0
	.section	.text._ZN9rocsolver6v33100L18getri_kernel_smallILi10E19rocblas_complex_numIdEPS3_EEvT1_iilPiilS6_bb,"axG",@progbits,_ZN9rocsolver6v33100L18getri_kernel_smallILi10E19rocblas_complex_numIdEPS3_EEvT1_iilPiilS6_bb,comdat
	.globl	_ZN9rocsolver6v33100L18getri_kernel_smallILi10E19rocblas_complex_numIdEPS3_EEvT1_iilPiilS6_bb ; -- Begin function _ZN9rocsolver6v33100L18getri_kernel_smallILi10E19rocblas_complex_numIdEPS3_EEvT1_iilPiilS6_bb
	.p2align	8
	.type	_ZN9rocsolver6v33100L18getri_kernel_smallILi10E19rocblas_complex_numIdEPS3_EEvT1_iilPiilS6_bb,@function
_ZN9rocsolver6v33100L18getri_kernel_smallILi10E19rocblas_complex_numIdEPS3_EEvT1_iilPiilS6_bb: ; @_ZN9rocsolver6v33100L18getri_kernel_smallILi10E19rocblas_complex_numIdEPS3_EEvT1_iilPiilS6_bb
; %bb.0:
	s_add_u32 flat_scratch_lo, s8, s11
	s_addc_u32 flat_scratch_hi, s9, 0
	s_add_u32 s0, s0, s11
	v_and_b32_e32 v40, 0x3ff, v0
	s_addc_u32 s1, s1, 0
	v_cmp_gt_u32_e32 vcc, 10, v40
	s_and_saveexec_b64 s[8:9], vcc
	s_cbranch_execz .LBB9_54
; %bb.1:
	s_load_dword s28, s[6:7], 0x38
	s_load_dwordx4 s[20:23], s[6:7], 0x10
	s_load_dwordx4 s[12:15], s[6:7], 0x28
                                        ; implicit-def: $sgpr24_sgpr25
	s_waitcnt lgkmcnt(0)
	s_bitcmp1_b32 s28, 8
	s_cselect_b64 s[26:27], -1, 0
	s_ashr_i32 s11, s10, 31
	s_bfe_u32 s8, s28, 0x10008
	s_cmp_eq_u32 s8, 0
	s_cbranch_scc1 .LBB9_3
; %bb.2:
	s_load_dword s8, s[6:7], 0x20
	s_mul_i32 s9, s10, s13
	s_mul_hi_u32 s13, s10, s12
	s_mul_i32 s16, s11, s12
	s_add_i32 s13, s13, s9
	s_add_i32 s13, s13, s16
	s_mul_i32 s12, s10, s12
	s_waitcnt lgkmcnt(0)
	s_ashr_i32 s9, s8, 31
	s_lshl_b64 s[12:13], s[12:13], 2
	s_add_u32 s12, s22, s12
	s_addc_u32 s13, s23, s13
	s_lshl_b64 s[8:9], s[8:9], 2
	s_add_u32 s24, s12, s8
	s_addc_u32 s25, s13, s9
.LBB9_3:
	s_load_dwordx4 s[16:19], s[6:7], 0x0
	s_mul_i32 s6, s10, s21
	s_mul_hi_u32 s7, s10, s20
	s_add_i32 s8, s7, s6
	s_mul_i32 s9, s11, s20
	s_add_i32 s9, s8, s9
	s_mul_i32 s8, s10, s20
	s_waitcnt lgkmcnt(0)
	s_ashr_i32 s7, s18, 31
	s_lshl_b64 s[8:9], s[8:9], 4
	s_mov_b32 s6, s18
	s_add_u32 s8, s16, s8
	s_addc_u32 s9, s17, s9
	s_lshl_b64 s[6:7], s[6:7], 4
	s_add_u32 s6, s8, s6
	s_addc_u32 s7, s9, s7
	v_lshlrev_b32_e32 v41, 4, v40
	s_mov_b32 s8, s19
	s_ashr_i32 s9, s19, 31
	s_add_i32 s12, s19, s19
	v_mov_b32_e32 v1, s7
	v_add_co_u32_e32 v6, vcc, s6, v41
	s_lshl_b64 s[8:9], s[8:9], 4
	v_add_u32_e32 v10, s12, v40
	v_addc_co_u32_e32 v7, vcc, 0, v1, vcc
	v_mov_b32_e32 v1, s9
	v_ashrrev_i32_e32 v11, 31, v10
	v_add_co_u32_e32 v8, vcc, s8, v6
	v_add_u32_e32 v12, s19, v10
	v_addc_co_u32_e32 v9, vcc, v7, v1, vcc
	v_lshlrev_b64 v[10:11], 4, v[10:11]
	v_mov_b32_e32 v15, s7
	v_ashrrev_i32_e32 v13, 31, v12
	v_add_co_u32_e32 v10, vcc, s6, v10
	v_add_u32_e32 v14, s19, v12
	v_addc_co_u32_e32 v11, vcc, v15, v11, vcc
	v_lshlrev_b64 v[12:13], 4, v[12:13]
	;; [unrolled: 6-line block ×5, first 2 shown]
	v_mov_b32_e32 v23, s7
	v_add_co_u32_e32 v18, vcc, s6, v18
	v_ashrrev_i32_e32 v21, 31, v20
	v_add_u32_e32 v22, s19, v20
	v_addc_co_u32_e32 v19, vcc, v23, v19, vcc
	v_lshlrev_b64 v[20:21], 4, v[20:21]
	v_add_u32_e32 v24, s19, v22
	v_mov_b32_e32 v1, s7
	v_add_co_u32_e32 v20, vcc, s6, v20
	v_ashrrev_i32_e32 v23, 31, v22
	v_ashrrev_i32_e32 v25, 31, v24
	v_addc_co_u32_e32 v21, vcc, v1, v21, vcc
	v_lshlrev_b64 v[22:23], 4, v[22:23]
	v_lshlrev_b64 v[34:35], 4, v[24:25]
	v_add_co_u32_e32 v24, vcc, s6, v22
	v_addc_co_u32_e32 v25, vcc, v1, v23, vcc
	global_load_dwordx4 v[2:5], v41, s[6:7]
	v_mov_b32_e32 v36, s7
	v_add_co_u32_e32 v22, vcc, s6, v34
	global_load_dwordx4 v[26:29], v[8:9], off
	global_load_dwordx4 v[30:33], v[10:11], off
	v_addc_co_u32_e32 v23, vcc, v36, v35, vcc
	global_load_dwordx4 v[42:45], v[12:13], off
	global_load_dwordx4 v[46:49], v[14:15], off
	;; [unrolled: 1-line block ×7, first 2 shown]
	s_waitcnt vmcnt(9)
	buffer_store_dword v5, off, s[0:3], 0 offset:12
	buffer_store_dword v4, off, s[0:3], 0 offset:8
	;; [unrolled: 1-line block ×3, first 2 shown]
	buffer_store_dword v2, off, s[0:3], 0
	v_mov_b32_e32 v2, 0
	v_add_u32_e32 v37, 16, v2
	s_waitcnt vmcnt(12)
	buffer_store_dword v29, off, s[0:3], 0 offset:28
	buffer_store_dword v28, off, s[0:3], 0 offset:24
	;; [unrolled: 1-line block ×4, first 2 shown]
	v_add_u32_e32 v38, 32, v2
	s_waitcnt vmcnt(15)
	buffer_store_dword v33, off, s[0:3], 0 offset:44
	buffer_store_dword v32, off, s[0:3], 0 offset:40
	;; [unrolled: 1-line block ×4, first 2 shown]
	v_add_u32_e32 v39, 48, v2
	v_add_u32_e32 v1, 64, v2
	;; [unrolled: 1-line block ×7, first 2 shown]
	s_bitcmp0_b32 s28, 0
	s_mov_b64 s[8:9], -1
	s_waitcnt vmcnt(18)
	buffer_store_dword v45, off, s[0:3], 0 offset:60
	buffer_store_dword v44, off, s[0:3], 0 offset:56
	buffer_store_dword v43, off, s[0:3], 0 offset:52
	buffer_store_dword v42, off, s[0:3], 0 offset:48
	s_waitcnt vmcnt(21)
	buffer_store_dword v49, off, s[0:3], 0 offset:76
	buffer_store_dword v48, off, s[0:3], 0 offset:72
	buffer_store_dword v47, off, s[0:3], 0 offset:68
	buffer_store_dword v46, off, s[0:3], 0 offset:64
	;; [unrolled: 5-line block ×6, first 2 shown]
	buffer_store_dword v66, off, s[0:3], 0 offset:144
	buffer_store_dword v67, off, s[0:3], 0 offset:148
	;; [unrolled: 1-line block ×4, first 2 shown]
	s_cbranch_scc1 .LBB9_52
; %bb.4:
	v_cmp_eq_u32_e64 s[6:7], 0, v40
	s_and_saveexec_b64 s[8:9], s[6:7]
	s_cbranch_execz .LBB9_6
; %bb.5:
	v_mov_b32_e32 v2, 0
	ds_write_b32 v2, v2 offset:320
.LBB9_6:
	s_or_b64 exec, exec, s[8:9]
	v_mov_b32_e32 v2, 0
	v_lshl_add_u32 v42, v40, 4, v2
	s_waitcnt lgkmcnt(0)
	; wave barrier
	s_waitcnt lgkmcnt(0)
	buffer_load_dword v2, v42, s[0:3], 0 offen
	buffer_load_dword v3, v42, s[0:3], 0 offen offset:4
	buffer_load_dword v4, v42, s[0:3], 0 offen offset:8
	buffer_load_dword v5, v42, s[0:3], 0 offen offset:12
	s_waitcnt vmcnt(2)
	v_cmp_eq_f64_e32 vcc, 0, v[2:3]
	s_waitcnt vmcnt(0)
	v_cmp_eq_f64_e64 s[8:9], 0, v[4:5]
	s_and_b64 s[8:9], vcc, s[8:9]
	s_and_saveexec_b64 s[12:13], s[8:9]
	s_cbranch_execz .LBB9_10
; %bb.7:
	v_mov_b32_e32 v2, 0
	ds_read_b32 v4, v2 offset:320
	v_add_u32_e32 v3, 1, v40
	s_waitcnt lgkmcnt(0)
	v_readfirstlane_b32 s8, v4
	s_cmp_eq_u32 s8, 0
	s_cselect_b64 s[16:17], -1, 0
	v_cmp_gt_i32_e32 vcc, s8, v3
	s_or_b64 s[16:17], s[16:17], vcc
	s_and_b64 exec, exec, s[16:17]
	s_cbranch_execz .LBB9_10
; %bb.8:
	s_mov_b64 s[16:17], 0
	v_mov_b32_e32 v4, s8
.LBB9_9:                                ; =>This Inner Loop Header: Depth=1
	ds_cmpst_rtn_b32 v4, v2, v4, v3 offset:320
	s_waitcnt lgkmcnt(0)
	v_cmp_ne_u32_e32 vcc, 0, v4
	v_cmp_le_i32_e64 s[8:9], v4, v3
	s_and_b64 s[8:9], vcc, s[8:9]
	s_and_b64 s[8:9], exec, s[8:9]
	s_or_b64 s[16:17], s[8:9], s[16:17]
	s_andn2_b64 exec, exec, s[16:17]
	s_cbranch_execnz .LBB9_9
.LBB9_10:
	s_or_b64 exec, exec, s[12:13]
	v_mov_b32_e32 v3, 0
	s_waitcnt lgkmcnt(0)
	; wave barrier
	ds_read_b32 v2, v3 offset:320
	s_and_saveexec_b64 s[8:9], s[6:7]
	s_cbranch_execz .LBB9_12
; %bb.11:
	s_lshl_b64 s[12:13], s[10:11], 2
	s_add_u32 s12, s14, s12
	s_addc_u32 s13, s15, s13
	s_waitcnt lgkmcnt(0)
	global_store_dword v3, v2, s[12:13]
.LBB9_12:
	s_or_b64 exec, exec, s[8:9]
	s_waitcnt lgkmcnt(0)
	v_cmp_ne_u32_e32 vcc, 0, v2
	s_mov_b64 s[8:9], 0
	s_cbranch_vccnz .LBB9_52
; %bb.13:
	buffer_load_dword v27, v42, s[0:3], 0 offen offset:4
	buffer_load_dword v26, v42, s[0:3], 0 offen
	buffer_load_dword v29, v42, s[0:3], 0 offen offset:12
	buffer_load_dword v28, v42, s[0:3], 0 offen offset:8
                                        ; implicit-def: $vgpr30_vgpr31
	s_waitcnt vmcnt(3)
	v_xor_b32_e32 v3, 0x80000000, v27
	s_waitcnt vmcnt(2)
	v_cmp_gt_f64_e32 vcc, 0, v[26:27]
	s_waitcnt vmcnt(1)
	v_xor_b32_e32 v4, 0x80000000, v29
	v_cndmask_b32_e32 v3, v27, v3, vcc
	s_waitcnt vmcnt(0)
	v_cmp_gt_f64_e32 vcc, 0, v[28:29]
	v_mov_b32_e32 v2, v26
	v_cndmask_b32_e32 v5, v29, v4, vcc
	v_mov_b32_e32 v4, v28
	v_cmp_ngt_f64_e32 vcc, v[2:3], v[4:5]
                                        ; implicit-def: $vgpr4_vgpr5
	s_and_saveexec_b64 s[8:9], vcc
	s_xor_b64 s[8:9], exec, s[8:9]
	s_cbranch_execz .LBB9_15
; %bb.14:
	v_div_scale_f64 v[2:3], s[12:13], v[28:29], v[28:29], v[26:27]
	v_rcp_f64_e32 v[4:5], v[2:3]
	v_div_scale_f64 v[30:31], vcc, v[26:27], v[28:29], v[26:27]
	v_fma_f64 v[44:45], -v[2:3], v[4:5], 1.0
	v_fmac_f64_e32 v[4:5], v[4:5], v[44:45]
	v_fma_f64 v[44:45], -v[2:3], v[4:5], 1.0
	v_fmac_f64_e32 v[4:5], v[4:5], v[44:45]
	v_mul_f64 v[44:45], v[30:31], v[4:5]
	v_fma_f64 v[2:3], -v[2:3], v[44:45], v[30:31]
	v_div_fmas_f64 v[2:3], v[2:3], v[4:5], v[44:45]
	v_div_fixup_f64 v[2:3], v[2:3], v[28:29], v[26:27]
	v_fmac_f64_e32 v[28:29], v[26:27], v[2:3]
	v_div_scale_f64 v[4:5], s[12:13], v[28:29], v[28:29], 1.0
	v_rcp_f64_e32 v[26:27], v[4:5]
	v_fma_f64 v[30:31], -v[4:5], v[26:27], 1.0
	v_fmac_f64_e32 v[26:27], v[26:27], v[30:31]
	v_fma_f64 v[30:31], -v[4:5], v[26:27], 1.0
	v_fmac_f64_e32 v[26:27], v[26:27], v[30:31]
	v_div_scale_f64 v[30:31], vcc, 1.0, v[28:29], 1.0
	v_mul_f64 v[44:45], v[30:31], v[26:27]
	v_fma_f64 v[4:5], -v[4:5], v[44:45], v[30:31]
	s_nop 1
	v_div_fmas_f64 v[4:5], v[4:5], v[26:27], v[44:45]
	v_div_fixup_f64 v[4:5], v[4:5], v[28:29], 1.0
	v_mul_f64 v[30:31], v[2:3], v[4:5]
	v_xor_b32_e32 v5, 0x80000000, v5
	v_xor_b32_e32 v3, 0x80000000, v31
	v_mov_b32_e32 v2, v30
                                        ; implicit-def: $vgpr26_vgpr27
                                        ; implicit-def: $vgpr28_vgpr29
.LBB9_15:
	s_andn2_saveexec_b64 s[8:9], s[8:9]
	s_cbranch_execz .LBB9_17
; %bb.16:
	v_div_scale_f64 v[2:3], s[12:13], v[26:27], v[26:27], v[28:29]
	v_rcp_f64_e32 v[4:5], v[2:3]
	v_div_scale_f64 v[30:31], vcc, v[28:29], v[26:27], v[28:29]
	v_fma_f64 v[44:45], -v[2:3], v[4:5], 1.0
	v_fmac_f64_e32 v[4:5], v[4:5], v[44:45]
	v_fma_f64 v[44:45], -v[2:3], v[4:5], 1.0
	v_fmac_f64_e32 v[4:5], v[4:5], v[44:45]
	v_mul_f64 v[44:45], v[30:31], v[4:5]
	v_fma_f64 v[2:3], -v[2:3], v[44:45], v[30:31]
	v_div_fmas_f64 v[2:3], v[2:3], v[4:5], v[44:45]
	v_div_fixup_f64 v[4:5], v[2:3], v[26:27], v[28:29]
	v_fmac_f64_e32 v[26:27], v[28:29], v[4:5]
	v_div_scale_f64 v[2:3], s[12:13], v[26:27], v[26:27], 1.0
	v_rcp_f64_e32 v[28:29], v[2:3]
	v_fma_f64 v[30:31], -v[2:3], v[28:29], 1.0
	v_fmac_f64_e32 v[28:29], v[28:29], v[30:31]
	v_fma_f64 v[30:31], -v[2:3], v[28:29], 1.0
	v_fmac_f64_e32 v[28:29], v[28:29], v[30:31]
	v_div_scale_f64 v[30:31], vcc, 1.0, v[26:27], 1.0
	v_mul_f64 v[44:45], v[30:31], v[28:29]
	v_fma_f64 v[2:3], -v[2:3], v[44:45], v[30:31]
	s_nop 1
	v_div_fmas_f64 v[2:3], v[2:3], v[28:29], v[44:45]
	v_div_fixup_f64 v[30:31], v[2:3], v[26:27], 1.0
	v_xor_b32_e32 v3, 0x80000000, v31
	v_mov_b32_e32 v2, v30
	v_mul_f64 v[4:5], v[4:5], -v[30:31]
.LBB9_17:
	s_or_b64 exec, exec, s[8:9]
	buffer_store_dword v31, v42, s[0:3], 0 offen offset:4
	buffer_store_dword v30, v42, s[0:3], 0 offen
	buffer_store_dword v5, v42, s[0:3], 0 offen offset:12
	buffer_store_dword v4, v42, s[0:3], 0 offen offset:8
	buffer_load_dword v31, v37, s[0:3], 0 offen offset:12
	s_nop 0
	buffer_load_dword v30, v37, s[0:3], 0 offen offset:8
	buffer_load_dword v29, v37, s[0:3], 0 offen offset:4
	buffer_load_dword v28, v37, s[0:3], 0 offen
	v_xor_b32_e32 v5, 0x80000000, v5
	v_add_u32_e32 v26, 0xa0, v41
	ds_write_b128 v41, v[2:5]
	s_waitcnt vmcnt(0)
	ds_write_b128 v41, v[28:31] offset:160
	s_waitcnt lgkmcnt(0)
	; wave barrier
	s_waitcnt lgkmcnt(0)
	s_and_saveexec_b64 s[8:9], s[6:7]
	s_cbranch_execz .LBB9_19
; %bb.18:
	buffer_load_dword v44, v42, s[0:3], 0 offen offset:8
	buffer_load_dword v45, v42, s[0:3], 0 offen offset:12
	buffer_load_dword v46, v42, s[0:3], 0 offen
	buffer_load_dword v47, v42, s[0:3], 0 offen offset:4
	ds_read_b128 v[2:5], v26
	v_mov_b32_e32 v27, 0
	ds_read_b128 v[28:31], v27 offset:16
	s_waitcnt vmcnt(2) lgkmcnt(1)
	v_mul_f64 v[48:49], v[4:5], v[44:45]
	v_mul_f64 v[44:45], v[2:3], v[44:45]
	s_waitcnt vmcnt(0)
	v_fmac_f64_e32 v[44:45], v[4:5], v[46:47]
	v_fma_f64 v[2:3], v[2:3], v[46:47], -v[48:49]
	v_add_f64 v[4:5], v[44:45], 0
	v_add_f64 v[2:3], v[2:3], 0
	s_waitcnt lgkmcnt(0)
	v_mul_f64 v[44:45], v[4:5], v[30:31]
	v_mul_f64 v[30:31], v[2:3], v[30:31]
	v_fma_f64 v[2:3], v[2:3], v[28:29], -v[44:45]
	v_fmac_f64_e32 v[30:31], v[4:5], v[28:29]
	buffer_store_dword v2, off, s[0:3], 0 offset:16
	buffer_store_dword v3, off, s[0:3], 0 offset:20
	;; [unrolled: 1-line block ×4, first 2 shown]
.LBB9_19:
	s_or_b64 exec, exec, s[8:9]
	s_waitcnt lgkmcnt(0)
	; wave barrier
	buffer_load_dword v2, v38, s[0:3], 0 offen
	buffer_load_dword v3, v38, s[0:3], 0 offen offset:4
	buffer_load_dword v4, v38, s[0:3], 0 offen offset:8
	;; [unrolled: 1-line block ×3, first 2 shown]
	v_cmp_gt_u32_e32 vcc, 2, v40
	s_waitcnt vmcnt(0)
	ds_write_b128 v26, v[2:5]
	s_waitcnt lgkmcnt(0)
	; wave barrier
	s_waitcnt lgkmcnt(0)
	s_and_saveexec_b64 s[8:9], vcc
	s_cbranch_execz .LBB9_23
; %bb.20:
	buffer_load_dword v28, v42, s[0:3], 0 offen offset:8
	buffer_load_dword v29, v42, s[0:3], 0 offen offset:12
	buffer_load_dword v30, v42, s[0:3], 0 offen
	buffer_load_dword v31, v42, s[0:3], 0 offen offset:4
	ds_read_b128 v[2:5], v26
	s_waitcnt vmcnt(2) lgkmcnt(0)
	v_mul_f64 v[42:43], v[4:5], v[28:29]
	v_mul_f64 v[28:29], v[2:3], v[28:29]
	s_waitcnt vmcnt(0)
	v_fma_f64 v[2:3], v[2:3], v[30:31], -v[42:43]
	v_fmac_f64_e32 v[28:29], v[4:5], v[30:31]
	v_add_f64 v[4:5], v[2:3], 0
	v_add_f64 v[2:3], v[28:29], 0
	s_and_saveexec_b64 s[12:13], s[6:7]
	s_cbranch_execz .LBB9_22
; %bb.21:
	buffer_load_dword v42, off, s[0:3], 0 offset:24
	buffer_load_dword v43, off, s[0:3], 0 offset:28
	;; [unrolled: 1-line block ×4, first 2 shown]
	v_mov_b32_e32 v27, 0
	ds_read_b128 v[28:31], v27 offset:176
	s_waitcnt vmcnt(2) lgkmcnt(0)
	v_mul_f64 v[46:47], v[28:29], v[42:43]
	v_mul_f64 v[42:43], v[30:31], v[42:43]
	s_waitcnt vmcnt(0)
	v_fmac_f64_e32 v[46:47], v[30:31], v[44:45]
	v_fma_f64 v[28:29], v[28:29], v[44:45], -v[42:43]
	v_add_f64 v[2:3], v[2:3], v[46:47]
	v_add_f64 v[4:5], v[4:5], v[28:29]
.LBB9_22:
	s_or_b64 exec, exec, s[12:13]
	v_mov_b32_e32 v27, 0
	ds_read_b128 v[28:31], v27 offset:32
	s_waitcnt lgkmcnt(0)
	v_mul_f64 v[42:43], v[2:3], v[30:31]
	v_mul_f64 v[30:31], v[4:5], v[30:31]
	v_fma_f64 v[4:5], v[4:5], v[28:29], -v[42:43]
	v_fmac_f64_e32 v[30:31], v[2:3], v[28:29]
	buffer_store_dword v5, off, s[0:3], 0 offset:36
	buffer_store_dword v4, off, s[0:3], 0 offset:32
	;; [unrolled: 1-line block ×4, first 2 shown]
.LBB9_23:
	s_or_b64 exec, exec, s[8:9]
	s_waitcnt lgkmcnt(0)
	; wave barrier
	buffer_load_dword v2, v39, s[0:3], 0 offen
	buffer_load_dword v3, v39, s[0:3], 0 offen offset:4
	buffer_load_dword v4, v39, s[0:3], 0 offen offset:8
	;; [unrolled: 1-line block ×3, first 2 shown]
	v_cmp_gt_u32_e32 vcc, 3, v40
	v_add_u32_e32 v27, -1, v40
	s_waitcnt vmcnt(0)
	ds_write_b128 v26, v[2:5]
	s_waitcnt lgkmcnt(0)
	; wave barrier
	s_waitcnt lgkmcnt(0)
	s_and_saveexec_b64 s[6:7], vcc
	s_cbranch_execz .LBB9_27
; %bb.24:
	v_pk_mov_b32 v[2:3], 0, 0
	v_add_u32_e32 v28, -1, v40
	v_add_u32_e32 v29, 0xa0, v41
	v_add_u32_e32 v30, 0, v41
	s_mov_b64 s[8:9], 0
	v_pk_mov_b32 v[4:5], v[2:3], v[2:3] op_sel:[0,1]
.LBB9_25:                               ; =>This Inner Loop Header: Depth=1
	buffer_load_dword v46, v30, s[0:3], 0 offen offset:8
	buffer_load_dword v47, v30, s[0:3], 0 offen offset:12
	buffer_load_dword v48, v30, s[0:3], 0 offen
	buffer_load_dword v49, v30, s[0:3], 0 offen offset:4
	ds_read_b128 v[42:45], v29
	v_add_u32_e32 v28, 1, v28
	v_cmp_lt_u32_e32 vcc, 1, v28
	v_add_u32_e32 v29, 16, v29
	v_add_u32_e32 v30, 16, v30
	s_or_b64 s[8:9], vcc, s[8:9]
	s_waitcnt vmcnt(2) lgkmcnt(0)
	v_mul_f64 v[50:51], v[44:45], v[46:47]
	v_mul_f64 v[46:47], v[42:43], v[46:47]
	s_waitcnt vmcnt(0)
	v_fma_f64 v[42:43], v[42:43], v[48:49], -v[50:51]
	v_fmac_f64_e32 v[46:47], v[44:45], v[48:49]
	v_add_f64 v[4:5], v[4:5], v[42:43]
	v_add_f64 v[2:3], v[2:3], v[46:47]
	s_andn2_b64 exec, exec, s[8:9]
	s_cbranch_execnz .LBB9_25
; %bb.26:
	s_or_b64 exec, exec, s[8:9]
	v_mov_b32_e32 v28, 0
	ds_read_b128 v[28:31], v28 offset:48
	s_waitcnt lgkmcnt(0)
	v_mul_f64 v[42:43], v[2:3], v[30:31]
	v_mul_f64 v[30:31], v[4:5], v[30:31]
	v_fma_f64 v[4:5], v[4:5], v[28:29], -v[42:43]
	v_fmac_f64_e32 v[30:31], v[2:3], v[28:29]
	buffer_store_dword v5, off, s[0:3], 0 offset:52
	buffer_store_dword v4, off, s[0:3], 0 offset:48
	buffer_store_dword v31, off, s[0:3], 0 offset:60
	buffer_store_dword v30, off, s[0:3], 0 offset:56
.LBB9_27:
	s_or_b64 exec, exec, s[6:7]
	s_waitcnt lgkmcnt(0)
	; wave barrier
	buffer_load_dword v2, v1, s[0:3], 0 offen
	buffer_load_dword v3, v1, s[0:3], 0 offen offset:4
	buffer_load_dword v4, v1, s[0:3], 0 offen offset:8
	buffer_load_dword v5, v1, s[0:3], 0 offen offset:12
	v_cmp_gt_u32_e32 vcc, 4, v40
	s_waitcnt vmcnt(0)
	ds_write_b128 v26, v[2:5]
	s_waitcnt lgkmcnt(0)
	; wave barrier
	s_waitcnt lgkmcnt(0)
	s_and_saveexec_b64 s[6:7], vcc
	s_cbranch_execz .LBB9_31
; %bb.28:
	v_pk_mov_b32 v[2:3], 0, 0
	v_add_u32_e32 v28, -1, v40
	v_add_u32_e32 v29, 0xa0, v41
	v_add_u32_e32 v30, 0, v41
	s_mov_b64 s[8:9], 0
	v_pk_mov_b32 v[4:5], v[2:3], v[2:3] op_sel:[0,1]
.LBB9_29:                               ; =>This Inner Loop Header: Depth=1
	buffer_load_dword v46, v30, s[0:3], 0 offen offset:8
	buffer_load_dword v47, v30, s[0:3], 0 offen offset:12
	buffer_load_dword v48, v30, s[0:3], 0 offen
	buffer_load_dword v49, v30, s[0:3], 0 offen offset:4
	ds_read_b128 v[42:45], v29
	v_add_u32_e32 v28, 1, v28
	v_cmp_lt_u32_e32 vcc, 2, v28
	v_add_u32_e32 v29, 16, v29
	v_add_u32_e32 v30, 16, v30
	s_or_b64 s[8:9], vcc, s[8:9]
	s_waitcnt vmcnt(2) lgkmcnt(0)
	v_mul_f64 v[50:51], v[44:45], v[46:47]
	v_mul_f64 v[46:47], v[42:43], v[46:47]
	s_waitcnt vmcnt(0)
	v_fma_f64 v[42:43], v[42:43], v[48:49], -v[50:51]
	v_fmac_f64_e32 v[46:47], v[44:45], v[48:49]
	v_add_f64 v[4:5], v[4:5], v[42:43]
	v_add_f64 v[2:3], v[2:3], v[46:47]
	s_andn2_b64 exec, exec, s[8:9]
	s_cbranch_execnz .LBB9_29
; %bb.30:
	s_or_b64 exec, exec, s[8:9]
	v_mov_b32_e32 v28, 0
	ds_read_b128 v[28:31], v28 offset:64
	s_waitcnt lgkmcnt(0)
	v_mul_f64 v[42:43], v[2:3], v[30:31]
	v_mul_f64 v[30:31], v[4:5], v[30:31]
	v_fma_f64 v[4:5], v[4:5], v[28:29], -v[42:43]
	v_fmac_f64_e32 v[30:31], v[2:3], v[28:29]
	buffer_store_dword v5, off, s[0:3], 0 offset:68
	buffer_store_dword v4, off, s[0:3], 0 offset:64
	buffer_store_dword v31, off, s[0:3], 0 offset:76
	buffer_store_dword v30, off, s[0:3], 0 offset:72
.LBB9_31:
	s_or_b64 exec, exec, s[6:7]
	s_waitcnt lgkmcnt(0)
	; wave barrier
	buffer_load_dword v2, v33, s[0:3], 0 offen
	buffer_load_dword v3, v33, s[0:3], 0 offen offset:4
	buffer_load_dword v4, v33, s[0:3], 0 offen offset:8
	buffer_load_dword v5, v33, s[0:3], 0 offen offset:12
	v_cmp_gt_u32_e32 vcc, 5, v40
	;; [unrolled: 57-line block ×5, first 2 shown]
	s_waitcnt vmcnt(0)
	ds_write_b128 v26, v[2:5]
	s_waitcnt lgkmcnt(0)
	; wave barrier
	s_waitcnt lgkmcnt(0)
	s_and_saveexec_b64 s[6:7], vcc
	s_cbranch_execz .LBB9_47
; %bb.44:
	v_pk_mov_b32 v[2:3], 0, 0
	v_add_u32_e32 v28, -1, v40
	v_add_u32_e32 v29, 0xa0, v41
	v_add_u32_e32 v30, 0, v41
	s_mov_b64 s[8:9], 0
	v_pk_mov_b32 v[4:5], v[2:3], v[2:3] op_sel:[0,1]
.LBB9_45:                               ; =>This Inner Loop Header: Depth=1
	buffer_load_dword v46, v30, s[0:3], 0 offen offset:8
	buffer_load_dword v47, v30, s[0:3], 0 offen offset:12
	buffer_load_dword v48, v30, s[0:3], 0 offen
	buffer_load_dword v49, v30, s[0:3], 0 offen offset:4
	ds_read_b128 v[42:45], v29
	v_add_u32_e32 v28, 1, v28
	v_cmp_lt_u32_e32 vcc, 6, v28
	v_add_u32_e32 v29, 16, v29
	v_add_u32_e32 v30, 16, v30
	s_or_b64 s[8:9], vcc, s[8:9]
	s_waitcnt vmcnt(2) lgkmcnt(0)
	v_mul_f64 v[50:51], v[44:45], v[46:47]
	v_mul_f64 v[46:47], v[42:43], v[46:47]
	s_waitcnt vmcnt(0)
	v_fma_f64 v[42:43], v[42:43], v[48:49], -v[50:51]
	v_fmac_f64_e32 v[46:47], v[44:45], v[48:49]
	v_add_f64 v[4:5], v[4:5], v[42:43]
	v_add_f64 v[2:3], v[2:3], v[46:47]
	s_andn2_b64 exec, exec, s[8:9]
	s_cbranch_execnz .LBB9_45
; %bb.46:
	s_or_b64 exec, exec, s[8:9]
	v_mov_b32_e32 v28, 0
	ds_read_b128 v[28:31], v28 offset:128
	s_waitcnt lgkmcnt(0)
	v_mul_f64 v[42:43], v[2:3], v[30:31]
	v_mul_f64 v[30:31], v[4:5], v[30:31]
	v_fma_f64 v[4:5], v[4:5], v[28:29], -v[42:43]
	v_fmac_f64_e32 v[30:31], v[2:3], v[28:29]
	buffer_store_dword v5, off, s[0:3], 0 offset:132
	buffer_store_dword v4, off, s[0:3], 0 offset:128
	;; [unrolled: 1-line block ×4, first 2 shown]
.LBB9_47:
	s_or_b64 exec, exec, s[6:7]
	s_waitcnt lgkmcnt(0)
	; wave barrier
	buffer_load_dword v2, v36, s[0:3], 0 offen
	buffer_load_dword v3, v36, s[0:3], 0 offen offset:4
	buffer_load_dword v4, v36, s[0:3], 0 offen offset:8
	;; [unrolled: 1-line block ×3, first 2 shown]
	v_cmp_ne_u32_e32 vcc, 9, v40
	s_waitcnt vmcnt(0)
	ds_write_b128 v26, v[2:5]
	s_waitcnt lgkmcnt(0)
	; wave barrier
	s_waitcnt lgkmcnt(0)
	s_and_saveexec_b64 s[6:7], vcc
	s_cbranch_execz .LBB9_51
; %bb.48:
	v_pk_mov_b32 v[2:3], 0, 0
	v_add_u32_e32 v26, 0xa0, v41
	v_add_u32_e32 v28, 0, v41
	s_mov_b64 s[8:9], 0
	v_pk_mov_b32 v[4:5], v[2:3], v[2:3] op_sel:[0,1]
.LBB9_49:                               ; =>This Inner Loop Header: Depth=1
	buffer_load_dword v30, v28, s[0:3], 0 offen offset:8
	buffer_load_dword v31, v28, s[0:3], 0 offen offset:12
	buffer_load_dword v46, v28, s[0:3], 0 offen
	buffer_load_dword v47, v28, s[0:3], 0 offen offset:4
	ds_read_b128 v[42:45], v26
	v_add_u32_e32 v27, 1, v27
	v_cmp_lt_u32_e32 vcc, 7, v27
	v_add_u32_e32 v26, 16, v26
	v_add_u32_e32 v28, 16, v28
	s_or_b64 s[8:9], vcc, s[8:9]
	s_waitcnt vmcnt(2) lgkmcnt(0)
	v_mul_f64 v[48:49], v[44:45], v[30:31]
	v_mul_f64 v[30:31], v[42:43], v[30:31]
	s_waitcnt vmcnt(0)
	v_fma_f64 v[42:43], v[42:43], v[46:47], -v[48:49]
	v_fmac_f64_e32 v[30:31], v[44:45], v[46:47]
	v_add_f64 v[4:5], v[4:5], v[42:43]
	v_add_f64 v[2:3], v[2:3], v[30:31]
	s_andn2_b64 exec, exec, s[8:9]
	s_cbranch_execnz .LBB9_49
; %bb.50:
	s_or_b64 exec, exec, s[8:9]
	v_mov_b32_e32 v26, 0
	ds_read_b128 v[26:29], v26 offset:144
	s_waitcnt lgkmcnt(0)
	v_mul_f64 v[30:31], v[2:3], v[28:29]
	v_mul_f64 v[28:29], v[4:5], v[28:29]
	v_fma_f64 v[4:5], v[4:5], v[26:27], -v[30:31]
	v_fmac_f64_e32 v[28:29], v[2:3], v[26:27]
	buffer_store_dword v5, off, s[0:3], 0 offset:148
	buffer_store_dword v4, off, s[0:3], 0 offset:144
	;; [unrolled: 1-line block ×4, first 2 shown]
.LBB9_51:
	s_or_b64 exec, exec, s[6:7]
	s_mov_b64 s[8:9], -1
	s_waitcnt lgkmcnt(0)
	; wave barrier
.LBB9_52:
	s_and_b64 vcc, exec, s[8:9]
	s_cbranch_vccz .LBB9_54
; %bb.53:
	s_lshl_b64 s[6:7], s[10:11], 2
	s_add_u32 s6, s14, s6
	s_addc_u32 s7, s15, s7
	v_mov_b32_e32 v2, 0
	global_load_dword v2, v2, s[6:7]
	s_waitcnt vmcnt(0)
	v_cmp_ne_u32_e32 vcc, 0, v2
	s_cbranch_vccz .LBB9_55
.LBB9_54:
	s_endpgm
.LBB9_55:
	v_mov_b32_e32 v2, 0xa0
	v_lshl_add_u32 v2, v40, 4, v2
	v_cmp_eq_u32_e32 vcc, 9, v40
	s_and_saveexec_b64 s[6:7], vcc
	s_cbranch_execz .LBB9_57
; %bb.56:
	buffer_load_dword v26, v34, s[0:3], 0 offen
	buffer_load_dword v27, v34, s[0:3], 0 offen offset:4
	buffer_load_dword v28, v34, s[0:3], 0 offen offset:8
	;; [unrolled: 1-line block ×3, first 2 shown]
	v_mov_b32_e32 v3, 0
	buffer_store_dword v3, off, s[0:3], 0 offset:128
	buffer_store_dword v3, off, s[0:3], 0 offset:132
	;; [unrolled: 1-line block ×4, first 2 shown]
	s_waitcnt vmcnt(4)
	ds_write_b128 v2, v[26:29]
.LBB9_57:
	s_or_b64 exec, exec, s[6:7]
	s_waitcnt lgkmcnt(0)
	; wave barrier
	s_waitcnt lgkmcnt(0)
	buffer_load_dword v4, off, s[0:3], 0 offset:152
	buffer_load_dword v5, off, s[0:3], 0 offset:156
	;; [unrolled: 1-line block ×8, first 2 shown]
	v_mov_b32_e32 v3, 0
	ds_read_b128 v[26:29], v3 offset:304
	v_cmp_lt_u32_e32 vcc, 7, v40
	s_waitcnt vmcnt(6) lgkmcnt(0)
	v_mul_f64 v[46:47], v[26:27], v[4:5]
	v_mul_f64 v[4:5], v[28:29], v[4:5]
	s_waitcnt vmcnt(4)
	v_fma_f64 v[4:5], v[26:27], v[30:31], -v[4:5]
	v_fmac_f64_e32 v[46:47], v[28:29], v[30:31]
	v_add_f64 v[4:5], v[4:5], 0
	v_add_f64 v[26:27], v[46:47], 0
	s_waitcnt vmcnt(2)
	v_add_f64 v[4:5], v[42:43], -v[4:5]
	s_waitcnt vmcnt(0)
	v_add_f64 v[26:27], v[44:45], -v[26:27]
	buffer_store_dword v4, off, s[0:3], 0 offset:128
	buffer_store_dword v5, off, s[0:3], 0 offset:132
	;; [unrolled: 1-line block ×4, first 2 shown]
	s_and_saveexec_b64 s[6:7], vcc
	s_cbranch_execz .LBB9_59
; %bb.58:
	buffer_load_dword v26, v32, s[0:3], 0 offen
	buffer_load_dword v27, v32, s[0:3], 0 offen offset:4
	buffer_load_dword v28, v32, s[0:3], 0 offen offset:8
	;; [unrolled: 1-line block ×3, first 2 shown]
	s_nop 0
	buffer_store_dword v3, off, s[0:3], 0 offset:112
	buffer_store_dword v3, off, s[0:3], 0 offset:116
	;; [unrolled: 1-line block ×4, first 2 shown]
	s_waitcnt vmcnt(4)
	ds_write_b128 v2, v[26:29]
.LBB9_59:
	s_or_b64 exec, exec, s[6:7]
	s_waitcnt lgkmcnt(0)
	; wave barrier
	s_waitcnt lgkmcnt(0)
	buffer_load_dword v4, off, s[0:3], 0 offset:136
	buffer_load_dword v5, off, s[0:3], 0 offset:140
	;; [unrolled: 1-line block ×12, first 2 shown]
	ds_read_b128 v[26:29], v3 offset:288
	ds_read_b128 v[42:45], v3 offset:304
	v_cmp_lt_u32_e32 vcc, 6, v40
	s_waitcnt vmcnt(10) lgkmcnt(1)
	v_mul_f64 v[54:55], v[26:27], v[4:5]
	v_mul_f64 v[4:5], v[28:29], v[4:5]
	s_waitcnt vmcnt(8) lgkmcnt(0)
	v_mul_f64 v[56:57], v[42:43], v[30:31]
	v_mul_f64 v[30:31], v[44:45], v[30:31]
	s_waitcnt vmcnt(6)
	v_fma_f64 v[4:5], v[26:27], v[46:47], -v[4:5]
	v_fmac_f64_e32 v[54:55], v[28:29], v[46:47]
	s_waitcnt vmcnt(4)
	v_fma_f64 v[26:27], v[42:43], v[48:49], -v[30:31]
	v_add_f64 v[4:5], v[4:5], 0
	v_fmac_f64_e32 v[56:57], v[44:45], v[48:49]
	v_add_f64 v[28:29], v[54:55], 0
	v_add_f64 v[4:5], v[4:5], v[26:27]
	v_add_f64 v[28:29], v[28:29], v[56:57]
	s_waitcnt vmcnt(2)
	v_add_f64 v[4:5], v[50:51], -v[4:5]
	s_waitcnt vmcnt(0)
	v_add_f64 v[26:27], v[52:53], -v[28:29]
	buffer_store_dword v4, off, s[0:3], 0 offset:112
	buffer_store_dword v5, off, s[0:3], 0 offset:116
	;; [unrolled: 1-line block ×4, first 2 shown]
	s_and_saveexec_b64 s[6:7], vcc
	s_cbranch_execz .LBB9_61
; %bb.60:
	buffer_load_dword v26, v35, s[0:3], 0 offen
	buffer_load_dword v27, v35, s[0:3], 0 offen offset:4
	buffer_load_dword v28, v35, s[0:3], 0 offen offset:8
	buffer_load_dword v29, v35, s[0:3], 0 offen offset:12
	v_mov_b32_e32 v3, 0
	buffer_store_dword v3, off, s[0:3], 0 offset:96
	buffer_store_dword v3, off, s[0:3], 0 offset:100
	;; [unrolled: 1-line block ×4, first 2 shown]
	s_waitcnt vmcnt(4)
	ds_write_b128 v2, v[26:29]
.LBB9_61:
	s_or_b64 exec, exec, s[6:7]
	s_waitcnt lgkmcnt(0)
	; wave barrier
	s_waitcnt lgkmcnt(0)
	buffer_load_dword v4, off, s[0:3], 0 offset:120
	buffer_load_dword v5, off, s[0:3], 0 offset:124
	buffer_load_dword v30, off, s[0:3], 0 offset:136
	buffer_load_dword v31, off, s[0:3], 0 offset:140
	buffer_load_dword v50, off, s[0:3], 0 offset:152
	buffer_load_dword v51, off, s[0:3], 0 offset:156
	buffer_load_dword v52, off, s[0:3], 0 offset:112
	buffer_load_dword v53, off, s[0:3], 0 offset:116
	buffer_load_dword v54, off, s[0:3], 0 offset:128
	buffer_load_dword v55, off, s[0:3], 0 offset:132
	buffer_load_dword v56, off, s[0:3], 0 offset:144
	buffer_load_dword v57, off, s[0:3], 0 offset:148
	buffer_load_dword v58, off, s[0:3], 0 offset:96
	buffer_load_dword v59, off, s[0:3], 0 offset:100
	buffer_load_dword v60, off, s[0:3], 0 offset:104
	buffer_load_dword v61, off, s[0:3], 0 offset:108
	v_mov_b32_e32 v3, 0
	ds_read_b128 v[26:29], v3 offset:272
	ds_read_b128 v[42:45], v3 offset:288
	;; [unrolled: 1-line block ×3, first 2 shown]
	v_cmp_lt_u32_e32 vcc, 5, v40
	s_waitcnt vmcnt(14) lgkmcnt(2)
	v_mul_f64 v[62:63], v[26:27], v[4:5]
	v_mul_f64 v[4:5], v[28:29], v[4:5]
	s_waitcnt vmcnt(12) lgkmcnt(1)
	v_mul_f64 v[64:65], v[42:43], v[30:31]
	v_mul_f64 v[30:31], v[44:45], v[30:31]
	;; [unrolled: 3-line block ×3, first 2 shown]
	s_waitcnt vmcnt(8)
	v_fma_f64 v[4:5], v[26:27], v[52:53], -v[4:5]
	v_fmac_f64_e32 v[62:63], v[28:29], v[52:53]
	s_waitcnt vmcnt(6)
	v_fma_f64 v[26:27], v[42:43], v[54:55], -v[30:31]
	v_add_f64 v[4:5], v[4:5], 0
	v_fmac_f64_e32 v[64:65], v[44:45], v[54:55]
	s_waitcnt vmcnt(4)
	v_fma_f64 v[28:29], v[46:47], v[56:57], -v[50:51]
	v_add_f64 v[30:31], v[62:63], 0
	v_add_f64 v[4:5], v[4:5], v[26:27]
	v_fmac_f64_e32 v[66:67], v[48:49], v[56:57]
	v_add_f64 v[30:31], v[30:31], v[64:65]
	v_add_f64 v[4:5], v[4:5], v[28:29]
	;; [unrolled: 1-line block ×3, first 2 shown]
	s_waitcnt vmcnt(2)
	v_add_f64 v[4:5], v[58:59], -v[4:5]
	s_waitcnt vmcnt(0)
	v_add_f64 v[26:27], v[60:61], -v[26:27]
	buffer_store_dword v4, off, s[0:3], 0 offset:96
	buffer_store_dword v5, off, s[0:3], 0 offset:100
	;; [unrolled: 1-line block ×4, first 2 shown]
	s_and_saveexec_b64 s[6:7], vcc
	s_cbranch_execz .LBB9_63
; %bb.62:
	buffer_load_dword v26, v33, s[0:3], 0 offen
	buffer_load_dword v27, v33, s[0:3], 0 offen offset:4
	buffer_load_dword v28, v33, s[0:3], 0 offen offset:8
	;; [unrolled: 1-line block ×3, first 2 shown]
	s_nop 0
	buffer_store_dword v3, off, s[0:3], 0 offset:80
	buffer_store_dword v3, off, s[0:3], 0 offset:84
	;; [unrolled: 1-line block ×4, first 2 shown]
	s_waitcnt vmcnt(4)
	ds_write_b128 v2, v[26:29]
.LBB9_63:
	s_or_b64 exec, exec, s[6:7]
	s_waitcnt lgkmcnt(0)
	; wave barrier
	s_waitcnt lgkmcnt(0)
	buffer_load_dword v4, off, s[0:3], 0 offset:104
	buffer_load_dword v5, off, s[0:3], 0 offset:108
	;; [unrolled: 1-line block ×20, first 2 shown]
	ds_read_b128 v[26:29], v3 offset:256
	ds_read_b128 v[42:45], v3 offset:272
	;; [unrolled: 1-line block ×4, first 2 shown]
	v_cmp_lt_u32_e32 vcc, 4, v40
	s_waitcnt vmcnt(18) lgkmcnt(3)
	v_mul_f64 v[70:71], v[26:27], v[4:5]
	v_mul_f64 v[4:5], v[28:29], v[4:5]
	s_waitcnt vmcnt(16) lgkmcnt(2)
	v_mul_f64 v[72:73], v[42:43], v[30:31]
	v_mul_f64 v[30:31], v[44:45], v[30:31]
	;; [unrolled: 3-line block ×4, first 2 shown]
	s_waitcnt vmcnt(10)
	v_fma_f64 v[4:5], v[26:27], v[58:59], -v[4:5]
	v_fmac_f64_e32 v[70:71], v[28:29], v[58:59]
	s_waitcnt vmcnt(8)
	v_fma_f64 v[26:27], v[42:43], v[60:61], -v[30:31]
	v_add_f64 v[4:5], v[4:5], 0
	v_fmac_f64_e32 v[72:73], v[44:45], v[60:61]
	s_waitcnt vmcnt(6)
	v_fma_f64 v[28:29], v[46:47], v[62:63], -v[54:55]
	v_add_f64 v[42:43], v[70:71], 0
	v_add_f64 v[4:5], v[4:5], v[26:27]
	v_fmac_f64_e32 v[74:75], v[48:49], v[62:63]
	s_waitcnt vmcnt(4)
	v_fma_f64 v[30:31], v[50:51], v[64:65], -v[56:57]
	v_add_f64 v[42:43], v[42:43], v[72:73]
	v_add_f64 v[4:5], v[4:5], v[28:29]
	v_fmac_f64_e32 v[76:77], v[52:53], v[64:65]
	v_add_f64 v[26:27], v[42:43], v[74:75]
	v_add_f64 v[4:5], v[4:5], v[30:31]
	;; [unrolled: 1-line block ×3, first 2 shown]
	s_waitcnt vmcnt(2)
	v_add_f64 v[4:5], v[66:67], -v[4:5]
	s_waitcnt vmcnt(0)
	v_add_f64 v[26:27], v[68:69], -v[26:27]
	buffer_store_dword v4, off, s[0:3], 0 offset:80
	buffer_store_dword v5, off, s[0:3], 0 offset:84
	;; [unrolled: 1-line block ×4, first 2 shown]
	s_and_saveexec_b64 s[6:7], vcc
	s_cbranch_execz .LBB9_65
; %bb.64:
	buffer_load_dword v26, v1, s[0:3], 0 offen
	buffer_load_dword v27, v1, s[0:3], 0 offen offset:4
	buffer_load_dword v28, v1, s[0:3], 0 offen offset:8
	;; [unrolled: 1-line block ×3, first 2 shown]
	v_mov_b32_e32 v3, 0
	buffer_store_dword v3, off, s[0:3], 0 offset:64
	buffer_store_dword v3, off, s[0:3], 0 offset:68
	;; [unrolled: 1-line block ×4, first 2 shown]
	s_waitcnt vmcnt(4)
	ds_write_b128 v2, v[26:29]
.LBB9_65:
	s_or_b64 exec, exec, s[6:7]
	s_waitcnt lgkmcnt(0)
	; wave barrier
	s_waitcnt lgkmcnt(0)
	buffer_load_dword v4, off, s[0:3], 0 offset:88
	buffer_load_dword v5, off, s[0:3], 0 offset:92
	buffer_load_dword v30, off, s[0:3], 0 offset:104
	buffer_load_dword v31, off, s[0:3], 0 offset:108
	buffer_load_dword v58, off, s[0:3], 0 offset:120
	buffer_load_dword v59, off, s[0:3], 0 offset:124
	buffer_load_dword v60, off, s[0:3], 0 offset:152
	buffer_load_dword v62, off, s[0:3], 0 offset:144
	buffer_load_dword v65, off, s[0:3], 0 offset:140
	buffer_load_dword v64, off, s[0:3], 0 offset:136
	buffer_load_dword v61, off, s[0:3], 0 offset:156
	buffer_load_dword v66, off, s[0:3], 0 offset:80
	buffer_load_dword v67, off, s[0:3], 0 offset:84
	buffer_load_dword v68, off, s[0:3], 0 offset:96
	buffer_load_dword v69, off, s[0:3], 0 offset:100
	buffer_load_dword v70, off, s[0:3], 0 offset:112
	buffer_load_dword v71, off, s[0:3], 0 offset:116
	buffer_load_dword v73, off, s[0:3], 0 offset:132
	buffer_load_dword v72, off, s[0:3], 0 offset:128
	buffer_load_dword v63, off, s[0:3], 0 offset:148
	buffer_load_dword v74, off, s[0:3], 0 offset:64
	buffer_load_dword v75, off, s[0:3], 0 offset:68
	buffer_load_dword v76, off, s[0:3], 0 offset:72
	buffer_load_dword v77, off, s[0:3], 0 offset:76
	v_mov_b32_e32 v3, 0
	ds_read_b128 v[26:29], v3 offset:240
	ds_read_b128 v[42:45], v3 offset:256
	;; [unrolled: 1-line block ×5, first 2 shown]
	v_cmp_lt_u32_e32 vcc, 3, v40
	s_waitcnt vmcnt(22) lgkmcnt(4)
	v_mul_f64 v[78:79], v[26:27], v[4:5]
	v_mul_f64 v[4:5], v[28:29], v[4:5]
	s_waitcnt vmcnt(20) lgkmcnt(3)
	v_mul_f64 v[80:81], v[42:43], v[30:31]
	v_mul_f64 v[30:31], v[44:45], v[30:31]
	;; [unrolled: 3-line block ×4, first 2 shown]
	s_waitcnt vmcnt(13) lgkmcnt(0)
	v_mul_f64 v[86:87], v[54:55], v[60:61]
	s_waitcnt vmcnt(11)
	v_fma_f64 v[4:5], v[26:27], v[66:67], -v[4:5]
	v_fmac_f64_e32 v[78:79], v[28:29], v[66:67]
	s_waitcnt vmcnt(9)
	v_fma_f64 v[26:27], v[42:43], v[68:69], -v[30:31]
	v_add_f64 v[4:5], v[4:5], 0
	v_fmac_f64_e32 v[80:81], v[44:45], v[68:69]
	s_waitcnt vmcnt(7)
	v_fma_f64 v[28:29], v[46:47], v[70:71], -v[58:59]
	v_add_f64 v[44:45], v[78:79], 0
	v_add_f64 v[4:5], v[4:5], v[26:27]
	v_mul_f64 v[60:61], v[56:57], v[60:61]
	v_fmac_f64_e32 v[82:83], v[48:49], v[70:71]
	s_waitcnt vmcnt(5)
	v_fma_f64 v[30:31], v[50:51], v[72:73], -v[64:65]
	v_add_f64 v[44:45], v[44:45], v[80:81]
	v_add_f64 v[4:5], v[4:5], v[28:29]
	v_fmac_f64_e32 v[84:85], v[52:53], v[72:73]
	s_waitcnt vmcnt(4)
	v_fma_f64 v[42:43], v[54:55], v[62:63], -v[60:61]
	v_add_f64 v[26:27], v[44:45], v[82:83]
	v_add_f64 v[4:5], v[4:5], v[30:31]
	v_fmac_f64_e32 v[86:87], v[56:57], v[62:63]
	v_add_f64 v[26:27], v[26:27], v[84:85]
	v_add_f64 v[4:5], v[4:5], v[42:43]
	;; [unrolled: 1-line block ×3, first 2 shown]
	s_waitcnt vmcnt(2)
	v_add_f64 v[4:5], v[74:75], -v[4:5]
	s_waitcnt vmcnt(0)
	v_add_f64 v[26:27], v[76:77], -v[26:27]
	buffer_store_dword v5, off, s[0:3], 0 offset:68
	buffer_store_dword v4, off, s[0:3], 0 offset:64
	;; [unrolled: 1-line block ×4, first 2 shown]
	s_and_saveexec_b64 s[6:7], vcc
	s_cbranch_execz .LBB9_67
; %bb.66:
	buffer_load_dword v26, v39, s[0:3], 0 offen
	buffer_load_dword v27, v39, s[0:3], 0 offen offset:4
	buffer_load_dword v28, v39, s[0:3], 0 offen offset:8
	;; [unrolled: 1-line block ×3, first 2 shown]
	s_nop 0
	buffer_store_dword v3, off, s[0:3], 0 offset:48
	buffer_store_dword v3, off, s[0:3], 0 offset:52
	buffer_store_dword v3, off, s[0:3], 0 offset:56
	buffer_store_dword v3, off, s[0:3], 0 offset:60
	s_waitcnt vmcnt(4)
	ds_write_b128 v2, v[26:29]
.LBB9_67:
	s_or_b64 exec, exec, s[6:7]
	s_waitcnt lgkmcnt(0)
	; wave barrier
	s_waitcnt lgkmcnt(0)
	buffer_load_dword v4, off, s[0:3], 0 offset:72
	buffer_load_dword v5, off, s[0:3], 0 offset:76
	;; [unrolled: 1-line block ×28, first 2 shown]
	ds_read_b128 v[26:29], v3 offset:224
	ds_read_b128 v[42:45], v3 offset:240
	;; [unrolled: 1-line block ×6, first 2 shown]
	v_cmp_lt_u32_e32 vcc, 2, v40
	s_waitcnt vmcnt(26) lgkmcnt(5)
	v_mul_f64 v[86:87], v[26:27], v[4:5]
	v_mul_f64 v[4:5], v[28:29], v[4:5]
	s_waitcnt vmcnt(24) lgkmcnt(4)
	v_mul_f64 v[88:89], v[42:43], v[30:31]
	v_mul_f64 v[30:31], v[44:45], v[30:31]
	;; [unrolled: 3-line block ×4, first 2 shown]
	s_waitcnt vmcnt(18)
	v_mul_f64 v[92:93], v[50:51], v[66:67]
	v_mul_f64 v[66:67], v[52:53], v[66:67]
	s_waitcnt vmcnt(16) lgkmcnt(0)
	v_mul_f64 v[96:97], v[58:59], v[68:69]
	v_mul_f64 v[68:69], v[60:61], v[68:69]
	s_waitcnt vmcnt(14)
	v_fmac_f64_e32 v[94:95], v[56:57], v[70:71]
	s_waitcnt vmcnt(12)
	v_fma_f64 v[4:5], v[26:27], v[72:73], -v[4:5]
	v_fmac_f64_e32 v[86:87], v[28:29], v[72:73]
	s_waitcnt vmcnt(10)
	v_fma_f64 v[26:27], v[42:43], v[74:75], -v[30:31]
	v_add_f64 v[4:5], v[4:5], 0
	v_fmac_f64_e32 v[88:89], v[44:45], v[74:75]
	s_waitcnt vmcnt(8)
	v_fma_f64 v[28:29], v[46:47], v[76:77], -v[62:63]
	v_add_f64 v[46:47], v[86:87], 0
	v_add_f64 v[4:5], v[4:5], v[26:27]
	v_fmac_f64_e32 v[90:91], v[48:49], v[76:77]
	s_waitcnt vmcnt(6)
	v_fma_f64 v[30:31], v[50:51], v[78:79], -v[66:67]
	v_add_f64 v[46:47], v[46:47], v[88:89]
	v_add_f64 v[4:5], v[4:5], v[28:29]
	v_fmac_f64_e32 v[92:93], v[52:53], v[78:79]
	v_fma_f64 v[42:43], v[54:55], v[70:71], -v[64:65]
	v_add_f64 v[26:27], v[46:47], v[90:91]
	v_add_f64 v[4:5], v[4:5], v[30:31]
	s_waitcnt vmcnt(4)
	v_fma_f64 v[44:45], v[58:59], v[80:81], -v[68:69]
	v_add_f64 v[26:27], v[26:27], v[92:93]
	v_add_f64 v[4:5], v[4:5], v[42:43]
	v_fmac_f64_e32 v[96:97], v[60:61], v[80:81]
	v_add_f64 v[26:27], v[26:27], v[94:95]
	v_add_f64 v[4:5], v[4:5], v[44:45]
	;; [unrolled: 1-line block ×3, first 2 shown]
	s_waitcnt vmcnt(2)
	v_add_f64 v[4:5], v[82:83], -v[4:5]
	s_waitcnt vmcnt(0)
	v_add_f64 v[26:27], v[84:85], -v[26:27]
	buffer_store_dword v5, off, s[0:3], 0 offset:52
	buffer_store_dword v4, off, s[0:3], 0 offset:48
	;; [unrolled: 1-line block ×4, first 2 shown]
	s_and_saveexec_b64 s[6:7], vcc
	s_cbranch_execz .LBB9_69
; %bb.68:
	buffer_load_dword v26, v38, s[0:3], 0 offen
	buffer_load_dword v27, v38, s[0:3], 0 offen offset:4
	buffer_load_dword v28, v38, s[0:3], 0 offen offset:8
	;; [unrolled: 1-line block ×3, first 2 shown]
	v_mov_b32_e32 v3, 0
	buffer_store_dword v3, off, s[0:3], 0 offset:32
	buffer_store_dword v3, off, s[0:3], 0 offset:36
	;; [unrolled: 1-line block ×4, first 2 shown]
	s_waitcnt vmcnt(4)
	ds_write_b128 v2, v[26:29]
.LBB9_69:
	s_or_b64 exec, exec, s[6:7]
	s_waitcnt lgkmcnt(0)
	; wave barrier
	s_waitcnt lgkmcnt(0)
	buffer_load_dword v4, off, s[0:3], 0 offset:56
	buffer_load_dword v5, off, s[0:3], 0 offset:60
	;; [unrolled: 1-line block ×32, first 2 shown]
	v_mov_b32_e32 v3, 0
	ds_read_b128 v[26:29], v3 offset:208
	ds_read_b128 v[42:45], v3 offset:224
	;; [unrolled: 1-line block ×7, first 2 shown]
	v_cmp_lt_u32_e32 vcc, 1, v40
	s_waitcnt vmcnt(30) lgkmcnt(6)
	v_mul_f64 v[94:95], v[26:27], v[4:5]
	v_mul_f64 v[4:5], v[28:29], v[4:5]
	s_waitcnt vmcnt(28) lgkmcnt(5)
	v_mul_f64 v[96:97], v[42:43], v[30:31]
	v_mul_f64 v[30:31], v[44:45], v[30:31]
	;; [unrolled: 3-line block ×4, first 2 shown]
	s_waitcnt vmcnt(21)
	v_mul_f64 v[100:101], v[50:51], v[72:73]
	v_mul_f64 v[72:73], v[52:53], v[72:73]
	s_waitcnt vmcnt(17) lgkmcnt(1)
	v_mul_f64 v[104:105], v[58:59], v[78:79]
	v_mul_f64 v[78:79], v[60:61], v[78:79]
	s_waitcnt vmcnt(16) lgkmcnt(0)
	v_mul_f64 v[106:107], v[62:63], v[74:75]
	v_mul_f64 v[74:75], v[64:65], v[74:75]
	s_waitcnt vmcnt(13)
	v_fma_f64 v[4:5], v[26:27], v[80:81], -v[4:5]
	v_fmac_f64_e32 v[94:95], v[28:29], v[80:81]
	s_waitcnt vmcnt(11)
	v_fma_f64 v[26:27], v[42:43], v[82:83], -v[30:31]
	v_add_f64 v[4:5], v[4:5], 0
	v_fmac_f64_e32 v[96:97], v[44:45], v[82:83]
	s_waitcnt vmcnt(9)
	v_fmac_f64_e32 v[98:99], v[48:49], v[84:85]
	v_fma_f64 v[28:29], v[46:47], v[84:85], -v[66:67]
	v_add_f64 v[48:49], v[94:95], 0
	v_add_f64 v[4:5], v[4:5], v[26:27]
	s_waitcnt vmcnt(7)
	v_fma_f64 v[30:31], v[50:51], v[86:87], -v[72:73]
	v_add_f64 v[48:49], v[48:49], v[96:97]
	v_add_f64 v[4:5], v[4:5], v[28:29]
	v_fmac_f64_e32 v[100:101], v[52:53], v[86:87]
	v_fma_f64 v[42:43], v[54:55], v[70:71], -v[68:69]
	v_add_f64 v[26:27], v[48:49], v[98:99]
	v_add_f64 v[4:5], v[4:5], v[30:31]
	v_fmac_f64_e32 v[102:103], v[56:57], v[70:71]
	s_waitcnt vmcnt(5)
	v_fma_f64 v[44:45], v[58:59], v[88:89], -v[78:79]
	v_add_f64 v[26:27], v[26:27], v[100:101]
	v_add_f64 v[4:5], v[4:5], v[42:43]
	v_fmac_f64_e32 v[104:105], v[60:61], v[88:89]
	s_waitcnt vmcnt(4)
	v_fma_f64 v[46:47], v[62:63], v[76:77], -v[74:75]
	v_add_f64 v[26:27], v[26:27], v[102:103]
	v_add_f64 v[4:5], v[4:5], v[44:45]
	v_fmac_f64_e32 v[106:107], v[64:65], v[76:77]
	v_add_f64 v[26:27], v[26:27], v[104:105]
	v_add_f64 v[4:5], v[4:5], v[46:47]
	;; [unrolled: 1-line block ×3, first 2 shown]
	s_waitcnt vmcnt(2)
	v_add_f64 v[4:5], v[90:91], -v[4:5]
	s_waitcnt vmcnt(0)
	v_add_f64 v[26:27], v[92:93], -v[26:27]
	buffer_store_dword v5, off, s[0:3], 0 offset:36
	buffer_store_dword v4, off, s[0:3], 0 offset:32
	;; [unrolled: 1-line block ×4, first 2 shown]
	s_and_saveexec_b64 s[6:7], vcc
	s_cbranch_execz .LBB9_71
; %bb.70:
	buffer_load_dword v26, v37, s[0:3], 0 offen
	buffer_load_dword v27, v37, s[0:3], 0 offen offset:4
	buffer_load_dword v28, v37, s[0:3], 0 offen offset:8
	;; [unrolled: 1-line block ×3, first 2 shown]
	s_nop 0
	buffer_store_dword v3, off, s[0:3], 0 offset:16
	buffer_store_dword v3, off, s[0:3], 0 offset:20
	;; [unrolled: 1-line block ×4, first 2 shown]
	s_waitcnt vmcnt(4)
	ds_write_b128 v2, v[26:29]
.LBB9_71:
	s_or_b64 exec, exec, s[6:7]
	s_waitcnt lgkmcnt(0)
	; wave barrier
	s_waitcnt lgkmcnt(0)
	buffer_load_dword v4, off, s[0:3], 0 offset:40
	buffer_load_dword v5, off, s[0:3], 0 offset:44
	;; [unrolled: 1-line block ×36, first 2 shown]
	ds_read_b128 v[26:29], v3 offset:192
	ds_read_b128 v[42:45], v3 offset:208
	;; [unrolled: 1-line block ×8, first 2 shown]
	v_cmp_ne_u32_e32 vcc, 0, v40
	s_waitcnt vmcnt(34) lgkmcnt(7)
	v_mul_f64 v[102:103], v[26:27], v[4:5]
	v_mul_f64 v[4:5], v[28:29], v[4:5]
	s_waitcnt vmcnt(32) lgkmcnt(6)
	v_mul_f64 v[104:105], v[42:43], v[30:31]
	v_mul_f64 v[30:31], v[44:45], v[30:31]
	;; [unrolled: 3-line block ×4, first 2 shown]
	s_waitcnt vmcnt(25)
	v_mul_f64 v[108:109], v[50:51], v[76:77]
	v_mul_f64 v[76:77], v[52:53], v[76:77]
	s_waitcnt vmcnt(23) lgkmcnt(1)
	v_mul_f64 v[114:115], v[62:63], v[78:79]
	v_mul_f64 v[78:79], v[64:65], v[78:79]
	s_waitcnt vmcnt(20)
	v_mul_f64 v[112:113], v[58:59], v[82:83]
	v_mul_f64 v[82:83], v[60:61], v[82:83]
	s_waitcnt vmcnt(18) lgkmcnt(0)
	v_mul_f64 v[116:117], v[66:67], v[84:85]
	s_waitcnt vmcnt(17)
	v_fmac_f64_e32 v[110:111], v[56:57], v[74:75]
	s_waitcnt vmcnt(16)
	v_fmac_f64_e32 v[114:115], v[64:65], v[80:81]
	s_waitcnt vmcnt(14)
	v_fma_f64 v[4:5], v[26:27], v[86:87], -v[4:5]
	v_fmac_f64_e32 v[102:103], v[28:29], v[86:87]
	s_waitcnt vmcnt(12)
	v_fma_f64 v[26:27], v[42:43], v[88:89], -v[30:31]
	v_add_f64 v[4:5], v[4:5], 0
	v_fmac_f64_e32 v[104:105], v[44:45], v[88:89]
	s_waitcnt vmcnt(10)
	v_fmac_f64_e32 v[106:107], v[48:49], v[90:91]
	v_fma_f64 v[28:29], v[46:47], v[90:91], -v[70:71]
	v_add_f64 v[48:49], v[102:103], 0
	v_add_f64 v[4:5], v[4:5], v[26:27]
	s_waitcnt vmcnt(8)
	v_fma_f64 v[30:31], v[50:51], v[92:93], -v[76:77]
	v_add_f64 v[48:49], v[48:49], v[104:105]
	v_add_f64 v[4:5], v[4:5], v[28:29]
	v_fmac_f64_e32 v[108:109], v[52:53], v[92:93]
	v_fma_f64 v[42:43], v[54:55], v[74:75], -v[72:73]
	v_add_f64 v[26:27], v[48:49], v[106:107]
	v_add_f64 v[4:5], v[4:5], v[30:31]
	s_waitcnt vmcnt(6)
	v_fma_f64 v[44:45], v[58:59], v[94:95], -v[82:83]
	v_add_f64 v[26:27], v[26:27], v[108:109]
	v_add_f64 v[4:5], v[4:5], v[42:43]
	v_fmac_f64_e32 v[112:113], v[60:61], v[94:95]
	v_fma_f64 v[46:47], v[62:63], v[80:81], -v[78:79]
	v_add_f64 v[26:27], v[26:27], v[110:111]
	v_add_f64 v[4:5], v[4:5], v[44:45]
	v_mul_f64 v[28:29], v[68:69], v[84:85]
	v_add_f64 v[26:27], v[26:27], v[112:113]
	v_add_f64 v[4:5], v[4:5], v[46:47]
	s_waitcnt vmcnt(4)
	v_fma_f64 v[28:29], v[66:67], v[96:97], -v[28:29]
	v_fmac_f64_e32 v[116:117], v[68:69], v[96:97]
	v_add_f64 v[26:27], v[26:27], v[114:115]
	v_add_f64 v[4:5], v[4:5], v[28:29]
	;; [unrolled: 1-line block ×3, first 2 shown]
	s_waitcnt vmcnt(2)
	v_add_f64 v[4:5], v[98:99], -v[4:5]
	s_waitcnt vmcnt(0)
	v_add_f64 v[26:27], v[100:101], -v[26:27]
	buffer_store_dword v5, off, s[0:3], 0 offset:20
	buffer_store_dword v4, off, s[0:3], 0 offset:16
	;; [unrolled: 1-line block ×4, first 2 shown]
	s_and_saveexec_b64 s[6:7], vcc
	s_cbranch_execz .LBB9_73
; %bb.72:
	buffer_load_dword v26, off, s[0:3], 0
	buffer_load_dword v27, off, s[0:3], 0 offset:4
	buffer_load_dword v28, off, s[0:3], 0 offset:8
	;; [unrolled: 1-line block ×3, first 2 shown]
	v_mov_b32_e32 v3, 0
	buffer_store_dword v3, off, s[0:3], 0
	buffer_store_dword v3, off, s[0:3], 0 offset:4
	buffer_store_dword v3, off, s[0:3], 0 offset:8
	;; [unrolled: 1-line block ×3, first 2 shown]
	s_waitcnt vmcnt(4)
	ds_write_b128 v2, v[26:29]
.LBB9_73:
	s_or_b64 exec, exec, s[6:7]
	s_waitcnt lgkmcnt(0)
	; wave barrier
	s_waitcnt lgkmcnt(0)
	buffer_load_dword v30, off, s[0:3], 0 offset:24
	buffer_load_dword v31, off, s[0:3], 0 offset:28
	;; [unrolled: 1-line block ×36, first 2 shown]
	buffer_load_dword v104, off, s[0:3], 0
	buffer_load_dword v105, off, s[0:3], 0 offset:4
	buffer_load_dword v106, off, s[0:3], 0 offset:8
	buffer_load_dword v107, off, s[0:3], 0 offset:12
	v_mov_b32_e32 v41, 0
	ds_read_b128 v[2:5], v41 offset:176
	ds_read_b128 v[26:29], v41 offset:192
	;; [unrolled: 1-line block ×9, first 2 shown]
	s_and_b64 vcc, exec, s[26:27]
	s_waitcnt vmcnt(38) lgkmcnt(8)
	v_mul_f64 v[108:109], v[2:3], v[30:31]
	v_mul_f64 v[30:31], v[4:5], v[30:31]
	s_waitcnt vmcnt(36) lgkmcnt(7)
	v_mul_f64 v[110:111], v[26:27], v[70:71]
	v_mul_f64 v[70:71], v[28:29], v[70:71]
	;; [unrolled: 3-line block ×3, first 2 shown]
	s_waitcnt vmcnt(32) lgkmcnt(4)
	v_mul_f64 v[116:117], v[50:51], v[74:75]
	s_waitcnt vmcnt(30)
	v_fmac_f64_e32 v[116:117], v[52:53], v[76:77]
	s_waitcnt vmcnt(28)
	v_mul_f64 v[114:115], v[46:47], v[78:79]
	v_mul_f64 v[78:79], v[48:49], v[78:79]
	s_waitcnt vmcnt(26) lgkmcnt(2)
	v_mul_f64 v[120:121], v[58:59], v[80:81]
	s_waitcnt vmcnt(24)
	v_fmac_f64_e32 v[120:121], v[60:61], v[82:83]
	s_waitcnt vmcnt(22)
	v_mul_f64 v[118:119], v[54:55], v[84:85]
	s_waitcnt vmcnt(18) lgkmcnt(1)
	v_mul_f64 v[122:123], v[62:63], v[90:91]
	s_waitcnt vmcnt(17) lgkmcnt(0)
	v_mul_f64 v[124:125], v[66:67], v[86:87]
	s_waitcnt vmcnt(15)
	v_fma_f64 v[2:3], v[2:3], v[92:93], -v[30:31]
	v_fmac_f64_e32 v[108:109], v[4:5], v[92:93]
	s_waitcnt vmcnt(13)
	v_fma_f64 v[4:5], v[26:27], v[94:95], -v[70:71]
	v_add_f64 v[2:3], v[2:3], 0
	s_waitcnt vmcnt(11)
	v_fma_f64 v[26:27], v[42:43], v[96:97], -v[72:73]
	v_add_f64 v[2:3], v[2:3], v[4:5]
	v_fmac_f64_e32 v[110:111], v[28:29], v[94:95]
	s_waitcnt vmcnt(9)
	v_fma_f64 v[28:29], v[46:47], v[98:99], -v[78:79]
	v_add_f64 v[2:3], v[2:3], v[26:27]
	v_mul_f64 v[26:27], v[52:53], v[74:75]
	v_add_f64 v[2:3], v[2:3], v[28:29]
	v_fma_f64 v[26:27], v[50:51], v[76:77], -v[26:27]
	v_add_f64 v[2:3], v[2:3], v[26:27]
	v_mul_f64 v[26:27], v[56:57], v[84:85]
	v_add_f64 v[30:31], v[108:109], 0
	s_waitcnt vmcnt(7)
	v_fma_f64 v[26:27], v[54:55], v[100:101], -v[26:27]
	v_fmac_f64_e32 v[112:113], v[44:45], v[96:97]
	v_add_f64 v[30:31], v[30:31], v[110:111]
	v_add_f64 v[2:3], v[2:3], v[26:27]
	v_mul_f64 v[26:27], v[60:61], v[80:81]
	v_fmac_f64_e32 v[114:115], v[48:49], v[98:99]
	v_add_f64 v[4:5], v[30:31], v[112:113]
	v_fma_f64 v[26:27], v[58:59], v[82:83], -v[26:27]
	v_add_f64 v[4:5], v[4:5], v[114:115]
	v_add_f64 v[2:3], v[2:3], v[26:27]
	v_mul_f64 v[26:27], v[64:65], v[90:91]
	v_fmac_f64_e32 v[118:119], v[56:57], v[100:101]
	v_add_f64 v[4:5], v[4:5], v[116:117]
	s_waitcnt vmcnt(5)
	v_fma_f64 v[26:27], v[62:63], v[102:103], -v[26:27]
	v_add_f64 v[4:5], v[4:5], v[118:119]
	v_add_f64 v[2:3], v[2:3], v[26:27]
	v_mul_f64 v[26:27], v[68:69], v[86:87]
	v_fmac_f64_e32 v[122:123], v[64:65], v[102:103]
	v_add_f64 v[4:5], v[4:5], v[120:121]
	s_waitcnt vmcnt(4)
	v_fma_f64 v[26:27], v[66:67], v[88:89], -v[26:27]
	v_fmac_f64_e32 v[124:125], v[68:69], v[88:89]
	v_add_f64 v[4:5], v[4:5], v[122:123]
	v_add_f64 v[2:3], v[2:3], v[26:27]
	;; [unrolled: 1-line block ×3, first 2 shown]
	s_waitcnt vmcnt(2)
	v_add_f64 v[2:3], v[104:105], -v[2:3]
	s_waitcnt vmcnt(0)
	v_add_f64 v[4:5], v[106:107], -v[4:5]
	buffer_store_dword v3, off, s[0:3], 0 offset:4
	buffer_store_dword v2, off, s[0:3], 0
	buffer_store_dword v5, off, s[0:3], 0 offset:12
	buffer_store_dword v4, off, s[0:3], 0 offset:8
	s_cbranch_vccz .LBB9_93
; %bb.74:
	v_pk_mov_b32 v[2:3], s[24:25], s[24:25] op_sel:[0,1]
	flat_load_dword v2, v[2:3] offset:32
	s_load_dwordx2 s[4:5], s[4:5], 0x4
	v_bfe_u32 v4, v0, 10, 10
	v_bfe_u32 v0, v0, 20, 10
	s_waitcnt lgkmcnt(0)
	s_lshr_b32 s4, s4, 16
	s_mul_i32 s4, s4, s5
	v_mul_u32_u24_e32 v3, s4, v40
	v_mul_u32_u24_e32 v4, s5, v4
	v_add3_u32 v0, v3, v4, v0
	v_mov_b32_e32 v3, 0x148
	v_lshl_add_u32 v0, v0, 4, v3
	s_waitcnt vmcnt(0)
	v_add_u32_e32 v2, -1, v2
	v_cmp_ne_u32_e32 vcc, 8, v2
	s_and_saveexec_b64 s[4:5], vcc
	s_cbranch_execz .LBB9_76
; %bb.75:
	v_mov_b32_e32 v3, 0
	v_lshl_add_u32 v26, v2, 4, v3
	buffer_load_dword v2, v34, s[0:3], 0 offen
	buffer_load_dword v3, v34, s[0:3], 0 offen offset:4
	buffer_load_dword v4, v34, s[0:3], 0 offen offset:8
	buffer_load_dword v5, v34, s[0:3], 0 offen offset:12
	buffer_load_dword v27, v26, s[0:3], 0 offen
	buffer_load_dword v28, v26, s[0:3], 0 offen offset:4
	buffer_load_dword v29, v26, s[0:3], 0 offen offset:8
	buffer_load_dword v30, v26, s[0:3], 0 offen offset:12
	s_waitcnt vmcnt(4)
	ds_write2_b64 v0, v[2:3], v[4:5] offset1:1
	s_waitcnt vmcnt(3)
	buffer_store_dword v27, v34, s[0:3], 0 offen
	s_waitcnt vmcnt(3)
	buffer_store_dword v28, v34, s[0:3], 0 offen offset:4
	s_waitcnt vmcnt(3)
	buffer_store_dword v29, v34, s[0:3], 0 offen offset:8
	s_waitcnt vmcnt(3)
	buffer_store_dword v30, v34, s[0:3], 0 offen offset:12
	buffer_store_dword v5, v26, s[0:3], 0 offen offset:12
	buffer_store_dword v4, v26, s[0:3], 0 offen offset:8
	buffer_store_dword v3, v26, s[0:3], 0 offen offset:4
	buffer_store_dword v2, v26, s[0:3], 0 offen
.LBB9_76:
	s_or_b64 exec, exec, s[4:5]
	v_pk_mov_b32 v[2:3], s[24:25], s[24:25] op_sel:[0,1]
	flat_load_dword v2, v[2:3] offset:28
	s_waitcnt vmcnt(0) lgkmcnt(0)
	v_add_u32_e32 v2, -1, v2
	v_cmp_ne_u32_e32 vcc, 7, v2
	s_and_saveexec_b64 s[4:5], vcc
	s_cbranch_execz .LBB9_78
; %bb.77:
	v_mov_b32_e32 v3, 0
	v_lshl_add_u32 v26, v2, 4, v3
	buffer_load_dword v2, v32, s[0:3], 0 offen
	buffer_load_dword v3, v32, s[0:3], 0 offen offset:4
	buffer_load_dword v4, v32, s[0:3], 0 offen offset:8
	buffer_load_dword v5, v32, s[0:3], 0 offen offset:12
	buffer_load_dword v27, v26, s[0:3], 0 offen
	buffer_load_dword v28, v26, s[0:3], 0 offen offset:4
	buffer_load_dword v29, v26, s[0:3], 0 offen offset:8
	buffer_load_dword v30, v26, s[0:3], 0 offen offset:12
	s_waitcnt vmcnt(4)
	ds_write2_b64 v0, v[2:3], v[4:5] offset1:1
	s_waitcnt vmcnt(3)
	buffer_store_dword v27, v32, s[0:3], 0 offen
	s_waitcnt vmcnt(3)
	buffer_store_dword v28, v32, s[0:3], 0 offen offset:4
	s_waitcnt vmcnt(3)
	buffer_store_dword v29, v32, s[0:3], 0 offen offset:8
	s_waitcnt vmcnt(3)
	buffer_store_dword v30, v32, s[0:3], 0 offen offset:12
	buffer_store_dword v5, v26, s[0:3], 0 offen offset:12
	buffer_store_dword v4, v26, s[0:3], 0 offen offset:8
	buffer_store_dword v3, v26, s[0:3], 0 offen offset:4
	buffer_store_dword v2, v26, s[0:3], 0 offen
.LBB9_78:
	s_or_b64 exec, exec, s[4:5]
	v_pk_mov_b32 v[2:3], s[24:25], s[24:25] op_sel:[0,1]
	flat_load_dword v2, v[2:3] offset:24
	s_waitcnt vmcnt(0) lgkmcnt(0)
	;; [unrolled: 34-line block ×7, first 2 shown]
	v_add_u32_e32 v2, -1, v2
	v_cmp_ne_u32_e32 vcc, 1, v2
	s_and_saveexec_b64 s[4:5], vcc
	s_cbranch_execz .LBB9_90
; %bb.89:
	v_mov_b32_e32 v3, 0
	v_lshl_add_u32 v26, v2, 4, v3
	buffer_load_dword v2, v37, s[0:3], 0 offen
	buffer_load_dword v3, v37, s[0:3], 0 offen offset:4
	buffer_load_dword v4, v37, s[0:3], 0 offen offset:8
	;; [unrolled: 1-line block ×3, first 2 shown]
	buffer_load_dword v27, v26, s[0:3], 0 offen
	buffer_load_dword v28, v26, s[0:3], 0 offen offset:4
	buffer_load_dword v29, v26, s[0:3], 0 offen offset:8
	;; [unrolled: 1-line block ×3, first 2 shown]
	s_waitcnt vmcnt(4)
	ds_write2_b64 v0, v[2:3], v[4:5] offset1:1
	s_waitcnt vmcnt(3)
	buffer_store_dword v27, v37, s[0:3], 0 offen
	s_waitcnt vmcnt(3)
	buffer_store_dword v28, v37, s[0:3], 0 offen offset:4
	s_waitcnt vmcnt(3)
	buffer_store_dword v29, v37, s[0:3], 0 offen offset:8
	;; [unrolled: 2-line block ×3, first 2 shown]
	buffer_store_dword v5, v26, s[0:3], 0 offen offset:12
	buffer_store_dword v4, v26, s[0:3], 0 offen offset:8
	;; [unrolled: 1-line block ×3, first 2 shown]
	buffer_store_dword v2, v26, s[0:3], 0 offen
.LBB9_90:
	s_or_b64 exec, exec, s[4:5]
	v_pk_mov_b32 v[2:3], s[24:25], s[24:25] op_sel:[0,1]
	flat_load_dword v2, v[2:3]
	s_waitcnt vmcnt(0) lgkmcnt(0)
	v_add_u32_e32 v2, -1, v2
	v_cmp_ne_u32_e32 vcc, 0, v2
	s_and_saveexec_b64 s[4:5], vcc
	s_cbranch_execz .LBB9_92
; %bb.91:
	v_mov_b32_e32 v3, 0
	v_lshl_add_u32 v26, v2, 4, v3
	buffer_load_dword v2, off, s[0:3], 0
	buffer_load_dword v3, off, s[0:3], 0 offset:4
	buffer_load_dword v4, off, s[0:3], 0 offset:8
	;; [unrolled: 1-line block ×3, first 2 shown]
	buffer_load_dword v27, v26, s[0:3], 0 offen
	buffer_load_dword v28, v26, s[0:3], 0 offen offset:4
	buffer_load_dword v29, v26, s[0:3], 0 offen offset:8
	;; [unrolled: 1-line block ×3, first 2 shown]
	s_waitcnt vmcnt(4)
	ds_write2_b64 v0, v[2:3], v[4:5] offset1:1
	s_waitcnt vmcnt(3)
	buffer_store_dword v27, off, s[0:3], 0
	s_waitcnt vmcnt(3)
	buffer_store_dword v28, off, s[0:3], 0 offset:4
	s_waitcnt vmcnt(3)
	buffer_store_dword v29, off, s[0:3], 0 offset:8
	;; [unrolled: 2-line block ×3, first 2 shown]
	buffer_store_dword v5, v26, s[0:3], 0 offen offset:12
	buffer_store_dword v4, v26, s[0:3], 0 offen offset:8
	;; [unrolled: 1-line block ×3, first 2 shown]
	buffer_store_dword v2, v26, s[0:3], 0 offen
.LBB9_92:
	s_or_b64 exec, exec, s[4:5]
.LBB9_93:
	buffer_load_dword v2, off, s[0:3], 0
	buffer_load_dword v3, off, s[0:3], 0 offset:4
	buffer_load_dword v4, off, s[0:3], 0 offset:8
	;; [unrolled: 1-line block ×3, first 2 shown]
	buffer_load_dword v27, v37, s[0:3], 0 offen offset:4
	buffer_load_dword v28, v37, s[0:3], 0 offen offset:8
	;; [unrolled: 1-line block ×3, first 2 shown]
	buffer_load_dword v40, v38, s[0:3], 0 offen
	buffer_load_dword v41, v38, s[0:3], 0 offen offset:4
	buffer_load_dword v42, v38, s[0:3], 0 offen offset:8
	buffer_load_dword v26, v37, s[0:3], 0 offen
	buffer_load_dword v43, v38, s[0:3], 0 offen offset:12
	buffer_load_dword v45, v39, s[0:3], 0 offen offset:4
	;; [unrolled: 1-line block ×4, first 2 shown]
	buffer_load_dword v48, v1, s[0:3], 0 offen
	buffer_load_dword v49, v1, s[0:3], 0 offen offset:4
	buffer_load_dword v50, v1, s[0:3], 0 offen offset:8
	buffer_load_dword v44, v39, s[0:3], 0 offen
                                        ; kill: killed $vgpr37
                                        ; kill: killed $vgpr39
                                        ; kill: killed $vgpr38
	buffer_load_dword v51, v1, s[0:3], 0 offen offset:12
	buffer_load_dword v53, v33, s[0:3], 0 offen offset:4
	buffer_load_dword v54, v33, s[0:3], 0 offen offset:8
	buffer_load_dword v55, v33, s[0:3], 0 offen offset:12
	buffer_load_dword v56, v35, s[0:3], 0 offen
	buffer_load_dword v57, v35, s[0:3], 0 offen offset:4
	buffer_load_dword v58, v35, s[0:3], 0 offen offset:8
	buffer_load_dword v52, v33, s[0:3], 0 offen
	buffer_load_dword v59, v35, s[0:3], 0 offen offset:12
	buffer_load_dword v61, v32, s[0:3], 0 offen offset:4
	;; [unrolled: 1-line block ×4, first 2 shown]
	buffer_load_dword v64, v34, s[0:3], 0 offen
	buffer_load_dword v65, v34, s[0:3], 0 offen offset:4
	buffer_load_dword v66, v34, s[0:3], 0 offen offset:8
                                        ; kill: killed $vgpr33
                                        ; kill: killed $vgpr1
                                        ; kill: killed $vgpr35
	buffer_load_dword v60, v32, s[0:3], 0 offen
	buffer_load_dword v67, v34, s[0:3], 0 offen offset:12
	buffer_load_dword v68, v36, s[0:3], 0 offen
	buffer_load_dword v69, v36, s[0:3], 0 offen offset:4
	buffer_load_dword v70, v36, s[0:3], 0 offen offset:8
	;; [unrolled: 1-line block ×3, first 2 shown]
	s_waitcnt vmcnt(36)
	global_store_dwordx4 v[6:7], v[2:5], off
	s_waitcnt vmcnt(30)
	global_store_dwordx4 v[8:9], v[26:29], off
	;; [unrolled: 2-line block ×10, first 2 shown]
	s_endpgm
	.section	.rodata,"a",@progbits
	.p2align	6, 0x0
	.amdhsa_kernel _ZN9rocsolver6v33100L18getri_kernel_smallILi10E19rocblas_complex_numIdEPS3_EEvT1_iilPiilS6_bb
		.amdhsa_group_segment_fixed_size 1352
		.amdhsa_private_segment_fixed_size 176
		.amdhsa_kernarg_size 60
		.amdhsa_user_sgpr_count 10
		.amdhsa_user_sgpr_private_segment_buffer 1
		.amdhsa_user_sgpr_dispatch_ptr 1
		.amdhsa_user_sgpr_queue_ptr 0
		.amdhsa_user_sgpr_kernarg_segment_ptr 1
		.amdhsa_user_sgpr_dispatch_id 0
		.amdhsa_user_sgpr_flat_scratch_init 1
		.amdhsa_user_sgpr_kernarg_preload_length 0
		.amdhsa_user_sgpr_kernarg_preload_offset 0
		.amdhsa_user_sgpr_private_segment_size 0
		.amdhsa_uses_dynamic_stack 0
		.amdhsa_system_sgpr_private_segment_wavefront_offset 1
		.amdhsa_system_sgpr_workgroup_id_x 1
		.amdhsa_system_sgpr_workgroup_id_y 0
		.amdhsa_system_sgpr_workgroup_id_z 0
		.amdhsa_system_sgpr_workgroup_info 0
		.amdhsa_system_vgpr_workitem_id 2
		.amdhsa_next_free_vgpr 126
		.amdhsa_next_free_sgpr 29
		.amdhsa_accum_offset 128
		.amdhsa_reserve_vcc 1
		.amdhsa_reserve_flat_scratch 1
		.amdhsa_float_round_mode_32 0
		.amdhsa_float_round_mode_16_64 0
		.amdhsa_float_denorm_mode_32 3
		.amdhsa_float_denorm_mode_16_64 3
		.amdhsa_dx10_clamp 1
		.amdhsa_ieee_mode 1
		.amdhsa_fp16_overflow 0
		.amdhsa_tg_split 0
		.amdhsa_exception_fp_ieee_invalid_op 0
		.amdhsa_exception_fp_denorm_src 0
		.amdhsa_exception_fp_ieee_div_zero 0
		.amdhsa_exception_fp_ieee_overflow 0
		.amdhsa_exception_fp_ieee_underflow 0
		.amdhsa_exception_fp_ieee_inexact 0
		.amdhsa_exception_int_div_zero 0
	.end_amdhsa_kernel
	.section	.text._ZN9rocsolver6v33100L18getri_kernel_smallILi10E19rocblas_complex_numIdEPS3_EEvT1_iilPiilS6_bb,"axG",@progbits,_ZN9rocsolver6v33100L18getri_kernel_smallILi10E19rocblas_complex_numIdEPS3_EEvT1_iilPiilS6_bb,comdat
.Lfunc_end9:
	.size	_ZN9rocsolver6v33100L18getri_kernel_smallILi10E19rocblas_complex_numIdEPS3_EEvT1_iilPiilS6_bb, .Lfunc_end9-_ZN9rocsolver6v33100L18getri_kernel_smallILi10E19rocblas_complex_numIdEPS3_EEvT1_iilPiilS6_bb
                                        ; -- End function
	.section	.AMDGPU.csdata,"",@progbits
; Kernel info:
; codeLenInByte = 12912
; NumSgprs: 35
; NumVgprs: 126
; NumAgprs: 0
; TotalNumVgprs: 126
; ScratchSize: 176
; MemoryBound: 0
; FloatMode: 240
; IeeeMode: 1
; LDSByteSize: 1352 bytes/workgroup (compile time only)
; SGPRBlocks: 4
; VGPRBlocks: 15
; NumSGPRsForWavesPerEU: 35
; NumVGPRsForWavesPerEU: 126
; AccumOffset: 128
; Occupancy: 4
; WaveLimiterHint : 1
; COMPUTE_PGM_RSRC2:SCRATCH_EN: 1
; COMPUTE_PGM_RSRC2:USER_SGPR: 10
; COMPUTE_PGM_RSRC2:TRAP_HANDLER: 0
; COMPUTE_PGM_RSRC2:TGID_X_EN: 1
; COMPUTE_PGM_RSRC2:TGID_Y_EN: 0
; COMPUTE_PGM_RSRC2:TGID_Z_EN: 0
; COMPUTE_PGM_RSRC2:TIDIG_COMP_CNT: 2
; COMPUTE_PGM_RSRC3_GFX90A:ACCUM_OFFSET: 31
; COMPUTE_PGM_RSRC3_GFX90A:TG_SPLIT: 0
	.section	.text._ZN9rocsolver6v33100L18getri_kernel_smallILi11E19rocblas_complex_numIdEPS3_EEvT1_iilPiilS6_bb,"axG",@progbits,_ZN9rocsolver6v33100L18getri_kernel_smallILi11E19rocblas_complex_numIdEPS3_EEvT1_iilPiilS6_bb,comdat
	.globl	_ZN9rocsolver6v33100L18getri_kernel_smallILi11E19rocblas_complex_numIdEPS3_EEvT1_iilPiilS6_bb ; -- Begin function _ZN9rocsolver6v33100L18getri_kernel_smallILi11E19rocblas_complex_numIdEPS3_EEvT1_iilPiilS6_bb
	.p2align	8
	.type	_ZN9rocsolver6v33100L18getri_kernel_smallILi11E19rocblas_complex_numIdEPS3_EEvT1_iilPiilS6_bb,@function
_ZN9rocsolver6v33100L18getri_kernel_smallILi11E19rocblas_complex_numIdEPS3_EEvT1_iilPiilS6_bb: ; @_ZN9rocsolver6v33100L18getri_kernel_smallILi11E19rocblas_complex_numIdEPS3_EEvT1_iilPiilS6_bb
; %bb.0:
	s_add_u32 flat_scratch_lo, s8, s11
	s_addc_u32 flat_scratch_hi, s9, 0
	s_add_u32 s0, s0, s11
	v_and_b32_e32 v75, 0x3ff, v0
	s_addc_u32 s1, s1, 0
	v_cmp_gt_u32_e32 vcc, 11, v75
	s_and_saveexec_b64 s[8:9], vcc
	s_cbranch_execz .LBB10_58
; %bb.1:
	s_load_dword s8, s[6:7], 0x38
	s_load_dwordx4 s[20:23], s[6:7], 0x10
	s_load_dwordx4 s[12:15], s[6:7], 0x28
                                        ; implicit-def: $sgpr24_sgpr25
	s_waitcnt lgkmcnt(0)
	s_bitcmp1_b32 s8, 8
	s_cselect_b64 s[26:27], -1, 0
	s_ashr_i32 s11, s10, 31
	s_bfe_u32 s9, s8, 0x10008
	s_cmp_eq_u32 s9, 0
	s_cbranch_scc1 .LBB10_3
; %bb.2:
	s_load_dword s16, s[6:7], 0x20
	s_mul_i32 s9, s10, s13
	s_mul_hi_u32 s13, s10, s12
	s_mul_i32 s18, s11, s12
	s_add_i32 s9, s13, s9
	s_add_i32 s13, s9, s18
	s_mul_i32 s12, s10, s12
	s_waitcnt lgkmcnt(0)
	s_ashr_i32 s17, s16, 31
	s_lshl_b64 s[12:13], s[12:13], 2
	s_add_u32 s9, s22, s12
	s_addc_u32 s18, s23, s13
	s_lshl_b64 s[12:13], s[16:17], 2
	s_add_u32 s24, s9, s12
	s_addc_u32 s25, s18, s13
.LBB10_3:
	s_load_dwordx4 s[16:19], s[6:7], 0x0
	s_mul_i32 s6, s10, s21
	s_mul_hi_u32 s7, s10, s20
	s_add_i32 s9, s7, s6
	s_mul_i32 s12, s11, s20
	s_add_i32 s13, s9, s12
	s_mul_i32 s12, s10, s20
	s_waitcnt lgkmcnt(0)
	s_ashr_i32 s7, s18, 31
	s_lshl_b64 s[12:13], s[12:13], 4
	s_mov_b32 s6, s18
	s_add_u32 s9, s16, s12
	s_addc_u32 s12, s17, s13
	s_lshl_b64 s[6:7], s[6:7], 4
	s_add_u32 s6, s9, s6
	s_addc_u32 s7, s12, s7
	v_lshlrev_b32_e32 v12, 4, v75
	v_mov_b32_e32 v1, s7
	v_add_co_u32_e32 v22, vcc, s6, v12
	s_ashr_i32 s13, s19, 31
	s_mov_b32 s12, s19
	s_add_i32 s9, s19, s19
	v_addc_co_u32_e32 v23, vcc, 0, v1, vcc
	s_lshl_b64 s[12:13], s[12:13], 4
	v_add_u32_e32 v6, s9, v75
	v_mov_b32_e32 v1, s13
	v_add_co_u32_e32 v24, vcc, s12, v22
	v_ashrrev_i32_e32 v7, 31, v6
	v_addc_co_u32_e32 v25, vcc, v23, v1, vcc
	v_add_u32_e32 v8, s19, v6
	v_lshlrev_b64 v[6:7], 4, v[6:7]
	v_mov_b32_e32 v1, s7
	v_ashrrev_i32_e32 v9, 31, v8
	v_add_co_u32_e32 v26, vcc, s6, v6
	v_add_u32_e32 v10, s19, v8
	v_addc_co_u32_e32 v27, vcc, v1, v7, vcc
	v_lshlrev_b64 v[18:19], 4, v[8:9]
	v_mov_b32_e32 v13, s7
	v_ashrrev_i32_e32 v11, 31, v10
	v_add_co_u32_e32 v28, vcc, s6, v18
	v_add_u32_e32 v20, s19, v10
	v_addc_co_u32_e32 v29, vcc, v13, v19, vcc
	;; [unrolled: 6-line block ×5, first 2 shown]
	v_lshlrev_b64 v[10:11], 4, v[36:37]
	v_mov_b32_e32 v39, s7
	v_add_co_u32_e32 v36, vcc, s6, v10
	v_ashrrev_i32_e32 v41, 31, v40
	v_addc_co_u32_e32 v37, vcc, v39, v11, vcc
	v_lshlrev_b64 v[10:11], 4, v[40:41]
	v_add_co_u32_e32 v38, vcc, s6, v10
	v_add_u32_e32 v10, s19, v40
	v_addc_co_u32_e32 v39, vcc, v1, v11, vcc
	v_ashrrev_i32_e32 v11, 31, v10
	v_lshlrev_b64 v[40:41], 4, v[10:11]
	v_add_u32_e32 v10, s19, v10
	v_add_co_u32_e32 v40, vcc, s6, v40
	v_ashrrev_i32_e32 v11, 31, v10
	v_addc_co_u32_e32 v41, vcc, v1, v41, vcc
	v_lshlrev_b64 v[10:11], 4, v[10:11]
	global_load_dwordx4 v[2:5], v12, s[6:7]
	global_load_dwordx4 v[6:9], v[24:25], off
	global_load_dwordx4 v[14:17], v[26:27], off
	v_add_co_u32_e32 v42, vcc, s6, v10
	v_addc_co_u32_e32 v43, vcc, v1, v11, vcc
	global_load_dwordx4 v[18:21], v[28:29], off
	global_load_dwordx4 v[44:47], v[30:31], off
	;; [unrolled: 1-line block ×8, first 2 shown]
	s_waitcnt vmcnt(10)
	buffer_store_dword v5, off, s[0:3], 0 offset:12
	buffer_store_dword v4, off, s[0:3], 0 offset:8
	;; [unrolled: 1-line block ×3, first 2 shown]
	buffer_store_dword v2, off, s[0:3], 0
	s_waitcnt vmcnt(13)
	buffer_store_dword v9, off, s[0:3], 0 offset:28
	buffer_store_dword v8, off, s[0:3], 0 offset:24
	;; [unrolled: 1-line block ×4, first 2 shown]
	s_waitcnt vmcnt(16)
	buffer_store_dword v17, off, s[0:3], 0 offset:44
	buffer_store_dword v16, off, s[0:3], 0 offset:40
	;; [unrolled: 1-line block ×4, first 2 shown]
	v_mov_b32_e32 v2, 0
	v_add_u32_e32 v73, 16, v2
	v_add_u32_e32 v72, 32, v2
	;; [unrolled: 1-line block ×10, first 2 shown]
	s_bitcmp0_b32 s8, 0
	s_mov_b64 s[8:9], -1
	s_waitcnt vmcnt(19)
	buffer_store_dword v21, off, s[0:3], 0 offset:60
	buffer_store_dword v20, off, s[0:3], 0 offset:56
	buffer_store_dword v19, off, s[0:3], 0 offset:52
	buffer_store_dword v18, off, s[0:3], 0 offset:48
	s_waitcnt vmcnt(22)
	buffer_store_dword v47, off, s[0:3], 0 offset:76
	buffer_store_dword v46, off, s[0:3], 0 offset:72
	buffer_store_dword v45, off, s[0:3], 0 offset:68
	buffer_store_dword v44, off, s[0:3], 0 offset:64
	;; [unrolled: 5-line block ×8, first 2 shown]
	s_cbranch_scc1 .LBB10_56
; %bb.4:
	v_cmp_eq_u32_e64 s[6:7], 0, v75
	s_and_saveexec_b64 s[8:9], s[6:7]
	s_cbranch_execz .LBB10_6
; %bb.5:
	v_mov_b32_e32 v2, 0
	ds_write_b32 v2, v2 offset:352
.LBB10_6:
	s_or_b64 exec, exec, s[8:9]
	v_mov_b32_e32 v2, 0
	v_lshl_add_u32 v13, v75, 4, v2
	s_waitcnt lgkmcnt(0)
	; wave barrier
	s_waitcnt lgkmcnt(0)
	buffer_load_dword v2, v13, s[0:3], 0 offen
	buffer_load_dword v3, v13, s[0:3], 0 offen offset:4
	buffer_load_dword v4, v13, s[0:3], 0 offen offset:8
	;; [unrolled: 1-line block ×3, first 2 shown]
	s_waitcnt vmcnt(2)
	v_cmp_eq_f64_e32 vcc, 0, v[2:3]
	s_waitcnt vmcnt(0)
	v_cmp_eq_f64_e64 s[8:9], 0, v[4:5]
	s_and_b64 s[8:9], vcc, s[8:9]
	s_and_saveexec_b64 s[12:13], s[8:9]
	s_cbranch_execz .LBB10_10
; %bb.7:
	v_mov_b32_e32 v2, 0
	ds_read_b32 v4, v2 offset:352
	v_add_u32_e32 v3, 1, v75
	s_waitcnt lgkmcnt(0)
	v_readfirstlane_b32 s8, v4
	s_cmp_eq_u32 s8, 0
	s_cselect_b64 s[16:17], -1, 0
	v_cmp_gt_i32_e32 vcc, s8, v3
	s_or_b64 s[16:17], s[16:17], vcc
	s_and_b64 exec, exec, s[16:17]
	s_cbranch_execz .LBB10_10
; %bb.8:
	s_mov_b64 s[16:17], 0
	v_mov_b32_e32 v4, s8
.LBB10_9:                               ; =>This Inner Loop Header: Depth=1
	ds_cmpst_rtn_b32 v4, v2, v4, v3 offset:352
	s_waitcnt lgkmcnt(0)
	v_cmp_ne_u32_e32 vcc, 0, v4
	v_cmp_le_i32_e64 s[8:9], v4, v3
	s_and_b64 s[8:9], vcc, s[8:9]
	s_and_b64 s[8:9], exec, s[8:9]
	s_or_b64 s[16:17], s[8:9], s[16:17]
	s_andn2_b64 exec, exec, s[16:17]
	s_cbranch_execnz .LBB10_9
.LBB10_10:
	s_or_b64 exec, exec, s[12:13]
	v_mov_b32_e32 v3, 0
	s_waitcnt lgkmcnt(0)
	; wave barrier
	ds_read_b32 v2, v3 offset:352
	s_and_saveexec_b64 s[8:9], s[6:7]
	s_cbranch_execz .LBB10_12
; %bb.11:
	s_lshl_b64 s[12:13], s[10:11], 2
	s_add_u32 s12, s14, s12
	s_addc_u32 s13, s15, s13
	s_waitcnt lgkmcnt(0)
	global_store_dword v3, v2, s[12:13]
.LBB10_12:
	s_or_b64 exec, exec, s[8:9]
	s_waitcnt lgkmcnt(0)
	v_cmp_ne_u32_e32 vcc, 0, v2
	s_mov_b64 s[8:9], 0
	s_cbranch_vccnz .LBB10_56
; %bb.13:
	buffer_load_dword v7, v13, s[0:3], 0 offen offset:4
	buffer_load_dword v6, v13, s[0:3], 0 offen
	buffer_load_dword v9, v13, s[0:3], 0 offen offset:12
	buffer_load_dword v8, v13, s[0:3], 0 offen offset:8
                                        ; implicit-def: $vgpr10_vgpr11
	s_waitcnt vmcnt(3)
	v_xor_b32_e32 v3, 0x80000000, v7
	s_waitcnt vmcnt(2)
	v_cmp_gt_f64_e32 vcc, 0, v[6:7]
	s_waitcnt vmcnt(1)
	v_xor_b32_e32 v4, 0x80000000, v9
	v_cndmask_b32_e32 v3, v7, v3, vcc
	s_waitcnt vmcnt(0)
	v_cmp_gt_f64_e32 vcc, 0, v[8:9]
	v_mov_b32_e32 v2, v6
	v_cndmask_b32_e32 v5, v9, v4, vcc
	v_mov_b32_e32 v4, v8
	v_cmp_ngt_f64_e32 vcc, v[2:3], v[4:5]
                                        ; implicit-def: $vgpr4_vgpr5
	s_and_saveexec_b64 s[8:9], vcc
	s_xor_b64 s[8:9], exec, s[8:9]
	s_cbranch_execz .LBB10_15
; %bb.14:
	v_div_scale_f64 v[2:3], s[12:13], v[8:9], v[8:9], v[6:7]
	v_rcp_f64_e32 v[4:5], v[2:3]
	v_div_scale_f64 v[10:11], vcc, v[6:7], v[8:9], v[6:7]
	v_fma_f64 v[14:15], -v[2:3], v[4:5], 1.0
	v_fmac_f64_e32 v[4:5], v[4:5], v[14:15]
	v_fma_f64 v[14:15], -v[2:3], v[4:5], 1.0
	v_fmac_f64_e32 v[4:5], v[4:5], v[14:15]
	v_mul_f64 v[14:15], v[10:11], v[4:5]
	v_fma_f64 v[2:3], -v[2:3], v[14:15], v[10:11]
	v_div_fmas_f64 v[2:3], v[2:3], v[4:5], v[14:15]
	v_div_fixup_f64 v[2:3], v[2:3], v[8:9], v[6:7]
	v_fmac_f64_e32 v[8:9], v[6:7], v[2:3]
	v_div_scale_f64 v[4:5], s[12:13], v[8:9], v[8:9], 1.0
	v_rcp_f64_e32 v[6:7], v[4:5]
	v_fma_f64 v[10:11], -v[4:5], v[6:7], 1.0
	v_fmac_f64_e32 v[6:7], v[6:7], v[10:11]
	v_fma_f64 v[10:11], -v[4:5], v[6:7], 1.0
	v_fmac_f64_e32 v[6:7], v[6:7], v[10:11]
	v_div_scale_f64 v[10:11], vcc, 1.0, v[8:9], 1.0
	v_mul_f64 v[14:15], v[10:11], v[6:7]
	v_fma_f64 v[4:5], -v[4:5], v[14:15], v[10:11]
	s_nop 1
	v_div_fmas_f64 v[4:5], v[4:5], v[6:7], v[14:15]
	v_div_fixup_f64 v[4:5], v[4:5], v[8:9], 1.0
	v_mul_f64 v[10:11], v[2:3], v[4:5]
	v_xor_b32_e32 v5, 0x80000000, v5
	v_xor_b32_e32 v3, 0x80000000, v11
	v_mov_b32_e32 v2, v10
                                        ; implicit-def: $vgpr6_vgpr7
                                        ; implicit-def: $vgpr8_vgpr9
.LBB10_15:
	s_andn2_saveexec_b64 s[8:9], s[8:9]
	s_cbranch_execz .LBB10_17
; %bb.16:
	v_div_scale_f64 v[2:3], s[12:13], v[6:7], v[6:7], v[8:9]
	v_rcp_f64_e32 v[4:5], v[2:3]
	v_div_scale_f64 v[10:11], vcc, v[8:9], v[6:7], v[8:9]
	v_fma_f64 v[14:15], -v[2:3], v[4:5], 1.0
	v_fmac_f64_e32 v[4:5], v[4:5], v[14:15]
	v_fma_f64 v[14:15], -v[2:3], v[4:5], 1.0
	v_fmac_f64_e32 v[4:5], v[4:5], v[14:15]
	v_mul_f64 v[14:15], v[10:11], v[4:5]
	v_fma_f64 v[2:3], -v[2:3], v[14:15], v[10:11]
	v_div_fmas_f64 v[2:3], v[2:3], v[4:5], v[14:15]
	v_div_fixup_f64 v[4:5], v[2:3], v[6:7], v[8:9]
	v_fmac_f64_e32 v[6:7], v[8:9], v[4:5]
	v_div_scale_f64 v[2:3], s[12:13], v[6:7], v[6:7], 1.0
	v_rcp_f64_e32 v[8:9], v[2:3]
	v_fma_f64 v[10:11], -v[2:3], v[8:9], 1.0
	v_fmac_f64_e32 v[8:9], v[8:9], v[10:11]
	v_fma_f64 v[10:11], -v[2:3], v[8:9], 1.0
	v_fmac_f64_e32 v[8:9], v[8:9], v[10:11]
	v_div_scale_f64 v[10:11], vcc, 1.0, v[6:7], 1.0
	v_mul_f64 v[14:15], v[10:11], v[8:9]
	v_fma_f64 v[2:3], -v[2:3], v[14:15], v[10:11]
	s_nop 1
	v_div_fmas_f64 v[2:3], v[2:3], v[8:9], v[14:15]
	v_div_fixup_f64 v[10:11], v[2:3], v[6:7], 1.0
	v_xor_b32_e32 v3, 0x80000000, v11
	v_mov_b32_e32 v2, v10
	v_mul_f64 v[4:5], v[4:5], -v[10:11]
.LBB10_17:
	s_or_b64 exec, exec, s[8:9]
	buffer_store_dword v11, v13, s[0:3], 0 offen offset:4
	buffer_store_dword v10, v13, s[0:3], 0 offen
	buffer_store_dword v5, v13, s[0:3], 0 offen offset:12
	buffer_store_dword v4, v13, s[0:3], 0 offen offset:8
	buffer_load_dword v11, v73, s[0:3], 0 offen offset:12
	s_nop 0
	buffer_load_dword v10, v73, s[0:3], 0 offen offset:8
	buffer_load_dword v9, v73, s[0:3], 0 offen offset:4
	buffer_load_dword v8, v73, s[0:3], 0 offen
	v_xor_b32_e32 v5, 0x80000000, v5
	v_add_u32_e32 v6, 0xb0, v12
	ds_write_b128 v12, v[2:5]
	s_waitcnt vmcnt(0)
	ds_write_b128 v12, v[8:11] offset:176
	s_waitcnt lgkmcnt(0)
	; wave barrier
	s_waitcnt lgkmcnt(0)
	s_and_saveexec_b64 s[8:9], s[6:7]
	s_cbranch_execz .LBB10_19
; %bb.18:
	buffer_load_dword v14, v13, s[0:3], 0 offen offset:8
	buffer_load_dword v15, v13, s[0:3], 0 offen offset:12
	buffer_load_dword v16, v13, s[0:3], 0 offen
	buffer_load_dword v17, v13, s[0:3], 0 offen offset:4
	ds_read_b128 v[2:5], v6
	v_mov_b32_e32 v7, 0
	ds_read_b128 v[8:11], v7 offset:16
	s_waitcnt vmcnt(2) lgkmcnt(1)
	v_mul_f64 v[18:19], v[4:5], v[14:15]
	v_mul_f64 v[14:15], v[2:3], v[14:15]
	s_waitcnt vmcnt(0)
	v_fmac_f64_e32 v[14:15], v[4:5], v[16:17]
	v_fma_f64 v[2:3], v[2:3], v[16:17], -v[18:19]
	v_add_f64 v[4:5], v[14:15], 0
	v_add_f64 v[2:3], v[2:3], 0
	s_waitcnt lgkmcnt(0)
	v_mul_f64 v[14:15], v[4:5], v[10:11]
	v_mul_f64 v[10:11], v[2:3], v[10:11]
	v_fma_f64 v[2:3], v[2:3], v[8:9], -v[14:15]
	v_fmac_f64_e32 v[10:11], v[4:5], v[8:9]
	buffer_store_dword v2, off, s[0:3], 0 offset:16
	buffer_store_dword v3, off, s[0:3], 0 offset:20
	;; [unrolled: 1-line block ×4, first 2 shown]
.LBB10_19:
	s_or_b64 exec, exec, s[8:9]
	s_waitcnt lgkmcnt(0)
	; wave barrier
	buffer_load_dword v2, v72, s[0:3], 0 offen
	buffer_load_dword v3, v72, s[0:3], 0 offen offset:4
	buffer_load_dword v4, v72, s[0:3], 0 offen offset:8
	;; [unrolled: 1-line block ×3, first 2 shown]
	v_cmp_gt_u32_e32 vcc, 2, v75
	s_waitcnt vmcnt(0)
	ds_write_b128 v6, v[2:5]
	s_waitcnt lgkmcnt(0)
	; wave barrier
	s_waitcnt lgkmcnt(0)
	s_and_saveexec_b64 s[8:9], vcc
	s_cbranch_execz .LBB10_23
; %bb.20:
	buffer_load_dword v8, v13, s[0:3], 0 offen offset:8
	buffer_load_dword v9, v13, s[0:3], 0 offen offset:12
	buffer_load_dword v10, v13, s[0:3], 0 offen
	buffer_load_dword v11, v13, s[0:3], 0 offen offset:4
	ds_read_b128 v[2:5], v6
	s_waitcnt vmcnt(2) lgkmcnt(0)
	v_mul_f64 v[14:15], v[4:5], v[8:9]
	v_mul_f64 v[8:9], v[2:3], v[8:9]
	s_waitcnt vmcnt(0)
	v_fma_f64 v[2:3], v[2:3], v[10:11], -v[14:15]
	v_fmac_f64_e32 v[8:9], v[4:5], v[10:11]
	v_add_f64 v[4:5], v[2:3], 0
	v_add_f64 v[2:3], v[8:9], 0
	s_and_saveexec_b64 s[12:13], s[6:7]
	s_cbranch_execz .LBB10_22
; %bb.21:
	buffer_load_dword v14, off, s[0:3], 0 offset:24
	buffer_load_dword v15, off, s[0:3], 0 offset:28
	;; [unrolled: 1-line block ×4, first 2 shown]
	v_mov_b32_e32 v7, 0
	ds_read_b128 v[8:11], v7 offset:192
	s_waitcnt vmcnt(2) lgkmcnt(0)
	v_mul_f64 v[18:19], v[8:9], v[14:15]
	v_mul_f64 v[14:15], v[10:11], v[14:15]
	s_waitcnt vmcnt(0)
	v_fmac_f64_e32 v[18:19], v[10:11], v[16:17]
	v_fma_f64 v[8:9], v[8:9], v[16:17], -v[14:15]
	v_add_f64 v[2:3], v[2:3], v[18:19]
	v_add_f64 v[4:5], v[4:5], v[8:9]
.LBB10_22:
	s_or_b64 exec, exec, s[12:13]
	v_mov_b32_e32 v7, 0
	ds_read_b128 v[8:11], v7 offset:32
	s_waitcnt lgkmcnt(0)
	v_mul_f64 v[14:15], v[2:3], v[10:11]
	v_mul_f64 v[10:11], v[4:5], v[10:11]
	v_fma_f64 v[4:5], v[4:5], v[8:9], -v[14:15]
	v_fmac_f64_e32 v[10:11], v[2:3], v[8:9]
	buffer_store_dword v5, off, s[0:3], 0 offset:36
	buffer_store_dword v4, off, s[0:3], 0 offset:32
	;; [unrolled: 1-line block ×4, first 2 shown]
.LBB10_23:
	s_or_b64 exec, exec, s[8:9]
	s_waitcnt lgkmcnt(0)
	; wave barrier
	buffer_load_dword v2, v74, s[0:3], 0 offen
	buffer_load_dword v3, v74, s[0:3], 0 offen offset:4
	buffer_load_dword v4, v74, s[0:3], 0 offen offset:8
	;; [unrolled: 1-line block ×3, first 2 shown]
	v_cmp_gt_u32_e32 vcc, 3, v75
	v_add_u32_e32 v7, -1, v75
	s_waitcnt vmcnt(0)
	ds_write_b128 v6, v[2:5]
	s_waitcnt lgkmcnt(0)
	; wave barrier
	s_waitcnt lgkmcnt(0)
	s_and_saveexec_b64 s[6:7], vcc
	s_cbranch_execz .LBB10_27
; %bb.24:
	v_pk_mov_b32 v[2:3], 0, 0
	v_add_u32_e32 v8, -1, v75
	v_add_u32_e32 v9, 0xb0, v12
	v_add_u32_e32 v10, 0, v12
	s_mov_b64 s[8:9], 0
	v_pk_mov_b32 v[4:5], v[2:3], v[2:3] op_sel:[0,1]
.LBB10_25:                              ; =>This Inner Loop Header: Depth=1
	buffer_load_dword v18, v10, s[0:3], 0 offen offset:8
	buffer_load_dword v19, v10, s[0:3], 0 offen offset:12
	buffer_load_dword v20, v10, s[0:3], 0 offen
	buffer_load_dword v21, v10, s[0:3], 0 offen offset:4
	ds_read_b128 v[14:17], v9
	v_add_u32_e32 v8, 1, v8
	v_cmp_lt_u32_e32 vcc, 1, v8
	v_add_u32_e32 v9, 16, v9
	v_add_u32_e32 v10, 16, v10
	s_or_b64 s[8:9], vcc, s[8:9]
	s_waitcnt vmcnt(2) lgkmcnt(0)
	v_mul_f64 v[44:45], v[16:17], v[18:19]
	v_mul_f64 v[18:19], v[14:15], v[18:19]
	s_waitcnt vmcnt(0)
	v_fma_f64 v[14:15], v[14:15], v[20:21], -v[44:45]
	v_fmac_f64_e32 v[18:19], v[16:17], v[20:21]
	v_add_f64 v[4:5], v[4:5], v[14:15]
	v_add_f64 v[2:3], v[2:3], v[18:19]
	s_andn2_b64 exec, exec, s[8:9]
	s_cbranch_execnz .LBB10_25
; %bb.26:
	s_or_b64 exec, exec, s[8:9]
	v_mov_b32_e32 v8, 0
	ds_read_b128 v[8:11], v8 offset:48
	s_waitcnt lgkmcnt(0)
	v_mul_f64 v[14:15], v[2:3], v[10:11]
	v_mul_f64 v[10:11], v[4:5], v[10:11]
	v_fma_f64 v[4:5], v[4:5], v[8:9], -v[14:15]
	v_fmac_f64_e32 v[10:11], v[2:3], v[8:9]
	buffer_store_dword v5, off, s[0:3], 0 offset:52
	buffer_store_dword v4, off, s[0:3], 0 offset:48
	buffer_store_dword v11, off, s[0:3], 0 offset:60
	buffer_store_dword v10, off, s[0:3], 0 offset:56
.LBB10_27:
	s_or_b64 exec, exec, s[6:7]
	s_waitcnt lgkmcnt(0)
	; wave barrier
	buffer_load_dword v2, v66, s[0:3], 0 offen
	buffer_load_dword v3, v66, s[0:3], 0 offen offset:4
	buffer_load_dword v4, v66, s[0:3], 0 offen offset:8
	buffer_load_dword v5, v66, s[0:3], 0 offen offset:12
	v_cmp_gt_u32_e32 vcc, 4, v75
	s_waitcnt vmcnt(0)
	ds_write_b128 v6, v[2:5]
	s_waitcnt lgkmcnt(0)
	; wave barrier
	s_waitcnt lgkmcnt(0)
	s_and_saveexec_b64 s[6:7], vcc
	s_cbranch_execz .LBB10_31
; %bb.28:
	v_pk_mov_b32 v[2:3], 0, 0
	v_add_u32_e32 v8, -1, v75
	v_add_u32_e32 v9, 0xb0, v12
	v_add_u32_e32 v10, 0, v12
	s_mov_b64 s[8:9], 0
	v_pk_mov_b32 v[4:5], v[2:3], v[2:3] op_sel:[0,1]
.LBB10_29:                              ; =>This Inner Loop Header: Depth=1
	buffer_load_dword v18, v10, s[0:3], 0 offen offset:8
	buffer_load_dword v19, v10, s[0:3], 0 offen offset:12
	buffer_load_dword v20, v10, s[0:3], 0 offen
	buffer_load_dword v21, v10, s[0:3], 0 offen offset:4
	ds_read_b128 v[14:17], v9
	v_add_u32_e32 v8, 1, v8
	v_cmp_lt_u32_e32 vcc, 2, v8
	v_add_u32_e32 v9, 16, v9
	v_add_u32_e32 v10, 16, v10
	s_or_b64 s[8:9], vcc, s[8:9]
	s_waitcnt vmcnt(2) lgkmcnt(0)
	v_mul_f64 v[44:45], v[16:17], v[18:19]
	v_mul_f64 v[18:19], v[14:15], v[18:19]
	s_waitcnt vmcnt(0)
	v_fma_f64 v[14:15], v[14:15], v[20:21], -v[44:45]
	v_fmac_f64_e32 v[18:19], v[16:17], v[20:21]
	v_add_f64 v[4:5], v[4:5], v[14:15]
	v_add_f64 v[2:3], v[2:3], v[18:19]
	s_andn2_b64 exec, exec, s[8:9]
	s_cbranch_execnz .LBB10_29
; %bb.30:
	s_or_b64 exec, exec, s[8:9]
	v_mov_b32_e32 v8, 0
	ds_read_b128 v[8:11], v8 offset:64
	s_waitcnt lgkmcnt(0)
	v_mul_f64 v[14:15], v[2:3], v[10:11]
	v_mul_f64 v[10:11], v[4:5], v[10:11]
	v_fma_f64 v[4:5], v[4:5], v[8:9], -v[14:15]
	v_fmac_f64_e32 v[10:11], v[2:3], v[8:9]
	buffer_store_dword v5, off, s[0:3], 0 offset:68
	buffer_store_dword v4, off, s[0:3], 0 offset:64
	buffer_store_dword v11, off, s[0:3], 0 offset:76
	buffer_store_dword v10, off, s[0:3], 0 offset:72
.LBB10_31:
	s_or_b64 exec, exec, s[6:7]
	s_waitcnt lgkmcnt(0)
	; wave barrier
	buffer_load_dword v2, v68, s[0:3], 0 offen
	buffer_load_dword v3, v68, s[0:3], 0 offen offset:4
	buffer_load_dword v4, v68, s[0:3], 0 offen offset:8
	buffer_load_dword v5, v68, s[0:3], 0 offen offset:12
	v_cmp_gt_u32_e32 vcc, 5, v75
	;; [unrolled: 57-line block ×6, first 2 shown]
	s_waitcnt vmcnt(0)
	ds_write_b128 v6, v[2:5]
	s_waitcnt lgkmcnt(0)
	; wave barrier
	s_waitcnt lgkmcnt(0)
	s_and_saveexec_b64 s[6:7], vcc
	s_cbranch_execz .LBB10_51
; %bb.48:
	v_pk_mov_b32 v[2:3], 0, 0
	v_add_u32_e32 v8, -1, v75
	v_add_u32_e32 v9, 0xb0, v12
	v_add_u32_e32 v10, 0, v12
	s_mov_b64 s[8:9], 0
	v_pk_mov_b32 v[4:5], v[2:3], v[2:3] op_sel:[0,1]
.LBB10_49:                              ; =>This Inner Loop Header: Depth=1
	buffer_load_dword v18, v10, s[0:3], 0 offen offset:8
	buffer_load_dword v19, v10, s[0:3], 0 offen offset:12
	buffer_load_dword v20, v10, s[0:3], 0 offen
	buffer_load_dword v21, v10, s[0:3], 0 offen offset:4
	ds_read_b128 v[14:17], v9
	v_add_u32_e32 v8, 1, v8
	v_cmp_lt_u32_e32 vcc, 7, v8
	v_add_u32_e32 v9, 16, v9
	v_add_u32_e32 v10, 16, v10
	s_or_b64 s[8:9], vcc, s[8:9]
	s_waitcnt vmcnt(2) lgkmcnt(0)
	v_mul_f64 v[44:45], v[16:17], v[18:19]
	v_mul_f64 v[18:19], v[14:15], v[18:19]
	s_waitcnt vmcnt(0)
	v_fma_f64 v[14:15], v[14:15], v[20:21], -v[44:45]
	v_fmac_f64_e32 v[18:19], v[16:17], v[20:21]
	v_add_f64 v[4:5], v[4:5], v[14:15]
	v_add_f64 v[2:3], v[2:3], v[18:19]
	s_andn2_b64 exec, exec, s[8:9]
	s_cbranch_execnz .LBB10_49
; %bb.50:
	s_or_b64 exec, exec, s[8:9]
	v_mov_b32_e32 v8, 0
	ds_read_b128 v[8:11], v8 offset:144
	s_waitcnt lgkmcnt(0)
	v_mul_f64 v[14:15], v[2:3], v[10:11]
	v_mul_f64 v[10:11], v[4:5], v[10:11]
	v_fma_f64 v[4:5], v[4:5], v[8:9], -v[14:15]
	v_fmac_f64_e32 v[10:11], v[2:3], v[8:9]
	buffer_store_dword v5, off, s[0:3], 0 offset:148
	buffer_store_dword v4, off, s[0:3], 0 offset:144
	;; [unrolled: 1-line block ×4, first 2 shown]
.LBB10_51:
	s_or_b64 exec, exec, s[6:7]
	s_waitcnt lgkmcnt(0)
	; wave barrier
	buffer_load_dword v2, v69, s[0:3], 0 offen
	buffer_load_dword v3, v69, s[0:3], 0 offen offset:4
	buffer_load_dword v4, v69, s[0:3], 0 offen offset:8
	buffer_load_dword v5, v69, s[0:3], 0 offen offset:12
	v_cmp_ne_u32_e32 vcc, 10, v75
	s_waitcnt vmcnt(0)
	ds_write_b128 v6, v[2:5]
	s_waitcnt lgkmcnt(0)
	; wave barrier
	s_waitcnt lgkmcnt(0)
	s_and_saveexec_b64 s[6:7], vcc
	s_cbranch_execz .LBB10_55
; %bb.52:
	v_pk_mov_b32 v[2:3], 0, 0
	v_add_u32_e32 v6, 0xb0, v12
	v_add_u32_e32 v8, 0, v12
	s_mov_b64 s[8:9], 0
	v_pk_mov_b32 v[4:5], v[2:3], v[2:3] op_sel:[0,1]
.LBB10_53:                              ; =>This Inner Loop Header: Depth=1
	buffer_load_dword v14, v8, s[0:3], 0 offen offset:8
	buffer_load_dword v15, v8, s[0:3], 0 offen offset:12
	buffer_load_dword v16, v8, s[0:3], 0 offen
	buffer_load_dword v17, v8, s[0:3], 0 offen offset:4
	ds_read_b128 v[10:13], v6
	v_add_u32_e32 v7, 1, v7
	v_cmp_lt_u32_e32 vcc, 8, v7
	v_add_u32_e32 v6, 16, v6
	v_add_u32_e32 v8, 16, v8
	s_or_b64 s[8:9], vcc, s[8:9]
	s_waitcnt vmcnt(2) lgkmcnt(0)
	v_mul_f64 v[18:19], v[12:13], v[14:15]
	v_mul_f64 v[14:15], v[10:11], v[14:15]
	s_waitcnt vmcnt(0)
	v_fma_f64 v[10:11], v[10:11], v[16:17], -v[18:19]
	v_fmac_f64_e32 v[14:15], v[12:13], v[16:17]
	v_add_f64 v[4:5], v[4:5], v[10:11]
	v_add_f64 v[2:3], v[2:3], v[14:15]
	s_andn2_b64 exec, exec, s[8:9]
	s_cbranch_execnz .LBB10_53
; %bb.54:
	s_or_b64 exec, exec, s[8:9]
	v_mov_b32_e32 v6, 0
	ds_read_b128 v[6:9], v6 offset:160
	s_waitcnt lgkmcnt(0)
	v_mul_f64 v[10:11], v[2:3], v[8:9]
	v_mul_f64 v[8:9], v[4:5], v[8:9]
	v_fma_f64 v[4:5], v[4:5], v[6:7], -v[10:11]
	v_fmac_f64_e32 v[8:9], v[2:3], v[6:7]
	buffer_store_dword v5, off, s[0:3], 0 offset:164
	buffer_store_dword v4, off, s[0:3], 0 offset:160
	;; [unrolled: 1-line block ×4, first 2 shown]
.LBB10_55:
	s_or_b64 exec, exec, s[6:7]
	s_mov_b64 s[8:9], -1
	s_waitcnt lgkmcnt(0)
	; wave barrier
.LBB10_56:
	s_and_b64 vcc, exec, s[8:9]
	s_cbranch_vccz .LBB10_58
; %bb.57:
	s_lshl_b64 s[6:7], s[10:11], 2
	s_add_u32 s6, s14, s6
	s_addc_u32 s7, s15, s7
	v_mov_b32_e32 v2, 0
	global_load_dword v2, v2, s[6:7]
	s_waitcnt vmcnt(0)
	v_cmp_ne_u32_e32 vcc, 0, v2
	s_cbranch_vccz .LBB10_59
.LBB10_58:
	s_endpgm
.LBB10_59:
	v_mov_b32_e32 v2, 0xb0
	v_lshl_add_u32 v76, v75, 4, v2
	v_cmp_eq_u32_e32 vcc, 10, v75
	s_and_saveexec_b64 s[6:7], vcc
	s_cbranch_execz .LBB10_61
; %bb.60:
	buffer_load_dword v2, v67, s[0:3], 0 offen
	buffer_load_dword v3, v67, s[0:3], 0 offen offset:4
	buffer_load_dword v4, v67, s[0:3], 0 offen offset:8
	;; [unrolled: 1-line block ×3, first 2 shown]
	v_mov_b32_e32 v6, 0
	buffer_store_dword v6, off, s[0:3], 0 offset:144
	buffer_store_dword v6, off, s[0:3], 0 offset:148
	;; [unrolled: 1-line block ×4, first 2 shown]
	s_waitcnt vmcnt(4)
	ds_write_b128 v76, v[2:5]
.LBB10_61:
	s_or_b64 exec, exec, s[6:7]
	s_waitcnt lgkmcnt(0)
	; wave barrier
	s_waitcnt lgkmcnt(0)
	buffer_load_dword v8, off, s[0:3], 0 offset:168
	buffer_load_dword v9, off, s[0:3], 0 offset:172
	;; [unrolled: 1-line block ×8, first 2 shown]
	v_mov_b32_e32 v2, 0
	ds_read_b128 v[4:7], v2 offset:336
	v_cmp_lt_u32_e32 vcc, 8, v75
	s_waitcnt vmcnt(6) lgkmcnt(0)
	v_mul_f64 v[16:17], v[4:5], v[8:9]
	v_mul_f64 v[8:9], v[6:7], v[8:9]
	s_waitcnt vmcnt(4)
	v_fma_f64 v[4:5], v[4:5], v[10:11], -v[8:9]
	v_fmac_f64_e32 v[16:17], v[6:7], v[10:11]
	v_add_f64 v[4:5], v[4:5], 0
	v_add_f64 v[6:7], v[16:17], 0
	s_waitcnt vmcnt(2)
	v_add_f64 v[4:5], v[12:13], -v[4:5]
	s_waitcnt vmcnt(0)
	v_add_f64 v[6:7], v[14:15], -v[6:7]
	buffer_store_dword v4, off, s[0:3], 0 offset:144
	buffer_store_dword v5, off, s[0:3], 0 offset:148
	;; [unrolled: 1-line block ×4, first 2 shown]
	s_and_saveexec_b64 s[6:7], vcc
	s_cbranch_execz .LBB10_63
; %bb.62:
	buffer_load_dword v4, v1, s[0:3], 0 offen
	buffer_load_dword v5, v1, s[0:3], 0 offen offset:4
	buffer_load_dword v6, v1, s[0:3], 0 offen offset:8
	;; [unrolled: 1-line block ×3, first 2 shown]
	s_nop 0
	buffer_store_dword v2, off, s[0:3], 0 offset:128
	buffer_store_dword v2, off, s[0:3], 0 offset:132
	;; [unrolled: 1-line block ×4, first 2 shown]
	s_waitcnt vmcnt(4)
	ds_write_b128 v76, v[4:7]
.LBB10_63:
	s_or_b64 exec, exec, s[6:7]
	s_waitcnt lgkmcnt(0)
	; wave barrier
	s_waitcnt lgkmcnt(0)
	buffer_load_dword v12, off, s[0:3], 0 offset:152
	buffer_load_dword v13, off, s[0:3], 0 offset:156
	buffer_load_dword v14, off, s[0:3], 0 offset:168
	buffer_load_dword v15, off, s[0:3], 0 offset:172
	buffer_load_dword v16, off, s[0:3], 0 offset:144
	buffer_load_dword v17, off, s[0:3], 0 offset:148
	buffer_load_dword v18, off, s[0:3], 0 offset:160
	buffer_load_dword v19, off, s[0:3], 0 offset:164
	buffer_load_dword v20, off, s[0:3], 0 offset:128
	buffer_load_dword v21, off, s[0:3], 0 offset:132
	buffer_load_dword v44, off, s[0:3], 0 offset:136
	buffer_load_dword v45, off, s[0:3], 0 offset:140
	ds_read_b128 v[4:7], v2 offset:320
	ds_read_b128 v[8:11], v2 offset:336
	v_cmp_lt_u32_e32 vcc, 7, v75
	s_waitcnt vmcnt(10) lgkmcnt(1)
	v_mul_f64 v[2:3], v[4:5], v[12:13]
	v_mul_f64 v[12:13], v[6:7], v[12:13]
	s_waitcnt vmcnt(8) lgkmcnt(0)
	v_mul_f64 v[46:47], v[8:9], v[14:15]
	v_mul_f64 v[14:15], v[10:11], v[14:15]
	s_waitcnt vmcnt(6)
	v_fma_f64 v[4:5], v[4:5], v[16:17], -v[12:13]
	v_fmac_f64_e32 v[2:3], v[6:7], v[16:17]
	s_waitcnt vmcnt(4)
	v_fma_f64 v[6:7], v[8:9], v[18:19], -v[14:15]
	v_add_f64 v[4:5], v[4:5], 0
	v_fmac_f64_e32 v[46:47], v[10:11], v[18:19]
	v_add_f64 v[2:3], v[2:3], 0
	v_add_f64 v[4:5], v[4:5], v[6:7]
	v_add_f64 v[2:3], v[2:3], v[46:47]
	s_waitcnt vmcnt(2)
	v_add_f64 v[4:5], v[20:21], -v[4:5]
	s_waitcnt vmcnt(0)
	v_add_f64 v[2:3], v[44:45], -v[2:3]
	buffer_store_dword v4, off, s[0:3], 0 offset:128
	buffer_store_dword v5, off, s[0:3], 0 offset:132
	;; [unrolled: 1-line block ×4, first 2 shown]
	s_and_saveexec_b64 s[6:7], vcc
	s_cbranch_execz .LBB10_65
; %bb.64:
	buffer_load_dword v2, v71, s[0:3], 0 offen
	buffer_load_dword v3, v71, s[0:3], 0 offen offset:4
	buffer_load_dword v4, v71, s[0:3], 0 offen offset:8
	;; [unrolled: 1-line block ×3, first 2 shown]
	v_mov_b32_e32 v6, 0
	buffer_store_dword v6, off, s[0:3], 0 offset:112
	buffer_store_dword v6, off, s[0:3], 0 offset:116
	;; [unrolled: 1-line block ×4, first 2 shown]
	s_waitcnt vmcnt(4)
	ds_write_b128 v76, v[2:5]
.LBB10_65:
	s_or_b64 exec, exec, s[6:7]
	s_waitcnt lgkmcnt(0)
	; wave barrier
	s_waitcnt lgkmcnt(0)
	buffer_load_dword v16, off, s[0:3], 0 offset:136
	buffer_load_dword v17, off, s[0:3], 0 offset:140
	;; [unrolled: 1-line block ×16, first 2 shown]
	v_mov_b32_e32 v2, 0
	ds_read_b128 v[4:7], v2 offset:304
	ds_read_b128 v[8:11], v2 offset:320
	;; [unrolled: 1-line block ×3, first 2 shown]
	v_cmp_lt_u32_e32 vcc, 6, v75
	s_waitcnt vmcnt(14) lgkmcnt(2)
	v_mul_f64 v[54:55], v[4:5], v[16:17]
	v_mul_f64 v[16:17], v[6:7], v[16:17]
	s_waitcnt vmcnt(12) lgkmcnt(1)
	v_mul_f64 v[56:57], v[8:9], v[18:19]
	v_mul_f64 v[18:19], v[10:11], v[18:19]
	;; [unrolled: 3-line block ×3, first 2 shown]
	s_waitcnt vmcnt(8)
	v_fma_f64 v[4:5], v[4:5], v[44:45], -v[16:17]
	v_fmac_f64_e32 v[54:55], v[6:7], v[44:45]
	s_waitcnt vmcnt(6)
	v_fma_f64 v[6:7], v[8:9], v[46:47], -v[18:19]
	v_add_f64 v[4:5], v[4:5], 0
	v_fmac_f64_e32 v[56:57], v[10:11], v[46:47]
	s_waitcnt vmcnt(4)
	v_fma_f64 v[8:9], v[12:13], v[48:49], -v[20:21]
	v_add_f64 v[10:11], v[54:55], 0
	v_add_f64 v[4:5], v[4:5], v[6:7]
	v_fmac_f64_e32 v[58:59], v[14:15], v[48:49]
	v_add_f64 v[10:11], v[10:11], v[56:57]
	v_add_f64 v[4:5], v[4:5], v[8:9]
	;; [unrolled: 1-line block ×3, first 2 shown]
	s_waitcnt vmcnt(2)
	v_add_f64 v[4:5], v[50:51], -v[4:5]
	s_waitcnt vmcnt(0)
	v_add_f64 v[6:7], v[52:53], -v[6:7]
	buffer_store_dword v4, off, s[0:3], 0 offset:112
	buffer_store_dword v5, off, s[0:3], 0 offset:116
	buffer_store_dword v6, off, s[0:3], 0 offset:120
	buffer_store_dword v7, off, s[0:3], 0 offset:124
	s_and_saveexec_b64 s[6:7], vcc
	s_cbranch_execz .LBB10_67
; %bb.66:
	buffer_load_dword v4, v70, s[0:3], 0 offen
	buffer_load_dword v5, v70, s[0:3], 0 offen offset:4
	buffer_load_dword v6, v70, s[0:3], 0 offen offset:8
	;; [unrolled: 1-line block ×3, first 2 shown]
	s_nop 0
	buffer_store_dword v2, off, s[0:3], 0 offset:96
	buffer_store_dword v2, off, s[0:3], 0 offset:100
	buffer_store_dword v2, off, s[0:3], 0 offset:104
	buffer_store_dword v2, off, s[0:3], 0 offset:108
	s_waitcnt vmcnt(4)
	ds_write_b128 v76, v[4:7]
.LBB10_67:
	s_or_b64 exec, exec, s[6:7]
	s_waitcnt lgkmcnt(0)
	; wave barrier
	s_waitcnt lgkmcnt(0)
	buffer_load_dword v20, off, s[0:3], 0 offset:120
	buffer_load_dword v21, off, s[0:3], 0 offset:124
	;; [unrolled: 1-line block ×20, first 2 shown]
	ds_read_b128 v[4:7], v2 offset:288
	ds_read_b128 v[8:11], v2 offset:304
	;; [unrolled: 1-line block ×4, first 2 shown]
	v_cmp_lt_u32_e32 vcc, 5, v75
	s_waitcnt vmcnt(18) lgkmcnt(3)
	v_mul_f64 v[2:3], v[4:5], v[20:21]
	v_mul_f64 v[20:21], v[6:7], v[20:21]
	s_waitcnt vmcnt(16) lgkmcnt(2)
	v_mul_f64 v[62:63], v[8:9], v[44:45]
	v_mul_f64 v[44:45], v[10:11], v[44:45]
	;; [unrolled: 3-line block ×4, first 2 shown]
	s_waitcnt vmcnt(10)
	v_fma_f64 v[4:5], v[4:5], v[50:51], -v[20:21]
	v_fmac_f64_e32 v[2:3], v[6:7], v[50:51]
	s_waitcnt vmcnt(8)
	v_fma_f64 v[6:7], v[8:9], v[52:53], -v[44:45]
	v_add_f64 v[4:5], v[4:5], 0
	v_fmac_f64_e32 v[62:63], v[10:11], v[52:53]
	s_waitcnt vmcnt(6)
	v_fma_f64 v[8:9], v[12:13], v[54:55], -v[46:47]
	v_add_f64 v[2:3], v[2:3], 0
	v_add_f64 v[4:5], v[4:5], v[6:7]
	v_fmac_f64_e32 v[64:65], v[14:15], v[54:55]
	s_waitcnt vmcnt(4)
	v_fma_f64 v[10:11], v[16:17], v[56:57], -v[48:49]
	v_add_f64 v[2:3], v[2:3], v[62:63]
	v_add_f64 v[4:5], v[4:5], v[8:9]
	v_fmac_f64_e32 v[78:79], v[18:19], v[56:57]
	v_add_f64 v[2:3], v[2:3], v[64:65]
	v_add_f64 v[4:5], v[4:5], v[10:11]
	;; [unrolled: 1-line block ×3, first 2 shown]
	s_waitcnt vmcnt(2)
	v_add_f64 v[4:5], v[58:59], -v[4:5]
	s_waitcnt vmcnt(0)
	v_add_f64 v[2:3], v[60:61], -v[2:3]
	buffer_store_dword v4, off, s[0:3], 0 offset:96
	buffer_store_dword v5, off, s[0:3], 0 offset:100
	buffer_store_dword v2, off, s[0:3], 0 offset:104
	buffer_store_dword v3, off, s[0:3], 0 offset:108
	s_and_saveexec_b64 s[6:7], vcc
	s_cbranch_execz .LBB10_69
; %bb.68:
	buffer_load_dword v2, v68, s[0:3], 0 offen
	buffer_load_dword v3, v68, s[0:3], 0 offen offset:4
	buffer_load_dword v4, v68, s[0:3], 0 offen offset:8
	buffer_load_dword v5, v68, s[0:3], 0 offen offset:12
	v_mov_b32_e32 v6, 0
	buffer_store_dword v6, off, s[0:3], 0 offset:80
	buffer_store_dword v6, off, s[0:3], 0 offset:84
	;; [unrolled: 1-line block ×4, first 2 shown]
	s_waitcnt vmcnt(4)
	ds_write_b128 v76, v[2:5]
.LBB10_69:
	s_or_b64 exec, exec, s[6:7]
	s_waitcnt lgkmcnt(0)
	; wave barrier
	s_waitcnt lgkmcnt(0)
	buffer_load_dword v20, off, s[0:3], 0 offset:104
	buffer_load_dword v21, off, s[0:3], 0 offset:108
	;; [unrolled: 1-line block ×24, first 2 shown]
	v_mov_b32_e32 v2, 0
	ds_read_b128 v[4:7], v2 offset:272
	ds_read_b128 v[8:11], v2 offset:288
	;; [unrolled: 1-line block ×5, first 2 shown]
	v_cmp_lt_u32_e32 vcc, 4, v75
	s_waitcnt vmcnt(22) lgkmcnt(4)
	v_mul_f64 v[82:83], v[4:5], v[20:21]
	v_mul_f64 v[20:21], v[6:7], v[20:21]
	s_waitcnt vmcnt(20) lgkmcnt(3)
	v_mul_f64 v[84:85], v[8:9], v[48:49]
	v_mul_f64 v[48:49], v[10:11], v[48:49]
	s_waitcnt vmcnt(18) lgkmcnt(2)
	v_mul_f64 v[86:87], v[12:13], v[50:51]
	v_mul_f64 v[50:51], v[14:15], v[50:51]
	s_waitcnt vmcnt(14) lgkmcnt(1)
	v_mul_f64 v[88:89], v[16:17], v[56:57]
	v_mul_f64 v[56:57], v[18:19], v[56:57]
	s_waitcnt vmcnt(13) lgkmcnt(0)
	v_mul_f64 v[90:91], v[44:45], v[52:53]
	s_waitcnt vmcnt(11)
	v_fma_f64 v[4:5], v[4:5], v[58:59], -v[20:21]
	v_fmac_f64_e32 v[82:83], v[6:7], v[58:59]
	s_waitcnt vmcnt(9)
	v_fma_f64 v[6:7], v[8:9], v[60:61], -v[48:49]
	v_add_f64 v[4:5], v[4:5], 0
	v_fmac_f64_e32 v[84:85], v[10:11], v[60:61]
	s_waitcnt vmcnt(7)
	v_fmac_f64_e32 v[86:87], v[14:15], v[62:63]
	v_fma_f64 v[8:9], v[12:13], v[62:63], -v[50:51]
	v_add_f64 v[14:15], v[82:83], 0
	v_add_f64 v[4:5], v[4:5], v[6:7]
	v_mul_f64 v[52:53], v[46:47], v[52:53]
	s_waitcnt vmcnt(5)
	v_fma_f64 v[10:11], v[16:17], v[64:65], -v[56:57]
	v_add_f64 v[14:15], v[14:15], v[84:85]
	v_add_f64 v[4:5], v[4:5], v[8:9]
	v_fmac_f64_e32 v[88:89], v[18:19], v[64:65]
	s_waitcnt vmcnt(4)
	v_fma_f64 v[12:13], v[44:45], v[54:55], -v[52:53]
	v_add_f64 v[6:7], v[14:15], v[86:87]
	v_add_f64 v[4:5], v[4:5], v[10:11]
	v_fmac_f64_e32 v[90:91], v[46:47], v[54:55]
	v_add_f64 v[6:7], v[6:7], v[88:89]
	v_add_f64 v[4:5], v[4:5], v[12:13]
	;; [unrolled: 1-line block ×3, first 2 shown]
	s_waitcnt vmcnt(2)
	v_add_f64 v[4:5], v[78:79], -v[4:5]
	s_waitcnt vmcnt(0)
	v_add_f64 v[6:7], v[80:81], -v[6:7]
	buffer_store_dword v5, off, s[0:3], 0 offset:84
	buffer_store_dword v4, off, s[0:3], 0 offset:80
	;; [unrolled: 1-line block ×4, first 2 shown]
	s_and_saveexec_b64 s[6:7], vcc
	s_cbranch_execz .LBB10_71
; %bb.70:
	buffer_load_dword v4, v66, s[0:3], 0 offen
	buffer_load_dword v5, v66, s[0:3], 0 offen offset:4
	buffer_load_dword v6, v66, s[0:3], 0 offen offset:8
	;; [unrolled: 1-line block ×3, first 2 shown]
	s_nop 0
	buffer_store_dword v2, off, s[0:3], 0 offset:64
	buffer_store_dword v2, off, s[0:3], 0 offset:68
	buffer_store_dword v2, off, s[0:3], 0 offset:72
	buffer_store_dword v2, off, s[0:3], 0 offset:76
	s_waitcnt vmcnt(4)
	ds_write_b128 v76, v[4:7]
.LBB10_71:
	s_or_b64 exec, exec, s[6:7]
	s_waitcnt lgkmcnt(0)
	; wave barrier
	s_waitcnt lgkmcnt(0)
	buffer_load_dword v20, off, s[0:3], 0 offset:88
	buffer_load_dword v21, off, s[0:3], 0 offset:92
	buffer_load_dword v52, off, s[0:3], 0 offset:104
	buffer_load_dword v53, off, s[0:3], 0 offset:108
	buffer_load_dword v54, off, s[0:3], 0 offset:120
	buffer_load_dword v55, off, s[0:3], 0 offset:124
	buffer_load_dword v57, off, s[0:3], 0 offset:156
	buffer_load_dword v56, off, s[0:3], 0 offset:152
	buffer_load_dword v59, off, s[0:3], 0 offset:140
	buffer_load_dword v58, off, s[0:3], 0 offset:136
	buffer_load_dword v61, off, s[0:3], 0 offset:172
	buffer_load_dword v60, off, s[0:3], 0 offset:168
	buffer_load_dword v62, off, s[0:3], 0 offset:144
	buffer_load_dword v63, off, s[0:3], 0 offset:148
	buffer_load_dword v64, off, s[0:3], 0 offset:80
	buffer_load_dword v65, off, s[0:3], 0 offset:84
	buffer_load_dword v78, off, s[0:3], 0 offset:96
	buffer_load_dword v79, off, s[0:3], 0 offset:100
	buffer_load_dword v80, off, s[0:3], 0 offset:112
	buffer_load_dword v81, off, s[0:3], 0 offset:116
	buffer_load_dword v83, off, s[0:3], 0 offset:132
	buffer_load_dword v82, off, s[0:3], 0 offset:128
	buffer_load_dword v85, off, s[0:3], 0 offset:164
	buffer_load_dword v84, off, s[0:3], 0 offset:160
	buffer_load_dword v86, off, s[0:3], 0 offset:64
	buffer_load_dword v87, off, s[0:3], 0 offset:68
	buffer_load_dword v88, off, s[0:3], 0 offset:72
	buffer_load_dword v89, off, s[0:3], 0 offset:76
	ds_read_b128 v[4:7], v2 offset:256
	ds_read_b128 v[8:11], v2 offset:272
	;; [unrolled: 1-line block ×6, first 2 shown]
	v_cmp_lt_u32_e32 vcc, 3, v75
	s_waitcnt vmcnt(26) lgkmcnt(5)
	v_mul_f64 v[2:3], v[4:5], v[20:21]
	v_mul_f64 v[20:21], v[6:7], v[20:21]
	s_waitcnt vmcnt(24) lgkmcnt(4)
	v_mul_f64 v[90:91], v[8:9], v[52:53]
	v_mul_f64 v[52:53], v[10:11], v[52:53]
	;; [unrolled: 3-line block ×4, first 2 shown]
	s_waitcnt vmcnt(18)
	v_mul_f64 v[94:95], v[16:17], v[58:59]
	v_mul_f64 v[58:59], v[18:19], v[58:59]
	s_waitcnt vmcnt(16) lgkmcnt(0)
	v_mul_f64 v[98:99], v[48:49], v[60:61]
	v_mul_f64 v[60:61], v[50:51], v[60:61]
	s_waitcnt vmcnt(14)
	v_fmac_f64_e32 v[96:97], v[46:47], v[62:63]
	s_waitcnt vmcnt(12)
	v_fma_f64 v[4:5], v[4:5], v[64:65], -v[20:21]
	v_fmac_f64_e32 v[2:3], v[6:7], v[64:65]
	s_waitcnt vmcnt(10)
	v_fma_f64 v[6:7], v[8:9], v[78:79], -v[52:53]
	v_add_f64 v[4:5], v[4:5], 0
	v_fmac_f64_e32 v[90:91], v[10:11], v[78:79]
	s_waitcnt vmcnt(8)
	v_fma_f64 v[8:9], v[12:13], v[80:81], -v[54:55]
	v_add_f64 v[2:3], v[2:3], 0
	v_add_f64 v[4:5], v[4:5], v[6:7]
	v_fmac_f64_e32 v[92:93], v[14:15], v[80:81]
	s_waitcnt vmcnt(6)
	v_fma_f64 v[10:11], v[16:17], v[82:83], -v[58:59]
	v_add_f64 v[2:3], v[2:3], v[90:91]
	v_add_f64 v[4:5], v[4:5], v[8:9]
	v_fmac_f64_e32 v[94:95], v[18:19], v[82:83]
	v_fma_f64 v[12:13], v[44:45], v[62:63], -v[56:57]
	v_add_f64 v[2:3], v[2:3], v[92:93]
	v_add_f64 v[4:5], v[4:5], v[10:11]
	s_waitcnt vmcnt(4)
	v_fma_f64 v[14:15], v[48:49], v[84:85], -v[60:61]
	v_add_f64 v[2:3], v[2:3], v[94:95]
	v_add_f64 v[4:5], v[4:5], v[12:13]
	v_fmac_f64_e32 v[98:99], v[50:51], v[84:85]
	v_add_f64 v[2:3], v[2:3], v[96:97]
	v_add_f64 v[4:5], v[4:5], v[14:15]
	;; [unrolled: 1-line block ×3, first 2 shown]
	s_waitcnt vmcnt(2)
	v_add_f64 v[4:5], v[86:87], -v[4:5]
	s_waitcnt vmcnt(0)
	v_add_f64 v[2:3], v[88:89], -v[2:3]
	buffer_store_dword v5, off, s[0:3], 0 offset:68
	buffer_store_dword v4, off, s[0:3], 0 offset:64
	;; [unrolled: 1-line block ×4, first 2 shown]
	s_and_saveexec_b64 s[6:7], vcc
	s_cbranch_execz .LBB10_73
; %bb.72:
	buffer_load_dword v2, v74, s[0:3], 0 offen
	buffer_load_dword v3, v74, s[0:3], 0 offen offset:4
	buffer_load_dword v4, v74, s[0:3], 0 offen offset:8
	;; [unrolled: 1-line block ×3, first 2 shown]
	v_mov_b32_e32 v6, 0
	buffer_store_dword v6, off, s[0:3], 0 offset:48
	buffer_store_dword v6, off, s[0:3], 0 offset:52
	buffer_store_dword v6, off, s[0:3], 0 offset:56
	buffer_store_dword v6, off, s[0:3], 0 offset:60
	s_waitcnt vmcnt(4)
	ds_write_b128 v76, v[2:5]
.LBB10_73:
	s_or_b64 exec, exec, s[6:7]
	s_waitcnt lgkmcnt(0)
	; wave barrier
	s_waitcnt lgkmcnt(0)
	buffer_load_dword v20, off, s[0:3], 0 offset:72
	buffer_load_dword v21, off, s[0:3], 0 offset:76
	;; [unrolled: 1-line block ×32, first 2 shown]
	v_mov_b32_e32 v2, 0
	ds_read_b128 v[4:7], v2 offset:240
	ds_read_b128 v[8:11], v2 offset:256
	;; [unrolled: 1-line block ×7, first 2 shown]
	v_cmp_lt_u32_e32 vcc, 2, v75
	s_waitcnt vmcnt(30) lgkmcnt(6)
	v_mul_f64 v[98:99], v[4:5], v[20:21]
	v_mul_f64 v[20:21], v[6:7], v[20:21]
	s_waitcnt vmcnt(28) lgkmcnt(5)
	v_mul_f64 v[100:101], v[8:9], v[56:57]
	v_mul_f64 v[56:57], v[10:11], v[56:57]
	s_waitcnt vmcnt(26) lgkmcnt(4)
	v_mul_f64 v[102:103], v[12:13], v[58:59]
	v_mul_f64 v[58:59], v[14:15], v[58:59]
	s_waitcnt vmcnt(24) lgkmcnt(2)
	v_mul_f64 v[106:107], v[44:45], v[60:61]
	v_mul_f64 v[60:61], v[46:47], v[60:61]
	s_waitcnt vmcnt(21)
	v_mul_f64 v[104:105], v[16:17], v[64:65]
	v_mul_f64 v[64:65], v[18:19], v[64:65]
	s_waitcnt vmcnt(17) lgkmcnt(1)
	v_mul_f64 v[108:109], v[48:49], v[82:83]
	v_mul_f64 v[82:83], v[50:51], v[82:83]
	s_waitcnt vmcnt(16) lgkmcnt(0)
	v_mul_f64 v[110:111], v[52:53], v[78:79]
	v_mul_f64 v[78:79], v[54:55], v[78:79]
	s_waitcnt vmcnt(13)
	v_fma_f64 v[4:5], v[4:5], v[84:85], -v[20:21]
	v_fmac_f64_e32 v[98:99], v[6:7], v[84:85]
	s_waitcnt vmcnt(11)
	v_fma_f64 v[6:7], v[8:9], v[86:87], -v[56:57]
	v_add_f64 v[4:5], v[4:5], 0
	v_fmac_f64_e32 v[100:101], v[10:11], v[86:87]
	s_waitcnt vmcnt(9)
	v_fma_f64 v[8:9], v[12:13], v[88:89], -v[58:59]
	s_waitcnt vmcnt(7)
	v_fmac_f64_e32 v[104:105], v[18:19], v[90:91]
	v_add_f64 v[18:19], v[98:99], 0
	v_add_f64 v[4:5], v[4:5], v[6:7]
	v_fmac_f64_e32 v[102:103], v[14:15], v[88:89]
	v_fma_f64 v[10:11], v[16:17], v[90:91], -v[64:65]
	v_add_f64 v[18:19], v[18:19], v[100:101]
	v_add_f64 v[4:5], v[4:5], v[8:9]
	v_fma_f64 v[12:13], v[44:45], v[62:63], -v[60:61]
	v_add_f64 v[6:7], v[18:19], v[102:103]
	v_add_f64 v[4:5], v[4:5], v[10:11]
	v_fmac_f64_e32 v[106:107], v[46:47], v[62:63]
	s_waitcnt vmcnt(5)
	v_fma_f64 v[14:15], v[48:49], v[92:93], -v[82:83]
	v_add_f64 v[6:7], v[6:7], v[104:105]
	v_add_f64 v[4:5], v[4:5], v[12:13]
	v_fmac_f64_e32 v[108:109], v[50:51], v[92:93]
	s_waitcnt vmcnt(4)
	v_fma_f64 v[16:17], v[52:53], v[80:81], -v[78:79]
	v_add_f64 v[6:7], v[6:7], v[106:107]
	v_add_f64 v[4:5], v[4:5], v[14:15]
	v_fmac_f64_e32 v[110:111], v[54:55], v[80:81]
	v_add_f64 v[6:7], v[6:7], v[108:109]
	v_add_f64 v[4:5], v[4:5], v[16:17]
	;; [unrolled: 1-line block ×3, first 2 shown]
	s_waitcnt vmcnt(2)
	v_add_f64 v[4:5], v[94:95], -v[4:5]
	s_waitcnt vmcnt(0)
	v_add_f64 v[6:7], v[96:97], -v[6:7]
	buffer_store_dword v5, off, s[0:3], 0 offset:52
	buffer_store_dword v4, off, s[0:3], 0 offset:48
	;; [unrolled: 1-line block ×4, first 2 shown]
	s_and_saveexec_b64 s[6:7], vcc
	s_cbranch_execz .LBB10_75
; %bb.74:
	buffer_load_dword v4, v72, s[0:3], 0 offen
	buffer_load_dword v5, v72, s[0:3], 0 offen offset:4
	buffer_load_dword v6, v72, s[0:3], 0 offen offset:8
	buffer_load_dword v7, v72, s[0:3], 0 offen offset:12
	s_nop 0
	buffer_store_dword v2, off, s[0:3], 0 offset:32
	buffer_store_dword v2, off, s[0:3], 0 offset:36
	;; [unrolled: 1-line block ×4, first 2 shown]
	s_waitcnt vmcnt(4)
	ds_write_b128 v76, v[4:7]
.LBB10_75:
	s_or_b64 exec, exec, s[6:7]
	s_waitcnt lgkmcnt(0)
	; wave barrier
	s_waitcnt lgkmcnt(0)
	buffer_load_dword v20, off, s[0:3], 0 offset:56
	buffer_load_dword v21, off, s[0:3], 0 offset:60
	;; [unrolled: 1-line block ×36, first 2 shown]
	ds_read_b128 v[4:7], v2 offset:224
	ds_read_b128 v[8:11], v2 offset:240
	;; [unrolled: 1-line block ×8, first 2 shown]
	v_cmp_lt_u32_e32 vcc, 1, v75
	s_waitcnt vmcnt(34) lgkmcnt(7)
	v_mul_f64 v[2:3], v[4:5], v[20:21]
	v_mul_f64 v[20:21], v[6:7], v[20:21]
	s_waitcnt vmcnt(32) lgkmcnt(6)
	v_mul_f64 v[106:107], v[8:9], v[60:61]
	v_mul_f64 v[60:61], v[10:11], v[60:61]
	s_waitcnt vmcnt(30) lgkmcnt(5)
	v_mul_f64 v[108:109], v[12:13], v[62:63]
	v_mul_f64 v[62:63], v[14:15], v[62:63]
	s_waitcnt vmcnt(28) lgkmcnt(3)
	v_mul_f64 v[112:113], v[44:45], v[64:65]
	v_mul_f64 v[64:65], v[46:47], v[64:65]
	s_waitcnt vmcnt(25)
	v_mul_f64 v[110:111], v[16:17], v[80:81]
	v_mul_f64 v[80:81], v[18:19], v[80:81]
	s_waitcnt vmcnt(23) lgkmcnt(1)
	v_mul_f64 v[116:117], v[52:53], v[82:83]
	v_mul_f64 v[82:83], v[54:55], v[82:83]
	s_waitcnt vmcnt(20)
	v_mul_f64 v[114:115], v[48:49], v[86:87]
	v_mul_f64 v[86:87], v[50:51], v[86:87]
	s_waitcnt vmcnt(18) lgkmcnt(0)
	v_mul_f64 v[118:119], v[56:57], v[88:89]
	s_waitcnt vmcnt(17)
	v_fmac_f64_e32 v[112:113], v[46:47], v[78:79]
	s_waitcnt vmcnt(16)
	v_fmac_f64_e32 v[116:117], v[54:55], v[84:85]
	s_waitcnt vmcnt(14)
	v_fma_f64 v[4:5], v[4:5], v[90:91], -v[20:21]
	v_fmac_f64_e32 v[2:3], v[6:7], v[90:91]
	s_waitcnt vmcnt(12)
	v_fma_f64 v[6:7], v[8:9], v[92:93], -v[60:61]
	v_add_f64 v[4:5], v[4:5], 0
	v_fmac_f64_e32 v[106:107], v[10:11], v[92:93]
	s_waitcnt vmcnt(10)
	v_fma_f64 v[8:9], v[12:13], v[94:95], -v[62:63]
	v_add_f64 v[2:3], v[2:3], 0
	v_add_f64 v[4:5], v[4:5], v[6:7]
	v_fmac_f64_e32 v[108:109], v[14:15], v[94:95]
	s_waitcnt vmcnt(8)
	v_fma_f64 v[10:11], v[16:17], v[96:97], -v[80:81]
	v_add_f64 v[2:3], v[2:3], v[106:107]
	v_add_f64 v[4:5], v[4:5], v[8:9]
	v_fmac_f64_e32 v[110:111], v[18:19], v[96:97]
	v_fma_f64 v[12:13], v[44:45], v[78:79], -v[64:65]
	v_add_f64 v[2:3], v[2:3], v[108:109]
	v_add_f64 v[4:5], v[4:5], v[10:11]
	s_waitcnt vmcnt(6)
	v_fma_f64 v[14:15], v[48:49], v[98:99], -v[86:87]
	v_add_f64 v[2:3], v[2:3], v[110:111]
	v_add_f64 v[4:5], v[4:5], v[12:13]
	v_fmac_f64_e32 v[114:115], v[50:51], v[98:99]
	v_fma_f64 v[16:17], v[52:53], v[84:85], -v[82:83]
	v_add_f64 v[2:3], v[2:3], v[112:113]
	v_add_f64 v[4:5], v[4:5], v[14:15]
	v_mul_f64 v[6:7], v[58:59], v[88:89]
	v_add_f64 v[2:3], v[2:3], v[114:115]
	v_add_f64 v[4:5], v[4:5], v[16:17]
	s_waitcnt vmcnt(4)
	v_fma_f64 v[6:7], v[56:57], v[100:101], -v[6:7]
	v_fmac_f64_e32 v[118:119], v[58:59], v[100:101]
	v_add_f64 v[2:3], v[2:3], v[116:117]
	v_add_f64 v[4:5], v[4:5], v[6:7]
	;; [unrolled: 1-line block ×3, first 2 shown]
	s_waitcnt vmcnt(2)
	v_add_f64 v[4:5], v[102:103], -v[4:5]
	s_waitcnt vmcnt(0)
	v_add_f64 v[2:3], v[104:105], -v[2:3]
	buffer_store_dword v5, off, s[0:3], 0 offset:36
	buffer_store_dword v4, off, s[0:3], 0 offset:32
	buffer_store_dword v3, off, s[0:3], 0 offset:44
	buffer_store_dword v2, off, s[0:3], 0 offset:40
	s_and_saveexec_b64 s[6:7], vcc
	s_cbranch_execz .LBB10_77
; %bb.76:
	buffer_load_dword v2, v73, s[0:3], 0 offen
	buffer_load_dword v3, v73, s[0:3], 0 offen offset:4
	buffer_load_dword v4, v73, s[0:3], 0 offen offset:8
	;; [unrolled: 1-line block ×3, first 2 shown]
	v_mov_b32_e32 v6, 0
	buffer_store_dword v6, off, s[0:3], 0 offset:16
	buffer_store_dword v6, off, s[0:3], 0 offset:20
	;; [unrolled: 1-line block ×4, first 2 shown]
	s_waitcnt vmcnt(4)
	ds_write_b128 v76, v[2:5]
.LBB10_77:
	s_or_b64 exec, exec, s[6:7]
	v_mov_b32_e32 v77, 0
	s_waitcnt lgkmcnt(0)
	; wave barrier
	s_waitcnt lgkmcnt(0)
	ds_read_b128 v[14:17], v77 offset:208
	ds_read_b128 v[10:13], v77 offset:224
	;; [unrolled: 1-line block ×4, first 2 shown]
	buffer_load_dword v46, off, s[0:3], 0 offset:16
	buffer_load_dword v47, off, s[0:3], 0 offset:20
	;; [unrolled: 1-line block ×20, first 2 shown]
	v_cmp_ne_u32_e32 vcc, 0, v75
	s_waitcnt vmcnt(12) lgkmcnt(3)
	v_mul_f64 v[18:19], v[14:15], v[58:59]
	v_fmac_f64_e32 v[18:19], v[16:17], v[48:49]
	v_add_f64 v[18:19], v[18:19], 0
	v_mul_f64 v[16:17], v[16:17], v[58:59]
	s_waitcnt vmcnt(8) lgkmcnt(2)
	v_mul_f64 v[20:21], v[10:11], v[60:61]
	v_fmac_f64_e32 v[20:21], v[12:13], v[54:55]
	v_add_f64 v[18:19], v[18:19], v[20:21]
	v_fma_f64 v[14:15], v[14:15], v[48:49], -v[16:17]
	s_waitcnt vmcnt(4) lgkmcnt(1)
	v_mul_f64 v[20:21], v[6:7], v[62:63]
	v_fmac_f64_e32 v[20:21], v[8:9], v[56:57]
	v_add_f64 v[18:19], v[18:19], v[20:21]
	s_waitcnt vmcnt(0) lgkmcnt(0)
	v_mul_f64 v[20:21], v[2:3], v[64:65]
	v_fmac_f64_e32 v[20:21], v[4:5], v[52:53]
	v_add_f64 v[78:79], v[18:19], v[20:21]
	ds_read_b128 v[18:21], v77 offset:272
	buffer_load_dword v51, off, s[0:3], 0 offset:100
	buffer_load_dword v50, off, s[0:3], 0 offset:96
	;; [unrolled: 1-line block ×4, first 2 shown]
	v_mul_f64 v[12:13], v[12:13], v[60:61]
	v_add_f64 v[14:15], v[14:15], 0
	v_fma_f64 v[10:11], v[10:11], v[54:55], -v[12:13]
	v_mul_f64 v[8:9], v[8:9], v[62:63]
	v_add_f64 v[10:11], v[14:15], v[10:11]
	v_fma_f64 v[6:7], v[6:7], v[56:57], -v[8:9]
	;; [unrolled: 3-line block ×3, first 2 shown]
	v_add_f64 v[2:3], v[6:7], v[2:3]
	s_waitcnt vmcnt(0) lgkmcnt(0)
	v_mul_f64 v[80:81], v[18:19], v[94:95]
	v_fmac_f64_e32 v[80:81], v[20:21], v[50:51]
	v_add_f64 v[82:83], v[78:79], v[80:81]
	ds_read_b128 v[78:81], v77 offset:288
	buffer_load_dword v97, off, s[0:3], 0 offset:116
	buffer_load_dword v96, off, s[0:3], 0 offset:112
	buffer_load_dword v99, off, s[0:3], 0 offset:124
	buffer_load_dword v98, off, s[0:3], 0 offset:120
	v_mul_f64 v[4:5], v[20:21], v[94:95]
	v_fma_f64 v[4:5], v[18:19], v[50:51], -v[4:5]
	v_add_f64 v[2:3], v[2:3], v[4:5]
	s_waitcnt vmcnt(0) lgkmcnt(0)
	v_mul_f64 v[84:85], v[78:79], v[98:99]
	v_fmac_f64_e32 v[84:85], v[80:81], v[96:97]
	v_add_f64 v[86:87], v[82:83], v[84:85]
	ds_read_b128 v[82:85], v77 offset:304
	buffer_load_dword v101, off, s[0:3], 0 offset:132
	buffer_load_dword v100, off, s[0:3], 0 offset:128
	buffer_load_dword v103, off, s[0:3], 0 offset:140
	buffer_load_dword v102, off, s[0:3], 0 offset:136
	v_mul_f64 v[4:5], v[80:81], v[98:99]
	v_fma_f64 v[4:5], v[78:79], v[96:97], -v[4:5]
	;; [unrolled: 12-line block ×4, first 2 shown]
	v_add_f64 v[2:3], v[2:3], v[4:5]
	s_waitcnt vmcnt(0) lgkmcnt(0)
	v_mul_f64 v[4:5], v[92:93], v[112:113]
	v_mul_f64 v[114:115], v[90:91], v[112:113]
	v_fma_f64 v[4:5], v[90:91], v[110:111], -v[4:5]
	v_fmac_f64_e32 v[114:115], v[92:93], v[110:111]
	v_add_f64 v[2:3], v[2:3], v[4:5]
	v_add_f64 v[108:109], v[108:109], v[114:115]
	v_add_f64 v[2:3], v[46:47], -v[2:3]
	v_add_f64 v[4:5], v[44:45], -v[108:109]
	buffer_store_dword v3, off, s[0:3], 0 offset:20
	buffer_store_dword v2, off, s[0:3], 0 offset:16
	;; [unrolled: 1-line block ×4, first 2 shown]
	s_and_saveexec_b64 s[6:7], vcc
	s_cbranch_execz .LBB10_79
; %bb.78:
	buffer_load_dword v2, off, s[0:3], 0
	buffer_load_dword v3, off, s[0:3], 0 offset:4
	buffer_load_dword v4, off, s[0:3], 0 offset:8
	;; [unrolled: 1-line block ×3, first 2 shown]
	s_nop 0
	buffer_store_dword v77, off, s[0:3], 0
	buffer_store_dword v77, off, s[0:3], 0 offset:4
	buffer_store_dword v77, off, s[0:3], 0 offset:8
	;; [unrolled: 1-line block ×3, first 2 shown]
	s_waitcnt vmcnt(4)
	ds_write_b128 v76, v[2:5]
.LBB10_79:
	s_or_b64 exec, exec, s[6:7]
	s_waitcnt lgkmcnt(0)
	; wave barrier
	s_waitcnt lgkmcnt(0)
	ds_read_b128 v[14:17], v77 offset:192
	ds_read_b128 v[10:13], v77 offset:208
	;; [unrolled: 1-line block ×4, first 2 shown]
	buffer_load_dword v46, off, s[0:3], 0
	buffer_load_dword v47, off, s[0:3], 0 offset:4
	buffer_load_dword v44, off, s[0:3], 0 offset:8
	;; [unrolled: 1-line block ×19, first 2 shown]
	s_and_b64 vcc, exec, s[26:27]
	s_waitcnt vmcnt(12) lgkmcnt(3)
	v_mul_f64 v[18:19], v[14:15], v[62:63]
	v_fmac_f64_e32 v[18:19], v[16:17], v[60:61]
	v_add_f64 v[18:19], v[18:19], 0
	v_mul_f64 v[16:17], v[16:17], v[62:63]
	s_waitcnt vmcnt(8) lgkmcnt(2)
	v_mul_f64 v[20:21], v[10:11], v[64:65]
	v_fmac_f64_e32 v[20:21], v[12:13], v[52:53]
	v_add_f64 v[18:19], v[18:19], v[20:21]
	v_fma_f64 v[14:15], v[14:15], v[60:61], -v[16:17]
	s_waitcnt vmcnt(4) lgkmcnt(1)
	v_mul_f64 v[20:21], v[6:7], v[50:51]
	v_fmac_f64_e32 v[20:21], v[8:9], v[48:49]
	v_add_f64 v[18:19], v[18:19], v[20:21]
	s_waitcnt vmcnt(0) lgkmcnt(0)
	v_mul_f64 v[20:21], v[2:3], v[56:57]
	v_fmac_f64_e32 v[20:21], v[4:5], v[54:55]
	v_add_f64 v[78:79], v[18:19], v[20:21]
	ds_read_b128 v[18:21], v77 offset:256
	buffer_load_dword v59, off, s[0:3], 0 offset:84
	buffer_load_dword v58, off, s[0:3], 0 offset:80
	;; [unrolled: 1-line block ×4, first 2 shown]
	v_mul_f64 v[12:13], v[12:13], v[64:65]
	v_add_f64 v[14:15], v[14:15], 0
	v_fma_f64 v[10:11], v[10:11], v[52:53], -v[12:13]
	v_mul_f64 v[8:9], v[8:9], v[50:51]
	v_add_f64 v[10:11], v[14:15], v[10:11]
	v_fma_f64 v[6:7], v[6:7], v[48:49], -v[8:9]
	;; [unrolled: 3-line block ×3, first 2 shown]
	v_add_f64 v[2:3], v[6:7], v[2:3]
	s_waitcnt vmcnt(0) lgkmcnt(0)
	v_mul_f64 v[80:81], v[18:19], v[98:99]
	v_fmac_f64_e32 v[80:81], v[20:21], v[58:59]
	v_add_f64 v[82:83], v[78:79], v[80:81]
	ds_read_b128 v[78:81], v77 offset:272
	buffer_load_dword v101, off, s[0:3], 0 offset:100
	buffer_load_dword v100, off, s[0:3], 0 offset:96
	buffer_load_dword v103, off, s[0:3], 0 offset:108
	buffer_load_dword v102, off, s[0:3], 0 offset:104
	v_mul_f64 v[4:5], v[20:21], v[98:99]
	v_fma_f64 v[4:5], v[18:19], v[58:59], -v[4:5]
	v_add_f64 v[2:3], v[2:3], v[4:5]
	s_waitcnt vmcnt(0) lgkmcnt(0)
	v_mul_f64 v[84:85], v[78:79], v[102:103]
	v_fmac_f64_e32 v[84:85], v[80:81], v[100:101]
	v_add_f64 v[86:87], v[82:83], v[84:85]
	ds_read_b128 v[82:85], v77 offset:288
	buffer_load_dword v105, off, s[0:3], 0 offset:116
	buffer_load_dword v104, off, s[0:3], 0 offset:112
	buffer_load_dword v107, off, s[0:3], 0 offset:124
	buffer_load_dword v106, off, s[0:3], 0 offset:120
	v_mul_f64 v[4:5], v[80:81], v[102:103]
	v_fma_f64 v[4:5], v[78:79], v[100:101], -v[4:5]
	;; [unrolled: 12-line block ×5, first 2 shown]
	v_add_f64 v[2:3], v[2:3], v[4:5]
	s_waitcnt vmcnt(0) lgkmcnt(0)
	v_mul_f64 v[4:5], v[96:97], v[118:119]
	v_mul_f64 v[120:121], v[94:95], v[118:119]
	v_fma_f64 v[4:5], v[94:95], v[76:77], -v[4:5]
	v_fmac_f64_e32 v[120:121], v[96:97], v[76:77]
	v_add_f64 v[2:3], v[2:3], v[4:5]
	v_add_f64 v[116:117], v[116:117], v[120:121]
	v_add_f64 v[2:3], v[46:47], -v[2:3]
	v_add_f64 v[4:5], v[44:45], -v[116:117]
	buffer_store_dword v3, off, s[0:3], 0 offset:4
	buffer_store_dword v2, off, s[0:3], 0
	buffer_store_dword v5, off, s[0:3], 0 offset:12
	buffer_store_dword v4, off, s[0:3], 0 offset:8
	s_cbranch_vccz .LBB10_101
; %bb.80:
	v_pk_mov_b32 v[2:3], s[24:25], s[24:25] op_sel:[0,1]
	flat_load_dword v2, v[2:3] offset:36
	s_load_dwordx2 s[4:5], s[4:5], 0x4
	v_bfe_u32 v4, v0, 10, 10
	v_bfe_u32 v0, v0, 20, 10
	s_waitcnt lgkmcnt(0)
	s_lshr_b32 s4, s4, 16
	s_mul_i32 s4, s4, s5
	v_mul_u32_u24_e32 v3, s4, v75
	v_mul_u32_u24_e32 v4, s5, v4
	v_add3_u32 v0, v3, v4, v0
	v_mov_b32_e32 v3, 0x168
	v_lshl_add_u32 v0, v0, 4, v3
	s_waitcnt vmcnt(0)
	v_add_u32_e32 v2, -1, v2
	v_cmp_ne_u32_e32 vcc, 9, v2
	s_and_saveexec_b64 s[4:5], vcc
	s_cbranch_execz .LBB10_82
; %bb.81:
	v_mov_b32_e32 v3, 0
	v_lshl_add_u32 v6, v2, 4, v3
	buffer_load_dword v2, v67, s[0:3], 0 offen
	buffer_load_dword v3, v67, s[0:3], 0 offen offset:4
	buffer_load_dword v4, v67, s[0:3], 0 offen offset:8
	buffer_load_dword v5, v67, s[0:3], 0 offen offset:12
	buffer_load_dword v7, v6, s[0:3], 0 offen
	buffer_load_dword v8, v6, s[0:3], 0 offen offset:4
	buffer_load_dword v9, v6, s[0:3], 0 offen offset:8
	buffer_load_dword v10, v6, s[0:3], 0 offen offset:12
	s_waitcnt vmcnt(4)
	ds_write2_b64 v0, v[2:3], v[4:5] offset1:1
	s_waitcnt vmcnt(3)
	buffer_store_dword v7, v67, s[0:3], 0 offen
	s_waitcnt vmcnt(3)
	buffer_store_dword v8, v67, s[0:3], 0 offen offset:4
	s_waitcnt vmcnt(3)
	buffer_store_dword v9, v67, s[0:3], 0 offen offset:8
	s_waitcnt vmcnt(3)
	buffer_store_dword v10, v67, s[0:3], 0 offen offset:12
	buffer_store_dword v5, v6, s[0:3], 0 offen offset:12
	buffer_store_dword v4, v6, s[0:3], 0 offen offset:8
	buffer_store_dword v3, v6, s[0:3], 0 offen offset:4
	buffer_store_dword v2, v6, s[0:3], 0 offen
.LBB10_82:
	s_or_b64 exec, exec, s[4:5]
	v_pk_mov_b32 v[2:3], s[24:25], s[24:25] op_sel:[0,1]
	flat_load_dword v2, v[2:3] offset:32
	s_waitcnt vmcnt(0) lgkmcnt(0)
	v_add_u32_e32 v2, -1, v2
	v_cmp_ne_u32_e32 vcc, 8, v2
	s_and_saveexec_b64 s[4:5], vcc
	s_cbranch_execz .LBB10_84
; %bb.83:
	v_mov_b32_e32 v3, 0
	v_lshl_add_u32 v6, v2, 4, v3
	buffer_load_dword v2, v1, s[0:3], 0 offen
	buffer_load_dword v3, v1, s[0:3], 0 offen offset:4
	buffer_load_dword v4, v1, s[0:3], 0 offen offset:8
	buffer_load_dword v5, v1, s[0:3], 0 offen offset:12
	buffer_load_dword v7, v6, s[0:3], 0 offen
	buffer_load_dword v8, v6, s[0:3], 0 offen offset:4
	buffer_load_dword v9, v6, s[0:3], 0 offen offset:8
	buffer_load_dword v10, v6, s[0:3], 0 offen offset:12
	s_waitcnt vmcnt(4)
	ds_write2_b64 v0, v[2:3], v[4:5] offset1:1
	s_waitcnt vmcnt(3)
	buffer_store_dword v7, v1, s[0:3], 0 offen
	s_waitcnt vmcnt(3)
	buffer_store_dword v8, v1, s[0:3], 0 offen offset:4
	s_waitcnt vmcnt(3)
	buffer_store_dword v9, v1, s[0:3], 0 offen offset:8
	s_waitcnt vmcnt(3)
	buffer_store_dword v10, v1, s[0:3], 0 offen offset:12
	buffer_store_dword v5, v6, s[0:3], 0 offen offset:12
	buffer_store_dword v4, v6, s[0:3], 0 offen offset:8
	buffer_store_dword v3, v6, s[0:3], 0 offen offset:4
	buffer_store_dword v2, v6, s[0:3], 0 offen
.LBB10_84:
	s_or_b64 exec, exec, s[4:5]
	v_pk_mov_b32 v[2:3], s[24:25], s[24:25] op_sel:[0,1]
	flat_load_dword v2, v[2:3] offset:28
	s_waitcnt vmcnt(0) lgkmcnt(0)
	;; [unrolled: 34-line block ×8, first 2 shown]
	v_add_u32_e32 v2, -1, v2
	v_cmp_ne_u32_e32 vcc, 1, v2
	s_and_saveexec_b64 s[4:5], vcc
	s_cbranch_execz .LBB10_98
; %bb.97:
	v_mov_b32_e32 v3, 0
	v_lshl_add_u32 v6, v2, 4, v3
	buffer_load_dword v2, v73, s[0:3], 0 offen
	buffer_load_dword v3, v73, s[0:3], 0 offen offset:4
	buffer_load_dword v4, v73, s[0:3], 0 offen offset:8
	;; [unrolled: 1-line block ×3, first 2 shown]
	buffer_load_dword v7, v6, s[0:3], 0 offen
	buffer_load_dword v8, v6, s[0:3], 0 offen offset:4
	buffer_load_dword v9, v6, s[0:3], 0 offen offset:8
	;; [unrolled: 1-line block ×3, first 2 shown]
	s_waitcnt vmcnt(4)
	ds_write2_b64 v0, v[2:3], v[4:5] offset1:1
	s_waitcnt vmcnt(3)
	buffer_store_dword v7, v73, s[0:3], 0 offen
	s_waitcnt vmcnt(3)
	buffer_store_dword v8, v73, s[0:3], 0 offen offset:4
	s_waitcnt vmcnt(3)
	buffer_store_dword v9, v73, s[0:3], 0 offen offset:8
	;; [unrolled: 2-line block ×3, first 2 shown]
	buffer_store_dword v5, v6, s[0:3], 0 offen offset:12
	buffer_store_dword v4, v6, s[0:3], 0 offen offset:8
	;; [unrolled: 1-line block ×3, first 2 shown]
	buffer_store_dword v2, v6, s[0:3], 0 offen
.LBB10_98:
	s_or_b64 exec, exec, s[4:5]
	v_pk_mov_b32 v[2:3], s[24:25], s[24:25] op_sel:[0,1]
	flat_load_dword v2, v[2:3]
	s_waitcnt vmcnt(0) lgkmcnt(0)
	v_add_u32_e32 v2, -1, v2
	v_cmp_ne_u32_e32 vcc, 0, v2
	s_and_saveexec_b64 s[4:5], vcc
	s_cbranch_execz .LBB10_100
; %bb.99:
	v_mov_b32_e32 v3, 0
	v_lshl_add_u32 v6, v2, 4, v3
	buffer_load_dword v2, off, s[0:3], 0
	buffer_load_dword v3, off, s[0:3], 0 offset:4
	buffer_load_dword v4, off, s[0:3], 0 offset:8
	;; [unrolled: 1-line block ×3, first 2 shown]
	buffer_load_dword v7, v6, s[0:3], 0 offen
	buffer_load_dword v8, v6, s[0:3], 0 offen offset:4
	buffer_load_dword v9, v6, s[0:3], 0 offen offset:8
	;; [unrolled: 1-line block ×3, first 2 shown]
	s_waitcnt vmcnt(4)
	ds_write2_b64 v0, v[2:3], v[4:5] offset1:1
	s_waitcnt vmcnt(3)
	buffer_store_dword v7, off, s[0:3], 0
	s_waitcnt vmcnt(3)
	buffer_store_dword v8, off, s[0:3], 0 offset:4
	s_waitcnt vmcnt(3)
	buffer_store_dword v9, off, s[0:3], 0 offset:8
	;; [unrolled: 2-line block ×3, first 2 shown]
	buffer_store_dword v5, v6, s[0:3], 0 offen offset:12
	buffer_store_dword v4, v6, s[0:3], 0 offen offset:8
	;; [unrolled: 1-line block ×3, first 2 shown]
	buffer_store_dword v2, v6, s[0:3], 0 offen
.LBB10_100:
	s_or_b64 exec, exec, s[4:5]
.LBB10_101:
	buffer_load_dword v2, off, s[0:3], 0
	buffer_load_dword v3, off, s[0:3], 0 offset:4
	buffer_load_dword v4, off, s[0:3], 0 offset:8
	;; [unrolled: 1-line block ×3, first 2 shown]
	buffer_load_dword v6, v73, s[0:3], 0 offen
	buffer_load_dword v7, v73, s[0:3], 0 offen offset:4
	buffer_load_dword v8, v73, s[0:3], 0 offen offset:8
	;; [unrolled: 1-line block ×6, first 2 shown]
	buffer_load_dword v14, v74, s[0:3], 0 offen
	buffer_load_dword v15, v74, s[0:3], 0 offen offset:4
	buffer_load_dword v16, v74, s[0:3], 0 offen offset:8
	buffer_load_dword v10, v72, s[0:3], 0 offen
	buffer_load_dword v17, v74, s[0:3], 0 offen offset:12
	buffer_load_dword v19, v66, s[0:3], 0 offen offset:4
	;; [unrolled: 1-line block ×4, first 2 shown]
                                        ; kill: killed $vgpr73
                                        ; kill: killed $vgpr74
                                        ; kill: killed $vgpr72
	buffer_load_dword v44, v68, s[0:3], 0 offen
	buffer_load_dword v45, v68, s[0:3], 0 offen offset:4
	buffer_load_dword v46, v68, s[0:3], 0 offen offset:8
	buffer_load_dword v18, v66, s[0:3], 0 offen
	buffer_load_dword v47, v68, s[0:3], 0 offen offset:12
	buffer_load_dword v49, v70, s[0:3], 0 offen offset:4
	;; [unrolled: 1-line block ×4, first 2 shown]
	buffer_load_dword v52, v71, s[0:3], 0 offen
	buffer_load_dword v53, v71, s[0:3], 0 offen offset:4
	buffer_load_dword v54, v71, s[0:3], 0 offen offset:8
	buffer_load_dword v48, v70, s[0:3], 0 offen
	buffer_load_dword v55, v71, s[0:3], 0 offen offset:12
	buffer_load_dword v57, v1, s[0:3], 0 offen offset:4
	;; [unrolled: 1-line block ×3, first 2 shown]
                                        ; kill: killed $vgpr70
                                        ; kill: killed $vgpr68
                                        ; kill: killed $vgpr71
                                        ; kill: killed $vgpr66
	buffer_load_dword v59, v1, s[0:3], 0 offen offset:12
	buffer_load_dword v60, v67, s[0:3], 0 offen
	buffer_load_dword v61, v67, s[0:3], 0 offen offset:4
	buffer_load_dword v62, v67, s[0:3], 0 offen offset:8
	buffer_load_dword v56, v1, s[0:3], 0 offen
	buffer_load_dword v63, v67, s[0:3], 0 offen offset:12
	buffer_load_dword v70, v69, s[0:3], 0 offen
	buffer_load_dword v71, v69, s[0:3], 0 offen offset:4
	buffer_load_dword v72, v69, s[0:3], 0 offen offset:8
	buffer_load_dword v73, v69, s[0:3], 0 offen offset:12
	s_waitcnt vmcnt(40)
	global_store_dwordx4 v[22:23], v[2:5], off
	s_waitcnt vmcnt(37)
	global_store_dwordx4 v[24:25], v[6:9], off
	;; [unrolled: 2-line block ×11, first 2 shown]
	s_endpgm
	.section	.rodata,"a",@progbits
	.p2align	6, 0x0
	.amdhsa_kernel _ZN9rocsolver6v33100L18getri_kernel_smallILi11E19rocblas_complex_numIdEPS3_EEvT1_iilPiilS6_bb
		.amdhsa_group_segment_fixed_size 1384
		.amdhsa_private_segment_fixed_size 192
		.amdhsa_kernarg_size 60
		.amdhsa_user_sgpr_count 10
		.amdhsa_user_sgpr_private_segment_buffer 1
		.amdhsa_user_sgpr_dispatch_ptr 1
		.amdhsa_user_sgpr_queue_ptr 0
		.amdhsa_user_sgpr_kernarg_segment_ptr 1
		.amdhsa_user_sgpr_dispatch_id 0
		.amdhsa_user_sgpr_flat_scratch_init 1
		.amdhsa_user_sgpr_kernarg_preload_length 0
		.amdhsa_user_sgpr_kernarg_preload_offset 0
		.amdhsa_user_sgpr_private_segment_size 0
		.amdhsa_uses_dynamic_stack 0
		.amdhsa_system_sgpr_private_segment_wavefront_offset 1
		.amdhsa_system_sgpr_workgroup_id_x 1
		.amdhsa_system_sgpr_workgroup_id_y 0
		.amdhsa_system_sgpr_workgroup_id_z 0
		.amdhsa_system_sgpr_workgroup_info 0
		.amdhsa_system_vgpr_workitem_id 2
		.amdhsa_next_free_vgpr 122
		.amdhsa_next_free_sgpr 28
		.amdhsa_accum_offset 124
		.amdhsa_reserve_vcc 1
		.amdhsa_reserve_flat_scratch 1
		.amdhsa_float_round_mode_32 0
		.amdhsa_float_round_mode_16_64 0
		.amdhsa_float_denorm_mode_32 3
		.amdhsa_float_denorm_mode_16_64 3
		.amdhsa_dx10_clamp 1
		.amdhsa_ieee_mode 1
		.amdhsa_fp16_overflow 0
		.amdhsa_tg_split 0
		.amdhsa_exception_fp_ieee_invalid_op 0
		.amdhsa_exception_fp_denorm_src 0
		.amdhsa_exception_fp_ieee_div_zero 0
		.amdhsa_exception_fp_ieee_overflow 0
		.amdhsa_exception_fp_ieee_underflow 0
		.amdhsa_exception_fp_ieee_inexact 0
		.amdhsa_exception_int_div_zero 0
	.end_amdhsa_kernel
	.section	.text._ZN9rocsolver6v33100L18getri_kernel_smallILi11E19rocblas_complex_numIdEPS3_EEvT1_iilPiilS6_bb,"axG",@progbits,_ZN9rocsolver6v33100L18getri_kernel_smallILi11E19rocblas_complex_numIdEPS3_EEvT1_iilPiilS6_bb,comdat
.Lfunc_end10:
	.size	_ZN9rocsolver6v33100L18getri_kernel_smallILi11E19rocblas_complex_numIdEPS3_EEvT1_iilPiilS6_bb, .Lfunc_end10-_ZN9rocsolver6v33100L18getri_kernel_smallILi11E19rocblas_complex_numIdEPS3_EEvT1_iilPiilS6_bb
                                        ; -- End function
	.section	.AMDGPU.csdata,"",@progbits
; Kernel info:
; codeLenInByte = 14568
; NumSgprs: 34
; NumVgprs: 122
; NumAgprs: 0
; TotalNumVgprs: 122
; ScratchSize: 192
; MemoryBound: 0
; FloatMode: 240
; IeeeMode: 1
; LDSByteSize: 1384 bytes/workgroup (compile time only)
; SGPRBlocks: 4
; VGPRBlocks: 15
; NumSGPRsForWavesPerEU: 34
; NumVGPRsForWavesPerEU: 122
; AccumOffset: 124
; Occupancy: 4
; WaveLimiterHint : 1
; COMPUTE_PGM_RSRC2:SCRATCH_EN: 1
; COMPUTE_PGM_RSRC2:USER_SGPR: 10
; COMPUTE_PGM_RSRC2:TRAP_HANDLER: 0
; COMPUTE_PGM_RSRC2:TGID_X_EN: 1
; COMPUTE_PGM_RSRC2:TGID_Y_EN: 0
; COMPUTE_PGM_RSRC2:TGID_Z_EN: 0
; COMPUTE_PGM_RSRC2:TIDIG_COMP_CNT: 2
; COMPUTE_PGM_RSRC3_GFX90A:ACCUM_OFFSET: 30
; COMPUTE_PGM_RSRC3_GFX90A:TG_SPLIT: 0
	.section	.text._ZN9rocsolver6v33100L18getri_kernel_smallILi12E19rocblas_complex_numIdEPS3_EEvT1_iilPiilS6_bb,"axG",@progbits,_ZN9rocsolver6v33100L18getri_kernel_smallILi12E19rocblas_complex_numIdEPS3_EEvT1_iilPiilS6_bb,comdat
	.globl	_ZN9rocsolver6v33100L18getri_kernel_smallILi12E19rocblas_complex_numIdEPS3_EEvT1_iilPiilS6_bb ; -- Begin function _ZN9rocsolver6v33100L18getri_kernel_smallILi12E19rocblas_complex_numIdEPS3_EEvT1_iilPiilS6_bb
	.p2align	8
	.type	_ZN9rocsolver6v33100L18getri_kernel_smallILi12E19rocblas_complex_numIdEPS3_EEvT1_iilPiilS6_bb,@function
_ZN9rocsolver6v33100L18getri_kernel_smallILi12E19rocblas_complex_numIdEPS3_EEvT1_iilPiilS6_bb: ; @_ZN9rocsolver6v33100L18getri_kernel_smallILi12E19rocblas_complex_numIdEPS3_EEvT1_iilPiilS6_bb
; %bb.0:
	s_add_u32 flat_scratch_lo, s8, s11
	s_addc_u32 flat_scratch_hi, s9, 0
	s_add_u32 s0, s0, s11
	v_and_b32_e32 v78, 0x3ff, v0
	s_addc_u32 s1, s1, 0
	v_cmp_gt_u32_e32 vcc, 12, v78
	s_and_saveexec_b64 s[8:9], vcc
	s_cbranch_execz .LBB11_62
; %bb.1:
	s_load_dword s8, s[6:7], 0x38
	s_load_dwordx4 s[20:23], s[6:7], 0x10
	s_load_dwordx4 s[12:15], s[6:7], 0x28
                                        ; implicit-def: $sgpr24_sgpr25
	s_waitcnt lgkmcnt(0)
	s_bitcmp1_b32 s8, 8
	s_cselect_b64 s[26:27], -1, 0
	s_ashr_i32 s11, s10, 31
	s_bfe_u32 s9, s8, 0x10008
	s_cmp_eq_u32 s9, 0
	s_cbranch_scc1 .LBB11_3
; %bb.2:
	s_load_dword s16, s[6:7], 0x20
	s_mul_i32 s9, s10, s13
	s_mul_hi_u32 s13, s10, s12
	s_mul_i32 s18, s11, s12
	s_add_i32 s9, s13, s9
	s_add_i32 s13, s9, s18
	s_mul_i32 s12, s10, s12
	s_waitcnt lgkmcnt(0)
	s_ashr_i32 s17, s16, 31
	s_lshl_b64 s[12:13], s[12:13], 2
	s_add_u32 s9, s22, s12
	s_addc_u32 s18, s23, s13
	s_lshl_b64 s[12:13], s[16:17], 2
	s_add_u32 s24, s9, s12
	s_addc_u32 s25, s18, s13
.LBB11_3:
	s_load_dwordx4 s[16:19], s[6:7], 0x0
	s_mul_i32 s6, s10, s21
	s_mul_hi_u32 s7, s10, s20
	s_add_i32 s9, s7, s6
	s_mul_i32 s12, s11, s20
	s_add_i32 s13, s9, s12
	s_mul_i32 s12, s10, s20
	s_waitcnt lgkmcnt(0)
	s_ashr_i32 s7, s18, 31
	s_lshl_b64 s[12:13], s[12:13], 4
	s_mov_b32 s6, s18
	s_add_u32 s9, s16, s12
	s_addc_u32 s12, s17, s13
	s_lshl_b64 s[6:7], s[6:7], 4
	s_add_u32 s6, s9, s6
	s_addc_u32 s7, s12, s7
	v_lshlrev_b32_e32 v12, 4, v78
	v_mov_b32_e32 v1, s7
	v_add_co_u32_e32 v22, vcc, s6, v12
	s_ashr_i32 s13, s19, 31
	s_mov_b32 s12, s19
	s_add_i32 s9, s19, s19
	v_addc_co_u32_e32 v23, vcc, 0, v1, vcc
	s_lshl_b64 s[12:13], s[12:13], 4
	v_add_u32_e32 v10, s9, v78
	v_mov_b32_e32 v1, s13
	v_add_co_u32_e32 v24, vcc, s12, v22
	v_ashrrev_i32_e32 v11, 31, v10
	v_addc_co_u32_e32 v25, vcc, v23, v1, vcc
	v_lshlrev_b64 v[6:7], 4, v[10:11]
	v_add_u32_e32 v10, s19, v10
	v_mov_b32_e32 v1, s7
	v_add_co_u32_e32 v26, vcc, s6, v6
	v_ashrrev_i32_e32 v11, 31, v10
	v_addc_co_u32_e32 v27, vcc, v1, v7, vcc
	v_lshlrev_b64 v[18:19], 4, v[10:11]
	v_add_u32_e32 v10, s19, v10
	v_add_co_u32_e32 v28, vcc, s6, v18
	v_add_u32_e32 v18, s19, v10
	v_add_u32_e32 v34, s19, v18
	;; [unrolled: 1-line block ×4, first 2 shown]
	v_ashrrev_i32_e32 v11, 31, v10
	v_add_u32_e32 v40, s19, v38
	v_addc_co_u32_e32 v29, vcc, v1, v19, vcc
	v_lshlrev_b64 v[10:11], 4, v[10:11]
	v_add_u32_e32 v42, s19, v40
	v_ashrrev_i32_e32 v19, 31, v18
	v_add_co_u32_e32 v30, vcc, s6, v10
	v_add_u32_e32 v32, s19, v42
	v_addc_co_u32_e32 v31, vcc, v1, v11, vcc
	v_lshlrev_b64 v[10:11], 4, v[18:19]
	v_ashrrev_i32_e32 v33, 31, v32
	v_mov_b32_e32 v13, s7
	v_lshlrev_b64 v[66:67], 4, v[32:33]
	v_add_co_u32_e32 v32, vcc, s6, v10
	v_ashrrev_i32_e32 v35, 31, v34
	v_addc_co_u32_e32 v33, vcc, v13, v11, vcc
	v_lshlrev_b64 v[10:11], 4, v[34:35]
	v_add_co_u32_e32 v34, vcc, s6, v10
	v_ashrrev_i32_e32 v37, 31, v36
	v_addc_co_u32_e32 v35, vcc, v1, v11, vcc
	;; [unrolled: 4-line block ×5, first 2 shown]
	v_lshlrev_b64 v[10:11], 4, v[42:43]
	v_add_co_u32_e32 v44, vcc, s6, v10
	v_addc_co_u32_e32 v45, vcc, v1, v11, vcc
	global_load_dwordx4 v[2:5], v12, s[6:7]
	global_load_dwordx4 v[6:9], v[24:25], off
	global_load_dwordx4 v[14:17], v[26:27], off
	v_mov_b32_e32 v68, s7
	v_add_co_u32_e32 v42, vcc, s6, v66
	global_load_dwordx4 v[18:21], v[28:29], off
	global_load_dwordx4 v[46:49], v[30:31], off
	v_addc_co_u32_e32 v43, vcc, v68, v67, vcc
	global_load_dwordx4 v[50:53], v[32:33], off
	global_load_dwordx4 v[54:57], v[34:35], off
	;; [unrolled: 1-line block ×7, first 2 shown]
	s_waitcnt vmcnt(11)
	buffer_store_dword v5, off, s[0:3], 0 offset:12
	buffer_store_dword v4, off, s[0:3], 0 offset:8
	;; [unrolled: 1-line block ×3, first 2 shown]
	buffer_store_dword v2, off, s[0:3], 0
	s_waitcnt vmcnt(14)
	buffer_store_dword v9, off, s[0:3], 0 offset:28
	buffer_store_dword v8, off, s[0:3], 0 offset:24
	buffer_store_dword v7, off, s[0:3], 0 offset:20
	buffer_store_dword v6, off, s[0:3], 0 offset:16
	s_waitcnt vmcnt(17)
	buffer_store_dword v17, off, s[0:3], 0 offset:44
	buffer_store_dword v16, off, s[0:3], 0 offset:40
	buffer_store_dword v15, off, s[0:3], 0 offset:36
	buffer_store_dword v14, off, s[0:3], 0 offset:32
	;; [unrolled: 5-line block ×3, first 2 shown]
	v_mov_b32_e32 v2, 0
	v_add_u32_e32 v75, 16, v2
	v_add_u32_e32 v76, 32, v2
	v_add_u32_e32 v77, 48, v2
	v_add_u32_e32 v72, 64, v2
	v_add_u32_e32 v73, 0x50, v2
	v_add_u32_e32 v74, 0x60, v2
	v_add_u32_e32 v1, 0x70, v2
	v_add_u32_e32 v68, 0x80, v2
	v_add_u32_e32 v69, 0x90, v2
	v_add_u32_e32 v70, 0xa0, v2
	v_add_u32_e32 v71, 0xb0, v2
	s_bitcmp0_b32 s8, 0
	s_mov_b64 s[8:9], -1
	s_waitcnt vmcnt(23)
	buffer_store_dword v49, off, s[0:3], 0 offset:76
	buffer_store_dword v48, off, s[0:3], 0 offset:72
	buffer_store_dword v47, off, s[0:3], 0 offset:68
	buffer_store_dword v46, off, s[0:3], 0 offset:64
	s_waitcnt vmcnt(26)
	buffer_store_dword v53, off, s[0:3], 0 offset:92
	buffer_store_dword v52, off, s[0:3], 0 offset:88
	buffer_store_dword v51, off, s[0:3], 0 offset:84
	buffer_store_dword v50, off, s[0:3], 0 offset:80
	;; [unrolled: 5-line block ×7, first 2 shown]
	buffer_store_dword v88, off, s[0:3], 0 offset:176
	buffer_store_dword v89, off, s[0:3], 0 offset:180
	;; [unrolled: 1-line block ×4, first 2 shown]
	s_cbranch_scc1 .LBB11_60
; %bb.4:
	v_cmp_eq_u32_e64 s[6:7], 0, v78
	s_and_saveexec_b64 s[8:9], s[6:7]
	s_cbranch_execz .LBB11_6
; %bb.5:
	v_mov_b32_e32 v2, 0
	ds_write_b32 v2, v2 offset:384
.LBB11_6:
	s_or_b64 exec, exec, s[8:9]
	v_mov_b32_e32 v2, 0
	v_lshl_add_u32 v13, v78, 4, v2
	s_waitcnt lgkmcnt(0)
	; wave barrier
	s_waitcnt lgkmcnt(0)
	buffer_load_dword v2, v13, s[0:3], 0 offen
	buffer_load_dword v3, v13, s[0:3], 0 offen offset:4
	buffer_load_dword v4, v13, s[0:3], 0 offen offset:8
	;; [unrolled: 1-line block ×3, first 2 shown]
	s_waitcnt vmcnt(2)
	v_cmp_eq_f64_e32 vcc, 0, v[2:3]
	s_waitcnt vmcnt(0)
	v_cmp_eq_f64_e64 s[8:9], 0, v[4:5]
	s_and_b64 s[8:9], vcc, s[8:9]
	s_and_saveexec_b64 s[12:13], s[8:9]
	s_cbranch_execz .LBB11_10
; %bb.7:
	v_mov_b32_e32 v2, 0
	ds_read_b32 v4, v2 offset:384
	v_add_u32_e32 v3, 1, v78
	s_waitcnt lgkmcnt(0)
	v_readfirstlane_b32 s8, v4
	s_cmp_eq_u32 s8, 0
	s_cselect_b64 s[16:17], -1, 0
	v_cmp_gt_i32_e32 vcc, s8, v3
	s_or_b64 s[16:17], s[16:17], vcc
	s_and_b64 exec, exec, s[16:17]
	s_cbranch_execz .LBB11_10
; %bb.8:
	s_mov_b64 s[16:17], 0
	v_mov_b32_e32 v4, s8
.LBB11_9:                               ; =>This Inner Loop Header: Depth=1
	ds_cmpst_rtn_b32 v4, v2, v4, v3 offset:384
	s_waitcnt lgkmcnt(0)
	v_cmp_ne_u32_e32 vcc, 0, v4
	v_cmp_le_i32_e64 s[8:9], v4, v3
	s_and_b64 s[8:9], vcc, s[8:9]
	s_and_b64 s[8:9], exec, s[8:9]
	s_or_b64 s[16:17], s[8:9], s[16:17]
	s_andn2_b64 exec, exec, s[16:17]
	s_cbranch_execnz .LBB11_9
.LBB11_10:
	s_or_b64 exec, exec, s[12:13]
	v_mov_b32_e32 v3, 0
	s_waitcnt lgkmcnt(0)
	; wave barrier
	ds_read_b32 v2, v3 offset:384
	s_and_saveexec_b64 s[8:9], s[6:7]
	s_cbranch_execz .LBB11_12
; %bb.11:
	s_lshl_b64 s[12:13], s[10:11], 2
	s_add_u32 s12, s14, s12
	s_addc_u32 s13, s15, s13
	s_waitcnt lgkmcnt(0)
	global_store_dword v3, v2, s[12:13]
.LBB11_12:
	s_or_b64 exec, exec, s[8:9]
	s_waitcnt lgkmcnt(0)
	v_cmp_ne_u32_e32 vcc, 0, v2
	s_mov_b64 s[8:9], 0
	s_cbranch_vccnz .LBB11_60
; %bb.13:
	buffer_load_dword v7, v13, s[0:3], 0 offen offset:4
	buffer_load_dword v6, v13, s[0:3], 0 offen
	buffer_load_dword v9, v13, s[0:3], 0 offen offset:12
	buffer_load_dword v8, v13, s[0:3], 0 offen offset:8
                                        ; implicit-def: $vgpr10_vgpr11
	s_waitcnt vmcnt(3)
	v_xor_b32_e32 v3, 0x80000000, v7
	s_waitcnt vmcnt(2)
	v_cmp_gt_f64_e32 vcc, 0, v[6:7]
	s_waitcnt vmcnt(1)
	v_xor_b32_e32 v4, 0x80000000, v9
	v_cndmask_b32_e32 v3, v7, v3, vcc
	s_waitcnt vmcnt(0)
	v_cmp_gt_f64_e32 vcc, 0, v[8:9]
	v_mov_b32_e32 v2, v6
	v_cndmask_b32_e32 v5, v9, v4, vcc
	v_mov_b32_e32 v4, v8
	v_cmp_ngt_f64_e32 vcc, v[2:3], v[4:5]
                                        ; implicit-def: $vgpr4_vgpr5
	s_and_saveexec_b64 s[8:9], vcc
	s_xor_b64 s[8:9], exec, s[8:9]
	s_cbranch_execz .LBB11_15
; %bb.14:
	v_div_scale_f64 v[2:3], s[12:13], v[8:9], v[8:9], v[6:7]
	v_rcp_f64_e32 v[4:5], v[2:3]
	v_div_scale_f64 v[10:11], vcc, v[6:7], v[8:9], v[6:7]
	v_fma_f64 v[14:15], -v[2:3], v[4:5], 1.0
	v_fmac_f64_e32 v[4:5], v[4:5], v[14:15]
	v_fma_f64 v[14:15], -v[2:3], v[4:5], 1.0
	v_fmac_f64_e32 v[4:5], v[4:5], v[14:15]
	v_mul_f64 v[14:15], v[10:11], v[4:5]
	v_fma_f64 v[2:3], -v[2:3], v[14:15], v[10:11]
	v_div_fmas_f64 v[2:3], v[2:3], v[4:5], v[14:15]
	v_div_fixup_f64 v[2:3], v[2:3], v[8:9], v[6:7]
	v_fmac_f64_e32 v[8:9], v[6:7], v[2:3]
	v_div_scale_f64 v[4:5], s[12:13], v[8:9], v[8:9], 1.0
	v_rcp_f64_e32 v[6:7], v[4:5]
	v_fma_f64 v[10:11], -v[4:5], v[6:7], 1.0
	v_fmac_f64_e32 v[6:7], v[6:7], v[10:11]
	v_fma_f64 v[10:11], -v[4:5], v[6:7], 1.0
	v_fmac_f64_e32 v[6:7], v[6:7], v[10:11]
	v_div_scale_f64 v[10:11], vcc, 1.0, v[8:9], 1.0
	v_mul_f64 v[14:15], v[10:11], v[6:7]
	v_fma_f64 v[4:5], -v[4:5], v[14:15], v[10:11]
	s_nop 1
	v_div_fmas_f64 v[4:5], v[4:5], v[6:7], v[14:15]
	v_div_fixup_f64 v[4:5], v[4:5], v[8:9], 1.0
	v_mul_f64 v[10:11], v[2:3], v[4:5]
	v_xor_b32_e32 v5, 0x80000000, v5
	v_xor_b32_e32 v3, 0x80000000, v11
	v_mov_b32_e32 v2, v10
                                        ; implicit-def: $vgpr6_vgpr7
                                        ; implicit-def: $vgpr8_vgpr9
.LBB11_15:
	s_andn2_saveexec_b64 s[8:9], s[8:9]
	s_cbranch_execz .LBB11_17
; %bb.16:
	v_div_scale_f64 v[2:3], s[12:13], v[6:7], v[6:7], v[8:9]
	v_rcp_f64_e32 v[4:5], v[2:3]
	v_div_scale_f64 v[10:11], vcc, v[8:9], v[6:7], v[8:9]
	v_fma_f64 v[14:15], -v[2:3], v[4:5], 1.0
	v_fmac_f64_e32 v[4:5], v[4:5], v[14:15]
	v_fma_f64 v[14:15], -v[2:3], v[4:5], 1.0
	v_fmac_f64_e32 v[4:5], v[4:5], v[14:15]
	v_mul_f64 v[14:15], v[10:11], v[4:5]
	v_fma_f64 v[2:3], -v[2:3], v[14:15], v[10:11]
	v_div_fmas_f64 v[2:3], v[2:3], v[4:5], v[14:15]
	v_div_fixup_f64 v[4:5], v[2:3], v[6:7], v[8:9]
	v_fmac_f64_e32 v[6:7], v[8:9], v[4:5]
	v_div_scale_f64 v[2:3], s[12:13], v[6:7], v[6:7], 1.0
	v_rcp_f64_e32 v[8:9], v[2:3]
	v_fma_f64 v[10:11], -v[2:3], v[8:9], 1.0
	v_fmac_f64_e32 v[8:9], v[8:9], v[10:11]
	v_fma_f64 v[10:11], -v[2:3], v[8:9], 1.0
	v_fmac_f64_e32 v[8:9], v[8:9], v[10:11]
	v_div_scale_f64 v[10:11], vcc, 1.0, v[6:7], 1.0
	v_mul_f64 v[14:15], v[10:11], v[8:9]
	v_fma_f64 v[2:3], -v[2:3], v[14:15], v[10:11]
	s_nop 1
	v_div_fmas_f64 v[2:3], v[2:3], v[8:9], v[14:15]
	v_div_fixup_f64 v[10:11], v[2:3], v[6:7], 1.0
	v_xor_b32_e32 v3, 0x80000000, v11
	v_mov_b32_e32 v2, v10
	v_mul_f64 v[4:5], v[4:5], -v[10:11]
.LBB11_17:
	s_or_b64 exec, exec, s[8:9]
	buffer_store_dword v11, v13, s[0:3], 0 offen offset:4
	buffer_store_dword v10, v13, s[0:3], 0 offen
	buffer_store_dword v5, v13, s[0:3], 0 offen offset:12
	buffer_store_dword v4, v13, s[0:3], 0 offen offset:8
	buffer_load_dword v11, v75, s[0:3], 0 offen offset:12
	s_nop 0
	buffer_load_dword v10, v75, s[0:3], 0 offen offset:8
	buffer_load_dword v9, v75, s[0:3], 0 offen offset:4
	buffer_load_dword v8, v75, s[0:3], 0 offen
	v_xor_b32_e32 v5, 0x80000000, v5
	v_add_u32_e32 v6, 0xc0, v12
	ds_write_b128 v12, v[2:5]
	s_waitcnt vmcnt(0)
	ds_write_b128 v12, v[8:11] offset:192
	s_waitcnt lgkmcnt(0)
	; wave barrier
	s_waitcnt lgkmcnt(0)
	s_and_saveexec_b64 s[8:9], s[6:7]
	s_cbranch_execz .LBB11_19
; %bb.18:
	buffer_load_dword v14, v13, s[0:3], 0 offen offset:8
	buffer_load_dword v15, v13, s[0:3], 0 offen offset:12
	buffer_load_dword v16, v13, s[0:3], 0 offen
	buffer_load_dword v17, v13, s[0:3], 0 offen offset:4
	ds_read_b128 v[2:5], v6
	v_mov_b32_e32 v7, 0
	ds_read_b128 v[8:11], v7 offset:16
	s_waitcnt vmcnt(2) lgkmcnt(1)
	v_mul_f64 v[18:19], v[4:5], v[14:15]
	v_mul_f64 v[14:15], v[2:3], v[14:15]
	s_waitcnt vmcnt(0)
	v_fmac_f64_e32 v[14:15], v[4:5], v[16:17]
	v_fma_f64 v[2:3], v[2:3], v[16:17], -v[18:19]
	v_add_f64 v[4:5], v[14:15], 0
	v_add_f64 v[2:3], v[2:3], 0
	s_waitcnt lgkmcnt(0)
	v_mul_f64 v[14:15], v[4:5], v[10:11]
	v_mul_f64 v[10:11], v[2:3], v[10:11]
	v_fma_f64 v[2:3], v[2:3], v[8:9], -v[14:15]
	v_fmac_f64_e32 v[10:11], v[4:5], v[8:9]
	buffer_store_dword v2, off, s[0:3], 0 offset:16
	buffer_store_dword v3, off, s[0:3], 0 offset:20
	;; [unrolled: 1-line block ×4, first 2 shown]
.LBB11_19:
	s_or_b64 exec, exec, s[8:9]
	s_waitcnt lgkmcnt(0)
	; wave barrier
	buffer_load_dword v2, v76, s[0:3], 0 offen
	buffer_load_dword v3, v76, s[0:3], 0 offen offset:4
	buffer_load_dword v4, v76, s[0:3], 0 offen offset:8
	;; [unrolled: 1-line block ×3, first 2 shown]
	v_cmp_gt_u32_e32 vcc, 2, v78
	s_waitcnt vmcnt(0)
	ds_write_b128 v6, v[2:5]
	s_waitcnt lgkmcnt(0)
	; wave barrier
	s_waitcnt lgkmcnt(0)
	s_and_saveexec_b64 s[8:9], vcc
	s_cbranch_execz .LBB11_23
; %bb.20:
	buffer_load_dword v8, v13, s[0:3], 0 offen offset:8
	buffer_load_dword v9, v13, s[0:3], 0 offen offset:12
	buffer_load_dword v10, v13, s[0:3], 0 offen
	buffer_load_dword v11, v13, s[0:3], 0 offen offset:4
	ds_read_b128 v[2:5], v6
	s_waitcnt vmcnt(2) lgkmcnt(0)
	v_mul_f64 v[14:15], v[4:5], v[8:9]
	v_mul_f64 v[8:9], v[2:3], v[8:9]
	s_waitcnt vmcnt(0)
	v_fma_f64 v[2:3], v[2:3], v[10:11], -v[14:15]
	v_fmac_f64_e32 v[8:9], v[4:5], v[10:11]
	v_add_f64 v[4:5], v[2:3], 0
	v_add_f64 v[2:3], v[8:9], 0
	s_and_saveexec_b64 s[12:13], s[6:7]
	s_cbranch_execz .LBB11_22
; %bb.21:
	buffer_load_dword v14, off, s[0:3], 0 offset:24
	buffer_load_dword v15, off, s[0:3], 0 offset:28
	;; [unrolled: 1-line block ×4, first 2 shown]
	v_mov_b32_e32 v7, 0
	ds_read_b128 v[8:11], v7 offset:208
	s_waitcnt vmcnt(2) lgkmcnt(0)
	v_mul_f64 v[18:19], v[8:9], v[14:15]
	v_mul_f64 v[14:15], v[10:11], v[14:15]
	s_waitcnt vmcnt(0)
	v_fmac_f64_e32 v[18:19], v[10:11], v[16:17]
	v_fma_f64 v[8:9], v[8:9], v[16:17], -v[14:15]
	v_add_f64 v[2:3], v[2:3], v[18:19]
	v_add_f64 v[4:5], v[4:5], v[8:9]
.LBB11_22:
	s_or_b64 exec, exec, s[12:13]
	v_mov_b32_e32 v7, 0
	ds_read_b128 v[8:11], v7 offset:32
	s_waitcnt lgkmcnt(0)
	v_mul_f64 v[14:15], v[2:3], v[10:11]
	v_mul_f64 v[10:11], v[4:5], v[10:11]
	v_fma_f64 v[4:5], v[4:5], v[8:9], -v[14:15]
	v_fmac_f64_e32 v[10:11], v[2:3], v[8:9]
	buffer_store_dword v5, off, s[0:3], 0 offset:36
	buffer_store_dword v4, off, s[0:3], 0 offset:32
	buffer_store_dword v11, off, s[0:3], 0 offset:44
	buffer_store_dword v10, off, s[0:3], 0 offset:40
.LBB11_23:
	s_or_b64 exec, exec, s[8:9]
	s_waitcnt lgkmcnt(0)
	; wave barrier
	buffer_load_dword v2, v77, s[0:3], 0 offen
	buffer_load_dword v3, v77, s[0:3], 0 offen offset:4
	buffer_load_dword v4, v77, s[0:3], 0 offen offset:8
	buffer_load_dword v5, v77, s[0:3], 0 offen offset:12
	v_cmp_gt_u32_e32 vcc, 3, v78
	v_add_u32_e32 v7, -1, v78
	s_waitcnt vmcnt(0)
	ds_write_b128 v6, v[2:5]
	s_waitcnt lgkmcnt(0)
	; wave barrier
	s_waitcnt lgkmcnt(0)
	s_and_saveexec_b64 s[6:7], vcc
	s_cbranch_execz .LBB11_27
; %bb.24:
	v_pk_mov_b32 v[2:3], 0, 0
	v_add_u32_e32 v8, -1, v78
	v_add_u32_e32 v9, 0xc0, v12
	v_add_u32_e32 v10, 0, v12
	s_mov_b64 s[8:9], 0
	v_pk_mov_b32 v[4:5], v[2:3], v[2:3] op_sel:[0,1]
.LBB11_25:                              ; =>This Inner Loop Header: Depth=1
	buffer_load_dword v18, v10, s[0:3], 0 offen offset:8
	buffer_load_dword v19, v10, s[0:3], 0 offen offset:12
	buffer_load_dword v20, v10, s[0:3], 0 offen
	buffer_load_dword v21, v10, s[0:3], 0 offen offset:4
	ds_read_b128 v[14:17], v9
	v_add_u32_e32 v8, 1, v8
	v_cmp_lt_u32_e32 vcc, 1, v8
	v_add_u32_e32 v9, 16, v9
	v_add_u32_e32 v10, 16, v10
	s_or_b64 s[8:9], vcc, s[8:9]
	s_waitcnt vmcnt(2) lgkmcnt(0)
	v_mul_f64 v[46:47], v[16:17], v[18:19]
	v_mul_f64 v[18:19], v[14:15], v[18:19]
	s_waitcnt vmcnt(0)
	v_fma_f64 v[14:15], v[14:15], v[20:21], -v[46:47]
	v_fmac_f64_e32 v[18:19], v[16:17], v[20:21]
	v_add_f64 v[4:5], v[4:5], v[14:15]
	v_add_f64 v[2:3], v[2:3], v[18:19]
	s_andn2_b64 exec, exec, s[8:9]
	s_cbranch_execnz .LBB11_25
; %bb.26:
	s_or_b64 exec, exec, s[8:9]
	v_mov_b32_e32 v8, 0
	ds_read_b128 v[8:11], v8 offset:48
	s_waitcnt lgkmcnt(0)
	v_mul_f64 v[14:15], v[2:3], v[10:11]
	v_mul_f64 v[10:11], v[4:5], v[10:11]
	v_fma_f64 v[4:5], v[4:5], v[8:9], -v[14:15]
	v_fmac_f64_e32 v[10:11], v[2:3], v[8:9]
	buffer_store_dword v5, off, s[0:3], 0 offset:52
	buffer_store_dword v4, off, s[0:3], 0 offset:48
	buffer_store_dword v11, off, s[0:3], 0 offset:60
	buffer_store_dword v10, off, s[0:3], 0 offset:56
.LBB11_27:
	s_or_b64 exec, exec, s[6:7]
	s_waitcnt lgkmcnt(0)
	; wave barrier
	buffer_load_dword v2, v72, s[0:3], 0 offen
	buffer_load_dword v3, v72, s[0:3], 0 offen offset:4
	buffer_load_dword v4, v72, s[0:3], 0 offen offset:8
	buffer_load_dword v5, v72, s[0:3], 0 offen offset:12
	v_cmp_gt_u32_e32 vcc, 4, v78
	s_waitcnt vmcnt(0)
	ds_write_b128 v6, v[2:5]
	s_waitcnt lgkmcnt(0)
	; wave barrier
	s_waitcnt lgkmcnt(0)
	s_and_saveexec_b64 s[6:7], vcc
	s_cbranch_execz .LBB11_31
; %bb.28:
	v_pk_mov_b32 v[2:3], 0, 0
	v_add_u32_e32 v8, -1, v78
	v_add_u32_e32 v9, 0xc0, v12
	v_add_u32_e32 v10, 0, v12
	s_mov_b64 s[8:9], 0
	v_pk_mov_b32 v[4:5], v[2:3], v[2:3] op_sel:[0,1]
.LBB11_29:                              ; =>This Inner Loop Header: Depth=1
	buffer_load_dword v18, v10, s[0:3], 0 offen offset:8
	buffer_load_dword v19, v10, s[0:3], 0 offen offset:12
	buffer_load_dword v20, v10, s[0:3], 0 offen
	buffer_load_dword v21, v10, s[0:3], 0 offen offset:4
	ds_read_b128 v[14:17], v9
	v_add_u32_e32 v8, 1, v8
	v_cmp_lt_u32_e32 vcc, 2, v8
	v_add_u32_e32 v9, 16, v9
	v_add_u32_e32 v10, 16, v10
	s_or_b64 s[8:9], vcc, s[8:9]
	s_waitcnt vmcnt(2) lgkmcnt(0)
	v_mul_f64 v[46:47], v[16:17], v[18:19]
	v_mul_f64 v[18:19], v[14:15], v[18:19]
	s_waitcnt vmcnt(0)
	v_fma_f64 v[14:15], v[14:15], v[20:21], -v[46:47]
	v_fmac_f64_e32 v[18:19], v[16:17], v[20:21]
	v_add_f64 v[4:5], v[4:5], v[14:15]
	v_add_f64 v[2:3], v[2:3], v[18:19]
	s_andn2_b64 exec, exec, s[8:9]
	s_cbranch_execnz .LBB11_29
; %bb.30:
	s_or_b64 exec, exec, s[8:9]
	v_mov_b32_e32 v8, 0
	ds_read_b128 v[8:11], v8 offset:64
	s_waitcnt lgkmcnt(0)
	v_mul_f64 v[14:15], v[2:3], v[10:11]
	v_mul_f64 v[10:11], v[4:5], v[10:11]
	v_fma_f64 v[4:5], v[4:5], v[8:9], -v[14:15]
	v_fmac_f64_e32 v[10:11], v[2:3], v[8:9]
	buffer_store_dword v5, off, s[0:3], 0 offset:68
	buffer_store_dword v4, off, s[0:3], 0 offset:64
	buffer_store_dword v11, off, s[0:3], 0 offset:76
	buffer_store_dword v10, off, s[0:3], 0 offset:72
.LBB11_31:
	s_or_b64 exec, exec, s[6:7]
	s_waitcnt lgkmcnt(0)
	; wave barrier
	buffer_load_dword v2, v73, s[0:3], 0 offen
	buffer_load_dword v3, v73, s[0:3], 0 offen offset:4
	buffer_load_dword v4, v73, s[0:3], 0 offen offset:8
	buffer_load_dword v5, v73, s[0:3], 0 offen offset:12
	v_cmp_gt_u32_e32 vcc, 5, v78
	;; [unrolled: 57-line block ×7, first 2 shown]
	s_waitcnt vmcnt(0)
	ds_write_b128 v6, v[2:5]
	s_waitcnt lgkmcnt(0)
	; wave barrier
	s_waitcnt lgkmcnt(0)
	s_and_saveexec_b64 s[6:7], vcc
	s_cbranch_execz .LBB11_55
; %bb.52:
	v_pk_mov_b32 v[2:3], 0, 0
	v_add_u32_e32 v8, -1, v78
	v_add_u32_e32 v9, 0xc0, v12
	v_add_u32_e32 v10, 0, v12
	s_mov_b64 s[8:9], 0
	v_pk_mov_b32 v[4:5], v[2:3], v[2:3] op_sel:[0,1]
.LBB11_53:                              ; =>This Inner Loop Header: Depth=1
	buffer_load_dword v18, v10, s[0:3], 0 offen offset:8
	buffer_load_dword v19, v10, s[0:3], 0 offen offset:12
	buffer_load_dword v20, v10, s[0:3], 0 offen
	buffer_load_dword v21, v10, s[0:3], 0 offen offset:4
	ds_read_b128 v[14:17], v9
	v_add_u32_e32 v8, 1, v8
	v_cmp_lt_u32_e32 vcc, 8, v8
	v_add_u32_e32 v9, 16, v9
	v_add_u32_e32 v10, 16, v10
	s_or_b64 s[8:9], vcc, s[8:9]
	s_waitcnt vmcnt(2) lgkmcnt(0)
	v_mul_f64 v[46:47], v[16:17], v[18:19]
	v_mul_f64 v[18:19], v[14:15], v[18:19]
	s_waitcnt vmcnt(0)
	v_fma_f64 v[14:15], v[14:15], v[20:21], -v[46:47]
	v_fmac_f64_e32 v[18:19], v[16:17], v[20:21]
	v_add_f64 v[4:5], v[4:5], v[14:15]
	v_add_f64 v[2:3], v[2:3], v[18:19]
	s_andn2_b64 exec, exec, s[8:9]
	s_cbranch_execnz .LBB11_53
; %bb.54:
	s_or_b64 exec, exec, s[8:9]
	v_mov_b32_e32 v8, 0
	ds_read_b128 v[8:11], v8 offset:160
	s_waitcnt lgkmcnt(0)
	v_mul_f64 v[14:15], v[2:3], v[10:11]
	v_mul_f64 v[10:11], v[4:5], v[10:11]
	v_fma_f64 v[4:5], v[4:5], v[8:9], -v[14:15]
	v_fmac_f64_e32 v[10:11], v[2:3], v[8:9]
	buffer_store_dword v5, off, s[0:3], 0 offset:164
	buffer_store_dword v4, off, s[0:3], 0 offset:160
	;; [unrolled: 1-line block ×4, first 2 shown]
.LBB11_55:
	s_or_b64 exec, exec, s[6:7]
	s_waitcnt lgkmcnt(0)
	; wave barrier
	buffer_load_dword v2, v71, s[0:3], 0 offen
	buffer_load_dword v3, v71, s[0:3], 0 offen offset:4
	buffer_load_dword v4, v71, s[0:3], 0 offen offset:8
	;; [unrolled: 1-line block ×3, first 2 shown]
	v_cmp_ne_u32_e32 vcc, 11, v78
	s_waitcnt vmcnt(0)
	ds_write_b128 v6, v[2:5]
	s_waitcnt lgkmcnt(0)
	; wave barrier
	s_waitcnt lgkmcnt(0)
	s_and_saveexec_b64 s[6:7], vcc
	s_cbranch_execz .LBB11_59
; %bb.56:
	v_pk_mov_b32 v[2:3], 0, 0
	v_add_u32_e32 v6, 0xc0, v12
	v_add_u32_e32 v8, 0, v12
	s_mov_b64 s[8:9], 0
	v_pk_mov_b32 v[4:5], v[2:3], v[2:3] op_sel:[0,1]
.LBB11_57:                              ; =>This Inner Loop Header: Depth=1
	buffer_load_dword v14, v8, s[0:3], 0 offen offset:8
	buffer_load_dword v15, v8, s[0:3], 0 offen offset:12
	buffer_load_dword v16, v8, s[0:3], 0 offen
	buffer_load_dword v17, v8, s[0:3], 0 offen offset:4
	ds_read_b128 v[10:13], v6
	v_add_u32_e32 v7, 1, v7
	v_cmp_lt_u32_e32 vcc, 9, v7
	v_add_u32_e32 v6, 16, v6
	v_add_u32_e32 v8, 16, v8
	s_or_b64 s[8:9], vcc, s[8:9]
	s_waitcnt vmcnt(2) lgkmcnt(0)
	v_mul_f64 v[18:19], v[12:13], v[14:15]
	v_mul_f64 v[14:15], v[10:11], v[14:15]
	s_waitcnt vmcnt(0)
	v_fma_f64 v[10:11], v[10:11], v[16:17], -v[18:19]
	v_fmac_f64_e32 v[14:15], v[12:13], v[16:17]
	v_add_f64 v[4:5], v[4:5], v[10:11]
	v_add_f64 v[2:3], v[2:3], v[14:15]
	s_andn2_b64 exec, exec, s[8:9]
	s_cbranch_execnz .LBB11_57
; %bb.58:
	s_or_b64 exec, exec, s[8:9]
	v_mov_b32_e32 v6, 0
	ds_read_b128 v[6:9], v6 offset:176
	s_waitcnt lgkmcnt(0)
	v_mul_f64 v[10:11], v[2:3], v[8:9]
	v_mul_f64 v[8:9], v[4:5], v[8:9]
	v_fma_f64 v[4:5], v[4:5], v[6:7], -v[10:11]
	v_fmac_f64_e32 v[8:9], v[2:3], v[6:7]
	buffer_store_dword v5, off, s[0:3], 0 offset:180
	buffer_store_dword v4, off, s[0:3], 0 offset:176
	buffer_store_dword v9, off, s[0:3], 0 offset:188
	buffer_store_dword v8, off, s[0:3], 0 offset:184
.LBB11_59:
	s_or_b64 exec, exec, s[6:7]
	s_mov_b64 s[8:9], -1
	s_waitcnt lgkmcnt(0)
	; wave barrier
.LBB11_60:
	s_and_b64 vcc, exec, s[8:9]
	s_cbranch_vccz .LBB11_62
; %bb.61:
	s_lshl_b64 s[6:7], s[10:11], 2
	s_add_u32 s6, s14, s6
	s_addc_u32 s7, s15, s7
	v_mov_b32_e32 v2, 0
	global_load_dword v2, v2, s[6:7]
	s_waitcnt vmcnt(0)
	v_cmp_ne_u32_e32 vcc, 0, v2
	s_cbranch_vccz .LBB11_63
.LBB11_62:
	s_endpgm
.LBB11_63:
	v_mov_b32_e32 v2, 0xc0
	v_lshl_add_u32 v79, v78, 4, v2
	v_cmp_eq_u32_e32 vcc, 11, v78
	s_and_saveexec_b64 s[6:7], vcc
	s_cbranch_execz .LBB11_65
; %bb.64:
	buffer_load_dword v2, v70, s[0:3], 0 offen
	buffer_load_dword v3, v70, s[0:3], 0 offen offset:4
	buffer_load_dword v4, v70, s[0:3], 0 offen offset:8
	;; [unrolled: 1-line block ×3, first 2 shown]
	v_mov_b32_e32 v6, 0
	buffer_store_dword v6, off, s[0:3], 0 offset:160
	buffer_store_dword v6, off, s[0:3], 0 offset:164
	;; [unrolled: 1-line block ×4, first 2 shown]
	s_waitcnt vmcnt(4)
	ds_write_b128 v79, v[2:5]
.LBB11_65:
	s_or_b64 exec, exec, s[6:7]
	s_waitcnt lgkmcnt(0)
	; wave barrier
	s_waitcnt lgkmcnt(0)
	buffer_load_dword v8, off, s[0:3], 0 offset:184
	buffer_load_dword v9, off, s[0:3], 0 offset:188
	buffer_load_dword v10, off, s[0:3], 0 offset:176
	buffer_load_dword v11, off, s[0:3], 0 offset:180
	buffer_load_dword v12, off, s[0:3], 0 offset:160
	buffer_load_dword v13, off, s[0:3], 0 offset:164
	buffer_load_dword v14, off, s[0:3], 0 offset:168
	buffer_load_dword v15, off, s[0:3], 0 offset:172
	v_mov_b32_e32 v2, 0
	ds_read_b128 v[4:7], v2 offset:368
	v_cmp_lt_u32_e32 vcc, 9, v78
	s_waitcnt vmcnt(6) lgkmcnt(0)
	v_mul_f64 v[16:17], v[4:5], v[8:9]
	v_mul_f64 v[8:9], v[6:7], v[8:9]
	s_waitcnt vmcnt(4)
	v_fma_f64 v[4:5], v[4:5], v[10:11], -v[8:9]
	v_fmac_f64_e32 v[16:17], v[6:7], v[10:11]
	v_add_f64 v[4:5], v[4:5], 0
	v_add_f64 v[6:7], v[16:17], 0
	s_waitcnt vmcnt(2)
	v_add_f64 v[4:5], v[12:13], -v[4:5]
	s_waitcnt vmcnt(0)
	v_add_f64 v[6:7], v[14:15], -v[6:7]
	buffer_store_dword v4, off, s[0:3], 0 offset:160
	buffer_store_dword v5, off, s[0:3], 0 offset:164
	;; [unrolled: 1-line block ×4, first 2 shown]
	s_and_saveexec_b64 s[6:7], vcc
	s_cbranch_execz .LBB11_67
; %bb.66:
	buffer_load_dword v4, v69, s[0:3], 0 offen
	buffer_load_dword v5, v69, s[0:3], 0 offen offset:4
	buffer_load_dword v6, v69, s[0:3], 0 offen offset:8
	;; [unrolled: 1-line block ×3, first 2 shown]
	s_nop 0
	buffer_store_dword v2, off, s[0:3], 0 offset:144
	buffer_store_dword v2, off, s[0:3], 0 offset:148
	;; [unrolled: 1-line block ×4, first 2 shown]
	s_waitcnt vmcnt(4)
	ds_write_b128 v79, v[4:7]
.LBB11_67:
	s_or_b64 exec, exec, s[6:7]
	s_waitcnt lgkmcnt(0)
	; wave barrier
	s_waitcnt lgkmcnt(0)
	buffer_load_dword v12, off, s[0:3], 0 offset:168
	buffer_load_dword v13, off, s[0:3], 0 offset:172
	;; [unrolled: 1-line block ×12, first 2 shown]
	ds_read_b128 v[4:7], v2 offset:352
	ds_read_b128 v[8:11], v2 offset:368
	v_cmp_lt_u32_e32 vcc, 8, v78
	s_waitcnt vmcnt(10) lgkmcnt(1)
	v_mul_f64 v[2:3], v[4:5], v[12:13]
	v_mul_f64 v[12:13], v[6:7], v[12:13]
	s_waitcnt vmcnt(8) lgkmcnt(0)
	v_mul_f64 v[48:49], v[8:9], v[14:15]
	v_mul_f64 v[14:15], v[10:11], v[14:15]
	s_waitcnt vmcnt(6)
	v_fma_f64 v[4:5], v[4:5], v[16:17], -v[12:13]
	v_fmac_f64_e32 v[2:3], v[6:7], v[16:17]
	s_waitcnt vmcnt(4)
	v_fma_f64 v[6:7], v[8:9], v[18:19], -v[14:15]
	v_add_f64 v[4:5], v[4:5], 0
	v_fmac_f64_e32 v[48:49], v[10:11], v[18:19]
	v_add_f64 v[2:3], v[2:3], 0
	v_add_f64 v[4:5], v[4:5], v[6:7]
	;; [unrolled: 1-line block ×3, first 2 shown]
	s_waitcnt vmcnt(2)
	v_add_f64 v[4:5], v[20:21], -v[4:5]
	s_waitcnt vmcnt(0)
	v_add_f64 v[2:3], v[46:47], -v[2:3]
	buffer_store_dword v4, off, s[0:3], 0 offset:144
	buffer_store_dword v5, off, s[0:3], 0 offset:148
	;; [unrolled: 1-line block ×4, first 2 shown]
	s_and_saveexec_b64 s[6:7], vcc
	s_cbranch_execz .LBB11_69
; %bb.68:
	buffer_load_dword v2, v68, s[0:3], 0 offen
	buffer_load_dword v3, v68, s[0:3], 0 offen offset:4
	buffer_load_dword v4, v68, s[0:3], 0 offen offset:8
	;; [unrolled: 1-line block ×3, first 2 shown]
	v_mov_b32_e32 v6, 0
	buffer_store_dword v6, off, s[0:3], 0 offset:128
	buffer_store_dword v6, off, s[0:3], 0 offset:132
	;; [unrolled: 1-line block ×4, first 2 shown]
	s_waitcnt vmcnt(4)
	ds_write_b128 v79, v[2:5]
.LBB11_69:
	s_or_b64 exec, exec, s[6:7]
	s_waitcnt lgkmcnt(0)
	; wave barrier
	s_waitcnt lgkmcnt(0)
	buffer_load_dword v16, off, s[0:3], 0 offset:152
	buffer_load_dword v17, off, s[0:3], 0 offset:156
	;; [unrolled: 1-line block ×16, first 2 shown]
	v_mov_b32_e32 v2, 0
	ds_read_b128 v[4:7], v2 offset:336
	ds_read_b128 v[8:11], v2 offset:352
	ds_read_b128 v[12:15], v2 offset:368
	v_cmp_lt_u32_e32 vcc, 7, v78
	s_waitcnt vmcnt(14) lgkmcnt(2)
	v_mul_f64 v[56:57], v[4:5], v[16:17]
	v_mul_f64 v[16:17], v[6:7], v[16:17]
	s_waitcnt vmcnt(12) lgkmcnt(1)
	v_mul_f64 v[58:59], v[8:9], v[18:19]
	v_mul_f64 v[18:19], v[10:11], v[18:19]
	;; [unrolled: 3-line block ×3, first 2 shown]
	s_waitcnt vmcnt(8)
	v_fma_f64 v[4:5], v[4:5], v[46:47], -v[16:17]
	v_fmac_f64_e32 v[56:57], v[6:7], v[46:47]
	s_waitcnt vmcnt(6)
	v_fma_f64 v[6:7], v[8:9], v[48:49], -v[18:19]
	v_add_f64 v[4:5], v[4:5], 0
	v_fmac_f64_e32 v[58:59], v[10:11], v[48:49]
	s_waitcnt vmcnt(4)
	v_fma_f64 v[8:9], v[12:13], v[50:51], -v[20:21]
	v_add_f64 v[10:11], v[56:57], 0
	v_add_f64 v[4:5], v[4:5], v[6:7]
	v_fmac_f64_e32 v[60:61], v[14:15], v[50:51]
	v_add_f64 v[10:11], v[10:11], v[58:59]
	v_add_f64 v[4:5], v[4:5], v[8:9]
	;; [unrolled: 1-line block ×3, first 2 shown]
	s_waitcnt vmcnt(2)
	v_add_f64 v[4:5], v[52:53], -v[4:5]
	s_waitcnt vmcnt(0)
	v_add_f64 v[6:7], v[54:55], -v[6:7]
	buffer_store_dword v4, off, s[0:3], 0 offset:128
	buffer_store_dword v5, off, s[0:3], 0 offset:132
	;; [unrolled: 1-line block ×4, first 2 shown]
	s_and_saveexec_b64 s[6:7], vcc
	s_cbranch_execz .LBB11_71
; %bb.70:
	buffer_load_dword v4, v1, s[0:3], 0 offen
	buffer_load_dword v5, v1, s[0:3], 0 offen offset:4
	buffer_load_dword v6, v1, s[0:3], 0 offen offset:8
	;; [unrolled: 1-line block ×3, first 2 shown]
	s_nop 0
	buffer_store_dword v2, off, s[0:3], 0 offset:112
	buffer_store_dword v2, off, s[0:3], 0 offset:116
	;; [unrolled: 1-line block ×4, first 2 shown]
	s_waitcnt vmcnt(4)
	ds_write_b128 v79, v[4:7]
.LBB11_71:
	s_or_b64 exec, exec, s[6:7]
	s_waitcnt lgkmcnt(0)
	; wave barrier
	s_waitcnt lgkmcnt(0)
	buffer_load_dword v20, off, s[0:3], 0 offset:136
	buffer_load_dword v21, off, s[0:3], 0 offset:140
	;; [unrolled: 1-line block ×20, first 2 shown]
	ds_read_b128 v[4:7], v2 offset:320
	ds_read_b128 v[8:11], v2 offset:336
	;; [unrolled: 1-line block ×4, first 2 shown]
	v_cmp_lt_u32_e32 vcc, 6, v78
	s_waitcnt vmcnt(18) lgkmcnt(3)
	v_mul_f64 v[2:3], v[4:5], v[20:21]
	v_mul_f64 v[20:21], v[6:7], v[20:21]
	s_waitcnt vmcnt(16) lgkmcnt(2)
	v_mul_f64 v[64:65], v[8:9], v[46:47]
	v_mul_f64 v[46:47], v[10:11], v[46:47]
	;; [unrolled: 3-line block ×4, first 2 shown]
	s_waitcnt vmcnt(10)
	v_fma_f64 v[4:5], v[4:5], v[52:53], -v[20:21]
	v_fmac_f64_e32 v[2:3], v[6:7], v[52:53]
	s_waitcnt vmcnt(8)
	v_fma_f64 v[6:7], v[8:9], v[54:55], -v[46:47]
	v_add_f64 v[4:5], v[4:5], 0
	v_fmac_f64_e32 v[64:65], v[10:11], v[54:55]
	s_waitcnt vmcnt(6)
	v_fma_f64 v[8:9], v[12:13], v[56:57], -v[48:49]
	v_add_f64 v[2:3], v[2:3], 0
	v_add_f64 v[4:5], v[4:5], v[6:7]
	v_fmac_f64_e32 v[66:67], v[14:15], v[56:57]
	s_waitcnt vmcnt(4)
	v_fma_f64 v[10:11], v[16:17], v[58:59], -v[50:51]
	v_add_f64 v[2:3], v[2:3], v[64:65]
	v_add_f64 v[4:5], v[4:5], v[8:9]
	v_fmac_f64_e32 v[80:81], v[18:19], v[58:59]
	v_add_f64 v[2:3], v[2:3], v[66:67]
	v_add_f64 v[4:5], v[4:5], v[10:11]
	;; [unrolled: 1-line block ×3, first 2 shown]
	s_waitcnt vmcnt(2)
	v_add_f64 v[4:5], v[60:61], -v[4:5]
	s_waitcnt vmcnt(0)
	v_add_f64 v[2:3], v[62:63], -v[2:3]
	buffer_store_dword v4, off, s[0:3], 0 offset:112
	buffer_store_dword v5, off, s[0:3], 0 offset:116
	buffer_store_dword v2, off, s[0:3], 0 offset:120
	buffer_store_dword v3, off, s[0:3], 0 offset:124
	s_and_saveexec_b64 s[6:7], vcc
	s_cbranch_execz .LBB11_73
; %bb.72:
	buffer_load_dword v2, v74, s[0:3], 0 offen
	buffer_load_dword v3, v74, s[0:3], 0 offen offset:4
	buffer_load_dword v4, v74, s[0:3], 0 offen offset:8
	;; [unrolled: 1-line block ×3, first 2 shown]
	v_mov_b32_e32 v6, 0
	buffer_store_dword v6, off, s[0:3], 0 offset:96
	buffer_store_dword v6, off, s[0:3], 0 offset:100
	;; [unrolled: 1-line block ×4, first 2 shown]
	s_waitcnt vmcnt(4)
	ds_write_b128 v79, v[2:5]
.LBB11_73:
	s_or_b64 exec, exec, s[6:7]
	s_waitcnt lgkmcnt(0)
	; wave barrier
	s_waitcnt lgkmcnt(0)
	buffer_load_dword v20, off, s[0:3], 0 offset:120
	buffer_load_dword v21, off, s[0:3], 0 offset:124
	;; [unrolled: 1-line block ×24, first 2 shown]
	v_mov_b32_e32 v2, 0
	ds_read_b128 v[4:7], v2 offset:304
	ds_read_b128 v[8:11], v2 offset:320
	;; [unrolled: 1-line block ×5, first 2 shown]
	v_cmp_lt_u32_e32 vcc, 5, v78
	s_waitcnt vmcnt(22) lgkmcnt(4)
	v_mul_f64 v[84:85], v[4:5], v[20:21]
	v_mul_f64 v[20:21], v[6:7], v[20:21]
	s_waitcnt vmcnt(20) lgkmcnt(3)
	v_mul_f64 v[86:87], v[8:9], v[50:51]
	v_mul_f64 v[50:51], v[10:11], v[50:51]
	;; [unrolled: 3-line block ×4, first 2 shown]
	s_waitcnt vmcnt(13) lgkmcnt(0)
	v_mul_f64 v[92:93], v[46:47], v[54:55]
	s_waitcnt vmcnt(11)
	v_fma_f64 v[4:5], v[4:5], v[60:61], -v[20:21]
	v_fmac_f64_e32 v[84:85], v[6:7], v[60:61]
	s_waitcnt vmcnt(9)
	v_fma_f64 v[6:7], v[8:9], v[62:63], -v[50:51]
	v_add_f64 v[4:5], v[4:5], 0
	v_fmac_f64_e32 v[86:87], v[10:11], v[62:63]
	s_waitcnt vmcnt(7)
	v_fmac_f64_e32 v[88:89], v[14:15], v[64:65]
	v_fma_f64 v[8:9], v[12:13], v[64:65], -v[52:53]
	v_add_f64 v[14:15], v[84:85], 0
	v_add_f64 v[4:5], v[4:5], v[6:7]
	v_mul_f64 v[54:55], v[48:49], v[54:55]
	s_waitcnt vmcnt(5)
	v_fma_f64 v[10:11], v[16:17], v[66:67], -v[58:59]
	v_add_f64 v[14:15], v[14:15], v[86:87]
	v_add_f64 v[4:5], v[4:5], v[8:9]
	v_fmac_f64_e32 v[90:91], v[18:19], v[66:67]
	s_waitcnt vmcnt(4)
	v_fma_f64 v[12:13], v[46:47], v[56:57], -v[54:55]
	v_add_f64 v[6:7], v[14:15], v[88:89]
	v_add_f64 v[4:5], v[4:5], v[10:11]
	v_fmac_f64_e32 v[92:93], v[48:49], v[56:57]
	v_add_f64 v[6:7], v[6:7], v[90:91]
	v_add_f64 v[4:5], v[4:5], v[12:13]
	;; [unrolled: 1-line block ×3, first 2 shown]
	s_waitcnt vmcnt(2)
	v_add_f64 v[4:5], v[80:81], -v[4:5]
	s_waitcnt vmcnt(0)
	v_add_f64 v[6:7], v[82:83], -v[6:7]
	buffer_store_dword v5, off, s[0:3], 0 offset:100
	buffer_store_dword v4, off, s[0:3], 0 offset:96
	;; [unrolled: 1-line block ×4, first 2 shown]
	s_and_saveexec_b64 s[6:7], vcc
	s_cbranch_execz .LBB11_75
; %bb.74:
	buffer_load_dword v4, v73, s[0:3], 0 offen
	buffer_load_dword v5, v73, s[0:3], 0 offen offset:4
	buffer_load_dword v6, v73, s[0:3], 0 offen offset:8
	;; [unrolled: 1-line block ×3, first 2 shown]
	s_nop 0
	buffer_store_dword v2, off, s[0:3], 0 offset:80
	buffer_store_dword v2, off, s[0:3], 0 offset:84
	;; [unrolled: 1-line block ×4, first 2 shown]
	s_waitcnt vmcnt(4)
	ds_write_b128 v79, v[4:7]
.LBB11_75:
	s_or_b64 exec, exec, s[6:7]
	s_waitcnt lgkmcnt(0)
	; wave barrier
	s_waitcnt lgkmcnt(0)
	buffer_load_dword v20, off, s[0:3], 0 offset:104
	buffer_load_dword v21, off, s[0:3], 0 offset:108
	;; [unrolled: 1-line block ×28, first 2 shown]
	ds_read_b128 v[4:7], v2 offset:288
	ds_read_b128 v[8:11], v2 offset:304
	ds_read_b128 v[12:15], v2 offset:320
	ds_read_b128 v[16:19], v2 offset:336
	ds_read_b128 v[46:49], v2 offset:352
	ds_read_b128 v[50:53], v2 offset:368
	v_cmp_lt_u32_e32 vcc, 4, v78
	s_waitcnt vmcnt(26) lgkmcnt(5)
	v_mul_f64 v[2:3], v[4:5], v[20:21]
	v_mul_f64 v[20:21], v[6:7], v[20:21]
	s_waitcnt vmcnt(24) lgkmcnt(4)
	v_mul_f64 v[92:93], v[8:9], v[54:55]
	v_mul_f64 v[54:55], v[10:11], v[54:55]
	;; [unrolled: 3-line block ×4, first 2 shown]
	s_waitcnt vmcnt(17)
	v_mul_f64 v[96:97], v[16:17], v[62:63]
	v_mul_f64 v[62:63], v[18:19], v[62:63]
	s_waitcnt vmcnt(15) lgkmcnt(0)
	v_mul_f64 v[100:101], v[50:51], v[64:65]
	v_mul_f64 v[64:65], v[52:53], v[64:65]
	s_waitcnt vmcnt(14)
	v_fmac_f64_e32 v[98:99], v[48:49], v[60:61]
	s_waitcnt vmcnt(12)
	v_fma_f64 v[4:5], v[4:5], v[66:67], -v[20:21]
	v_fmac_f64_e32 v[2:3], v[6:7], v[66:67]
	s_waitcnt vmcnt(10)
	v_fma_f64 v[6:7], v[8:9], v[80:81], -v[54:55]
	v_add_f64 v[4:5], v[4:5], 0
	v_fmac_f64_e32 v[92:93], v[10:11], v[80:81]
	s_waitcnt vmcnt(8)
	v_fma_f64 v[8:9], v[12:13], v[82:83], -v[56:57]
	v_add_f64 v[2:3], v[2:3], 0
	v_add_f64 v[4:5], v[4:5], v[6:7]
	v_fmac_f64_e32 v[94:95], v[14:15], v[82:83]
	s_waitcnt vmcnt(6)
	v_fma_f64 v[10:11], v[16:17], v[84:85], -v[62:63]
	v_add_f64 v[2:3], v[2:3], v[92:93]
	v_add_f64 v[4:5], v[4:5], v[8:9]
	v_fmac_f64_e32 v[96:97], v[18:19], v[84:85]
	v_fma_f64 v[12:13], v[46:47], v[60:61], -v[58:59]
	v_add_f64 v[2:3], v[2:3], v[94:95]
	v_add_f64 v[4:5], v[4:5], v[10:11]
	s_waitcnt vmcnt(4)
	v_fma_f64 v[14:15], v[50:51], v[86:87], -v[64:65]
	v_add_f64 v[2:3], v[2:3], v[96:97]
	v_add_f64 v[4:5], v[4:5], v[12:13]
	v_fmac_f64_e32 v[100:101], v[52:53], v[86:87]
	v_add_f64 v[2:3], v[2:3], v[98:99]
	v_add_f64 v[4:5], v[4:5], v[14:15]
	;; [unrolled: 1-line block ×3, first 2 shown]
	s_waitcnt vmcnt(2)
	v_add_f64 v[4:5], v[88:89], -v[4:5]
	s_waitcnt vmcnt(0)
	v_add_f64 v[2:3], v[90:91], -v[2:3]
	buffer_store_dword v5, off, s[0:3], 0 offset:84
	buffer_store_dword v4, off, s[0:3], 0 offset:80
	;; [unrolled: 1-line block ×4, first 2 shown]
	s_and_saveexec_b64 s[6:7], vcc
	s_cbranch_execz .LBB11_77
; %bb.76:
	buffer_load_dword v2, v72, s[0:3], 0 offen
	buffer_load_dword v3, v72, s[0:3], 0 offen offset:4
	buffer_load_dword v4, v72, s[0:3], 0 offen offset:8
	;; [unrolled: 1-line block ×3, first 2 shown]
	v_mov_b32_e32 v6, 0
	buffer_store_dword v6, off, s[0:3], 0 offset:64
	buffer_store_dword v6, off, s[0:3], 0 offset:68
	;; [unrolled: 1-line block ×4, first 2 shown]
	s_waitcnt vmcnt(4)
	ds_write_b128 v79, v[2:5]
.LBB11_77:
	s_or_b64 exec, exec, s[6:7]
	s_waitcnt lgkmcnt(0)
	; wave barrier
	s_waitcnt lgkmcnt(0)
	buffer_load_dword v20, off, s[0:3], 0 offset:88
	buffer_load_dword v21, off, s[0:3], 0 offset:92
	;; [unrolled: 1-line block ×32, first 2 shown]
	v_mov_b32_e32 v2, 0
	ds_read_b128 v[4:7], v2 offset:272
	ds_read_b128 v[8:11], v2 offset:288
	;; [unrolled: 1-line block ×7, first 2 shown]
	v_cmp_lt_u32_e32 vcc, 3, v78
	s_waitcnt vmcnt(30) lgkmcnt(6)
	v_mul_f64 v[100:101], v[4:5], v[20:21]
	v_mul_f64 v[20:21], v[6:7], v[20:21]
	s_waitcnt vmcnt(28) lgkmcnt(5)
	v_mul_f64 v[102:103], v[8:9], v[58:59]
	v_mul_f64 v[58:59], v[10:11], v[58:59]
	s_waitcnt vmcnt(26) lgkmcnt(4)
	v_mul_f64 v[104:105], v[12:13], v[60:61]
	v_mul_f64 v[60:61], v[14:15], v[60:61]
	s_waitcnt vmcnt(24) lgkmcnt(2)
	v_mul_f64 v[108:109], v[46:47], v[62:63]
	v_mul_f64 v[62:63], v[48:49], v[62:63]
	s_waitcnt vmcnt(21)
	v_mul_f64 v[106:107], v[16:17], v[66:67]
	v_mul_f64 v[66:67], v[18:19], v[66:67]
	s_waitcnt vmcnt(17) lgkmcnt(1)
	v_mul_f64 v[110:111], v[50:51], v[84:85]
	v_mul_f64 v[84:85], v[52:53], v[84:85]
	s_waitcnt vmcnt(16) lgkmcnt(0)
	v_mul_f64 v[112:113], v[54:55], v[80:81]
	v_mul_f64 v[80:81], v[56:57], v[80:81]
	s_waitcnt vmcnt(13)
	v_fma_f64 v[4:5], v[4:5], v[86:87], -v[20:21]
	v_fmac_f64_e32 v[100:101], v[6:7], v[86:87]
	s_waitcnt vmcnt(11)
	v_fma_f64 v[6:7], v[8:9], v[88:89], -v[58:59]
	v_add_f64 v[4:5], v[4:5], 0
	v_fmac_f64_e32 v[102:103], v[10:11], v[88:89]
	s_waitcnt vmcnt(9)
	v_fma_f64 v[8:9], v[12:13], v[90:91], -v[60:61]
	s_waitcnt vmcnt(7)
	v_fmac_f64_e32 v[106:107], v[18:19], v[92:93]
	v_add_f64 v[18:19], v[100:101], 0
	v_add_f64 v[4:5], v[4:5], v[6:7]
	v_fmac_f64_e32 v[104:105], v[14:15], v[90:91]
	v_fma_f64 v[10:11], v[16:17], v[92:93], -v[66:67]
	v_add_f64 v[18:19], v[18:19], v[102:103]
	v_add_f64 v[4:5], v[4:5], v[8:9]
	v_fma_f64 v[12:13], v[46:47], v[64:65], -v[62:63]
	v_add_f64 v[6:7], v[18:19], v[104:105]
	v_add_f64 v[4:5], v[4:5], v[10:11]
	v_fmac_f64_e32 v[108:109], v[48:49], v[64:65]
	s_waitcnt vmcnt(5)
	v_fma_f64 v[14:15], v[50:51], v[94:95], -v[84:85]
	v_add_f64 v[6:7], v[6:7], v[106:107]
	v_add_f64 v[4:5], v[4:5], v[12:13]
	v_fmac_f64_e32 v[110:111], v[52:53], v[94:95]
	s_waitcnt vmcnt(4)
	v_fma_f64 v[16:17], v[54:55], v[82:83], -v[80:81]
	v_add_f64 v[6:7], v[6:7], v[108:109]
	v_add_f64 v[4:5], v[4:5], v[14:15]
	v_fmac_f64_e32 v[112:113], v[56:57], v[82:83]
	v_add_f64 v[6:7], v[6:7], v[110:111]
	v_add_f64 v[4:5], v[4:5], v[16:17]
	;; [unrolled: 1-line block ×3, first 2 shown]
	s_waitcnt vmcnt(2)
	v_add_f64 v[4:5], v[96:97], -v[4:5]
	s_waitcnt vmcnt(0)
	v_add_f64 v[6:7], v[98:99], -v[6:7]
	buffer_store_dword v5, off, s[0:3], 0 offset:68
	buffer_store_dword v4, off, s[0:3], 0 offset:64
	;; [unrolled: 1-line block ×4, first 2 shown]
	s_and_saveexec_b64 s[6:7], vcc
	s_cbranch_execz .LBB11_79
; %bb.78:
	buffer_load_dword v4, v77, s[0:3], 0 offen
	buffer_load_dword v5, v77, s[0:3], 0 offen offset:4
	buffer_load_dword v6, v77, s[0:3], 0 offen offset:8
	;; [unrolled: 1-line block ×3, first 2 shown]
	s_nop 0
	buffer_store_dword v2, off, s[0:3], 0 offset:48
	buffer_store_dword v2, off, s[0:3], 0 offset:52
	;; [unrolled: 1-line block ×4, first 2 shown]
	s_waitcnt vmcnt(4)
	ds_write_b128 v79, v[4:7]
.LBB11_79:
	s_or_b64 exec, exec, s[6:7]
	s_waitcnt lgkmcnt(0)
	; wave barrier
	s_waitcnt lgkmcnt(0)
	buffer_load_dword v20, off, s[0:3], 0 offset:72
	buffer_load_dword v21, off, s[0:3], 0 offset:76
	;; [unrolled: 1-line block ×36, first 2 shown]
	ds_read_b128 v[4:7], v2 offset:256
	ds_read_b128 v[8:11], v2 offset:272
	;; [unrolled: 1-line block ×8, first 2 shown]
	v_cmp_lt_u32_e32 vcc, 2, v78
	s_waitcnt vmcnt(34) lgkmcnt(7)
	v_mul_f64 v[2:3], v[4:5], v[20:21]
	v_mul_f64 v[20:21], v[6:7], v[20:21]
	s_waitcnt vmcnt(32) lgkmcnt(6)
	v_mul_f64 v[108:109], v[8:9], v[62:63]
	v_mul_f64 v[62:63], v[10:11], v[62:63]
	;; [unrolled: 3-line block ×4, first 2 shown]
	s_waitcnt vmcnt(25)
	v_mul_f64 v[112:113], v[16:17], v[82:83]
	v_mul_f64 v[82:83], v[18:19], v[82:83]
	s_waitcnt vmcnt(23) lgkmcnt(1)
	v_mul_f64 v[118:119], v[54:55], v[84:85]
	v_mul_f64 v[84:85], v[56:57], v[84:85]
	s_waitcnt vmcnt(20)
	v_mul_f64 v[116:117], v[50:51], v[88:89]
	v_mul_f64 v[88:89], v[52:53], v[88:89]
	s_waitcnt vmcnt(18) lgkmcnt(0)
	v_mul_f64 v[120:121], v[58:59], v[90:91]
	s_waitcnt vmcnt(17)
	v_fmac_f64_e32 v[114:115], v[48:49], v[80:81]
	s_waitcnt vmcnt(16)
	v_fmac_f64_e32 v[118:119], v[56:57], v[86:87]
	s_waitcnt vmcnt(14)
	v_fma_f64 v[4:5], v[4:5], v[92:93], -v[20:21]
	v_fmac_f64_e32 v[2:3], v[6:7], v[92:93]
	s_waitcnt vmcnt(12)
	v_fma_f64 v[6:7], v[8:9], v[94:95], -v[62:63]
	v_add_f64 v[4:5], v[4:5], 0
	v_fmac_f64_e32 v[108:109], v[10:11], v[94:95]
	s_waitcnt vmcnt(10)
	v_fma_f64 v[8:9], v[12:13], v[96:97], -v[64:65]
	v_add_f64 v[2:3], v[2:3], 0
	v_add_f64 v[4:5], v[4:5], v[6:7]
	v_fmac_f64_e32 v[110:111], v[14:15], v[96:97]
	s_waitcnt vmcnt(8)
	v_fma_f64 v[10:11], v[16:17], v[98:99], -v[82:83]
	v_add_f64 v[2:3], v[2:3], v[108:109]
	v_add_f64 v[4:5], v[4:5], v[8:9]
	v_fmac_f64_e32 v[112:113], v[18:19], v[98:99]
	v_fma_f64 v[12:13], v[46:47], v[80:81], -v[66:67]
	v_add_f64 v[2:3], v[2:3], v[110:111]
	v_add_f64 v[4:5], v[4:5], v[10:11]
	s_waitcnt vmcnt(6)
	v_fma_f64 v[14:15], v[50:51], v[100:101], -v[88:89]
	v_add_f64 v[2:3], v[2:3], v[112:113]
	v_add_f64 v[4:5], v[4:5], v[12:13]
	v_fmac_f64_e32 v[116:117], v[52:53], v[100:101]
	v_fma_f64 v[16:17], v[54:55], v[86:87], -v[84:85]
	v_add_f64 v[2:3], v[2:3], v[114:115]
	v_add_f64 v[4:5], v[4:5], v[14:15]
	v_mul_f64 v[6:7], v[60:61], v[90:91]
	v_add_f64 v[2:3], v[2:3], v[116:117]
	v_add_f64 v[4:5], v[4:5], v[16:17]
	s_waitcnt vmcnt(4)
	v_fma_f64 v[6:7], v[58:59], v[102:103], -v[6:7]
	v_fmac_f64_e32 v[120:121], v[60:61], v[102:103]
	v_add_f64 v[2:3], v[2:3], v[118:119]
	v_add_f64 v[4:5], v[4:5], v[6:7]
	;; [unrolled: 1-line block ×3, first 2 shown]
	s_waitcnt vmcnt(2)
	v_add_f64 v[4:5], v[104:105], -v[4:5]
	s_waitcnt vmcnt(0)
	v_add_f64 v[2:3], v[106:107], -v[2:3]
	buffer_store_dword v5, off, s[0:3], 0 offset:52
	buffer_store_dword v4, off, s[0:3], 0 offset:48
	;; [unrolled: 1-line block ×4, first 2 shown]
	s_and_saveexec_b64 s[6:7], vcc
	s_cbranch_execz .LBB11_81
; %bb.80:
	buffer_load_dword v2, v76, s[0:3], 0 offen
	buffer_load_dword v3, v76, s[0:3], 0 offen offset:4
	buffer_load_dword v4, v76, s[0:3], 0 offen offset:8
	;; [unrolled: 1-line block ×3, first 2 shown]
	v_mov_b32_e32 v6, 0
	buffer_store_dword v6, off, s[0:3], 0 offset:32
	buffer_store_dword v6, off, s[0:3], 0 offset:36
	;; [unrolled: 1-line block ×4, first 2 shown]
	s_waitcnt vmcnt(4)
	ds_write_b128 v79, v[2:5]
.LBB11_81:
	s_or_b64 exec, exec, s[6:7]
	v_mov_b32_e32 v80, 0
	s_waitcnt lgkmcnt(0)
	; wave barrier
	s_waitcnt lgkmcnt(0)
	ds_read_b128 v[14:17], v80 offset:240
	ds_read_b128 v[10:13], v80 offset:256
	;; [unrolled: 1-line block ×4, first 2 shown]
	buffer_load_dword v48, off, s[0:3], 0 offset:32
	buffer_load_dword v49, off, s[0:3], 0 offset:36
	;; [unrolled: 1-line block ×20, first 2 shown]
	v_cmp_lt_u32_e32 vcc, 1, v78
	s_waitcnt vmcnt(12) lgkmcnt(3)
	v_mul_f64 v[18:19], v[14:15], v[60:61]
	v_fmac_f64_e32 v[18:19], v[16:17], v[50:51]
	v_add_f64 v[18:19], v[18:19], 0
	v_mul_f64 v[16:17], v[16:17], v[60:61]
	s_waitcnt vmcnt(8) lgkmcnt(2)
	v_mul_f64 v[20:21], v[10:11], v[62:63]
	v_fmac_f64_e32 v[20:21], v[12:13], v[56:57]
	v_add_f64 v[18:19], v[18:19], v[20:21]
	v_fma_f64 v[14:15], v[14:15], v[50:51], -v[16:17]
	s_waitcnt vmcnt(4) lgkmcnt(1)
	v_mul_f64 v[20:21], v[6:7], v[64:65]
	v_fmac_f64_e32 v[20:21], v[8:9], v[58:59]
	v_add_f64 v[18:19], v[18:19], v[20:21]
	s_waitcnt vmcnt(0) lgkmcnt(0)
	v_mul_f64 v[20:21], v[2:3], v[66:67]
	v_fmac_f64_e32 v[20:21], v[4:5], v[54:55]
	v_add_f64 v[82:83], v[18:19], v[20:21]
	ds_read_b128 v[18:21], v80 offset:304
	buffer_load_dword v53, off, s[0:3], 0 offset:116
	buffer_load_dword v52, off, s[0:3], 0 offset:112
	;; [unrolled: 1-line block ×4, first 2 shown]
	v_mul_f64 v[12:13], v[12:13], v[62:63]
	v_add_f64 v[14:15], v[14:15], 0
	v_fma_f64 v[10:11], v[10:11], v[56:57], -v[12:13]
	v_mul_f64 v[8:9], v[8:9], v[64:65]
	v_add_f64 v[10:11], v[14:15], v[10:11]
	v_fma_f64 v[6:7], v[6:7], v[58:59], -v[8:9]
	;; [unrolled: 3-line block ×3, first 2 shown]
	v_add_f64 v[2:3], v[6:7], v[2:3]
	s_waitcnt vmcnt(0) lgkmcnt(0)
	v_mul_f64 v[84:85], v[18:19], v[98:99]
	v_fmac_f64_e32 v[84:85], v[20:21], v[52:53]
	v_add_f64 v[86:87], v[82:83], v[84:85]
	ds_read_b128 v[82:85], v80 offset:320
	buffer_load_dword v101, off, s[0:3], 0 offset:132
	buffer_load_dword v100, off, s[0:3], 0 offset:128
	buffer_load_dword v103, off, s[0:3], 0 offset:140
	buffer_load_dword v102, off, s[0:3], 0 offset:136
	v_mul_f64 v[4:5], v[20:21], v[98:99]
	v_fma_f64 v[4:5], v[18:19], v[52:53], -v[4:5]
	v_add_f64 v[2:3], v[2:3], v[4:5]
	s_waitcnt vmcnt(0) lgkmcnt(0)
	v_mul_f64 v[88:89], v[82:83], v[102:103]
	v_fmac_f64_e32 v[88:89], v[84:85], v[100:101]
	v_add_f64 v[90:91], v[86:87], v[88:89]
	ds_read_b128 v[86:89], v80 offset:336
	buffer_load_dword v105, off, s[0:3], 0 offset:148
	buffer_load_dword v104, off, s[0:3], 0 offset:144
	buffer_load_dword v107, off, s[0:3], 0 offset:156
	buffer_load_dword v106, off, s[0:3], 0 offset:152
	v_mul_f64 v[4:5], v[84:85], v[102:103]
	v_fma_f64 v[4:5], v[82:83], v[100:101], -v[4:5]
	;; [unrolled: 12-line block ×4, first 2 shown]
	v_add_f64 v[2:3], v[2:3], v[4:5]
	s_waitcnt vmcnt(0) lgkmcnt(0)
	v_mul_f64 v[4:5], v[96:97], v[116:117]
	v_mul_f64 v[118:119], v[94:95], v[116:117]
	v_fma_f64 v[4:5], v[94:95], v[114:115], -v[4:5]
	v_fmac_f64_e32 v[118:119], v[96:97], v[114:115]
	v_add_f64 v[2:3], v[2:3], v[4:5]
	v_add_f64 v[112:113], v[112:113], v[118:119]
	v_add_f64 v[2:3], v[48:49], -v[2:3]
	v_add_f64 v[4:5], v[46:47], -v[112:113]
	buffer_store_dword v3, off, s[0:3], 0 offset:36
	buffer_store_dword v2, off, s[0:3], 0 offset:32
	;; [unrolled: 1-line block ×4, first 2 shown]
	s_and_saveexec_b64 s[6:7], vcc
	s_cbranch_execz .LBB11_83
; %bb.82:
	buffer_load_dword v2, v75, s[0:3], 0 offen
	buffer_load_dword v3, v75, s[0:3], 0 offen offset:4
	buffer_load_dword v4, v75, s[0:3], 0 offen offset:8
	;; [unrolled: 1-line block ×3, first 2 shown]
	s_nop 0
	buffer_store_dword v80, off, s[0:3], 0 offset:16
	buffer_store_dword v80, off, s[0:3], 0 offset:20
	;; [unrolled: 1-line block ×4, first 2 shown]
	s_waitcnt vmcnt(4)
	ds_write_b128 v79, v[2:5]
.LBB11_83:
	s_or_b64 exec, exec, s[6:7]
	s_waitcnt lgkmcnt(0)
	; wave barrier
	s_waitcnt lgkmcnt(0)
	ds_read_b128 v[14:17], v80 offset:224
	ds_read_b128 v[10:13], v80 offset:240
	ds_read_b128 v[6:9], v80 offset:256
	ds_read_b128 v[2:5], v80 offset:272
	buffer_load_dword v48, off, s[0:3], 0 offset:16
	buffer_load_dword v49, off, s[0:3], 0 offset:20
	;; [unrolled: 1-line block ×20, first 2 shown]
	v_cmp_ne_u32_e32 vcc, 0, v78
	s_waitcnt vmcnt(12) lgkmcnt(3)
	v_mul_f64 v[18:19], v[14:15], v[64:65]
	v_fmac_f64_e32 v[18:19], v[16:17], v[62:63]
	v_add_f64 v[18:19], v[18:19], 0
	v_mul_f64 v[16:17], v[16:17], v[64:65]
	s_waitcnt vmcnt(8) lgkmcnt(2)
	v_mul_f64 v[20:21], v[10:11], v[66:67]
	v_fmac_f64_e32 v[20:21], v[12:13], v[54:55]
	v_add_f64 v[18:19], v[18:19], v[20:21]
	v_fma_f64 v[14:15], v[14:15], v[62:63], -v[16:17]
	s_waitcnt vmcnt(4) lgkmcnt(1)
	v_mul_f64 v[20:21], v[6:7], v[52:53]
	v_fmac_f64_e32 v[20:21], v[8:9], v[50:51]
	v_add_f64 v[18:19], v[18:19], v[20:21]
	s_waitcnt vmcnt(0) lgkmcnt(0)
	v_mul_f64 v[20:21], v[2:3], v[58:59]
	v_fmac_f64_e32 v[20:21], v[4:5], v[56:57]
	v_add_f64 v[82:83], v[18:19], v[20:21]
	ds_read_b128 v[18:21], v80 offset:288
	buffer_load_dword v61, off, s[0:3], 0 offset:100
	buffer_load_dword v60, off, s[0:3], 0 offset:96
	;; [unrolled: 1-line block ×4, first 2 shown]
	v_mul_f64 v[12:13], v[12:13], v[66:67]
	v_add_f64 v[14:15], v[14:15], 0
	v_fma_f64 v[10:11], v[10:11], v[54:55], -v[12:13]
	v_mul_f64 v[8:9], v[8:9], v[52:53]
	v_add_f64 v[10:11], v[14:15], v[10:11]
	v_fma_f64 v[6:7], v[6:7], v[50:51], -v[8:9]
	;; [unrolled: 3-line block ×3, first 2 shown]
	v_add_f64 v[2:3], v[6:7], v[2:3]
	s_waitcnt vmcnt(0) lgkmcnt(0)
	v_mul_f64 v[84:85], v[18:19], v[102:103]
	v_fmac_f64_e32 v[84:85], v[20:21], v[60:61]
	v_add_f64 v[86:87], v[82:83], v[84:85]
	ds_read_b128 v[82:85], v80 offset:304
	buffer_load_dword v105, off, s[0:3], 0 offset:116
	buffer_load_dword v104, off, s[0:3], 0 offset:112
	buffer_load_dword v107, off, s[0:3], 0 offset:124
	buffer_load_dword v106, off, s[0:3], 0 offset:120
	v_mul_f64 v[4:5], v[20:21], v[102:103]
	v_fma_f64 v[4:5], v[18:19], v[60:61], -v[4:5]
	v_add_f64 v[2:3], v[2:3], v[4:5]
	s_waitcnt vmcnt(0) lgkmcnt(0)
	v_mul_f64 v[88:89], v[82:83], v[106:107]
	v_fmac_f64_e32 v[88:89], v[84:85], v[104:105]
	v_add_f64 v[90:91], v[86:87], v[88:89]
	ds_read_b128 v[86:89], v80 offset:320
	buffer_load_dword v109, off, s[0:3], 0 offset:132
	buffer_load_dword v108, off, s[0:3], 0 offset:128
	buffer_load_dword v111, off, s[0:3], 0 offset:140
	buffer_load_dword v110, off, s[0:3], 0 offset:136
	v_mul_f64 v[4:5], v[84:85], v[106:107]
	v_fma_f64 v[4:5], v[82:83], v[104:105], -v[4:5]
	;; [unrolled: 12-line block ×5, first 2 shown]
	v_add_f64 v[2:3], v[2:3], v[4:5]
	s_waitcnt vmcnt(0) lgkmcnt(0)
	v_mul_f64 v[4:5], v[100:101], v[122:123]
	v_mul_f64 v[124:125], v[98:99], v[122:123]
	v_fma_f64 v[4:5], v[98:99], v[80:81], -v[4:5]
	v_fmac_f64_e32 v[124:125], v[100:101], v[80:81]
	v_add_f64 v[2:3], v[2:3], v[4:5]
	v_add_f64 v[120:121], v[120:121], v[124:125]
	v_add_f64 v[2:3], v[48:49], -v[2:3]
	v_add_f64 v[4:5], v[46:47], -v[120:121]
	buffer_store_dword v3, off, s[0:3], 0 offset:20
	buffer_store_dword v2, off, s[0:3], 0 offset:16
	;; [unrolled: 1-line block ×4, first 2 shown]
	s_and_saveexec_b64 s[6:7], vcc
	s_cbranch_execz .LBB11_85
; %bb.84:
	buffer_load_dword v2, off, s[0:3], 0
	buffer_load_dword v3, off, s[0:3], 0 offset:4
	buffer_load_dword v4, off, s[0:3], 0 offset:8
	;; [unrolled: 1-line block ×3, first 2 shown]
	v_mov_b32_e32 v6, 0
	buffer_store_dword v6, off, s[0:3], 0
	buffer_store_dword v6, off, s[0:3], 0 offset:4
	buffer_store_dword v6, off, s[0:3], 0 offset:8
	;; [unrolled: 1-line block ×3, first 2 shown]
	s_waitcnt vmcnt(4)
	ds_write_b128 v79, v[2:5]
.LBB11_85:
	s_or_b64 exec, exec, s[6:7]
	s_waitcnt lgkmcnt(0)
	; wave barrier
	s_waitcnt lgkmcnt(0)
	buffer_load_dword v2, off, s[0:3], 0 offset:16
	buffer_load_dword v3, off, s[0:3], 0 offset:20
	;; [unrolled: 1-line block ×44, first 2 shown]
	buffer_load_dword v126, off, s[0:3], 0
	buffer_load_dword v127, off, s[0:3], 0 offset:4
	buffer_load_dword v128, off, s[0:3], 0 offset:8
	;; [unrolled: 1-line block ×3, first 2 shown]
	v_mov_b32_e32 v79, 0
	ds_read_b128 v[12:15], v79 offset:208
	ds_read_b128 v[16:19], v79 offset:224
	;; [unrolled: 1-line block ×11, first 2 shown]
	s_and_b64 vcc, exec, s[26:27]
	s_waitcnt vmcnt(44) lgkmcnt(10)
	v_mul_f64 v[130:131], v[12:13], v[6:7]
	v_mul_f64 v[6:7], v[14:15], v[6:7]
	v_fmac_f64_e32 v[130:131], v[14:15], v[2:3]
	v_fma_f64 v[2:3], v[12:13], v[2:3], -v[6:7]
	s_waitcnt vmcnt(40) lgkmcnt(9)
	v_mul_f64 v[132:133], v[16:17], v[8:9]
	v_mul_f64 v[6:7], v[18:19], v[8:9]
	v_fmac_f64_e32 v[132:133], v[18:19], v[4:5]
	v_add_f64 v[2:3], v[2:3], 0
	v_fma_f64 v[4:5], v[16:17], v[4:5], -v[6:7]
	v_add_f64 v[2:3], v[2:3], v[4:5]
	s_waitcnt vmcnt(38) lgkmcnt(8)
	v_mul_f64 v[4:5], v[48:49], v[10:11]
	v_mul_f64 v[134:135], v[46:47], v[10:11]
	v_add_f64 v[130:131], v[130:131], 0
	s_waitcnt vmcnt(32) lgkmcnt(7)
	v_mul_f64 v[136:137], v[50:51], v[96:97]
	v_add_f64 v[130:131], v[130:131], v[132:133]
	s_waitcnt lgkmcnt(6)
	v_mul_f64 v[138:139], v[54:55], v[20:21]
	v_fmac_f64_e32 v[138:139], v[56:57], v[66:67]
	s_waitcnt vmcnt(30) lgkmcnt(4)
	v_mul_f64 v[142:143], v[62:63], v[98:99]
	s_waitcnt vmcnt(26)
	v_mul_f64 v[140:141], v[58:59], v[102:103]
	v_fmac_f64_e32 v[142:143], v[64:65], v[100:101]
	s_waitcnt vmcnt(24) lgkmcnt(2)
	v_mul_f64 v[146:147], v[84:85], v[104:105]
	s_waitcnt vmcnt(22)
	v_fmac_f64_e32 v[146:147], v[86:87], v[106:107]
	s_waitcnt vmcnt(20)
	v_mul_f64 v[144:145], v[80:81], v[108:109]
	s_waitcnt vmcnt(18) lgkmcnt(1)
	v_mul_f64 v[148:149], v[88:89], v[110:111]
	s_waitcnt vmcnt(16)
	v_fma_f64 v[4:5], v[46:47], v[112:113], -v[4:5]
	v_add_f64 v[2:3], v[2:3], v[4:5]
	v_mul_f64 v[4:5], v[52:53], v[96:97]
	s_waitcnt vmcnt(14)
	v_fma_f64 v[4:5], v[50:51], v[114:115], -v[4:5]
	v_add_f64 v[2:3], v[2:3], v[4:5]
	v_mul_f64 v[4:5], v[56:57], v[20:21]
	v_fma_f64 v[4:5], v[54:55], v[66:67], -v[4:5]
	v_add_f64 v[2:3], v[2:3], v[4:5]
	v_mul_f64 v[4:5], v[60:61], v[102:103]
	s_waitcnt vmcnt(12)
	v_fma_f64 v[4:5], v[58:59], v[116:117], -v[4:5]
	v_add_f64 v[2:3], v[2:3], v[4:5]
	v_mul_f64 v[4:5], v[64:65], v[98:99]
	v_fma_f64 v[4:5], v[62:63], v[100:101], -v[4:5]
	v_fmac_f64_e32 v[134:135], v[48:49], v[112:113]
	v_add_f64 v[2:3], v[2:3], v[4:5]
	v_mul_f64 v[4:5], v[82:83], v[108:109]
	v_fmac_f64_e32 v[136:137], v[52:53], v[114:115]
	v_add_f64 v[130:131], v[130:131], v[134:135]
	s_waitcnt vmcnt(10)
	v_fma_f64 v[4:5], v[80:81], v[118:119], -v[4:5]
	v_add_f64 v[130:131], v[130:131], v[136:137]
	v_add_f64 v[2:3], v[2:3], v[4:5]
	v_mul_f64 v[4:5], v[86:87], v[104:105]
	v_fmac_f64_e32 v[140:141], v[60:61], v[116:117]
	v_add_f64 v[130:131], v[130:131], v[138:139]
	v_fma_f64 v[4:5], v[84:85], v[106:107], -v[4:5]
	v_add_f64 v[130:131], v[130:131], v[140:141]
	v_add_f64 v[2:3], v[2:3], v[4:5]
	v_mul_f64 v[4:5], v[90:91], v[110:111]
	v_fmac_f64_e32 v[144:145], v[82:83], v[118:119]
	v_add_f64 v[130:131], v[130:131], v[142:143]
	s_waitcnt vmcnt(8)
	v_fma_f64 v[4:5], v[88:89], v[120:121], -v[4:5]
	v_add_f64 v[130:131], v[130:131], v[144:145]
	v_add_f64 v[2:3], v[2:3], v[4:5]
	s_waitcnt vmcnt(5) lgkmcnt(0)
	v_mul_f64 v[4:5], v[94:95], v[122:123]
	v_fmac_f64_e32 v[148:149], v[90:91], v[120:121]
	v_add_f64 v[130:131], v[130:131], v[146:147]
	v_mul_f64 v[132:133], v[92:93], v[122:123]
	s_waitcnt vmcnt(4)
	v_fma_f64 v[4:5], v[92:93], v[124:125], -v[4:5]
	v_add_f64 v[130:131], v[130:131], v[148:149]
	v_fmac_f64_e32 v[132:133], v[94:95], v[124:125]
	v_add_f64 v[2:3], v[2:3], v[4:5]
	v_add_f64 v[130:131], v[130:131], v[132:133]
	s_waitcnt vmcnt(2)
	v_add_f64 v[2:3], v[126:127], -v[2:3]
	s_waitcnt vmcnt(0)
	v_add_f64 v[4:5], v[128:129], -v[130:131]
	buffer_store_dword v3, off, s[0:3], 0 offset:4
	buffer_store_dword v2, off, s[0:3], 0
	buffer_store_dword v5, off, s[0:3], 0 offset:12
	buffer_store_dword v4, off, s[0:3], 0 offset:8
	s_cbranch_vccz .LBB11_109
; %bb.86:
	v_pk_mov_b32 v[2:3], s[24:25], s[24:25] op_sel:[0,1]
	flat_load_dword v2, v[2:3] offset:40
	s_load_dwordx2 s[4:5], s[4:5], 0x4
	v_bfe_u32 v4, v0, 10, 10
	v_bfe_u32 v0, v0, 20, 10
	s_waitcnt lgkmcnt(0)
	s_lshr_b32 s4, s4, 16
	s_mul_i32 s4, s4, s5
	v_mul_u32_u24_e32 v3, s4, v78
	v_mul_u32_u24_e32 v4, s5, v4
	v_add3_u32 v0, v3, v4, v0
	v_mov_b32_e32 v3, 0x188
	v_lshl_add_u32 v0, v0, 4, v3
	s_waitcnt vmcnt(0)
	v_add_u32_e32 v2, -1, v2
	v_cmp_ne_u32_e32 vcc, 10, v2
	s_and_saveexec_b64 s[4:5], vcc
	s_cbranch_execz .LBB11_88
; %bb.87:
	v_mov_b32_e32 v3, 0
	v_lshl_add_u32 v6, v2, 4, v3
	buffer_load_dword v2, v70, s[0:3], 0 offen
	buffer_load_dword v3, v70, s[0:3], 0 offen offset:4
	buffer_load_dword v4, v70, s[0:3], 0 offen offset:8
	buffer_load_dword v5, v70, s[0:3], 0 offen offset:12
	buffer_load_dword v7, v6, s[0:3], 0 offen
	buffer_load_dword v8, v6, s[0:3], 0 offen offset:4
	buffer_load_dword v9, v6, s[0:3], 0 offen offset:8
	buffer_load_dword v10, v6, s[0:3], 0 offen offset:12
	s_waitcnt vmcnt(4)
	ds_write2_b64 v0, v[2:3], v[4:5] offset1:1
	s_waitcnt vmcnt(3)
	buffer_store_dword v7, v70, s[0:3], 0 offen
	s_waitcnt vmcnt(3)
	buffer_store_dword v8, v70, s[0:3], 0 offen offset:4
	s_waitcnt vmcnt(3)
	buffer_store_dword v9, v70, s[0:3], 0 offen offset:8
	s_waitcnt vmcnt(3)
	buffer_store_dword v10, v70, s[0:3], 0 offen offset:12
	buffer_store_dword v5, v6, s[0:3], 0 offen offset:12
	buffer_store_dword v4, v6, s[0:3], 0 offen offset:8
	buffer_store_dword v3, v6, s[0:3], 0 offen offset:4
	buffer_store_dword v2, v6, s[0:3], 0 offen
.LBB11_88:
	s_or_b64 exec, exec, s[4:5]
	v_pk_mov_b32 v[2:3], s[24:25], s[24:25] op_sel:[0,1]
	flat_load_dword v2, v[2:3] offset:36
	s_waitcnt vmcnt(0) lgkmcnt(0)
	v_add_u32_e32 v2, -1, v2
	v_cmp_ne_u32_e32 vcc, 9, v2
	s_and_saveexec_b64 s[4:5], vcc
	s_cbranch_execz .LBB11_90
; %bb.89:
	v_mov_b32_e32 v3, 0
	v_lshl_add_u32 v6, v2, 4, v3
	buffer_load_dword v2, v69, s[0:3], 0 offen
	buffer_load_dword v3, v69, s[0:3], 0 offen offset:4
	buffer_load_dword v4, v69, s[0:3], 0 offen offset:8
	buffer_load_dword v5, v69, s[0:3], 0 offen offset:12
	buffer_load_dword v7, v6, s[0:3], 0 offen
	buffer_load_dword v8, v6, s[0:3], 0 offen offset:4
	buffer_load_dword v9, v6, s[0:3], 0 offen offset:8
	buffer_load_dword v10, v6, s[0:3], 0 offen offset:12
	s_waitcnt vmcnt(4)
	ds_write2_b64 v0, v[2:3], v[4:5] offset1:1
	s_waitcnt vmcnt(3)
	buffer_store_dword v7, v69, s[0:3], 0 offen
	s_waitcnt vmcnt(3)
	buffer_store_dword v8, v69, s[0:3], 0 offen offset:4
	s_waitcnt vmcnt(3)
	buffer_store_dword v9, v69, s[0:3], 0 offen offset:8
	s_waitcnt vmcnt(3)
	buffer_store_dword v10, v69, s[0:3], 0 offen offset:12
	buffer_store_dword v5, v6, s[0:3], 0 offen offset:12
	buffer_store_dword v4, v6, s[0:3], 0 offen offset:8
	buffer_store_dword v3, v6, s[0:3], 0 offen offset:4
	buffer_store_dword v2, v6, s[0:3], 0 offen
.LBB11_90:
	s_or_b64 exec, exec, s[4:5]
	v_pk_mov_b32 v[2:3], s[24:25], s[24:25] op_sel:[0,1]
	flat_load_dword v2, v[2:3] offset:32
	s_waitcnt vmcnt(0) lgkmcnt(0)
	;; [unrolled: 34-line block ×9, first 2 shown]
	v_add_u32_e32 v2, -1, v2
	v_cmp_ne_u32_e32 vcc, 1, v2
	s_and_saveexec_b64 s[4:5], vcc
	s_cbranch_execz .LBB11_106
; %bb.105:
	v_mov_b32_e32 v3, 0
	v_lshl_add_u32 v6, v2, 4, v3
	buffer_load_dword v2, v75, s[0:3], 0 offen
	buffer_load_dword v3, v75, s[0:3], 0 offen offset:4
	buffer_load_dword v4, v75, s[0:3], 0 offen offset:8
	;; [unrolled: 1-line block ×3, first 2 shown]
	buffer_load_dword v7, v6, s[0:3], 0 offen
	buffer_load_dword v8, v6, s[0:3], 0 offen offset:4
	buffer_load_dword v9, v6, s[0:3], 0 offen offset:8
	;; [unrolled: 1-line block ×3, first 2 shown]
	s_waitcnt vmcnt(4)
	ds_write2_b64 v0, v[2:3], v[4:5] offset1:1
	s_waitcnt vmcnt(3)
	buffer_store_dword v7, v75, s[0:3], 0 offen
	s_waitcnt vmcnt(3)
	buffer_store_dword v8, v75, s[0:3], 0 offen offset:4
	s_waitcnt vmcnt(3)
	buffer_store_dword v9, v75, s[0:3], 0 offen offset:8
	;; [unrolled: 2-line block ×3, first 2 shown]
	buffer_store_dword v5, v6, s[0:3], 0 offen offset:12
	buffer_store_dword v4, v6, s[0:3], 0 offen offset:8
	;; [unrolled: 1-line block ×3, first 2 shown]
	buffer_store_dword v2, v6, s[0:3], 0 offen
.LBB11_106:
	s_or_b64 exec, exec, s[4:5]
	v_pk_mov_b32 v[2:3], s[24:25], s[24:25] op_sel:[0,1]
	flat_load_dword v2, v[2:3]
	s_waitcnt vmcnt(0) lgkmcnt(0)
	v_add_u32_e32 v2, -1, v2
	v_cmp_ne_u32_e32 vcc, 0, v2
	s_and_saveexec_b64 s[4:5], vcc
	s_cbranch_execz .LBB11_108
; %bb.107:
	v_mov_b32_e32 v3, 0
	v_lshl_add_u32 v6, v2, 4, v3
	buffer_load_dword v2, off, s[0:3], 0
	buffer_load_dword v3, off, s[0:3], 0 offset:4
	buffer_load_dword v4, off, s[0:3], 0 offset:8
	;; [unrolled: 1-line block ×3, first 2 shown]
	buffer_load_dword v7, v6, s[0:3], 0 offen
	buffer_load_dword v8, v6, s[0:3], 0 offen offset:4
	buffer_load_dword v9, v6, s[0:3], 0 offen offset:8
	;; [unrolled: 1-line block ×3, first 2 shown]
	s_waitcnt vmcnt(4)
	ds_write2_b64 v0, v[2:3], v[4:5] offset1:1
	s_waitcnt vmcnt(3)
	buffer_store_dword v7, off, s[0:3], 0
	s_waitcnt vmcnt(3)
	buffer_store_dword v8, off, s[0:3], 0 offset:4
	s_waitcnt vmcnt(3)
	buffer_store_dword v9, off, s[0:3], 0 offset:8
	;; [unrolled: 2-line block ×3, first 2 shown]
	buffer_store_dword v5, v6, s[0:3], 0 offen offset:12
	buffer_store_dword v4, v6, s[0:3], 0 offen offset:8
	;; [unrolled: 1-line block ×3, first 2 shown]
	buffer_store_dword v2, v6, s[0:3], 0 offen
.LBB11_108:
	s_or_b64 exec, exec, s[4:5]
.LBB11_109:
	buffer_load_dword v2, off, s[0:3], 0
	buffer_load_dword v3, off, s[0:3], 0 offset:4
	buffer_load_dword v4, off, s[0:3], 0 offset:8
	;; [unrolled: 1-line block ×3, first 2 shown]
	buffer_load_dword v7, v75, s[0:3], 0 offen offset:4
	buffer_load_dword v8, v75, s[0:3], 0 offen offset:8
	;; [unrolled: 1-line block ×3, first 2 shown]
	buffer_load_dword v10, v76, s[0:3], 0 offen
	buffer_load_dword v11, v76, s[0:3], 0 offen offset:4
	buffer_load_dword v12, v76, s[0:3], 0 offen offset:8
	buffer_load_dword v6, v75, s[0:3], 0 offen
	buffer_load_dword v13, v76, s[0:3], 0 offen offset:12
	buffer_load_dword v15, v77, s[0:3], 0 offen offset:4
	;; [unrolled: 1-line block ×4, first 2 shown]
	buffer_load_dword v18, v72, s[0:3], 0 offen
	buffer_load_dword v19, v72, s[0:3], 0 offen offset:4
	buffer_load_dword v20, v72, s[0:3], 0 offen offset:8
	buffer_load_dword v14, v77, s[0:3], 0 offen
                                        ; kill: killed $vgpr75
                                        ; kill: killed $vgpr77
                                        ; kill: killed $vgpr76
	buffer_load_dword v21, v72, s[0:3], 0 offen offset:12
	buffer_load_dword v47, v73, s[0:3], 0 offen offset:4
	;; [unrolled: 1-line block ×4, first 2 shown]
	buffer_load_dword v50, v74, s[0:3], 0 offen
	buffer_load_dword v51, v74, s[0:3], 0 offen offset:4
	buffer_load_dword v52, v74, s[0:3], 0 offen offset:8
	buffer_load_dword v46, v73, s[0:3], 0 offen
	buffer_load_dword v53, v74, s[0:3], 0 offen offset:12
	buffer_load_dword v55, v1, s[0:3], 0 offen offset:4
	;; [unrolled: 1-line block ×4, first 2 shown]
	buffer_load_dword v58, v68, s[0:3], 0 offen
	buffer_load_dword v59, v68, s[0:3], 0 offen offset:4
	buffer_load_dword v60, v68, s[0:3], 0 offen offset:8
                                        ; kill: killed $vgpr73
                                        ; kill: killed $vgpr72
                                        ; kill: killed $vgpr74
	buffer_load_dword v54, v1, s[0:3], 0 offen
	buffer_load_dword v61, v68, s[0:3], 0 offen offset:12
	buffer_load_dword v63, v69, s[0:3], 0 offen offset:4
	;; [unrolled: 1-line block ×4, first 2 shown]
	buffer_load_dword v72, v70, s[0:3], 0 offen
	buffer_load_dword v73, v70, s[0:3], 0 offen offset:4
	buffer_load_dword v74, v70, s[0:3], 0 offen offset:8
	buffer_load_dword v62, v69, s[0:3], 0 offen
	buffer_load_dword v75, v70, s[0:3], 0 offen offset:12
	buffer_load_dword v76, v71, s[0:3], 0 offen
	buffer_load_dword v77, v71, s[0:3], 0 offen offset:4
	buffer_load_dword v78, v71, s[0:3], 0 offen offset:8
	;; [unrolled: 1-line block ×3, first 2 shown]
	s_waitcnt vmcnt(44)
	global_store_dwordx4 v[22:23], v[2:5], off
	s_waitcnt vmcnt(38)
	global_store_dwordx4 v[24:25], v[6:9], off
	;; [unrolled: 2-line block ×12, first 2 shown]
	s_endpgm
	.section	.rodata,"a",@progbits
	.p2align	6, 0x0
	.amdhsa_kernel _ZN9rocsolver6v33100L18getri_kernel_smallILi12E19rocblas_complex_numIdEPS3_EEvT1_iilPiilS6_bb
		.amdhsa_group_segment_fixed_size 1416
		.amdhsa_private_segment_fixed_size 208
		.amdhsa_kernarg_size 60
		.amdhsa_user_sgpr_count 10
		.amdhsa_user_sgpr_private_segment_buffer 1
		.amdhsa_user_sgpr_dispatch_ptr 1
		.amdhsa_user_sgpr_queue_ptr 0
		.amdhsa_user_sgpr_kernarg_segment_ptr 1
		.amdhsa_user_sgpr_dispatch_id 0
		.amdhsa_user_sgpr_flat_scratch_init 1
		.amdhsa_user_sgpr_kernarg_preload_length 0
		.amdhsa_user_sgpr_kernarg_preload_offset 0
		.amdhsa_user_sgpr_private_segment_size 0
		.amdhsa_uses_dynamic_stack 0
		.amdhsa_system_sgpr_private_segment_wavefront_offset 1
		.amdhsa_system_sgpr_workgroup_id_x 1
		.amdhsa_system_sgpr_workgroup_id_y 0
		.amdhsa_system_sgpr_workgroup_id_z 0
		.amdhsa_system_sgpr_workgroup_info 0
		.amdhsa_system_vgpr_workitem_id 2
		.amdhsa_next_free_vgpr 150
		.amdhsa_next_free_sgpr 28
		.amdhsa_accum_offset 152
		.amdhsa_reserve_vcc 1
		.amdhsa_reserve_flat_scratch 1
		.amdhsa_float_round_mode_32 0
		.amdhsa_float_round_mode_16_64 0
		.amdhsa_float_denorm_mode_32 3
		.amdhsa_float_denorm_mode_16_64 3
		.amdhsa_dx10_clamp 1
		.amdhsa_ieee_mode 1
		.amdhsa_fp16_overflow 0
		.amdhsa_tg_split 0
		.amdhsa_exception_fp_ieee_invalid_op 0
		.amdhsa_exception_fp_denorm_src 0
		.amdhsa_exception_fp_ieee_div_zero 0
		.amdhsa_exception_fp_ieee_overflow 0
		.amdhsa_exception_fp_ieee_underflow 0
		.amdhsa_exception_fp_ieee_inexact 0
		.amdhsa_exception_int_div_zero 0
	.end_amdhsa_kernel
	.section	.text._ZN9rocsolver6v33100L18getri_kernel_smallILi12E19rocblas_complex_numIdEPS3_EEvT1_iilPiilS6_bb,"axG",@progbits,_ZN9rocsolver6v33100L18getri_kernel_smallILi12E19rocblas_complex_numIdEPS3_EEvT1_iilPiilS6_bb,comdat
.Lfunc_end11:
	.size	_ZN9rocsolver6v33100L18getri_kernel_smallILi12E19rocblas_complex_numIdEPS3_EEvT1_iilPiilS6_bb, .Lfunc_end11-_ZN9rocsolver6v33100L18getri_kernel_smallILi12E19rocblas_complex_numIdEPS3_EEvT1_iilPiilS6_bb
                                        ; -- End function
	.section	.AMDGPU.csdata,"",@progbits
; Kernel info:
; codeLenInByte = 16380
; NumSgprs: 34
; NumVgprs: 150
; NumAgprs: 0
; TotalNumVgprs: 150
; ScratchSize: 208
; MemoryBound: 0
; FloatMode: 240
; IeeeMode: 1
; LDSByteSize: 1416 bytes/workgroup (compile time only)
; SGPRBlocks: 4
; VGPRBlocks: 18
; NumSGPRsForWavesPerEU: 34
; NumVGPRsForWavesPerEU: 150
; AccumOffset: 152
; Occupancy: 3
; WaveLimiterHint : 1
; COMPUTE_PGM_RSRC2:SCRATCH_EN: 1
; COMPUTE_PGM_RSRC2:USER_SGPR: 10
; COMPUTE_PGM_RSRC2:TRAP_HANDLER: 0
; COMPUTE_PGM_RSRC2:TGID_X_EN: 1
; COMPUTE_PGM_RSRC2:TGID_Y_EN: 0
; COMPUTE_PGM_RSRC2:TGID_Z_EN: 0
; COMPUTE_PGM_RSRC2:TIDIG_COMP_CNT: 2
; COMPUTE_PGM_RSRC3_GFX90A:ACCUM_OFFSET: 37
; COMPUTE_PGM_RSRC3_GFX90A:TG_SPLIT: 0
	.section	.text._ZN9rocsolver6v33100L18getri_kernel_smallILi13E19rocblas_complex_numIdEPS3_EEvT1_iilPiilS6_bb,"axG",@progbits,_ZN9rocsolver6v33100L18getri_kernel_smallILi13E19rocblas_complex_numIdEPS3_EEvT1_iilPiilS6_bb,comdat
	.globl	_ZN9rocsolver6v33100L18getri_kernel_smallILi13E19rocblas_complex_numIdEPS3_EEvT1_iilPiilS6_bb ; -- Begin function _ZN9rocsolver6v33100L18getri_kernel_smallILi13E19rocblas_complex_numIdEPS3_EEvT1_iilPiilS6_bb
	.p2align	8
	.type	_ZN9rocsolver6v33100L18getri_kernel_smallILi13E19rocblas_complex_numIdEPS3_EEvT1_iilPiilS6_bb,@function
_ZN9rocsolver6v33100L18getri_kernel_smallILi13E19rocblas_complex_numIdEPS3_EEvT1_iilPiilS6_bb: ; @_ZN9rocsolver6v33100L18getri_kernel_smallILi13E19rocblas_complex_numIdEPS3_EEvT1_iilPiilS6_bb
; %bb.0:
	s_add_u32 flat_scratch_lo, s8, s11
	s_addc_u32 flat_scratch_hi, s9, 0
	s_add_u32 s0, s0, s11
	v_and_b32_e32 v81, 0x3ff, v0
	s_addc_u32 s1, s1, 0
	v_cmp_gt_u32_e32 vcc, 13, v81
	s_and_saveexec_b64 s[8:9], vcc
	s_cbranch_execz .LBB12_66
; %bb.1:
	s_load_dword s8, s[6:7], 0x38
	s_load_dwordx4 s[20:23], s[6:7], 0x10
	s_load_dwordx4 s[12:15], s[6:7], 0x28
                                        ; implicit-def: $sgpr24_sgpr25
	s_waitcnt lgkmcnt(0)
	s_bitcmp1_b32 s8, 8
	s_cselect_b64 s[26:27], -1, 0
	s_ashr_i32 s11, s10, 31
	s_bfe_u32 s9, s8, 0x10008
	s_cmp_eq_u32 s9, 0
	s_cbranch_scc1 .LBB12_3
; %bb.2:
	s_load_dword s16, s[6:7], 0x20
	s_mul_i32 s9, s10, s13
	s_mul_hi_u32 s13, s10, s12
	s_mul_i32 s18, s11, s12
	s_add_i32 s9, s13, s9
	s_add_i32 s13, s9, s18
	s_mul_i32 s12, s10, s12
	s_waitcnt lgkmcnt(0)
	s_ashr_i32 s17, s16, 31
	s_lshl_b64 s[12:13], s[12:13], 2
	s_add_u32 s9, s22, s12
	s_addc_u32 s18, s23, s13
	s_lshl_b64 s[12:13], s[16:17], 2
	s_add_u32 s24, s9, s12
	s_addc_u32 s25, s18, s13
.LBB12_3:
	s_load_dwordx4 s[16:19], s[6:7], 0x0
	s_mul_i32 s6, s10, s21
	s_mul_hi_u32 s7, s10, s20
	s_add_i32 s9, s7, s6
	s_mul_i32 s12, s11, s20
	s_add_i32 s13, s9, s12
	s_mul_i32 s12, s10, s20
	s_waitcnt lgkmcnt(0)
	s_ashr_i32 s7, s18, 31
	s_lshl_b64 s[12:13], s[12:13], 4
	s_mov_b32 s6, s18
	s_add_u32 s9, s16, s12
	s_addc_u32 s12, s17, s13
	s_lshl_b64 s[6:7], s[6:7], 4
	s_add_u32 s6, s9, s6
	s_addc_u32 s7, s12, s7
	v_lshlrev_b32_e32 v12, 4, v81
	v_mov_b32_e32 v1, s7
	v_add_co_u32_e32 v22, vcc, s6, v12
	s_ashr_i32 s13, s19, 31
	s_mov_b32 s12, s19
	s_add_i32 s9, s19, s19
	v_addc_co_u32_e32 v23, vcc, 0, v1, vcc
	s_lshl_b64 s[12:13], s[12:13], 4
	v_add_u32_e32 v10, s9, v81
	v_mov_b32_e32 v1, s13
	v_add_co_u32_e32 v24, vcc, s12, v22
	v_ashrrev_i32_e32 v11, 31, v10
	v_addc_co_u32_e32 v25, vcc, v23, v1, vcc
	v_lshlrev_b64 v[6:7], 4, v[10:11]
	v_add_u32_e32 v10, s19, v10
	v_mov_b32_e32 v1, s7
	v_add_co_u32_e32 v26, vcc, s6, v6
	v_ashrrev_i32_e32 v11, 31, v10
	v_addc_co_u32_e32 v27, vcc, v1, v7, vcc
	v_lshlrev_b64 v[18:19], 4, v[10:11]
	v_add_u32_e32 v10, s19, v10
	v_add_co_u32_e32 v28, vcc, s6, v18
	v_ashrrev_i32_e32 v11, 31, v10
	v_addc_co_u32_e32 v29, vcc, v1, v19, vcc
	v_lshlrev_b64 v[18:19], 4, v[10:11]
	v_add_u32_e32 v10, s19, v10
	v_add_co_u32_e32 v30, vcc, s6, v18
	v_ashrrev_i32_e32 v11, 31, v10
	v_addc_co_u32_e32 v31, vcc, v1, v19, vcc
	v_add_u32_e32 v36, s19, v10
	v_lshlrev_b64 v[10:11], 4, v[10:11]
	v_ashrrev_i32_e32 v37, 31, v36
	v_add_co_u32_e32 v32, vcc, s6, v10
	v_addc_co_u32_e32 v33, vcc, v1, v11, vcc
	v_lshlrev_b64 v[10:11], 4, v[36:37]
	v_mov_b32_e32 v13, s7
	v_add_co_u32_e32 v34, vcc, s6, v10
	v_add_u32_e32 v10, s19, v36
	v_addc_co_u32_e32 v35, vcc, v13, v11, vcc
	v_ashrrev_i32_e32 v11, 31, v10
	v_lshlrev_b64 v[36:37], 4, v[10:11]
	v_add_u32_e32 v10, s19, v10
	v_add_co_u32_e32 v36, vcc, s6, v36
	v_ashrrev_i32_e32 v11, 31, v10
	v_addc_co_u32_e32 v37, vcc, v1, v37, vcc
	v_lshlrev_b64 v[38:39], 4, v[10:11]
	v_add_u32_e32 v10, s19, v10
	v_add_co_u32_e32 v38, vcc, s6, v38
	v_ashrrev_i32_e32 v11, 31, v10
	v_addc_co_u32_e32 v39, vcc, v1, v39, vcc
	;; [unrolled: 5-line block ×5, first 2 shown]
	v_lshlrev_b64 v[10:11], 4, v[10:11]
	global_load_dwordx4 v[2:5], v12, s[6:7]
	global_load_dwordx4 v[6:9], v[24:25], off
	global_load_dwordx4 v[14:17], v[26:27], off
	;; [unrolled: 1-line block ×4, first 2 shown]
	v_add_co_u32_e32 v46, vcc, s6, v10
	global_load_dwordx4 v[52:55], v[32:33], off
	global_load_dwordx4 v[56:59], v[34:35], off
	v_addc_co_u32_e32 v47, vcc, v1, v11, vcc
	global_load_dwordx4 v[60:63], v[36:37], off
	global_load_dwordx4 v[64:67], v[38:39], off
	;; [unrolled: 1-line block ×6, first 2 shown]
	s_waitcnt vmcnt(12)
	buffer_store_dword v5, off, s[0:3], 0 offset:12
	buffer_store_dword v4, off, s[0:3], 0 offset:8
	buffer_store_dword v3, off, s[0:3], 0 offset:4
	buffer_store_dword v2, off, s[0:3], 0
	s_waitcnt vmcnt(15)
	buffer_store_dword v9, off, s[0:3], 0 offset:28
	buffer_store_dword v8, off, s[0:3], 0 offset:24
	buffer_store_dword v7, off, s[0:3], 0 offset:20
	buffer_store_dword v6, off, s[0:3], 0 offset:16
	s_waitcnt vmcnt(18)
	buffer_store_dword v17, off, s[0:3], 0 offset:44
	buffer_store_dword v16, off, s[0:3], 0 offset:40
	buffer_store_dword v15, off, s[0:3], 0 offset:36
	buffer_store_dword v14, off, s[0:3], 0 offset:32
	;; [unrolled: 5-line block ×5, first 2 shown]
	v_mov_b32_e32 v2, 0
	v_add_u32_e32 v78, 16, v2
	v_add_u32_e32 v80, 32, v2
	;; [unrolled: 1-line block ×12, first 2 shown]
	s_bitcmp0_b32 s8, 0
	s_mov_b64 s[8:9], -1
	s_waitcnt vmcnt(30)
	buffer_store_dword v59, off, s[0:3], 0 offset:108
	buffer_store_dword v58, off, s[0:3], 0 offset:104
	buffer_store_dword v57, off, s[0:3], 0 offset:100
	buffer_store_dword v56, off, s[0:3], 0 offset:96
	s_waitcnt vmcnt(33)
	buffer_store_dword v63, off, s[0:3], 0 offset:124
	buffer_store_dword v62, off, s[0:3], 0 offset:120
	buffer_store_dword v61, off, s[0:3], 0 offset:116
	buffer_store_dword v60, off, s[0:3], 0 offset:112
	;; [unrolled: 5-line block ×7, first 2 shown]
	s_cbranch_scc1 .LBB12_64
; %bb.4:
	v_cmp_eq_u32_e64 s[6:7], 0, v81
	s_and_saveexec_b64 s[8:9], s[6:7]
	s_cbranch_execz .LBB12_6
; %bb.5:
	v_mov_b32_e32 v2, 0
	ds_write_b32 v2, v2 offset:416
.LBB12_6:
	s_or_b64 exec, exec, s[8:9]
	v_mov_b32_e32 v2, 0
	v_lshl_add_u32 v13, v81, 4, v2
	s_waitcnt lgkmcnt(0)
	; wave barrier
	s_waitcnt lgkmcnt(0)
	buffer_load_dword v2, v13, s[0:3], 0 offen
	buffer_load_dword v3, v13, s[0:3], 0 offen offset:4
	buffer_load_dword v4, v13, s[0:3], 0 offen offset:8
	;; [unrolled: 1-line block ×3, first 2 shown]
	s_waitcnt vmcnt(2)
	v_cmp_eq_f64_e32 vcc, 0, v[2:3]
	s_waitcnt vmcnt(0)
	v_cmp_eq_f64_e64 s[8:9], 0, v[4:5]
	s_and_b64 s[8:9], vcc, s[8:9]
	s_and_saveexec_b64 s[12:13], s[8:9]
	s_cbranch_execz .LBB12_10
; %bb.7:
	v_mov_b32_e32 v2, 0
	ds_read_b32 v4, v2 offset:416
	v_add_u32_e32 v3, 1, v81
	s_waitcnt lgkmcnt(0)
	v_readfirstlane_b32 s8, v4
	s_cmp_eq_u32 s8, 0
	s_cselect_b64 s[16:17], -1, 0
	v_cmp_gt_i32_e32 vcc, s8, v3
	s_or_b64 s[16:17], s[16:17], vcc
	s_and_b64 exec, exec, s[16:17]
	s_cbranch_execz .LBB12_10
; %bb.8:
	s_mov_b64 s[16:17], 0
	v_mov_b32_e32 v4, s8
.LBB12_9:                               ; =>This Inner Loop Header: Depth=1
	ds_cmpst_rtn_b32 v4, v2, v4, v3 offset:416
	s_waitcnt lgkmcnt(0)
	v_cmp_ne_u32_e32 vcc, 0, v4
	v_cmp_le_i32_e64 s[8:9], v4, v3
	s_and_b64 s[8:9], vcc, s[8:9]
	s_and_b64 s[8:9], exec, s[8:9]
	s_or_b64 s[16:17], s[8:9], s[16:17]
	s_andn2_b64 exec, exec, s[16:17]
	s_cbranch_execnz .LBB12_9
.LBB12_10:
	s_or_b64 exec, exec, s[12:13]
	v_mov_b32_e32 v3, 0
	s_waitcnt lgkmcnt(0)
	; wave barrier
	ds_read_b32 v2, v3 offset:416
	s_and_saveexec_b64 s[8:9], s[6:7]
	s_cbranch_execz .LBB12_12
; %bb.11:
	s_lshl_b64 s[12:13], s[10:11], 2
	s_add_u32 s12, s14, s12
	s_addc_u32 s13, s15, s13
	s_waitcnt lgkmcnt(0)
	global_store_dword v3, v2, s[12:13]
.LBB12_12:
	s_or_b64 exec, exec, s[8:9]
	s_waitcnt lgkmcnt(0)
	v_cmp_ne_u32_e32 vcc, 0, v2
	s_mov_b64 s[8:9], 0
	s_cbranch_vccnz .LBB12_64
; %bb.13:
	buffer_load_dword v7, v13, s[0:3], 0 offen offset:4
	buffer_load_dword v6, v13, s[0:3], 0 offen
	buffer_load_dword v9, v13, s[0:3], 0 offen offset:12
	buffer_load_dword v8, v13, s[0:3], 0 offen offset:8
                                        ; implicit-def: $vgpr10_vgpr11
	s_waitcnt vmcnt(3)
	v_xor_b32_e32 v3, 0x80000000, v7
	s_waitcnt vmcnt(2)
	v_cmp_gt_f64_e32 vcc, 0, v[6:7]
	s_waitcnt vmcnt(1)
	v_xor_b32_e32 v4, 0x80000000, v9
	v_cndmask_b32_e32 v3, v7, v3, vcc
	s_waitcnt vmcnt(0)
	v_cmp_gt_f64_e32 vcc, 0, v[8:9]
	v_mov_b32_e32 v2, v6
	v_cndmask_b32_e32 v5, v9, v4, vcc
	v_mov_b32_e32 v4, v8
	v_cmp_ngt_f64_e32 vcc, v[2:3], v[4:5]
                                        ; implicit-def: $vgpr4_vgpr5
	s_and_saveexec_b64 s[8:9], vcc
	s_xor_b64 s[8:9], exec, s[8:9]
	s_cbranch_execz .LBB12_15
; %bb.14:
	v_div_scale_f64 v[2:3], s[12:13], v[8:9], v[8:9], v[6:7]
	v_rcp_f64_e32 v[4:5], v[2:3]
	v_div_scale_f64 v[10:11], vcc, v[6:7], v[8:9], v[6:7]
	v_fma_f64 v[14:15], -v[2:3], v[4:5], 1.0
	v_fmac_f64_e32 v[4:5], v[4:5], v[14:15]
	v_fma_f64 v[14:15], -v[2:3], v[4:5], 1.0
	v_fmac_f64_e32 v[4:5], v[4:5], v[14:15]
	v_mul_f64 v[14:15], v[10:11], v[4:5]
	v_fma_f64 v[2:3], -v[2:3], v[14:15], v[10:11]
	v_div_fmas_f64 v[2:3], v[2:3], v[4:5], v[14:15]
	v_div_fixup_f64 v[2:3], v[2:3], v[8:9], v[6:7]
	v_fmac_f64_e32 v[8:9], v[6:7], v[2:3]
	v_div_scale_f64 v[4:5], s[12:13], v[8:9], v[8:9], 1.0
	v_rcp_f64_e32 v[6:7], v[4:5]
	v_fma_f64 v[10:11], -v[4:5], v[6:7], 1.0
	v_fmac_f64_e32 v[6:7], v[6:7], v[10:11]
	v_fma_f64 v[10:11], -v[4:5], v[6:7], 1.0
	v_fmac_f64_e32 v[6:7], v[6:7], v[10:11]
	v_div_scale_f64 v[10:11], vcc, 1.0, v[8:9], 1.0
	v_mul_f64 v[14:15], v[10:11], v[6:7]
	v_fma_f64 v[4:5], -v[4:5], v[14:15], v[10:11]
	s_nop 1
	v_div_fmas_f64 v[4:5], v[4:5], v[6:7], v[14:15]
	v_div_fixup_f64 v[4:5], v[4:5], v[8:9], 1.0
	v_mul_f64 v[10:11], v[2:3], v[4:5]
	v_xor_b32_e32 v5, 0x80000000, v5
	v_xor_b32_e32 v3, 0x80000000, v11
	v_mov_b32_e32 v2, v10
                                        ; implicit-def: $vgpr6_vgpr7
                                        ; implicit-def: $vgpr8_vgpr9
.LBB12_15:
	s_andn2_saveexec_b64 s[8:9], s[8:9]
	s_cbranch_execz .LBB12_17
; %bb.16:
	v_div_scale_f64 v[2:3], s[12:13], v[6:7], v[6:7], v[8:9]
	v_rcp_f64_e32 v[4:5], v[2:3]
	v_div_scale_f64 v[10:11], vcc, v[8:9], v[6:7], v[8:9]
	v_fma_f64 v[14:15], -v[2:3], v[4:5], 1.0
	v_fmac_f64_e32 v[4:5], v[4:5], v[14:15]
	v_fma_f64 v[14:15], -v[2:3], v[4:5], 1.0
	v_fmac_f64_e32 v[4:5], v[4:5], v[14:15]
	v_mul_f64 v[14:15], v[10:11], v[4:5]
	v_fma_f64 v[2:3], -v[2:3], v[14:15], v[10:11]
	v_div_fmas_f64 v[2:3], v[2:3], v[4:5], v[14:15]
	v_div_fixup_f64 v[4:5], v[2:3], v[6:7], v[8:9]
	v_fmac_f64_e32 v[6:7], v[8:9], v[4:5]
	v_div_scale_f64 v[2:3], s[12:13], v[6:7], v[6:7], 1.0
	v_rcp_f64_e32 v[8:9], v[2:3]
	v_fma_f64 v[10:11], -v[2:3], v[8:9], 1.0
	v_fmac_f64_e32 v[8:9], v[8:9], v[10:11]
	v_fma_f64 v[10:11], -v[2:3], v[8:9], 1.0
	v_fmac_f64_e32 v[8:9], v[8:9], v[10:11]
	v_div_scale_f64 v[10:11], vcc, 1.0, v[6:7], 1.0
	v_mul_f64 v[14:15], v[10:11], v[8:9]
	v_fma_f64 v[2:3], -v[2:3], v[14:15], v[10:11]
	s_nop 1
	v_div_fmas_f64 v[2:3], v[2:3], v[8:9], v[14:15]
	v_div_fixup_f64 v[10:11], v[2:3], v[6:7], 1.0
	v_xor_b32_e32 v3, 0x80000000, v11
	v_mov_b32_e32 v2, v10
	v_mul_f64 v[4:5], v[4:5], -v[10:11]
.LBB12_17:
	s_or_b64 exec, exec, s[8:9]
	buffer_store_dword v11, v13, s[0:3], 0 offen offset:4
	buffer_store_dword v10, v13, s[0:3], 0 offen
	buffer_store_dword v5, v13, s[0:3], 0 offen offset:12
	buffer_store_dword v4, v13, s[0:3], 0 offen offset:8
	buffer_load_dword v11, v78, s[0:3], 0 offen offset:12
	s_nop 0
	buffer_load_dword v10, v78, s[0:3], 0 offen offset:8
	buffer_load_dword v9, v78, s[0:3], 0 offen offset:4
	buffer_load_dword v8, v78, s[0:3], 0 offen
	v_xor_b32_e32 v5, 0x80000000, v5
	v_add_u32_e32 v6, 0xd0, v12
	ds_write_b128 v12, v[2:5]
	s_waitcnt vmcnt(0)
	ds_write_b128 v12, v[8:11] offset:208
	s_waitcnt lgkmcnt(0)
	; wave barrier
	s_waitcnt lgkmcnt(0)
	s_and_saveexec_b64 s[8:9], s[6:7]
	s_cbranch_execz .LBB12_19
; %bb.18:
	buffer_load_dword v14, v13, s[0:3], 0 offen offset:8
	buffer_load_dword v15, v13, s[0:3], 0 offen offset:12
	buffer_load_dword v16, v13, s[0:3], 0 offen
	buffer_load_dword v17, v13, s[0:3], 0 offen offset:4
	ds_read_b128 v[2:5], v6
	v_mov_b32_e32 v7, 0
	ds_read_b128 v[8:11], v7 offset:16
	s_waitcnt vmcnt(2) lgkmcnt(1)
	v_mul_f64 v[18:19], v[4:5], v[14:15]
	v_mul_f64 v[14:15], v[2:3], v[14:15]
	s_waitcnt vmcnt(0)
	v_fmac_f64_e32 v[14:15], v[4:5], v[16:17]
	v_fma_f64 v[2:3], v[2:3], v[16:17], -v[18:19]
	v_add_f64 v[4:5], v[14:15], 0
	v_add_f64 v[2:3], v[2:3], 0
	s_waitcnt lgkmcnt(0)
	v_mul_f64 v[14:15], v[4:5], v[10:11]
	v_mul_f64 v[10:11], v[2:3], v[10:11]
	v_fma_f64 v[2:3], v[2:3], v[8:9], -v[14:15]
	v_fmac_f64_e32 v[10:11], v[4:5], v[8:9]
	buffer_store_dword v2, off, s[0:3], 0 offset:16
	buffer_store_dword v3, off, s[0:3], 0 offset:20
	;; [unrolled: 1-line block ×4, first 2 shown]
.LBB12_19:
	s_or_b64 exec, exec, s[8:9]
	s_waitcnt lgkmcnt(0)
	; wave barrier
	buffer_load_dword v2, v80, s[0:3], 0 offen
	buffer_load_dword v3, v80, s[0:3], 0 offen offset:4
	buffer_load_dword v4, v80, s[0:3], 0 offen offset:8
	;; [unrolled: 1-line block ×3, first 2 shown]
	v_cmp_gt_u32_e32 vcc, 2, v81
	s_waitcnt vmcnt(0)
	ds_write_b128 v6, v[2:5]
	s_waitcnt lgkmcnt(0)
	; wave barrier
	s_waitcnt lgkmcnt(0)
	s_and_saveexec_b64 s[8:9], vcc
	s_cbranch_execz .LBB12_23
; %bb.20:
	buffer_load_dword v8, v13, s[0:3], 0 offen offset:8
	buffer_load_dword v9, v13, s[0:3], 0 offen offset:12
	buffer_load_dword v10, v13, s[0:3], 0 offen
	buffer_load_dword v11, v13, s[0:3], 0 offen offset:4
	ds_read_b128 v[2:5], v6
	s_waitcnt vmcnt(2) lgkmcnt(0)
	v_mul_f64 v[14:15], v[4:5], v[8:9]
	v_mul_f64 v[8:9], v[2:3], v[8:9]
	s_waitcnt vmcnt(0)
	v_fma_f64 v[2:3], v[2:3], v[10:11], -v[14:15]
	v_fmac_f64_e32 v[8:9], v[4:5], v[10:11]
	v_add_f64 v[4:5], v[2:3], 0
	v_add_f64 v[2:3], v[8:9], 0
	s_and_saveexec_b64 s[12:13], s[6:7]
	s_cbranch_execz .LBB12_22
; %bb.21:
	buffer_load_dword v14, off, s[0:3], 0 offset:24
	buffer_load_dword v15, off, s[0:3], 0 offset:28
	;; [unrolled: 1-line block ×4, first 2 shown]
	v_mov_b32_e32 v7, 0
	ds_read_b128 v[8:11], v7 offset:224
	s_waitcnt vmcnt(2) lgkmcnt(0)
	v_mul_f64 v[18:19], v[8:9], v[14:15]
	v_mul_f64 v[14:15], v[10:11], v[14:15]
	s_waitcnt vmcnt(0)
	v_fmac_f64_e32 v[18:19], v[10:11], v[16:17]
	v_fma_f64 v[8:9], v[8:9], v[16:17], -v[14:15]
	v_add_f64 v[2:3], v[2:3], v[18:19]
	v_add_f64 v[4:5], v[4:5], v[8:9]
.LBB12_22:
	s_or_b64 exec, exec, s[12:13]
	v_mov_b32_e32 v7, 0
	ds_read_b128 v[8:11], v7 offset:32
	s_waitcnt lgkmcnt(0)
	v_mul_f64 v[14:15], v[2:3], v[10:11]
	v_mul_f64 v[10:11], v[4:5], v[10:11]
	v_fma_f64 v[4:5], v[4:5], v[8:9], -v[14:15]
	v_fmac_f64_e32 v[10:11], v[2:3], v[8:9]
	buffer_store_dword v5, off, s[0:3], 0 offset:36
	buffer_store_dword v4, off, s[0:3], 0 offset:32
	buffer_store_dword v11, off, s[0:3], 0 offset:44
	buffer_store_dword v10, off, s[0:3], 0 offset:40
.LBB12_23:
	s_or_b64 exec, exec, s[8:9]
	s_waitcnt lgkmcnt(0)
	; wave barrier
	buffer_load_dword v2, v79, s[0:3], 0 offen
	buffer_load_dword v3, v79, s[0:3], 0 offen offset:4
	buffer_load_dword v4, v79, s[0:3], 0 offen offset:8
	;; [unrolled: 1-line block ×3, first 2 shown]
	v_cmp_gt_u32_e32 vcc, 3, v81
	v_add_u32_e32 v7, -1, v81
	s_waitcnt vmcnt(0)
	ds_write_b128 v6, v[2:5]
	s_waitcnt lgkmcnt(0)
	; wave barrier
	s_waitcnt lgkmcnt(0)
	s_and_saveexec_b64 s[6:7], vcc
	s_cbranch_execz .LBB12_27
; %bb.24:
	v_pk_mov_b32 v[2:3], 0, 0
	v_add_u32_e32 v8, -1, v81
	v_add_u32_e32 v9, 0xd0, v12
	v_add_u32_e32 v10, 0, v12
	s_mov_b64 s[8:9], 0
	v_pk_mov_b32 v[4:5], v[2:3], v[2:3] op_sel:[0,1]
.LBB12_25:                              ; =>This Inner Loop Header: Depth=1
	buffer_load_dword v18, v10, s[0:3], 0 offen offset:8
	buffer_load_dword v19, v10, s[0:3], 0 offen offset:12
	buffer_load_dword v20, v10, s[0:3], 0 offen
	buffer_load_dword v21, v10, s[0:3], 0 offen offset:4
	ds_read_b128 v[14:17], v9
	v_add_u32_e32 v8, 1, v8
	v_cmp_lt_u32_e32 vcc, 1, v8
	v_add_u32_e32 v9, 16, v9
	v_add_u32_e32 v10, 16, v10
	s_or_b64 s[8:9], vcc, s[8:9]
	s_waitcnt vmcnt(2) lgkmcnt(0)
	v_mul_f64 v[48:49], v[16:17], v[18:19]
	v_mul_f64 v[18:19], v[14:15], v[18:19]
	s_waitcnt vmcnt(0)
	v_fma_f64 v[14:15], v[14:15], v[20:21], -v[48:49]
	v_fmac_f64_e32 v[18:19], v[16:17], v[20:21]
	v_add_f64 v[4:5], v[4:5], v[14:15]
	v_add_f64 v[2:3], v[2:3], v[18:19]
	s_andn2_b64 exec, exec, s[8:9]
	s_cbranch_execnz .LBB12_25
; %bb.26:
	s_or_b64 exec, exec, s[8:9]
	v_mov_b32_e32 v8, 0
	ds_read_b128 v[8:11], v8 offset:48
	s_waitcnt lgkmcnt(0)
	v_mul_f64 v[14:15], v[2:3], v[10:11]
	v_mul_f64 v[10:11], v[4:5], v[10:11]
	v_fma_f64 v[4:5], v[4:5], v[8:9], -v[14:15]
	v_fmac_f64_e32 v[10:11], v[2:3], v[8:9]
	buffer_store_dword v5, off, s[0:3], 0 offset:52
	buffer_store_dword v4, off, s[0:3], 0 offset:48
	buffer_store_dword v11, off, s[0:3], 0 offset:60
	buffer_store_dword v10, off, s[0:3], 0 offset:56
.LBB12_27:
	s_or_b64 exec, exec, s[6:7]
	s_waitcnt lgkmcnt(0)
	; wave barrier
	buffer_load_dword v2, v74, s[0:3], 0 offen
	buffer_load_dword v3, v74, s[0:3], 0 offen offset:4
	buffer_load_dword v4, v74, s[0:3], 0 offen offset:8
	buffer_load_dword v5, v74, s[0:3], 0 offen offset:12
	v_cmp_gt_u32_e32 vcc, 4, v81
	s_waitcnt vmcnt(0)
	ds_write_b128 v6, v[2:5]
	s_waitcnt lgkmcnt(0)
	; wave barrier
	s_waitcnt lgkmcnt(0)
	s_and_saveexec_b64 s[6:7], vcc
	s_cbranch_execz .LBB12_31
; %bb.28:
	v_pk_mov_b32 v[2:3], 0, 0
	v_add_u32_e32 v8, -1, v81
	v_add_u32_e32 v9, 0xd0, v12
	v_add_u32_e32 v10, 0, v12
	s_mov_b64 s[8:9], 0
	v_pk_mov_b32 v[4:5], v[2:3], v[2:3] op_sel:[0,1]
.LBB12_29:                              ; =>This Inner Loop Header: Depth=1
	buffer_load_dword v18, v10, s[0:3], 0 offen offset:8
	buffer_load_dword v19, v10, s[0:3], 0 offen offset:12
	buffer_load_dword v20, v10, s[0:3], 0 offen
	buffer_load_dword v21, v10, s[0:3], 0 offen offset:4
	ds_read_b128 v[14:17], v9
	v_add_u32_e32 v8, 1, v8
	v_cmp_lt_u32_e32 vcc, 2, v8
	v_add_u32_e32 v9, 16, v9
	v_add_u32_e32 v10, 16, v10
	s_or_b64 s[8:9], vcc, s[8:9]
	s_waitcnt vmcnt(2) lgkmcnt(0)
	v_mul_f64 v[48:49], v[16:17], v[18:19]
	v_mul_f64 v[18:19], v[14:15], v[18:19]
	s_waitcnt vmcnt(0)
	v_fma_f64 v[14:15], v[14:15], v[20:21], -v[48:49]
	v_fmac_f64_e32 v[18:19], v[16:17], v[20:21]
	v_add_f64 v[4:5], v[4:5], v[14:15]
	v_add_f64 v[2:3], v[2:3], v[18:19]
	s_andn2_b64 exec, exec, s[8:9]
	s_cbranch_execnz .LBB12_29
; %bb.30:
	s_or_b64 exec, exec, s[8:9]
	v_mov_b32_e32 v8, 0
	ds_read_b128 v[8:11], v8 offset:64
	s_waitcnt lgkmcnt(0)
	v_mul_f64 v[14:15], v[2:3], v[10:11]
	v_mul_f64 v[10:11], v[4:5], v[10:11]
	v_fma_f64 v[4:5], v[4:5], v[8:9], -v[14:15]
	v_fmac_f64_e32 v[10:11], v[2:3], v[8:9]
	buffer_store_dword v5, off, s[0:3], 0 offset:68
	buffer_store_dword v4, off, s[0:3], 0 offset:64
	buffer_store_dword v11, off, s[0:3], 0 offset:76
	buffer_store_dword v10, off, s[0:3], 0 offset:72
.LBB12_31:
	s_or_b64 exec, exec, s[6:7]
	s_waitcnt lgkmcnt(0)
	; wave barrier
	buffer_load_dword v2, v76, s[0:3], 0 offen
	buffer_load_dword v3, v76, s[0:3], 0 offen offset:4
	buffer_load_dword v4, v76, s[0:3], 0 offen offset:8
	buffer_load_dword v5, v76, s[0:3], 0 offen offset:12
	v_cmp_gt_u32_e32 vcc, 5, v81
	;; [unrolled: 57-line block ×8, first 2 shown]
	s_waitcnt vmcnt(0)
	ds_write_b128 v6, v[2:5]
	s_waitcnt lgkmcnt(0)
	; wave barrier
	s_waitcnt lgkmcnt(0)
	s_and_saveexec_b64 s[6:7], vcc
	s_cbranch_execz .LBB12_59
; %bb.56:
	v_pk_mov_b32 v[2:3], 0, 0
	v_add_u32_e32 v8, -1, v81
	v_add_u32_e32 v9, 0xd0, v12
	v_add_u32_e32 v10, 0, v12
	s_mov_b64 s[8:9], 0
	v_pk_mov_b32 v[4:5], v[2:3], v[2:3] op_sel:[0,1]
.LBB12_57:                              ; =>This Inner Loop Header: Depth=1
	buffer_load_dword v18, v10, s[0:3], 0 offen offset:8
	buffer_load_dword v19, v10, s[0:3], 0 offen offset:12
	buffer_load_dword v20, v10, s[0:3], 0 offen
	buffer_load_dword v21, v10, s[0:3], 0 offen offset:4
	ds_read_b128 v[14:17], v9
	v_add_u32_e32 v8, 1, v8
	v_cmp_lt_u32_e32 vcc, 9, v8
	v_add_u32_e32 v9, 16, v9
	v_add_u32_e32 v10, 16, v10
	s_or_b64 s[8:9], vcc, s[8:9]
	s_waitcnt vmcnt(2) lgkmcnt(0)
	v_mul_f64 v[48:49], v[16:17], v[18:19]
	v_mul_f64 v[18:19], v[14:15], v[18:19]
	s_waitcnt vmcnt(0)
	v_fma_f64 v[14:15], v[14:15], v[20:21], -v[48:49]
	v_fmac_f64_e32 v[18:19], v[16:17], v[20:21]
	v_add_f64 v[4:5], v[4:5], v[14:15]
	v_add_f64 v[2:3], v[2:3], v[18:19]
	s_andn2_b64 exec, exec, s[8:9]
	s_cbranch_execnz .LBB12_57
; %bb.58:
	s_or_b64 exec, exec, s[8:9]
	v_mov_b32_e32 v8, 0
	ds_read_b128 v[8:11], v8 offset:176
	s_waitcnt lgkmcnt(0)
	v_mul_f64 v[14:15], v[2:3], v[10:11]
	v_mul_f64 v[10:11], v[4:5], v[10:11]
	v_fma_f64 v[4:5], v[4:5], v[8:9], -v[14:15]
	v_fmac_f64_e32 v[10:11], v[2:3], v[8:9]
	buffer_store_dword v5, off, s[0:3], 0 offset:180
	buffer_store_dword v4, off, s[0:3], 0 offset:176
	;; [unrolled: 1-line block ×4, first 2 shown]
.LBB12_59:
	s_or_b64 exec, exec, s[6:7]
	s_waitcnt lgkmcnt(0)
	; wave barrier
	buffer_load_dword v2, v72, s[0:3], 0 offen
	buffer_load_dword v3, v72, s[0:3], 0 offen offset:4
	buffer_load_dword v4, v72, s[0:3], 0 offen offset:8
	;; [unrolled: 1-line block ×3, first 2 shown]
	v_cmp_ne_u32_e32 vcc, 12, v81
	s_waitcnt vmcnt(0)
	ds_write_b128 v6, v[2:5]
	s_waitcnt lgkmcnt(0)
	; wave barrier
	s_waitcnt lgkmcnt(0)
	s_and_saveexec_b64 s[6:7], vcc
	s_cbranch_execz .LBB12_63
; %bb.60:
	v_pk_mov_b32 v[2:3], 0, 0
	v_add_u32_e32 v6, 0xd0, v12
	v_add_u32_e32 v8, 0, v12
	s_mov_b64 s[8:9], 0
	v_pk_mov_b32 v[4:5], v[2:3], v[2:3] op_sel:[0,1]
.LBB12_61:                              ; =>This Inner Loop Header: Depth=1
	buffer_load_dword v14, v8, s[0:3], 0 offen offset:8
	buffer_load_dword v15, v8, s[0:3], 0 offen offset:12
	buffer_load_dword v16, v8, s[0:3], 0 offen
	buffer_load_dword v17, v8, s[0:3], 0 offen offset:4
	ds_read_b128 v[10:13], v6
	v_add_u32_e32 v7, 1, v7
	v_cmp_lt_u32_e32 vcc, 10, v7
	v_add_u32_e32 v6, 16, v6
	v_add_u32_e32 v8, 16, v8
	s_or_b64 s[8:9], vcc, s[8:9]
	s_waitcnt vmcnt(2) lgkmcnt(0)
	v_mul_f64 v[18:19], v[12:13], v[14:15]
	v_mul_f64 v[14:15], v[10:11], v[14:15]
	s_waitcnt vmcnt(0)
	v_fma_f64 v[10:11], v[10:11], v[16:17], -v[18:19]
	v_fmac_f64_e32 v[14:15], v[12:13], v[16:17]
	v_add_f64 v[4:5], v[4:5], v[10:11]
	v_add_f64 v[2:3], v[2:3], v[14:15]
	s_andn2_b64 exec, exec, s[8:9]
	s_cbranch_execnz .LBB12_61
; %bb.62:
	s_or_b64 exec, exec, s[8:9]
	v_mov_b32_e32 v6, 0
	ds_read_b128 v[6:9], v6 offset:192
	s_waitcnt lgkmcnt(0)
	v_mul_f64 v[10:11], v[2:3], v[8:9]
	v_mul_f64 v[8:9], v[4:5], v[8:9]
	v_fma_f64 v[4:5], v[4:5], v[6:7], -v[10:11]
	v_fmac_f64_e32 v[8:9], v[2:3], v[6:7]
	buffer_store_dword v5, off, s[0:3], 0 offset:196
	buffer_store_dword v4, off, s[0:3], 0 offset:192
	buffer_store_dword v9, off, s[0:3], 0 offset:204
	buffer_store_dword v8, off, s[0:3], 0 offset:200
.LBB12_63:
	s_or_b64 exec, exec, s[6:7]
	s_mov_b64 s[8:9], -1
	s_waitcnt lgkmcnt(0)
	; wave barrier
.LBB12_64:
	s_and_b64 vcc, exec, s[8:9]
	s_cbranch_vccz .LBB12_66
; %bb.65:
	s_lshl_b64 s[6:7], s[10:11], 2
	s_add_u32 s6, s14, s6
	s_addc_u32 s7, s15, s7
	v_mov_b32_e32 v2, 0
	global_load_dword v2, v2, s[6:7]
	s_waitcnt vmcnt(0)
	v_cmp_ne_u32_e32 vcc, 0, v2
	s_cbranch_vccz .LBB12_67
.LBB12_66:
	s_endpgm
.LBB12_67:
	v_mov_b32_e32 v2, 0xd0
	v_lshl_add_u32 v82, v81, 4, v2
	v_cmp_eq_u32_e32 vcc, 12, v81
	s_and_saveexec_b64 s[6:7], vcc
	s_cbranch_execz .LBB12_69
; %bb.68:
	buffer_load_dword v2, v73, s[0:3], 0 offen
	buffer_load_dword v3, v73, s[0:3], 0 offen offset:4
	buffer_load_dword v4, v73, s[0:3], 0 offen offset:8
	;; [unrolled: 1-line block ×3, first 2 shown]
	v_mov_b32_e32 v6, 0
	buffer_store_dword v6, off, s[0:3], 0 offset:176
	buffer_store_dword v6, off, s[0:3], 0 offset:180
	;; [unrolled: 1-line block ×4, first 2 shown]
	s_waitcnt vmcnt(4)
	ds_write_b128 v82, v[2:5]
.LBB12_69:
	s_or_b64 exec, exec, s[6:7]
	s_waitcnt lgkmcnt(0)
	; wave barrier
	s_waitcnt lgkmcnt(0)
	buffer_load_dword v8, off, s[0:3], 0 offset:200
	buffer_load_dword v9, off, s[0:3], 0 offset:204
	;; [unrolled: 1-line block ×8, first 2 shown]
	v_mov_b32_e32 v2, 0
	ds_read_b128 v[4:7], v2 offset:400
	v_cmp_lt_u32_e32 vcc, 10, v81
	s_waitcnt vmcnt(6) lgkmcnt(0)
	v_mul_f64 v[16:17], v[4:5], v[8:9]
	v_mul_f64 v[8:9], v[6:7], v[8:9]
	s_waitcnt vmcnt(4)
	v_fma_f64 v[4:5], v[4:5], v[10:11], -v[8:9]
	v_fmac_f64_e32 v[16:17], v[6:7], v[10:11]
	v_add_f64 v[4:5], v[4:5], 0
	v_add_f64 v[6:7], v[16:17], 0
	s_waitcnt vmcnt(2)
	v_add_f64 v[4:5], v[12:13], -v[4:5]
	s_waitcnt vmcnt(0)
	v_add_f64 v[6:7], v[14:15], -v[6:7]
	buffer_store_dword v4, off, s[0:3], 0 offset:176
	buffer_store_dword v5, off, s[0:3], 0 offset:180
	;; [unrolled: 1-line block ×4, first 2 shown]
	s_and_saveexec_b64 s[6:7], vcc
	s_cbranch_execz .LBB12_71
; %bb.70:
	buffer_load_dword v4, v71, s[0:3], 0 offen
	buffer_load_dword v5, v71, s[0:3], 0 offen offset:4
	buffer_load_dword v6, v71, s[0:3], 0 offen offset:8
	buffer_load_dword v7, v71, s[0:3], 0 offen offset:12
	s_nop 0
	buffer_store_dword v2, off, s[0:3], 0 offset:160
	buffer_store_dword v2, off, s[0:3], 0 offset:164
	;; [unrolled: 1-line block ×4, first 2 shown]
	s_waitcnt vmcnt(4)
	ds_write_b128 v82, v[4:7]
.LBB12_71:
	s_or_b64 exec, exec, s[6:7]
	s_waitcnt lgkmcnt(0)
	; wave barrier
	s_waitcnt lgkmcnt(0)
	buffer_load_dword v12, off, s[0:3], 0 offset:184
	buffer_load_dword v13, off, s[0:3], 0 offset:188
	;; [unrolled: 1-line block ×12, first 2 shown]
	ds_read_b128 v[4:7], v2 offset:384
	ds_read_b128 v[8:11], v2 offset:400
	v_cmp_lt_u32_e32 vcc, 9, v81
	s_waitcnt vmcnt(10) lgkmcnt(1)
	v_mul_f64 v[2:3], v[4:5], v[12:13]
	v_mul_f64 v[12:13], v[6:7], v[12:13]
	s_waitcnt vmcnt(8) lgkmcnt(0)
	v_mul_f64 v[50:51], v[8:9], v[14:15]
	v_mul_f64 v[14:15], v[10:11], v[14:15]
	s_waitcnt vmcnt(6)
	v_fma_f64 v[4:5], v[4:5], v[16:17], -v[12:13]
	v_fmac_f64_e32 v[2:3], v[6:7], v[16:17]
	s_waitcnt vmcnt(4)
	v_fma_f64 v[6:7], v[8:9], v[18:19], -v[14:15]
	v_add_f64 v[4:5], v[4:5], 0
	v_fmac_f64_e32 v[50:51], v[10:11], v[18:19]
	v_add_f64 v[2:3], v[2:3], 0
	v_add_f64 v[4:5], v[4:5], v[6:7]
	;; [unrolled: 1-line block ×3, first 2 shown]
	s_waitcnt vmcnt(2)
	v_add_f64 v[4:5], v[20:21], -v[4:5]
	s_waitcnt vmcnt(0)
	v_add_f64 v[2:3], v[48:49], -v[2:3]
	buffer_store_dword v4, off, s[0:3], 0 offset:160
	buffer_store_dword v5, off, s[0:3], 0 offset:164
	;; [unrolled: 1-line block ×4, first 2 shown]
	s_and_saveexec_b64 s[6:7], vcc
	s_cbranch_execz .LBB12_73
; %bb.72:
	buffer_load_dword v2, v70, s[0:3], 0 offen
	buffer_load_dword v3, v70, s[0:3], 0 offen offset:4
	buffer_load_dword v4, v70, s[0:3], 0 offen offset:8
	;; [unrolled: 1-line block ×3, first 2 shown]
	v_mov_b32_e32 v6, 0
	buffer_store_dword v6, off, s[0:3], 0 offset:144
	buffer_store_dword v6, off, s[0:3], 0 offset:148
	;; [unrolled: 1-line block ×4, first 2 shown]
	s_waitcnt vmcnt(4)
	ds_write_b128 v82, v[2:5]
.LBB12_73:
	s_or_b64 exec, exec, s[6:7]
	s_waitcnt lgkmcnt(0)
	; wave barrier
	s_waitcnt lgkmcnt(0)
	buffer_load_dword v16, off, s[0:3], 0 offset:168
	buffer_load_dword v17, off, s[0:3], 0 offset:172
	;; [unrolled: 1-line block ×16, first 2 shown]
	v_mov_b32_e32 v2, 0
	ds_read_b128 v[4:7], v2 offset:368
	ds_read_b128 v[8:11], v2 offset:384
	ds_read_b128 v[12:15], v2 offset:400
	v_cmp_lt_u32_e32 vcc, 8, v81
	s_waitcnt vmcnt(14) lgkmcnt(2)
	v_mul_f64 v[58:59], v[4:5], v[16:17]
	v_mul_f64 v[16:17], v[6:7], v[16:17]
	s_waitcnt vmcnt(12) lgkmcnt(1)
	v_mul_f64 v[60:61], v[8:9], v[18:19]
	v_mul_f64 v[18:19], v[10:11], v[18:19]
	;; [unrolled: 3-line block ×3, first 2 shown]
	s_waitcnt vmcnt(8)
	v_fma_f64 v[4:5], v[4:5], v[48:49], -v[16:17]
	v_fmac_f64_e32 v[58:59], v[6:7], v[48:49]
	s_waitcnt vmcnt(6)
	v_fma_f64 v[6:7], v[8:9], v[50:51], -v[18:19]
	v_add_f64 v[4:5], v[4:5], 0
	v_fmac_f64_e32 v[60:61], v[10:11], v[50:51]
	s_waitcnt vmcnt(4)
	v_fma_f64 v[8:9], v[12:13], v[52:53], -v[20:21]
	v_add_f64 v[10:11], v[58:59], 0
	v_add_f64 v[4:5], v[4:5], v[6:7]
	v_fmac_f64_e32 v[62:63], v[14:15], v[52:53]
	v_add_f64 v[10:11], v[10:11], v[60:61]
	v_add_f64 v[4:5], v[4:5], v[8:9]
	;; [unrolled: 1-line block ×3, first 2 shown]
	s_waitcnt vmcnt(2)
	v_add_f64 v[4:5], v[54:55], -v[4:5]
	s_waitcnt vmcnt(0)
	v_add_f64 v[6:7], v[56:57], -v[6:7]
	buffer_store_dword v4, off, s[0:3], 0 offset:144
	buffer_store_dword v5, off, s[0:3], 0 offset:148
	;; [unrolled: 1-line block ×4, first 2 shown]
	s_and_saveexec_b64 s[6:7], vcc
	s_cbranch_execz .LBB12_75
; %bb.74:
	buffer_load_dword v4, v1, s[0:3], 0 offen
	buffer_load_dword v5, v1, s[0:3], 0 offen offset:4
	buffer_load_dword v6, v1, s[0:3], 0 offen offset:8
	;; [unrolled: 1-line block ×3, first 2 shown]
	s_nop 0
	buffer_store_dword v2, off, s[0:3], 0 offset:128
	buffer_store_dword v2, off, s[0:3], 0 offset:132
	;; [unrolled: 1-line block ×4, first 2 shown]
	s_waitcnt vmcnt(4)
	ds_write_b128 v82, v[4:7]
.LBB12_75:
	s_or_b64 exec, exec, s[6:7]
	s_waitcnt lgkmcnt(0)
	; wave barrier
	s_waitcnt lgkmcnt(0)
	buffer_load_dword v20, off, s[0:3], 0 offset:152
	buffer_load_dword v21, off, s[0:3], 0 offset:156
	;; [unrolled: 1-line block ×20, first 2 shown]
	ds_read_b128 v[4:7], v2 offset:352
	ds_read_b128 v[8:11], v2 offset:368
	;; [unrolled: 1-line block ×4, first 2 shown]
	v_cmp_lt_u32_e32 vcc, 7, v81
	s_waitcnt vmcnt(18) lgkmcnt(3)
	v_mul_f64 v[2:3], v[4:5], v[20:21]
	v_mul_f64 v[20:21], v[6:7], v[20:21]
	s_waitcnt vmcnt(16) lgkmcnt(2)
	v_mul_f64 v[66:67], v[8:9], v[48:49]
	v_mul_f64 v[48:49], v[10:11], v[48:49]
	;; [unrolled: 3-line block ×4, first 2 shown]
	s_waitcnt vmcnt(10)
	v_fma_f64 v[4:5], v[4:5], v[54:55], -v[20:21]
	v_fmac_f64_e32 v[2:3], v[6:7], v[54:55]
	s_waitcnt vmcnt(8)
	v_fma_f64 v[6:7], v[8:9], v[56:57], -v[48:49]
	v_add_f64 v[4:5], v[4:5], 0
	v_fmac_f64_e32 v[66:67], v[10:11], v[56:57]
	s_waitcnt vmcnt(6)
	v_fma_f64 v[8:9], v[12:13], v[58:59], -v[50:51]
	v_add_f64 v[2:3], v[2:3], 0
	v_add_f64 v[4:5], v[4:5], v[6:7]
	v_fmac_f64_e32 v[68:69], v[14:15], v[58:59]
	s_waitcnt vmcnt(4)
	v_fma_f64 v[10:11], v[16:17], v[60:61], -v[52:53]
	v_add_f64 v[2:3], v[2:3], v[66:67]
	v_add_f64 v[4:5], v[4:5], v[8:9]
	v_fmac_f64_e32 v[84:85], v[18:19], v[60:61]
	v_add_f64 v[2:3], v[2:3], v[68:69]
	v_add_f64 v[4:5], v[4:5], v[10:11]
	;; [unrolled: 1-line block ×3, first 2 shown]
	s_waitcnt vmcnt(2)
	v_add_f64 v[4:5], v[62:63], -v[4:5]
	s_waitcnt vmcnt(0)
	v_add_f64 v[2:3], v[64:65], -v[2:3]
	buffer_store_dword v4, off, s[0:3], 0 offset:128
	buffer_store_dword v5, off, s[0:3], 0 offset:132
	buffer_store_dword v2, off, s[0:3], 0 offset:136
	buffer_store_dword v3, off, s[0:3], 0 offset:140
	s_and_saveexec_b64 s[6:7], vcc
	s_cbranch_execz .LBB12_77
; %bb.76:
	buffer_load_dword v2, v77, s[0:3], 0 offen
	buffer_load_dword v3, v77, s[0:3], 0 offen offset:4
	buffer_load_dword v4, v77, s[0:3], 0 offen offset:8
	;; [unrolled: 1-line block ×3, first 2 shown]
	v_mov_b32_e32 v6, 0
	buffer_store_dword v6, off, s[0:3], 0 offset:112
	buffer_store_dword v6, off, s[0:3], 0 offset:116
	;; [unrolled: 1-line block ×4, first 2 shown]
	s_waitcnt vmcnt(4)
	ds_write_b128 v82, v[2:5]
.LBB12_77:
	s_or_b64 exec, exec, s[6:7]
	s_waitcnt lgkmcnt(0)
	; wave barrier
	s_waitcnt lgkmcnt(0)
	buffer_load_dword v20, off, s[0:3], 0 offset:136
	buffer_load_dword v21, off, s[0:3], 0 offset:140
	;; [unrolled: 1-line block ×24, first 2 shown]
	v_mov_b32_e32 v2, 0
	ds_read_b128 v[4:7], v2 offset:336
	ds_read_b128 v[8:11], v2 offset:352
	;; [unrolled: 1-line block ×5, first 2 shown]
	v_cmp_lt_u32_e32 vcc, 6, v81
	s_waitcnt vmcnt(22) lgkmcnt(4)
	v_mul_f64 v[88:89], v[4:5], v[20:21]
	v_mul_f64 v[20:21], v[6:7], v[20:21]
	s_waitcnt vmcnt(20) lgkmcnt(3)
	v_mul_f64 v[90:91], v[8:9], v[52:53]
	v_mul_f64 v[52:53], v[10:11], v[52:53]
	;; [unrolled: 3-line block ×4, first 2 shown]
	s_waitcnt vmcnt(13) lgkmcnt(0)
	v_mul_f64 v[96:97], v[48:49], v[56:57]
	s_waitcnt vmcnt(11)
	v_fma_f64 v[4:5], v[4:5], v[62:63], -v[20:21]
	v_fmac_f64_e32 v[88:89], v[6:7], v[62:63]
	s_waitcnt vmcnt(9)
	v_fma_f64 v[6:7], v[8:9], v[64:65], -v[52:53]
	v_add_f64 v[4:5], v[4:5], 0
	v_fmac_f64_e32 v[90:91], v[10:11], v[64:65]
	s_waitcnt vmcnt(7)
	v_fmac_f64_e32 v[92:93], v[14:15], v[66:67]
	v_fma_f64 v[8:9], v[12:13], v[66:67], -v[54:55]
	v_add_f64 v[14:15], v[88:89], 0
	v_add_f64 v[4:5], v[4:5], v[6:7]
	v_mul_f64 v[56:57], v[50:51], v[56:57]
	s_waitcnt vmcnt(5)
	v_fma_f64 v[10:11], v[16:17], v[68:69], -v[60:61]
	v_add_f64 v[14:15], v[14:15], v[90:91]
	v_add_f64 v[4:5], v[4:5], v[8:9]
	v_fmac_f64_e32 v[94:95], v[18:19], v[68:69]
	s_waitcnt vmcnt(4)
	v_fma_f64 v[12:13], v[48:49], v[58:59], -v[56:57]
	v_add_f64 v[6:7], v[14:15], v[92:93]
	v_add_f64 v[4:5], v[4:5], v[10:11]
	v_fmac_f64_e32 v[96:97], v[50:51], v[58:59]
	v_add_f64 v[6:7], v[6:7], v[94:95]
	v_add_f64 v[4:5], v[4:5], v[12:13]
	;; [unrolled: 1-line block ×3, first 2 shown]
	s_waitcnt vmcnt(2)
	v_add_f64 v[4:5], v[84:85], -v[4:5]
	s_waitcnt vmcnt(0)
	v_add_f64 v[6:7], v[86:87], -v[6:7]
	buffer_store_dword v5, off, s[0:3], 0 offset:116
	buffer_store_dword v4, off, s[0:3], 0 offset:112
	buffer_store_dword v7, off, s[0:3], 0 offset:124
	buffer_store_dword v6, off, s[0:3], 0 offset:120
	s_and_saveexec_b64 s[6:7], vcc
	s_cbranch_execz .LBB12_79
; %bb.78:
	buffer_load_dword v4, v75, s[0:3], 0 offen
	buffer_load_dword v5, v75, s[0:3], 0 offen offset:4
	buffer_load_dword v6, v75, s[0:3], 0 offen offset:8
	;; [unrolled: 1-line block ×3, first 2 shown]
	s_nop 0
	buffer_store_dword v2, off, s[0:3], 0 offset:96
	buffer_store_dword v2, off, s[0:3], 0 offset:100
	;; [unrolled: 1-line block ×4, first 2 shown]
	s_waitcnt vmcnt(4)
	ds_write_b128 v82, v[4:7]
.LBB12_79:
	s_or_b64 exec, exec, s[6:7]
	s_waitcnt lgkmcnt(0)
	; wave barrier
	s_waitcnt lgkmcnt(0)
	buffer_load_dword v20, off, s[0:3], 0 offset:120
	buffer_load_dword v21, off, s[0:3], 0 offset:124
	;; [unrolled: 1-line block ×28, first 2 shown]
	ds_read_b128 v[4:7], v2 offset:320
	ds_read_b128 v[8:11], v2 offset:336
	;; [unrolled: 1-line block ×6, first 2 shown]
	v_cmp_lt_u32_e32 vcc, 5, v81
	s_waitcnt vmcnt(26) lgkmcnt(5)
	v_mul_f64 v[2:3], v[4:5], v[20:21]
	v_mul_f64 v[20:21], v[6:7], v[20:21]
	s_waitcnt vmcnt(24) lgkmcnt(4)
	v_mul_f64 v[96:97], v[8:9], v[56:57]
	v_mul_f64 v[56:57], v[10:11], v[56:57]
	;; [unrolled: 3-line block ×4, first 2 shown]
	s_waitcnt vmcnt(17)
	v_mul_f64 v[100:101], v[16:17], v[64:65]
	v_mul_f64 v[64:65], v[18:19], v[64:65]
	s_waitcnt vmcnt(15) lgkmcnt(0)
	v_mul_f64 v[104:105], v[52:53], v[66:67]
	v_mul_f64 v[66:67], v[54:55], v[66:67]
	s_waitcnt vmcnt(14)
	v_fmac_f64_e32 v[102:103], v[50:51], v[62:63]
	s_waitcnt vmcnt(12)
	v_fma_f64 v[4:5], v[4:5], v[68:69], -v[20:21]
	v_fmac_f64_e32 v[2:3], v[6:7], v[68:69]
	s_waitcnt vmcnt(10)
	v_fma_f64 v[6:7], v[8:9], v[84:85], -v[56:57]
	v_add_f64 v[4:5], v[4:5], 0
	v_fmac_f64_e32 v[96:97], v[10:11], v[84:85]
	s_waitcnt vmcnt(8)
	v_fma_f64 v[8:9], v[12:13], v[86:87], -v[58:59]
	v_add_f64 v[2:3], v[2:3], 0
	v_add_f64 v[4:5], v[4:5], v[6:7]
	v_fmac_f64_e32 v[98:99], v[14:15], v[86:87]
	s_waitcnt vmcnt(6)
	v_fma_f64 v[10:11], v[16:17], v[88:89], -v[64:65]
	v_add_f64 v[2:3], v[2:3], v[96:97]
	v_add_f64 v[4:5], v[4:5], v[8:9]
	v_fmac_f64_e32 v[100:101], v[18:19], v[88:89]
	v_fma_f64 v[12:13], v[48:49], v[62:63], -v[60:61]
	v_add_f64 v[2:3], v[2:3], v[98:99]
	v_add_f64 v[4:5], v[4:5], v[10:11]
	s_waitcnt vmcnt(4)
	v_fma_f64 v[14:15], v[52:53], v[90:91], -v[66:67]
	v_add_f64 v[2:3], v[2:3], v[100:101]
	v_add_f64 v[4:5], v[4:5], v[12:13]
	v_fmac_f64_e32 v[104:105], v[54:55], v[90:91]
	v_add_f64 v[2:3], v[2:3], v[102:103]
	v_add_f64 v[4:5], v[4:5], v[14:15]
	;; [unrolled: 1-line block ×3, first 2 shown]
	s_waitcnt vmcnt(2)
	v_add_f64 v[4:5], v[92:93], -v[4:5]
	s_waitcnt vmcnt(0)
	v_add_f64 v[2:3], v[94:95], -v[2:3]
	buffer_store_dword v5, off, s[0:3], 0 offset:100
	buffer_store_dword v4, off, s[0:3], 0 offset:96
	;; [unrolled: 1-line block ×4, first 2 shown]
	s_and_saveexec_b64 s[6:7], vcc
	s_cbranch_execz .LBB12_81
; %bb.80:
	buffer_load_dword v2, v76, s[0:3], 0 offen
	buffer_load_dword v3, v76, s[0:3], 0 offen offset:4
	buffer_load_dword v4, v76, s[0:3], 0 offen offset:8
	;; [unrolled: 1-line block ×3, first 2 shown]
	v_mov_b32_e32 v6, 0
	buffer_store_dword v6, off, s[0:3], 0 offset:80
	buffer_store_dword v6, off, s[0:3], 0 offset:84
	;; [unrolled: 1-line block ×4, first 2 shown]
	s_waitcnt vmcnt(4)
	ds_write_b128 v82, v[2:5]
.LBB12_81:
	s_or_b64 exec, exec, s[6:7]
	s_waitcnt lgkmcnt(0)
	; wave barrier
	s_waitcnt lgkmcnt(0)
	buffer_load_dword v20, off, s[0:3], 0 offset:104
	buffer_load_dword v21, off, s[0:3], 0 offset:108
	;; [unrolled: 1-line block ×32, first 2 shown]
	v_mov_b32_e32 v2, 0
	ds_read_b128 v[4:7], v2 offset:304
	ds_read_b128 v[8:11], v2 offset:320
	;; [unrolled: 1-line block ×7, first 2 shown]
	v_cmp_lt_u32_e32 vcc, 4, v81
	s_waitcnt vmcnt(30) lgkmcnt(6)
	v_mul_f64 v[104:105], v[4:5], v[20:21]
	v_mul_f64 v[20:21], v[6:7], v[20:21]
	s_waitcnt vmcnt(28) lgkmcnt(5)
	v_mul_f64 v[106:107], v[8:9], v[60:61]
	v_mul_f64 v[60:61], v[10:11], v[60:61]
	;; [unrolled: 3-line block ×4, first 2 shown]
	s_waitcnt vmcnt(21)
	v_mul_f64 v[110:111], v[16:17], v[68:69]
	v_mul_f64 v[68:69], v[18:19], v[68:69]
	s_waitcnt vmcnt(17) lgkmcnt(1)
	v_mul_f64 v[114:115], v[52:53], v[88:89]
	v_mul_f64 v[88:89], v[54:55], v[88:89]
	s_waitcnt vmcnt(16) lgkmcnt(0)
	v_mul_f64 v[116:117], v[56:57], v[84:85]
	v_mul_f64 v[84:85], v[58:59], v[84:85]
	s_waitcnt vmcnt(13)
	v_fma_f64 v[4:5], v[4:5], v[90:91], -v[20:21]
	v_fmac_f64_e32 v[104:105], v[6:7], v[90:91]
	s_waitcnt vmcnt(11)
	v_fma_f64 v[6:7], v[8:9], v[92:93], -v[60:61]
	v_add_f64 v[4:5], v[4:5], 0
	v_fmac_f64_e32 v[106:107], v[10:11], v[92:93]
	s_waitcnt vmcnt(9)
	v_fma_f64 v[8:9], v[12:13], v[94:95], -v[62:63]
	s_waitcnt vmcnt(7)
	v_fmac_f64_e32 v[110:111], v[18:19], v[96:97]
	v_add_f64 v[18:19], v[104:105], 0
	v_add_f64 v[4:5], v[4:5], v[6:7]
	v_fmac_f64_e32 v[108:109], v[14:15], v[94:95]
	v_fma_f64 v[10:11], v[16:17], v[96:97], -v[68:69]
	v_add_f64 v[18:19], v[18:19], v[106:107]
	v_add_f64 v[4:5], v[4:5], v[8:9]
	v_fma_f64 v[12:13], v[48:49], v[66:67], -v[64:65]
	v_add_f64 v[6:7], v[18:19], v[108:109]
	v_add_f64 v[4:5], v[4:5], v[10:11]
	v_fmac_f64_e32 v[112:113], v[50:51], v[66:67]
	s_waitcnt vmcnt(5)
	v_fma_f64 v[14:15], v[52:53], v[98:99], -v[88:89]
	v_add_f64 v[6:7], v[6:7], v[110:111]
	v_add_f64 v[4:5], v[4:5], v[12:13]
	v_fmac_f64_e32 v[114:115], v[54:55], v[98:99]
	s_waitcnt vmcnt(4)
	v_fma_f64 v[16:17], v[56:57], v[86:87], -v[84:85]
	v_add_f64 v[6:7], v[6:7], v[112:113]
	v_add_f64 v[4:5], v[4:5], v[14:15]
	v_fmac_f64_e32 v[116:117], v[58:59], v[86:87]
	v_add_f64 v[6:7], v[6:7], v[114:115]
	v_add_f64 v[4:5], v[4:5], v[16:17]
	;; [unrolled: 1-line block ×3, first 2 shown]
	s_waitcnt vmcnt(2)
	v_add_f64 v[4:5], v[100:101], -v[4:5]
	s_waitcnt vmcnt(0)
	v_add_f64 v[6:7], v[102:103], -v[6:7]
	buffer_store_dword v5, off, s[0:3], 0 offset:84
	buffer_store_dword v4, off, s[0:3], 0 offset:80
	;; [unrolled: 1-line block ×4, first 2 shown]
	s_and_saveexec_b64 s[6:7], vcc
	s_cbranch_execz .LBB12_83
; %bb.82:
	buffer_load_dword v4, v74, s[0:3], 0 offen
	buffer_load_dword v5, v74, s[0:3], 0 offen offset:4
	buffer_load_dword v6, v74, s[0:3], 0 offen offset:8
	;; [unrolled: 1-line block ×3, first 2 shown]
	s_nop 0
	buffer_store_dword v2, off, s[0:3], 0 offset:64
	buffer_store_dword v2, off, s[0:3], 0 offset:68
	buffer_store_dword v2, off, s[0:3], 0 offset:72
	buffer_store_dword v2, off, s[0:3], 0 offset:76
	s_waitcnt vmcnt(4)
	ds_write_b128 v82, v[4:7]
.LBB12_83:
	s_or_b64 exec, exec, s[6:7]
	s_waitcnt lgkmcnt(0)
	; wave barrier
	s_waitcnt lgkmcnt(0)
	buffer_load_dword v20, off, s[0:3], 0 offset:88
	buffer_load_dword v21, off, s[0:3], 0 offset:92
	;; [unrolled: 1-line block ×36, first 2 shown]
	ds_read_b128 v[4:7], v2 offset:288
	ds_read_b128 v[8:11], v2 offset:304
	;; [unrolled: 1-line block ×8, first 2 shown]
	v_cmp_lt_u32_e32 vcc, 3, v81
	s_waitcnt vmcnt(34) lgkmcnt(7)
	v_mul_f64 v[2:3], v[4:5], v[20:21]
	v_mul_f64 v[20:21], v[6:7], v[20:21]
	s_waitcnt vmcnt(32) lgkmcnt(6)
	v_mul_f64 v[112:113], v[8:9], v[64:65]
	v_mul_f64 v[64:65], v[10:11], v[64:65]
	;; [unrolled: 3-line block ×4, first 2 shown]
	s_waitcnt vmcnt(25)
	v_mul_f64 v[116:117], v[16:17], v[86:87]
	v_mul_f64 v[86:87], v[18:19], v[86:87]
	s_waitcnt vmcnt(23) lgkmcnt(1)
	v_mul_f64 v[122:123], v[56:57], v[88:89]
	v_mul_f64 v[88:89], v[58:59], v[88:89]
	s_waitcnt vmcnt(20)
	v_mul_f64 v[120:121], v[52:53], v[92:93]
	v_mul_f64 v[92:93], v[54:55], v[92:93]
	s_waitcnt vmcnt(18) lgkmcnt(0)
	v_mul_f64 v[124:125], v[60:61], v[94:95]
	s_waitcnt vmcnt(17)
	v_fmac_f64_e32 v[118:119], v[50:51], v[84:85]
	s_waitcnt vmcnt(16)
	v_fmac_f64_e32 v[122:123], v[58:59], v[90:91]
	s_waitcnt vmcnt(14)
	v_fma_f64 v[4:5], v[4:5], v[96:97], -v[20:21]
	v_fmac_f64_e32 v[2:3], v[6:7], v[96:97]
	s_waitcnt vmcnt(12)
	v_fma_f64 v[6:7], v[8:9], v[98:99], -v[64:65]
	v_add_f64 v[4:5], v[4:5], 0
	v_fmac_f64_e32 v[112:113], v[10:11], v[98:99]
	s_waitcnt vmcnt(10)
	v_fma_f64 v[8:9], v[12:13], v[100:101], -v[66:67]
	v_add_f64 v[2:3], v[2:3], 0
	v_add_f64 v[4:5], v[4:5], v[6:7]
	v_fmac_f64_e32 v[114:115], v[14:15], v[100:101]
	s_waitcnt vmcnt(8)
	v_fma_f64 v[10:11], v[16:17], v[102:103], -v[86:87]
	v_add_f64 v[2:3], v[2:3], v[112:113]
	v_add_f64 v[4:5], v[4:5], v[8:9]
	v_fmac_f64_e32 v[116:117], v[18:19], v[102:103]
	v_fma_f64 v[12:13], v[48:49], v[84:85], -v[68:69]
	v_add_f64 v[2:3], v[2:3], v[114:115]
	v_add_f64 v[4:5], v[4:5], v[10:11]
	s_waitcnt vmcnt(6)
	v_fma_f64 v[14:15], v[52:53], v[104:105], -v[92:93]
	v_add_f64 v[2:3], v[2:3], v[116:117]
	v_add_f64 v[4:5], v[4:5], v[12:13]
	v_fmac_f64_e32 v[120:121], v[54:55], v[104:105]
	v_fma_f64 v[16:17], v[56:57], v[90:91], -v[88:89]
	v_add_f64 v[2:3], v[2:3], v[118:119]
	v_add_f64 v[4:5], v[4:5], v[14:15]
	v_mul_f64 v[6:7], v[62:63], v[94:95]
	v_add_f64 v[2:3], v[2:3], v[120:121]
	v_add_f64 v[4:5], v[4:5], v[16:17]
	s_waitcnt vmcnt(4)
	v_fma_f64 v[6:7], v[60:61], v[106:107], -v[6:7]
	v_fmac_f64_e32 v[124:125], v[62:63], v[106:107]
	v_add_f64 v[2:3], v[2:3], v[122:123]
	v_add_f64 v[4:5], v[4:5], v[6:7]
	;; [unrolled: 1-line block ×3, first 2 shown]
	s_waitcnt vmcnt(2)
	v_add_f64 v[4:5], v[108:109], -v[4:5]
	s_waitcnt vmcnt(0)
	v_add_f64 v[2:3], v[110:111], -v[2:3]
	buffer_store_dword v5, off, s[0:3], 0 offset:68
	buffer_store_dword v4, off, s[0:3], 0 offset:64
	;; [unrolled: 1-line block ×4, first 2 shown]
	s_and_saveexec_b64 s[6:7], vcc
	s_cbranch_execz .LBB12_85
; %bb.84:
	buffer_load_dword v2, v79, s[0:3], 0 offen
	buffer_load_dword v3, v79, s[0:3], 0 offen offset:4
	buffer_load_dword v4, v79, s[0:3], 0 offen offset:8
	;; [unrolled: 1-line block ×3, first 2 shown]
	v_mov_b32_e32 v6, 0
	buffer_store_dword v6, off, s[0:3], 0 offset:48
	buffer_store_dword v6, off, s[0:3], 0 offset:52
	;; [unrolled: 1-line block ×4, first 2 shown]
	s_waitcnt vmcnt(4)
	ds_write_b128 v82, v[2:5]
.LBB12_85:
	s_or_b64 exec, exec, s[6:7]
	v_mov_b32_e32 v83, 0
	s_waitcnt lgkmcnt(0)
	; wave barrier
	s_waitcnt lgkmcnt(0)
	ds_read_b128 v[14:17], v83 offset:272
	ds_read_b128 v[10:13], v83 offset:288
	;; [unrolled: 1-line block ×4, first 2 shown]
	buffer_load_dword v50, off, s[0:3], 0 offset:48
	buffer_load_dword v51, off, s[0:3], 0 offset:52
	buffer_load_dword v48, off, s[0:3], 0 offset:56
	buffer_load_dword v49, off, s[0:3], 0 offset:60
	buffer_load_dword v52, off, s[0:3], 0 offset:64
	buffer_load_dword v53, off, s[0:3], 0 offset:68
	buffer_load_dword v62, off, s[0:3], 0 offset:72
	buffer_load_dword v63, off, s[0:3], 0 offset:76
	buffer_load_dword v58, off, s[0:3], 0 offset:80
	buffer_load_dword v59, off, s[0:3], 0 offset:84
	buffer_load_dword v64, off, s[0:3], 0 offset:88
	buffer_load_dword v65, off, s[0:3], 0 offset:92
	buffer_load_dword v60, off, s[0:3], 0 offset:96
	buffer_load_dword v61, off, s[0:3], 0 offset:100
	buffer_load_dword v66, off, s[0:3], 0 offset:104
	buffer_load_dword v67, off, s[0:3], 0 offset:108
	buffer_load_dword v57, off, s[0:3], 0 offset:116
	buffer_load_dword v56, off, s[0:3], 0 offset:112
	buffer_load_dword v69, off, s[0:3], 0 offset:124
	buffer_load_dword v68, off, s[0:3], 0 offset:120
	v_cmp_lt_u32_e32 vcc, 2, v81
	s_waitcnt vmcnt(12) lgkmcnt(3)
	v_mul_f64 v[18:19], v[14:15], v[62:63]
	v_fmac_f64_e32 v[18:19], v[16:17], v[52:53]
	v_add_f64 v[18:19], v[18:19], 0
	v_mul_f64 v[16:17], v[16:17], v[62:63]
	s_waitcnt vmcnt(8) lgkmcnt(2)
	v_mul_f64 v[20:21], v[10:11], v[64:65]
	v_fmac_f64_e32 v[20:21], v[12:13], v[58:59]
	v_add_f64 v[18:19], v[18:19], v[20:21]
	v_fma_f64 v[14:15], v[14:15], v[52:53], -v[16:17]
	s_waitcnt vmcnt(4) lgkmcnt(1)
	v_mul_f64 v[20:21], v[6:7], v[66:67]
	v_fmac_f64_e32 v[20:21], v[8:9], v[60:61]
	v_add_f64 v[18:19], v[18:19], v[20:21]
	s_waitcnt vmcnt(0) lgkmcnt(0)
	v_mul_f64 v[20:21], v[2:3], v[68:69]
	v_fmac_f64_e32 v[20:21], v[4:5], v[56:57]
	v_add_f64 v[84:85], v[18:19], v[20:21]
	ds_read_b128 v[18:21], v83 offset:336
	buffer_load_dword v55, off, s[0:3], 0 offset:132
	buffer_load_dword v54, off, s[0:3], 0 offset:128
	;; [unrolled: 1-line block ×4, first 2 shown]
	v_mul_f64 v[12:13], v[12:13], v[64:65]
	v_add_f64 v[14:15], v[14:15], 0
	v_fma_f64 v[10:11], v[10:11], v[58:59], -v[12:13]
	v_mul_f64 v[8:9], v[8:9], v[66:67]
	v_add_f64 v[10:11], v[14:15], v[10:11]
	v_fma_f64 v[6:7], v[6:7], v[60:61], -v[8:9]
	v_mul_f64 v[4:5], v[4:5], v[68:69]
	v_add_f64 v[6:7], v[10:11], v[6:7]
	v_fma_f64 v[2:3], v[2:3], v[56:57], -v[4:5]
	v_add_f64 v[2:3], v[6:7], v[2:3]
	s_waitcnt vmcnt(0) lgkmcnt(0)
	v_mul_f64 v[86:87], v[18:19], v[100:101]
	v_fmac_f64_e32 v[86:87], v[20:21], v[54:55]
	v_add_f64 v[88:89], v[84:85], v[86:87]
	ds_read_b128 v[84:87], v83 offset:352
	buffer_load_dword v103, off, s[0:3], 0 offset:148
	buffer_load_dword v102, off, s[0:3], 0 offset:144
	buffer_load_dword v105, off, s[0:3], 0 offset:156
	buffer_load_dword v104, off, s[0:3], 0 offset:152
	v_mul_f64 v[4:5], v[20:21], v[100:101]
	v_fma_f64 v[4:5], v[18:19], v[54:55], -v[4:5]
	v_add_f64 v[2:3], v[2:3], v[4:5]
	s_waitcnt vmcnt(0) lgkmcnt(0)
	v_mul_f64 v[90:91], v[84:85], v[104:105]
	v_fmac_f64_e32 v[90:91], v[86:87], v[102:103]
	v_add_f64 v[92:93], v[88:89], v[90:91]
	ds_read_b128 v[88:91], v83 offset:368
	buffer_load_dword v107, off, s[0:3], 0 offset:164
	buffer_load_dword v106, off, s[0:3], 0 offset:160
	buffer_load_dword v109, off, s[0:3], 0 offset:172
	buffer_load_dword v108, off, s[0:3], 0 offset:168
	v_mul_f64 v[4:5], v[86:87], v[104:105]
	v_fma_f64 v[4:5], v[84:85], v[102:103], -v[4:5]
	;; [unrolled: 12-line block ×4, first 2 shown]
	v_add_f64 v[2:3], v[2:3], v[4:5]
	s_waitcnt vmcnt(0) lgkmcnt(0)
	v_mul_f64 v[4:5], v[98:99], v[118:119]
	v_mul_f64 v[120:121], v[96:97], v[118:119]
	v_fma_f64 v[4:5], v[96:97], v[116:117], -v[4:5]
	v_fmac_f64_e32 v[120:121], v[98:99], v[116:117]
	v_add_f64 v[2:3], v[2:3], v[4:5]
	v_add_f64 v[114:115], v[114:115], v[120:121]
	v_add_f64 v[2:3], v[50:51], -v[2:3]
	v_add_f64 v[4:5], v[48:49], -v[114:115]
	buffer_store_dword v3, off, s[0:3], 0 offset:52
	buffer_store_dword v2, off, s[0:3], 0 offset:48
	;; [unrolled: 1-line block ×4, first 2 shown]
	s_and_saveexec_b64 s[6:7], vcc
	s_cbranch_execz .LBB12_87
; %bb.86:
	buffer_load_dword v2, v80, s[0:3], 0 offen
	buffer_load_dword v3, v80, s[0:3], 0 offen offset:4
	buffer_load_dword v4, v80, s[0:3], 0 offen offset:8
	;; [unrolled: 1-line block ×3, first 2 shown]
	s_nop 0
	buffer_store_dword v83, off, s[0:3], 0 offset:32
	buffer_store_dword v83, off, s[0:3], 0 offset:36
	;; [unrolled: 1-line block ×4, first 2 shown]
	s_waitcnt vmcnt(4)
	ds_write_b128 v82, v[2:5]
.LBB12_87:
	s_or_b64 exec, exec, s[6:7]
	s_waitcnt lgkmcnt(0)
	; wave barrier
	s_waitcnt lgkmcnt(0)
	buffer_load_dword v4, off, s[0:3], 0 offset:48
	buffer_load_dword v5, off, s[0:3], 0 offset:52
	;; [unrolled: 1-line block ×44, first 2 shown]
	ds_read_b128 v[6:9], v83 offset:256
	ds_read_b128 v[10:13], v83 offset:272
	;; [unrolled: 1-line block ×10, first 2 shown]
	v_cmp_lt_u32_e32 vcc, 1, v81
	s_waitcnt vmcnt(40) lgkmcnt(9)
	v_mul_f64 v[126:127], v[6:7], v[68:69]
	v_mul_f64 v[68:69], v[8:9], v[68:69]
	s_waitcnt vmcnt(38) lgkmcnt(8)
	v_mul_f64 v[128:129], v[10:11], v[88:89]
	v_mul_f64 v[88:89], v[12:13], v[88:89]
	v_fmac_f64_e32 v[126:127], v[8:9], v[4:5]
	v_fma_f64 v[4:5], v[6:7], v[4:5], -v[68:69]
	s_waitcnt vmcnt(36) lgkmcnt(7)
	v_mul_f64 v[130:131], v[14:15], v[2:3]
	v_add_f64 v[4:5], v[4:5], 0
	v_mul_f64 v[2:3], v[16:17], v[2:3]
	v_add_f64 v[8:9], v[126:127], 0
	s_waitcnt vmcnt(30) lgkmcnt(6)
	v_mul_f64 v[132:133], v[18:19], v[94:95]
	s_waitcnt lgkmcnt(5)
	v_mul_f64 v[134:135], v[48:49], v[90:91]
	v_fmac_f64_e32 v[134:135], v[50:51], v[92:93]
	s_waitcnt vmcnt(28) lgkmcnt(3)
	v_mul_f64 v[138:139], v[56:57], v[96:97]
	s_waitcnt vmcnt(26)
	v_fmac_f64_e32 v[138:139], v[58:59], v[98:99]
	s_waitcnt vmcnt(24)
	v_mul_f64 v[136:137], v[52:53], v[100:101]
	s_waitcnt vmcnt(22) lgkmcnt(1)
	v_mul_f64 v[142:143], v[64:65], v[102:103]
	s_waitcnt vmcnt(20)
	v_fmac_f64_e32 v[142:143], v[66:67], v[104:105]
	s_waitcnt vmcnt(18)
	v_mul_f64 v[140:141], v[60:61], v[106:107]
	s_waitcnt vmcnt(16) lgkmcnt(0)
	v_mul_f64 v[144:145], v[84:85], v[108:109]
	s_waitcnt vmcnt(14)
	v_fma_f64 v[6:7], v[10:11], v[110:111], -v[88:89]
	v_add_f64 v[4:5], v[4:5], v[6:7]
	s_waitcnt vmcnt(12)
	v_fma_f64 v[2:3], v[14:15], v[112:113], -v[2:3]
	v_add_f64 v[2:3], v[4:5], v[2:3]
	v_mul_f64 v[4:5], v[20:21], v[94:95]
	s_waitcnt vmcnt(10)
	v_fma_f64 v[4:5], v[18:19], v[114:115], -v[4:5]
	v_add_f64 v[2:3], v[2:3], v[4:5]
	v_mul_f64 v[4:5], v[50:51], v[90:91]
	v_fma_f64 v[4:5], v[48:49], v[92:93], -v[4:5]
	v_add_f64 v[2:3], v[2:3], v[4:5]
	v_mul_f64 v[4:5], v[54:55], v[100:101]
	s_waitcnt vmcnt(8)
	v_fma_f64 v[4:5], v[52:53], v[116:117], -v[4:5]
	v_fmac_f64_e32 v[128:129], v[12:13], v[110:111]
	v_add_f64 v[2:3], v[2:3], v[4:5]
	v_mul_f64 v[4:5], v[58:59], v[96:97]
	v_fmac_f64_e32 v[130:131], v[16:17], v[112:113]
	v_add_f64 v[8:9], v[8:9], v[128:129]
	v_fma_f64 v[4:5], v[56:57], v[98:99], -v[4:5]
	v_fmac_f64_e32 v[132:133], v[20:21], v[114:115]
	v_add_f64 v[6:7], v[8:9], v[130:131]
	v_add_f64 v[2:3], v[2:3], v[4:5]
	v_mul_f64 v[4:5], v[62:63], v[106:107]
	v_add_f64 v[6:7], v[6:7], v[132:133]
	s_waitcnt vmcnt(6)
	v_fma_f64 v[4:5], v[60:61], v[118:119], -v[4:5]
	v_fmac_f64_e32 v[136:137], v[54:55], v[116:117]
	v_add_f64 v[6:7], v[6:7], v[134:135]
	v_add_f64 v[2:3], v[2:3], v[4:5]
	v_mul_f64 v[4:5], v[66:67], v[102:103]
	v_add_f64 v[6:7], v[6:7], v[136:137]
	v_fma_f64 v[4:5], v[64:65], v[104:105], -v[4:5]
	v_fmac_f64_e32 v[140:141], v[62:63], v[118:119]
	v_add_f64 v[6:7], v[6:7], v[138:139]
	v_add_f64 v[2:3], v[2:3], v[4:5]
	v_mul_f64 v[4:5], v[86:87], v[108:109]
	v_add_f64 v[6:7], v[6:7], v[140:141]
	s_waitcnt vmcnt(4)
	v_fma_f64 v[4:5], v[84:85], v[120:121], -v[4:5]
	v_fmac_f64_e32 v[144:145], v[86:87], v[120:121]
	v_add_f64 v[6:7], v[6:7], v[142:143]
	v_add_f64 v[2:3], v[2:3], v[4:5]
	;; [unrolled: 1-line block ×3, first 2 shown]
	s_waitcnt vmcnt(2)
	v_add_f64 v[2:3], v[122:123], -v[2:3]
	s_waitcnt vmcnt(0)
	v_add_f64 v[4:5], v[124:125], -v[6:7]
	buffer_store_dword v3, off, s[0:3], 0 offset:36
	buffer_store_dword v2, off, s[0:3], 0 offset:32
	;; [unrolled: 1-line block ×4, first 2 shown]
	s_and_saveexec_b64 s[6:7], vcc
	s_cbranch_execz .LBB12_89
; %bb.88:
	buffer_load_dword v2, v78, s[0:3], 0 offen
	buffer_load_dword v3, v78, s[0:3], 0 offen offset:4
	buffer_load_dword v4, v78, s[0:3], 0 offen offset:8
	;; [unrolled: 1-line block ×3, first 2 shown]
	v_mov_b32_e32 v6, 0
	buffer_store_dword v6, off, s[0:3], 0 offset:16
	buffer_store_dword v6, off, s[0:3], 0 offset:20
	;; [unrolled: 1-line block ×4, first 2 shown]
	s_waitcnt vmcnt(4)
	ds_write_b128 v82, v[2:5]
.LBB12_89:
	s_or_b64 exec, exec, s[6:7]
	s_waitcnt lgkmcnt(0)
	; wave barrier
	s_waitcnt lgkmcnt(0)
	buffer_load_dword v2, off, s[0:3], 0 offset:32
	buffer_load_dword v3, off, s[0:3], 0 offset:36
	;; [unrolled: 1-line block ×48, first 2 shown]
	v_mov_b32_e32 v12, 0
	ds_read_b128 v[14:17], v12 offset:240
	ds_read_b128 v[18:21], v12 offset:256
	;; [unrolled: 1-line block ×11, first 2 shown]
	v_cmp_ne_u32_e32 vcc, 0, v81
	s_waitcnt vmcnt(44) lgkmcnt(10)
	v_mul_f64 v[136:137], v[14:15], v[6:7]
	v_mul_f64 v[6:7], v[16:17], v[6:7]
	v_fmac_f64_e32 v[136:137], v[16:17], v[2:3]
	v_fma_f64 v[2:3], v[14:15], v[2:3], -v[6:7]
	s_waitcnt vmcnt(40) lgkmcnt(9)
	v_mul_f64 v[138:139], v[18:19], v[8:9]
	v_mul_f64 v[6:7], v[20:21], v[8:9]
	v_fmac_f64_e32 v[138:139], v[20:21], v[4:5]
	v_add_f64 v[2:3], v[2:3], 0
	v_fma_f64 v[4:5], v[18:19], v[4:5], -v[6:7]
	v_add_f64 v[2:3], v[2:3], v[4:5]
	s_waitcnt vmcnt(38) lgkmcnt(8)
	v_mul_f64 v[4:5], v[50:51], v[10:11]
	v_mul_f64 v[140:141], v[48:49], v[10:11]
	v_add_f64 v[136:137], v[136:137], 0
	s_waitcnt vmcnt(32) lgkmcnt(7)
	v_mul_f64 v[142:143], v[52:53], v[102:103]
	v_add_f64 v[136:137], v[136:137], v[138:139]
	s_waitcnt lgkmcnt(6)
	v_mul_f64 v[144:145], v[56:57], v[68:69]
	v_fmac_f64_e32 v[144:145], v[58:59], v[100:101]
	s_waitcnt vmcnt(30) lgkmcnt(4)
	v_mul_f64 v[148:149], v[64:65], v[104:105]
	s_waitcnt vmcnt(26)
	v_mul_f64 v[146:147], v[60:61], v[108:109]
	v_fmac_f64_e32 v[148:149], v[66:67], v[106:107]
	s_waitcnt vmcnt(24) lgkmcnt(2)
	v_mul_f64 v[152:153], v[88:89], v[110:111]
	s_waitcnt vmcnt(22)
	v_fmac_f64_e32 v[152:153], v[90:91], v[112:113]
	s_waitcnt vmcnt(20)
	v_mul_f64 v[150:151], v[84:85], v[114:115]
	s_waitcnt vmcnt(16) lgkmcnt(1)
	v_mul_f64 v[154:155], v[92:93], v[120:121]
	s_waitcnt vmcnt(14)
	v_fma_f64 v[4:5], v[48:49], v[122:123], -v[4:5]
	v_add_f64 v[2:3], v[2:3], v[4:5]
	v_mul_f64 v[4:5], v[54:55], v[102:103]
	s_waitcnt vmcnt(12)
	v_fma_f64 v[4:5], v[52:53], v[124:125], -v[4:5]
	v_add_f64 v[2:3], v[2:3], v[4:5]
	v_mul_f64 v[4:5], v[58:59], v[68:69]
	v_fma_f64 v[4:5], v[56:57], v[100:101], -v[4:5]
	v_add_f64 v[2:3], v[2:3], v[4:5]
	v_mul_f64 v[4:5], v[62:63], v[108:109]
	s_waitcnt vmcnt(10)
	v_fma_f64 v[4:5], v[60:61], v[126:127], -v[4:5]
	v_add_f64 v[2:3], v[2:3], v[4:5]
	v_mul_f64 v[4:5], v[66:67], v[104:105]
	v_fma_f64 v[4:5], v[64:65], v[106:107], -v[4:5]
	v_fmac_f64_e32 v[140:141], v[50:51], v[122:123]
	v_add_f64 v[2:3], v[2:3], v[4:5]
	v_mul_f64 v[4:5], v[86:87], v[114:115]
	v_fmac_f64_e32 v[142:143], v[54:55], v[124:125]
	v_add_f64 v[136:137], v[136:137], v[140:141]
	s_waitcnt vmcnt(8)
	v_fma_f64 v[4:5], v[84:85], v[128:129], -v[4:5]
	v_add_f64 v[136:137], v[136:137], v[142:143]
	v_add_f64 v[2:3], v[2:3], v[4:5]
	v_mul_f64 v[4:5], v[90:91], v[110:111]
	v_fmac_f64_e32 v[146:147], v[62:63], v[126:127]
	v_add_f64 v[136:137], v[136:137], v[144:145]
	v_fma_f64 v[4:5], v[88:89], v[112:113], -v[4:5]
	v_add_f64 v[136:137], v[136:137], v[146:147]
	v_add_f64 v[2:3], v[2:3], v[4:5]
	v_mul_f64 v[4:5], v[94:95], v[120:121]
	v_fmac_f64_e32 v[150:151], v[86:87], v[128:129]
	v_add_f64 v[136:137], v[136:137], v[148:149]
	s_waitcnt vmcnt(6)
	v_fma_f64 v[4:5], v[92:93], v[130:131], -v[4:5]
	v_add_f64 v[136:137], v[136:137], v[150:151]
	v_add_f64 v[2:3], v[2:3], v[4:5]
	s_waitcnt vmcnt(5) lgkmcnt(0)
	v_mul_f64 v[4:5], v[98:99], v[116:117]
	v_fmac_f64_e32 v[154:155], v[94:95], v[130:131]
	v_add_f64 v[136:137], v[136:137], v[152:153]
	v_mul_f64 v[138:139], v[96:97], v[116:117]
	s_waitcnt vmcnt(4)
	v_fma_f64 v[4:5], v[96:97], v[118:119], -v[4:5]
	v_add_f64 v[136:137], v[136:137], v[154:155]
	v_fmac_f64_e32 v[138:139], v[98:99], v[118:119]
	v_add_f64 v[2:3], v[2:3], v[4:5]
	v_add_f64 v[136:137], v[136:137], v[138:139]
	s_waitcnt vmcnt(2)
	v_add_f64 v[2:3], v[132:133], -v[2:3]
	s_waitcnt vmcnt(0)
	v_add_f64 v[4:5], v[134:135], -v[136:137]
	buffer_store_dword v3, off, s[0:3], 0 offset:20
	buffer_store_dword v2, off, s[0:3], 0 offset:16
	;; [unrolled: 1-line block ×4, first 2 shown]
	s_and_saveexec_b64 s[6:7], vcc
	s_cbranch_execz .LBB12_91
; %bb.90:
	buffer_load_dword v2, off, s[0:3], 0
	buffer_load_dword v3, off, s[0:3], 0 offset:4
	buffer_load_dword v4, off, s[0:3], 0 offset:8
	;; [unrolled: 1-line block ×3, first 2 shown]
	s_nop 0
	buffer_store_dword v12, off, s[0:3], 0
	buffer_store_dword v12, off, s[0:3], 0 offset:4
	buffer_store_dword v12, off, s[0:3], 0 offset:8
	;; [unrolled: 1-line block ×3, first 2 shown]
	s_waitcnt vmcnt(4)
	ds_write_b128 v82, v[2:5]
.LBB12_91:
	s_or_b64 exec, exec, s[6:7]
	s_waitcnt lgkmcnt(0)
	; wave barrier
	s_waitcnt lgkmcnt(0)
	buffer_load_dword v2, off, s[0:3], 0 offset:16
	buffer_load_dword v3, off, s[0:3], 0 offset:20
	;; [unrolled: 1-line block ×48, first 2 shown]
	buffer_load_dword v138, off, s[0:3], 0
	buffer_load_dword v139, off, s[0:3], 0 offset:4
	buffer_load_dword v140, off, s[0:3], 0 offset:8
	;; [unrolled: 1-line block ×3, first 2 shown]
	ds_read_b128 v[14:17], v12 offset:224
	ds_read_b128 v[18:21], v12 offset:240
	;; [unrolled: 1-line block ×10, first 2 shown]
	s_and_b64 vcc, exec, s[26:27]
	s_waitcnt vmcnt(48) lgkmcnt(9)
	v_mul_f64 v[94:95], v[14:15], v[6:7]
	v_mul_f64 v[6:7], v[16:17], v[6:7]
	v_fmac_f64_e32 v[94:95], v[16:17], v[2:3]
	v_fma_f64 v[2:3], v[14:15], v[2:3], -v[6:7]
	s_waitcnt vmcnt(44) lgkmcnt(8)
	v_mul_f64 v[96:97], v[18:19], v[8:9]
	v_mul_f64 v[6:7], v[20:21], v[8:9]
	v_fmac_f64_e32 v[96:97], v[20:21], v[4:5]
	v_add_f64 v[2:3], v[2:3], 0
	v_fma_f64 v[4:5], v[18:19], v[4:5], -v[6:7]
	v_add_f64 v[2:3], v[2:3], v[4:5]
	s_waitcnt vmcnt(42) lgkmcnt(7)
	v_mul_f64 v[4:5], v[50:51], v[10:11]
	v_mul_f64 v[98:99], v[48:49], v[10:11]
	v_add_f64 v[94:95], v[94:95], 0
	s_waitcnt vmcnt(36) lgkmcnt(6)
	v_mul_f64 v[100:101], v[52:53], v[104:105]
	v_add_f64 v[94:95], v[94:95], v[96:97]
	s_waitcnt lgkmcnt(5)
	v_mul_f64 v[142:143], v[56:57], v[68:69]
	v_fmac_f64_e32 v[142:143], v[58:59], v[102:103]
	s_waitcnt vmcnt(34) lgkmcnt(3)
	v_mul_f64 v[146:147], v[64:65], v[106:107]
	s_waitcnt vmcnt(30)
	v_mul_f64 v[144:145], v[60:61], v[110:111]
	v_fmac_f64_e32 v[146:147], v[66:67], v[108:109]
	s_waitcnt vmcnt(26) lgkmcnt(2)
	v_mul_f64 v[148:149], v[82:83], v[116:117]
	s_waitcnt vmcnt(25) lgkmcnt(1)
	v_mul_f64 v[150:151], v[86:87], v[112:113]
	s_waitcnt vmcnt(23)
	v_fma_f64 v[4:5], v[48:49], v[118:119], -v[4:5]
	v_add_f64 v[2:3], v[2:3], v[4:5]
	v_mul_f64 v[4:5], v[54:55], v[104:105]
	s_waitcnt vmcnt(21)
	v_fma_f64 v[4:5], v[52:53], v[120:121], -v[4:5]
	v_fmac_f64_e32 v[98:99], v[50:51], v[118:119]
	v_add_f64 v[2:3], v[2:3], v[4:5]
	v_mul_f64 v[4:5], v[58:59], v[68:69]
	v_fmac_f64_e32 v[100:101], v[54:55], v[120:121]
	v_add_f64 v[94:95], v[94:95], v[98:99]
	v_fma_f64 v[4:5], v[56:57], v[102:103], -v[4:5]
	v_add_f64 v[94:95], v[94:95], v[100:101]
	v_add_f64 v[2:3], v[2:3], v[4:5]
	v_mul_f64 v[4:5], v[62:63], v[110:111]
	s_waitcnt vmcnt(19)
	v_fmac_f64_e32 v[144:145], v[62:63], v[122:123]
	v_add_f64 v[94:95], v[94:95], v[142:143]
	v_fma_f64 v[4:5], v[60:61], v[122:123], -v[4:5]
	v_add_f64 v[94:95], v[94:95], v[144:145]
	v_add_f64 v[2:3], v[2:3], v[4:5]
	v_mul_f64 v[4:5], v[66:67], v[106:107]
	s_waitcnt vmcnt(17)
	v_fmac_f64_e32 v[148:149], v[84:85], v[124:125]
	v_add_f64 v[94:95], v[94:95], v[146:147]
	v_fma_f64 v[4:5], v[64:65], v[108:109], -v[4:5]
	s_waitcnt vmcnt(16)
	v_fmac_f64_e32 v[150:151], v[88:89], v[114:115]
	v_add_f64 v[94:95], v[94:95], v[148:149]
	v_add_f64 v[2:3], v[2:3], v[4:5]
	v_mul_f64 v[4:5], v[84:85], v[116:117]
	v_add_f64 v[142:143], v[94:95], v[150:151]
	ds_read_b128 v[94:97], v12 offset:384
	ds_read_b128 v[98:101], v12 offset:400
	v_fma_f64 v[4:5], v[82:83], v[124:125], -v[4:5]
	v_add_f64 v[2:3], v[2:3], v[4:5]
	v_mul_f64 v[4:5], v[88:89], v[112:113]
	v_fma_f64 v[4:5], v[86:87], v[114:115], -v[4:5]
	v_add_f64 v[2:3], v[2:3], v[4:5]
	s_waitcnt vmcnt(12) lgkmcnt(2)
	v_mul_f64 v[4:5], v[92:93], v[130:131]
	v_mul_f64 v[144:145], v[90:91], v[130:131]
	s_waitcnt vmcnt(10)
	v_fma_f64 v[4:5], v[90:91], v[132:133], -v[4:5]
	v_fmac_f64_e32 v[144:145], v[92:93], v[132:133]
	v_add_f64 v[2:3], v[2:3], v[4:5]
	s_waitcnt vmcnt(8) lgkmcnt(1)
	v_mul_f64 v[4:5], v[96:97], v[126:127]
	v_add_f64 v[12:13], v[142:143], v[144:145]
	v_mul_f64 v[142:143], v[94:95], v[126:127]
	v_fma_f64 v[4:5], v[94:95], v[128:129], -v[4:5]
	v_fmac_f64_e32 v[142:143], v[96:97], v[128:129]
	v_add_f64 v[2:3], v[2:3], v[4:5]
	s_waitcnt vmcnt(6) lgkmcnt(0)
	v_mul_f64 v[4:5], v[100:101], v[134:135]
	v_add_f64 v[12:13], v[12:13], v[142:143]
	v_mul_f64 v[142:143], v[98:99], v[134:135]
	s_waitcnt vmcnt(4)
	v_fma_f64 v[4:5], v[98:99], v[136:137], -v[4:5]
	v_fmac_f64_e32 v[142:143], v[100:101], v[136:137]
	v_add_f64 v[2:3], v[2:3], v[4:5]
	v_add_f64 v[12:13], v[12:13], v[142:143]
	s_waitcnt vmcnt(2)
	v_add_f64 v[2:3], v[138:139], -v[2:3]
	s_waitcnt vmcnt(0)
	v_add_f64 v[4:5], v[140:141], -v[12:13]
	buffer_store_dword v3, off, s[0:3], 0 offset:4
	buffer_store_dword v2, off, s[0:3], 0
	buffer_store_dword v5, off, s[0:3], 0 offset:12
	buffer_store_dword v4, off, s[0:3], 0 offset:8
	s_cbranch_vccz .LBB12_117
; %bb.92:
	v_pk_mov_b32 v[2:3], s[24:25], s[24:25] op_sel:[0,1]
	flat_load_dword v2, v[2:3] offset:44
	s_load_dwordx2 s[4:5], s[4:5], 0x4
	v_bfe_u32 v4, v0, 10, 10
	v_bfe_u32 v0, v0, 20, 10
	s_waitcnt lgkmcnt(0)
	s_lshr_b32 s4, s4, 16
	s_mul_i32 s4, s4, s5
	v_mul_u32_u24_e32 v3, s4, v81
	v_mul_u32_u24_e32 v4, s5, v4
	v_add3_u32 v0, v3, v4, v0
	v_mov_b32_e32 v3, 0x1a8
	v_lshl_add_u32 v0, v0, 4, v3
	s_waitcnt vmcnt(0)
	v_add_u32_e32 v2, -1, v2
	v_cmp_ne_u32_e32 vcc, 11, v2
	s_and_saveexec_b64 s[4:5], vcc
	s_cbranch_execz .LBB12_94
; %bb.93:
	v_mov_b32_e32 v3, 0
	v_lshl_add_u32 v6, v2, 4, v3
	buffer_load_dword v2, v73, s[0:3], 0 offen
	buffer_load_dword v3, v73, s[0:3], 0 offen offset:4
	buffer_load_dword v4, v73, s[0:3], 0 offen offset:8
	buffer_load_dword v5, v73, s[0:3], 0 offen offset:12
	buffer_load_dword v7, v6, s[0:3], 0 offen
	buffer_load_dword v8, v6, s[0:3], 0 offen offset:4
	buffer_load_dword v9, v6, s[0:3], 0 offen offset:8
	buffer_load_dword v10, v6, s[0:3], 0 offen offset:12
	s_waitcnt vmcnt(4)
	ds_write2_b64 v0, v[2:3], v[4:5] offset1:1
	s_waitcnt vmcnt(3)
	buffer_store_dword v7, v73, s[0:3], 0 offen
	s_waitcnt vmcnt(3)
	buffer_store_dword v8, v73, s[0:3], 0 offen offset:4
	s_waitcnt vmcnt(3)
	buffer_store_dword v9, v73, s[0:3], 0 offen offset:8
	s_waitcnt vmcnt(3)
	buffer_store_dword v10, v73, s[0:3], 0 offen offset:12
	buffer_store_dword v5, v6, s[0:3], 0 offen offset:12
	buffer_store_dword v4, v6, s[0:3], 0 offen offset:8
	buffer_store_dword v3, v6, s[0:3], 0 offen offset:4
	buffer_store_dword v2, v6, s[0:3], 0 offen
.LBB12_94:
	s_or_b64 exec, exec, s[4:5]
	v_pk_mov_b32 v[2:3], s[24:25], s[24:25] op_sel:[0,1]
	flat_load_dword v2, v[2:3] offset:40
	s_waitcnt vmcnt(0) lgkmcnt(0)
	v_add_u32_e32 v2, -1, v2
	v_cmp_ne_u32_e32 vcc, 10, v2
	s_and_saveexec_b64 s[4:5], vcc
	s_cbranch_execz .LBB12_96
; %bb.95:
	v_mov_b32_e32 v3, 0
	v_lshl_add_u32 v6, v2, 4, v3
	buffer_load_dword v2, v71, s[0:3], 0 offen
	buffer_load_dword v3, v71, s[0:3], 0 offen offset:4
	buffer_load_dword v4, v71, s[0:3], 0 offen offset:8
	buffer_load_dword v5, v71, s[0:3], 0 offen offset:12
	buffer_load_dword v7, v6, s[0:3], 0 offen
	buffer_load_dword v8, v6, s[0:3], 0 offen offset:4
	buffer_load_dword v9, v6, s[0:3], 0 offen offset:8
	buffer_load_dword v10, v6, s[0:3], 0 offen offset:12
	s_waitcnt vmcnt(4)
	ds_write2_b64 v0, v[2:3], v[4:5] offset1:1
	s_waitcnt vmcnt(3)
	buffer_store_dword v7, v71, s[0:3], 0 offen
	s_waitcnt vmcnt(3)
	buffer_store_dword v8, v71, s[0:3], 0 offen offset:4
	s_waitcnt vmcnt(3)
	buffer_store_dword v9, v71, s[0:3], 0 offen offset:8
	s_waitcnt vmcnt(3)
	buffer_store_dword v10, v71, s[0:3], 0 offen offset:12
	buffer_store_dword v5, v6, s[0:3], 0 offen offset:12
	buffer_store_dword v4, v6, s[0:3], 0 offen offset:8
	buffer_store_dword v3, v6, s[0:3], 0 offen offset:4
	buffer_store_dword v2, v6, s[0:3], 0 offen
.LBB12_96:
	s_or_b64 exec, exec, s[4:5]
	v_pk_mov_b32 v[2:3], s[24:25], s[24:25] op_sel:[0,1]
	flat_load_dword v2, v[2:3] offset:36
	s_waitcnt vmcnt(0) lgkmcnt(0)
	;; [unrolled: 34-line block ×10, first 2 shown]
	v_add_u32_e32 v2, -1, v2
	v_cmp_ne_u32_e32 vcc, 1, v2
	s_and_saveexec_b64 s[4:5], vcc
	s_cbranch_execz .LBB12_114
; %bb.113:
	v_mov_b32_e32 v3, 0
	v_lshl_add_u32 v6, v2, 4, v3
	buffer_load_dword v2, v78, s[0:3], 0 offen
	buffer_load_dword v3, v78, s[0:3], 0 offen offset:4
	buffer_load_dword v4, v78, s[0:3], 0 offen offset:8
	buffer_load_dword v5, v78, s[0:3], 0 offen offset:12
	buffer_load_dword v7, v6, s[0:3], 0 offen
	buffer_load_dword v8, v6, s[0:3], 0 offen offset:4
	buffer_load_dword v9, v6, s[0:3], 0 offen offset:8
	;; [unrolled: 1-line block ×3, first 2 shown]
	s_waitcnt vmcnt(4)
	ds_write2_b64 v0, v[2:3], v[4:5] offset1:1
	s_waitcnt vmcnt(3)
	buffer_store_dword v7, v78, s[0:3], 0 offen
	s_waitcnt vmcnt(3)
	buffer_store_dword v8, v78, s[0:3], 0 offen offset:4
	s_waitcnt vmcnt(3)
	buffer_store_dword v9, v78, s[0:3], 0 offen offset:8
	;; [unrolled: 2-line block ×3, first 2 shown]
	buffer_store_dword v5, v6, s[0:3], 0 offen offset:12
	buffer_store_dword v4, v6, s[0:3], 0 offen offset:8
	;; [unrolled: 1-line block ×3, first 2 shown]
	buffer_store_dword v2, v6, s[0:3], 0 offen
.LBB12_114:
	s_or_b64 exec, exec, s[4:5]
	v_pk_mov_b32 v[2:3], s[24:25], s[24:25] op_sel:[0,1]
	flat_load_dword v2, v[2:3]
	s_waitcnt vmcnt(0) lgkmcnt(0)
	v_add_u32_e32 v2, -1, v2
	v_cmp_ne_u32_e32 vcc, 0, v2
	s_and_saveexec_b64 s[4:5], vcc
	s_cbranch_execz .LBB12_116
; %bb.115:
	v_mov_b32_e32 v3, 0
	v_lshl_add_u32 v6, v2, 4, v3
	buffer_load_dword v2, off, s[0:3], 0
	buffer_load_dword v3, off, s[0:3], 0 offset:4
	buffer_load_dword v4, off, s[0:3], 0 offset:8
	;; [unrolled: 1-line block ×3, first 2 shown]
	buffer_load_dword v7, v6, s[0:3], 0 offen
	buffer_load_dword v8, v6, s[0:3], 0 offen offset:4
	buffer_load_dword v9, v6, s[0:3], 0 offen offset:8
	;; [unrolled: 1-line block ×3, first 2 shown]
	s_waitcnt vmcnt(4)
	ds_write2_b64 v0, v[2:3], v[4:5] offset1:1
	s_waitcnt vmcnt(3)
	buffer_store_dword v7, off, s[0:3], 0
	s_waitcnt vmcnt(3)
	buffer_store_dword v8, off, s[0:3], 0 offset:4
	s_waitcnt vmcnt(3)
	buffer_store_dword v9, off, s[0:3], 0 offset:8
	;; [unrolled: 2-line block ×3, first 2 shown]
	buffer_store_dword v5, v6, s[0:3], 0 offen offset:12
	buffer_store_dword v4, v6, s[0:3], 0 offen offset:8
	;; [unrolled: 1-line block ×3, first 2 shown]
	buffer_store_dword v2, v6, s[0:3], 0 offen
.LBB12_116:
	s_or_b64 exec, exec, s[4:5]
.LBB12_117:
	buffer_load_dword v2, off, s[0:3], 0
	buffer_load_dword v3, off, s[0:3], 0 offset:4
	buffer_load_dword v4, off, s[0:3], 0 offset:8
	buffer_load_dword v5, off, s[0:3], 0 offset:12
	buffer_load_dword v6, v78, s[0:3], 0 offen
	buffer_load_dword v7, v78, s[0:3], 0 offen offset:4
	buffer_load_dword v8, v78, s[0:3], 0 offen offset:8
	;; [unrolled: 1-line block ×6, first 2 shown]
	buffer_load_dword v14, v79, s[0:3], 0 offen
	buffer_load_dword v15, v79, s[0:3], 0 offen offset:4
	buffer_load_dword v16, v79, s[0:3], 0 offen offset:8
	buffer_load_dword v10, v80, s[0:3], 0 offen
	buffer_load_dword v17, v79, s[0:3], 0 offen offset:12
	buffer_load_dword v19, v74, s[0:3], 0 offen offset:4
	;; [unrolled: 1-line block ×4, first 2 shown]
                                        ; kill: killed $vgpr80
                                        ; kill: killed $vgpr78
                                        ; kill: killed $vgpr79
	buffer_load_dword v48, v76, s[0:3], 0 offen
	buffer_load_dword v49, v76, s[0:3], 0 offen offset:4
	buffer_load_dword v50, v76, s[0:3], 0 offen offset:8
	buffer_load_dword v18, v74, s[0:3], 0 offen
	buffer_load_dword v51, v76, s[0:3], 0 offen offset:12
	buffer_load_dword v53, v75, s[0:3], 0 offen offset:4
	;; [unrolled: 1-line block ×4, first 2 shown]
	buffer_load_dword v56, v77, s[0:3], 0 offen
	buffer_load_dword v57, v77, s[0:3], 0 offen offset:4
	buffer_load_dword v58, v77, s[0:3], 0 offen offset:8
	buffer_load_dword v52, v75, s[0:3], 0 offen
	buffer_load_dword v59, v77, s[0:3], 0 offen offset:12
	buffer_load_dword v61, v1, s[0:3], 0 offen offset:4
	buffer_load_dword v62, v1, s[0:3], 0 offen offset:8
                                        ; kill: killed $vgpr76
                                        ; kill: killed $vgpr77
                                        ; kill: killed $vgpr74
                                        ; kill: killed $vgpr75
	buffer_load_dword v63, v1, s[0:3], 0 offen offset:12
	buffer_load_dword v64, v70, s[0:3], 0 offen
	buffer_load_dword v65, v70, s[0:3], 0 offen offset:4
	buffer_load_dword v66, v70, s[0:3], 0 offen offset:8
	buffer_load_dword v60, v1, s[0:3], 0 offen
	buffer_load_dword v67, v70, s[0:3], 0 offen offset:12
	buffer_load_dword v75, v71, s[0:3], 0 offen offset:4
	;; [unrolled: 1-line block ×4, first 2 shown]
	buffer_load_dword v78, v73, s[0:3], 0 offen
	buffer_load_dword v79, v73, s[0:3], 0 offen offset:4
	buffer_load_dword v80, v73, s[0:3], 0 offen offset:8
	buffer_load_dword v74, v71, s[0:3], 0 offen
	buffer_load_dword v81, v73, s[0:3], 0 offen offset:12
	buffer_load_dword v68, v72, s[0:3], 0 offen
                                        ; kill: killed $vgpr70
                                        ; kill: killed $vgpr73
                                        ; kill: killed $vgpr1
                                        ; kill: killed $vgpr71
	buffer_load_dword v69, v72, s[0:3], 0 offen offset:4
	buffer_load_dword v70, v72, s[0:3], 0 offen offset:8
	s_nop 0
	buffer_load_dword v71, v72, s[0:3], 0 offen offset:12
	s_waitcnt vmcnt(48)
	global_store_dwordx4 v[22:23], v[2:5], off
	s_waitcnt vmcnt(45)
	global_store_dwordx4 v[24:25], v[6:9], off
	;; [unrolled: 2-line block ×13, first 2 shown]
	s_endpgm
	.section	.rodata,"a",@progbits
	.p2align	6, 0x0
	.amdhsa_kernel _ZN9rocsolver6v33100L18getri_kernel_smallILi13E19rocblas_complex_numIdEPS3_EEvT1_iilPiilS6_bb
		.amdhsa_group_segment_fixed_size 1448
		.amdhsa_private_segment_fixed_size 224
		.amdhsa_kernarg_size 60
		.amdhsa_user_sgpr_count 10
		.amdhsa_user_sgpr_private_segment_buffer 1
		.amdhsa_user_sgpr_dispatch_ptr 1
		.amdhsa_user_sgpr_queue_ptr 0
		.amdhsa_user_sgpr_kernarg_segment_ptr 1
		.amdhsa_user_sgpr_dispatch_id 0
		.amdhsa_user_sgpr_flat_scratch_init 1
		.amdhsa_user_sgpr_kernarg_preload_length 0
		.amdhsa_user_sgpr_kernarg_preload_offset 0
		.amdhsa_user_sgpr_private_segment_size 0
		.amdhsa_uses_dynamic_stack 0
		.amdhsa_system_sgpr_private_segment_wavefront_offset 1
		.amdhsa_system_sgpr_workgroup_id_x 1
		.amdhsa_system_sgpr_workgroup_id_y 0
		.amdhsa_system_sgpr_workgroup_id_z 0
		.amdhsa_system_sgpr_workgroup_info 0
		.amdhsa_system_vgpr_workitem_id 2
		.amdhsa_next_free_vgpr 156
		.amdhsa_next_free_sgpr 28
		.amdhsa_accum_offset 156
		.amdhsa_reserve_vcc 1
		.amdhsa_reserve_flat_scratch 1
		.amdhsa_float_round_mode_32 0
		.amdhsa_float_round_mode_16_64 0
		.amdhsa_float_denorm_mode_32 3
		.amdhsa_float_denorm_mode_16_64 3
		.amdhsa_dx10_clamp 1
		.amdhsa_ieee_mode 1
		.amdhsa_fp16_overflow 0
		.amdhsa_tg_split 0
		.amdhsa_exception_fp_ieee_invalid_op 0
		.amdhsa_exception_fp_denorm_src 0
		.amdhsa_exception_fp_ieee_div_zero 0
		.amdhsa_exception_fp_ieee_overflow 0
		.amdhsa_exception_fp_ieee_underflow 0
		.amdhsa_exception_fp_ieee_inexact 0
		.amdhsa_exception_int_div_zero 0
	.end_amdhsa_kernel
	.section	.text._ZN9rocsolver6v33100L18getri_kernel_smallILi13E19rocblas_complex_numIdEPS3_EEvT1_iilPiilS6_bb,"axG",@progbits,_ZN9rocsolver6v33100L18getri_kernel_smallILi13E19rocblas_complex_numIdEPS3_EEvT1_iilPiilS6_bb,comdat
.Lfunc_end12:
	.size	_ZN9rocsolver6v33100L18getri_kernel_smallILi13E19rocblas_complex_numIdEPS3_EEvT1_iilPiilS6_bb, .Lfunc_end12-_ZN9rocsolver6v33100L18getri_kernel_smallILi13E19rocblas_complex_numIdEPS3_EEvT1_iilPiilS6_bb
                                        ; -- End function
	.section	.AMDGPU.csdata,"",@progbits
; Kernel info:
; codeLenInByte = 18336
; NumSgprs: 34
; NumVgprs: 156
; NumAgprs: 0
; TotalNumVgprs: 156
; ScratchSize: 224
; MemoryBound: 0
; FloatMode: 240
; IeeeMode: 1
; LDSByteSize: 1448 bytes/workgroup (compile time only)
; SGPRBlocks: 4
; VGPRBlocks: 19
; NumSGPRsForWavesPerEU: 34
; NumVGPRsForWavesPerEU: 156
; AccumOffset: 156
; Occupancy: 3
; WaveLimiterHint : 1
; COMPUTE_PGM_RSRC2:SCRATCH_EN: 1
; COMPUTE_PGM_RSRC2:USER_SGPR: 10
; COMPUTE_PGM_RSRC2:TRAP_HANDLER: 0
; COMPUTE_PGM_RSRC2:TGID_X_EN: 1
; COMPUTE_PGM_RSRC2:TGID_Y_EN: 0
; COMPUTE_PGM_RSRC2:TGID_Z_EN: 0
; COMPUTE_PGM_RSRC2:TIDIG_COMP_CNT: 2
; COMPUTE_PGM_RSRC3_GFX90A:ACCUM_OFFSET: 38
; COMPUTE_PGM_RSRC3_GFX90A:TG_SPLIT: 0
	.section	.text._ZN9rocsolver6v33100L18getri_kernel_smallILi14E19rocblas_complex_numIdEPS3_EEvT1_iilPiilS6_bb,"axG",@progbits,_ZN9rocsolver6v33100L18getri_kernel_smallILi14E19rocblas_complex_numIdEPS3_EEvT1_iilPiilS6_bb,comdat
	.globl	_ZN9rocsolver6v33100L18getri_kernel_smallILi14E19rocblas_complex_numIdEPS3_EEvT1_iilPiilS6_bb ; -- Begin function _ZN9rocsolver6v33100L18getri_kernel_smallILi14E19rocblas_complex_numIdEPS3_EEvT1_iilPiilS6_bb
	.p2align	8
	.type	_ZN9rocsolver6v33100L18getri_kernel_smallILi14E19rocblas_complex_numIdEPS3_EEvT1_iilPiilS6_bb,@function
_ZN9rocsolver6v33100L18getri_kernel_smallILi14E19rocblas_complex_numIdEPS3_EEvT1_iilPiilS6_bb: ; @_ZN9rocsolver6v33100L18getri_kernel_smallILi14E19rocblas_complex_numIdEPS3_EEvT1_iilPiilS6_bb
; %bb.0:
	s_add_u32 flat_scratch_lo, s8, s11
	s_addc_u32 flat_scratch_hi, s9, 0
	s_add_u32 s0, s0, s11
	v_and_b32_e32 v84, 0x3ff, v0
	s_addc_u32 s1, s1, 0
	v_cmp_gt_u32_e32 vcc, 14, v84
	s_and_saveexec_b64 s[8:9], vcc
	s_cbranch_execz .LBB13_70
; %bb.1:
	s_load_dword s28, s[6:7], 0x38
	s_load_dwordx4 s[20:23], s[6:7], 0x10
	s_load_dwordx4 s[12:15], s[6:7], 0x28
                                        ; implicit-def: $sgpr24_sgpr25
	s_waitcnt lgkmcnt(0)
	s_bitcmp1_b32 s28, 8
	s_cselect_b64 s[26:27], -1, 0
	s_ashr_i32 s11, s10, 31
	s_bfe_u32 s8, s28, 0x10008
	s_cmp_eq_u32 s8, 0
	s_cbranch_scc1 .LBB13_3
; %bb.2:
	s_load_dword s8, s[6:7], 0x20
	s_mul_i32 s9, s10, s13
	s_mul_hi_u32 s13, s10, s12
	s_mul_i32 s16, s11, s12
	s_add_i32 s13, s13, s9
	s_add_i32 s13, s13, s16
	s_mul_i32 s12, s10, s12
	s_waitcnt lgkmcnt(0)
	s_ashr_i32 s9, s8, 31
	s_lshl_b64 s[12:13], s[12:13], 2
	s_add_u32 s12, s22, s12
	s_addc_u32 s13, s23, s13
	s_lshl_b64 s[8:9], s[8:9], 2
	s_add_u32 s24, s12, s8
	s_addc_u32 s25, s13, s9
.LBB13_3:
	s_load_dwordx4 s[16:19], s[6:7], 0x0
	s_mul_i32 s6, s10, s21
	s_mul_hi_u32 s7, s10, s20
	s_add_i32 s8, s7, s6
	s_mul_i32 s9, s11, s20
	s_add_i32 s9, s8, s9
	s_mul_i32 s8, s10, s20
	s_waitcnt lgkmcnt(0)
	s_ashr_i32 s7, s18, 31
	s_lshl_b64 s[8:9], s[8:9], 4
	s_mov_b32 s6, s18
	s_add_u32 s8, s16, s8
	s_addc_u32 s9, s17, s9
	s_lshl_b64 s[6:7], s[6:7], 4
	s_add_u32 s6, s8, s6
	s_addc_u32 s7, s9, s7
	v_lshlrev_b32_e32 v12, 4, v84
	s_add_i32 s12, s19, s19
	s_mov_b32 s8, s19
	s_ashr_i32 s9, s19, 31
	v_mov_b32_e32 v1, s7
	v_add_u32_e32 v6, s12, v84
	v_add_co_u32_e32 v22, vcc, s6, v12
	s_lshl_b64 s[8:9], s[8:9], 4
	v_addc_co_u32_e32 v23, vcc, 0, v1, vcc
	v_add_u32_e32 v8, s19, v6
	v_mov_b32_e32 v1, s9
	v_ashrrev_i32_e32 v7, 31, v6
	v_add_co_u32_e32 v24, vcc, s8, v22
	v_add_u32_e32 v10, s19, v8
	v_addc_co_u32_e32 v25, vcc, v23, v1, vcc
	v_lshlrev_b64 v[6:7], 4, v[6:7]
	v_add_u32_e32 v20, s19, v10
	v_mov_b32_e32 v11, s7
	v_ashrrev_i32_e32 v9, 31, v8
	v_add_co_u32_e32 v26, vcc, s6, v6
	v_add_u32_e32 v34, s19, v20
	v_addc_co_u32_e32 v27, vcc, v11, v7, vcc
	v_lshlrev_b64 v[18:19], 4, v[8:9]
	;; [unrolled: 7-line block ×5, first 2 shown]
	v_add_u32_e32 v34, s19, v46
	v_ashrrev_i32_e32 v35, 31, v34
	v_mov_b32_e32 v37, s7
	v_lshlrev_b64 v[70:71], 4, v[34:35]
	v_add_co_u32_e32 v34, vcc, s6, v10
	v_addc_co_u32_e32 v35, vcc, v37, v11, vcc
	v_ashrrev_i32_e32 v37, 31, v36
	v_lshlrev_b64 v[10:11], 4, v[36:37]
	v_mov_b32_e32 v1, s7
	v_add_co_u32_e32 v36, vcc, s6, v10
	v_ashrrev_i32_e32 v39, 31, v38
	v_addc_co_u32_e32 v37, vcc, v1, v11, vcc
	v_lshlrev_b64 v[10:11], 4, v[38:39]
	v_add_co_u32_e32 v38, vcc, s6, v10
	v_ashrrev_i32_e32 v41, 31, v40
	v_addc_co_u32_e32 v39, vcc, v1, v11, vcc
	v_lshlrev_b64 v[10:11], 4, v[40:41]
	;; [unrolled: 4-line block ×5, first 2 shown]
	v_add_co_u32_e32 v48, vcc, s6, v10
	v_addc_co_u32_e32 v49, vcc, v1, v11, vcc
	global_load_dwordx4 v[2:5], v12, s[6:7]
	v_mov_b32_e32 v72, s7
	global_load_dwordx4 v[6:9], v[24:25], off
	global_load_dwordx4 v[14:17], v[26:27], off
	;; [unrolled: 1-line block ×6, first 2 shown]
	v_add_co_u32_e32 v46, vcc, s6, v70
	v_addc_co_u32_e32 v47, vcc, v72, v71, vcc
	global_load_dwordx4 v[62:65], v[36:37], off
	global_load_dwordx4 v[66:69], v[38:39], off
	;; [unrolled: 1-line block ×7, first 2 shown]
	s_waitcnt vmcnt(13)
	buffer_store_dword v5, off, s[0:3], 0 offset:12
	buffer_store_dword v4, off, s[0:3], 0 offset:8
	;; [unrolled: 1-line block ×3, first 2 shown]
	buffer_store_dword v2, off, s[0:3], 0
	s_waitcnt vmcnt(16)
	buffer_store_dword v9, off, s[0:3], 0 offset:28
	buffer_store_dword v8, off, s[0:3], 0 offset:24
	buffer_store_dword v7, off, s[0:3], 0 offset:20
	buffer_store_dword v6, off, s[0:3], 0 offset:16
	s_waitcnt vmcnt(19)
	buffer_store_dword v17, off, s[0:3], 0 offset:44
	buffer_store_dword v16, off, s[0:3], 0 offset:40
	buffer_store_dword v15, off, s[0:3], 0 offset:36
	buffer_store_dword v14, off, s[0:3], 0 offset:32
	;; [unrolled: 5-line block ×6, first 2 shown]
	v_mov_b32_e32 v2, 0
	v_add_u32_e32 v81, 16, v2
	v_add_u32_e32 v82, 32, v2
	;; [unrolled: 1-line block ×13, first 2 shown]
	s_bitcmp0_b32 s28, 0
	s_mov_b64 s[8:9], -1
	s_waitcnt vmcnt(34)
	buffer_store_dword v65, off, s[0:3], 0 offset:124
	buffer_store_dword v64, off, s[0:3], 0 offset:120
	buffer_store_dword v63, off, s[0:3], 0 offset:116
	buffer_store_dword v62, off, s[0:3], 0 offset:112
	s_waitcnt vmcnt(37)
	buffer_store_dword v69, off, s[0:3], 0 offset:140
	buffer_store_dword v68, off, s[0:3], 0 offset:136
	buffer_store_dword v67, off, s[0:3], 0 offset:132
	buffer_store_dword v66, off, s[0:3], 0 offset:128
	s_waitcnt vmcnt(40)
	buffer_store_dword v86, off, s[0:3], 0 offset:144
	buffer_store_dword v87, off, s[0:3], 0 offset:148
	buffer_store_dword v88, off, s[0:3], 0 offset:152
	buffer_store_dword v89, off, s[0:3], 0 offset:156
	s_waitcnt vmcnt(43)
	buffer_store_dword v90, off, s[0:3], 0 offset:160
	buffer_store_dword v91, off, s[0:3], 0 offset:164
	buffer_store_dword v92, off, s[0:3], 0 offset:168
	buffer_store_dword v93, off, s[0:3], 0 offset:172
	s_waitcnt vmcnt(46)
	buffer_store_dword v94, off, s[0:3], 0 offset:176
	buffer_store_dword v95, off, s[0:3], 0 offset:180
	buffer_store_dword v96, off, s[0:3], 0 offset:184
	buffer_store_dword v97, off, s[0:3], 0 offset:188
	s_waitcnt vmcnt(48)
	buffer_store_dword v101, off, s[0:3], 0 offset:204
	buffer_store_dword v100, off, s[0:3], 0 offset:200
	buffer_store_dword v99, off, s[0:3], 0 offset:196
	buffer_store_dword v98, off, s[0:3], 0 offset:192
	buffer_store_dword v105, off, s[0:3], 0 offset:220
	buffer_store_dword v104, off, s[0:3], 0 offset:216
	;; [unrolled: 1-line block ×4, first 2 shown]
	s_cbranch_scc1 .LBB13_68
; %bb.4:
	v_cmp_eq_u32_e64 s[6:7], 0, v84
	s_and_saveexec_b64 s[8:9], s[6:7]
	s_cbranch_execz .LBB13_6
; %bb.5:
	v_mov_b32_e32 v2, 0
	ds_write_b32 v2, v2 offset:448
.LBB13_6:
	s_or_b64 exec, exec, s[8:9]
	v_mov_b32_e32 v2, 0
	v_lshl_add_u32 v13, v84, 4, v2
	s_waitcnt lgkmcnt(0)
	; wave barrier
	s_waitcnt lgkmcnt(0)
	buffer_load_dword v2, v13, s[0:3], 0 offen
	buffer_load_dword v3, v13, s[0:3], 0 offen offset:4
	buffer_load_dword v4, v13, s[0:3], 0 offen offset:8
	;; [unrolled: 1-line block ×3, first 2 shown]
	s_waitcnt vmcnt(2)
	v_cmp_eq_f64_e32 vcc, 0, v[2:3]
	s_waitcnt vmcnt(0)
	v_cmp_eq_f64_e64 s[8:9], 0, v[4:5]
	s_and_b64 s[8:9], vcc, s[8:9]
	s_and_saveexec_b64 s[12:13], s[8:9]
	s_cbranch_execz .LBB13_10
; %bb.7:
	v_mov_b32_e32 v2, 0
	ds_read_b32 v4, v2 offset:448
	v_add_u32_e32 v3, 1, v84
	s_waitcnt lgkmcnt(0)
	v_readfirstlane_b32 s8, v4
	s_cmp_eq_u32 s8, 0
	s_cselect_b64 s[16:17], -1, 0
	v_cmp_gt_i32_e32 vcc, s8, v3
	s_or_b64 s[16:17], s[16:17], vcc
	s_and_b64 exec, exec, s[16:17]
	s_cbranch_execz .LBB13_10
; %bb.8:
	s_mov_b64 s[16:17], 0
	v_mov_b32_e32 v4, s8
.LBB13_9:                               ; =>This Inner Loop Header: Depth=1
	ds_cmpst_rtn_b32 v4, v2, v4, v3 offset:448
	s_waitcnt lgkmcnt(0)
	v_cmp_ne_u32_e32 vcc, 0, v4
	v_cmp_le_i32_e64 s[8:9], v4, v3
	s_and_b64 s[8:9], vcc, s[8:9]
	s_and_b64 s[8:9], exec, s[8:9]
	s_or_b64 s[16:17], s[8:9], s[16:17]
	s_andn2_b64 exec, exec, s[16:17]
	s_cbranch_execnz .LBB13_9
.LBB13_10:
	s_or_b64 exec, exec, s[12:13]
	v_mov_b32_e32 v3, 0
	s_waitcnt lgkmcnt(0)
	; wave barrier
	ds_read_b32 v2, v3 offset:448
	s_and_saveexec_b64 s[8:9], s[6:7]
	s_cbranch_execz .LBB13_12
; %bb.11:
	s_lshl_b64 s[12:13], s[10:11], 2
	s_add_u32 s12, s14, s12
	s_addc_u32 s13, s15, s13
	s_waitcnt lgkmcnt(0)
	global_store_dword v3, v2, s[12:13]
.LBB13_12:
	s_or_b64 exec, exec, s[8:9]
	s_waitcnt lgkmcnt(0)
	v_cmp_ne_u32_e32 vcc, 0, v2
	s_mov_b64 s[8:9], 0
	s_cbranch_vccnz .LBB13_68
; %bb.13:
	buffer_load_dword v7, v13, s[0:3], 0 offen offset:4
	buffer_load_dword v6, v13, s[0:3], 0 offen
	buffer_load_dword v9, v13, s[0:3], 0 offen offset:12
	buffer_load_dword v8, v13, s[0:3], 0 offen offset:8
                                        ; implicit-def: $vgpr10_vgpr11
	s_waitcnt vmcnt(3)
	v_xor_b32_e32 v3, 0x80000000, v7
	s_waitcnt vmcnt(2)
	v_cmp_gt_f64_e32 vcc, 0, v[6:7]
	s_waitcnt vmcnt(1)
	v_xor_b32_e32 v4, 0x80000000, v9
	v_cndmask_b32_e32 v3, v7, v3, vcc
	s_waitcnt vmcnt(0)
	v_cmp_gt_f64_e32 vcc, 0, v[8:9]
	v_mov_b32_e32 v2, v6
	v_cndmask_b32_e32 v5, v9, v4, vcc
	v_mov_b32_e32 v4, v8
	v_cmp_ngt_f64_e32 vcc, v[2:3], v[4:5]
                                        ; implicit-def: $vgpr4_vgpr5
	s_and_saveexec_b64 s[8:9], vcc
	s_xor_b64 s[8:9], exec, s[8:9]
	s_cbranch_execz .LBB13_15
; %bb.14:
	v_div_scale_f64 v[2:3], s[12:13], v[8:9], v[8:9], v[6:7]
	v_rcp_f64_e32 v[4:5], v[2:3]
	v_div_scale_f64 v[10:11], vcc, v[6:7], v[8:9], v[6:7]
	v_fma_f64 v[14:15], -v[2:3], v[4:5], 1.0
	v_fmac_f64_e32 v[4:5], v[4:5], v[14:15]
	v_fma_f64 v[14:15], -v[2:3], v[4:5], 1.0
	v_fmac_f64_e32 v[4:5], v[4:5], v[14:15]
	v_mul_f64 v[14:15], v[10:11], v[4:5]
	v_fma_f64 v[2:3], -v[2:3], v[14:15], v[10:11]
	v_div_fmas_f64 v[2:3], v[2:3], v[4:5], v[14:15]
	v_div_fixup_f64 v[2:3], v[2:3], v[8:9], v[6:7]
	v_fmac_f64_e32 v[8:9], v[6:7], v[2:3]
	v_div_scale_f64 v[4:5], s[12:13], v[8:9], v[8:9], 1.0
	v_rcp_f64_e32 v[6:7], v[4:5]
	v_fma_f64 v[10:11], -v[4:5], v[6:7], 1.0
	v_fmac_f64_e32 v[6:7], v[6:7], v[10:11]
	v_fma_f64 v[10:11], -v[4:5], v[6:7], 1.0
	v_fmac_f64_e32 v[6:7], v[6:7], v[10:11]
	v_div_scale_f64 v[10:11], vcc, 1.0, v[8:9], 1.0
	v_mul_f64 v[14:15], v[10:11], v[6:7]
	v_fma_f64 v[4:5], -v[4:5], v[14:15], v[10:11]
	s_nop 1
	v_div_fmas_f64 v[4:5], v[4:5], v[6:7], v[14:15]
	v_div_fixup_f64 v[4:5], v[4:5], v[8:9], 1.0
	v_mul_f64 v[10:11], v[2:3], v[4:5]
	v_xor_b32_e32 v5, 0x80000000, v5
	v_xor_b32_e32 v3, 0x80000000, v11
	v_mov_b32_e32 v2, v10
                                        ; implicit-def: $vgpr6_vgpr7
                                        ; implicit-def: $vgpr8_vgpr9
.LBB13_15:
	s_andn2_saveexec_b64 s[8:9], s[8:9]
	s_cbranch_execz .LBB13_17
; %bb.16:
	v_div_scale_f64 v[2:3], s[12:13], v[6:7], v[6:7], v[8:9]
	v_rcp_f64_e32 v[4:5], v[2:3]
	v_div_scale_f64 v[10:11], vcc, v[8:9], v[6:7], v[8:9]
	v_fma_f64 v[14:15], -v[2:3], v[4:5], 1.0
	v_fmac_f64_e32 v[4:5], v[4:5], v[14:15]
	v_fma_f64 v[14:15], -v[2:3], v[4:5], 1.0
	v_fmac_f64_e32 v[4:5], v[4:5], v[14:15]
	v_mul_f64 v[14:15], v[10:11], v[4:5]
	v_fma_f64 v[2:3], -v[2:3], v[14:15], v[10:11]
	v_div_fmas_f64 v[2:3], v[2:3], v[4:5], v[14:15]
	v_div_fixup_f64 v[4:5], v[2:3], v[6:7], v[8:9]
	v_fmac_f64_e32 v[6:7], v[8:9], v[4:5]
	v_div_scale_f64 v[2:3], s[12:13], v[6:7], v[6:7], 1.0
	v_rcp_f64_e32 v[8:9], v[2:3]
	v_fma_f64 v[10:11], -v[2:3], v[8:9], 1.0
	v_fmac_f64_e32 v[8:9], v[8:9], v[10:11]
	v_fma_f64 v[10:11], -v[2:3], v[8:9], 1.0
	v_fmac_f64_e32 v[8:9], v[8:9], v[10:11]
	v_div_scale_f64 v[10:11], vcc, 1.0, v[6:7], 1.0
	v_mul_f64 v[14:15], v[10:11], v[8:9]
	v_fma_f64 v[2:3], -v[2:3], v[14:15], v[10:11]
	s_nop 1
	v_div_fmas_f64 v[2:3], v[2:3], v[8:9], v[14:15]
	v_div_fixup_f64 v[10:11], v[2:3], v[6:7], 1.0
	v_xor_b32_e32 v3, 0x80000000, v11
	v_mov_b32_e32 v2, v10
	v_mul_f64 v[4:5], v[4:5], -v[10:11]
.LBB13_17:
	s_or_b64 exec, exec, s[8:9]
	buffer_store_dword v11, v13, s[0:3], 0 offen offset:4
	buffer_store_dword v10, v13, s[0:3], 0 offen
	buffer_store_dword v5, v13, s[0:3], 0 offen offset:12
	buffer_store_dword v4, v13, s[0:3], 0 offen offset:8
	buffer_load_dword v11, v81, s[0:3], 0 offen offset:12
	s_nop 0
	buffer_load_dword v10, v81, s[0:3], 0 offen offset:8
	buffer_load_dword v9, v81, s[0:3], 0 offen offset:4
	buffer_load_dword v8, v81, s[0:3], 0 offen
	v_xor_b32_e32 v5, 0x80000000, v5
	v_add_u32_e32 v6, 0xe0, v12
	ds_write_b128 v12, v[2:5]
	s_waitcnt vmcnt(0)
	ds_write_b128 v12, v[8:11] offset:224
	s_waitcnt lgkmcnt(0)
	; wave barrier
	s_waitcnt lgkmcnt(0)
	s_and_saveexec_b64 s[8:9], s[6:7]
	s_cbranch_execz .LBB13_19
; %bb.18:
	buffer_load_dword v14, v13, s[0:3], 0 offen offset:8
	buffer_load_dword v15, v13, s[0:3], 0 offen offset:12
	buffer_load_dword v16, v13, s[0:3], 0 offen
	buffer_load_dword v17, v13, s[0:3], 0 offen offset:4
	ds_read_b128 v[2:5], v6
	v_mov_b32_e32 v7, 0
	ds_read_b128 v[8:11], v7 offset:16
	s_waitcnt vmcnt(2) lgkmcnt(1)
	v_mul_f64 v[18:19], v[4:5], v[14:15]
	v_mul_f64 v[14:15], v[2:3], v[14:15]
	s_waitcnt vmcnt(0)
	v_fmac_f64_e32 v[14:15], v[4:5], v[16:17]
	v_fma_f64 v[2:3], v[2:3], v[16:17], -v[18:19]
	v_add_f64 v[4:5], v[14:15], 0
	v_add_f64 v[2:3], v[2:3], 0
	s_waitcnt lgkmcnt(0)
	v_mul_f64 v[14:15], v[4:5], v[10:11]
	v_mul_f64 v[10:11], v[2:3], v[10:11]
	v_fma_f64 v[2:3], v[2:3], v[8:9], -v[14:15]
	v_fmac_f64_e32 v[10:11], v[4:5], v[8:9]
	buffer_store_dword v2, off, s[0:3], 0 offset:16
	buffer_store_dword v3, off, s[0:3], 0 offset:20
	;; [unrolled: 1-line block ×4, first 2 shown]
.LBB13_19:
	s_or_b64 exec, exec, s[8:9]
	s_waitcnt lgkmcnt(0)
	; wave barrier
	buffer_load_dword v2, v82, s[0:3], 0 offen
	buffer_load_dword v3, v82, s[0:3], 0 offen offset:4
	buffer_load_dword v4, v82, s[0:3], 0 offen offset:8
	;; [unrolled: 1-line block ×3, first 2 shown]
	v_cmp_gt_u32_e32 vcc, 2, v84
	s_waitcnt vmcnt(0)
	ds_write_b128 v6, v[2:5]
	s_waitcnt lgkmcnt(0)
	; wave barrier
	s_waitcnt lgkmcnt(0)
	s_and_saveexec_b64 s[8:9], vcc
	s_cbranch_execz .LBB13_23
; %bb.20:
	buffer_load_dword v8, v13, s[0:3], 0 offen offset:8
	buffer_load_dword v9, v13, s[0:3], 0 offen offset:12
	buffer_load_dword v10, v13, s[0:3], 0 offen
	buffer_load_dword v11, v13, s[0:3], 0 offen offset:4
	ds_read_b128 v[2:5], v6
	s_waitcnt vmcnt(2) lgkmcnt(0)
	v_mul_f64 v[14:15], v[4:5], v[8:9]
	v_mul_f64 v[8:9], v[2:3], v[8:9]
	s_waitcnt vmcnt(0)
	v_fma_f64 v[2:3], v[2:3], v[10:11], -v[14:15]
	v_fmac_f64_e32 v[8:9], v[4:5], v[10:11]
	v_add_f64 v[4:5], v[2:3], 0
	v_add_f64 v[2:3], v[8:9], 0
	s_and_saveexec_b64 s[12:13], s[6:7]
	s_cbranch_execz .LBB13_22
; %bb.21:
	buffer_load_dword v14, off, s[0:3], 0 offset:24
	buffer_load_dword v15, off, s[0:3], 0 offset:28
	;; [unrolled: 1-line block ×4, first 2 shown]
	v_mov_b32_e32 v7, 0
	ds_read_b128 v[8:11], v7 offset:240
	s_waitcnt vmcnt(2) lgkmcnt(0)
	v_mul_f64 v[18:19], v[8:9], v[14:15]
	v_mul_f64 v[14:15], v[10:11], v[14:15]
	s_waitcnt vmcnt(0)
	v_fmac_f64_e32 v[18:19], v[10:11], v[16:17]
	v_fma_f64 v[8:9], v[8:9], v[16:17], -v[14:15]
	v_add_f64 v[2:3], v[2:3], v[18:19]
	v_add_f64 v[4:5], v[4:5], v[8:9]
.LBB13_22:
	s_or_b64 exec, exec, s[12:13]
	v_mov_b32_e32 v7, 0
	ds_read_b128 v[8:11], v7 offset:32
	s_waitcnt lgkmcnt(0)
	v_mul_f64 v[14:15], v[2:3], v[10:11]
	v_mul_f64 v[10:11], v[4:5], v[10:11]
	v_fma_f64 v[4:5], v[4:5], v[8:9], -v[14:15]
	v_fmac_f64_e32 v[10:11], v[2:3], v[8:9]
	buffer_store_dword v5, off, s[0:3], 0 offset:36
	buffer_store_dword v4, off, s[0:3], 0 offset:32
	;; [unrolled: 1-line block ×4, first 2 shown]
.LBB13_23:
	s_or_b64 exec, exec, s[8:9]
	s_waitcnt lgkmcnt(0)
	; wave barrier
	buffer_load_dword v2, v83, s[0:3], 0 offen
	buffer_load_dword v3, v83, s[0:3], 0 offen offset:4
	buffer_load_dword v4, v83, s[0:3], 0 offen offset:8
	;; [unrolled: 1-line block ×3, first 2 shown]
	v_cmp_gt_u32_e32 vcc, 3, v84
	v_add_u32_e32 v7, -1, v84
	s_waitcnt vmcnt(0)
	ds_write_b128 v6, v[2:5]
	s_waitcnt lgkmcnt(0)
	; wave barrier
	s_waitcnt lgkmcnt(0)
	s_and_saveexec_b64 s[6:7], vcc
	s_cbranch_execz .LBB13_27
; %bb.24:
	v_pk_mov_b32 v[2:3], 0, 0
	v_add_u32_e32 v8, -1, v84
	v_add_u32_e32 v9, 0xe0, v12
	v_add_u32_e32 v10, 0, v12
	s_mov_b64 s[8:9], 0
	v_pk_mov_b32 v[4:5], v[2:3], v[2:3] op_sel:[0,1]
.LBB13_25:                              ; =>This Inner Loop Header: Depth=1
	buffer_load_dword v18, v10, s[0:3], 0 offen offset:8
	buffer_load_dword v19, v10, s[0:3], 0 offen offset:12
	buffer_load_dword v20, v10, s[0:3], 0 offen
	buffer_load_dword v21, v10, s[0:3], 0 offen offset:4
	ds_read_b128 v[14:17], v9
	v_add_u32_e32 v8, 1, v8
	v_cmp_lt_u32_e32 vcc, 1, v8
	v_add_u32_e32 v9, 16, v9
	v_add_u32_e32 v10, 16, v10
	s_or_b64 s[8:9], vcc, s[8:9]
	s_waitcnt vmcnt(2) lgkmcnt(0)
	v_mul_f64 v[50:51], v[16:17], v[18:19]
	v_mul_f64 v[18:19], v[14:15], v[18:19]
	s_waitcnt vmcnt(0)
	v_fma_f64 v[14:15], v[14:15], v[20:21], -v[50:51]
	v_fmac_f64_e32 v[18:19], v[16:17], v[20:21]
	v_add_f64 v[4:5], v[4:5], v[14:15]
	v_add_f64 v[2:3], v[2:3], v[18:19]
	s_andn2_b64 exec, exec, s[8:9]
	s_cbranch_execnz .LBB13_25
; %bb.26:
	s_or_b64 exec, exec, s[8:9]
	v_mov_b32_e32 v8, 0
	ds_read_b128 v[8:11], v8 offset:48
	s_waitcnt lgkmcnt(0)
	v_mul_f64 v[14:15], v[2:3], v[10:11]
	v_mul_f64 v[10:11], v[4:5], v[10:11]
	v_fma_f64 v[4:5], v[4:5], v[8:9], -v[14:15]
	v_fmac_f64_e32 v[10:11], v[2:3], v[8:9]
	buffer_store_dword v5, off, s[0:3], 0 offset:52
	buffer_store_dword v4, off, s[0:3], 0 offset:48
	buffer_store_dword v11, off, s[0:3], 0 offset:60
	buffer_store_dword v10, off, s[0:3], 0 offset:56
.LBB13_27:
	s_or_b64 exec, exec, s[6:7]
	s_waitcnt lgkmcnt(0)
	; wave barrier
	buffer_load_dword v2, v78, s[0:3], 0 offen
	buffer_load_dword v3, v78, s[0:3], 0 offen offset:4
	buffer_load_dword v4, v78, s[0:3], 0 offen offset:8
	buffer_load_dword v5, v78, s[0:3], 0 offen offset:12
	v_cmp_gt_u32_e32 vcc, 4, v84
	s_waitcnt vmcnt(0)
	ds_write_b128 v6, v[2:5]
	s_waitcnt lgkmcnt(0)
	; wave barrier
	s_waitcnt lgkmcnt(0)
	s_and_saveexec_b64 s[6:7], vcc
	s_cbranch_execz .LBB13_31
; %bb.28:
	v_pk_mov_b32 v[2:3], 0, 0
	v_add_u32_e32 v8, -1, v84
	v_add_u32_e32 v9, 0xe0, v12
	v_add_u32_e32 v10, 0, v12
	s_mov_b64 s[8:9], 0
	v_pk_mov_b32 v[4:5], v[2:3], v[2:3] op_sel:[0,1]
.LBB13_29:                              ; =>This Inner Loop Header: Depth=1
	buffer_load_dword v18, v10, s[0:3], 0 offen offset:8
	buffer_load_dword v19, v10, s[0:3], 0 offen offset:12
	buffer_load_dword v20, v10, s[0:3], 0 offen
	buffer_load_dword v21, v10, s[0:3], 0 offen offset:4
	ds_read_b128 v[14:17], v9
	v_add_u32_e32 v8, 1, v8
	v_cmp_lt_u32_e32 vcc, 2, v8
	v_add_u32_e32 v9, 16, v9
	v_add_u32_e32 v10, 16, v10
	s_or_b64 s[8:9], vcc, s[8:9]
	s_waitcnt vmcnt(2) lgkmcnt(0)
	v_mul_f64 v[50:51], v[16:17], v[18:19]
	v_mul_f64 v[18:19], v[14:15], v[18:19]
	s_waitcnt vmcnt(0)
	v_fma_f64 v[14:15], v[14:15], v[20:21], -v[50:51]
	v_fmac_f64_e32 v[18:19], v[16:17], v[20:21]
	v_add_f64 v[4:5], v[4:5], v[14:15]
	v_add_f64 v[2:3], v[2:3], v[18:19]
	s_andn2_b64 exec, exec, s[8:9]
	s_cbranch_execnz .LBB13_29
; %bb.30:
	s_or_b64 exec, exec, s[8:9]
	v_mov_b32_e32 v8, 0
	ds_read_b128 v[8:11], v8 offset:64
	s_waitcnt lgkmcnt(0)
	v_mul_f64 v[14:15], v[2:3], v[10:11]
	v_mul_f64 v[10:11], v[4:5], v[10:11]
	v_fma_f64 v[4:5], v[4:5], v[8:9], -v[14:15]
	v_fmac_f64_e32 v[10:11], v[2:3], v[8:9]
	buffer_store_dword v5, off, s[0:3], 0 offset:68
	buffer_store_dword v4, off, s[0:3], 0 offset:64
	buffer_store_dword v11, off, s[0:3], 0 offset:76
	buffer_store_dword v10, off, s[0:3], 0 offset:72
.LBB13_31:
	s_or_b64 exec, exec, s[6:7]
	s_waitcnt lgkmcnt(0)
	; wave barrier
	buffer_load_dword v2, v79, s[0:3], 0 offen
	buffer_load_dword v3, v79, s[0:3], 0 offen offset:4
	buffer_load_dword v4, v79, s[0:3], 0 offen offset:8
	buffer_load_dword v5, v79, s[0:3], 0 offen offset:12
	v_cmp_gt_u32_e32 vcc, 5, v84
	;; [unrolled: 57-line block ×9, first 2 shown]
	s_waitcnt vmcnt(0)
	ds_write_b128 v6, v[2:5]
	s_waitcnt lgkmcnt(0)
	; wave barrier
	s_waitcnt lgkmcnt(0)
	s_and_saveexec_b64 s[6:7], vcc
	s_cbranch_execz .LBB13_63
; %bb.60:
	v_pk_mov_b32 v[2:3], 0, 0
	v_add_u32_e32 v8, -1, v84
	v_add_u32_e32 v9, 0xe0, v12
	v_add_u32_e32 v10, 0, v12
	s_mov_b64 s[8:9], 0
	v_pk_mov_b32 v[4:5], v[2:3], v[2:3] op_sel:[0,1]
.LBB13_61:                              ; =>This Inner Loop Header: Depth=1
	buffer_load_dword v18, v10, s[0:3], 0 offen offset:8
	buffer_load_dword v19, v10, s[0:3], 0 offen offset:12
	buffer_load_dword v20, v10, s[0:3], 0 offen
	buffer_load_dword v21, v10, s[0:3], 0 offen offset:4
	ds_read_b128 v[14:17], v9
	v_add_u32_e32 v8, 1, v8
	v_cmp_lt_u32_e32 vcc, 10, v8
	v_add_u32_e32 v9, 16, v9
	v_add_u32_e32 v10, 16, v10
	s_or_b64 s[8:9], vcc, s[8:9]
	s_waitcnt vmcnt(2) lgkmcnt(0)
	v_mul_f64 v[50:51], v[16:17], v[18:19]
	v_mul_f64 v[18:19], v[14:15], v[18:19]
	s_waitcnt vmcnt(0)
	v_fma_f64 v[14:15], v[14:15], v[20:21], -v[50:51]
	v_fmac_f64_e32 v[18:19], v[16:17], v[20:21]
	v_add_f64 v[4:5], v[4:5], v[14:15]
	v_add_f64 v[2:3], v[2:3], v[18:19]
	s_andn2_b64 exec, exec, s[8:9]
	s_cbranch_execnz .LBB13_61
; %bb.62:
	s_or_b64 exec, exec, s[8:9]
	v_mov_b32_e32 v8, 0
	ds_read_b128 v[8:11], v8 offset:192
	s_waitcnt lgkmcnt(0)
	v_mul_f64 v[14:15], v[2:3], v[10:11]
	v_mul_f64 v[10:11], v[4:5], v[10:11]
	v_fma_f64 v[4:5], v[4:5], v[8:9], -v[14:15]
	v_fmac_f64_e32 v[10:11], v[2:3], v[8:9]
	buffer_store_dword v5, off, s[0:3], 0 offset:196
	buffer_store_dword v4, off, s[0:3], 0 offset:192
	;; [unrolled: 1-line block ×4, first 2 shown]
.LBB13_63:
	s_or_b64 exec, exec, s[6:7]
	s_waitcnt lgkmcnt(0)
	; wave barrier
	buffer_load_dword v2, v76, s[0:3], 0 offen
	buffer_load_dword v3, v76, s[0:3], 0 offen offset:4
	buffer_load_dword v4, v76, s[0:3], 0 offen offset:8
	buffer_load_dword v5, v76, s[0:3], 0 offen offset:12
	v_cmp_ne_u32_e32 vcc, 13, v84
	s_waitcnt vmcnt(0)
	ds_write_b128 v6, v[2:5]
	s_waitcnt lgkmcnt(0)
	; wave barrier
	s_waitcnt lgkmcnt(0)
	s_and_saveexec_b64 s[6:7], vcc
	s_cbranch_execz .LBB13_67
; %bb.64:
	v_pk_mov_b32 v[2:3], 0, 0
	v_add_u32_e32 v6, 0xe0, v12
	v_add_u32_e32 v8, 0, v12
	s_mov_b64 s[8:9], 0
	v_pk_mov_b32 v[4:5], v[2:3], v[2:3] op_sel:[0,1]
.LBB13_65:                              ; =>This Inner Loop Header: Depth=1
	buffer_load_dword v14, v8, s[0:3], 0 offen offset:8
	buffer_load_dword v15, v8, s[0:3], 0 offen offset:12
	buffer_load_dword v16, v8, s[0:3], 0 offen
	buffer_load_dword v17, v8, s[0:3], 0 offen offset:4
	ds_read_b128 v[10:13], v6
	v_add_u32_e32 v7, 1, v7
	v_cmp_lt_u32_e32 vcc, 11, v7
	v_add_u32_e32 v6, 16, v6
	v_add_u32_e32 v8, 16, v8
	s_or_b64 s[8:9], vcc, s[8:9]
	s_waitcnt vmcnt(2) lgkmcnt(0)
	v_mul_f64 v[18:19], v[12:13], v[14:15]
	v_mul_f64 v[14:15], v[10:11], v[14:15]
	s_waitcnt vmcnt(0)
	v_fma_f64 v[10:11], v[10:11], v[16:17], -v[18:19]
	v_fmac_f64_e32 v[14:15], v[12:13], v[16:17]
	v_add_f64 v[4:5], v[4:5], v[10:11]
	v_add_f64 v[2:3], v[2:3], v[14:15]
	s_andn2_b64 exec, exec, s[8:9]
	s_cbranch_execnz .LBB13_65
; %bb.66:
	s_or_b64 exec, exec, s[8:9]
	v_mov_b32_e32 v6, 0
	ds_read_b128 v[6:9], v6 offset:208
	s_waitcnt lgkmcnt(0)
	v_mul_f64 v[10:11], v[2:3], v[8:9]
	v_mul_f64 v[8:9], v[4:5], v[8:9]
	v_fma_f64 v[4:5], v[4:5], v[6:7], -v[10:11]
	v_fmac_f64_e32 v[8:9], v[2:3], v[6:7]
	buffer_store_dword v5, off, s[0:3], 0 offset:212
	buffer_store_dword v4, off, s[0:3], 0 offset:208
	;; [unrolled: 1-line block ×4, first 2 shown]
.LBB13_67:
	s_or_b64 exec, exec, s[6:7]
	s_mov_b64 s[8:9], -1
	s_waitcnt lgkmcnt(0)
	; wave barrier
.LBB13_68:
	s_and_b64 vcc, exec, s[8:9]
	s_cbranch_vccz .LBB13_70
; %bb.69:
	s_lshl_b64 s[6:7], s[10:11], 2
	s_add_u32 s6, s14, s6
	s_addc_u32 s7, s15, s7
	v_mov_b32_e32 v2, 0
	global_load_dword v2, v2, s[6:7]
	s_waitcnt vmcnt(0)
	v_cmp_ne_u32_e32 vcc, 0, v2
	s_cbranch_vccz .LBB13_71
.LBB13_70:
	s_endpgm
.LBB13_71:
	v_mov_b32_e32 v2, 0xe0
	v_lshl_add_u32 v85, v84, 4, v2
	v_cmp_eq_u32_e32 vcc, 13, v84
	s_and_saveexec_b64 s[6:7], vcc
	s_cbranch_execz .LBB13_73
; %bb.72:
	buffer_load_dword v2, v74, s[0:3], 0 offen
	buffer_load_dword v3, v74, s[0:3], 0 offen offset:4
	buffer_load_dword v4, v74, s[0:3], 0 offen offset:8
	buffer_load_dword v5, v74, s[0:3], 0 offen offset:12
	v_mov_b32_e32 v6, 0
	buffer_store_dword v6, off, s[0:3], 0 offset:192
	buffer_store_dword v6, off, s[0:3], 0 offset:196
	;; [unrolled: 1-line block ×4, first 2 shown]
	s_waitcnt vmcnt(4)
	ds_write_b128 v85, v[2:5]
.LBB13_73:
	s_or_b64 exec, exec, s[6:7]
	s_waitcnt lgkmcnt(0)
	; wave barrier
	s_waitcnt lgkmcnt(0)
	buffer_load_dword v8, off, s[0:3], 0 offset:216
	buffer_load_dword v9, off, s[0:3], 0 offset:220
	;; [unrolled: 1-line block ×8, first 2 shown]
	v_mov_b32_e32 v2, 0
	ds_read_b128 v[4:7], v2 offset:432
	v_cmp_lt_u32_e32 vcc, 11, v84
	s_waitcnt vmcnt(6) lgkmcnt(0)
	v_mul_f64 v[16:17], v[4:5], v[8:9]
	v_mul_f64 v[8:9], v[6:7], v[8:9]
	s_waitcnt vmcnt(4)
	v_fma_f64 v[4:5], v[4:5], v[10:11], -v[8:9]
	v_fmac_f64_e32 v[16:17], v[6:7], v[10:11]
	v_add_f64 v[4:5], v[4:5], 0
	v_add_f64 v[6:7], v[16:17], 0
	s_waitcnt vmcnt(2)
	v_add_f64 v[4:5], v[12:13], -v[4:5]
	s_waitcnt vmcnt(0)
	v_add_f64 v[6:7], v[14:15], -v[6:7]
	buffer_store_dword v4, off, s[0:3], 0 offset:192
	buffer_store_dword v5, off, s[0:3], 0 offset:196
	;; [unrolled: 1-line block ×4, first 2 shown]
	s_and_saveexec_b64 s[6:7], vcc
	s_cbranch_execz .LBB13_75
; %bb.74:
	buffer_load_dword v4, v1, s[0:3], 0 offen
	buffer_load_dword v5, v1, s[0:3], 0 offen offset:4
	buffer_load_dword v6, v1, s[0:3], 0 offen offset:8
	;; [unrolled: 1-line block ×3, first 2 shown]
	s_nop 0
	buffer_store_dword v2, off, s[0:3], 0 offset:176
	buffer_store_dword v2, off, s[0:3], 0 offset:180
	buffer_store_dword v2, off, s[0:3], 0 offset:184
	buffer_store_dword v2, off, s[0:3], 0 offset:188
	s_waitcnt vmcnt(4)
	ds_write_b128 v85, v[4:7]
.LBB13_75:
	s_or_b64 exec, exec, s[6:7]
	s_waitcnt lgkmcnt(0)
	; wave barrier
	s_waitcnt lgkmcnt(0)
	buffer_load_dword v12, off, s[0:3], 0 offset:200
	buffer_load_dword v13, off, s[0:3], 0 offset:204
	;; [unrolled: 1-line block ×12, first 2 shown]
	ds_read_b128 v[4:7], v2 offset:416
	ds_read_b128 v[8:11], v2 offset:432
	v_cmp_lt_u32_e32 vcc, 10, v84
	s_waitcnt vmcnt(10) lgkmcnt(1)
	v_mul_f64 v[2:3], v[4:5], v[12:13]
	v_mul_f64 v[12:13], v[6:7], v[12:13]
	s_waitcnt vmcnt(8) lgkmcnt(0)
	v_mul_f64 v[52:53], v[8:9], v[14:15]
	v_mul_f64 v[14:15], v[10:11], v[14:15]
	s_waitcnt vmcnt(6)
	v_fma_f64 v[4:5], v[4:5], v[16:17], -v[12:13]
	v_fmac_f64_e32 v[2:3], v[6:7], v[16:17]
	s_waitcnt vmcnt(4)
	v_fma_f64 v[6:7], v[8:9], v[18:19], -v[14:15]
	v_add_f64 v[4:5], v[4:5], 0
	v_fmac_f64_e32 v[52:53], v[10:11], v[18:19]
	v_add_f64 v[2:3], v[2:3], 0
	v_add_f64 v[4:5], v[4:5], v[6:7]
	;; [unrolled: 1-line block ×3, first 2 shown]
	s_waitcnt vmcnt(2)
	v_add_f64 v[4:5], v[20:21], -v[4:5]
	s_waitcnt vmcnt(0)
	v_add_f64 v[2:3], v[50:51], -v[2:3]
	buffer_store_dword v4, off, s[0:3], 0 offset:176
	buffer_store_dword v5, off, s[0:3], 0 offset:180
	;; [unrolled: 1-line block ×4, first 2 shown]
	s_and_saveexec_b64 s[6:7], vcc
	s_cbranch_execz .LBB13_77
; %bb.76:
	buffer_load_dword v2, v77, s[0:3], 0 offen
	buffer_load_dword v3, v77, s[0:3], 0 offen offset:4
	buffer_load_dword v4, v77, s[0:3], 0 offen offset:8
	;; [unrolled: 1-line block ×3, first 2 shown]
	v_mov_b32_e32 v6, 0
	buffer_store_dword v6, off, s[0:3], 0 offset:160
	buffer_store_dword v6, off, s[0:3], 0 offset:164
	;; [unrolled: 1-line block ×4, first 2 shown]
	s_waitcnt vmcnt(4)
	ds_write_b128 v85, v[2:5]
.LBB13_77:
	s_or_b64 exec, exec, s[6:7]
	s_waitcnt lgkmcnt(0)
	; wave barrier
	s_waitcnt lgkmcnt(0)
	buffer_load_dword v16, off, s[0:3], 0 offset:184
	buffer_load_dword v17, off, s[0:3], 0 offset:188
	;; [unrolled: 1-line block ×16, first 2 shown]
	v_mov_b32_e32 v2, 0
	ds_read_b128 v[4:7], v2 offset:400
	ds_read_b128 v[8:11], v2 offset:416
	;; [unrolled: 1-line block ×3, first 2 shown]
	v_cmp_lt_u32_e32 vcc, 9, v84
	s_waitcnt vmcnt(14) lgkmcnt(2)
	v_mul_f64 v[60:61], v[4:5], v[16:17]
	v_mul_f64 v[16:17], v[6:7], v[16:17]
	s_waitcnt vmcnt(12) lgkmcnt(1)
	v_mul_f64 v[62:63], v[8:9], v[18:19]
	v_mul_f64 v[18:19], v[10:11], v[18:19]
	s_waitcnt vmcnt(10) lgkmcnt(0)
	v_mul_f64 v[64:65], v[12:13], v[20:21]
	v_mul_f64 v[20:21], v[14:15], v[20:21]
	s_waitcnt vmcnt(8)
	v_fma_f64 v[4:5], v[4:5], v[50:51], -v[16:17]
	v_fmac_f64_e32 v[60:61], v[6:7], v[50:51]
	s_waitcnt vmcnt(6)
	v_fma_f64 v[6:7], v[8:9], v[52:53], -v[18:19]
	v_add_f64 v[4:5], v[4:5], 0
	v_fmac_f64_e32 v[62:63], v[10:11], v[52:53]
	s_waitcnt vmcnt(4)
	v_fma_f64 v[8:9], v[12:13], v[54:55], -v[20:21]
	v_add_f64 v[10:11], v[60:61], 0
	v_add_f64 v[4:5], v[4:5], v[6:7]
	v_fmac_f64_e32 v[64:65], v[14:15], v[54:55]
	v_add_f64 v[10:11], v[10:11], v[62:63]
	v_add_f64 v[4:5], v[4:5], v[8:9]
	;; [unrolled: 1-line block ×3, first 2 shown]
	s_waitcnt vmcnt(2)
	v_add_f64 v[4:5], v[56:57], -v[4:5]
	s_waitcnt vmcnt(0)
	v_add_f64 v[6:7], v[58:59], -v[6:7]
	buffer_store_dword v4, off, s[0:3], 0 offset:160
	buffer_store_dword v5, off, s[0:3], 0 offset:164
	;; [unrolled: 1-line block ×4, first 2 shown]
	s_and_saveexec_b64 s[6:7], vcc
	s_cbranch_execz .LBB13_79
; %bb.78:
	buffer_load_dword v4, v73, s[0:3], 0 offen
	buffer_load_dword v5, v73, s[0:3], 0 offen offset:4
	buffer_load_dword v6, v73, s[0:3], 0 offen offset:8
	;; [unrolled: 1-line block ×3, first 2 shown]
	s_nop 0
	buffer_store_dword v2, off, s[0:3], 0 offset:144
	buffer_store_dword v2, off, s[0:3], 0 offset:148
	;; [unrolled: 1-line block ×4, first 2 shown]
	s_waitcnt vmcnt(4)
	ds_write_b128 v85, v[4:7]
.LBB13_79:
	s_or_b64 exec, exec, s[6:7]
	s_waitcnt lgkmcnt(0)
	; wave barrier
	s_waitcnt lgkmcnt(0)
	buffer_load_dword v20, off, s[0:3], 0 offset:168
	buffer_load_dword v21, off, s[0:3], 0 offset:172
	buffer_load_dword v50, off, s[0:3], 0 offset:184
	buffer_load_dword v51, off, s[0:3], 0 offset:188
	buffer_load_dword v52, off, s[0:3], 0 offset:200
	buffer_load_dword v53, off, s[0:3], 0 offset:204
	buffer_load_dword v55, off, s[0:3], 0 offset:220
	buffer_load_dword v54, off, s[0:3], 0 offset:216
	buffer_load_dword v56, off, s[0:3], 0 offset:160
	buffer_load_dword v57, off, s[0:3], 0 offset:164
	buffer_load_dword v58, off, s[0:3], 0 offset:176
	buffer_load_dword v59, off, s[0:3], 0 offset:180
	buffer_load_dword v60, off, s[0:3], 0 offset:192
	buffer_load_dword v61, off, s[0:3], 0 offset:196
	buffer_load_dword v63, off, s[0:3], 0 offset:212
	buffer_load_dword v62, off, s[0:3], 0 offset:208
	buffer_load_dword v64, off, s[0:3], 0 offset:144
	buffer_load_dword v65, off, s[0:3], 0 offset:148
	buffer_load_dword v66, off, s[0:3], 0 offset:152
	buffer_load_dword v67, off, s[0:3], 0 offset:156
	ds_read_b128 v[4:7], v2 offset:384
	ds_read_b128 v[8:11], v2 offset:400
	;; [unrolled: 1-line block ×4, first 2 shown]
	v_cmp_lt_u32_e32 vcc, 8, v84
	s_waitcnt vmcnt(18) lgkmcnt(3)
	v_mul_f64 v[2:3], v[4:5], v[20:21]
	v_mul_f64 v[20:21], v[6:7], v[20:21]
	s_waitcnt vmcnt(16) lgkmcnt(2)
	v_mul_f64 v[68:69], v[8:9], v[50:51]
	v_mul_f64 v[50:51], v[10:11], v[50:51]
	;; [unrolled: 3-line block ×4, first 2 shown]
	s_waitcnt vmcnt(10)
	v_fma_f64 v[4:5], v[4:5], v[56:57], -v[20:21]
	v_fmac_f64_e32 v[2:3], v[6:7], v[56:57]
	s_waitcnt vmcnt(8)
	v_fma_f64 v[6:7], v[8:9], v[58:59], -v[50:51]
	v_add_f64 v[4:5], v[4:5], 0
	v_fmac_f64_e32 v[68:69], v[10:11], v[58:59]
	s_waitcnt vmcnt(6)
	v_fma_f64 v[8:9], v[12:13], v[60:61], -v[52:53]
	v_add_f64 v[2:3], v[2:3], 0
	v_add_f64 v[4:5], v[4:5], v[6:7]
	v_fmac_f64_e32 v[70:71], v[14:15], v[60:61]
	s_waitcnt vmcnt(4)
	v_fma_f64 v[10:11], v[16:17], v[62:63], -v[54:55]
	v_add_f64 v[2:3], v[2:3], v[68:69]
	v_add_f64 v[4:5], v[4:5], v[8:9]
	v_fmac_f64_e32 v[86:87], v[18:19], v[62:63]
	v_add_f64 v[2:3], v[2:3], v[70:71]
	v_add_f64 v[4:5], v[4:5], v[10:11]
	;; [unrolled: 1-line block ×3, first 2 shown]
	s_waitcnt vmcnt(2)
	v_add_f64 v[4:5], v[64:65], -v[4:5]
	s_waitcnt vmcnt(0)
	v_add_f64 v[2:3], v[66:67], -v[2:3]
	buffer_store_dword v4, off, s[0:3], 0 offset:144
	buffer_store_dword v5, off, s[0:3], 0 offset:148
	;; [unrolled: 1-line block ×4, first 2 shown]
	s_and_saveexec_b64 s[6:7], vcc
	s_cbranch_execz .LBB13_81
; %bb.80:
	buffer_load_dword v2, v75, s[0:3], 0 offen
	buffer_load_dword v3, v75, s[0:3], 0 offen offset:4
	buffer_load_dword v4, v75, s[0:3], 0 offen offset:8
	;; [unrolled: 1-line block ×3, first 2 shown]
	v_mov_b32_e32 v6, 0
	buffer_store_dword v6, off, s[0:3], 0 offset:128
	buffer_store_dword v6, off, s[0:3], 0 offset:132
	;; [unrolled: 1-line block ×4, first 2 shown]
	s_waitcnt vmcnt(4)
	ds_write_b128 v85, v[2:5]
.LBB13_81:
	s_or_b64 exec, exec, s[6:7]
	s_waitcnt lgkmcnt(0)
	; wave barrier
	s_waitcnt lgkmcnt(0)
	buffer_load_dword v20, off, s[0:3], 0 offset:152
	buffer_load_dword v21, off, s[0:3], 0 offset:156
	;; [unrolled: 1-line block ×24, first 2 shown]
	v_mov_b32_e32 v2, 0
	ds_read_b128 v[4:7], v2 offset:368
	ds_read_b128 v[8:11], v2 offset:384
	;; [unrolled: 1-line block ×5, first 2 shown]
	v_cmp_lt_u32_e32 vcc, 7, v84
	s_waitcnt vmcnt(22) lgkmcnt(4)
	v_mul_f64 v[90:91], v[4:5], v[20:21]
	v_mul_f64 v[20:21], v[6:7], v[20:21]
	s_waitcnt vmcnt(20) lgkmcnt(3)
	v_mul_f64 v[92:93], v[8:9], v[54:55]
	v_mul_f64 v[54:55], v[10:11], v[54:55]
	s_waitcnt vmcnt(18) lgkmcnt(2)
	v_mul_f64 v[94:95], v[12:13], v[56:57]
	v_mul_f64 v[56:57], v[14:15], v[56:57]
	s_waitcnt vmcnt(14) lgkmcnt(1)
	v_mul_f64 v[96:97], v[16:17], v[62:63]
	v_mul_f64 v[62:63], v[18:19], v[62:63]
	s_waitcnt vmcnt(13) lgkmcnt(0)
	v_mul_f64 v[98:99], v[50:51], v[58:59]
	s_waitcnt vmcnt(11)
	v_fma_f64 v[4:5], v[4:5], v[64:65], -v[20:21]
	v_fmac_f64_e32 v[90:91], v[6:7], v[64:65]
	s_waitcnt vmcnt(9)
	v_fma_f64 v[6:7], v[8:9], v[66:67], -v[54:55]
	v_add_f64 v[4:5], v[4:5], 0
	v_fmac_f64_e32 v[92:93], v[10:11], v[66:67]
	s_waitcnt vmcnt(7)
	v_fmac_f64_e32 v[94:95], v[14:15], v[68:69]
	v_fma_f64 v[8:9], v[12:13], v[68:69], -v[56:57]
	v_add_f64 v[14:15], v[90:91], 0
	v_add_f64 v[4:5], v[4:5], v[6:7]
	v_mul_f64 v[58:59], v[52:53], v[58:59]
	s_waitcnt vmcnt(5)
	v_fma_f64 v[10:11], v[16:17], v[70:71], -v[62:63]
	v_add_f64 v[14:15], v[14:15], v[92:93]
	v_add_f64 v[4:5], v[4:5], v[8:9]
	v_fmac_f64_e32 v[96:97], v[18:19], v[70:71]
	s_waitcnt vmcnt(4)
	v_fma_f64 v[12:13], v[50:51], v[60:61], -v[58:59]
	v_add_f64 v[6:7], v[14:15], v[94:95]
	v_add_f64 v[4:5], v[4:5], v[10:11]
	v_fmac_f64_e32 v[98:99], v[52:53], v[60:61]
	v_add_f64 v[6:7], v[6:7], v[96:97]
	v_add_f64 v[4:5], v[4:5], v[12:13]
	;; [unrolled: 1-line block ×3, first 2 shown]
	s_waitcnt vmcnt(2)
	v_add_f64 v[4:5], v[86:87], -v[4:5]
	s_waitcnt vmcnt(0)
	v_add_f64 v[6:7], v[88:89], -v[6:7]
	buffer_store_dword v5, off, s[0:3], 0 offset:132
	buffer_store_dword v4, off, s[0:3], 0 offset:128
	;; [unrolled: 1-line block ×4, first 2 shown]
	s_and_saveexec_b64 s[6:7], vcc
	s_cbranch_execz .LBB13_83
; %bb.82:
	buffer_load_dword v4, v72, s[0:3], 0 offen
	buffer_load_dword v5, v72, s[0:3], 0 offen offset:4
	buffer_load_dword v6, v72, s[0:3], 0 offen offset:8
	;; [unrolled: 1-line block ×3, first 2 shown]
	s_nop 0
	buffer_store_dword v2, off, s[0:3], 0 offset:112
	buffer_store_dword v2, off, s[0:3], 0 offset:116
	;; [unrolled: 1-line block ×4, first 2 shown]
	s_waitcnt vmcnt(4)
	ds_write_b128 v85, v[4:7]
.LBB13_83:
	s_or_b64 exec, exec, s[6:7]
	s_waitcnt lgkmcnt(0)
	; wave barrier
	s_waitcnt lgkmcnt(0)
	buffer_load_dword v20, off, s[0:3], 0 offset:136
	buffer_load_dword v21, off, s[0:3], 0 offset:140
	;; [unrolled: 1-line block ×28, first 2 shown]
	ds_read_b128 v[4:7], v2 offset:352
	ds_read_b128 v[8:11], v2 offset:368
	;; [unrolled: 1-line block ×6, first 2 shown]
	v_cmp_lt_u32_e32 vcc, 6, v84
	s_waitcnt vmcnt(26) lgkmcnt(5)
	v_mul_f64 v[2:3], v[4:5], v[20:21]
	v_mul_f64 v[20:21], v[6:7], v[20:21]
	s_waitcnt vmcnt(24) lgkmcnt(4)
	v_mul_f64 v[98:99], v[8:9], v[58:59]
	v_mul_f64 v[58:59], v[10:11], v[58:59]
	;; [unrolled: 3-line block ×4, first 2 shown]
	s_waitcnt vmcnt(17)
	v_mul_f64 v[102:103], v[16:17], v[66:67]
	v_mul_f64 v[66:67], v[18:19], v[66:67]
	s_waitcnt vmcnt(15) lgkmcnt(0)
	v_mul_f64 v[106:107], v[54:55], v[68:69]
	v_mul_f64 v[68:69], v[56:57], v[68:69]
	s_waitcnt vmcnt(14)
	v_fmac_f64_e32 v[104:105], v[52:53], v[64:65]
	s_waitcnt vmcnt(12)
	v_fma_f64 v[4:5], v[4:5], v[70:71], -v[20:21]
	v_fmac_f64_e32 v[2:3], v[6:7], v[70:71]
	s_waitcnt vmcnt(10)
	v_fma_f64 v[6:7], v[8:9], v[86:87], -v[58:59]
	v_add_f64 v[4:5], v[4:5], 0
	v_fmac_f64_e32 v[98:99], v[10:11], v[86:87]
	s_waitcnt vmcnt(8)
	v_fma_f64 v[8:9], v[12:13], v[88:89], -v[60:61]
	v_add_f64 v[2:3], v[2:3], 0
	v_add_f64 v[4:5], v[4:5], v[6:7]
	v_fmac_f64_e32 v[100:101], v[14:15], v[88:89]
	s_waitcnt vmcnt(6)
	v_fma_f64 v[10:11], v[16:17], v[90:91], -v[66:67]
	v_add_f64 v[2:3], v[2:3], v[98:99]
	v_add_f64 v[4:5], v[4:5], v[8:9]
	v_fmac_f64_e32 v[102:103], v[18:19], v[90:91]
	v_fma_f64 v[12:13], v[50:51], v[64:65], -v[62:63]
	v_add_f64 v[2:3], v[2:3], v[100:101]
	v_add_f64 v[4:5], v[4:5], v[10:11]
	s_waitcnt vmcnt(4)
	v_fma_f64 v[14:15], v[54:55], v[92:93], -v[68:69]
	v_add_f64 v[2:3], v[2:3], v[102:103]
	v_add_f64 v[4:5], v[4:5], v[12:13]
	v_fmac_f64_e32 v[106:107], v[56:57], v[92:93]
	v_add_f64 v[2:3], v[2:3], v[104:105]
	v_add_f64 v[4:5], v[4:5], v[14:15]
	;; [unrolled: 1-line block ×3, first 2 shown]
	s_waitcnt vmcnt(2)
	v_add_f64 v[4:5], v[94:95], -v[4:5]
	s_waitcnt vmcnt(0)
	v_add_f64 v[2:3], v[96:97], -v[2:3]
	buffer_store_dword v5, off, s[0:3], 0 offset:116
	buffer_store_dword v4, off, s[0:3], 0 offset:112
	;; [unrolled: 1-line block ×4, first 2 shown]
	s_and_saveexec_b64 s[6:7], vcc
	s_cbranch_execz .LBB13_85
; %bb.84:
	buffer_load_dword v2, v80, s[0:3], 0 offen
	buffer_load_dword v3, v80, s[0:3], 0 offen offset:4
	buffer_load_dword v4, v80, s[0:3], 0 offen offset:8
	;; [unrolled: 1-line block ×3, first 2 shown]
	v_mov_b32_e32 v6, 0
	buffer_store_dword v6, off, s[0:3], 0 offset:96
	buffer_store_dword v6, off, s[0:3], 0 offset:100
	buffer_store_dword v6, off, s[0:3], 0 offset:104
	buffer_store_dword v6, off, s[0:3], 0 offset:108
	s_waitcnt vmcnt(4)
	ds_write_b128 v85, v[2:5]
.LBB13_85:
	s_or_b64 exec, exec, s[6:7]
	s_waitcnt lgkmcnt(0)
	; wave barrier
	s_waitcnt lgkmcnt(0)
	buffer_load_dword v50, off, s[0:3], 0 offset:120
	buffer_load_dword v51, off, s[0:3], 0 offset:124
	buffer_load_dword v62, off, s[0:3], 0 offset:136
	buffer_load_dword v63, off, s[0:3], 0 offset:140
	buffer_load_dword v64, off, s[0:3], 0 offset:152
	buffer_load_dword v65, off, s[0:3], 0 offset:156
	buffer_load_dword v67, off, s[0:3], 0 offset:188
	buffer_load_dword v66, off, s[0:3], 0 offset:184
	buffer_load_dword v68, off, s[0:3], 0 offset:176
	buffer_load_dword v71, off, s[0:3], 0 offset:172
	buffer_load_dword v70, off, s[0:3], 0 offset:168
	buffer_load_dword v86, off, s[0:3], 0 offset:216
	buffer_load_dword v88, off, s[0:3], 0 offset:208
	buffer_load_dword v91, off, s[0:3], 0 offset:204
	buffer_load_dword v90, off, s[0:3], 0 offset:200
	buffer_load_dword v87, off, s[0:3], 0 offset:220
	buffer_load_dword v69, off, s[0:3], 0 offset:180
	buffer_load_dword v92, off, s[0:3], 0 offset:112
	buffer_load_dword v93, off, s[0:3], 0 offset:116
	buffer_load_dword v94, off, s[0:3], 0 offset:128
	buffer_load_dword v95, off, s[0:3], 0 offset:132
	buffer_load_dword v96, off, s[0:3], 0 offset:144
	buffer_load_dword v97, off, s[0:3], 0 offset:148
	buffer_load_dword v99, off, s[0:3], 0 offset:164
	buffer_load_dword v98, off, s[0:3], 0 offset:160
	buffer_load_dword v101, off, s[0:3], 0 offset:196
	buffer_load_dword v100, off, s[0:3], 0 offset:192
	buffer_load_dword v89, off, s[0:3], 0 offset:212
	buffer_load_dword v102, off, s[0:3], 0 offset:96
	buffer_load_dword v103, off, s[0:3], 0 offset:100
	buffer_load_dword v104, off, s[0:3], 0 offset:104
	buffer_load_dword v105, off, s[0:3], 0 offset:108
	v_mov_b32_e32 v52, 0
	ds_read_b128 v[2:5], v52 offset:336
	ds_read_b128 v[6:9], v52 offset:352
	;; [unrolled: 1-line block ×7, first 2 shown]
	v_cmp_lt_u32_e32 vcc, 5, v84
	s_waitcnt vmcnt(30) lgkmcnt(6)
	v_mul_f64 v[106:107], v[2:3], v[50:51]
	v_mul_f64 v[50:51], v[4:5], v[50:51]
	s_waitcnt vmcnt(28) lgkmcnt(5)
	v_mul_f64 v[108:109], v[6:7], v[62:63]
	v_mul_f64 v[62:63], v[8:9], v[62:63]
	;; [unrolled: 3-line block ×4, first 2 shown]
	s_waitcnt vmcnt(21)
	v_mul_f64 v[112:113], v[14:15], v[70:71]
	v_mul_f64 v[70:71], v[16:17], v[70:71]
	s_waitcnt vmcnt(17) lgkmcnt(1)
	v_mul_f64 v[116:117], v[54:55], v[90:91]
	v_mul_f64 v[90:91], v[56:57], v[90:91]
	s_waitcnt vmcnt(16) lgkmcnt(0)
	v_mul_f64 v[118:119], v[58:59], v[86:87]
	v_mul_f64 v[86:87], v[60:61], v[86:87]
	s_waitcnt vmcnt(13)
	v_fma_f64 v[2:3], v[2:3], v[92:93], -v[50:51]
	v_fmac_f64_e32 v[106:107], v[4:5], v[92:93]
	s_waitcnt vmcnt(11)
	v_fma_f64 v[4:5], v[6:7], v[94:95], -v[62:63]
	v_add_f64 v[2:3], v[2:3], 0
	v_fmac_f64_e32 v[108:109], v[8:9], v[94:95]
	s_waitcnt vmcnt(9)
	v_fma_f64 v[6:7], v[10:11], v[96:97], -v[64:65]
	s_waitcnt vmcnt(7)
	v_fmac_f64_e32 v[112:113], v[16:17], v[98:99]
	v_add_f64 v[16:17], v[106:107], 0
	v_add_f64 v[2:3], v[2:3], v[4:5]
	v_fmac_f64_e32 v[110:111], v[12:13], v[96:97]
	v_fma_f64 v[8:9], v[14:15], v[98:99], -v[70:71]
	v_add_f64 v[16:17], v[16:17], v[108:109]
	v_add_f64 v[2:3], v[2:3], v[6:7]
	v_fma_f64 v[10:11], v[18:19], v[68:69], -v[66:67]
	v_add_f64 v[4:5], v[16:17], v[110:111]
	v_add_f64 v[2:3], v[2:3], v[8:9]
	v_fmac_f64_e32 v[114:115], v[20:21], v[68:69]
	s_waitcnt vmcnt(5)
	v_fma_f64 v[12:13], v[54:55], v[100:101], -v[90:91]
	v_add_f64 v[4:5], v[4:5], v[112:113]
	v_add_f64 v[2:3], v[2:3], v[10:11]
	v_fmac_f64_e32 v[116:117], v[56:57], v[100:101]
	s_waitcnt vmcnt(4)
	v_fma_f64 v[14:15], v[58:59], v[88:89], -v[86:87]
	v_add_f64 v[4:5], v[4:5], v[114:115]
	v_add_f64 v[2:3], v[2:3], v[12:13]
	v_fmac_f64_e32 v[118:119], v[60:61], v[88:89]
	v_add_f64 v[4:5], v[4:5], v[116:117]
	v_add_f64 v[2:3], v[2:3], v[14:15]
	;; [unrolled: 1-line block ×3, first 2 shown]
	s_waitcnt vmcnt(2)
	v_add_f64 v[2:3], v[102:103], -v[2:3]
	s_waitcnt vmcnt(0)
	v_add_f64 v[4:5], v[104:105], -v[4:5]
	buffer_store_dword v3, off, s[0:3], 0 offset:100
	buffer_store_dword v2, off, s[0:3], 0 offset:96
	;; [unrolled: 1-line block ×4, first 2 shown]
	s_and_saveexec_b64 s[6:7], vcc
	s_cbranch_execz .LBB13_87
; %bb.86:
	buffer_load_dword v2, v79, s[0:3], 0 offen
	buffer_load_dword v3, v79, s[0:3], 0 offen offset:4
	buffer_load_dword v4, v79, s[0:3], 0 offen offset:8
	;; [unrolled: 1-line block ×3, first 2 shown]
	s_nop 0
	buffer_store_dword v52, off, s[0:3], 0 offset:80
	buffer_store_dword v52, off, s[0:3], 0 offset:84
	;; [unrolled: 1-line block ×4, first 2 shown]
	s_waitcnt vmcnt(4)
	ds_write_b128 v85, v[2:5]
.LBB13_87:
	s_or_b64 exec, exec, s[6:7]
	s_waitcnt lgkmcnt(0)
	; wave barrier
	s_waitcnt lgkmcnt(0)
	ds_read_b128 v[14:17], v52 offset:320
	ds_read_b128 v[10:13], v52 offset:336
	;; [unrolled: 1-line block ×4, first 2 shown]
	buffer_load_dword v20, off, s[0:3], 0 offset:80
	buffer_load_dword v21, off, s[0:3], 0 offset:84
	;; [unrolled: 1-line block ×20, first 2 shown]
	v_cmp_lt_u32_e32 vcc, 4, v84
	s_waitcnt vmcnt(12) lgkmcnt(3)
	v_mul_f64 v[54:55], v[14:15], v[70:71]
	v_fmac_f64_e32 v[54:55], v[16:17], v[50:51]
	v_add_f64 v[54:55], v[54:55], 0
	v_mul_f64 v[16:17], v[16:17], v[70:71]
	s_waitcnt vmcnt(8) lgkmcnt(2)
	v_mul_f64 v[56:57], v[10:11], v[88:89]
	v_fmac_f64_e32 v[56:57], v[12:13], v[86:87]
	v_add_f64 v[54:55], v[54:55], v[56:57]
	v_fma_f64 v[14:15], v[14:15], v[50:51], -v[16:17]
	s_waitcnt vmcnt(4) lgkmcnt(1)
	v_mul_f64 v[56:57], v[6:7], v[92:93]
	v_fmac_f64_e32 v[56:57], v[8:9], v[90:91]
	v_add_f64 v[54:55], v[54:55], v[56:57]
	s_waitcnt vmcnt(0) lgkmcnt(0)
	v_mul_f64 v[56:57], v[2:3], v[96:97]
	v_fmac_f64_e32 v[56:57], v[4:5], v[94:95]
	v_add_f64 v[58:59], v[54:55], v[56:57]
	ds_read_b128 v[54:57], v52 offset:384
	buffer_load_dword v99, off, s[0:3], 0 offset:164
	buffer_load_dword v98, off, s[0:3], 0 offset:160
	;; [unrolled: 1-line block ×4, first 2 shown]
	v_mul_f64 v[12:13], v[12:13], v[88:89]
	v_add_f64 v[14:15], v[14:15], 0
	v_fma_f64 v[10:11], v[10:11], v[86:87], -v[12:13]
	v_mul_f64 v[8:9], v[8:9], v[92:93]
	v_add_f64 v[10:11], v[14:15], v[10:11]
	v_fma_f64 v[6:7], v[6:7], v[90:91], -v[8:9]
	;; [unrolled: 3-line block ×3, first 2 shown]
	v_add_f64 v[2:3], v[6:7], v[2:3]
	s_waitcnt vmcnt(0) lgkmcnt(0)
	v_mul_f64 v[60:61], v[54:55], v[100:101]
	v_fmac_f64_e32 v[60:61], v[56:57], v[98:99]
	v_add_f64 v[62:63], v[58:59], v[60:61]
	ds_read_b128 v[58:61], v52 offset:400
	buffer_load_dword v103, off, s[0:3], 0 offset:180
	buffer_load_dword v102, off, s[0:3], 0 offset:176
	buffer_load_dword v105, off, s[0:3], 0 offset:188
	buffer_load_dword v104, off, s[0:3], 0 offset:184
	v_mul_f64 v[4:5], v[56:57], v[100:101]
	v_fma_f64 v[4:5], v[54:55], v[98:99], -v[4:5]
	v_add_f64 v[2:3], v[2:3], v[4:5]
	s_waitcnt vmcnt(0) lgkmcnt(0)
	v_mul_f64 v[64:65], v[58:59], v[104:105]
	v_fmac_f64_e32 v[64:65], v[60:61], v[102:103]
	v_add_f64 v[66:67], v[62:63], v[64:65]
	ds_read_b128 v[62:65], v52 offset:416
	buffer_load_dword v107, off, s[0:3], 0 offset:196
	buffer_load_dword v106, off, s[0:3], 0 offset:192
	buffer_load_dword v109, off, s[0:3], 0 offset:204
	buffer_load_dword v108, off, s[0:3], 0 offset:200
	v_mul_f64 v[4:5], v[60:61], v[104:105]
	v_fma_f64 v[4:5], v[58:59], v[102:103], -v[4:5]
	;; [unrolled: 12-line block ×3, first 2 shown]
	v_add_f64 v[2:3], v[2:3], v[4:5]
	s_waitcnt vmcnt(0) lgkmcnt(0)
	v_mul_f64 v[4:5], v[68:69], v[112:113]
	v_mul_f64 v[114:115], v[66:67], v[112:113]
	v_fma_f64 v[4:5], v[66:67], v[52:53], -v[4:5]
	v_fmac_f64_e32 v[114:115], v[68:69], v[52:53]
	v_add_f64 v[2:3], v[2:3], v[4:5]
	v_add_f64 v[110:111], v[110:111], v[114:115]
	v_add_f64 v[2:3], v[20:21], -v[2:3]
	v_add_f64 v[4:5], v[18:19], -v[110:111]
	buffer_store_dword v3, off, s[0:3], 0 offset:84
	buffer_store_dword v2, off, s[0:3], 0 offset:80
	;; [unrolled: 1-line block ×4, first 2 shown]
	s_and_saveexec_b64 s[6:7], vcc
	s_cbranch_execz .LBB13_89
; %bb.88:
	buffer_load_dword v2, v78, s[0:3], 0 offen
	buffer_load_dword v3, v78, s[0:3], 0 offen offset:4
	buffer_load_dword v4, v78, s[0:3], 0 offen offset:8
	;; [unrolled: 1-line block ×3, first 2 shown]
	v_mov_b32_e32 v6, 0
	buffer_store_dword v6, off, s[0:3], 0 offset:64
	buffer_store_dword v6, off, s[0:3], 0 offset:68
	;; [unrolled: 1-line block ×4, first 2 shown]
	s_waitcnt vmcnt(4)
	ds_write_b128 v85, v[2:5]
.LBB13_89:
	s_or_b64 exec, exec, s[6:7]
	v_mov_b32_e32 v86, 0
	s_waitcnt lgkmcnt(0)
	; wave barrier
	s_waitcnt lgkmcnt(0)
	ds_read_b128 v[14:17], v86 offset:304
	ds_read_b128 v[10:13], v86 offset:320
	;; [unrolled: 1-line block ×4, first 2 shown]
	buffer_load_dword v52, off, s[0:3], 0 offset:64
	buffer_load_dword v53, off, s[0:3], 0 offset:68
	;; [unrolled: 1-line block ×20, first 2 shown]
	v_cmp_lt_u32_e32 vcc, 3, v84
	s_waitcnt vmcnt(12) lgkmcnt(3)
	v_mul_f64 v[18:19], v[14:15], v[64:65]
	v_fmac_f64_e32 v[18:19], v[16:17], v[54:55]
	v_add_f64 v[18:19], v[18:19], 0
	v_mul_f64 v[16:17], v[16:17], v[64:65]
	s_waitcnt vmcnt(8) lgkmcnt(2)
	v_mul_f64 v[20:21], v[10:11], v[66:67]
	v_fmac_f64_e32 v[20:21], v[12:13], v[60:61]
	v_add_f64 v[18:19], v[18:19], v[20:21]
	v_fma_f64 v[14:15], v[14:15], v[54:55], -v[16:17]
	s_waitcnt vmcnt(4) lgkmcnt(1)
	v_mul_f64 v[20:21], v[6:7], v[68:69]
	v_fmac_f64_e32 v[20:21], v[8:9], v[62:63]
	v_add_f64 v[18:19], v[18:19], v[20:21]
	s_waitcnt vmcnt(0) lgkmcnt(0)
	v_mul_f64 v[20:21], v[2:3], v[70:71]
	v_fmac_f64_e32 v[20:21], v[4:5], v[58:59]
	v_add_f64 v[88:89], v[18:19], v[20:21]
	ds_read_b128 v[18:21], v86 offset:368
	buffer_load_dword v57, off, s[0:3], 0 offset:148
	buffer_load_dword v56, off, s[0:3], 0 offset:144
	;; [unrolled: 1-line block ×4, first 2 shown]
	v_mul_f64 v[12:13], v[12:13], v[66:67]
	v_add_f64 v[14:15], v[14:15], 0
	v_fma_f64 v[10:11], v[10:11], v[60:61], -v[12:13]
	v_mul_f64 v[8:9], v[8:9], v[68:69]
	v_add_f64 v[10:11], v[14:15], v[10:11]
	v_fma_f64 v[6:7], v[6:7], v[62:63], -v[8:9]
	;; [unrolled: 3-line block ×3, first 2 shown]
	v_add_f64 v[2:3], v[6:7], v[2:3]
	s_waitcnt vmcnt(0) lgkmcnt(0)
	v_mul_f64 v[90:91], v[18:19], v[104:105]
	v_fmac_f64_e32 v[90:91], v[20:21], v[56:57]
	v_add_f64 v[92:93], v[88:89], v[90:91]
	ds_read_b128 v[88:91], v86 offset:384
	buffer_load_dword v107, off, s[0:3], 0 offset:164
	buffer_load_dword v106, off, s[0:3], 0 offset:160
	buffer_load_dword v109, off, s[0:3], 0 offset:172
	buffer_load_dword v108, off, s[0:3], 0 offset:168
	v_mul_f64 v[4:5], v[20:21], v[104:105]
	v_fma_f64 v[4:5], v[18:19], v[56:57], -v[4:5]
	v_add_f64 v[2:3], v[2:3], v[4:5]
	s_waitcnt vmcnt(0) lgkmcnt(0)
	v_mul_f64 v[94:95], v[88:89], v[108:109]
	v_fmac_f64_e32 v[94:95], v[90:91], v[106:107]
	v_add_f64 v[96:97], v[92:93], v[94:95]
	ds_read_b128 v[92:95], v86 offset:400
	buffer_load_dword v111, off, s[0:3], 0 offset:180
	buffer_load_dword v110, off, s[0:3], 0 offset:176
	buffer_load_dword v113, off, s[0:3], 0 offset:188
	buffer_load_dword v112, off, s[0:3], 0 offset:184
	v_mul_f64 v[4:5], v[90:91], v[108:109]
	v_fma_f64 v[4:5], v[88:89], v[106:107], -v[4:5]
	;; [unrolled: 12-line block ×4, first 2 shown]
	v_add_f64 v[2:3], v[2:3], v[4:5]
	s_waitcnt vmcnt(0) lgkmcnt(0)
	v_mul_f64 v[4:5], v[102:103], v[122:123]
	v_mul_f64 v[124:125], v[100:101], v[122:123]
	v_fma_f64 v[4:5], v[100:101], v[120:121], -v[4:5]
	v_fmac_f64_e32 v[124:125], v[102:103], v[120:121]
	v_add_f64 v[2:3], v[2:3], v[4:5]
	v_add_f64 v[118:119], v[118:119], v[124:125]
	v_add_f64 v[2:3], v[52:53], -v[2:3]
	v_add_f64 v[4:5], v[50:51], -v[118:119]
	buffer_store_dword v3, off, s[0:3], 0 offset:68
	buffer_store_dword v2, off, s[0:3], 0 offset:64
	;; [unrolled: 1-line block ×4, first 2 shown]
	s_and_saveexec_b64 s[6:7], vcc
	s_cbranch_execz .LBB13_91
; %bb.90:
	buffer_load_dword v2, v83, s[0:3], 0 offen
	buffer_load_dword v3, v83, s[0:3], 0 offen offset:4
	buffer_load_dword v4, v83, s[0:3], 0 offen offset:8
	;; [unrolled: 1-line block ×3, first 2 shown]
	s_nop 0
	buffer_store_dword v86, off, s[0:3], 0 offset:48
	buffer_store_dword v86, off, s[0:3], 0 offset:52
	;; [unrolled: 1-line block ×4, first 2 shown]
	s_waitcnt vmcnt(4)
	ds_write_b128 v85, v[2:5]
.LBB13_91:
	s_or_b64 exec, exec, s[6:7]
	s_waitcnt lgkmcnt(0)
	; wave barrier
	s_waitcnt lgkmcnt(0)
	buffer_load_dword v4, off, s[0:3], 0 offset:64
	buffer_load_dword v5, off, s[0:3], 0 offset:68
	;; [unrolled: 1-line block ×44, first 2 shown]
	ds_read_b128 v[6:9], v86 offset:288
	ds_read_b128 v[10:13], v86 offset:304
	;; [unrolled: 1-line block ×10, first 2 shown]
	v_cmp_lt_u32_e32 vcc, 2, v84
	s_waitcnt vmcnt(40) lgkmcnt(9)
	v_mul_f64 v[128:129], v[6:7], v[70:71]
	v_mul_f64 v[70:71], v[8:9], v[70:71]
	s_waitcnt vmcnt(38) lgkmcnt(8)
	v_mul_f64 v[130:131], v[10:11], v[90:91]
	v_mul_f64 v[90:91], v[12:13], v[90:91]
	v_fmac_f64_e32 v[128:129], v[8:9], v[4:5]
	v_fma_f64 v[4:5], v[6:7], v[4:5], -v[70:71]
	s_waitcnt vmcnt(36) lgkmcnt(7)
	v_mul_f64 v[132:133], v[14:15], v[2:3]
	v_add_f64 v[4:5], v[4:5], 0
	v_mul_f64 v[2:3], v[16:17], v[2:3]
	v_add_f64 v[8:9], v[128:129], 0
	s_waitcnt vmcnt(30) lgkmcnt(6)
	v_mul_f64 v[134:135], v[18:19], v[96:97]
	s_waitcnt lgkmcnt(5)
	v_mul_f64 v[136:137], v[50:51], v[92:93]
	v_fmac_f64_e32 v[136:137], v[52:53], v[94:95]
	s_waitcnt vmcnt(28) lgkmcnt(3)
	v_mul_f64 v[140:141], v[58:59], v[98:99]
	s_waitcnt vmcnt(26)
	v_fmac_f64_e32 v[140:141], v[60:61], v[100:101]
	s_waitcnt vmcnt(24)
	v_mul_f64 v[138:139], v[54:55], v[102:103]
	s_waitcnt vmcnt(22) lgkmcnt(1)
	v_mul_f64 v[144:145], v[66:67], v[104:105]
	s_waitcnt vmcnt(20)
	v_fmac_f64_e32 v[144:145], v[68:69], v[106:107]
	s_waitcnt vmcnt(18)
	v_mul_f64 v[142:143], v[62:63], v[108:109]
	s_waitcnt vmcnt(16) lgkmcnt(0)
	v_mul_f64 v[146:147], v[86:87], v[110:111]
	s_waitcnt vmcnt(14)
	v_fma_f64 v[6:7], v[10:11], v[112:113], -v[90:91]
	v_add_f64 v[4:5], v[4:5], v[6:7]
	s_waitcnt vmcnt(12)
	v_fma_f64 v[2:3], v[14:15], v[114:115], -v[2:3]
	v_add_f64 v[2:3], v[4:5], v[2:3]
	v_mul_f64 v[4:5], v[20:21], v[96:97]
	s_waitcnt vmcnt(10)
	v_fma_f64 v[4:5], v[18:19], v[116:117], -v[4:5]
	v_add_f64 v[2:3], v[2:3], v[4:5]
	v_mul_f64 v[4:5], v[52:53], v[92:93]
	v_fma_f64 v[4:5], v[50:51], v[94:95], -v[4:5]
	v_add_f64 v[2:3], v[2:3], v[4:5]
	v_mul_f64 v[4:5], v[56:57], v[102:103]
	s_waitcnt vmcnt(8)
	v_fma_f64 v[4:5], v[54:55], v[118:119], -v[4:5]
	v_fmac_f64_e32 v[130:131], v[12:13], v[112:113]
	v_add_f64 v[2:3], v[2:3], v[4:5]
	v_mul_f64 v[4:5], v[60:61], v[98:99]
	v_fmac_f64_e32 v[132:133], v[16:17], v[114:115]
	v_add_f64 v[8:9], v[8:9], v[130:131]
	v_fma_f64 v[4:5], v[58:59], v[100:101], -v[4:5]
	v_fmac_f64_e32 v[134:135], v[20:21], v[116:117]
	v_add_f64 v[6:7], v[8:9], v[132:133]
	v_add_f64 v[2:3], v[2:3], v[4:5]
	v_mul_f64 v[4:5], v[64:65], v[108:109]
	v_add_f64 v[6:7], v[6:7], v[134:135]
	s_waitcnt vmcnt(6)
	v_fma_f64 v[4:5], v[62:63], v[120:121], -v[4:5]
	v_fmac_f64_e32 v[138:139], v[56:57], v[118:119]
	v_add_f64 v[6:7], v[6:7], v[136:137]
	v_add_f64 v[2:3], v[2:3], v[4:5]
	v_mul_f64 v[4:5], v[68:69], v[104:105]
	v_add_f64 v[6:7], v[6:7], v[138:139]
	v_fma_f64 v[4:5], v[66:67], v[106:107], -v[4:5]
	v_fmac_f64_e32 v[142:143], v[64:65], v[120:121]
	v_add_f64 v[6:7], v[6:7], v[140:141]
	v_add_f64 v[2:3], v[2:3], v[4:5]
	v_mul_f64 v[4:5], v[88:89], v[110:111]
	v_add_f64 v[6:7], v[6:7], v[142:143]
	s_waitcnt vmcnt(4)
	v_fma_f64 v[4:5], v[86:87], v[122:123], -v[4:5]
	v_fmac_f64_e32 v[146:147], v[88:89], v[122:123]
	v_add_f64 v[6:7], v[6:7], v[144:145]
	v_add_f64 v[2:3], v[2:3], v[4:5]
	v_add_f64 v[6:7], v[6:7], v[146:147]
	s_waitcnt vmcnt(2)
	v_add_f64 v[2:3], v[124:125], -v[2:3]
	s_waitcnt vmcnt(0)
	v_add_f64 v[4:5], v[126:127], -v[6:7]
	buffer_store_dword v3, off, s[0:3], 0 offset:52
	buffer_store_dword v2, off, s[0:3], 0 offset:48
	;; [unrolled: 1-line block ×4, first 2 shown]
	s_and_saveexec_b64 s[6:7], vcc
	s_cbranch_execz .LBB13_93
; %bb.92:
	buffer_load_dword v2, v82, s[0:3], 0 offen
	buffer_load_dword v3, v82, s[0:3], 0 offen offset:4
	buffer_load_dword v4, v82, s[0:3], 0 offen offset:8
	;; [unrolled: 1-line block ×3, first 2 shown]
	v_mov_b32_e32 v6, 0
	buffer_store_dword v6, off, s[0:3], 0 offset:32
	buffer_store_dword v6, off, s[0:3], 0 offset:36
	;; [unrolled: 1-line block ×4, first 2 shown]
	s_waitcnt vmcnt(4)
	ds_write_b128 v85, v[2:5]
.LBB13_93:
	s_or_b64 exec, exec, s[6:7]
	s_waitcnt lgkmcnt(0)
	; wave barrier
	s_waitcnt lgkmcnt(0)
	buffer_load_dword v2, off, s[0:3], 0 offset:48
	buffer_load_dword v3, off, s[0:3], 0 offset:52
	;; [unrolled: 1-line block ×48, first 2 shown]
	v_mov_b32_e32 v12, 0
	ds_read_b128 v[14:17], v12 offset:272
	ds_read_b128 v[18:21], v12 offset:288
	;; [unrolled: 1-line block ×11, first 2 shown]
	v_cmp_lt_u32_e32 vcc, 1, v84
	s_waitcnt vmcnt(44) lgkmcnt(10)
	v_mul_f64 v[138:139], v[14:15], v[6:7]
	v_mul_f64 v[6:7], v[16:17], v[6:7]
	v_fmac_f64_e32 v[138:139], v[16:17], v[2:3]
	v_fma_f64 v[2:3], v[14:15], v[2:3], -v[6:7]
	s_waitcnt vmcnt(40) lgkmcnt(9)
	v_mul_f64 v[140:141], v[18:19], v[8:9]
	v_mul_f64 v[6:7], v[20:21], v[8:9]
	v_fmac_f64_e32 v[140:141], v[20:21], v[4:5]
	v_add_f64 v[2:3], v[2:3], 0
	v_fma_f64 v[4:5], v[18:19], v[4:5], -v[6:7]
	v_add_f64 v[2:3], v[2:3], v[4:5]
	s_waitcnt vmcnt(38) lgkmcnt(8)
	v_mul_f64 v[4:5], v[52:53], v[10:11]
	v_mul_f64 v[142:143], v[50:51], v[10:11]
	v_add_f64 v[138:139], v[138:139], 0
	s_waitcnt vmcnt(32) lgkmcnt(7)
	v_mul_f64 v[144:145], v[54:55], v[104:105]
	v_add_f64 v[138:139], v[138:139], v[140:141]
	s_waitcnt lgkmcnt(6)
	v_mul_f64 v[146:147], v[58:59], v[70:71]
	v_fmac_f64_e32 v[146:147], v[60:61], v[102:103]
	s_waitcnt vmcnt(30) lgkmcnt(4)
	v_mul_f64 v[150:151], v[66:67], v[106:107]
	s_waitcnt vmcnt(26)
	v_mul_f64 v[148:149], v[62:63], v[110:111]
	v_fmac_f64_e32 v[150:151], v[68:69], v[108:109]
	s_waitcnt vmcnt(24) lgkmcnt(2)
	v_mul_f64 v[154:155], v[90:91], v[112:113]
	s_waitcnt vmcnt(22)
	v_fmac_f64_e32 v[154:155], v[92:93], v[114:115]
	s_waitcnt vmcnt(20)
	v_mul_f64 v[152:153], v[86:87], v[116:117]
	s_waitcnt vmcnt(16) lgkmcnt(1)
	v_mul_f64 v[156:157], v[94:95], v[122:123]
	s_waitcnt vmcnt(14)
	v_fma_f64 v[4:5], v[50:51], v[124:125], -v[4:5]
	v_add_f64 v[2:3], v[2:3], v[4:5]
	v_mul_f64 v[4:5], v[56:57], v[104:105]
	s_waitcnt vmcnt(12)
	v_fma_f64 v[4:5], v[54:55], v[126:127], -v[4:5]
	v_add_f64 v[2:3], v[2:3], v[4:5]
	v_mul_f64 v[4:5], v[60:61], v[70:71]
	v_fma_f64 v[4:5], v[58:59], v[102:103], -v[4:5]
	v_add_f64 v[2:3], v[2:3], v[4:5]
	v_mul_f64 v[4:5], v[64:65], v[110:111]
	s_waitcnt vmcnt(10)
	v_fma_f64 v[4:5], v[62:63], v[128:129], -v[4:5]
	v_add_f64 v[2:3], v[2:3], v[4:5]
	v_mul_f64 v[4:5], v[68:69], v[106:107]
	v_fma_f64 v[4:5], v[66:67], v[108:109], -v[4:5]
	v_fmac_f64_e32 v[142:143], v[52:53], v[124:125]
	v_add_f64 v[2:3], v[2:3], v[4:5]
	v_mul_f64 v[4:5], v[88:89], v[116:117]
	v_fmac_f64_e32 v[144:145], v[56:57], v[126:127]
	v_add_f64 v[138:139], v[138:139], v[142:143]
	s_waitcnt vmcnt(8)
	v_fma_f64 v[4:5], v[86:87], v[130:131], -v[4:5]
	v_add_f64 v[138:139], v[138:139], v[144:145]
	v_add_f64 v[2:3], v[2:3], v[4:5]
	v_mul_f64 v[4:5], v[92:93], v[112:113]
	v_fmac_f64_e32 v[148:149], v[64:65], v[128:129]
	v_add_f64 v[138:139], v[138:139], v[146:147]
	v_fma_f64 v[4:5], v[90:91], v[114:115], -v[4:5]
	v_add_f64 v[138:139], v[138:139], v[148:149]
	v_add_f64 v[2:3], v[2:3], v[4:5]
	v_mul_f64 v[4:5], v[96:97], v[122:123]
	v_fmac_f64_e32 v[152:153], v[88:89], v[130:131]
	v_add_f64 v[138:139], v[138:139], v[150:151]
	s_waitcnt vmcnt(6)
	v_fma_f64 v[4:5], v[94:95], v[132:133], -v[4:5]
	v_add_f64 v[138:139], v[138:139], v[152:153]
	v_add_f64 v[2:3], v[2:3], v[4:5]
	s_waitcnt vmcnt(5) lgkmcnt(0)
	v_mul_f64 v[4:5], v[100:101], v[118:119]
	v_fmac_f64_e32 v[156:157], v[96:97], v[132:133]
	v_add_f64 v[138:139], v[138:139], v[154:155]
	v_mul_f64 v[140:141], v[98:99], v[118:119]
	s_waitcnt vmcnt(4)
	v_fma_f64 v[4:5], v[98:99], v[120:121], -v[4:5]
	v_add_f64 v[138:139], v[138:139], v[156:157]
	v_fmac_f64_e32 v[140:141], v[100:101], v[120:121]
	v_add_f64 v[2:3], v[2:3], v[4:5]
	v_add_f64 v[138:139], v[138:139], v[140:141]
	s_waitcnt vmcnt(2)
	v_add_f64 v[2:3], v[134:135], -v[2:3]
	s_waitcnt vmcnt(0)
	v_add_f64 v[4:5], v[136:137], -v[138:139]
	buffer_store_dword v3, off, s[0:3], 0 offset:36
	buffer_store_dword v2, off, s[0:3], 0 offset:32
	;; [unrolled: 1-line block ×4, first 2 shown]
	s_and_saveexec_b64 s[6:7], vcc
	s_cbranch_execz .LBB13_95
; %bb.94:
	buffer_load_dword v2, v81, s[0:3], 0 offen
	buffer_load_dword v3, v81, s[0:3], 0 offen offset:4
	buffer_load_dword v4, v81, s[0:3], 0 offen offset:8
	;; [unrolled: 1-line block ×3, first 2 shown]
	s_nop 0
	buffer_store_dword v12, off, s[0:3], 0 offset:16
	buffer_store_dword v12, off, s[0:3], 0 offset:20
	;; [unrolled: 1-line block ×4, first 2 shown]
	s_waitcnt vmcnt(4)
	ds_write_b128 v85, v[2:5]
.LBB13_95:
	s_or_b64 exec, exec, s[6:7]
	s_waitcnt lgkmcnt(0)
	; wave barrier
	s_waitcnt lgkmcnt(0)
	buffer_load_dword v2, off, s[0:3], 0 offset:32
	buffer_load_dword v3, off, s[0:3], 0 offset:36
	;; [unrolled: 1-line block ×52, first 2 shown]
	ds_read_b128 v[14:17], v12 offset:256
	ds_read_b128 v[18:21], v12 offset:272
	ds_read_b128 v[50:53], v12 offset:288
	ds_read_b128 v[54:57], v12 offset:304
	ds_read_b128 v[58:61], v12 offset:320
	ds_read_b128 v[62:65], v12 offset:336
	ds_read_b128 v[66:69], v12 offset:352
	ds_read_b128 v[86:89], v12 offset:368
	ds_read_b128 v[90:93], v12 offset:384
	ds_read_b128 v[94:97], v12 offset:400
	v_cmp_ne_u32_e32 vcc, 0, v84
	s_waitcnt vmcnt(48) lgkmcnt(9)
	v_mul_f64 v[98:99], v[14:15], v[6:7]
	v_mul_f64 v[6:7], v[16:17], v[6:7]
	v_fmac_f64_e32 v[98:99], v[16:17], v[2:3]
	v_fma_f64 v[2:3], v[14:15], v[2:3], -v[6:7]
	s_waitcnt vmcnt(44) lgkmcnt(8)
	v_mul_f64 v[100:101], v[18:19], v[8:9]
	v_mul_f64 v[6:7], v[20:21], v[8:9]
	v_fmac_f64_e32 v[100:101], v[20:21], v[4:5]
	v_add_f64 v[2:3], v[2:3], 0
	v_fma_f64 v[4:5], v[18:19], v[4:5], -v[6:7]
	v_add_f64 v[2:3], v[2:3], v[4:5]
	s_waitcnt vmcnt(42) lgkmcnt(7)
	v_mul_f64 v[4:5], v[52:53], v[10:11]
	v_mul_f64 v[102:103], v[50:51], v[10:11]
	v_add_f64 v[98:99], v[98:99], 0
	s_waitcnt vmcnt(36) lgkmcnt(6)
	v_mul_f64 v[104:105], v[54:55], v[108:109]
	v_add_f64 v[98:99], v[98:99], v[100:101]
	s_waitcnt lgkmcnt(5)
	v_mul_f64 v[146:147], v[58:59], v[70:71]
	v_fmac_f64_e32 v[146:147], v[60:61], v[106:107]
	s_waitcnt vmcnt(34) lgkmcnt(3)
	v_mul_f64 v[150:151], v[66:67], v[110:111]
	s_waitcnt vmcnt(30)
	v_mul_f64 v[148:149], v[62:63], v[114:115]
	v_fmac_f64_e32 v[150:151], v[68:69], v[112:113]
	s_waitcnt vmcnt(26) lgkmcnt(2)
	v_mul_f64 v[152:153], v[86:87], v[120:121]
	s_waitcnt vmcnt(25) lgkmcnt(1)
	v_mul_f64 v[154:155], v[90:91], v[116:117]
	s_waitcnt vmcnt(23)
	v_fma_f64 v[4:5], v[50:51], v[122:123], -v[4:5]
	v_add_f64 v[2:3], v[2:3], v[4:5]
	v_mul_f64 v[4:5], v[56:57], v[108:109]
	s_waitcnt vmcnt(21)
	v_fma_f64 v[4:5], v[54:55], v[124:125], -v[4:5]
	v_fmac_f64_e32 v[102:103], v[52:53], v[122:123]
	v_add_f64 v[2:3], v[2:3], v[4:5]
	v_mul_f64 v[4:5], v[60:61], v[70:71]
	v_fmac_f64_e32 v[104:105], v[56:57], v[124:125]
	v_add_f64 v[98:99], v[98:99], v[102:103]
	v_fma_f64 v[4:5], v[58:59], v[106:107], -v[4:5]
	v_add_f64 v[98:99], v[98:99], v[104:105]
	v_add_f64 v[2:3], v[2:3], v[4:5]
	v_mul_f64 v[4:5], v[64:65], v[114:115]
	s_waitcnt vmcnt(19)
	v_fmac_f64_e32 v[148:149], v[64:65], v[126:127]
	v_add_f64 v[98:99], v[98:99], v[146:147]
	v_fma_f64 v[4:5], v[62:63], v[126:127], -v[4:5]
	v_add_f64 v[98:99], v[98:99], v[148:149]
	v_add_f64 v[2:3], v[2:3], v[4:5]
	v_mul_f64 v[4:5], v[68:69], v[110:111]
	s_waitcnt vmcnt(17)
	v_fmac_f64_e32 v[152:153], v[88:89], v[128:129]
	v_add_f64 v[98:99], v[98:99], v[150:151]
	v_fma_f64 v[4:5], v[66:67], v[112:113], -v[4:5]
	s_waitcnt vmcnt(16)
	v_fmac_f64_e32 v[154:155], v[92:93], v[118:119]
	v_add_f64 v[98:99], v[98:99], v[152:153]
	v_add_f64 v[2:3], v[2:3], v[4:5]
	v_mul_f64 v[4:5], v[88:89], v[120:121]
	v_add_f64 v[146:147], v[98:99], v[154:155]
	ds_read_b128 v[98:101], v12 offset:416
	ds_read_b128 v[102:105], v12 offset:432
	v_fma_f64 v[4:5], v[86:87], v[128:129], -v[4:5]
	v_add_f64 v[2:3], v[2:3], v[4:5]
	v_mul_f64 v[4:5], v[92:93], v[116:117]
	v_fma_f64 v[4:5], v[90:91], v[118:119], -v[4:5]
	v_add_f64 v[2:3], v[2:3], v[4:5]
	s_waitcnt vmcnt(12) lgkmcnt(2)
	v_mul_f64 v[4:5], v[96:97], v[134:135]
	v_mul_f64 v[148:149], v[94:95], v[134:135]
	s_waitcnt vmcnt(10)
	v_fma_f64 v[4:5], v[94:95], v[136:137], -v[4:5]
	v_fmac_f64_e32 v[148:149], v[96:97], v[136:137]
	v_add_f64 v[2:3], v[2:3], v[4:5]
	s_waitcnt vmcnt(8) lgkmcnt(1)
	v_mul_f64 v[4:5], v[100:101], v[130:131]
	v_add_f64 v[12:13], v[146:147], v[148:149]
	v_mul_f64 v[146:147], v[98:99], v[130:131]
	v_fma_f64 v[4:5], v[98:99], v[132:133], -v[4:5]
	v_fmac_f64_e32 v[146:147], v[100:101], v[132:133]
	v_add_f64 v[2:3], v[2:3], v[4:5]
	s_waitcnt vmcnt(6) lgkmcnt(0)
	v_mul_f64 v[4:5], v[104:105], v[138:139]
	v_add_f64 v[12:13], v[12:13], v[146:147]
	v_mul_f64 v[146:147], v[102:103], v[138:139]
	s_waitcnt vmcnt(4)
	v_fma_f64 v[4:5], v[102:103], v[140:141], -v[4:5]
	v_fmac_f64_e32 v[146:147], v[104:105], v[140:141]
	v_add_f64 v[2:3], v[2:3], v[4:5]
	v_add_f64 v[12:13], v[12:13], v[146:147]
	s_waitcnt vmcnt(2)
	v_add_f64 v[2:3], v[142:143], -v[2:3]
	s_waitcnt vmcnt(0)
	v_add_f64 v[4:5], v[144:145], -v[12:13]
	buffer_store_dword v3, off, s[0:3], 0 offset:20
	buffer_store_dword v2, off, s[0:3], 0 offset:16
	;; [unrolled: 1-line block ×4, first 2 shown]
	s_and_saveexec_b64 s[6:7], vcc
	s_cbranch_execz .LBB13_97
; %bb.96:
	buffer_load_dword v2, off, s[0:3], 0
	buffer_load_dword v3, off, s[0:3], 0 offset:4
	buffer_load_dword v4, off, s[0:3], 0 offset:8
	;; [unrolled: 1-line block ×3, first 2 shown]
	v_mov_b32_e32 v6, 0
	buffer_store_dword v6, off, s[0:3], 0
	buffer_store_dword v6, off, s[0:3], 0 offset:4
	buffer_store_dword v6, off, s[0:3], 0 offset:8
	;; [unrolled: 1-line block ×3, first 2 shown]
	s_waitcnt vmcnt(4)
	ds_write_b128 v85, v[2:5]
.LBB13_97:
	s_or_b64 exec, exec, s[6:7]
	s_waitcnt lgkmcnt(0)
	; wave barrier
	s_waitcnt lgkmcnt(0)
	buffer_load_dword v2, off, s[0:3], 0 offset:16
	buffer_load_dword v3, off, s[0:3], 0 offset:20
	;; [unrolled: 1-line block ×52, first 2 shown]
	buffer_load_dword v148, off, s[0:3], 0
	buffer_load_dword v149, off, s[0:3], 0 offset:4
	buffer_load_dword v150, off, s[0:3], 0 offset:8
	;; [unrolled: 1-line block ×3, first 2 shown]
	v_mov_b32_e32 v85, 0
	ds_read_b128 v[18:21], v85 offset:240
	ds_read_b128 v[50:53], v85 offset:256
	;; [unrolled: 1-line block ×9, first 2 shown]
	s_and_b64 vcc, exec, s[26:27]
	s_waitcnt vmcnt(52) lgkmcnt(8)
	v_mul_f64 v[94:95], v[18:19], v[6:7]
	v_fmac_f64_e32 v[94:95], v[20:21], v[2:3]
	v_mul_f64 v[6:7], v[20:21], v[6:7]
	v_add_f64 v[94:95], v[94:95], 0
	s_waitcnt vmcnt(48) lgkmcnt(7)
	v_mul_f64 v[96:97], v[50:51], v[8:9]
	v_fmac_f64_e32 v[96:97], v[52:53], v[4:5]
	s_waitcnt vmcnt(46) lgkmcnt(6)
	v_mul_f64 v[98:99], v[54:55], v[10:11]
	v_fma_f64 v[2:3], v[18:19], v[2:3], -v[6:7]
	v_mul_f64 v[6:7], v[52:53], v[8:9]
	v_add_f64 v[94:95], v[94:95], v[96:97]
	v_add_f64 v[2:3], v[2:3], 0
	v_fma_f64 v[4:5], v[50:51], v[4:5], -v[6:7]
	s_waitcnt vmcnt(40) lgkmcnt(5)
	v_mul_f64 v[100:101], v[58:59], v[16:17]
	s_waitcnt lgkmcnt(4)
	v_mul_f64 v[102:103], v[62:63], v[12:13]
	v_add_f64 v[2:3], v[2:3], v[4:5]
	v_mul_f64 v[4:5], v[56:57], v[10:11]
	s_waitcnt vmcnt(36) lgkmcnt(3)
	v_mul_f64 v[104:105], v[66:67], v[116:117]
	v_fmac_f64_e32 v[102:103], v[64:65], v[14:15]
	s_waitcnt vmcnt(35) lgkmcnt(2)
	v_mul_f64 v[106:107], v[86:87], v[70:71]
	s_waitcnt vmcnt(33)
	v_fmac_f64_e32 v[98:99], v[56:57], v[118:119]
	v_add_f64 v[94:95], v[94:95], v[98:99]
	s_waitcnt vmcnt(31)
	v_fmac_f64_e32 v[100:101], v[60:61], v[120:121]
	v_add_f64 v[94:95], v[94:95], v[100:101]
	v_fma_f64 v[4:5], v[54:55], v[118:119], -v[4:5]
	s_waitcnt vmcnt(29)
	v_fmac_f64_e32 v[104:105], v[68:69], v[122:123]
	v_add_f64 v[94:95], v[94:95], v[102:103]
	v_add_f64 v[2:3], v[2:3], v[4:5]
	v_mul_f64 v[4:5], v[60:61], v[16:17]
	s_waitcnt vmcnt(28)
	v_fmac_f64_e32 v[106:107], v[88:89], v[114:115]
	v_add_f64 v[94:95], v[94:95], v[104:105]
	v_fma_f64 v[4:5], v[58:59], v[120:121], -v[4:5]
	v_add_f64 v[98:99], v[94:95], v[106:107]
	ds_read_b128 v[94:97], v85 offset:368
	s_waitcnt vmcnt(24) lgkmcnt(2)
	v_mul_f64 v[100:101], v[90:91], v[128:129]
	v_add_f64 v[2:3], v[2:3], v[4:5]
	v_mul_f64 v[4:5], v[64:65], v[12:13]
	s_waitcnt vmcnt(22)
	v_fmac_f64_e32 v[100:101], v[92:93], v[130:131]
	v_fma_f64 v[4:5], v[62:63], v[14:15], -v[4:5]
	v_add_f64 v[102:103], v[98:99], v[100:101]
	ds_read_b128 v[98:101], v85 offset:384
	v_add_f64 v[2:3], v[2:3], v[4:5]
	v_mul_f64 v[4:5], v[68:69], v[116:117]
	v_fma_f64 v[4:5], v[66:67], v[122:123], -v[4:5]
	v_add_f64 v[2:3], v[2:3], v[4:5]
	v_mul_f64 v[4:5], v[88:89], v[70:71]
	s_waitcnt vmcnt(20) lgkmcnt(1)
	v_mul_f64 v[104:105], v[94:95], v[124:125]
	v_fma_f64 v[4:5], v[86:87], v[114:115], -v[4:5]
	v_fmac_f64_e32 v[104:105], v[96:97], v[126:127]
	v_add_f64 v[2:3], v[2:3], v[4:5]
	v_mul_f64 v[4:5], v[92:93], v[128:129]
	v_add_f64 v[106:107], v[102:103], v[104:105]
	ds_read_b128 v[102:105], v85 offset:400
	s_waitcnt vmcnt(16) lgkmcnt(1)
	v_mul_f64 v[108:109], v[98:99], v[136:137]
	v_fma_f64 v[4:5], v[90:91], v[130:131], -v[4:5]
	s_waitcnt vmcnt(14)
	v_fmac_f64_e32 v[108:109], v[100:101], v[138:139]
	v_add_f64 v[2:3], v[2:3], v[4:5]
	v_mul_f64 v[4:5], v[96:97], v[124:125]
	v_add_f64 v[152:153], v[106:107], v[108:109]
	ds_read_b128 v[106:109], v85 offset:416
	v_fma_f64 v[4:5], v[94:95], v[126:127], -v[4:5]
	v_add_f64 v[2:3], v[2:3], v[4:5]
	v_mul_f64 v[4:5], v[100:101], v[136:137]
	v_fma_f64 v[4:5], v[98:99], v[138:139], -v[4:5]
	v_add_f64 v[2:3], v[2:3], v[4:5]
	s_waitcnt vmcnt(12) lgkmcnt(1)
	v_mul_f64 v[4:5], v[104:105], v[132:133]
	v_mul_f64 v[154:155], v[102:103], v[132:133]
	v_fma_f64 v[4:5], v[102:103], v[134:135], -v[4:5]
	v_fmac_f64_e32 v[154:155], v[104:105], v[134:135]
	v_add_f64 v[2:3], v[2:3], v[4:5]
	s_waitcnt vmcnt(8) lgkmcnt(0)
	v_mul_f64 v[4:5], v[108:109], v[144:145]
	v_add_f64 v[152:153], v[152:153], v[154:155]
	v_mul_f64 v[154:155], v[106:107], v[144:145]
	s_waitcnt vmcnt(6)
	v_fma_f64 v[4:5], v[106:107], v[146:147], -v[4:5]
	v_fmac_f64_e32 v[154:155], v[108:109], v[146:147]
	v_add_f64 v[2:3], v[2:3], v[4:5]
	s_waitcnt vmcnt(5)
	v_mul_f64 v[4:5], v[112:113], v[140:141]
	v_add_f64 v[152:153], v[152:153], v[154:155]
	v_mul_f64 v[154:155], v[110:111], v[140:141]
	s_waitcnt vmcnt(4)
	v_fma_f64 v[4:5], v[110:111], v[142:143], -v[4:5]
	v_fmac_f64_e32 v[154:155], v[112:113], v[142:143]
	v_add_f64 v[2:3], v[2:3], v[4:5]
	v_add_f64 v[152:153], v[152:153], v[154:155]
	s_waitcnt vmcnt(2)
	v_add_f64 v[2:3], v[148:149], -v[2:3]
	s_waitcnt vmcnt(0)
	v_add_f64 v[4:5], v[150:151], -v[152:153]
	buffer_store_dword v3, off, s[0:3], 0 offset:4
	buffer_store_dword v2, off, s[0:3], 0
	buffer_store_dword v5, off, s[0:3], 0 offset:12
	buffer_store_dword v4, off, s[0:3], 0 offset:8
	s_cbranch_vccz .LBB13_125
; %bb.98:
	v_pk_mov_b32 v[2:3], s[24:25], s[24:25] op_sel:[0,1]
	flat_load_dword v2, v[2:3] offset:48
	s_load_dwordx2 s[4:5], s[4:5], 0x4
	v_bfe_u32 v4, v0, 10, 10
	v_bfe_u32 v0, v0, 20, 10
	s_waitcnt lgkmcnt(0)
	s_lshr_b32 s4, s4, 16
	s_mul_i32 s4, s4, s5
	v_mul_u32_u24_e32 v3, s4, v84
	v_mul_u32_u24_e32 v4, s5, v4
	v_add3_u32 v0, v3, v4, v0
	v_mov_b32_e32 v3, 0x1c8
	v_lshl_add_u32 v0, v0, 4, v3
	s_waitcnt vmcnt(0)
	v_add_u32_e32 v2, -1, v2
	v_cmp_ne_u32_e32 vcc, 12, v2
	s_and_saveexec_b64 s[4:5], vcc
	s_cbranch_execz .LBB13_100
; %bb.99:
	v_mov_b32_e32 v3, 0
	v_lshl_add_u32 v6, v2, 4, v3
	buffer_load_dword v2, v74, s[0:3], 0 offen
	buffer_load_dword v3, v74, s[0:3], 0 offen offset:4
	buffer_load_dword v4, v74, s[0:3], 0 offen offset:8
	buffer_load_dword v5, v74, s[0:3], 0 offen offset:12
	buffer_load_dword v7, v6, s[0:3], 0 offen
	buffer_load_dword v8, v6, s[0:3], 0 offen offset:4
	buffer_load_dword v9, v6, s[0:3], 0 offen offset:8
	buffer_load_dword v10, v6, s[0:3], 0 offen offset:12
	s_waitcnt vmcnt(4)
	ds_write2_b64 v0, v[2:3], v[4:5] offset1:1
	s_waitcnt vmcnt(3)
	buffer_store_dword v7, v74, s[0:3], 0 offen
	s_waitcnt vmcnt(3)
	buffer_store_dword v8, v74, s[0:3], 0 offen offset:4
	s_waitcnt vmcnt(3)
	buffer_store_dword v9, v74, s[0:3], 0 offen offset:8
	s_waitcnt vmcnt(3)
	buffer_store_dword v10, v74, s[0:3], 0 offen offset:12
	buffer_store_dword v5, v6, s[0:3], 0 offen offset:12
	buffer_store_dword v4, v6, s[0:3], 0 offen offset:8
	buffer_store_dword v3, v6, s[0:3], 0 offen offset:4
	buffer_store_dword v2, v6, s[0:3], 0 offen
.LBB13_100:
	s_or_b64 exec, exec, s[4:5]
	v_pk_mov_b32 v[2:3], s[24:25], s[24:25] op_sel:[0,1]
	flat_load_dword v2, v[2:3] offset:44
	s_waitcnt vmcnt(0) lgkmcnt(0)
	v_add_u32_e32 v2, -1, v2
	v_cmp_ne_u32_e32 vcc, 11, v2
	s_and_saveexec_b64 s[4:5], vcc
	s_cbranch_execz .LBB13_102
; %bb.101:
	v_mov_b32_e32 v3, 0
	v_lshl_add_u32 v6, v2, 4, v3
	buffer_load_dword v2, v1, s[0:3], 0 offen
	buffer_load_dword v3, v1, s[0:3], 0 offen offset:4
	buffer_load_dword v4, v1, s[0:3], 0 offen offset:8
	buffer_load_dword v5, v1, s[0:3], 0 offen offset:12
	buffer_load_dword v7, v6, s[0:3], 0 offen
	buffer_load_dword v8, v6, s[0:3], 0 offen offset:4
	buffer_load_dword v9, v6, s[0:3], 0 offen offset:8
	buffer_load_dword v10, v6, s[0:3], 0 offen offset:12
	s_waitcnt vmcnt(4)
	ds_write2_b64 v0, v[2:3], v[4:5] offset1:1
	s_waitcnt vmcnt(3)
	buffer_store_dword v7, v1, s[0:3], 0 offen
	s_waitcnt vmcnt(3)
	buffer_store_dword v8, v1, s[0:3], 0 offen offset:4
	s_waitcnt vmcnt(3)
	buffer_store_dword v9, v1, s[0:3], 0 offen offset:8
	s_waitcnt vmcnt(3)
	buffer_store_dword v10, v1, s[0:3], 0 offen offset:12
	buffer_store_dword v5, v6, s[0:3], 0 offen offset:12
	buffer_store_dword v4, v6, s[0:3], 0 offen offset:8
	buffer_store_dword v3, v6, s[0:3], 0 offen offset:4
	buffer_store_dword v2, v6, s[0:3], 0 offen
.LBB13_102:
	s_or_b64 exec, exec, s[4:5]
	v_pk_mov_b32 v[2:3], s[24:25], s[24:25] op_sel:[0,1]
	flat_load_dword v2, v[2:3] offset:40
	s_waitcnt vmcnt(0) lgkmcnt(0)
	;; [unrolled: 34-line block ×11, first 2 shown]
	v_add_u32_e32 v2, -1, v2
	v_cmp_ne_u32_e32 vcc, 1, v2
	s_and_saveexec_b64 s[4:5], vcc
	s_cbranch_execz .LBB13_122
; %bb.121:
	v_mov_b32_e32 v3, 0
	v_lshl_add_u32 v6, v2, 4, v3
	buffer_load_dword v2, v81, s[0:3], 0 offen
	buffer_load_dword v3, v81, s[0:3], 0 offen offset:4
	buffer_load_dword v4, v81, s[0:3], 0 offen offset:8
	;; [unrolled: 1-line block ×3, first 2 shown]
	buffer_load_dword v7, v6, s[0:3], 0 offen
	buffer_load_dword v8, v6, s[0:3], 0 offen offset:4
	buffer_load_dword v9, v6, s[0:3], 0 offen offset:8
	;; [unrolled: 1-line block ×3, first 2 shown]
	s_waitcnt vmcnt(4)
	ds_write2_b64 v0, v[2:3], v[4:5] offset1:1
	s_waitcnt vmcnt(3)
	buffer_store_dword v7, v81, s[0:3], 0 offen
	s_waitcnt vmcnt(3)
	buffer_store_dword v8, v81, s[0:3], 0 offen offset:4
	s_waitcnt vmcnt(3)
	buffer_store_dword v9, v81, s[0:3], 0 offen offset:8
	;; [unrolled: 2-line block ×3, first 2 shown]
	buffer_store_dword v5, v6, s[0:3], 0 offen offset:12
	buffer_store_dword v4, v6, s[0:3], 0 offen offset:8
	;; [unrolled: 1-line block ×3, first 2 shown]
	buffer_store_dword v2, v6, s[0:3], 0 offen
.LBB13_122:
	s_or_b64 exec, exec, s[4:5]
	v_pk_mov_b32 v[2:3], s[24:25], s[24:25] op_sel:[0,1]
	flat_load_dword v2, v[2:3]
	s_waitcnt vmcnt(0) lgkmcnt(0)
	v_add_u32_e32 v2, -1, v2
	v_cmp_ne_u32_e32 vcc, 0, v2
	s_and_saveexec_b64 s[4:5], vcc
	s_cbranch_execz .LBB13_124
; %bb.123:
	v_mov_b32_e32 v3, 0
	v_lshl_add_u32 v6, v2, 4, v3
	buffer_load_dword v2, off, s[0:3], 0
	buffer_load_dword v3, off, s[0:3], 0 offset:4
	buffer_load_dword v4, off, s[0:3], 0 offset:8
	;; [unrolled: 1-line block ×3, first 2 shown]
	buffer_load_dword v7, v6, s[0:3], 0 offen
	buffer_load_dword v8, v6, s[0:3], 0 offen offset:4
	buffer_load_dword v9, v6, s[0:3], 0 offen offset:8
	;; [unrolled: 1-line block ×3, first 2 shown]
	s_waitcnt vmcnt(4)
	ds_write2_b64 v0, v[2:3], v[4:5] offset1:1
	s_waitcnt vmcnt(3)
	buffer_store_dword v7, off, s[0:3], 0
	s_waitcnt vmcnt(3)
	buffer_store_dword v8, off, s[0:3], 0 offset:4
	s_waitcnt vmcnt(3)
	buffer_store_dword v9, off, s[0:3], 0 offset:8
	;; [unrolled: 2-line block ×3, first 2 shown]
	buffer_store_dword v5, v6, s[0:3], 0 offen offset:12
	buffer_store_dword v4, v6, s[0:3], 0 offen offset:8
	;; [unrolled: 1-line block ×3, first 2 shown]
	buffer_store_dword v2, v6, s[0:3], 0 offen
.LBB13_124:
	s_or_b64 exec, exec, s[4:5]
.LBB13_125:
	buffer_load_dword v2, off, s[0:3], 0
	buffer_load_dword v3, off, s[0:3], 0 offset:4
	buffer_load_dword v4, off, s[0:3], 0 offset:8
	;; [unrolled: 1-line block ×3, first 2 shown]
	buffer_load_dword v7, v81, s[0:3], 0 offen offset:4
	buffer_load_dword v8, v81, s[0:3], 0 offen offset:8
	;; [unrolled: 1-line block ×3, first 2 shown]
	buffer_load_dword v10, v82, s[0:3], 0 offen
	buffer_load_dword v11, v82, s[0:3], 0 offen offset:4
	buffer_load_dword v12, v82, s[0:3], 0 offen offset:8
	buffer_load_dword v6, v81, s[0:3], 0 offen
	buffer_load_dword v13, v82, s[0:3], 0 offen offset:12
	buffer_load_dword v15, v83, s[0:3], 0 offen offset:4
	;; [unrolled: 1-line block ×4, first 2 shown]
	buffer_load_dword v18, v78, s[0:3], 0 offen
	buffer_load_dword v19, v78, s[0:3], 0 offen offset:4
	buffer_load_dword v20, v78, s[0:3], 0 offen offset:8
	buffer_load_dword v14, v83, s[0:3], 0 offen
                                        ; kill: killed $vgpr81
                                        ; kill: killed $vgpr83
                                        ; kill: killed $vgpr82
	buffer_load_dword v21, v78, s[0:3], 0 offen offset:12
	buffer_load_dword v51, v79, s[0:3], 0 offen offset:4
	;; [unrolled: 1-line block ×4, first 2 shown]
	buffer_load_dword v54, v80, s[0:3], 0 offen
	buffer_load_dword v55, v80, s[0:3], 0 offen offset:4
	buffer_load_dword v56, v80, s[0:3], 0 offen offset:8
	buffer_load_dword v50, v79, s[0:3], 0 offen
	buffer_load_dword v57, v80, s[0:3], 0 offen offset:12
	buffer_load_dword v59, v72, s[0:3], 0 offen offset:4
	;; [unrolled: 1-line block ×4, first 2 shown]
	buffer_load_dword v62, v75, s[0:3], 0 offen
	buffer_load_dword v63, v75, s[0:3], 0 offen offset:4
	buffer_load_dword v64, v75, s[0:3], 0 offen offset:8
                                        ; kill: killed $vgpr80
                                        ; kill: killed $vgpr79
                                        ; kill: killed $vgpr78
	buffer_load_dword v58, v72, s[0:3], 0 offen
	buffer_load_dword v65, v75, s[0:3], 0 offen offset:12
	buffer_load_dword v67, v73, s[0:3], 0 offen offset:4
	buffer_load_dword v68, v73, s[0:3], 0 offen offset:8
	buffer_load_dword v69, v73, s[0:3], 0 offen offset:12
	buffer_load_dword v78, v77, s[0:3], 0 offen
	buffer_load_dword v79, v77, s[0:3], 0 offen offset:4
	buffer_load_dword v80, v77, s[0:3], 0 offen offset:8
	buffer_load_dword v66, v73, s[0:3], 0 offen
	buffer_load_dword v81, v77, s[0:3], 0 offen offset:12
	buffer_load_dword v83, v1, s[0:3], 0 offen offset:4
	;; [unrolled: 1-line block ×4, first 2 shown]
	buffer_load_dword v70, v74, s[0:3], 0 offen
	buffer_load_dword v71, v74, s[0:3], 0 offen offset:4
                                        ; kill: killed $vgpr75
                                        ; kill: killed $vgpr77
                                        ; kill: killed $vgpr72
                                        ; kill: killed $vgpr73
	buffer_load_dword v72, v74, s[0:3], 0 offen offset:8
	buffer_load_dword v82, v1, s[0:3], 0 offen
	buffer_load_dword v73, v74, s[0:3], 0 offen offset:12
	buffer_load_dword v86, v76, s[0:3], 0 offen
	buffer_load_dword v87, v76, s[0:3], 0 offen offset:4
	buffer_load_dword v88, v76, s[0:3], 0 offen offset:8
	;; [unrolled: 1-line block ×3, first 2 shown]
	s_waitcnt vmcnt(52)
	global_store_dwordx4 v[22:23], v[2:5], off
	s_waitcnt vmcnt(46)
	global_store_dwordx4 v[24:25], v[6:9], off
	s_waitcnt vmcnt(46)
	global_store_dwordx4 v[26:27], v[10:13], off
	s_waitcnt vmcnt(40)
	global_store_dwordx4 v[28:29], v[14:17], off
	s_waitcnt vmcnt(40)
	global_store_dwordx4 v[30:31], v[18:21], off
	s_waitcnt vmcnt(34)
	global_store_dwordx4 v[32:33], v[50:53], off
	s_waitcnt vmcnt(34)
	global_store_dwordx4 v[34:35], v[54:57], off
	s_waitcnt vmcnt(28)
	global_store_dwordx4 v[36:37], v[58:61], off
	s_waitcnt vmcnt(28)
	global_store_dwordx4 v[38:39], v[62:65], off
	s_waitcnt vmcnt(22)
	global_store_dwordx4 v[40:41], v[66:69], off
	s_waitcnt vmcnt(22)
	global_store_dwordx4 v[42:43], v[78:81], off
	s_waitcnt vmcnt(16)
	global_store_dwordx4 v[44:45], v[82:85], off
	s_waitcnt vmcnt(16)
	global_store_dwordx4 v[48:49], v[70:73], off
	s_waitcnt vmcnt(13)
	global_store_dwordx4 v[46:47], v[86:89], off
	s_endpgm
	.section	.rodata,"a",@progbits
	.p2align	6, 0x0
	.amdhsa_kernel _ZN9rocsolver6v33100L18getri_kernel_smallILi14E19rocblas_complex_numIdEPS3_EEvT1_iilPiilS6_bb
		.amdhsa_group_segment_fixed_size 1480
		.amdhsa_private_segment_fixed_size 240
		.amdhsa_kernarg_size 60
		.amdhsa_user_sgpr_count 10
		.amdhsa_user_sgpr_private_segment_buffer 1
		.amdhsa_user_sgpr_dispatch_ptr 1
		.amdhsa_user_sgpr_queue_ptr 0
		.amdhsa_user_sgpr_kernarg_segment_ptr 1
		.amdhsa_user_sgpr_dispatch_id 0
		.amdhsa_user_sgpr_flat_scratch_init 1
		.amdhsa_user_sgpr_kernarg_preload_length 0
		.amdhsa_user_sgpr_kernarg_preload_offset 0
		.amdhsa_user_sgpr_private_segment_size 0
		.amdhsa_uses_dynamic_stack 0
		.amdhsa_system_sgpr_private_segment_wavefront_offset 1
		.amdhsa_system_sgpr_workgroup_id_x 1
		.amdhsa_system_sgpr_workgroup_id_y 0
		.amdhsa_system_sgpr_workgroup_id_z 0
		.amdhsa_system_sgpr_workgroup_info 0
		.amdhsa_system_vgpr_workitem_id 2
		.amdhsa_next_free_vgpr 158
		.amdhsa_next_free_sgpr 29
		.amdhsa_accum_offset 160
		.amdhsa_reserve_vcc 1
		.amdhsa_reserve_flat_scratch 1
		.amdhsa_float_round_mode_32 0
		.amdhsa_float_round_mode_16_64 0
		.amdhsa_float_denorm_mode_32 3
		.amdhsa_float_denorm_mode_16_64 3
		.amdhsa_dx10_clamp 1
		.amdhsa_ieee_mode 1
		.amdhsa_fp16_overflow 0
		.amdhsa_tg_split 0
		.amdhsa_exception_fp_ieee_invalid_op 0
		.amdhsa_exception_fp_denorm_src 0
		.amdhsa_exception_fp_ieee_div_zero 0
		.amdhsa_exception_fp_ieee_overflow 0
		.amdhsa_exception_fp_ieee_underflow 0
		.amdhsa_exception_fp_ieee_inexact 0
		.amdhsa_exception_int_div_zero 0
	.end_amdhsa_kernel
	.section	.text._ZN9rocsolver6v33100L18getri_kernel_smallILi14E19rocblas_complex_numIdEPS3_EEvT1_iilPiilS6_bb,"axG",@progbits,_ZN9rocsolver6v33100L18getri_kernel_smallILi14E19rocblas_complex_numIdEPS3_EEvT1_iilPiilS6_bb,comdat
.Lfunc_end13:
	.size	_ZN9rocsolver6v33100L18getri_kernel_smallILi14E19rocblas_complex_numIdEPS3_EEvT1_iilPiilS6_bb, .Lfunc_end13-_ZN9rocsolver6v33100L18getri_kernel_smallILi14E19rocblas_complex_numIdEPS3_EEvT1_iilPiilS6_bb
                                        ; -- End function
	.section	.AMDGPU.csdata,"",@progbits
; Kernel info:
; codeLenInByte = 20316
; NumSgprs: 35
; NumVgprs: 158
; NumAgprs: 0
; TotalNumVgprs: 158
; ScratchSize: 240
; MemoryBound: 0
; FloatMode: 240
; IeeeMode: 1
; LDSByteSize: 1480 bytes/workgroup (compile time only)
; SGPRBlocks: 4
; VGPRBlocks: 19
; NumSGPRsForWavesPerEU: 35
; NumVGPRsForWavesPerEU: 158
; AccumOffset: 160
; Occupancy: 3
; WaveLimiterHint : 1
; COMPUTE_PGM_RSRC2:SCRATCH_EN: 1
; COMPUTE_PGM_RSRC2:USER_SGPR: 10
; COMPUTE_PGM_RSRC2:TRAP_HANDLER: 0
; COMPUTE_PGM_RSRC2:TGID_X_EN: 1
; COMPUTE_PGM_RSRC2:TGID_Y_EN: 0
; COMPUTE_PGM_RSRC2:TGID_Z_EN: 0
; COMPUTE_PGM_RSRC2:TIDIG_COMP_CNT: 2
; COMPUTE_PGM_RSRC3_GFX90A:ACCUM_OFFSET: 39
; COMPUTE_PGM_RSRC3_GFX90A:TG_SPLIT: 0
	.section	.text._ZN9rocsolver6v33100L18getri_kernel_smallILi15E19rocblas_complex_numIdEPS3_EEvT1_iilPiilS6_bb,"axG",@progbits,_ZN9rocsolver6v33100L18getri_kernel_smallILi15E19rocblas_complex_numIdEPS3_EEvT1_iilPiilS6_bb,comdat
	.globl	_ZN9rocsolver6v33100L18getri_kernel_smallILi15E19rocblas_complex_numIdEPS3_EEvT1_iilPiilS6_bb ; -- Begin function _ZN9rocsolver6v33100L18getri_kernel_smallILi15E19rocblas_complex_numIdEPS3_EEvT1_iilPiilS6_bb
	.p2align	8
	.type	_ZN9rocsolver6v33100L18getri_kernel_smallILi15E19rocblas_complex_numIdEPS3_EEvT1_iilPiilS6_bb,@function
_ZN9rocsolver6v33100L18getri_kernel_smallILi15E19rocblas_complex_numIdEPS3_EEvT1_iilPiilS6_bb: ; @_ZN9rocsolver6v33100L18getri_kernel_smallILi15E19rocblas_complex_numIdEPS3_EEvT1_iilPiilS6_bb
; %bb.0:
	s_add_u32 flat_scratch_lo, s8, s11
	s_addc_u32 flat_scratch_hi, s9, 0
	s_add_u32 s0, s0, s11
	v_and_b32_e32 v67, 0x3ff, v0
	s_addc_u32 s1, s1, 0
	v_cmp_gt_u32_e32 vcc, 15, v67
	s_and_saveexec_b64 s[8:9], vcc
	s_cbranch_execz .LBB14_74
; %bb.1:
	s_load_dword s8, s[6:7], 0x38
	s_load_dwordx4 s[20:23], s[6:7], 0x10
	s_load_dwordx4 s[12:15], s[6:7], 0x28
                                        ; implicit-def: $sgpr24_sgpr25
	s_waitcnt lgkmcnt(0)
	s_bitcmp1_b32 s8, 8
	s_cselect_b64 s[26:27], -1, 0
	s_ashr_i32 s11, s10, 31
	s_bfe_u32 s9, s8, 0x10008
	s_cmp_eq_u32 s9, 0
	s_cbranch_scc1 .LBB14_3
; %bb.2:
	s_load_dword s16, s[6:7], 0x20
	s_mul_i32 s9, s10, s13
	s_mul_hi_u32 s13, s10, s12
	s_mul_i32 s18, s11, s12
	s_add_i32 s9, s13, s9
	s_add_i32 s13, s9, s18
	s_mul_i32 s12, s10, s12
	s_waitcnt lgkmcnt(0)
	s_ashr_i32 s17, s16, 31
	s_lshl_b64 s[12:13], s[12:13], 2
	s_add_u32 s9, s22, s12
	s_addc_u32 s18, s23, s13
	s_lshl_b64 s[12:13], s[16:17], 2
	s_add_u32 s24, s9, s12
	s_addc_u32 s25, s18, s13
.LBB14_3:
	s_load_dwordx4 s[16:19], s[6:7], 0x0
	s_mul_i32 s6, s10, s21
	s_mul_hi_u32 s7, s10, s20
	s_add_i32 s9, s7, s6
	s_mul_i32 s12, s11, s20
	s_add_i32 s13, s9, s12
	s_mul_i32 s12, s10, s20
	s_waitcnt lgkmcnt(0)
	s_ashr_i32 s7, s18, 31
	s_lshl_b64 s[12:13], s[12:13], 4
	s_mov_b32 s6, s18
	s_add_u32 s9, s16, s12
	s_addc_u32 s12, s17, s13
	s_lshl_b64 s[6:7], s[6:7], 4
	s_add_u32 s6, s9, s6
	s_addc_u32 s7, s12, s7
	v_lshlrev_b32_e32 v12, 4, v67
	v_mov_b32_e32 v1, s7
	v_add_co_u32_e32 v18, vcc, s6, v12
	s_ashr_i32 s13, s19, 31
	s_mov_b32 s12, s19
	s_add_i32 s9, s19, s19
	v_addc_co_u32_e32 v19, vcc, 0, v1, vcc
	s_lshl_b64 s[12:13], s[12:13], 4
	v_add_u32_e32 v10, s9, v67
	v_mov_b32_e32 v1, s13
	v_add_co_u32_e32 v20, vcc, s12, v18
	v_ashrrev_i32_e32 v11, 31, v10
	v_addc_co_u32_e32 v21, vcc, v19, v1, vcc
	v_lshlrev_b64 v[6:7], 4, v[10:11]
	v_add_u32_e32 v10, s19, v10
	v_mov_b32_e32 v1, s7
	v_add_co_u32_e32 v22, vcc, s6, v6
	v_ashrrev_i32_e32 v11, 31, v10
	v_addc_co_u32_e32 v23, vcc, v1, v7, vcc
	v_lshlrev_b64 v[24:25], 4, v[10:11]
	v_add_u32_e32 v10, s19, v10
	v_add_co_u32_e32 v24, vcc, s6, v24
	v_ashrrev_i32_e32 v11, 31, v10
	v_addc_co_u32_e32 v25, vcc, v1, v25, vcc
	v_lshlrev_b64 v[26:27], 4, v[10:11]
	v_add_u32_e32 v10, s19, v10
	;; [unrolled: 5-line block ×11, first 2 shown]
	v_add_co_u32_e32 v44, vcc, s6, v44
	v_ashrrev_i32_e32 v11, 31, v10
	v_addc_co_u32_e32 v45, vcc, v1, v45, vcc
	v_lshlrev_b64 v[10:11], 4, v[10:11]
	global_load_dwordx4 v[2:5], v12, s[6:7]
	global_load_dwordx4 v[6:9], v[20:21], off
	global_load_dwordx4 v[14:17], v[22:23], off
	;; [unrolled: 1-line block ×8, first 2 shown]
	v_add_co_u32_e32 v46, vcc, s6, v10
	v_addc_co_u32_e32 v47, vcc, v1, v11, vcc
	global_load_dwordx4 v[76:79], v[36:37], off
	global_load_dwordx4 v[80:83], v[38:39], off
	;; [unrolled: 1-line block ×6, first 2 shown]
	s_waitcnt vmcnt(14)
	buffer_store_dword v5, off, s[0:3], 0 offset:12
	buffer_store_dword v4, off, s[0:3], 0 offset:8
	;; [unrolled: 1-line block ×3, first 2 shown]
	buffer_store_dword v2, off, s[0:3], 0
	s_waitcnt vmcnt(17)
	buffer_store_dword v9, off, s[0:3], 0 offset:28
	buffer_store_dword v8, off, s[0:3], 0 offset:24
	buffer_store_dword v7, off, s[0:3], 0 offset:20
	buffer_store_dword v6, off, s[0:3], 0 offset:16
	s_waitcnt vmcnt(20)
	buffer_store_dword v17, off, s[0:3], 0 offset:44
	buffer_store_dword v16, off, s[0:3], 0 offset:40
	buffer_store_dword v15, off, s[0:3], 0 offset:36
	buffer_store_dword v14, off, s[0:3], 0 offset:32
	;; [unrolled: 5-line block ×8, first 2 shown]
	v_mov_b32_e32 v2, 0
	v_add_u32_e32 v65, 16, v2
	v_add_u32_e32 v64, 32, v2
	;; [unrolled: 1-line block ×14, first 2 shown]
	s_bitcmp0_b32 s8, 0
	s_mov_b64 s[8:9], -1
	s_waitcnt vmcnt(41)
	buffer_store_dword v76, off, s[0:3], 0 offset:144
	buffer_store_dword v77, off, s[0:3], 0 offset:148
	buffer_store_dword v78, off, s[0:3], 0 offset:152
	buffer_store_dword v79, off, s[0:3], 0 offset:156
	s_waitcnt vmcnt(44)
	buffer_store_dword v80, off, s[0:3], 0 offset:160
	buffer_store_dword v81, off, s[0:3], 0 offset:164
	buffer_store_dword v82, off, s[0:3], 0 offset:168
	buffer_store_dword v83, off, s[0:3], 0 offset:172
	;; [unrolled: 5-line block ×6, first 2 shown]
	s_cbranch_scc1 .LBB14_72
; %bb.4:
	v_cmp_eq_u32_e64 s[6:7], 0, v67
	s_and_saveexec_b64 s[8:9], s[6:7]
	s_cbranch_execz .LBB14_6
; %bb.5:
	v_mov_b32_e32 v2, 0
	ds_write_b32 v2, v2 offset:480
.LBB14_6:
	s_or_b64 exec, exec, s[8:9]
	v_mov_b32_e32 v2, 0
	v_lshl_add_u32 v13, v67, 4, v2
	s_waitcnt lgkmcnt(0)
	; wave barrier
	s_waitcnt lgkmcnt(0)
	buffer_load_dword v2, v13, s[0:3], 0 offen
	buffer_load_dword v3, v13, s[0:3], 0 offen offset:4
	buffer_load_dword v4, v13, s[0:3], 0 offen offset:8
	;; [unrolled: 1-line block ×3, first 2 shown]
	s_waitcnt vmcnt(2)
	v_cmp_eq_f64_e32 vcc, 0, v[2:3]
	s_waitcnt vmcnt(0)
	v_cmp_eq_f64_e64 s[8:9], 0, v[4:5]
	s_and_b64 s[8:9], vcc, s[8:9]
	s_and_saveexec_b64 s[12:13], s[8:9]
	s_cbranch_execz .LBB14_10
; %bb.7:
	v_mov_b32_e32 v2, 0
	ds_read_b32 v4, v2 offset:480
	v_add_u32_e32 v3, 1, v67
	s_waitcnt lgkmcnt(0)
	v_readfirstlane_b32 s8, v4
	s_cmp_eq_u32 s8, 0
	s_cselect_b64 s[16:17], -1, 0
	v_cmp_gt_i32_e32 vcc, s8, v3
	s_or_b64 s[16:17], s[16:17], vcc
	s_and_b64 exec, exec, s[16:17]
	s_cbranch_execz .LBB14_10
; %bb.8:
	s_mov_b64 s[16:17], 0
	v_mov_b32_e32 v4, s8
.LBB14_9:                               ; =>This Inner Loop Header: Depth=1
	ds_cmpst_rtn_b32 v4, v2, v4, v3 offset:480
	s_waitcnt lgkmcnt(0)
	v_cmp_ne_u32_e32 vcc, 0, v4
	v_cmp_le_i32_e64 s[8:9], v4, v3
	s_and_b64 s[8:9], vcc, s[8:9]
	s_and_b64 s[8:9], exec, s[8:9]
	s_or_b64 s[16:17], s[8:9], s[16:17]
	s_andn2_b64 exec, exec, s[16:17]
	s_cbranch_execnz .LBB14_9
.LBB14_10:
	s_or_b64 exec, exec, s[12:13]
	v_mov_b32_e32 v3, 0
	s_waitcnt lgkmcnt(0)
	; wave barrier
	ds_read_b32 v2, v3 offset:480
	s_and_saveexec_b64 s[8:9], s[6:7]
	s_cbranch_execz .LBB14_12
; %bb.11:
	s_lshl_b64 s[12:13], s[10:11], 2
	s_add_u32 s12, s14, s12
	s_addc_u32 s13, s15, s13
	s_waitcnt lgkmcnt(0)
	global_store_dword v3, v2, s[12:13]
.LBB14_12:
	s_or_b64 exec, exec, s[8:9]
	s_waitcnt lgkmcnt(0)
	v_cmp_ne_u32_e32 vcc, 0, v2
	s_mov_b64 s[8:9], 0
	s_cbranch_vccnz .LBB14_72
; %bb.13:
	buffer_load_dword v7, v13, s[0:3], 0 offen offset:4
	buffer_load_dword v6, v13, s[0:3], 0 offen
	buffer_load_dword v9, v13, s[0:3], 0 offen offset:12
	buffer_load_dword v8, v13, s[0:3], 0 offen offset:8
                                        ; implicit-def: $vgpr10_vgpr11
	s_waitcnt vmcnt(3)
	v_xor_b32_e32 v3, 0x80000000, v7
	s_waitcnt vmcnt(2)
	v_cmp_gt_f64_e32 vcc, 0, v[6:7]
	s_waitcnt vmcnt(1)
	v_xor_b32_e32 v4, 0x80000000, v9
	v_cndmask_b32_e32 v3, v7, v3, vcc
	s_waitcnt vmcnt(0)
	v_cmp_gt_f64_e32 vcc, 0, v[8:9]
	v_mov_b32_e32 v2, v6
	v_cndmask_b32_e32 v5, v9, v4, vcc
	v_mov_b32_e32 v4, v8
	v_cmp_ngt_f64_e32 vcc, v[2:3], v[4:5]
                                        ; implicit-def: $vgpr4_vgpr5
	s_and_saveexec_b64 s[8:9], vcc
	s_xor_b64 s[8:9], exec, s[8:9]
	s_cbranch_execz .LBB14_15
; %bb.14:
	v_div_scale_f64 v[2:3], s[12:13], v[8:9], v[8:9], v[6:7]
	v_rcp_f64_e32 v[4:5], v[2:3]
	v_div_scale_f64 v[10:11], vcc, v[6:7], v[8:9], v[6:7]
	v_fma_f64 v[14:15], -v[2:3], v[4:5], 1.0
	v_fmac_f64_e32 v[4:5], v[4:5], v[14:15]
	v_fma_f64 v[14:15], -v[2:3], v[4:5], 1.0
	v_fmac_f64_e32 v[4:5], v[4:5], v[14:15]
	v_mul_f64 v[14:15], v[10:11], v[4:5]
	v_fma_f64 v[2:3], -v[2:3], v[14:15], v[10:11]
	v_div_fmas_f64 v[2:3], v[2:3], v[4:5], v[14:15]
	v_div_fixup_f64 v[2:3], v[2:3], v[8:9], v[6:7]
	v_fmac_f64_e32 v[8:9], v[6:7], v[2:3]
	v_div_scale_f64 v[4:5], s[12:13], v[8:9], v[8:9], 1.0
	v_rcp_f64_e32 v[6:7], v[4:5]
	v_fma_f64 v[10:11], -v[4:5], v[6:7], 1.0
	v_fmac_f64_e32 v[6:7], v[6:7], v[10:11]
	v_fma_f64 v[10:11], -v[4:5], v[6:7], 1.0
	v_fmac_f64_e32 v[6:7], v[6:7], v[10:11]
	v_div_scale_f64 v[10:11], vcc, 1.0, v[8:9], 1.0
	v_mul_f64 v[14:15], v[10:11], v[6:7]
	v_fma_f64 v[4:5], -v[4:5], v[14:15], v[10:11]
	s_nop 1
	v_div_fmas_f64 v[4:5], v[4:5], v[6:7], v[14:15]
	v_div_fixup_f64 v[4:5], v[4:5], v[8:9], 1.0
	v_mul_f64 v[10:11], v[2:3], v[4:5]
	v_xor_b32_e32 v5, 0x80000000, v5
	v_xor_b32_e32 v3, 0x80000000, v11
	v_mov_b32_e32 v2, v10
                                        ; implicit-def: $vgpr6_vgpr7
                                        ; implicit-def: $vgpr8_vgpr9
.LBB14_15:
	s_andn2_saveexec_b64 s[8:9], s[8:9]
	s_cbranch_execz .LBB14_17
; %bb.16:
	v_div_scale_f64 v[2:3], s[12:13], v[6:7], v[6:7], v[8:9]
	v_rcp_f64_e32 v[4:5], v[2:3]
	v_div_scale_f64 v[10:11], vcc, v[8:9], v[6:7], v[8:9]
	v_fma_f64 v[14:15], -v[2:3], v[4:5], 1.0
	v_fmac_f64_e32 v[4:5], v[4:5], v[14:15]
	v_fma_f64 v[14:15], -v[2:3], v[4:5], 1.0
	v_fmac_f64_e32 v[4:5], v[4:5], v[14:15]
	v_mul_f64 v[14:15], v[10:11], v[4:5]
	v_fma_f64 v[2:3], -v[2:3], v[14:15], v[10:11]
	v_div_fmas_f64 v[2:3], v[2:3], v[4:5], v[14:15]
	v_div_fixup_f64 v[4:5], v[2:3], v[6:7], v[8:9]
	v_fmac_f64_e32 v[6:7], v[8:9], v[4:5]
	v_div_scale_f64 v[2:3], s[12:13], v[6:7], v[6:7], 1.0
	v_rcp_f64_e32 v[8:9], v[2:3]
	v_fma_f64 v[10:11], -v[2:3], v[8:9], 1.0
	v_fmac_f64_e32 v[8:9], v[8:9], v[10:11]
	v_fma_f64 v[10:11], -v[2:3], v[8:9], 1.0
	v_fmac_f64_e32 v[8:9], v[8:9], v[10:11]
	v_div_scale_f64 v[10:11], vcc, 1.0, v[6:7], 1.0
	v_mul_f64 v[14:15], v[10:11], v[8:9]
	v_fma_f64 v[2:3], -v[2:3], v[14:15], v[10:11]
	s_nop 1
	v_div_fmas_f64 v[2:3], v[2:3], v[8:9], v[14:15]
	v_div_fixup_f64 v[10:11], v[2:3], v[6:7], 1.0
	v_xor_b32_e32 v3, 0x80000000, v11
	v_mov_b32_e32 v2, v10
	v_mul_f64 v[4:5], v[4:5], -v[10:11]
.LBB14_17:
	s_or_b64 exec, exec, s[8:9]
	buffer_store_dword v11, v13, s[0:3], 0 offen offset:4
	buffer_store_dword v10, v13, s[0:3], 0 offen
	buffer_store_dword v5, v13, s[0:3], 0 offen offset:12
	buffer_store_dword v4, v13, s[0:3], 0 offen offset:8
	buffer_load_dword v11, v65, s[0:3], 0 offen offset:12
	s_nop 0
	buffer_load_dword v10, v65, s[0:3], 0 offen offset:8
	buffer_load_dword v9, v65, s[0:3], 0 offen offset:4
	buffer_load_dword v8, v65, s[0:3], 0 offen
	v_xor_b32_e32 v5, 0x80000000, v5
	v_add_u32_e32 v6, 0xf0, v12
	ds_write_b128 v12, v[2:5]
	s_waitcnt vmcnt(0)
	ds_write_b128 v12, v[8:11] offset:240
	s_waitcnt lgkmcnt(0)
	; wave barrier
	s_waitcnt lgkmcnt(0)
	s_and_saveexec_b64 s[8:9], s[6:7]
	s_cbranch_execz .LBB14_19
; %bb.18:
	buffer_load_dword v14, v13, s[0:3], 0 offen offset:8
	buffer_load_dword v15, v13, s[0:3], 0 offen offset:12
	buffer_load_dword v16, v13, s[0:3], 0 offen
	buffer_load_dword v17, v13, s[0:3], 0 offen offset:4
	ds_read_b128 v[2:5], v6
	v_mov_b32_e32 v7, 0
	ds_read_b128 v[8:11], v7 offset:16
	s_waitcnt vmcnt(2) lgkmcnt(1)
	v_mul_f64 v[48:49], v[4:5], v[14:15]
	v_mul_f64 v[14:15], v[2:3], v[14:15]
	s_waitcnt vmcnt(0)
	v_fmac_f64_e32 v[14:15], v[4:5], v[16:17]
	v_fma_f64 v[2:3], v[2:3], v[16:17], -v[48:49]
	v_add_f64 v[4:5], v[14:15], 0
	v_add_f64 v[2:3], v[2:3], 0
	s_waitcnt lgkmcnt(0)
	v_mul_f64 v[14:15], v[4:5], v[10:11]
	v_mul_f64 v[10:11], v[2:3], v[10:11]
	v_fma_f64 v[2:3], v[2:3], v[8:9], -v[14:15]
	v_fmac_f64_e32 v[10:11], v[4:5], v[8:9]
	buffer_store_dword v2, off, s[0:3], 0 offset:16
	buffer_store_dword v3, off, s[0:3], 0 offset:20
	;; [unrolled: 1-line block ×4, first 2 shown]
.LBB14_19:
	s_or_b64 exec, exec, s[8:9]
	s_waitcnt lgkmcnt(0)
	; wave barrier
	buffer_load_dword v2, v64, s[0:3], 0 offen
	buffer_load_dword v3, v64, s[0:3], 0 offen offset:4
	buffer_load_dword v4, v64, s[0:3], 0 offen offset:8
	;; [unrolled: 1-line block ×3, first 2 shown]
	v_cmp_gt_u32_e32 vcc, 2, v67
	s_waitcnt vmcnt(0)
	ds_write_b128 v6, v[2:5]
	s_waitcnt lgkmcnt(0)
	; wave barrier
	s_waitcnt lgkmcnt(0)
	s_and_saveexec_b64 s[8:9], vcc
	s_cbranch_execz .LBB14_23
; %bb.20:
	buffer_load_dword v8, v13, s[0:3], 0 offen offset:8
	buffer_load_dword v9, v13, s[0:3], 0 offen offset:12
	buffer_load_dword v10, v13, s[0:3], 0 offen
	buffer_load_dword v11, v13, s[0:3], 0 offen offset:4
	ds_read_b128 v[2:5], v6
	s_waitcnt vmcnt(2) lgkmcnt(0)
	v_mul_f64 v[14:15], v[4:5], v[8:9]
	v_mul_f64 v[8:9], v[2:3], v[8:9]
	s_waitcnt vmcnt(0)
	v_fma_f64 v[2:3], v[2:3], v[10:11], -v[14:15]
	v_fmac_f64_e32 v[8:9], v[4:5], v[10:11]
	v_add_f64 v[4:5], v[2:3], 0
	v_add_f64 v[2:3], v[8:9], 0
	s_and_saveexec_b64 s[12:13], s[6:7]
	s_cbranch_execz .LBB14_22
; %bb.21:
	buffer_load_dword v14, off, s[0:3], 0 offset:24
	buffer_load_dword v15, off, s[0:3], 0 offset:28
	;; [unrolled: 1-line block ×4, first 2 shown]
	v_mov_b32_e32 v7, 0
	ds_read_b128 v[8:11], v7 offset:256
	s_waitcnt vmcnt(2) lgkmcnt(0)
	v_mul_f64 v[48:49], v[8:9], v[14:15]
	v_mul_f64 v[14:15], v[10:11], v[14:15]
	s_waitcnt vmcnt(0)
	v_fmac_f64_e32 v[48:49], v[10:11], v[16:17]
	v_fma_f64 v[8:9], v[8:9], v[16:17], -v[14:15]
	v_add_f64 v[2:3], v[2:3], v[48:49]
	v_add_f64 v[4:5], v[4:5], v[8:9]
.LBB14_22:
	s_or_b64 exec, exec, s[12:13]
	v_mov_b32_e32 v7, 0
	ds_read_b128 v[8:11], v7 offset:32
	s_waitcnt lgkmcnt(0)
	v_mul_f64 v[14:15], v[2:3], v[10:11]
	v_mul_f64 v[10:11], v[4:5], v[10:11]
	v_fma_f64 v[4:5], v[4:5], v[8:9], -v[14:15]
	v_fmac_f64_e32 v[10:11], v[2:3], v[8:9]
	buffer_store_dword v5, off, s[0:3], 0 offset:36
	buffer_store_dword v4, off, s[0:3], 0 offset:32
	;; [unrolled: 1-line block ×4, first 2 shown]
.LBB14_23:
	s_or_b64 exec, exec, s[8:9]
	s_waitcnt lgkmcnt(0)
	; wave barrier
	buffer_load_dword v2, v66, s[0:3], 0 offen
	buffer_load_dword v3, v66, s[0:3], 0 offen offset:4
	buffer_load_dword v4, v66, s[0:3], 0 offen offset:8
	;; [unrolled: 1-line block ×3, first 2 shown]
	v_cmp_gt_u32_e32 vcc, 3, v67
	v_add_u32_e32 v7, -1, v67
	s_waitcnt vmcnt(0)
	ds_write_b128 v6, v[2:5]
	s_waitcnt lgkmcnt(0)
	; wave barrier
	s_waitcnt lgkmcnt(0)
	s_and_saveexec_b64 s[6:7], vcc
	s_cbranch_execz .LBB14_27
; %bb.24:
	v_pk_mov_b32 v[2:3], 0, 0
	v_add_u32_e32 v8, -1, v67
	v_add_u32_e32 v9, 0xf0, v12
	v_add_u32_e32 v10, 0, v12
	s_mov_b64 s[8:9], 0
	v_pk_mov_b32 v[4:5], v[2:3], v[2:3] op_sel:[0,1]
.LBB14_25:                              ; =>This Inner Loop Header: Depth=1
	buffer_load_dword v48, v10, s[0:3], 0 offen offset:8
	buffer_load_dword v49, v10, s[0:3], 0 offen offset:12
	buffer_load_dword v50, v10, s[0:3], 0 offen
	buffer_load_dword v51, v10, s[0:3], 0 offen offset:4
	ds_read_b128 v[14:17], v9
	v_add_u32_e32 v8, 1, v8
	v_cmp_lt_u32_e32 vcc, 1, v8
	v_add_u32_e32 v9, 16, v9
	v_add_u32_e32 v10, 16, v10
	s_or_b64 s[8:9], vcc, s[8:9]
	s_waitcnt vmcnt(2) lgkmcnt(0)
	v_mul_f64 v[52:53], v[16:17], v[48:49]
	v_mul_f64 v[48:49], v[14:15], v[48:49]
	s_waitcnt vmcnt(0)
	v_fma_f64 v[14:15], v[14:15], v[50:51], -v[52:53]
	v_fmac_f64_e32 v[48:49], v[16:17], v[50:51]
	v_add_f64 v[4:5], v[4:5], v[14:15]
	v_add_f64 v[2:3], v[2:3], v[48:49]
	s_andn2_b64 exec, exec, s[8:9]
	s_cbranch_execnz .LBB14_25
; %bb.26:
	s_or_b64 exec, exec, s[8:9]
	v_mov_b32_e32 v8, 0
	ds_read_b128 v[8:11], v8 offset:48
	s_waitcnt lgkmcnt(0)
	v_mul_f64 v[14:15], v[2:3], v[10:11]
	v_mul_f64 v[10:11], v[4:5], v[10:11]
	v_fma_f64 v[4:5], v[4:5], v[8:9], -v[14:15]
	v_fmac_f64_e32 v[10:11], v[2:3], v[8:9]
	buffer_store_dword v5, off, s[0:3], 0 offset:52
	buffer_store_dword v4, off, s[0:3], 0 offset:48
	buffer_store_dword v11, off, s[0:3], 0 offset:60
	buffer_store_dword v10, off, s[0:3], 0 offset:56
.LBB14_27:
	s_or_b64 exec, exec, s[6:7]
	s_waitcnt lgkmcnt(0)
	; wave barrier
	buffer_load_dword v2, v62, s[0:3], 0 offen
	buffer_load_dword v3, v62, s[0:3], 0 offen offset:4
	buffer_load_dword v4, v62, s[0:3], 0 offen offset:8
	buffer_load_dword v5, v62, s[0:3], 0 offen offset:12
	v_cmp_gt_u32_e32 vcc, 4, v67
	s_waitcnt vmcnt(0)
	ds_write_b128 v6, v[2:5]
	s_waitcnt lgkmcnt(0)
	; wave barrier
	s_waitcnt lgkmcnt(0)
	s_and_saveexec_b64 s[6:7], vcc
	s_cbranch_execz .LBB14_31
; %bb.28:
	v_pk_mov_b32 v[2:3], 0, 0
	v_add_u32_e32 v8, -1, v67
	v_add_u32_e32 v9, 0xf0, v12
	v_add_u32_e32 v10, 0, v12
	s_mov_b64 s[8:9], 0
	v_pk_mov_b32 v[4:5], v[2:3], v[2:3] op_sel:[0,1]
.LBB14_29:                              ; =>This Inner Loop Header: Depth=1
	buffer_load_dword v48, v10, s[0:3], 0 offen offset:8
	buffer_load_dword v49, v10, s[0:3], 0 offen offset:12
	buffer_load_dword v50, v10, s[0:3], 0 offen
	buffer_load_dword v51, v10, s[0:3], 0 offen offset:4
	ds_read_b128 v[14:17], v9
	v_add_u32_e32 v8, 1, v8
	v_cmp_lt_u32_e32 vcc, 2, v8
	v_add_u32_e32 v9, 16, v9
	v_add_u32_e32 v10, 16, v10
	s_or_b64 s[8:9], vcc, s[8:9]
	s_waitcnt vmcnt(2) lgkmcnt(0)
	v_mul_f64 v[52:53], v[16:17], v[48:49]
	v_mul_f64 v[48:49], v[14:15], v[48:49]
	s_waitcnt vmcnt(0)
	v_fma_f64 v[14:15], v[14:15], v[50:51], -v[52:53]
	v_fmac_f64_e32 v[48:49], v[16:17], v[50:51]
	v_add_f64 v[4:5], v[4:5], v[14:15]
	v_add_f64 v[2:3], v[2:3], v[48:49]
	s_andn2_b64 exec, exec, s[8:9]
	s_cbranch_execnz .LBB14_29
; %bb.30:
	s_or_b64 exec, exec, s[8:9]
	v_mov_b32_e32 v8, 0
	ds_read_b128 v[8:11], v8 offset:64
	s_waitcnt lgkmcnt(0)
	v_mul_f64 v[14:15], v[2:3], v[10:11]
	v_mul_f64 v[10:11], v[4:5], v[10:11]
	v_fma_f64 v[4:5], v[4:5], v[8:9], -v[14:15]
	v_fmac_f64_e32 v[10:11], v[2:3], v[8:9]
	buffer_store_dword v5, off, s[0:3], 0 offset:68
	buffer_store_dword v4, off, s[0:3], 0 offset:64
	buffer_store_dword v11, off, s[0:3], 0 offset:76
	buffer_store_dword v10, off, s[0:3], 0 offset:72
.LBB14_31:
	s_or_b64 exec, exec, s[6:7]
	s_waitcnt lgkmcnt(0)
	; wave barrier
	buffer_load_dword v2, v60, s[0:3], 0 offen
	buffer_load_dword v3, v60, s[0:3], 0 offen offset:4
	buffer_load_dword v4, v60, s[0:3], 0 offen offset:8
	buffer_load_dword v5, v60, s[0:3], 0 offen offset:12
	v_cmp_gt_u32_e32 vcc, 5, v67
	;; [unrolled: 57-line block ×10, first 2 shown]
	s_waitcnt vmcnt(0)
	ds_write_b128 v6, v[2:5]
	s_waitcnt lgkmcnt(0)
	; wave barrier
	s_waitcnt lgkmcnt(0)
	s_and_saveexec_b64 s[6:7], vcc
	s_cbranch_execz .LBB14_67
; %bb.64:
	v_pk_mov_b32 v[2:3], 0, 0
	v_add_u32_e32 v8, -1, v67
	v_add_u32_e32 v9, 0xf0, v12
	v_add_u32_e32 v10, 0, v12
	s_mov_b64 s[8:9], 0
	v_pk_mov_b32 v[4:5], v[2:3], v[2:3] op_sel:[0,1]
.LBB14_65:                              ; =>This Inner Loop Header: Depth=1
	buffer_load_dword v48, v10, s[0:3], 0 offen offset:8
	buffer_load_dword v49, v10, s[0:3], 0 offen offset:12
	buffer_load_dword v50, v10, s[0:3], 0 offen
	buffer_load_dword v51, v10, s[0:3], 0 offen offset:4
	ds_read_b128 v[14:17], v9
	v_add_u32_e32 v8, 1, v8
	v_cmp_lt_u32_e32 vcc, 11, v8
	v_add_u32_e32 v9, 16, v9
	v_add_u32_e32 v10, 16, v10
	s_or_b64 s[8:9], vcc, s[8:9]
	s_waitcnt vmcnt(2) lgkmcnt(0)
	v_mul_f64 v[52:53], v[16:17], v[48:49]
	v_mul_f64 v[48:49], v[14:15], v[48:49]
	s_waitcnt vmcnt(0)
	v_fma_f64 v[14:15], v[14:15], v[50:51], -v[52:53]
	v_fmac_f64_e32 v[48:49], v[16:17], v[50:51]
	v_add_f64 v[4:5], v[4:5], v[14:15]
	v_add_f64 v[2:3], v[2:3], v[48:49]
	s_andn2_b64 exec, exec, s[8:9]
	s_cbranch_execnz .LBB14_65
; %bb.66:
	s_or_b64 exec, exec, s[8:9]
	v_mov_b32_e32 v8, 0
	ds_read_b128 v[8:11], v8 offset:208
	s_waitcnt lgkmcnt(0)
	v_mul_f64 v[14:15], v[2:3], v[10:11]
	v_mul_f64 v[10:11], v[4:5], v[10:11]
	v_fma_f64 v[4:5], v[4:5], v[8:9], -v[14:15]
	v_fmac_f64_e32 v[10:11], v[2:3], v[8:9]
	buffer_store_dword v5, off, s[0:3], 0 offset:212
	buffer_store_dword v4, off, s[0:3], 0 offset:208
	;; [unrolled: 1-line block ×4, first 2 shown]
.LBB14_67:
	s_or_b64 exec, exec, s[6:7]
	s_waitcnt lgkmcnt(0)
	; wave barrier
	buffer_load_dword v2, v55, s[0:3], 0 offen
	buffer_load_dword v3, v55, s[0:3], 0 offen offset:4
	buffer_load_dword v4, v55, s[0:3], 0 offen offset:8
	;; [unrolled: 1-line block ×3, first 2 shown]
	v_cmp_ne_u32_e32 vcc, 14, v67
	s_waitcnt vmcnt(0)
	ds_write_b128 v6, v[2:5]
	s_waitcnt lgkmcnt(0)
	; wave barrier
	s_waitcnt lgkmcnt(0)
	s_and_saveexec_b64 s[6:7], vcc
	s_cbranch_execz .LBB14_71
; %bb.68:
	v_pk_mov_b32 v[2:3], 0, 0
	v_add_u32_e32 v6, 0xf0, v12
	v_add_u32_e32 v8, 0, v12
	s_mov_b64 s[8:9], 0
	v_pk_mov_b32 v[4:5], v[2:3], v[2:3] op_sel:[0,1]
.LBB14_69:                              ; =>This Inner Loop Header: Depth=1
	buffer_load_dword v14, v8, s[0:3], 0 offen offset:8
	buffer_load_dword v15, v8, s[0:3], 0 offen offset:12
	buffer_load_dword v16, v8, s[0:3], 0 offen
	buffer_load_dword v17, v8, s[0:3], 0 offen offset:4
	ds_read_b128 v[10:13], v6
	v_add_u32_e32 v7, 1, v7
	v_cmp_lt_u32_e32 vcc, 12, v7
	v_add_u32_e32 v6, 16, v6
	v_add_u32_e32 v8, 16, v8
	s_or_b64 s[8:9], vcc, s[8:9]
	s_waitcnt vmcnt(2) lgkmcnt(0)
	v_mul_f64 v[48:49], v[12:13], v[14:15]
	v_mul_f64 v[14:15], v[10:11], v[14:15]
	s_waitcnt vmcnt(0)
	v_fma_f64 v[10:11], v[10:11], v[16:17], -v[48:49]
	v_fmac_f64_e32 v[14:15], v[12:13], v[16:17]
	v_add_f64 v[4:5], v[4:5], v[10:11]
	v_add_f64 v[2:3], v[2:3], v[14:15]
	s_andn2_b64 exec, exec, s[8:9]
	s_cbranch_execnz .LBB14_69
; %bb.70:
	s_or_b64 exec, exec, s[8:9]
	v_mov_b32_e32 v6, 0
	ds_read_b128 v[6:9], v6 offset:224
	s_waitcnt lgkmcnt(0)
	v_mul_f64 v[10:11], v[2:3], v[8:9]
	v_mul_f64 v[8:9], v[4:5], v[8:9]
	v_fma_f64 v[4:5], v[4:5], v[6:7], -v[10:11]
	v_fmac_f64_e32 v[8:9], v[2:3], v[6:7]
	buffer_store_dword v5, off, s[0:3], 0 offset:228
	buffer_store_dword v4, off, s[0:3], 0 offset:224
	;; [unrolled: 1-line block ×4, first 2 shown]
.LBB14_71:
	s_or_b64 exec, exec, s[6:7]
	s_mov_b64 s[8:9], -1
	s_waitcnt lgkmcnt(0)
	; wave barrier
.LBB14_72:
	s_and_b64 vcc, exec, s[8:9]
	s_cbranch_vccz .LBB14_74
; %bb.73:
	s_lshl_b64 s[6:7], s[10:11], 2
	s_add_u32 s6, s14, s6
	s_addc_u32 s7, s15, s7
	v_mov_b32_e32 v2, 0
	global_load_dword v2, v2, s[6:7]
	s_waitcnt vmcnt(0)
	v_cmp_ne_u32_e32 vcc, 0, v2
	s_cbranch_vccz .LBB14_75
.LBB14_74:
	s_endpgm
.LBB14_75:
	v_mov_b32_e32 v2, 0xf0
	v_lshl_add_u32 v68, v67, 4, v2
	v_cmp_eq_u32_e32 vcc, 14, v67
	s_and_saveexec_b64 s[6:7], vcc
	s_cbranch_execz .LBB14_77
; %bb.76:
	buffer_load_dword v2, v54, s[0:3], 0 offen
	buffer_load_dword v3, v54, s[0:3], 0 offen offset:4
	buffer_load_dword v4, v54, s[0:3], 0 offen offset:8
	;; [unrolled: 1-line block ×3, first 2 shown]
	v_mov_b32_e32 v6, 0
	buffer_store_dword v6, off, s[0:3], 0 offset:208
	buffer_store_dword v6, off, s[0:3], 0 offset:212
	;; [unrolled: 1-line block ×4, first 2 shown]
	s_waitcnt vmcnt(4)
	ds_write_b128 v68, v[2:5]
.LBB14_77:
	s_or_b64 exec, exec, s[6:7]
	s_waitcnt lgkmcnt(0)
	; wave barrier
	s_waitcnt lgkmcnt(0)
	buffer_load_dword v8, off, s[0:3], 0 offset:232
	buffer_load_dword v9, off, s[0:3], 0 offset:236
	buffer_load_dword v10, off, s[0:3], 0 offset:224
	buffer_load_dword v11, off, s[0:3], 0 offset:228
	buffer_load_dword v12, off, s[0:3], 0 offset:208
	buffer_load_dword v13, off, s[0:3], 0 offset:212
	buffer_load_dword v14, off, s[0:3], 0 offset:216
	buffer_load_dword v15, off, s[0:3], 0 offset:220
	v_mov_b32_e32 v2, 0
	ds_read_b128 v[4:7], v2 offset:464
	v_cmp_lt_u32_e32 vcc, 12, v67
	s_waitcnt vmcnt(6) lgkmcnt(0)
	v_mul_f64 v[16:17], v[4:5], v[8:9]
	v_mul_f64 v[8:9], v[6:7], v[8:9]
	s_waitcnt vmcnt(4)
	v_fma_f64 v[4:5], v[4:5], v[10:11], -v[8:9]
	v_fmac_f64_e32 v[16:17], v[6:7], v[10:11]
	v_add_f64 v[4:5], v[4:5], 0
	v_add_f64 v[6:7], v[16:17], 0
	s_waitcnt vmcnt(2)
	v_add_f64 v[4:5], v[12:13], -v[4:5]
	s_waitcnt vmcnt(0)
	v_add_f64 v[6:7], v[14:15], -v[6:7]
	buffer_store_dword v4, off, s[0:3], 0 offset:208
	buffer_store_dword v5, off, s[0:3], 0 offset:212
	;; [unrolled: 1-line block ×4, first 2 shown]
	s_and_saveexec_b64 s[6:7], vcc
	s_cbranch_execz .LBB14_79
; %bb.78:
	buffer_load_dword v4, v1, s[0:3], 0 offen
	buffer_load_dword v5, v1, s[0:3], 0 offen offset:4
	buffer_load_dword v6, v1, s[0:3], 0 offen offset:8
	;; [unrolled: 1-line block ×3, first 2 shown]
	s_nop 0
	buffer_store_dword v2, off, s[0:3], 0 offset:192
	buffer_store_dword v2, off, s[0:3], 0 offset:196
	buffer_store_dword v2, off, s[0:3], 0 offset:200
	buffer_store_dword v2, off, s[0:3], 0 offset:204
	s_waitcnt vmcnt(4)
	ds_write_b128 v68, v[4:7]
.LBB14_79:
	s_or_b64 exec, exec, s[6:7]
	s_waitcnt lgkmcnt(0)
	; wave barrier
	s_waitcnt lgkmcnt(0)
	buffer_load_dword v12, off, s[0:3], 0 offset:216
	buffer_load_dword v13, off, s[0:3], 0 offset:220
	;; [unrolled: 1-line block ×12, first 2 shown]
	ds_read_b128 v[4:7], v2 offset:448
	ds_read_b128 v[8:11], v2 offset:464
	v_cmp_lt_u32_e32 vcc, 11, v67
	s_waitcnt vmcnt(10) lgkmcnt(1)
	v_mul_f64 v[2:3], v[4:5], v[12:13]
	v_mul_f64 v[12:13], v[6:7], v[12:13]
	s_waitcnt vmcnt(8) lgkmcnt(0)
	v_mul_f64 v[70:71], v[8:9], v[14:15]
	v_mul_f64 v[14:15], v[10:11], v[14:15]
	s_waitcnt vmcnt(6)
	v_fma_f64 v[4:5], v[4:5], v[16:17], -v[12:13]
	v_fmac_f64_e32 v[2:3], v[6:7], v[16:17]
	s_waitcnt vmcnt(4)
	v_fma_f64 v[6:7], v[8:9], v[48:49], -v[14:15]
	v_add_f64 v[4:5], v[4:5], 0
	v_fmac_f64_e32 v[70:71], v[10:11], v[48:49]
	v_add_f64 v[2:3], v[2:3], 0
	v_add_f64 v[4:5], v[4:5], v[6:7]
	;; [unrolled: 1-line block ×3, first 2 shown]
	s_waitcnt vmcnt(2)
	v_add_f64 v[4:5], v[50:51], -v[4:5]
	s_waitcnt vmcnt(0)
	v_add_f64 v[2:3], v[52:53], -v[2:3]
	buffer_store_dword v4, off, s[0:3], 0 offset:192
	buffer_store_dword v5, off, s[0:3], 0 offset:196
	;; [unrolled: 1-line block ×4, first 2 shown]
	s_and_saveexec_b64 s[6:7], vcc
	s_cbranch_execz .LBB14_81
; %bb.80:
	buffer_load_dword v2, v59, s[0:3], 0 offen
	buffer_load_dword v3, v59, s[0:3], 0 offen offset:4
	buffer_load_dword v4, v59, s[0:3], 0 offen offset:8
	;; [unrolled: 1-line block ×3, first 2 shown]
	v_mov_b32_e32 v6, 0
	buffer_store_dword v6, off, s[0:3], 0 offset:176
	buffer_store_dword v6, off, s[0:3], 0 offset:180
	;; [unrolled: 1-line block ×4, first 2 shown]
	s_waitcnt vmcnt(4)
	ds_write_b128 v68, v[2:5]
.LBB14_81:
	s_or_b64 exec, exec, s[6:7]
	s_waitcnt lgkmcnt(0)
	; wave barrier
	s_waitcnt lgkmcnt(0)
	buffer_load_dword v16, off, s[0:3], 0 offset:200
	buffer_load_dword v17, off, s[0:3], 0 offset:204
	;; [unrolled: 1-line block ×16, first 2 shown]
	v_mov_b32_e32 v2, 0
	ds_read_b128 v[4:7], v2 offset:432
	ds_read_b128 v[8:11], v2 offset:448
	ds_read_b128 v[12:15], v2 offset:464
	v_cmp_lt_u32_e32 vcc, 10, v67
	s_waitcnt vmcnt(14) lgkmcnt(2)
	v_mul_f64 v[78:79], v[4:5], v[16:17]
	v_mul_f64 v[16:17], v[6:7], v[16:17]
	s_waitcnt vmcnt(12) lgkmcnt(1)
	v_mul_f64 v[80:81], v[8:9], v[48:49]
	v_mul_f64 v[48:49], v[10:11], v[48:49]
	;; [unrolled: 3-line block ×3, first 2 shown]
	s_waitcnt vmcnt(8)
	v_fma_f64 v[4:5], v[4:5], v[52:53], -v[16:17]
	v_fmac_f64_e32 v[78:79], v[6:7], v[52:53]
	s_waitcnt vmcnt(6)
	v_fma_f64 v[6:7], v[8:9], v[70:71], -v[48:49]
	v_add_f64 v[4:5], v[4:5], 0
	v_fmac_f64_e32 v[80:81], v[10:11], v[70:71]
	s_waitcnt vmcnt(4)
	v_fma_f64 v[8:9], v[12:13], v[72:73], -v[50:51]
	v_add_f64 v[10:11], v[78:79], 0
	v_add_f64 v[4:5], v[4:5], v[6:7]
	v_fmac_f64_e32 v[82:83], v[14:15], v[72:73]
	v_add_f64 v[10:11], v[10:11], v[80:81]
	v_add_f64 v[4:5], v[4:5], v[8:9]
	;; [unrolled: 1-line block ×3, first 2 shown]
	s_waitcnt vmcnt(2)
	v_add_f64 v[4:5], v[74:75], -v[4:5]
	s_waitcnt vmcnt(0)
	v_add_f64 v[6:7], v[76:77], -v[6:7]
	buffer_store_dword v4, off, s[0:3], 0 offset:176
	buffer_store_dword v5, off, s[0:3], 0 offset:180
	;; [unrolled: 1-line block ×4, first 2 shown]
	s_and_saveexec_b64 s[6:7], vcc
	s_cbranch_execz .LBB14_83
; %bb.82:
	buffer_load_dword v4, v57, s[0:3], 0 offen
	buffer_load_dword v5, v57, s[0:3], 0 offen offset:4
	buffer_load_dword v6, v57, s[0:3], 0 offen offset:8
	;; [unrolled: 1-line block ×3, first 2 shown]
	s_nop 0
	buffer_store_dword v2, off, s[0:3], 0 offset:160
	buffer_store_dword v2, off, s[0:3], 0 offset:164
	;; [unrolled: 1-line block ×4, first 2 shown]
	s_waitcnt vmcnt(4)
	ds_write_b128 v68, v[4:7]
.LBB14_83:
	s_or_b64 exec, exec, s[6:7]
	s_waitcnt lgkmcnt(0)
	; wave barrier
	s_waitcnt lgkmcnt(0)
	buffer_load_dword v16, off, s[0:3], 0 offset:184
	buffer_load_dword v17, off, s[0:3], 0 offset:188
	buffer_load_dword v52, off, s[0:3], 0 offset:200
	buffer_load_dword v53, off, s[0:3], 0 offset:204
	buffer_load_dword v70, off, s[0:3], 0 offset:216
	buffer_load_dword v71, off, s[0:3], 0 offset:220
	buffer_load_dword v73, off, s[0:3], 0 offset:236
	buffer_load_dword v72, off, s[0:3], 0 offset:232
	buffer_load_dword v74, off, s[0:3], 0 offset:176
	buffer_load_dword v75, off, s[0:3], 0 offset:180
	buffer_load_dword v76, off, s[0:3], 0 offset:192
	buffer_load_dword v77, off, s[0:3], 0 offset:196
	buffer_load_dword v78, off, s[0:3], 0 offset:208
	buffer_load_dword v79, off, s[0:3], 0 offset:212
	buffer_load_dword v81, off, s[0:3], 0 offset:228
	buffer_load_dword v80, off, s[0:3], 0 offset:224
	buffer_load_dword v82, off, s[0:3], 0 offset:160
	buffer_load_dword v83, off, s[0:3], 0 offset:164
	buffer_load_dword v84, off, s[0:3], 0 offset:168
	buffer_load_dword v85, off, s[0:3], 0 offset:172
	ds_read_b128 v[4:7], v2 offset:416
	ds_read_b128 v[8:11], v2 offset:432
	;; [unrolled: 1-line block ×4, first 2 shown]
	v_cmp_lt_u32_e32 vcc, 9, v67
	s_waitcnt vmcnt(18) lgkmcnt(3)
	v_mul_f64 v[2:3], v[4:5], v[16:17]
	v_mul_f64 v[16:17], v[6:7], v[16:17]
	s_waitcnt vmcnt(16) lgkmcnt(2)
	v_mul_f64 v[86:87], v[8:9], v[52:53]
	v_mul_f64 v[52:53], v[10:11], v[52:53]
	;; [unrolled: 3-line block ×4, first 2 shown]
	s_waitcnt vmcnt(10)
	v_fma_f64 v[4:5], v[4:5], v[74:75], -v[16:17]
	v_fmac_f64_e32 v[2:3], v[6:7], v[74:75]
	s_waitcnt vmcnt(8)
	v_fma_f64 v[6:7], v[8:9], v[76:77], -v[52:53]
	v_add_f64 v[4:5], v[4:5], 0
	v_fmac_f64_e32 v[86:87], v[10:11], v[76:77]
	s_waitcnt vmcnt(6)
	v_fma_f64 v[8:9], v[12:13], v[78:79], -v[70:71]
	v_add_f64 v[2:3], v[2:3], 0
	v_add_f64 v[4:5], v[4:5], v[6:7]
	v_fmac_f64_e32 v[88:89], v[14:15], v[78:79]
	s_waitcnt vmcnt(4)
	v_fma_f64 v[10:11], v[48:49], v[80:81], -v[72:73]
	v_add_f64 v[2:3], v[2:3], v[86:87]
	v_add_f64 v[4:5], v[4:5], v[8:9]
	v_fmac_f64_e32 v[90:91], v[50:51], v[80:81]
	v_add_f64 v[2:3], v[2:3], v[88:89]
	v_add_f64 v[4:5], v[4:5], v[10:11]
	;; [unrolled: 1-line block ×3, first 2 shown]
	s_waitcnt vmcnt(2)
	v_add_f64 v[4:5], v[82:83], -v[4:5]
	s_waitcnt vmcnt(0)
	v_add_f64 v[2:3], v[84:85], -v[2:3]
	buffer_store_dword v4, off, s[0:3], 0 offset:160
	buffer_store_dword v5, off, s[0:3], 0 offset:164
	;; [unrolled: 1-line block ×4, first 2 shown]
	s_and_saveexec_b64 s[6:7], vcc
	s_cbranch_execz .LBB14_85
; %bb.84:
	buffer_load_dword v2, v58, s[0:3], 0 offen
	buffer_load_dword v3, v58, s[0:3], 0 offen offset:4
	buffer_load_dword v4, v58, s[0:3], 0 offen offset:8
	;; [unrolled: 1-line block ×3, first 2 shown]
	v_mov_b32_e32 v6, 0
	buffer_store_dword v6, off, s[0:3], 0 offset:144
	buffer_store_dword v6, off, s[0:3], 0 offset:148
	;; [unrolled: 1-line block ×4, first 2 shown]
	s_waitcnt vmcnt(4)
	ds_write_b128 v68, v[2:5]
.LBB14_85:
	s_or_b64 exec, exec, s[6:7]
	s_waitcnt lgkmcnt(0)
	; wave barrier
	s_waitcnt lgkmcnt(0)
	buffer_load_dword v16, off, s[0:3], 0 offset:168
	buffer_load_dword v17, off, s[0:3], 0 offset:172
	;; [unrolled: 1-line block ×24, first 2 shown]
	v_mov_b32_e32 v2, 0
	ds_read_b128 v[4:7], v2 offset:400
	ds_read_b128 v[8:11], v2 offset:416
	ds_read_b128 v[12:15], v2 offset:432
	ds_read_b128 v[48:51], v2 offset:448
	ds_read_b128 v[70:73], v2 offset:464
	v_cmp_lt_u32_e32 vcc, 8, v67
	s_waitcnt vmcnt(22) lgkmcnt(4)
	v_mul_f64 v[94:95], v[4:5], v[16:17]
	v_mul_f64 v[16:17], v[6:7], v[16:17]
	s_waitcnt vmcnt(20) lgkmcnt(3)
	v_mul_f64 v[96:97], v[8:9], v[52:53]
	v_mul_f64 v[52:53], v[10:11], v[52:53]
	;; [unrolled: 3-line block ×4, first 2 shown]
	s_waitcnt vmcnt(13) lgkmcnt(0)
	v_mul_f64 v[102:103], v[70:71], v[76:77]
	s_waitcnt vmcnt(11)
	v_fma_f64 v[4:5], v[4:5], v[82:83], -v[16:17]
	v_fmac_f64_e32 v[94:95], v[6:7], v[82:83]
	s_waitcnt vmcnt(9)
	v_fma_f64 v[6:7], v[8:9], v[84:85], -v[52:53]
	v_add_f64 v[4:5], v[4:5], 0
	v_fmac_f64_e32 v[96:97], v[10:11], v[84:85]
	s_waitcnt vmcnt(7)
	v_fmac_f64_e32 v[98:99], v[14:15], v[86:87]
	v_fma_f64 v[8:9], v[12:13], v[86:87], -v[74:75]
	v_add_f64 v[14:15], v[94:95], 0
	v_add_f64 v[4:5], v[4:5], v[6:7]
	v_mul_f64 v[76:77], v[72:73], v[76:77]
	s_waitcnt vmcnt(5)
	v_fma_f64 v[10:11], v[48:49], v[88:89], -v[80:81]
	v_add_f64 v[14:15], v[14:15], v[96:97]
	v_add_f64 v[4:5], v[4:5], v[8:9]
	v_fmac_f64_e32 v[100:101], v[50:51], v[88:89]
	s_waitcnt vmcnt(4)
	v_fma_f64 v[12:13], v[70:71], v[78:79], -v[76:77]
	v_add_f64 v[6:7], v[14:15], v[98:99]
	v_add_f64 v[4:5], v[4:5], v[10:11]
	v_fmac_f64_e32 v[102:103], v[72:73], v[78:79]
	v_add_f64 v[6:7], v[6:7], v[100:101]
	v_add_f64 v[4:5], v[4:5], v[12:13]
	;; [unrolled: 1-line block ×3, first 2 shown]
	s_waitcnt vmcnt(2)
	v_add_f64 v[4:5], v[90:91], -v[4:5]
	s_waitcnt vmcnt(0)
	v_add_f64 v[6:7], v[92:93], -v[6:7]
	buffer_store_dword v5, off, s[0:3], 0 offset:148
	buffer_store_dword v4, off, s[0:3], 0 offset:144
	;; [unrolled: 1-line block ×4, first 2 shown]
	s_and_saveexec_b64 s[6:7], vcc
	s_cbranch_execz .LBB14_87
; %bb.86:
	buffer_load_dword v4, v56, s[0:3], 0 offen
	buffer_load_dword v5, v56, s[0:3], 0 offen offset:4
	buffer_load_dword v6, v56, s[0:3], 0 offen offset:8
	;; [unrolled: 1-line block ×3, first 2 shown]
	s_nop 0
	buffer_store_dword v2, off, s[0:3], 0 offset:128
	buffer_store_dword v2, off, s[0:3], 0 offset:132
	;; [unrolled: 1-line block ×4, first 2 shown]
	s_waitcnt vmcnt(4)
	ds_write_b128 v68, v[4:7]
.LBB14_87:
	s_or_b64 exec, exec, s[6:7]
	s_waitcnt lgkmcnt(0)
	; wave barrier
	s_waitcnt lgkmcnt(0)
	buffer_load_dword v16, off, s[0:3], 0 offset:152
	buffer_load_dword v17, off, s[0:3], 0 offset:156
	;; [unrolled: 1-line block ×28, first 2 shown]
	ds_read_b128 v[4:7], v2 offset:384
	ds_read_b128 v[8:11], v2 offset:400
	;; [unrolled: 1-line block ×6, first 2 shown]
	v_cmp_lt_u32_e32 vcc, 7, v67
	s_waitcnt vmcnt(26) lgkmcnt(5)
	v_mul_f64 v[2:3], v[4:5], v[16:17]
	v_mul_f64 v[16:17], v[6:7], v[16:17]
	s_waitcnt vmcnt(24) lgkmcnt(4)
	v_mul_f64 v[102:103], v[8:9], v[52:53]
	v_mul_f64 v[52:53], v[10:11], v[52:53]
	;; [unrolled: 3-line block ×4, first 2 shown]
	s_waitcnt vmcnt(17)
	v_mul_f64 v[106:107], v[48:49], v[84:85]
	v_mul_f64 v[84:85], v[50:51], v[84:85]
	s_waitcnt vmcnt(15) lgkmcnt(0)
	v_mul_f64 v[110:111], v[74:75], v[86:87]
	v_mul_f64 v[86:87], v[76:77], v[86:87]
	s_waitcnt vmcnt(14)
	v_fmac_f64_e32 v[108:109], v[72:73], v[82:83]
	s_waitcnt vmcnt(12)
	v_fma_f64 v[4:5], v[4:5], v[88:89], -v[16:17]
	v_fmac_f64_e32 v[2:3], v[6:7], v[88:89]
	s_waitcnt vmcnt(10)
	v_fma_f64 v[6:7], v[8:9], v[90:91], -v[52:53]
	v_add_f64 v[4:5], v[4:5], 0
	v_fmac_f64_e32 v[102:103], v[10:11], v[90:91]
	s_waitcnt vmcnt(8)
	v_fma_f64 v[8:9], v[12:13], v[92:93], -v[78:79]
	v_add_f64 v[2:3], v[2:3], 0
	v_add_f64 v[4:5], v[4:5], v[6:7]
	v_fmac_f64_e32 v[104:105], v[14:15], v[92:93]
	s_waitcnt vmcnt(6)
	v_fma_f64 v[10:11], v[48:49], v[94:95], -v[84:85]
	v_add_f64 v[2:3], v[2:3], v[102:103]
	v_add_f64 v[4:5], v[4:5], v[8:9]
	v_fmac_f64_e32 v[106:107], v[50:51], v[94:95]
	v_fma_f64 v[12:13], v[70:71], v[82:83], -v[80:81]
	v_add_f64 v[2:3], v[2:3], v[104:105]
	v_add_f64 v[4:5], v[4:5], v[10:11]
	s_waitcnt vmcnt(4)
	v_fma_f64 v[14:15], v[74:75], v[96:97], -v[86:87]
	v_add_f64 v[2:3], v[2:3], v[106:107]
	v_add_f64 v[4:5], v[4:5], v[12:13]
	v_fmac_f64_e32 v[110:111], v[76:77], v[96:97]
	v_add_f64 v[2:3], v[2:3], v[108:109]
	v_add_f64 v[4:5], v[4:5], v[14:15]
	;; [unrolled: 1-line block ×3, first 2 shown]
	s_waitcnt vmcnt(2)
	v_add_f64 v[4:5], v[98:99], -v[4:5]
	s_waitcnt vmcnt(0)
	v_add_f64 v[2:3], v[100:101], -v[2:3]
	buffer_store_dword v5, off, s[0:3], 0 offset:132
	buffer_store_dword v4, off, s[0:3], 0 offset:128
	;; [unrolled: 1-line block ×4, first 2 shown]
	s_and_saveexec_b64 s[6:7], vcc
	s_cbranch_execz .LBB14_89
; %bb.88:
	buffer_load_dword v2, v61, s[0:3], 0 offen
	buffer_load_dword v3, v61, s[0:3], 0 offen offset:4
	buffer_load_dword v4, v61, s[0:3], 0 offen offset:8
	;; [unrolled: 1-line block ×3, first 2 shown]
	v_mov_b32_e32 v6, 0
	buffer_store_dword v6, off, s[0:3], 0 offset:112
	buffer_store_dword v6, off, s[0:3], 0 offset:116
	;; [unrolled: 1-line block ×4, first 2 shown]
	s_waitcnt vmcnt(4)
	ds_write_b128 v68, v[2:5]
.LBB14_89:
	s_or_b64 exec, exec, s[6:7]
	s_waitcnt lgkmcnt(0)
	; wave barrier
	s_waitcnt lgkmcnt(0)
	buffer_load_dword v52, off, s[0:3], 0 offset:136
	buffer_load_dword v53, off, s[0:3], 0 offset:140
	;; [unrolled: 1-line block ×32, first 2 shown]
	v_mov_b32_e32 v69, 0
	ds_read_b128 v[2:5], v69 offset:368
	ds_read_b128 v[6:9], v69 offset:384
	;; [unrolled: 1-line block ×7, first 2 shown]
	v_cmp_lt_u32_e32 vcc, 6, v67
	s_waitcnt vmcnt(30) lgkmcnt(6)
	v_mul_f64 v[108:109], v[2:3], v[52:53]
	v_mul_f64 v[52:53], v[4:5], v[52:53]
	s_waitcnt vmcnt(28) lgkmcnt(5)
	v_mul_f64 v[110:111], v[6:7], v[78:79]
	v_mul_f64 v[78:79], v[8:9], v[78:79]
	s_waitcnt vmcnt(26) lgkmcnt(4)
	v_mul_f64 v[112:113], v[10:11], v[80:81]
	v_mul_f64 v[80:81], v[12:13], v[80:81]
	s_waitcnt vmcnt(24) lgkmcnt(2)
	v_mul_f64 v[116:117], v[48:49], v[82:83]
	v_mul_f64 v[82:83], v[50:51], v[82:83]
	s_waitcnt vmcnt(21)
	v_mul_f64 v[114:115], v[14:15], v[86:87]
	v_mul_f64 v[86:87], v[16:17], v[86:87]
	s_waitcnt vmcnt(17) lgkmcnt(1)
	v_mul_f64 v[118:119], v[70:71], v[92:93]
	v_mul_f64 v[92:93], v[72:73], v[92:93]
	s_waitcnt vmcnt(16) lgkmcnt(0)
	v_mul_f64 v[120:121], v[74:75], v[88:89]
	v_mul_f64 v[88:89], v[76:77], v[88:89]
	s_waitcnt vmcnt(13)
	v_fma_f64 v[2:3], v[2:3], v[94:95], -v[52:53]
	v_fmac_f64_e32 v[108:109], v[4:5], v[94:95]
	s_waitcnt vmcnt(11)
	v_fma_f64 v[4:5], v[6:7], v[96:97], -v[78:79]
	v_add_f64 v[2:3], v[2:3], 0
	v_fmac_f64_e32 v[110:111], v[8:9], v[96:97]
	s_waitcnt vmcnt(9)
	v_fma_f64 v[6:7], v[10:11], v[98:99], -v[80:81]
	s_waitcnt vmcnt(7)
	v_fmac_f64_e32 v[114:115], v[16:17], v[100:101]
	v_add_f64 v[16:17], v[108:109], 0
	v_add_f64 v[2:3], v[2:3], v[4:5]
	v_fmac_f64_e32 v[112:113], v[12:13], v[98:99]
	v_fma_f64 v[8:9], v[14:15], v[100:101], -v[86:87]
	v_add_f64 v[16:17], v[16:17], v[110:111]
	v_add_f64 v[2:3], v[2:3], v[6:7]
	v_fma_f64 v[10:11], v[48:49], v[84:85], -v[82:83]
	v_add_f64 v[4:5], v[16:17], v[112:113]
	v_add_f64 v[2:3], v[2:3], v[8:9]
	v_fmac_f64_e32 v[116:117], v[50:51], v[84:85]
	s_waitcnt vmcnt(5)
	v_fma_f64 v[12:13], v[70:71], v[102:103], -v[92:93]
	v_add_f64 v[4:5], v[4:5], v[114:115]
	v_add_f64 v[2:3], v[2:3], v[10:11]
	v_fmac_f64_e32 v[118:119], v[72:73], v[102:103]
	s_waitcnt vmcnt(4)
	v_fma_f64 v[14:15], v[74:75], v[90:91], -v[88:89]
	v_add_f64 v[4:5], v[4:5], v[116:117]
	v_add_f64 v[2:3], v[2:3], v[12:13]
	v_fmac_f64_e32 v[120:121], v[76:77], v[90:91]
	v_add_f64 v[4:5], v[4:5], v[118:119]
	v_add_f64 v[2:3], v[2:3], v[14:15]
	v_add_f64 v[4:5], v[4:5], v[120:121]
	s_waitcnt vmcnt(2)
	v_add_f64 v[2:3], v[104:105], -v[2:3]
	s_waitcnt vmcnt(0)
	v_add_f64 v[4:5], v[106:107], -v[4:5]
	buffer_store_dword v3, off, s[0:3], 0 offset:116
	buffer_store_dword v2, off, s[0:3], 0 offset:112
	;; [unrolled: 1-line block ×4, first 2 shown]
	s_and_saveexec_b64 s[6:7], vcc
	s_cbranch_execz .LBB14_91
; %bb.90:
	buffer_load_dword v2, v63, s[0:3], 0 offen
	buffer_load_dword v3, v63, s[0:3], 0 offen offset:4
	buffer_load_dword v4, v63, s[0:3], 0 offen offset:8
	buffer_load_dword v5, v63, s[0:3], 0 offen offset:12
	s_nop 0
	buffer_store_dword v69, off, s[0:3], 0 offset:96
	buffer_store_dword v69, off, s[0:3], 0 offset:100
	;; [unrolled: 1-line block ×4, first 2 shown]
	s_waitcnt vmcnt(4)
	ds_write_b128 v68, v[2:5]
.LBB14_91:
	s_or_b64 exec, exec, s[6:7]
	s_waitcnt lgkmcnt(0)
	; wave barrier
	s_waitcnt lgkmcnt(0)
	ds_read_b128 v[14:17], v69 offset:352
	ds_read_b128 v[10:13], v69 offset:368
	;; [unrolled: 1-line block ×4, first 2 shown]
	buffer_load_dword v50, off, s[0:3], 0 offset:96
	buffer_load_dword v51, off, s[0:3], 0 offset:100
	;; [unrolled: 1-line block ×20, first 2 shown]
	v_cmp_lt_u32_e32 vcc, 5, v67
	s_waitcnt vmcnt(12) lgkmcnt(3)
	v_mul_f64 v[70:71], v[14:15], v[86:87]
	v_fmac_f64_e32 v[70:71], v[16:17], v[52:53]
	v_add_f64 v[70:71], v[70:71], 0
	v_mul_f64 v[16:17], v[16:17], v[86:87]
	s_waitcnt vmcnt(8) lgkmcnt(2)
	v_mul_f64 v[72:73], v[10:11], v[90:91]
	v_fmac_f64_e32 v[72:73], v[12:13], v[88:89]
	v_add_f64 v[70:71], v[70:71], v[72:73]
	v_fma_f64 v[14:15], v[14:15], v[52:53], -v[16:17]
	s_waitcnt vmcnt(4) lgkmcnt(1)
	v_mul_f64 v[72:73], v[6:7], v[94:95]
	v_fmac_f64_e32 v[72:73], v[8:9], v[92:93]
	v_add_f64 v[70:71], v[70:71], v[72:73]
	s_waitcnt vmcnt(0) lgkmcnt(0)
	v_mul_f64 v[72:73], v[2:3], v[98:99]
	v_fmac_f64_e32 v[72:73], v[4:5], v[96:97]
	v_add_f64 v[74:75], v[70:71], v[72:73]
	ds_read_b128 v[70:73], v69 offset:416
	buffer_load_dword v101, off, s[0:3], 0 offset:180
	buffer_load_dword v100, off, s[0:3], 0 offset:176
	;; [unrolled: 1-line block ×4, first 2 shown]
	v_mul_f64 v[12:13], v[12:13], v[90:91]
	v_add_f64 v[14:15], v[14:15], 0
	v_fma_f64 v[10:11], v[10:11], v[88:89], -v[12:13]
	v_mul_f64 v[8:9], v[8:9], v[94:95]
	v_add_f64 v[10:11], v[14:15], v[10:11]
	v_fma_f64 v[6:7], v[6:7], v[92:93], -v[8:9]
	;; [unrolled: 3-line block ×3, first 2 shown]
	v_add_f64 v[2:3], v[6:7], v[2:3]
	s_waitcnt vmcnt(0) lgkmcnt(0)
	v_mul_f64 v[76:77], v[70:71], v[102:103]
	v_fmac_f64_e32 v[76:77], v[72:73], v[100:101]
	v_add_f64 v[78:79], v[74:75], v[76:77]
	ds_read_b128 v[74:77], v69 offset:432
	buffer_load_dword v105, off, s[0:3], 0 offset:196
	buffer_load_dword v104, off, s[0:3], 0 offset:192
	buffer_load_dword v107, off, s[0:3], 0 offset:204
	buffer_load_dword v106, off, s[0:3], 0 offset:200
	v_mul_f64 v[4:5], v[72:73], v[102:103]
	v_fma_f64 v[4:5], v[70:71], v[100:101], -v[4:5]
	v_add_f64 v[2:3], v[2:3], v[4:5]
	s_waitcnt vmcnt(0) lgkmcnt(0)
	v_mul_f64 v[80:81], v[74:75], v[106:107]
	v_fmac_f64_e32 v[80:81], v[76:77], v[104:105]
	v_add_f64 v[82:83], v[78:79], v[80:81]
	ds_read_b128 v[78:81], v69 offset:448
	buffer_load_dword v109, off, s[0:3], 0 offset:212
	buffer_load_dword v108, off, s[0:3], 0 offset:208
	buffer_load_dword v111, off, s[0:3], 0 offset:220
	buffer_load_dword v110, off, s[0:3], 0 offset:216
	v_mul_f64 v[4:5], v[76:77], v[106:107]
	v_fma_f64 v[4:5], v[74:75], v[104:105], -v[4:5]
	;; [unrolled: 12-line block ×3, first 2 shown]
	v_add_f64 v[2:3], v[2:3], v[4:5]
	s_waitcnt vmcnt(0) lgkmcnt(0)
	v_mul_f64 v[4:5], v[84:85], v[116:117]
	v_mul_f64 v[118:119], v[82:83], v[116:117]
	v_fma_f64 v[4:5], v[82:83], v[114:115], -v[4:5]
	v_fmac_f64_e32 v[118:119], v[84:85], v[114:115]
	v_add_f64 v[2:3], v[2:3], v[4:5]
	v_add_f64 v[112:113], v[112:113], v[118:119]
	v_add_f64 v[2:3], v[50:51], -v[2:3]
	v_add_f64 v[4:5], v[48:49], -v[112:113]
	buffer_store_dword v3, off, s[0:3], 0 offset:100
	buffer_store_dword v2, off, s[0:3], 0 offset:96
	;; [unrolled: 1-line block ×4, first 2 shown]
	s_and_saveexec_b64 s[6:7], vcc
	s_cbranch_execz .LBB14_93
; %bb.92:
	buffer_load_dword v2, v60, s[0:3], 0 offen
	buffer_load_dword v3, v60, s[0:3], 0 offen offset:4
	buffer_load_dword v4, v60, s[0:3], 0 offen offset:8
	buffer_load_dword v5, v60, s[0:3], 0 offen offset:12
	v_mov_b32_e32 v6, 0
	buffer_store_dword v6, off, s[0:3], 0 offset:80
	buffer_store_dword v6, off, s[0:3], 0 offset:84
	;; [unrolled: 1-line block ×4, first 2 shown]
	s_waitcnt vmcnt(4)
	ds_write_b128 v68, v[2:5]
.LBB14_93:
	s_or_b64 exec, exec, s[6:7]
	s_waitcnt lgkmcnt(0)
	; wave barrier
	s_waitcnt lgkmcnt(0)
	buffer_load_dword v16, off, s[0:3], 0 offset:104
	buffer_load_dword v17, off, s[0:3], 0 offset:108
	;; [unrolled: 1-line block ×40, first 2 shown]
	v_mov_b32_e32 v6, 0
	ds_read_b128 v[2:5], v6 offset:336
	ds_read_b128 v[8:11], v6 offset:352
	;; [unrolled: 1-line block ×9, first 2 shown]
	v_cmp_lt_u32_e32 vcc, 4, v67
	s_waitcnt vmcnt(38) lgkmcnt(8)
	v_mul_f64 v[126:127], v[2:3], v[16:17]
	v_mul_f64 v[16:17], v[4:5], v[16:17]
	s_waitcnt vmcnt(36) lgkmcnt(7)
	v_mul_f64 v[128:129], v[8:9], v[52:53]
	v_mul_f64 v[52:53], v[10:11], v[52:53]
	;; [unrolled: 3-line block ×3, first 2 shown]
	s_waitcnt vmcnt(32) lgkmcnt(4)
	v_mul_f64 v[134:135], v[70:71], v[92:93]
	s_waitcnt vmcnt(30)
	v_fmac_f64_e32 v[134:135], v[72:73], v[94:95]
	s_waitcnt vmcnt(28)
	v_mul_f64 v[132:133], v[48:49], v[96:97]
	v_mul_f64 v[96:97], v[50:51], v[96:97]
	s_waitcnt vmcnt(26) lgkmcnt(2)
	v_mul_f64 v[138:139], v[78:79], v[98:99]
	s_waitcnt vmcnt(24)
	v_fmac_f64_e32 v[138:139], v[80:81], v[100:101]
	s_waitcnt vmcnt(22)
	v_mul_f64 v[136:137], v[74:75], v[102:103]
	s_waitcnt vmcnt(18) lgkmcnt(1)
	v_mul_f64 v[140:141], v[82:83], v[108:109]
	s_waitcnt vmcnt(17) lgkmcnt(0)
	v_mul_f64 v[142:143], v[86:87], v[104:105]
	s_waitcnt vmcnt(15)
	v_fma_f64 v[2:3], v[2:3], v[110:111], -v[16:17]
	v_fmac_f64_e32 v[126:127], v[4:5], v[110:111]
	s_waitcnt vmcnt(13)
	v_fma_f64 v[4:5], v[8:9], v[112:113], -v[52:53]
	v_add_f64 v[2:3], v[2:3], 0
	s_waitcnt vmcnt(11)
	v_fma_f64 v[8:9], v[12:13], v[114:115], -v[90:91]
	v_add_f64 v[2:3], v[2:3], v[4:5]
	v_fmac_f64_e32 v[128:129], v[10:11], v[112:113]
	s_waitcnt vmcnt(9)
	v_fma_f64 v[10:11], v[48:49], v[116:117], -v[96:97]
	v_add_f64 v[2:3], v[2:3], v[8:9]
	v_mul_f64 v[8:9], v[72:73], v[92:93]
	v_add_f64 v[2:3], v[2:3], v[10:11]
	v_fma_f64 v[8:9], v[70:71], v[94:95], -v[8:9]
	v_add_f64 v[2:3], v[2:3], v[8:9]
	v_mul_f64 v[8:9], v[76:77], v[102:103]
	v_add_f64 v[12:13], v[126:127], 0
	s_waitcnt vmcnt(7)
	v_fma_f64 v[8:9], v[74:75], v[118:119], -v[8:9]
	v_fmac_f64_e32 v[130:131], v[14:15], v[114:115]
	v_add_f64 v[12:13], v[12:13], v[128:129]
	v_add_f64 v[2:3], v[2:3], v[8:9]
	v_mul_f64 v[8:9], v[80:81], v[98:99]
	v_fmac_f64_e32 v[132:133], v[50:51], v[116:117]
	v_add_f64 v[4:5], v[12:13], v[130:131]
	v_fma_f64 v[8:9], v[78:79], v[100:101], -v[8:9]
	v_add_f64 v[4:5], v[4:5], v[132:133]
	v_add_f64 v[2:3], v[2:3], v[8:9]
	v_mul_f64 v[8:9], v[84:85], v[108:109]
	v_fmac_f64_e32 v[136:137], v[76:77], v[118:119]
	v_add_f64 v[4:5], v[4:5], v[134:135]
	s_waitcnt vmcnt(5)
	v_fma_f64 v[8:9], v[82:83], v[120:121], -v[8:9]
	v_add_f64 v[4:5], v[4:5], v[136:137]
	v_add_f64 v[2:3], v[2:3], v[8:9]
	v_mul_f64 v[8:9], v[88:89], v[104:105]
	v_fmac_f64_e32 v[140:141], v[84:85], v[120:121]
	v_add_f64 v[4:5], v[4:5], v[138:139]
	s_waitcnt vmcnt(4)
	v_fma_f64 v[8:9], v[86:87], v[106:107], -v[8:9]
	v_fmac_f64_e32 v[142:143], v[88:89], v[106:107]
	v_add_f64 v[4:5], v[4:5], v[140:141]
	v_add_f64 v[2:3], v[2:3], v[8:9]
	;; [unrolled: 1-line block ×3, first 2 shown]
	s_waitcnt vmcnt(2)
	v_add_f64 v[2:3], v[122:123], -v[2:3]
	s_waitcnt vmcnt(0)
	v_add_f64 v[4:5], v[124:125], -v[4:5]
	buffer_store_dword v3, off, s[0:3], 0 offset:84
	buffer_store_dword v2, off, s[0:3], 0 offset:80
	;; [unrolled: 1-line block ×4, first 2 shown]
	s_and_saveexec_b64 s[6:7], vcc
	s_cbranch_execz .LBB14_95
; %bb.94:
	buffer_load_dword v2, v62, s[0:3], 0 offen
	buffer_load_dword v3, v62, s[0:3], 0 offen offset:4
	buffer_load_dword v4, v62, s[0:3], 0 offen offset:8
	;; [unrolled: 1-line block ×3, first 2 shown]
	s_nop 0
	buffer_store_dword v6, off, s[0:3], 0 offset:64
	buffer_store_dword v6, off, s[0:3], 0 offset:68
	;; [unrolled: 1-line block ×4, first 2 shown]
	s_waitcnt vmcnt(4)
	ds_write_b128 v68, v[2:5]
.LBB14_95:
	s_or_b64 exec, exec, s[6:7]
	s_waitcnt lgkmcnt(0)
	; wave barrier
	s_waitcnt lgkmcnt(0)
	buffer_load_dword v4, off, s[0:3], 0 offset:80
	buffer_load_dword v5, off, s[0:3], 0 offset:84
	;; [unrolled: 1-line block ×44, first 2 shown]
	ds_read_b128 v[8:11], v6 offset:320
	ds_read_b128 v[12:15], v6 offset:336
	;; [unrolled: 1-line block ×10, first 2 shown]
	v_cmp_lt_u32_e32 vcc, 3, v67
	s_waitcnt vmcnt(40) lgkmcnt(9)
	v_mul_f64 v[6:7], v[8:9], v[16:17]
	v_mul_f64 v[16:17], v[10:11], v[16:17]
	s_waitcnt vmcnt(38) lgkmcnt(8)
	v_mul_f64 v[134:135], v[12:13], v[52:53]
	v_mul_f64 v[52:53], v[14:15], v[52:53]
	v_fmac_f64_e32 v[6:7], v[10:11], v[4:5]
	v_fma_f64 v[4:5], v[8:9], v[4:5], -v[16:17]
	s_waitcnt vmcnt(36) lgkmcnt(7)
	v_mul_f64 v[136:137], v[48:49], v[2:3]
	v_add_f64 v[4:5], v[4:5], 0
	v_mul_f64 v[2:3], v[50:51], v[2:3]
	v_add_f64 v[6:7], v[6:7], 0
	s_waitcnt vmcnt(30) lgkmcnt(6)
	v_mul_f64 v[138:139], v[70:71], v[102:103]
	s_waitcnt lgkmcnt(5)
	v_mul_f64 v[140:141], v[74:75], v[98:99]
	v_fmac_f64_e32 v[140:141], v[76:77], v[100:101]
	s_waitcnt vmcnt(28) lgkmcnt(3)
	v_mul_f64 v[144:145], v[82:83], v[104:105]
	s_waitcnt vmcnt(26)
	v_fmac_f64_e32 v[144:145], v[84:85], v[106:107]
	s_waitcnt vmcnt(24)
	v_mul_f64 v[142:143], v[78:79], v[108:109]
	s_waitcnt vmcnt(22) lgkmcnt(1)
	v_mul_f64 v[148:149], v[90:91], v[110:111]
	s_waitcnt vmcnt(20)
	v_fmac_f64_e32 v[148:149], v[92:93], v[112:113]
	s_waitcnt vmcnt(18)
	v_mul_f64 v[146:147], v[86:87], v[114:115]
	s_waitcnt vmcnt(16) lgkmcnt(0)
	v_mul_f64 v[150:151], v[94:95], v[116:117]
	s_waitcnt vmcnt(14)
	v_fma_f64 v[8:9], v[12:13], v[118:119], -v[52:53]
	v_add_f64 v[4:5], v[4:5], v[8:9]
	s_waitcnt vmcnt(12)
	v_fma_f64 v[2:3], v[48:49], v[120:121], -v[2:3]
	v_add_f64 v[2:3], v[4:5], v[2:3]
	v_mul_f64 v[4:5], v[72:73], v[102:103]
	s_waitcnt vmcnt(10)
	v_fma_f64 v[4:5], v[70:71], v[122:123], -v[4:5]
	v_add_f64 v[2:3], v[2:3], v[4:5]
	v_mul_f64 v[4:5], v[76:77], v[98:99]
	v_fma_f64 v[4:5], v[74:75], v[100:101], -v[4:5]
	v_add_f64 v[2:3], v[2:3], v[4:5]
	v_mul_f64 v[4:5], v[80:81], v[108:109]
	s_waitcnt vmcnt(8)
	v_fma_f64 v[4:5], v[78:79], v[124:125], -v[4:5]
	v_fmac_f64_e32 v[134:135], v[14:15], v[118:119]
	v_add_f64 v[2:3], v[2:3], v[4:5]
	v_mul_f64 v[4:5], v[84:85], v[104:105]
	v_fmac_f64_e32 v[136:137], v[50:51], v[120:121]
	v_add_f64 v[6:7], v[6:7], v[134:135]
	v_fma_f64 v[4:5], v[82:83], v[106:107], -v[4:5]
	v_fmac_f64_e32 v[138:139], v[72:73], v[122:123]
	v_add_f64 v[6:7], v[6:7], v[136:137]
	v_add_f64 v[2:3], v[2:3], v[4:5]
	v_mul_f64 v[4:5], v[88:89], v[114:115]
	v_add_f64 v[6:7], v[6:7], v[138:139]
	s_waitcnt vmcnt(6)
	v_fma_f64 v[4:5], v[86:87], v[126:127], -v[4:5]
	v_fmac_f64_e32 v[142:143], v[80:81], v[124:125]
	v_add_f64 v[6:7], v[6:7], v[140:141]
	v_add_f64 v[2:3], v[2:3], v[4:5]
	v_mul_f64 v[4:5], v[92:93], v[110:111]
	v_add_f64 v[6:7], v[6:7], v[142:143]
	v_fma_f64 v[4:5], v[90:91], v[112:113], -v[4:5]
	v_fmac_f64_e32 v[146:147], v[88:89], v[126:127]
	v_add_f64 v[6:7], v[6:7], v[144:145]
	v_add_f64 v[2:3], v[2:3], v[4:5]
	v_mul_f64 v[4:5], v[96:97], v[116:117]
	v_add_f64 v[6:7], v[6:7], v[146:147]
	s_waitcnt vmcnt(4)
	v_fma_f64 v[4:5], v[94:95], v[128:129], -v[4:5]
	v_fmac_f64_e32 v[150:151], v[96:97], v[128:129]
	v_add_f64 v[6:7], v[6:7], v[148:149]
	v_add_f64 v[2:3], v[2:3], v[4:5]
	;; [unrolled: 1-line block ×3, first 2 shown]
	s_waitcnt vmcnt(2)
	v_add_f64 v[2:3], v[130:131], -v[2:3]
	s_waitcnt vmcnt(0)
	v_add_f64 v[4:5], v[132:133], -v[6:7]
	buffer_store_dword v3, off, s[0:3], 0 offset:68
	buffer_store_dword v2, off, s[0:3], 0 offset:64
	;; [unrolled: 1-line block ×4, first 2 shown]
	s_and_saveexec_b64 s[6:7], vcc
	s_cbranch_execz .LBB14_97
; %bb.96:
	buffer_load_dword v2, v66, s[0:3], 0 offen
	buffer_load_dword v3, v66, s[0:3], 0 offen offset:4
	buffer_load_dword v4, v66, s[0:3], 0 offen offset:8
	;; [unrolled: 1-line block ×3, first 2 shown]
	v_mov_b32_e32 v6, 0
	buffer_store_dword v6, off, s[0:3], 0 offset:48
	buffer_store_dword v6, off, s[0:3], 0 offset:52
	;; [unrolled: 1-line block ×4, first 2 shown]
	s_waitcnt vmcnt(4)
	ds_write_b128 v68, v[2:5]
.LBB14_97:
	s_or_b64 exec, exec, s[6:7]
	s_waitcnt lgkmcnt(0)
	; wave barrier
	s_waitcnt lgkmcnt(0)
	buffer_load_dword v2, off, s[0:3], 0 offset:64
	buffer_load_dword v3, off, s[0:3], 0 offset:68
	;; [unrolled: 1-line block ×48, first 2 shown]
	v_mov_b32_e32 v12, 0
	ds_read_b128 v[14:17], v12 offset:304
	ds_read_b128 v[48:51], v12 offset:320
	;; [unrolled: 1-line block ×11, first 2 shown]
	v_cmp_lt_u32_e32 vcc, 2, v67
	s_waitcnt vmcnt(44) lgkmcnt(10)
	v_mul_f64 v[142:143], v[14:15], v[6:7]
	v_mul_f64 v[6:7], v[16:17], v[6:7]
	v_fmac_f64_e32 v[142:143], v[16:17], v[2:3]
	v_fma_f64 v[2:3], v[14:15], v[2:3], -v[6:7]
	s_waitcnt vmcnt(40) lgkmcnt(9)
	v_mul_f64 v[144:145], v[48:49], v[8:9]
	v_mul_f64 v[6:7], v[50:51], v[8:9]
	v_fmac_f64_e32 v[144:145], v[50:51], v[4:5]
	v_add_f64 v[2:3], v[2:3], 0
	v_fma_f64 v[4:5], v[48:49], v[4:5], -v[6:7]
	v_add_f64 v[2:3], v[2:3], v[4:5]
	s_waitcnt vmcnt(38) lgkmcnt(8)
	v_mul_f64 v[4:5], v[72:73], v[10:11]
	v_mul_f64 v[146:147], v[70:71], v[10:11]
	v_add_f64 v[142:143], v[142:143], 0
	s_waitcnt vmcnt(32) lgkmcnt(7)
	v_mul_f64 v[148:149], v[74:75], v[108:109]
	v_add_f64 v[142:143], v[142:143], v[144:145]
	s_waitcnt lgkmcnt(6)
	v_mul_f64 v[150:151], v[78:79], v[52:53]
	v_fmac_f64_e32 v[150:151], v[80:81], v[106:107]
	s_waitcnt vmcnt(30) lgkmcnt(4)
	v_mul_f64 v[154:155], v[86:87], v[110:111]
	s_waitcnt vmcnt(26)
	v_mul_f64 v[152:153], v[82:83], v[114:115]
	v_fmac_f64_e32 v[154:155], v[88:89], v[112:113]
	s_waitcnt vmcnt(24) lgkmcnt(2)
	v_mul_f64 v[158:159], v[94:95], v[116:117]
	s_waitcnt vmcnt(22)
	v_fmac_f64_e32 v[158:159], v[96:97], v[118:119]
	s_waitcnt vmcnt(20)
	v_mul_f64 v[156:157], v[90:91], v[120:121]
	s_waitcnt vmcnt(16) lgkmcnt(1)
	v_mul_f64 v[160:161], v[98:99], v[126:127]
	s_waitcnt vmcnt(14)
	v_fma_f64 v[4:5], v[70:71], v[128:129], -v[4:5]
	v_add_f64 v[2:3], v[2:3], v[4:5]
	v_mul_f64 v[4:5], v[76:77], v[108:109]
	s_waitcnt vmcnt(12)
	v_fma_f64 v[4:5], v[74:75], v[130:131], -v[4:5]
	v_add_f64 v[2:3], v[2:3], v[4:5]
	v_mul_f64 v[4:5], v[80:81], v[52:53]
	v_fma_f64 v[4:5], v[78:79], v[106:107], -v[4:5]
	v_add_f64 v[2:3], v[2:3], v[4:5]
	v_mul_f64 v[4:5], v[84:85], v[114:115]
	s_waitcnt vmcnt(10)
	v_fma_f64 v[4:5], v[82:83], v[132:133], -v[4:5]
	v_add_f64 v[2:3], v[2:3], v[4:5]
	v_mul_f64 v[4:5], v[88:89], v[110:111]
	v_fma_f64 v[4:5], v[86:87], v[112:113], -v[4:5]
	v_fmac_f64_e32 v[146:147], v[72:73], v[128:129]
	v_add_f64 v[2:3], v[2:3], v[4:5]
	v_mul_f64 v[4:5], v[92:93], v[120:121]
	v_fmac_f64_e32 v[148:149], v[76:77], v[130:131]
	v_add_f64 v[142:143], v[142:143], v[146:147]
	s_waitcnt vmcnt(8)
	v_fma_f64 v[4:5], v[90:91], v[134:135], -v[4:5]
	v_add_f64 v[142:143], v[142:143], v[148:149]
	v_add_f64 v[2:3], v[2:3], v[4:5]
	v_mul_f64 v[4:5], v[96:97], v[116:117]
	v_fmac_f64_e32 v[152:153], v[84:85], v[132:133]
	v_add_f64 v[142:143], v[142:143], v[150:151]
	v_fma_f64 v[4:5], v[94:95], v[118:119], -v[4:5]
	v_add_f64 v[142:143], v[142:143], v[152:153]
	v_add_f64 v[2:3], v[2:3], v[4:5]
	v_mul_f64 v[4:5], v[100:101], v[126:127]
	v_fmac_f64_e32 v[156:157], v[92:93], v[134:135]
	v_add_f64 v[142:143], v[142:143], v[154:155]
	s_waitcnt vmcnt(6)
	v_fma_f64 v[4:5], v[98:99], v[136:137], -v[4:5]
	v_add_f64 v[142:143], v[142:143], v[156:157]
	v_add_f64 v[2:3], v[2:3], v[4:5]
	s_waitcnt vmcnt(5) lgkmcnt(0)
	v_mul_f64 v[4:5], v[104:105], v[122:123]
	v_fmac_f64_e32 v[160:161], v[100:101], v[136:137]
	v_add_f64 v[142:143], v[142:143], v[158:159]
	v_mul_f64 v[144:145], v[102:103], v[122:123]
	s_waitcnt vmcnt(4)
	v_fma_f64 v[4:5], v[102:103], v[124:125], -v[4:5]
	v_add_f64 v[142:143], v[142:143], v[160:161]
	v_fmac_f64_e32 v[144:145], v[104:105], v[124:125]
	v_add_f64 v[2:3], v[2:3], v[4:5]
	v_add_f64 v[142:143], v[142:143], v[144:145]
	s_waitcnt vmcnt(2)
	v_add_f64 v[2:3], v[138:139], -v[2:3]
	s_waitcnt vmcnt(0)
	v_add_f64 v[4:5], v[140:141], -v[142:143]
	buffer_store_dword v3, off, s[0:3], 0 offset:52
	buffer_store_dword v2, off, s[0:3], 0 offset:48
	;; [unrolled: 1-line block ×4, first 2 shown]
	s_and_saveexec_b64 s[6:7], vcc
	s_cbranch_execz .LBB14_99
; %bb.98:
	buffer_load_dword v2, v64, s[0:3], 0 offen
	buffer_load_dword v3, v64, s[0:3], 0 offen offset:4
	buffer_load_dword v4, v64, s[0:3], 0 offen offset:8
	;; [unrolled: 1-line block ×3, first 2 shown]
	s_nop 0
	buffer_store_dword v12, off, s[0:3], 0 offset:32
	buffer_store_dword v12, off, s[0:3], 0 offset:36
	;; [unrolled: 1-line block ×4, first 2 shown]
	s_waitcnt vmcnt(4)
	ds_write_b128 v68, v[2:5]
.LBB14_99:
	s_or_b64 exec, exec, s[6:7]
	s_waitcnt lgkmcnt(0)
	; wave barrier
	s_waitcnt lgkmcnt(0)
	buffer_load_dword v2, off, s[0:3], 0 offset:48
	buffer_load_dword v3, off, s[0:3], 0 offset:52
	buffer_load_dword v6, off, s[0:3], 0 offset:56
	buffer_load_dword v7, off, s[0:3], 0 offset:60
	buffer_load_dword v4, off, s[0:3], 0 offset:64
	buffer_load_dword v5, off, s[0:3], 0 offset:68
	buffer_load_dword v8, off, s[0:3], 0 offset:72
	buffer_load_dword v9, off, s[0:3], 0 offset:76
	buffer_load_dword v10, off, s[0:3], 0 offset:88
	buffer_load_dword v11, off, s[0:3], 0 offset:92
	buffer_load_dword v53, off, s[0:3], 0 offset:124
	buffer_load_dword v52, off, s[0:3], 0 offset:120
	buffer_load_dword v111, off, s[0:3], 0 offset:116
	buffer_load_dword v110, off, s[0:3], 0 offset:112
	buffer_load_dword v113, off, s[0:3], 0 offset:108
	buffer_load_dword v112, off, s[0:3], 0 offset:104
	buffer_load_dword v115, off, s[0:3], 0 offset:156
	buffer_load_dword v114, off, s[0:3], 0 offset:152
	buffer_load_dword v117, off, s[0:3], 0 offset:148
	buffer_load_dword v116, off, s[0:3], 0 offset:144
	buffer_load_dword v119, off, s[0:3], 0 offset:140
	buffer_load_dword v118, off, s[0:3], 0 offset:136
	buffer_load_dword v120, off, s[0:3], 0 offset:184
	buffer_load_dword v122, off, s[0:3], 0 offset:176
	buffer_load_dword v125, off, s[0:3], 0 offset:172
	buffer_load_dword v124, off, s[0:3], 0 offset:168
	buffer_load_dword v121, off, s[0:3], 0 offset:188
	buffer_load_dword v126, off, s[0:3], 0 offset:80
	buffer_load_dword v127, off, s[0:3], 0 offset:84
	buffer_load_dword v129, off, s[0:3], 0 offset:100
	buffer_load_dword v128, off, s[0:3], 0 offset:96
	buffer_load_dword v131, off, s[0:3], 0 offset:132
	buffer_load_dword v130, off, s[0:3], 0 offset:128
	buffer_load_dword v133, off, s[0:3], 0 offset:164
	buffer_load_dword v132, off, s[0:3], 0 offset:160
	buffer_load_dword v123, off, s[0:3], 0 offset:180
	buffer_load_dword v134, off, s[0:3], 0 offset:216
	buffer_load_dword v136, off, s[0:3], 0 offset:208
	buffer_load_dword v139, off, s[0:3], 0 offset:204
	buffer_load_dword v138, off, s[0:3], 0 offset:200
	buffer_load_dword v141, off, s[0:3], 0 offset:196
	buffer_load_dword v140, off, s[0:3], 0 offset:192
	buffer_load_dword v137, off, s[0:3], 0 offset:212
	buffer_load_dword v135, off, s[0:3], 0 offset:220
	buffer_load_dword v143, off, s[0:3], 0 offset:236
	buffer_load_dword v142, off, s[0:3], 0 offset:232
	buffer_load_dword v145, off, s[0:3], 0 offset:228
	buffer_load_dword v144, off, s[0:3], 0 offset:224
	buffer_load_dword v146, off, s[0:3], 0 offset:32
	buffer_load_dword v147, off, s[0:3], 0 offset:36
	buffer_load_dword v148, off, s[0:3], 0 offset:40
	buffer_load_dword v149, off, s[0:3], 0 offset:44
	ds_read_b128 v[14:17], v12 offset:288
	ds_read_b128 v[48:51], v12 offset:304
	;; [unrolled: 1-line block ×10, first 2 shown]
	v_cmp_lt_u32_e32 vcc, 1, v67
	s_waitcnt vmcnt(48) lgkmcnt(9)
	v_mul_f64 v[102:103], v[14:15], v[6:7]
	v_mul_f64 v[6:7], v[16:17], v[6:7]
	v_fmac_f64_e32 v[102:103], v[16:17], v[2:3]
	v_fma_f64 v[2:3], v[14:15], v[2:3], -v[6:7]
	s_waitcnt vmcnt(44) lgkmcnt(8)
	v_mul_f64 v[104:105], v[48:49], v[8:9]
	v_mul_f64 v[6:7], v[50:51], v[8:9]
	v_fmac_f64_e32 v[104:105], v[50:51], v[4:5]
	v_add_f64 v[2:3], v[2:3], 0
	v_fma_f64 v[4:5], v[48:49], v[4:5], -v[6:7]
	v_add_f64 v[2:3], v[2:3], v[4:5]
	s_waitcnt vmcnt(42) lgkmcnt(7)
	v_mul_f64 v[4:5], v[72:73], v[10:11]
	v_mul_f64 v[106:107], v[70:71], v[10:11]
	v_add_f64 v[102:103], v[102:103], 0
	s_waitcnt vmcnt(36) lgkmcnt(6)
	v_mul_f64 v[108:109], v[74:75], v[112:113]
	v_add_f64 v[102:103], v[102:103], v[104:105]
	s_waitcnt lgkmcnt(5)
	v_mul_f64 v[150:151], v[78:79], v[52:53]
	v_fmac_f64_e32 v[150:151], v[80:81], v[110:111]
	s_waitcnt vmcnt(34) lgkmcnt(3)
	v_mul_f64 v[154:155], v[86:87], v[114:115]
	s_waitcnt vmcnt(30)
	v_mul_f64 v[152:153], v[82:83], v[118:119]
	v_fmac_f64_e32 v[154:155], v[88:89], v[116:117]
	s_waitcnt vmcnt(26) lgkmcnt(2)
	v_mul_f64 v[156:157], v[90:91], v[124:125]
	s_waitcnt vmcnt(25) lgkmcnt(1)
	v_mul_f64 v[158:159], v[94:95], v[120:121]
	s_waitcnt vmcnt(23)
	v_fma_f64 v[4:5], v[70:71], v[126:127], -v[4:5]
	v_add_f64 v[2:3], v[2:3], v[4:5]
	v_mul_f64 v[4:5], v[76:77], v[112:113]
	s_waitcnt vmcnt(21)
	v_fma_f64 v[4:5], v[74:75], v[128:129], -v[4:5]
	v_fmac_f64_e32 v[106:107], v[72:73], v[126:127]
	v_add_f64 v[2:3], v[2:3], v[4:5]
	v_mul_f64 v[4:5], v[80:81], v[52:53]
	v_fmac_f64_e32 v[108:109], v[76:77], v[128:129]
	v_add_f64 v[102:103], v[102:103], v[106:107]
	v_fma_f64 v[4:5], v[78:79], v[110:111], -v[4:5]
	v_add_f64 v[102:103], v[102:103], v[108:109]
	v_add_f64 v[2:3], v[2:3], v[4:5]
	v_mul_f64 v[4:5], v[84:85], v[118:119]
	s_waitcnt vmcnt(19)
	v_fmac_f64_e32 v[152:153], v[84:85], v[130:131]
	v_add_f64 v[102:103], v[102:103], v[150:151]
	v_fma_f64 v[4:5], v[82:83], v[130:131], -v[4:5]
	v_add_f64 v[102:103], v[102:103], v[152:153]
	v_add_f64 v[2:3], v[2:3], v[4:5]
	v_mul_f64 v[4:5], v[88:89], v[114:115]
	s_waitcnt vmcnt(17)
	v_fmac_f64_e32 v[156:157], v[92:93], v[132:133]
	v_add_f64 v[102:103], v[102:103], v[154:155]
	v_fma_f64 v[4:5], v[86:87], v[116:117], -v[4:5]
	s_waitcnt vmcnt(16)
	v_fmac_f64_e32 v[158:159], v[96:97], v[122:123]
	v_add_f64 v[102:103], v[102:103], v[156:157]
	v_add_f64 v[2:3], v[2:3], v[4:5]
	v_mul_f64 v[4:5], v[92:93], v[124:125]
	v_add_f64 v[150:151], v[102:103], v[158:159]
	ds_read_b128 v[102:105], v12 offset:448
	ds_read_b128 v[106:109], v12 offset:464
	v_fma_f64 v[4:5], v[90:91], v[132:133], -v[4:5]
	v_add_f64 v[2:3], v[2:3], v[4:5]
	v_mul_f64 v[4:5], v[96:97], v[120:121]
	v_fma_f64 v[4:5], v[94:95], v[122:123], -v[4:5]
	v_add_f64 v[2:3], v[2:3], v[4:5]
	s_waitcnt vmcnt(12) lgkmcnt(2)
	v_mul_f64 v[4:5], v[100:101], v[138:139]
	v_mul_f64 v[152:153], v[98:99], v[138:139]
	s_waitcnt vmcnt(10)
	v_fma_f64 v[4:5], v[98:99], v[140:141], -v[4:5]
	v_fmac_f64_e32 v[152:153], v[100:101], v[140:141]
	v_add_f64 v[2:3], v[2:3], v[4:5]
	s_waitcnt vmcnt(8) lgkmcnt(1)
	v_mul_f64 v[4:5], v[104:105], v[134:135]
	v_add_f64 v[12:13], v[150:151], v[152:153]
	v_mul_f64 v[150:151], v[102:103], v[134:135]
	v_fma_f64 v[4:5], v[102:103], v[136:137], -v[4:5]
	v_fmac_f64_e32 v[150:151], v[104:105], v[136:137]
	v_add_f64 v[2:3], v[2:3], v[4:5]
	s_waitcnt vmcnt(6) lgkmcnt(0)
	v_mul_f64 v[4:5], v[108:109], v[142:143]
	v_add_f64 v[12:13], v[12:13], v[150:151]
	v_mul_f64 v[150:151], v[106:107], v[142:143]
	s_waitcnt vmcnt(4)
	v_fma_f64 v[4:5], v[106:107], v[144:145], -v[4:5]
	v_fmac_f64_e32 v[150:151], v[108:109], v[144:145]
	v_add_f64 v[2:3], v[2:3], v[4:5]
	v_add_f64 v[12:13], v[12:13], v[150:151]
	s_waitcnt vmcnt(2)
	v_add_f64 v[2:3], v[146:147], -v[2:3]
	s_waitcnt vmcnt(0)
	v_add_f64 v[4:5], v[148:149], -v[12:13]
	buffer_store_dword v3, off, s[0:3], 0 offset:36
	buffer_store_dword v2, off, s[0:3], 0 offset:32
	buffer_store_dword v5, off, s[0:3], 0 offset:44
	buffer_store_dword v4, off, s[0:3], 0 offset:40
	s_and_saveexec_b64 s[6:7], vcc
	s_cbranch_execz .LBB14_101
; %bb.100:
	buffer_load_dword v2, v65, s[0:3], 0 offen
	buffer_load_dword v3, v65, s[0:3], 0 offen offset:4
	buffer_load_dword v4, v65, s[0:3], 0 offen offset:8
	;; [unrolled: 1-line block ×3, first 2 shown]
	v_mov_b32_e32 v6, 0
	buffer_store_dword v6, off, s[0:3], 0 offset:16
	buffer_store_dword v6, off, s[0:3], 0 offset:20
	;; [unrolled: 1-line block ×4, first 2 shown]
	s_waitcnt vmcnt(4)
	ds_write_b128 v68, v[2:5]
.LBB14_101:
	s_or_b64 exec, exec, s[6:7]
	s_waitcnt lgkmcnt(0)
	; wave barrier
	s_waitcnt lgkmcnt(0)
	buffer_load_dword v2, off, s[0:3], 0 offset:32
	buffer_load_dword v3, off, s[0:3], 0 offset:36
	;; [unrolled: 1-line block ×56, first 2 shown]
	v_mov_b32_e32 v69, 0
	ds_read_b128 v[48:51], v69 offset:272
	ds_read_b128 v[70:73], v69 offset:288
	;; [unrolled: 1-line block ×9, first 2 shown]
	v_cmp_ne_u32_e32 vcc, 0, v67
	s_waitcnt vmcnt(52) lgkmcnt(8)
	v_mul_f64 v[98:99], v[48:49], v[6:7]
	v_fmac_f64_e32 v[98:99], v[50:51], v[2:3]
	v_mul_f64 v[6:7], v[50:51], v[6:7]
	v_add_f64 v[98:99], v[98:99], 0
	s_waitcnt vmcnt(48) lgkmcnt(7)
	v_mul_f64 v[100:101], v[70:71], v[8:9]
	v_fmac_f64_e32 v[100:101], v[72:73], v[4:5]
	s_waitcnt vmcnt(46) lgkmcnt(6)
	v_mul_f64 v[102:103], v[74:75], v[10:11]
	v_fma_f64 v[2:3], v[48:49], v[2:3], -v[6:7]
	v_mul_f64 v[6:7], v[72:73], v[8:9]
	v_add_f64 v[98:99], v[98:99], v[100:101]
	v_add_f64 v[2:3], v[2:3], 0
	v_fma_f64 v[4:5], v[70:71], v[4:5], -v[6:7]
	s_waitcnt vmcnt(40) lgkmcnt(5)
	v_mul_f64 v[104:105], v[78:79], v[16:17]
	s_waitcnt lgkmcnt(4)
	v_mul_f64 v[106:107], v[82:83], v[12:13]
	v_add_f64 v[2:3], v[2:3], v[4:5]
	v_mul_f64 v[4:5], v[76:77], v[10:11]
	s_waitcnt vmcnt(36) lgkmcnt(3)
	v_mul_f64 v[108:109], v[86:87], v[120:121]
	v_fmac_f64_e32 v[106:107], v[84:85], v[14:15]
	s_waitcnt vmcnt(35) lgkmcnt(2)
	v_mul_f64 v[110:111], v[90:91], v[52:53]
	s_waitcnt vmcnt(33)
	v_fmac_f64_e32 v[102:103], v[76:77], v[122:123]
	v_add_f64 v[98:99], v[98:99], v[102:103]
	s_waitcnt vmcnt(31)
	v_fmac_f64_e32 v[104:105], v[80:81], v[124:125]
	v_add_f64 v[98:99], v[98:99], v[104:105]
	v_fma_f64 v[4:5], v[74:75], v[122:123], -v[4:5]
	s_waitcnt vmcnt(29)
	v_fmac_f64_e32 v[108:109], v[88:89], v[126:127]
	v_add_f64 v[98:99], v[98:99], v[106:107]
	v_add_f64 v[2:3], v[2:3], v[4:5]
	v_mul_f64 v[4:5], v[80:81], v[16:17]
	s_waitcnt vmcnt(28)
	v_fmac_f64_e32 v[110:111], v[92:93], v[118:119]
	v_add_f64 v[98:99], v[98:99], v[108:109]
	v_fma_f64 v[4:5], v[78:79], v[124:125], -v[4:5]
	v_add_f64 v[102:103], v[98:99], v[110:111]
	ds_read_b128 v[98:101], v69 offset:400
	s_waitcnt vmcnt(24) lgkmcnt(2)
	v_mul_f64 v[104:105], v[94:95], v[132:133]
	v_add_f64 v[2:3], v[2:3], v[4:5]
	v_mul_f64 v[4:5], v[84:85], v[12:13]
	s_waitcnt vmcnt(22)
	v_fmac_f64_e32 v[104:105], v[96:97], v[134:135]
	v_fma_f64 v[4:5], v[82:83], v[14:15], -v[4:5]
	v_add_f64 v[106:107], v[102:103], v[104:105]
	ds_read_b128 v[102:105], v69 offset:416
	v_add_f64 v[2:3], v[2:3], v[4:5]
	v_mul_f64 v[4:5], v[88:89], v[120:121]
	v_fma_f64 v[4:5], v[86:87], v[126:127], -v[4:5]
	v_add_f64 v[2:3], v[2:3], v[4:5]
	v_mul_f64 v[4:5], v[92:93], v[52:53]
	s_waitcnt vmcnt(20) lgkmcnt(1)
	v_mul_f64 v[108:109], v[98:99], v[128:129]
	v_fma_f64 v[4:5], v[90:91], v[118:119], -v[4:5]
	v_fmac_f64_e32 v[108:109], v[100:101], v[130:131]
	v_add_f64 v[2:3], v[2:3], v[4:5]
	v_mul_f64 v[4:5], v[96:97], v[132:133]
	v_add_f64 v[110:111], v[106:107], v[108:109]
	ds_read_b128 v[106:109], v69 offset:432
	s_waitcnt vmcnt(16) lgkmcnt(1)
	v_mul_f64 v[112:113], v[102:103], v[140:141]
	v_fma_f64 v[4:5], v[94:95], v[134:135], -v[4:5]
	s_waitcnt vmcnt(14)
	v_fmac_f64_e32 v[112:113], v[104:105], v[142:143]
	v_add_f64 v[2:3], v[2:3], v[4:5]
	v_mul_f64 v[4:5], v[100:101], v[128:129]
	v_add_f64 v[156:157], v[110:111], v[112:113]
	ds_read_b128 v[110:113], v69 offset:448
	v_fma_f64 v[4:5], v[98:99], v[130:131], -v[4:5]
	v_add_f64 v[2:3], v[2:3], v[4:5]
	v_mul_f64 v[4:5], v[104:105], v[140:141]
	v_fma_f64 v[4:5], v[102:103], v[142:143], -v[4:5]
	v_add_f64 v[2:3], v[2:3], v[4:5]
	s_waitcnt vmcnt(12) lgkmcnt(1)
	v_mul_f64 v[4:5], v[108:109], v[136:137]
	v_mul_f64 v[158:159], v[106:107], v[136:137]
	v_fma_f64 v[4:5], v[106:107], v[138:139], -v[4:5]
	v_fmac_f64_e32 v[158:159], v[108:109], v[138:139]
	v_add_f64 v[2:3], v[2:3], v[4:5]
	s_waitcnt vmcnt(8) lgkmcnt(0)
	v_mul_f64 v[4:5], v[112:113], v[148:149]
	v_add_f64 v[156:157], v[156:157], v[158:159]
	v_mul_f64 v[158:159], v[110:111], v[148:149]
	s_waitcnt vmcnt(6)
	v_fma_f64 v[4:5], v[110:111], v[150:151], -v[4:5]
	v_fmac_f64_e32 v[158:159], v[112:113], v[150:151]
	v_add_f64 v[2:3], v[2:3], v[4:5]
	s_waitcnt vmcnt(5)
	v_mul_f64 v[4:5], v[116:117], v[144:145]
	v_add_f64 v[156:157], v[156:157], v[158:159]
	v_mul_f64 v[158:159], v[114:115], v[144:145]
	s_waitcnt vmcnt(4)
	v_fma_f64 v[4:5], v[114:115], v[146:147], -v[4:5]
	v_fmac_f64_e32 v[158:159], v[116:117], v[146:147]
	v_add_f64 v[2:3], v[2:3], v[4:5]
	v_add_f64 v[156:157], v[156:157], v[158:159]
	s_waitcnt vmcnt(2)
	v_add_f64 v[2:3], v[152:153], -v[2:3]
	s_waitcnt vmcnt(0)
	v_add_f64 v[4:5], v[154:155], -v[156:157]
	buffer_store_dword v3, off, s[0:3], 0 offset:20
	buffer_store_dword v2, off, s[0:3], 0 offset:16
	;; [unrolled: 1-line block ×4, first 2 shown]
	s_and_saveexec_b64 s[6:7], vcc
	s_cbranch_execz .LBB14_103
; %bb.102:
	buffer_load_dword v2, off, s[0:3], 0
	buffer_load_dword v3, off, s[0:3], 0 offset:4
	buffer_load_dword v4, off, s[0:3], 0 offset:8
	;; [unrolled: 1-line block ×3, first 2 shown]
	s_nop 0
	buffer_store_dword v69, off, s[0:3], 0
	buffer_store_dword v69, off, s[0:3], 0 offset:4
	buffer_store_dword v69, off, s[0:3], 0 offset:8
	;; [unrolled: 1-line block ×3, first 2 shown]
	s_waitcnt vmcnt(4)
	ds_write_b128 v68, v[2:5]
.LBB14_103:
	s_or_b64 exec, exec, s[6:7]
	s_waitcnt lgkmcnt(0)
	; wave barrier
	s_waitcnt lgkmcnt(0)
	buffer_load_dword v2, off, s[0:3], 0 offset:16
	buffer_load_dword v3, off, s[0:3], 0 offset:20
	;; [unrolled: 1-line block ×56, first 2 shown]
	buffer_load_dword v160, off, s[0:3], 0
	buffer_load_dword v161, off, s[0:3], 0 offset:4
	buffer_load_dword v162, off, s[0:3], 0 offset:8
	;; [unrolled: 1-line block ×3, first 2 shown]
	ds_read_b128 v[70:73], v69 offset:256
	ds_read_b128 v[74:77], v69 offset:272
	;; [unrolled: 1-line block ×8, first 2 shown]
	s_and_b64 vcc, exec, s[26:27]
	ds_read_b128 v[122:125], v69 offset:464
	s_waitcnt vmcnt(56) lgkmcnt(8)
	v_mul_f64 v[102:103], v[70:71], v[6:7]
	v_fmac_f64_e32 v[102:103], v[72:73], v[2:3]
	v_add_f64 v[102:103], v[102:103], 0
	v_mul_f64 v[6:7], v[72:73], v[6:7]
	s_waitcnt vmcnt(52) lgkmcnt(7)
	v_mul_f64 v[104:105], v[74:75], v[8:9]
	v_fmac_f64_e32 v[104:105], v[76:77], v[4:5]
	s_waitcnt vmcnt(50) lgkmcnt(6)
	v_mul_f64 v[106:107], v[78:79], v[10:11]
	v_add_f64 v[102:103], v[102:103], v[104:105]
	s_waitcnt vmcnt(48) lgkmcnt(4)
	v_mul_f64 v[110:111], v[86:87], v[12:13]
	v_fma_f64 v[2:3], v[70:71], v[2:3], -v[6:7]
	s_waitcnt vmcnt(46)
	v_fmac_f64_e32 v[110:111], v[88:89], v[14:15]
	v_mul_f64 v[6:7], v[76:77], v[8:9]
	s_waitcnt vmcnt(44)
	v_mul_f64 v[108:109], v[82:83], v[16:17]
	v_add_f64 v[2:3], v[2:3], 0
	v_fma_f64 v[4:5], v[74:75], v[4:5], -v[6:7]
	v_add_f64 v[2:3], v[2:3], v[4:5]
	s_waitcnt vmcnt(40) lgkmcnt(3)
	v_mul_f64 v[112:113], v[90:91], v[52:53]
	v_mul_f64 v[4:5], v[80:81], v[10:11]
	s_waitcnt vmcnt(38)
	v_fmac_f64_e32 v[106:107], v[80:81], v[126:127]
	v_add_f64 v[102:103], v[102:103], v[106:107]
	s_waitcnt vmcnt(36)
	v_fmac_f64_e32 v[108:109], v[84:85], v[128:129]
	v_add_f64 v[102:103], v[102:103], v[108:109]
	;; [unrolled: 3-line block ×3, first 2 shown]
	s_waitcnt vmcnt(32) lgkmcnt(2)
	v_mul_f64 v[104:105], v[94:95], v[48:49]
	v_add_f64 v[102:103], v[102:103], v[112:113]
	v_fmac_f64_e32 v[104:105], v[96:97], v[50:51]
	v_add_f64 v[106:107], v[102:103], v[104:105]
	ds_read_b128 v[102:105], v69 offset:384
	v_fma_f64 v[4:5], v[78:79], v[126:127], -v[4:5]
	v_add_f64 v[2:3], v[2:3], v[4:5]
	v_mul_f64 v[4:5], v[84:85], v[16:17]
	v_fma_f64 v[4:5], v[82:83], v[128:129], -v[4:5]
	s_waitcnt vmcnt(28) lgkmcnt(2)
	v_mul_f64 v[108:109], v[98:99], v[136:137]
	v_add_f64 v[2:3], v[2:3], v[4:5]
	v_mul_f64 v[4:5], v[88:89], v[12:13]
	s_waitcnt vmcnt(26)
	v_fmac_f64_e32 v[108:109], v[100:101], v[138:139]
	v_fma_f64 v[4:5], v[86:87], v[14:15], -v[4:5]
	v_add_f64 v[110:111], v[106:107], v[108:109]
	ds_read_b128 v[106:109], v69 offset:400
	s_waitcnt vmcnt(24) lgkmcnt(1)
	v_mul_f64 v[112:113], v[102:103], v[132:133]
	v_add_f64 v[2:3], v[2:3], v[4:5]
	v_mul_f64 v[4:5], v[92:93], v[52:53]
	v_fmac_f64_e32 v[112:113], v[104:105], v[134:135]
	v_fma_f64 v[4:5], v[90:91], v[130:131], -v[4:5]
	v_add_f64 v[114:115], v[110:111], v[112:113]
	ds_read_b128 v[110:113], v69 offset:416
	v_add_f64 v[2:3], v[2:3], v[4:5]
	v_mul_f64 v[4:5], v[96:97], v[48:49]
	v_fma_f64 v[4:5], v[94:95], v[50:51], -v[4:5]
	v_add_f64 v[2:3], v[2:3], v[4:5]
	v_mul_f64 v[4:5], v[100:101], v[136:137]
	s_waitcnt vmcnt(20) lgkmcnt(1)
	v_mul_f64 v[116:117], v[106:107], v[144:145]
	v_fma_f64 v[4:5], v[98:99], v[138:139], -v[4:5]
	s_waitcnt vmcnt(18)
	v_fmac_f64_e32 v[116:117], v[108:109], v[146:147]
	v_add_f64 v[2:3], v[2:3], v[4:5]
	v_mul_f64 v[4:5], v[104:105], v[132:133]
	v_add_f64 v[118:119], v[114:115], v[116:117]
	ds_read_b128 v[114:117], v69 offset:432
	s_waitcnt vmcnt(16) lgkmcnt(1)
	v_mul_f64 v[120:121], v[110:111], v[140:141]
	v_fma_f64 v[4:5], v[102:103], v[134:135], -v[4:5]
	v_fmac_f64_e32 v[120:121], v[112:113], v[142:143]
	v_add_f64 v[2:3], v[2:3], v[4:5]
	v_mul_f64 v[4:5], v[108:109], v[144:145]
	v_add_f64 v[164:165], v[118:119], v[120:121]
	ds_read_b128 v[118:121], v69 offset:448
	v_fma_f64 v[4:5], v[106:107], v[146:147], -v[4:5]
	v_add_f64 v[2:3], v[2:3], v[4:5]
	v_mul_f64 v[4:5], v[112:113], v[140:141]
	v_fma_f64 v[4:5], v[110:111], v[142:143], -v[4:5]
	v_add_f64 v[2:3], v[2:3], v[4:5]
	s_waitcnt vmcnt(12) lgkmcnt(1)
	v_mul_f64 v[4:5], v[116:117], v[152:153]
	v_mul_f64 v[166:167], v[114:115], v[152:153]
	s_waitcnt vmcnt(10)
	v_fma_f64 v[4:5], v[114:115], v[154:155], -v[4:5]
	v_fmac_f64_e32 v[166:167], v[116:117], v[154:155]
	v_add_f64 v[2:3], v[2:3], v[4:5]
	s_waitcnt vmcnt(8) lgkmcnt(0)
	v_mul_f64 v[4:5], v[120:121], v[148:149]
	v_add_f64 v[68:69], v[164:165], v[166:167]
	v_mul_f64 v[164:165], v[118:119], v[148:149]
	v_fma_f64 v[4:5], v[118:119], v[150:151], -v[4:5]
	v_fmac_f64_e32 v[164:165], v[120:121], v[150:151]
	v_add_f64 v[2:3], v[2:3], v[4:5]
	s_waitcnt vmcnt(6)
	v_mul_f64 v[4:5], v[124:125], v[156:157]
	v_add_f64 v[68:69], v[68:69], v[164:165]
	v_mul_f64 v[164:165], v[122:123], v[156:157]
	s_waitcnt vmcnt(4)
	v_fma_f64 v[4:5], v[122:123], v[158:159], -v[4:5]
	v_fmac_f64_e32 v[164:165], v[124:125], v[158:159]
	v_add_f64 v[2:3], v[2:3], v[4:5]
	v_add_f64 v[68:69], v[68:69], v[164:165]
	s_waitcnt vmcnt(2)
	v_add_f64 v[2:3], v[160:161], -v[2:3]
	s_waitcnt vmcnt(0)
	v_add_f64 v[4:5], v[162:163], -v[68:69]
	buffer_store_dword v3, off, s[0:3], 0 offset:4
	buffer_store_dword v2, off, s[0:3], 0
	buffer_store_dword v5, off, s[0:3], 0 offset:12
	buffer_store_dword v4, off, s[0:3], 0 offset:8
	s_cbranch_vccz .LBB14_133
; %bb.104:
	v_pk_mov_b32 v[2:3], s[24:25], s[24:25] op_sel:[0,1]
	flat_load_dword v2, v[2:3] offset:52
	s_load_dwordx2 s[4:5], s[4:5], 0x4
	v_bfe_u32 v4, v0, 10, 10
	v_bfe_u32 v0, v0, 20, 10
	s_waitcnt lgkmcnt(0)
	s_lshr_b32 s4, s4, 16
	s_mul_i32 s4, s4, s5
	v_mul_u32_u24_e32 v3, s4, v67
	v_mul_u32_u24_e32 v4, s5, v4
	v_add3_u32 v0, v3, v4, v0
	v_mov_b32_e32 v3, 0x1e8
	v_lshl_add_u32 v0, v0, 4, v3
	s_waitcnt vmcnt(0)
	v_add_u32_e32 v2, -1, v2
	v_cmp_ne_u32_e32 vcc, 13, v2
	s_and_saveexec_b64 s[4:5], vcc
	s_cbranch_execz .LBB14_106
; %bb.105:
	v_mov_b32_e32 v3, 0
	v_lshl_add_u32 v6, v2, 4, v3
	buffer_load_dword v2, v54, s[0:3], 0 offen
	buffer_load_dword v3, v54, s[0:3], 0 offen offset:4
	buffer_load_dword v4, v54, s[0:3], 0 offen offset:8
	buffer_load_dword v5, v54, s[0:3], 0 offen offset:12
	buffer_load_dword v7, v6, s[0:3], 0 offen
	buffer_load_dword v8, v6, s[0:3], 0 offen offset:4
	buffer_load_dword v9, v6, s[0:3], 0 offen offset:8
	buffer_load_dword v10, v6, s[0:3], 0 offen offset:12
	s_waitcnt vmcnt(4)
	ds_write2_b64 v0, v[2:3], v[4:5] offset1:1
	s_waitcnt vmcnt(3)
	buffer_store_dword v7, v54, s[0:3], 0 offen
	s_waitcnt vmcnt(3)
	buffer_store_dword v8, v54, s[0:3], 0 offen offset:4
	s_waitcnt vmcnt(3)
	buffer_store_dword v9, v54, s[0:3], 0 offen offset:8
	s_waitcnt vmcnt(3)
	buffer_store_dword v10, v54, s[0:3], 0 offen offset:12
	buffer_store_dword v5, v6, s[0:3], 0 offen offset:12
	buffer_store_dword v4, v6, s[0:3], 0 offen offset:8
	buffer_store_dword v3, v6, s[0:3], 0 offen offset:4
	buffer_store_dword v2, v6, s[0:3], 0 offen
.LBB14_106:
	s_or_b64 exec, exec, s[4:5]
	v_pk_mov_b32 v[2:3], s[24:25], s[24:25] op_sel:[0,1]
	flat_load_dword v2, v[2:3] offset:48
	s_waitcnt vmcnt(0) lgkmcnt(0)
	v_add_u32_e32 v2, -1, v2
	v_cmp_ne_u32_e32 vcc, 12, v2
	s_and_saveexec_b64 s[4:5], vcc
	s_cbranch_execz .LBB14_108
; %bb.107:
	v_mov_b32_e32 v3, 0
	v_lshl_add_u32 v6, v2, 4, v3
	buffer_load_dword v2, v1, s[0:3], 0 offen
	buffer_load_dword v3, v1, s[0:3], 0 offen offset:4
	buffer_load_dword v4, v1, s[0:3], 0 offen offset:8
	buffer_load_dword v5, v1, s[0:3], 0 offen offset:12
	buffer_load_dword v7, v6, s[0:3], 0 offen
	buffer_load_dword v8, v6, s[0:3], 0 offen offset:4
	buffer_load_dword v9, v6, s[0:3], 0 offen offset:8
	buffer_load_dword v10, v6, s[0:3], 0 offen offset:12
	s_waitcnt vmcnt(4)
	ds_write2_b64 v0, v[2:3], v[4:5] offset1:1
	s_waitcnt vmcnt(3)
	buffer_store_dword v7, v1, s[0:3], 0 offen
	s_waitcnt vmcnt(3)
	buffer_store_dword v8, v1, s[0:3], 0 offen offset:4
	s_waitcnt vmcnt(3)
	buffer_store_dword v9, v1, s[0:3], 0 offen offset:8
	s_waitcnt vmcnt(3)
	buffer_store_dword v10, v1, s[0:3], 0 offen offset:12
	buffer_store_dword v5, v6, s[0:3], 0 offen offset:12
	buffer_store_dword v4, v6, s[0:3], 0 offen offset:8
	buffer_store_dword v3, v6, s[0:3], 0 offen offset:4
	buffer_store_dword v2, v6, s[0:3], 0 offen
.LBB14_108:
	s_or_b64 exec, exec, s[4:5]
	v_pk_mov_b32 v[2:3], s[24:25], s[24:25] op_sel:[0,1]
	flat_load_dword v2, v[2:3] offset:44
	s_waitcnt vmcnt(0) lgkmcnt(0)
	;; [unrolled: 34-line block ×12, first 2 shown]
	v_add_u32_e32 v2, -1, v2
	v_cmp_ne_u32_e32 vcc, 1, v2
	s_and_saveexec_b64 s[4:5], vcc
	s_cbranch_execz .LBB14_130
; %bb.129:
	v_mov_b32_e32 v3, 0
	v_lshl_add_u32 v6, v2, 4, v3
	buffer_load_dword v2, v65, s[0:3], 0 offen
	buffer_load_dword v3, v65, s[0:3], 0 offen offset:4
	buffer_load_dword v4, v65, s[0:3], 0 offen offset:8
	;; [unrolled: 1-line block ×3, first 2 shown]
	buffer_load_dword v7, v6, s[0:3], 0 offen
	buffer_load_dword v8, v6, s[0:3], 0 offen offset:4
	buffer_load_dword v9, v6, s[0:3], 0 offen offset:8
	;; [unrolled: 1-line block ×3, first 2 shown]
	s_waitcnt vmcnt(4)
	ds_write2_b64 v0, v[2:3], v[4:5] offset1:1
	s_waitcnt vmcnt(3)
	buffer_store_dword v7, v65, s[0:3], 0 offen
	s_waitcnt vmcnt(3)
	buffer_store_dword v8, v65, s[0:3], 0 offen offset:4
	s_waitcnt vmcnt(3)
	buffer_store_dword v9, v65, s[0:3], 0 offen offset:8
	;; [unrolled: 2-line block ×3, first 2 shown]
	buffer_store_dword v5, v6, s[0:3], 0 offen offset:12
	buffer_store_dword v4, v6, s[0:3], 0 offen offset:8
	;; [unrolled: 1-line block ×3, first 2 shown]
	buffer_store_dword v2, v6, s[0:3], 0 offen
.LBB14_130:
	s_or_b64 exec, exec, s[4:5]
	v_pk_mov_b32 v[2:3], s[24:25], s[24:25] op_sel:[0,1]
	flat_load_dword v2, v[2:3]
	s_waitcnt vmcnt(0) lgkmcnt(0)
	v_add_u32_e32 v2, -1, v2
	v_cmp_ne_u32_e32 vcc, 0, v2
	s_and_saveexec_b64 s[4:5], vcc
	s_cbranch_execz .LBB14_132
; %bb.131:
	v_mov_b32_e32 v3, 0
	v_lshl_add_u32 v6, v2, 4, v3
	buffer_load_dword v2, off, s[0:3], 0
	buffer_load_dword v3, off, s[0:3], 0 offset:4
	buffer_load_dword v4, off, s[0:3], 0 offset:8
	;; [unrolled: 1-line block ×3, first 2 shown]
	buffer_load_dword v7, v6, s[0:3], 0 offen
	buffer_load_dword v8, v6, s[0:3], 0 offen offset:4
	buffer_load_dword v9, v6, s[0:3], 0 offen offset:8
	;; [unrolled: 1-line block ×3, first 2 shown]
	s_waitcnt vmcnt(4)
	ds_write2_b64 v0, v[2:3], v[4:5] offset1:1
	s_waitcnt vmcnt(3)
	buffer_store_dword v7, off, s[0:3], 0
	s_waitcnt vmcnt(3)
	buffer_store_dword v8, off, s[0:3], 0 offset:4
	s_waitcnt vmcnt(3)
	buffer_store_dword v9, off, s[0:3], 0 offset:8
	;; [unrolled: 2-line block ×3, first 2 shown]
	buffer_store_dword v5, v6, s[0:3], 0 offen offset:12
	buffer_store_dword v4, v6, s[0:3], 0 offen offset:8
	;; [unrolled: 1-line block ×3, first 2 shown]
	buffer_store_dword v2, v6, s[0:3], 0 offen
.LBB14_132:
	s_or_b64 exec, exec, s[4:5]
.LBB14_133:
	buffer_load_dword v2, off, s[0:3], 0
	buffer_load_dword v3, off, s[0:3], 0 offset:4
	buffer_load_dword v4, off, s[0:3], 0 offset:8
	;; [unrolled: 1-line block ×3, first 2 shown]
	buffer_load_dword v6, v65, s[0:3], 0 offen
	buffer_load_dword v7, v65, s[0:3], 0 offen offset:4
	buffer_load_dword v8, v65, s[0:3], 0 offen offset:8
	buffer_load_dword v9, v65, s[0:3], 0 offen offset:12
	buffer_load_dword v11, v64, s[0:3], 0 offen offset:4
	buffer_load_dword v12, v64, s[0:3], 0 offen offset:8
	buffer_load_dword v13, v64, s[0:3], 0 offen offset:12
	buffer_load_dword v14, v66, s[0:3], 0 offen
	buffer_load_dword v15, v66, s[0:3], 0 offen offset:4
	buffer_load_dword v16, v66, s[0:3], 0 offen offset:8
	buffer_load_dword v10, v64, s[0:3], 0 offen
	buffer_load_dword v17, v66, s[0:3], 0 offen offset:12
	buffer_load_dword v49, v62, s[0:3], 0 offen offset:4
	;; [unrolled: 1-line block ×4, first 2 shown]
                                        ; kill: killed $vgpr65
                                        ; kill: killed $vgpr66
                                        ; kill: killed $vgpr64
	s_nop 0
	buffer_load_dword v64, v60, s[0:3], 0 offen
	buffer_load_dword v65, v60, s[0:3], 0 offen offset:4
	buffer_load_dword v66, v60, s[0:3], 0 offen offset:8
	buffer_load_dword v48, v62, s[0:3], 0 offen
	buffer_load_dword v67, v60, s[0:3], 0 offen offset:12
	buffer_load_dword v69, v63, s[0:3], 0 offen offset:4
	;; [unrolled: 1-line block ×4, first 2 shown]
	buffer_load_dword v72, v61, s[0:3], 0 offen
	buffer_load_dword v73, v61, s[0:3], 0 offen offset:4
	buffer_load_dword v74, v61, s[0:3], 0 offen offset:8
	buffer_load_dword v68, v63, s[0:3], 0 offen
	buffer_load_dword v75, v61, s[0:3], 0 offen offset:12
	buffer_load_dword v77, v56, s[0:3], 0 offen offset:4
	;; [unrolled: 1-line block ×3, first 2 shown]
                                        ; kill: killed $vgpr62
                                        ; kill: killed $vgpr63
                                        ; kill: killed $vgpr60
                                        ; kill: killed $vgpr61
	buffer_load_dword v79, v56, s[0:3], 0 offen offset:12
	buffer_load_dword v60, v58, s[0:3], 0 offen
	s_nop 0
	buffer_load_dword v61, v58, s[0:3], 0 offen offset:4
	buffer_load_dword v62, v58, s[0:3], 0 offen offset:8
	buffer_load_dword v76, v56, s[0:3], 0 offen
	buffer_load_dword v63, v58, s[0:3], 0 offen offset:12
	buffer_load_dword v81, v57, s[0:3], 0 offen offset:4
	;; [unrolled: 1-line block ×4, first 2 shown]
	buffer_load_dword v84, v59, s[0:3], 0 offen
	buffer_load_dword v85, v59, s[0:3], 0 offen offset:4
	buffer_load_dword v86, v59, s[0:3], 0 offen offset:8
	buffer_load_dword v80, v57, s[0:3], 0 offen
	buffer_load_dword v87, v59, s[0:3], 0 offen offset:12
	buffer_load_dword v89, v1, s[0:3], 0 offen offset:4
                                        ; kill: killed $vgpr58
                                        ; kill: killed $vgpr59
                                        ; kill: killed $vgpr56
                                        ; kill: killed $vgpr57
	buffer_load_dword v90, v1, s[0:3], 0 offen offset:8
	buffer_load_dword v91, v1, s[0:3], 0 offen offset:12
	buffer_load_dword v56, v54, s[0:3], 0 offen
	buffer_load_dword v57, v54, s[0:3], 0 offen offset:4
	buffer_load_dword v58, v54, s[0:3], 0 offen offset:8
	buffer_load_dword v88, v1, s[0:3], 0 offen
	buffer_load_dword v59, v54, s[0:3], 0 offen offset:12
	buffer_load_dword v92, v55, s[0:3], 0 offen
	buffer_load_dword v93, v55, s[0:3], 0 offen offset:4
	buffer_load_dword v94, v55, s[0:3], 0 offen offset:8
	;; [unrolled: 1-line block ×3, first 2 shown]
	s_waitcnt vmcnt(56)
	global_store_dwordx4 v[18:19], v[2:5], off
	s_waitcnt vmcnt(53)
	global_store_dwordx4 v[20:21], v[6:9], off
	;; [unrolled: 2-line block ×15, first 2 shown]
	s_endpgm
	.section	.rodata,"a",@progbits
	.p2align	6, 0x0
	.amdhsa_kernel _ZN9rocsolver6v33100L18getri_kernel_smallILi15E19rocblas_complex_numIdEPS3_EEvT1_iilPiilS6_bb
		.amdhsa_group_segment_fixed_size 1512
		.amdhsa_private_segment_fixed_size 256
		.amdhsa_kernarg_size 60
		.amdhsa_user_sgpr_count 10
		.amdhsa_user_sgpr_private_segment_buffer 1
		.amdhsa_user_sgpr_dispatch_ptr 1
		.amdhsa_user_sgpr_queue_ptr 0
		.amdhsa_user_sgpr_kernarg_segment_ptr 1
		.amdhsa_user_sgpr_dispatch_id 0
		.amdhsa_user_sgpr_flat_scratch_init 1
		.amdhsa_user_sgpr_kernarg_preload_length 0
		.amdhsa_user_sgpr_kernarg_preload_offset 0
		.amdhsa_user_sgpr_private_segment_size 0
		.amdhsa_uses_dynamic_stack 0
		.amdhsa_system_sgpr_private_segment_wavefront_offset 1
		.amdhsa_system_sgpr_workgroup_id_x 1
		.amdhsa_system_sgpr_workgroup_id_y 0
		.amdhsa_system_sgpr_workgroup_id_z 0
		.amdhsa_system_sgpr_workgroup_info 0
		.amdhsa_system_vgpr_workitem_id 2
		.amdhsa_next_free_vgpr 168
		.amdhsa_next_free_sgpr 28
		.amdhsa_accum_offset 168
		.amdhsa_reserve_vcc 1
		.amdhsa_reserve_flat_scratch 1
		.amdhsa_float_round_mode_32 0
		.amdhsa_float_round_mode_16_64 0
		.amdhsa_float_denorm_mode_32 3
		.amdhsa_float_denorm_mode_16_64 3
		.amdhsa_dx10_clamp 1
		.amdhsa_ieee_mode 1
		.amdhsa_fp16_overflow 0
		.amdhsa_tg_split 0
		.amdhsa_exception_fp_ieee_invalid_op 0
		.amdhsa_exception_fp_denorm_src 0
		.amdhsa_exception_fp_ieee_div_zero 0
		.amdhsa_exception_fp_ieee_overflow 0
		.amdhsa_exception_fp_ieee_underflow 0
		.amdhsa_exception_fp_ieee_inexact 0
		.amdhsa_exception_int_div_zero 0
	.end_amdhsa_kernel
	.section	.text._ZN9rocsolver6v33100L18getri_kernel_smallILi15E19rocblas_complex_numIdEPS3_EEvT1_iilPiilS6_bb,"axG",@progbits,_ZN9rocsolver6v33100L18getri_kernel_smallILi15E19rocblas_complex_numIdEPS3_EEvT1_iilPiilS6_bb,comdat
.Lfunc_end14:
	.size	_ZN9rocsolver6v33100L18getri_kernel_smallILi15E19rocblas_complex_numIdEPS3_EEvT1_iilPiilS6_bb, .Lfunc_end14-_ZN9rocsolver6v33100L18getri_kernel_smallILi15E19rocblas_complex_numIdEPS3_EEvT1_iilPiilS6_bb
                                        ; -- End function
	.section	.AMDGPU.csdata,"",@progbits
; Kernel info:
; codeLenInByte = 22440
; NumSgprs: 34
; NumVgprs: 168
; NumAgprs: 0
; TotalNumVgprs: 168
; ScratchSize: 256
; MemoryBound: 0
; FloatMode: 240
; IeeeMode: 1
; LDSByteSize: 1512 bytes/workgroup (compile time only)
; SGPRBlocks: 4
; VGPRBlocks: 20
; NumSGPRsForWavesPerEU: 34
; NumVGPRsForWavesPerEU: 168
; AccumOffset: 168
; Occupancy: 3
; WaveLimiterHint : 1
; COMPUTE_PGM_RSRC2:SCRATCH_EN: 1
; COMPUTE_PGM_RSRC2:USER_SGPR: 10
; COMPUTE_PGM_RSRC2:TRAP_HANDLER: 0
; COMPUTE_PGM_RSRC2:TGID_X_EN: 1
; COMPUTE_PGM_RSRC2:TGID_Y_EN: 0
; COMPUTE_PGM_RSRC2:TGID_Z_EN: 0
; COMPUTE_PGM_RSRC2:TIDIG_COMP_CNT: 2
; COMPUTE_PGM_RSRC3_GFX90A:ACCUM_OFFSET: 41
; COMPUTE_PGM_RSRC3_GFX90A:TG_SPLIT: 0
	.section	.text._ZN9rocsolver6v33100L18getri_kernel_smallILi16E19rocblas_complex_numIdEPS3_EEvT1_iilPiilS6_bb,"axG",@progbits,_ZN9rocsolver6v33100L18getri_kernel_smallILi16E19rocblas_complex_numIdEPS3_EEvT1_iilPiilS6_bb,comdat
	.globl	_ZN9rocsolver6v33100L18getri_kernel_smallILi16E19rocblas_complex_numIdEPS3_EEvT1_iilPiilS6_bb ; -- Begin function _ZN9rocsolver6v33100L18getri_kernel_smallILi16E19rocblas_complex_numIdEPS3_EEvT1_iilPiilS6_bb
	.p2align	8
	.type	_ZN9rocsolver6v33100L18getri_kernel_smallILi16E19rocblas_complex_numIdEPS3_EEvT1_iilPiilS6_bb,@function
_ZN9rocsolver6v33100L18getri_kernel_smallILi16E19rocblas_complex_numIdEPS3_EEvT1_iilPiilS6_bb: ; @_ZN9rocsolver6v33100L18getri_kernel_smallILi16E19rocblas_complex_numIdEPS3_EEvT1_iilPiilS6_bb
; %bb.0:
	s_add_u32 flat_scratch_lo, s8, s11
	s_addc_u32 flat_scratch_hi, s9, 0
	s_add_u32 s0, s0, s11
	v_and_b32_e32 v76, 0x3ff, v0
	s_addc_u32 s1, s1, 0
	v_cmp_gt_u32_e32 vcc, 16, v76
	s_and_saveexec_b64 s[8:9], vcc
	s_cbranch_execz .LBB15_78
; %bb.1:
	s_load_dword s8, s[6:7], 0x38
	s_load_dwordx4 s[20:23], s[6:7], 0x10
	s_load_dwordx4 s[12:15], s[6:7], 0x28
                                        ; implicit-def: $sgpr24_sgpr25
	s_waitcnt lgkmcnt(0)
	s_bitcmp1_b32 s8, 8
	s_cselect_b64 s[26:27], -1, 0
	s_ashr_i32 s11, s10, 31
	s_bfe_u32 s9, s8, 0x10008
	s_cmp_eq_u32 s9, 0
	s_cbranch_scc1 .LBB15_3
; %bb.2:
	s_load_dword s16, s[6:7], 0x20
	s_mul_i32 s9, s10, s13
	s_mul_hi_u32 s13, s10, s12
	s_mul_i32 s18, s11, s12
	s_add_i32 s9, s13, s9
	s_add_i32 s13, s9, s18
	s_mul_i32 s12, s10, s12
	s_waitcnt lgkmcnt(0)
	s_ashr_i32 s17, s16, 31
	s_lshl_b64 s[12:13], s[12:13], 2
	s_add_u32 s9, s22, s12
	s_addc_u32 s18, s23, s13
	s_lshl_b64 s[12:13], s[16:17], 2
	s_add_u32 s24, s9, s12
	s_addc_u32 s25, s18, s13
.LBB15_3:
	s_load_dwordx4 s[16:19], s[6:7], 0x0
	s_mul_i32 s6, s10, s21
	s_mul_hi_u32 s7, s10, s20
	s_add_i32 s9, s7, s6
	s_mul_i32 s12, s11, s20
	s_add_i32 s13, s9, s12
	s_mul_i32 s12, s10, s20
	s_waitcnt lgkmcnt(0)
	s_ashr_i32 s7, s18, 31
	s_lshl_b64 s[12:13], s[12:13], 4
	s_mov_b32 s6, s18
	s_add_u32 s9, s16, s12
	s_addc_u32 s12, s17, s13
	s_lshl_b64 s[6:7], s[6:7], 4
	s_add_u32 s6, s9, s6
	s_addc_u32 s7, s12, s7
	v_lshlrev_b32_e32 v54, 4, v76
	v_mov_b32_e32 v1, s7
	v_add_co_u32_e32 v22, vcc, s6, v54
	s_ashr_i32 s13, s19, 31
	s_mov_b32 s12, s19
	s_add_i32 s9, s19, s19
	v_addc_co_u32_e32 v23, vcc, 0, v1, vcc
	s_lshl_b64 s[12:13], s[12:13], 4
	v_add_u32_e32 v14, s9, v76
	v_mov_b32_e32 v1, s13
	v_add_co_u32_e32 v24, vcc, s12, v22
	v_ashrrev_i32_e32 v15, 31, v14
	v_addc_co_u32_e32 v25, vcc, v23, v1, vcc
	v_lshlrev_b64 v[6:7], 4, v[14:15]
	v_add_u32_e32 v14, s19, v14
	v_mov_b32_e32 v1, s7
	v_add_co_u32_e32 v26, vcc, s6, v6
	v_ashrrev_i32_e32 v15, 31, v14
	v_addc_co_u32_e32 v27, vcc, v1, v7, vcc
	v_lshlrev_b64 v[16:17], 4, v[14:15]
	v_add_u32_e32 v32, s19, v14
	v_add_co_u32_e32 v28, vcc, s6, v16
	v_ashrrev_i32_e32 v33, 31, v32
	v_addc_co_u32_e32 v29, vcc, v1, v17, vcc
	v_lshlrev_b64 v[14:15], 4, v[32:33]
	v_add_u32_e32 v32, s19, v32
	v_add_co_u32_e32 v30, vcc, s6, v14
	v_ashrrev_i32_e32 v33, 31, v32
	v_addc_co_u32_e32 v31, vcc, v1, v15, vcc
	v_add_u32_e32 v34, s19, v32
	v_lshlrev_b64 v[32:33], 4, v[32:33]
	v_mov_b32_e32 v35, s7
	v_add_co_u32_e32 v32, vcc, s6, v32
	v_addc_co_u32_e32 v33, vcc, v35, v33, vcc
	v_ashrrev_i32_e32 v35, 31, v34
	v_add_u32_e32 v36, s19, v34
	v_lshlrev_b64 v[34:35], 4, v[34:35]
	v_mov_b32_e32 v37, s7
	v_add_co_u32_e32 v34, vcc, s6, v34
	v_addc_co_u32_e32 v35, vcc, v37, v35, vcc
	v_ashrrev_i32_e32 v37, 31, v36
	v_add_u32_e32 v38, s19, v36
	v_lshlrev_b64 v[36:37], 4, v[36:37]
	v_mov_b32_e32 v39, s7
	v_add_co_u32_e32 v36, vcc, s6, v36
	v_addc_co_u32_e32 v37, vcc, v39, v37, vcc
	v_ashrrev_i32_e32 v39, 31, v38
	v_add_u32_e32 v40, s19, v38
	v_lshlrev_b64 v[38:39], 4, v[38:39]
	v_mov_b32_e32 v41, s7
	v_add_co_u32_e32 v38, vcc, s6, v38
	v_addc_co_u32_e32 v39, vcc, v41, v39, vcc
	v_ashrrev_i32_e32 v41, 31, v40
	v_add_u32_e32 v42, s19, v40
	v_lshlrev_b64 v[40:41], 4, v[40:41]
	v_mov_b32_e32 v43, s7
	v_add_co_u32_e32 v40, vcc, s6, v40
	v_addc_co_u32_e32 v41, vcc, v43, v41, vcc
	v_ashrrev_i32_e32 v43, 31, v42
	v_add_u32_e32 v44, s19, v42
	v_lshlrev_b64 v[42:43], 4, v[42:43]
	v_mov_b32_e32 v45, s7
	v_add_co_u32_e32 v42, vcc, s6, v42
	v_addc_co_u32_e32 v43, vcc, v45, v43, vcc
	v_ashrrev_i32_e32 v45, 31, v44
	v_add_u32_e32 v46, s19, v44
	v_lshlrev_b64 v[44:45], 4, v[44:45]
	v_mov_b32_e32 v47, s7
	v_add_co_u32_e32 v44, vcc, s6, v44
	v_addc_co_u32_e32 v45, vcc, v47, v45, vcc
	v_ashrrev_i32_e32 v47, 31, v46
	v_add_u32_e32 v48, s19, v46
	v_lshlrev_b64 v[46:47], 4, v[46:47]
	v_mov_b32_e32 v49, s7
	v_add_co_u32_e32 v46, vcc, s6, v46
	v_addc_co_u32_e32 v47, vcc, v49, v47, vcc
	v_ashrrev_i32_e32 v49, 31, v48
	v_add_u32_e32 v50, s19, v48
	v_lshlrev_b64 v[48:49], 4, v[48:49]
	v_mov_b32_e32 v51, s7
	v_add_co_u32_e32 v48, vcc, s6, v48
	v_add_u32_e32 v52, s19, v50
	v_addc_co_u32_e32 v49, vcc, v51, v49, vcc
	v_ashrrev_i32_e32 v51, 31, v50
	v_ashrrev_i32_e32 v53, 31, v52
	v_lshlrev_b64 v[50:51], 4, v[50:51]
	v_lshlrev_b64 v[98:99], 4, v[52:53]
	v_mov_b32_e32 v53, s7
	v_add_co_u32_e32 v52, vcc, s6, v50
	v_addc_co_u32_e32 v53, vcc, v53, v51, vcc
	global_load_dwordx4 v[2:5], v54, s[6:7]
	global_load_dwordx4 v[6:9], v[24:25], off
	global_load_dwordx4 v[10:13], v[26:27], off
	;; [unrolled: 1-line block ×8, first 2 shown]
	v_add_co_u32_e32 v50, vcc, s6, v98
	v_addc_co_u32_e32 v51, vcc, v1, v99, vcc
	global_load_dwordx4 v[72:75], v[40:41], off
	global_load_dwordx4 v[78:81], v[42:43], off
	global_load_dwordx4 v[82:85], v[44:45], off
	global_load_dwordx4 v[86:89], v[46:47], off
	global_load_dwordx4 v[90:93], v[48:49], off
	global_load_dwordx4 v[98:101], v[50:51], off
	global_load_dwordx4 v[94:97], v[52:53], off
	s_waitcnt vmcnt(15)
	buffer_store_dword v5, off, s[0:3], 0 offset:12
	buffer_store_dword v4, off, s[0:3], 0 offset:8
	;; [unrolled: 1-line block ×3, first 2 shown]
	buffer_store_dword v2, off, s[0:3], 0
	s_waitcnt vmcnt(18)
	buffer_store_dword v9, off, s[0:3], 0 offset:28
	buffer_store_dword v8, off, s[0:3], 0 offset:24
	buffer_store_dword v7, off, s[0:3], 0 offset:20
	buffer_store_dword v6, off, s[0:3], 0 offset:16
	s_waitcnt vmcnt(21)
	buffer_store_dword v13, off, s[0:3], 0 offset:44
	buffer_store_dword v12, off, s[0:3], 0 offset:40
	buffer_store_dword v11, off, s[0:3], 0 offset:36
	buffer_store_dword v10, off, s[0:3], 0 offset:32
	;; [unrolled: 5-line block ×9, first 2 shown]
	v_mov_b32_e32 v2, 0
	v_add_u32_e32 v73, 16, v2
	v_add_u32_e32 v74, 32, v2
	;; [unrolled: 1-line block ×15, first 2 shown]
	s_bitcmp0_b32 s8, 0
	s_mov_b64 s[8:9], -1
	s_waitcnt vmcnt(45)
	buffer_store_dword v78, off, s[0:3], 0 offset:160
	buffer_store_dword v79, off, s[0:3], 0 offset:164
	buffer_store_dword v80, off, s[0:3], 0 offset:168
	buffer_store_dword v81, off, s[0:3], 0 offset:172
	s_waitcnt vmcnt(48)
	buffer_store_dword v82, off, s[0:3], 0 offset:176
	buffer_store_dword v83, off, s[0:3], 0 offset:180
	buffer_store_dword v84, off, s[0:3], 0 offset:184
	buffer_store_dword v85, off, s[0:3], 0 offset:188
	;; [unrolled: 5-line block ×5, first 2 shown]
	buffer_store_dword v101, off, s[0:3], 0 offset:252
	buffer_store_dword v100, off, s[0:3], 0 offset:248
	;; [unrolled: 1-line block ×4, first 2 shown]
	s_cbranch_scc1 .LBB15_76
; %bb.4:
	v_cmp_eq_u32_e64 s[6:7], 0, v76
	s_and_saveexec_b64 s[8:9], s[6:7]
	s_cbranch_execz .LBB15_6
; %bb.5:
	v_mov_b32_e32 v2, 0
	ds_write_b32 v2, v2 offset:512
.LBB15_6:
	s_or_b64 exec, exec, s[8:9]
	v_mov_b32_e32 v2, 0
	v_lshl_add_u32 v12, v76, 4, v2
	s_waitcnt lgkmcnt(0)
	; wave barrier
	s_waitcnt lgkmcnt(0)
	buffer_load_dword v2, v12, s[0:3], 0 offen
	buffer_load_dword v3, v12, s[0:3], 0 offen offset:4
	buffer_load_dword v4, v12, s[0:3], 0 offen offset:8
	;; [unrolled: 1-line block ×3, first 2 shown]
	s_waitcnt vmcnt(2)
	v_cmp_eq_f64_e32 vcc, 0, v[2:3]
	s_waitcnt vmcnt(0)
	v_cmp_eq_f64_e64 s[8:9], 0, v[4:5]
	s_and_b64 s[8:9], vcc, s[8:9]
	s_and_saveexec_b64 s[12:13], s[8:9]
	s_cbranch_execz .LBB15_10
; %bb.7:
	v_mov_b32_e32 v2, 0
	ds_read_b32 v4, v2 offset:512
	v_add_u32_e32 v3, 1, v76
	s_waitcnt lgkmcnt(0)
	v_readfirstlane_b32 s8, v4
	s_cmp_eq_u32 s8, 0
	s_cselect_b64 s[16:17], -1, 0
	v_cmp_gt_i32_e32 vcc, s8, v3
	s_or_b64 s[16:17], s[16:17], vcc
	s_and_b64 exec, exec, s[16:17]
	s_cbranch_execz .LBB15_10
; %bb.8:
	s_mov_b64 s[16:17], 0
	v_mov_b32_e32 v4, s8
.LBB15_9:                               ; =>This Inner Loop Header: Depth=1
	ds_cmpst_rtn_b32 v4, v2, v4, v3 offset:512
	s_waitcnt lgkmcnt(0)
	v_cmp_ne_u32_e32 vcc, 0, v4
	v_cmp_le_i32_e64 s[8:9], v4, v3
	s_and_b64 s[8:9], vcc, s[8:9]
	s_and_b64 s[8:9], exec, s[8:9]
	s_or_b64 s[16:17], s[8:9], s[16:17]
	s_andn2_b64 exec, exec, s[16:17]
	s_cbranch_execnz .LBB15_9
.LBB15_10:
	s_or_b64 exec, exec, s[12:13]
	v_mov_b32_e32 v3, 0
	s_waitcnt lgkmcnt(0)
	; wave barrier
	ds_read_b32 v2, v3 offset:512
	s_and_saveexec_b64 s[8:9], s[6:7]
	s_cbranch_execz .LBB15_12
; %bb.11:
	s_lshl_b64 s[12:13], s[10:11], 2
	s_add_u32 s12, s14, s12
	s_addc_u32 s13, s15, s13
	s_waitcnt lgkmcnt(0)
	global_store_dword v3, v2, s[12:13]
.LBB15_12:
	s_or_b64 exec, exec, s[8:9]
	s_waitcnt lgkmcnt(0)
	v_cmp_ne_u32_e32 vcc, 0, v2
	s_mov_b64 s[8:9], 0
	s_cbranch_vccnz .LBB15_76
; %bb.13:
	buffer_load_dword v7, v12, s[0:3], 0 offen offset:4
	buffer_load_dword v6, v12, s[0:3], 0 offen
	buffer_load_dword v9, v12, s[0:3], 0 offen offset:12
	buffer_load_dword v8, v12, s[0:3], 0 offen offset:8
                                        ; implicit-def: $vgpr10_vgpr11
	s_waitcnt vmcnt(3)
	v_xor_b32_e32 v3, 0x80000000, v7
	s_waitcnt vmcnt(2)
	v_cmp_gt_f64_e32 vcc, 0, v[6:7]
	s_waitcnt vmcnt(1)
	v_xor_b32_e32 v4, 0x80000000, v9
	v_cndmask_b32_e32 v3, v7, v3, vcc
	s_waitcnt vmcnt(0)
	v_cmp_gt_f64_e32 vcc, 0, v[8:9]
	v_mov_b32_e32 v2, v6
	v_cndmask_b32_e32 v5, v9, v4, vcc
	v_mov_b32_e32 v4, v8
	v_cmp_ngt_f64_e32 vcc, v[2:3], v[4:5]
                                        ; implicit-def: $vgpr4_vgpr5
	s_and_saveexec_b64 s[8:9], vcc
	s_xor_b64 s[8:9], exec, s[8:9]
	s_cbranch_execz .LBB15_15
; %bb.14:
	v_div_scale_f64 v[2:3], s[12:13], v[8:9], v[8:9], v[6:7]
	v_rcp_f64_e32 v[4:5], v[2:3]
	v_div_scale_f64 v[10:11], vcc, v[6:7], v[8:9], v[6:7]
	v_fma_f64 v[14:15], -v[2:3], v[4:5], 1.0
	v_fmac_f64_e32 v[4:5], v[4:5], v[14:15]
	v_fma_f64 v[14:15], -v[2:3], v[4:5], 1.0
	v_fmac_f64_e32 v[4:5], v[4:5], v[14:15]
	v_mul_f64 v[14:15], v[10:11], v[4:5]
	v_fma_f64 v[2:3], -v[2:3], v[14:15], v[10:11]
	v_div_fmas_f64 v[2:3], v[2:3], v[4:5], v[14:15]
	v_div_fixup_f64 v[2:3], v[2:3], v[8:9], v[6:7]
	v_fmac_f64_e32 v[8:9], v[6:7], v[2:3]
	v_div_scale_f64 v[4:5], s[12:13], v[8:9], v[8:9], 1.0
	v_rcp_f64_e32 v[6:7], v[4:5]
	v_fma_f64 v[10:11], -v[4:5], v[6:7], 1.0
	v_fmac_f64_e32 v[6:7], v[6:7], v[10:11]
	v_fma_f64 v[10:11], -v[4:5], v[6:7], 1.0
	v_fmac_f64_e32 v[6:7], v[6:7], v[10:11]
	v_div_scale_f64 v[10:11], vcc, 1.0, v[8:9], 1.0
	v_mul_f64 v[14:15], v[10:11], v[6:7]
	v_fma_f64 v[4:5], -v[4:5], v[14:15], v[10:11]
	s_nop 1
	v_div_fmas_f64 v[4:5], v[4:5], v[6:7], v[14:15]
	v_div_fixup_f64 v[4:5], v[4:5], v[8:9], 1.0
	v_mul_f64 v[10:11], v[2:3], v[4:5]
	v_xor_b32_e32 v5, 0x80000000, v5
	v_xor_b32_e32 v3, 0x80000000, v11
	v_mov_b32_e32 v2, v10
                                        ; implicit-def: $vgpr6_vgpr7
                                        ; implicit-def: $vgpr8_vgpr9
.LBB15_15:
	s_andn2_saveexec_b64 s[8:9], s[8:9]
	s_cbranch_execz .LBB15_17
; %bb.16:
	v_div_scale_f64 v[2:3], s[12:13], v[6:7], v[6:7], v[8:9]
	v_rcp_f64_e32 v[4:5], v[2:3]
	v_div_scale_f64 v[10:11], vcc, v[8:9], v[6:7], v[8:9]
	v_fma_f64 v[14:15], -v[2:3], v[4:5], 1.0
	v_fmac_f64_e32 v[4:5], v[4:5], v[14:15]
	v_fma_f64 v[14:15], -v[2:3], v[4:5], 1.0
	v_fmac_f64_e32 v[4:5], v[4:5], v[14:15]
	v_mul_f64 v[14:15], v[10:11], v[4:5]
	v_fma_f64 v[2:3], -v[2:3], v[14:15], v[10:11]
	v_div_fmas_f64 v[2:3], v[2:3], v[4:5], v[14:15]
	v_div_fixup_f64 v[4:5], v[2:3], v[6:7], v[8:9]
	v_fmac_f64_e32 v[6:7], v[8:9], v[4:5]
	v_div_scale_f64 v[2:3], s[12:13], v[6:7], v[6:7], 1.0
	v_rcp_f64_e32 v[8:9], v[2:3]
	v_fma_f64 v[10:11], -v[2:3], v[8:9], 1.0
	v_fmac_f64_e32 v[8:9], v[8:9], v[10:11]
	v_fma_f64 v[10:11], -v[2:3], v[8:9], 1.0
	v_fmac_f64_e32 v[8:9], v[8:9], v[10:11]
	v_div_scale_f64 v[10:11], vcc, 1.0, v[6:7], 1.0
	v_mul_f64 v[14:15], v[10:11], v[8:9]
	v_fma_f64 v[2:3], -v[2:3], v[14:15], v[10:11]
	s_nop 1
	v_div_fmas_f64 v[2:3], v[2:3], v[8:9], v[14:15]
	v_div_fixup_f64 v[10:11], v[2:3], v[6:7], 1.0
	v_xor_b32_e32 v3, 0x80000000, v11
	v_mov_b32_e32 v2, v10
	v_mul_f64 v[4:5], v[4:5], -v[10:11]
.LBB15_17:
	s_or_b64 exec, exec, s[8:9]
	buffer_store_dword v11, v12, s[0:3], 0 offen offset:4
	buffer_store_dword v10, v12, s[0:3], 0 offen
	buffer_store_dword v5, v12, s[0:3], 0 offen offset:12
	buffer_store_dword v4, v12, s[0:3], 0 offen offset:8
	buffer_load_dword v11, v73, s[0:3], 0 offen offset:12
	s_nop 0
	buffer_load_dword v10, v73, s[0:3], 0 offen offset:8
	buffer_load_dword v9, v73, s[0:3], 0 offen offset:4
	buffer_load_dword v8, v73, s[0:3], 0 offen
	v_xor_b32_e32 v5, 0x80000000, v5
	v_add_u32_e32 v6, 0x100, v54
	ds_write_b128 v54, v[2:5]
	s_waitcnt vmcnt(0)
	ds_write_b128 v54, v[8:11] offset:256
	s_waitcnt lgkmcnt(0)
	; wave barrier
	s_waitcnt lgkmcnt(0)
	s_and_saveexec_b64 s[8:9], s[6:7]
	s_cbranch_execz .LBB15_19
; %bb.18:
	buffer_load_dword v14, v12, s[0:3], 0 offen offset:8
	buffer_load_dword v15, v12, s[0:3], 0 offen offset:12
	buffer_load_dword v16, v12, s[0:3], 0 offen
	buffer_load_dword v17, v12, s[0:3], 0 offen offset:4
	ds_read_b128 v[2:5], v6
	v_mov_b32_e32 v7, 0
	ds_read_b128 v[8:11], v7 offset:16
	s_waitcnt vmcnt(2) lgkmcnt(1)
	v_mul_f64 v[18:19], v[4:5], v[14:15]
	v_mul_f64 v[14:15], v[2:3], v[14:15]
	s_waitcnt vmcnt(0)
	v_fmac_f64_e32 v[14:15], v[4:5], v[16:17]
	v_fma_f64 v[2:3], v[2:3], v[16:17], -v[18:19]
	v_add_f64 v[4:5], v[14:15], 0
	v_add_f64 v[2:3], v[2:3], 0
	s_waitcnt lgkmcnt(0)
	v_mul_f64 v[14:15], v[4:5], v[10:11]
	v_mul_f64 v[10:11], v[2:3], v[10:11]
	v_fma_f64 v[2:3], v[2:3], v[8:9], -v[14:15]
	v_fmac_f64_e32 v[10:11], v[4:5], v[8:9]
	buffer_store_dword v2, off, s[0:3], 0 offset:16
	buffer_store_dword v3, off, s[0:3], 0 offset:20
	;; [unrolled: 1-line block ×4, first 2 shown]
.LBB15_19:
	s_or_b64 exec, exec, s[8:9]
	s_waitcnt lgkmcnt(0)
	; wave barrier
	buffer_load_dword v2, v74, s[0:3], 0 offen
	buffer_load_dword v3, v74, s[0:3], 0 offen offset:4
	buffer_load_dword v4, v74, s[0:3], 0 offen offset:8
	;; [unrolled: 1-line block ×3, first 2 shown]
	v_cmp_gt_u32_e32 vcc, 2, v76
	s_waitcnt vmcnt(0)
	ds_write_b128 v6, v[2:5]
	s_waitcnt lgkmcnt(0)
	; wave barrier
	s_waitcnt lgkmcnt(0)
	s_and_saveexec_b64 s[8:9], vcc
	s_cbranch_execz .LBB15_23
; %bb.20:
	buffer_load_dword v8, v12, s[0:3], 0 offen offset:8
	buffer_load_dword v9, v12, s[0:3], 0 offen offset:12
	buffer_load_dword v10, v12, s[0:3], 0 offen
	buffer_load_dword v11, v12, s[0:3], 0 offen offset:4
	ds_read_b128 v[2:5], v6
	s_waitcnt vmcnt(2) lgkmcnt(0)
	v_mul_f64 v[12:13], v[4:5], v[8:9]
	v_mul_f64 v[8:9], v[2:3], v[8:9]
	s_waitcnt vmcnt(0)
	v_fma_f64 v[2:3], v[2:3], v[10:11], -v[12:13]
	v_fmac_f64_e32 v[8:9], v[4:5], v[10:11]
	v_add_f64 v[4:5], v[2:3], 0
	v_add_f64 v[2:3], v[8:9], 0
	s_and_saveexec_b64 s[12:13], s[6:7]
	s_cbranch_execz .LBB15_22
; %bb.21:
	buffer_load_dword v12, off, s[0:3], 0 offset:24
	buffer_load_dword v13, off, s[0:3], 0 offset:28
	;; [unrolled: 1-line block ×4, first 2 shown]
	v_mov_b32_e32 v7, 0
	ds_read_b128 v[8:11], v7 offset:272
	s_waitcnt vmcnt(2) lgkmcnt(0)
	v_mul_f64 v[16:17], v[8:9], v[12:13]
	v_mul_f64 v[12:13], v[10:11], v[12:13]
	s_waitcnt vmcnt(0)
	v_fmac_f64_e32 v[16:17], v[10:11], v[14:15]
	v_fma_f64 v[8:9], v[8:9], v[14:15], -v[12:13]
	v_add_f64 v[2:3], v[2:3], v[16:17]
	v_add_f64 v[4:5], v[4:5], v[8:9]
.LBB15_22:
	s_or_b64 exec, exec, s[12:13]
	v_mov_b32_e32 v7, 0
	ds_read_b128 v[8:11], v7 offset:32
	s_waitcnt lgkmcnt(0)
	v_mul_f64 v[12:13], v[2:3], v[10:11]
	v_mul_f64 v[10:11], v[4:5], v[10:11]
	v_fma_f64 v[4:5], v[4:5], v[8:9], -v[12:13]
	v_fmac_f64_e32 v[10:11], v[2:3], v[8:9]
	buffer_store_dword v5, off, s[0:3], 0 offset:36
	buffer_store_dword v4, off, s[0:3], 0 offset:32
	buffer_store_dword v11, off, s[0:3], 0 offset:44
	buffer_store_dword v10, off, s[0:3], 0 offset:40
.LBB15_23:
	s_or_b64 exec, exec, s[8:9]
	s_waitcnt lgkmcnt(0)
	; wave barrier
	buffer_load_dword v2, v75, s[0:3], 0 offen
	buffer_load_dword v3, v75, s[0:3], 0 offen offset:4
	buffer_load_dword v4, v75, s[0:3], 0 offen offset:8
	;; [unrolled: 1-line block ×3, first 2 shown]
	v_cmp_gt_u32_e32 vcc, 3, v76
	v_add_u32_e32 v7, -1, v76
	s_waitcnt vmcnt(0)
	ds_write_b128 v6, v[2:5]
	s_waitcnt lgkmcnt(0)
	; wave barrier
	s_waitcnt lgkmcnt(0)
	s_and_saveexec_b64 s[6:7], vcc
	s_cbranch_execz .LBB15_27
; %bb.24:
	v_pk_mov_b32 v[2:3], 0, 0
	v_add_u32_e32 v8, -1, v76
	v_add_u32_e32 v9, 0x100, v54
	v_add_u32_e32 v10, 0, v54
	s_mov_b64 s[8:9], 0
	v_pk_mov_b32 v[4:5], v[2:3], v[2:3] op_sel:[0,1]
.LBB15_25:                              ; =>This Inner Loop Header: Depth=1
	buffer_load_dword v16, v10, s[0:3], 0 offen offset:8
	buffer_load_dword v17, v10, s[0:3], 0 offen offset:12
	buffer_load_dword v18, v10, s[0:3], 0 offen
	buffer_load_dword v19, v10, s[0:3], 0 offen offset:4
	ds_read_b128 v[12:15], v9
	v_add_u32_e32 v8, 1, v8
	v_cmp_lt_u32_e32 vcc, 1, v8
	v_add_u32_e32 v9, 16, v9
	v_add_u32_e32 v10, 16, v10
	s_or_b64 s[8:9], vcc, s[8:9]
	s_waitcnt vmcnt(2) lgkmcnt(0)
	v_mul_f64 v[20:21], v[14:15], v[16:17]
	v_mul_f64 v[16:17], v[12:13], v[16:17]
	s_waitcnt vmcnt(0)
	v_fma_f64 v[12:13], v[12:13], v[18:19], -v[20:21]
	v_fmac_f64_e32 v[16:17], v[14:15], v[18:19]
	v_add_f64 v[4:5], v[4:5], v[12:13]
	v_add_f64 v[2:3], v[2:3], v[16:17]
	s_andn2_b64 exec, exec, s[8:9]
	s_cbranch_execnz .LBB15_25
; %bb.26:
	s_or_b64 exec, exec, s[8:9]
	v_mov_b32_e32 v8, 0
	ds_read_b128 v[8:11], v8 offset:48
	s_waitcnt lgkmcnt(0)
	v_mul_f64 v[12:13], v[2:3], v[10:11]
	v_mul_f64 v[10:11], v[4:5], v[10:11]
	v_fma_f64 v[4:5], v[4:5], v[8:9], -v[12:13]
	v_fmac_f64_e32 v[10:11], v[2:3], v[8:9]
	buffer_store_dword v5, off, s[0:3], 0 offset:52
	buffer_store_dword v4, off, s[0:3], 0 offset:48
	buffer_store_dword v11, off, s[0:3], 0 offset:60
	buffer_store_dword v10, off, s[0:3], 0 offset:56
.LBB15_27:
	s_or_b64 exec, exec, s[6:7]
	s_waitcnt lgkmcnt(0)
	; wave barrier
	buffer_load_dword v2, v71, s[0:3], 0 offen
	buffer_load_dword v3, v71, s[0:3], 0 offen offset:4
	buffer_load_dword v4, v71, s[0:3], 0 offen offset:8
	buffer_load_dword v5, v71, s[0:3], 0 offen offset:12
	v_cmp_gt_u32_e32 vcc, 4, v76
	s_waitcnt vmcnt(0)
	ds_write_b128 v6, v[2:5]
	s_waitcnt lgkmcnt(0)
	; wave barrier
	s_waitcnt lgkmcnt(0)
	s_and_saveexec_b64 s[6:7], vcc
	s_cbranch_execz .LBB15_31
; %bb.28:
	v_pk_mov_b32 v[2:3], 0, 0
	v_add_u32_e32 v8, -1, v76
	v_add_u32_e32 v9, 0x100, v54
	v_add_u32_e32 v10, 0, v54
	s_mov_b64 s[8:9], 0
	v_pk_mov_b32 v[4:5], v[2:3], v[2:3] op_sel:[0,1]
.LBB15_29:                              ; =>This Inner Loop Header: Depth=1
	buffer_load_dword v16, v10, s[0:3], 0 offen offset:8
	buffer_load_dword v17, v10, s[0:3], 0 offen offset:12
	buffer_load_dword v18, v10, s[0:3], 0 offen
	buffer_load_dword v19, v10, s[0:3], 0 offen offset:4
	ds_read_b128 v[12:15], v9
	v_add_u32_e32 v8, 1, v8
	v_cmp_lt_u32_e32 vcc, 2, v8
	v_add_u32_e32 v9, 16, v9
	v_add_u32_e32 v10, 16, v10
	s_or_b64 s[8:9], vcc, s[8:9]
	s_waitcnt vmcnt(2) lgkmcnt(0)
	v_mul_f64 v[20:21], v[14:15], v[16:17]
	v_mul_f64 v[16:17], v[12:13], v[16:17]
	s_waitcnt vmcnt(0)
	v_fma_f64 v[12:13], v[12:13], v[18:19], -v[20:21]
	v_fmac_f64_e32 v[16:17], v[14:15], v[18:19]
	v_add_f64 v[4:5], v[4:5], v[12:13]
	v_add_f64 v[2:3], v[2:3], v[16:17]
	s_andn2_b64 exec, exec, s[8:9]
	s_cbranch_execnz .LBB15_29
; %bb.30:
	s_or_b64 exec, exec, s[8:9]
	v_mov_b32_e32 v8, 0
	ds_read_b128 v[8:11], v8 offset:64
	s_waitcnt lgkmcnt(0)
	v_mul_f64 v[12:13], v[2:3], v[10:11]
	v_mul_f64 v[10:11], v[4:5], v[10:11]
	v_fma_f64 v[4:5], v[4:5], v[8:9], -v[12:13]
	v_fmac_f64_e32 v[10:11], v[2:3], v[8:9]
	buffer_store_dword v5, off, s[0:3], 0 offset:68
	buffer_store_dword v4, off, s[0:3], 0 offset:64
	buffer_store_dword v11, off, s[0:3], 0 offset:76
	buffer_store_dword v10, off, s[0:3], 0 offset:72
.LBB15_31:
	s_or_b64 exec, exec, s[6:7]
	s_waitcnt lgkmcnt(0)
	; wave barrier
	buffer_load_dword v2, v70, s[0:3], 0 offen
	buffer_load_dword v3, v70, s[0:3], 0 offen offset:4
	buffer_load_dword v4, v70, s[0:3], 0 offen offset:8
	buffer_load_dword v5, v70, s[0:3], 0 offen offset:12
	v_cmp_gt_u32_e32 vcc, 5, v76
	;; [unrolled: 57-line block ×11, first 2 shown]
	s_waitcnt vmcnt(0)
	ds_write_b128 v6, v[2:5]
	s_waitcnt lgkmcnt(0)
	; wave barrier
	s_waitcnt lgkmcnt(0)
	s_and_saveexec_b64 s[6:7], vcc
	s_cbranch_execz .LBB15_71
; %bb.68:
	v_pk_mov_b32 v[2:3], 0, 0
	v_add_u32_e32 v8, -1, v76
	v_add_u32_e32 v9, 0x100, v54
	v_add_u32_e32 v10, 0, v54
	s_mov_b64 s[8:9], 0
	v_pk_mov_b32 v[4:5], v[2:3], v[2:3] op_sel:[0,1]
.LBB15_69:                              ; =>This Inner Loop Header: Depth=1
	buffer_load_dword v16, v10, s[0:3], 0 offen offset:8
	buffer_load_dword v17, v10, s[0:3], 0 offen offset:12
	buffer_load_dword v18, v10, s[0:3], 0 offen
	buffer_load_dword v19, v10, s[0:3], 0 offen offset:4
	ds_read_b128 v[12:15], v9
	v_add_u32_e32 v8, 1, v8
	v_cmp_lt_u32_e32 vcc, 12, v8
	v_add_u32_e32 v9, 16, v9
	v_add_u32_e32 v10, 16, v10
	s_or_b64 s[8:9], vcc, s[8:9]
	s_waitcnt vmcnt(2) lgkmcnt(0)
	v_mul_f64 v[20:21], v[14:15], v[16:17]
	v_mul_f64 v[16:17], v[12:13], v[16:17]
	s_waitcnt vmcnt(0)
	v_fma_f64 v[12:13], v[12:13], v[18:19], -v[20:21]
	v_fmac_f64_e32 v[16:17], v[14:15], v[18:19]
	v_add_f64 v[4:5], v[4:5], v[12:13]
	v_add_f64 v[2:3], v[2:3], v[16:17]
	s_andn2_b64 exec, exec, s[8:9]
	s_cbranch_execnz .LBB15_69
; %bb.70:
	s_or_b64 exec, exec, s[8:9]
	v_mov_b32_e32 v8, 0
	ds_read_b128 v[8:11], v8 offset:224
	s_waitcnt lgkmcnt(0)
	v_mul_f64 v[12:13], v[2:3], v[10:11]
	v_mul_f64 v[10:11], v[4:5], v[10:11]
	v_fma_f64 v[4:5], v[4:5], v[8:9], -v[12:13]
	v_fmac_f64_e32 v[10:11], v[2:3], v[8:9]
	buffer_store_dword v5, off, s[0:3], 0 offset:228
	buffer_store_dword v4, off, s[0:3], 0 offset:224
	;; [unrolled: 1-line block ×4, first 2 shown]
.LBB15_71:
	s_or_b64 exec, exec, s[6:7]
	s_waitcnt lgkmcnt(0)
	; wave barrier
	buffer_load_dword v2, v65, s[0:3], 0 offen
	buffer_load_dword v3, v65, s[0:3], 0 offen offset:4
	buffer_load_dword v4, v65, s[0:3], 0 offen offset:8
	;; [unrolled: 1-line block ×3, first 2 shown]
	v_cmp_ne_u32_e32 vcc, 15, v76
	s_waitcnt vmcnt(0)
	ds_write_b128 v6, v[2:5]
	s_waitcnt lgkmcnt(0)
	; wave barrier
	s_waitcnt lgkmcnt(0)
	s_and_saveexec_b64 s[6:7], vcc
	s_cbranch_execz .LBB15_75
; %bb.72:
	v_pk_mov_b32 v[2:3], 0, 0
	v_add_u32_e32 v6, 0x100, v54
	v_add_u32_e32 v8, 0, v54
	s_mov_b64 s[8:9], 0
	v_pk_mov_b32 v[4:5], v[2:3], v[2:3] op_sel:[0,1]
.LBB15_73:                              ; =>This Inner Loop Header: Depth=1
	buffer_load_dword v14, v8, s[0:3], 0 offen offset:8
	buffer_load_dword v15, v8, s[0:3], 0 offen offset:12
	buffer_load_dword v16, v8, s[0:3], 0 offen
	buffer_load_dword v17, v8, s[0:3], 0 offen offset:4
	ds_read_b128 v[10:13], v6
	v_add_u32_e32 v7, 1, v7
	v_cmp_lt_u32_e32 vcc, 13, v7
	v_add_u32_e32 v6, 16, v6
	v_add_u32_e32 v8, 16, v8
	s_or_b64 s[8:9], vcc, s[8:9]
	s_waitcnt vmcnt(2) lgkmcnt(0)
	v_mul_f64 v[18:19], v[12:13], v[14:15]
	v_mul_f64 v[14:15], v[10:11], v[14:15]
	s_waitcnt vmcnt(0)
	v_fma_f64 v[10:11], v[10:11], v[16:17], -v[18:19]
	v_fmac_f64_e32 v[14:15], v[12:13], v[16:17]
	v_add_f64 v[4:5], v[4:5], v[10:11]
	v_add_f64 v[2:3], v[2:3], v[14:15]
	s_andn2_b64 exec, exec, s[8:9]
	s_cbranch_execnz .LBB15_73
; %bb.74:
	s_or_b64 exec, exec, s[8:9]
	v_mov_b32_e32 v6, 0
	ds_read_b128 v[6:9], v6 offset:240
	s_waitcnt lgkmcnt(0)
	v_mul_f64 v[10:11], v[2:3], v[8:9]
	v_mul_f64 v[8:9], v[4:5], v[8:9]
	v_fma_f64 v[4:5], v[4:5], v[6:7], -v[10:11]
	v_fmac_f64_e32 v[8:9], v[2:3], v[6:7]
	buffer_store_dword v5, off, s[0:3], 0 offset:244
	buffer_store_dword v4, off, s[0:3], 0 offset:240
	;; [unrolled: 1-line block ×4, first 2 shown]
.LBB15_75:
	s_or_b64 exec, exec, s[6:7]
	s_mov_b64 s[8:9], -1
	s_waitcnt lgkmcnt(0)
	; wave barrier
.LBB15_76:
	s_and_b64 vcc, exec, s[8:9]
	s_cbranch_vccz .LBB15_78
; %bb.77:
	s_lshl_b64 s[6:7], s[10:11], 2
	s_add_u32 s6, s14, s6
	s_addc_u32 s7, s15, s7
	v_mov_b32_e32 v2, 0
	global_load_dword v2, v2, s[6:7]
	s_waitcnt vmcnt(0)
	v_cmp_ne_u32_e32 vcc, 0, v2
	s_cbranch_vccz .LBB15_79
.LBB15_78:
	s_endpgm
.LBB15_79:
	v_mov_b32_e32 v2, 0x100
	v_lshl_add_u32 v58, v76, 4, v2
	v_cmp_eq_u32_e32 vcc, 15, v76
	s_and_saveexec_b64 s[6:7], vcc
	s_cbranch_execz .LBB15_81
; %bb.80:
	buffer_load_dword v2, v64, s[0:3], 0 offen
	buffer_load_dword v3, v64, s[0:3], 0 offen offset:4
	buffer_load_dword v4, v64, s[0:3], 0 offen offset:8
	buffer_load_dword v5, v64, s[0:3], 0 offen offset:12
	v_mov_b32_e32 v6, 0
	buffer_store_dword v6, off, s[0:3], 0 offset:224
	buffer_store_dword v6, off, s[0:3], 0 offset:228
	;; [unrolled: 1-line block ×4, first 2 shown]
	s_waitcnt vmcnt(4)
	ds_write_b128 v58, v[2:5]
.LBB15_81:
	s_or_b64 exec, exec, s[6:7]
	s_waitcnt lgkmcnt(0)
	; wave barrier
	s_waitcnt lgkmcnt(0)
	buffer_load_dword v8, off, s[0:3], 0 offset:248
	buffer_load_dword v9, off, s[0:3], 0 offset:252
	;; [unrolled: 1-line block ×8, first 2 shown]
	v_mov_b32_e32 v2, 0
	ds_read_b128 v[4:7], v2 offset:496
	v_cmp_lt_u32_e32 vcc, 13, v76
	s_waitcnt vmcnt(6) lgkmcnt(0)
	v_mul_f64 v[16:17], v[4:5], v[8:9]
	v_mul_f64 v[8:9], v[6:7], v[8:9]
	s_waitcnt vmcnt(4)
	v_fma_f64 v[4:5], v[4:5], v[10:11], -v[8:9]
	v_fmac_f64_e32 v[16:17], v[6:7], v[10:11]
	v_add_f64 v[4:5], v[4:5], 0
	v_add_f64 v[6:7], v[16:17], 0
	s_waitcnt vmcnt(2)
	v_add_f64 v[4:5], v[12:13], -v[4:5]
	s_waitcnt vmcnt(0)
	v_add_f64 v[6:7], v[14:15], -v[6:7]
	buffer_store_dword v4, off, s[0:3], 0 offset:224
	buffer_store_dword v5, off, s[0:3], 0 offset:228
	;; [unrolled: 1-line block ×4, first 2 shown]
	s_and_saveexec_b64 s[6:7], vcc
	s_cbranch_execz .LBB15_83
; %bb.82:
	buffer_load_dword v4, v63, s[0:3], 0 offen
	buffer_load_dword v5, v63, s[0:3], 0 offen offset:4
	buffer_load_dword v6, v63, s[0:3], 0 offen offset:8
	;; [unrolled: 1-line block ×3, first 2 shown]
	s_nop 0
	buffer_store_dword v2, off, s[0:3], 0 offset:208
	buffer_store_dword v2, off, s[0:3], 0 offset:212
	;; [unrolled: 1-line block ×4, first 2 shown]
	s_waitcnt vmcnt(4)
	ds_write_b128 v58, v[4:7]
.LBB15_83:
	s_or_b64 exec, exec, s[6:7]
	s_waitcnt lgkmcnt(0)
	; wave barrier
	s_waitcnt lgkmcnt(0)
	buffer_load_dword v12, off, s[0:3], 0 offset:232
	buffer_load_dword v13, off, s[0:3], 0 offset:236
	;; [unrolled: 1-line block ×12, first 2 shown]
	ds_read_b128 v[4:7], v2 offset:480
	ds_read_b128 v[8:11], v2 offset:496
	v_cmp_lt_u32_e32 vcc, 12, v76
	s_waitcnt vmcnt(10) lgkmcnt(1)
	v_mul_f64 v[2:3], v[4:5], v[12:13]
	v_mul_f64 v[12:13], v[6:7], v[12:13]
	s_waitcnt vmcnt(8) lgkmcnt(0)
	v_mul_f64 v[56:57], v[8:9], v[14:15]
	v_mul_f64 v[14:15], v[10:11], v[14:15]
	s_waitcnt vmcnt(6)
	v_fma_f64 v[4:5], v[4:5], v[16:17], -v[12:13]
	v_fmac_f64_e32 v[2:3], v[6:7], v[16:17]
	s_waitcnt vmcnt(4)
	v_fma_f64 v[6:7], v[8:9], v[18:19], -v[14:15]
	v_add_f64 v[4:5], v[4:5], 0
	v_fmac_f64_e32 v[56:57], v[10:11], v[18:19]
	v_add_f64 v[2:3], v[2:3], 0
	v_add_f64 v[4:5], v[4:5], v[6:7]
	;; [unrolled: 1-line block ×3, first 2 shown]
	s_waitcnt vmcnt(2)
	v_add_f64 v[4:5], v[20:21], -v[4:5]
	s_waitcnt vmcnt(0)
	v_add_f64 v[2:3], v[54:55], -v[2:3]
	buffer_store_dword v4, off, s[0:3], 0 offset:208
	buffer_store_dword v5, off, s[0:3], 0 offset:212
	;; [unrolled: 1-line block ×4, first 2 shown]
	s_and_saveexec_b64 s[6:7], vcc
	s_cbranch_execz .LBB15_85
; %bb.84:
	buffer_load_dword v2, v1, s[0:3], 0 offen
	buffer_load_dword v3, v1, s[0:3], 0 offen offset:4
	buffer_load_dword v4, v1, s[0:3], 0 offen offset:8
	;; [unrolled: 1-line block ×3, first 2 shown]
	v_mov_b32_e32 v6, 0
	buffer_store_dword v6, off, s[0:3], 0 offset:192
	buffer_store_dword v6, off, s[0:3], 0 offset:196
	buffer_store_dword v6, off, s[0:3], 0 offset:200
	buffer_store_dword v6, off, s[0:3], 0 offset:204
	s_waitcnt vmcnt(4)
	ds_write_b128 v58, v[2:5]
.LBB15_85:
	s_or_b64 exec, exec, s[6:7]
	s_waitcnt lgkmcnt(0)
	; wave barrier
	s_waitcnt lgkmcnt(0)
	buffer_load_dword v16, off, s[0:3], 0 offset:216
	buffer_load_dword v17, off, s[0:3], 0 offset:220
	buffer_load_dword v18, off, s[0:3], 0 offset:232
	buffer_load_dword v19, off, s[0:3], 0 offset:236
	buffer_load_dword v20, off, s[0:3], 0 offset:248
	buffer_load_dword v21, off, s[0:3], 0 offset:252
	buffer_load_dword v54, off, s[0:3], 0 offset:208
	buffer_load_dword v55, off, s[0:3], 0 offset:212
	buffer_load_dword v56, off, s[0:3], 0 offset:224
	buffer_load_dword v57, off, s[0:3], 0 offset:228
	buffer_load_dword v60, off, s[0:3], 0 offset:240
	buffer_load_dword v61, off, s[0:3], 0 offset:244
	buffer_load_dword v78, off, s[0:3], 0 offset:192
	buffer_load_dword v79, off, s[0:3], 0 offset:196
	buffer_load_dword v80, off, s[0:3], 0 offset:200
	buffer_load_dword v81, off, s[0:3], 0 offset:204
	v_mov_b32_e32 v2, 0
	ds_read_b128 v[4:7], v2 offset:464
	ds_read_b128 v[8:11], v2 offset:480
	ds_read_b128 v[12:15], v2 offset:496
	v_cmp_lt_u32_e32 vcc, 11, v76
	s_waitcnt vmcnt(14) lgkmcnt(2)
	v_mul_f64 v[82:83], v[4:5], v[16:17]
	v_mul_f64 v[16:17], v[6:7], v[16:17]
	s_waitcnt vmcnt(12) lgkmcnt(1)
	v_mul_f64 v[84:85], v[8:9], v[18:19]
	v_mul_f64 v[18:19], v[10:11], v[18:19]
	;; [unrolled: 3-line block ×3, first 2 shown]
	s_waitcnt vmcnt(8)
	v_fma_f64 v[4:5], v[4:5], v[54:55], -v[16:17]
	v_fmac_f64_e32 v[82:83], v[6:7], v[54:55]
	s_waitcnt vmcnt(6)
	v_fma_f64 v[6:7], v[8:9], v[56:57], -v[18:19]
	v_add_f64 v[4:5], v[4:5], 0
	v_fmac_f64_e32 v[84:85], v[10:11], v[56:57]
	s_waitcnt vmcnt(4)
	v_fma_f64 v[8:9], v[12:13], v[60:61], -v[20:21]
	v_add_f64 v[10:11], v[82:83], 0
	v_add_f64 v[4:5], v[4:5], v[6:7]
	v_fmac_f64_e32 v[86:87], v[14:15], v[60:61]
	v_add_f64 v[10:11], v[10:11], v[84:85]
	v_add_f64 v[4:5], v[4:5], v[8:9]
	;; [unrolled: 1-line block ×3, first 2 shown]
	s_waitcnt vmcnt(2)
	v_add_f64 v[4:5], v[78:79], -v[4:5]
	s_waitcnt vmcnt(0)
	v_add_f64 v[6:7], v[80:81], -v[6:7]
	buffer_store_dword v4, off, s[0:3], 0 offset:192
	buffer_store_dword v5, off, s[0:3], 0 offset:196
	;; [unrolled: 1-line block ×4, first 2 shown]
	s_and_saveexec_b64 s[6:7], vcc
	s_cbranch_execz .LBB15_87
; %bb.86:
	buffer_load_dword v4, v62, s[0:3], 0 offen
	buffer_load_dword v5, v62, s[0:3], 0 offen offset:4
	buffer_load_dword v6, v62, s[0:3], 0 offen offset:8
	;; [unrolled: 1-line block ×3, first 2 shown]
	s_nop 0
	buffer_store_dword v2, off, s[0:3], 0 offset:176
	buffer_store_dword v2, off, s[0:3], 0 offset:180
	;; [unrolled: 1-line block ×4, first 2 shown]
	s_waitcnt vmcnt(4)
	ds_write_b128 v58, v[4:7]
.LBB15_87:
	s_or_b64 exec, exec, s[6:7]
	s_waitcnt lgkmcnt(0)
	; wave barrier
	s_waitcnt lgkmcnt(0)
	buffer_load_dword v20, off, s[0:3], 0 offset:200
	buffer_load_dword v21, off, s[0:3], 0 offset:204
	;; [unrolled: 1-line block ×20, first 2 shown]
	ds_read_b128 v[4:7], v2 offset:448
	ds_read_b128 v[8:11], v2 offset:464
	;; [unrolled: 1-line block ×4, first 2 shown]
	v_cmp_lt_u32_e32 vcc, 10, v76
	s_waitcnt vmcnt(18) lgkmcnt(3)
	v_mul_f64 v[2:3], v[4:5], v[20:21]
	v_mul_f64 v[20:21], v[6:7], v[20:21]
	s_waitcnt vmcnt(16) lgkmcnt(2)
	v_mul_f64 v[90:91], v[8:9], v[54:55]
	v_mul_f64 v[54:55], v[10:11], v[54:55]
	;; [unrolled: 3-line block ×4, first 2 shown]
	s_waitcnt vmcnt(10)
	v_fma_f64 v[4:5], v[4:5], v[78:79], -v[20:21]
	v_fmac_f64_e32 v[2:3], v[6:7], v[78:79]
	s_waitcnt vmcnt(8)
	v_fma_f64 v[6:7], v[8:9], v[80:81], -v[54:55]
	v_add_f64 v[4:5], v[4:5], 0
	v_fmac_f64_e32 v[90:91], v[10:11], v[80:81]
	s_waitcnt vmcnt(6)
	v_fma_f64 v[8:9], v[12:13], v[82:83], -v[56:57]
	v_add_f64 v[2:3], v[2:3], 0
	v_add_f64 v[4:5], v[4:5], v[6:7]
	v_fmac_f64_e32 v[92:93], v[14:15], v[82:83]
	s_waitcnt vmcnt(4)
	v_fma_f64 v[10:11], v[16:17], v[84:85], -v[60:61]
	v_add_f64 v[2:3], v[2:3], v[90:91]
	v_add_f64 v[4:5], v[4:5], v[8:9]
	v_fmac_f64_e32 v[94:95], v[18:19], v[84:85]
	v_add_f64 v[2:3], v[2:3], v[92:93]
	v_add_f64 v[4:5], v[4:5], v[10:11]
	;; [unrolled: 1-line block ×3, first 2 shown]
	s_waitcnt vmcnt(2)
	v_add_f64 v[4:5], v[86:87], -v[4:5]
	s_waitcnt vmcnt(0)
	v_add_f64 v[2:3], v[88:89], -v[2:3]
	buffer_store_dword v4, off, s[0:3], 0 offset:176
	buffer_store_dword v5, off, s[0:3], 0 offset:180
	;; [unrolled: 1-line block ×4, first 2 shown]
	s_and_saveexec_b64 s[6:7], vcc
	s_cbranch_execz .LBB15_89
; %bb.88:
	buffer_load_dword v2, v69, s[0:3], 0 offen
	buffer_load_dword v3, v69, s[0:3], 0 offen offset:4
	buffer_load_dword v4, v69, s[0:3], 0 offen offset:8
	;; [unrolled: 1-line block ×3, first 2 shown]
	v_mov_b32_e32 v6, 0
	buffer_store_dword v6, off, s[0:3], 0 offset:160
	buffer_store_dword v6, off, s[0:3], 0 offset:164
	;; [unrolled: 1-line block ×4, first 2 shown]
	s_waitcnt vmcnt(4)
	ds_write_b128 v58, v[2:5]
.LBB15_89:
	s_or_b64 exec, exec, s[6:7]
	s_waitcnt lgkmcnt(0)
	; wave barrier
	s_waitcnt lgkmcnt(0)
	buffer_load_dword v20, off, s[0:3], 0 offset:184
	buffer_load_dword v21, off, s[0:3], 0 offset:188
	;; [unrolled: 1-line block ×24, first 2 shown]
	v_mov_b32_e32 v2, 0
	ds_read_b128 v[4:7], v2 offset:432
	ds_read_b128 v[8:11], v2 offset:448
	;; [unrolled: 1-line block ×5, first 2 shown]
	v_cmp_lt_u32_e32 vcc, 9, v76
	s_waitcnt vmcnt(22) lgkmcnt(4)
	v_mul_f64 v[98:99], v[4:5], v[20:21]
	v_mul_f64 v[20:21], v[6:7], v[20:21]
	s_waitcnt vmcnt(20) lgkmcnt(3)
	v_mul_f64 v[100:101], v[8:9], v[60:61]
	v_mul_f64 v[60:61], v[10:11], v[60:61]
	;; [unrolled: 3-line block ×4, first 2 shown]
	s_waitcnt vmcnt(13) lgkmcnt(0)
	v_mul_f64 v[106:107], v[54:55], v[80:81]
	s_waitcnt vmcnt(11)
	v_fma_f64 v[4:5], v[4:5], v[86:87], -v[20:21]
	v_fmac_f64_e32 v[98:99], v[6:7], v[86:87]
	s_waitcnt vmcnt(9)
	v_fma_f64 v[6:7], v[8:9], v[88:89], -v[60:61]
	v_add_f64 v[4:5], v[4:5], 0
	v_fmac_f64_e32 v[100:101], v[10:11], v[88:89]
	s_waitcnt vmcnt(7)
	v_fmac_f64_e32 v[102:103], v[14:15], v[90:91]
	v_fma_f64 v[8:9], v[12:13], v[90:91], -v[78:79]
	v_add_f64 v[14:15], v[98:99], 0
	v_add_f64 v[4:5], v[4:5], v[6:7]
	v_mul_f64 v[80:81], v[56:57], v[80:81]
	s_waitcnt vmcnt(5)
	v_fma_f64 v[10:11], v[16:17], v[92:93], -v[84:85]
	v_add_f64 v[14:15], v[14:15], v[100:101]
	v_add_f64 v[4:5], v[4:5], v[8:9]
	v_fmac_f64_e32 v[104:105], v[18:19], v[92:93]
	s_waitcnt vmcnt(4)
	v_fma_f64 v[12:13], v[54:55], v[82:83], -v[80:81]
	v_add_f64 v[6:7], v[14:15], v[102:103]
	v_add_f64 v[4:5], v[4:5], v[10:11]
	v_fmac_f64_e32 v[106:107], v[56:57], v[82:83]
	v_add_f64 v[6:7], v[6:7], v[104:105]
	v_add_f64 v[4:5], v[4:5], v[12:13]
	;; [unrolled: 1-line block ×3, first 2 shown]
	s_waitcnt vmcnt(2)
	v_add_f64 v[4:5], v[94:95], -v[4:5]
	s_waitcnt vmcnt(0)
	v_add_f64 v[6:7], v[96:97], -v[6:7]
	buffer_store_dword v5, off, s[0:3], 0 offset:164
	buffer_store_dword v4, off, s[0:3], 0 offset:160
	;; [unrolled: 1-line block ×4, first 2 shown]
	s_and_saveexec_b64 s[6:7], vcc
	s_cbranch_execz .LBB15_91
; %bb.90:
	buffer_load_dword v4, v67, s[0:3], 0 offen
	buffer_load_dword v5, v67, s[0:3], 0 offen offset:4
	buffer_load_dword v6, v67, s[0:3], 0 offen offset:8
	;; [unrolled: 1-line block ×3, first 2 shown]
	s_nop 0
	buffer_store_dword v2, off, s[0:3], 0 offset:144
	buffer_store_dword v2, off, s[0:3], 0 offset:148
	;; [unrolled: 1-line block ×4, first 2 shown]
	s_waitcnt vmcnt(4)
	ds_write_b128 v58, v[4:7]
.LBB15_91:
	s_or_b64 exec, exec, s[6:7]
	s_waitcnt lgkmcnt(0)
	; wave barrier
	s_waitcnt lgkmcnt(0)
	buffer_load_dword v20, off, s[0:3], 0 offset:168
	buffer_load_dword v21, off, s[0:3], 0 offset:172
	;; [unrolled: 1-line block ×28, first 2 shown]
	ds_read_b128 v[4:7], v2 offset:416
	ds_read_b128 v[8:11], v2 offset:432
	;; [unrolled: 1-line block ×6, first 2 shown]
	v_cmp_lt_u32_e32 vcc, 8, v76
	s_waitcnt vmcnt(26) lgkmcnt(5)
	v_mul_f64 v[2:3], v[4:5], v[20:21]
	v_mul_f64 v[20:21], v[6:7], v[20:21]
	s_waitcnt vmcnt(24) lgkmcnt(4)
	v_mul_f64 v[106:107], v[8:9], v[60:61]
	v_mul_f64 v[60:61], v[10:11], v[60:61]
	;; [unrolled: 3-line block ×4, first 2 shown]
	s_waitcnt vmcnt(17)
	v_mul_f64 v[110:111], v[16:17], v[88:89]
	v_mul_f64 v[88:89], v[18:19], v[88:89]
	s_waitcnt vmcnt(15) lgkmcnt(0)
	v_mul_f64 v[114:115], v[78:79], v[90:91]
	v_mul_f64 v[90:91], v[80:81], v[90:91]
	s_waitcnt vmcnt(14)
	v_fmac_f64_e32 v[112:113], v[56:57], v[86:87]
	s_waitcnt vmcnt(12)
	v_fma_f64 v[4:5], v[4:5], v[92:93], -v[20:21]
	v_fmac_f64_e32 v[2:3], v[6:7], v[92:93]
	s_waitcnt vmcnt(10)
	v_fma_f64 v[6:7], v[8:9], v[94:95], -v[60:61]
	v_add_f64 v[4:5], v[4:5], 0
	v_fmac_f64_e32 v[106:107], v[10:11], v[94:95]
	s_waitcnt vmcnt(8)
	v_fma_f64 v[8:9], v[12:13], v[96:97], -v[82:83]
	v_add_f64 v[2:3], v[2:3], 0
	v_add_f64 v[4:5], v[4:5], v[6:7]
	v_fmac_f64_e32 v[108:109], v[14:15], v[96:97]
	s_waitcnt vmcnt(6)
	v_fma_f64 v[10:11], v[16:17], v[98:99], -v[88:89]
	v_add_f64 v[2:3], v[2:3], v[106:107]
	v_add_f64 v[4:5], v[4:5], v[8:9]
	v_fmac_f64_e32 v[110:111], v[18:19], v[98:99]
	v_fma_f64 v[12:13], v[54:55], v[86:87], -v[84:85]
	v_add_f64 v[2:3], v[2:3], v[108:109]
	v_add_f64 v[4:5], v[4:5], v[10:11]
	s_waitcnt vmcnt(4)
	v_fma_f64 v[14:15], v[78:79], v[100:101], -v[90:91]
	v_add_f64 v[2:3], v[2:3], v[110:111]
	v_add_f64 v[4:5], v[4:5], v[12:13]
	v_fmac_f64_e32 v[114:115], v[80:81], v[100:101]
	v_add_f64 v[2:3], v[2:3], v[112:113]
	v_add_f64 v[4:5], v[4:5], v[14:15]
	;; [unrolled: 1-line block ×3, first 2 shown]
	s_waitcnt vmcnt(2)
	v_add_f64 v[4:5], v[102:103], -v[4:5]
	s_waitcnt vmcnt(0)
	v_add_f64 v[2:3], v[104:105], -v[2:3]
	buffer_store_dword v5, off, s[0:3], 0 offset:148
	buffer_store_dword v4, off, s[0:3], 0 offset:144
	;; [unrolled: 1-line block ×4, first 2 shown]
	s_and_saveexec_b64 s[6:7], vcc
	s_cbranch_execz .LBB15_93
; %bb.92:
	buffer_load_dword v2, v68, s[0:3], 0 offen
	buffer_load_dword v3, v68, s[0:3], 0 offen offset:4
	buffer_load_dword v4, v68, s[0:3], 0 offen offset:8
	;; [unrolled: 1-line block ×3, first 2 shown]
	v_mov_b32_e32 v6, 0
	buffer_store_dword v6, off, s[0:3], 0 offset:128
	buffer_store_dword v6, off, s[0:3], 0 offset:132
	;; [unrolled: 1-line block ×4, first 2 shown]
	s_waitcnt vmcnt(4)
	ds_write_b128 v58, v[2:5]
.LBB15_93:
	s_or_b64 exec, exec, s[6:7]
	s_waitcnt lgkmcnt(0)
	; wave barrier
	s_waitcnt lgkmcnt(0)
	buffer_load_dword v54, off, s[0:3], 0 offset:152
	buffer_load_dword v55, off, s[0:3], 0 offset:156
	buffer_load_dword v60, off, s[0:3], 0 offset:168
	buffer_load_dword v61, off, s[0:3], 0 offset:172
	buffer_load_dword v86, off, s[0:3], 0 offset:184
	buffer_load_dword v87, off, s[0:3], 0 offset:188
	buffer_load_dword v89, off, s[0:3], 0 offset:220
	buffer_load_dword v88, off, s[0:3], 0 offset:216
	buffer_load_dword v90, off, s[0:3], 0 offset:208
	buffer_load_dword v93, off, s[0:3], 0 offset:204
	buffer_load_dword v92, off, s[0:3], 0 offset:200
	buffer_load_dword v94, off, s[0:3], 0 offset:248
	buffer_load_dword v96, off, s[0:3], 0 offset:240
	buffer_load_dword v99, off, s[0:3], 0 offset:236
	buffer_load_dword v98, off, s[0:3], 0 offset:232
	buffer_load_dword v95, off, s[0:3], 0 offset:252
	buffer_load_dword v91, off, s[0:3], 0 offset:212
	buffer_load_dword v100, off, s[0:3], 0 offset:144
	buffer_load_dword v101, off, s[0:3], 0 offset:148
	buffer_load_dword v102, off, s[0:3], 0 offset:160
	buffer_load_dword v103, off, s[0:3], 0 offset:164
	buffer_load_dword v104, off, s[0:3], 0 offset:176
	buffer_load_dword v105, off, s[0:3], 0 offset:180
	buffer_load_dword v107, off, s[0:3], 0 offset:196
	buffer_load_dword v106, off, s[0:3], 0 offset:192
	buffer_load_dword v109, off, s[0:3], 0 offset:228
	buffer_load_dword v108, off, s[0:3], 0 offset:224
	buffer_load_dword v97, off, s[0:3], 0 offset:244
	buffer_load_dword v110, off, s[0:3], 0 offset:128
	buffer_load_dword v111, off, s[0:3], 0 offset:132
	buffer_load_dword v112, off, s[0:3], 0 offset:136
	buffer_load_dword v113, off, s[0:3], 0 offset:140
	v_mov_b32_e32 v56, 0
	ds_read_b128 v[2:5], v56 offset:400
	ds_read_b128 v[6:9], v56 offset:416
	;; [unrolled: 1-line block ×7, first 2 shown]
	v_cmp_lt_u32_e32 vcc, 7, v76
	s_waitcnt vmcnt(30) lgkmcnt(6)
	v_mul_f64 v[114:115], v[2:3], v[54:55]
	v_mul_f64 v[54:55], v[4:5], v[54:55]
	s_waitcnt vmcnt(28) lgkmcnt(5)
	v_mul_f64 v[116:117], v[6:7], v[60:61]
	v_mul_f64 v[60:61], v[8:9], v[60:61]
	;; [unrolled: 3-line block ×4, first 2 shown]
	s_waitcnt vmcnt(21)
	v_mul_f64 v[120:121], v[14:15], v[92:93]
	v_mul_f64 v[92:93], v[16:17], v[92:93]
	s_waitcnt vmcnt(17) lgkmcnt(1)
	v_mul_f64 v[124:125], v[78:79], v[98:99]
	v_mul_f64 v[98:99], v[80:81], v[98:99]
	s_waitcnt vmcnt(16) lgkmcnt(0)
	v_mul_f64 v[126:127], v[82:83], v[94:95]
	v_mul_f64 v[94:95], v[84:85], v[94:95]
	s_waitcnt vmcnt(13)
	v_fma_f64 v[2:3], v[2:3], v[100:101], -v[54:55]
	v_fmac_f64_e32 v[114:115], v[4:5], v[100:101]
	s_waitcnt vmcnt(11)
	v_fma_f64 v[4:5], v[6:7], v[102:103], -v[60:61]
	v_add_f64 v[2:3], v[2:3], 0
	v_fmac_f64_e32 v[116:117], v[8:9], v[102:103]
	s_waitcnt vmcnt(9)
	v_fma_f64 v[6:7], v[10:11], v[104:105], -v[86:87]
	s_waitcnt vmcnt(7)
	v_fmac_f64_e32 v[120:121], v[16:17], v[106:107]
	v_add_f64 v[16:17], v[114:115], 0
	v_add_f64 v[2:3], v[2:3], v[4:5]
	v_fmac_f64_e32 v[118:119], v[12:13], v[104:105]
	v_fma_f64 v[8:9], v[14:15], v[106:107], -v[92:93]
	v_add_f64 v[16:17], v[16:17], v[116:117]
	v_add_f64 v[2:3], v[2:3], v[6:7]
	v_fma_f64 v[10:11], v[18:19], v[90:91], -v[88:89]
	v_add_f64 v[4:5], v[16:17], v[118:119]
	v_add_f64 v[2:3], v[2:3], v[8:9]
	v_fmac_f64_e32 v[122:123], v[20:21], v[90:91]
	s_waitcnt vmcnt(5)
	v_fma_f64 v[12:13], v[78:79], v[108:109], -v[98:99]
	v_add_f64 v[4:5], v[4:5], v[120:121]
	v_add_f64 v[2:3], v[2:3], v[10:11]
	v_fmac_f64_e32 v[124:125], v[80:81], v[108:109]
	s_waitcnt vmcnt(4)
	v_fma_f64 v[14:15], v[82:83], v[96:97], -v[94:95]
	v_add_f64 v[4:5], v[4:5], v[122:123]
	v_add_f64 v[2:3], v[2:3], v[12:13]
	v_fmac_f64_e32 v[126:127], v[84:85], v[96:97]
	v_add_f64 v[4:5], v[4:5], v[124:125]
	v_add_f64 v[2:3], v[2:3], v[14:15]
	;; [unrolled: 1-line block ×3, first 2 shown]
	s_waitcnt vmcnt(2)
	v_add_f64 v[2:3], v[110:111], -v[2:3]
	s_waitcnt vmcnt(0)
	v_add_f64 v[4:5], v[112:113], -v[4:5]
	buffer_store_dword v3, off, s[0:3], 0 offset:132
	buffer_store_dword v2, off, s[0:3], 0 offset:128
	;; [unrolled: 1-line block ×4, first 2 shown]
	s_and_saveexec_b64 s[6:7], vcc
	s_cbranch_execz .LBB15_95
; %bb.94:
	buffer_load_dword v2, v66, s[0:3], 0 offen
	buffer_load_dword v3, v66, s[0:3], 0 offen offset:4
	buffer_load_dword v4, v66, s[0:3], 0 offen offset:8
	;; [unrolled: 1-line block ×3, first 2 shown]
	s_nop 0
	buffer_store_dword v56, off, s[0:3], 0 offset:112
	buffer_store_dword v56, off, s[0:3], 0 offset:116
	;; [unrolled: 1-line block ×4, first 2 shown]
	s_waitcnt vmcnt(4)
	ds_write_b128 v58, v[2:5]
.LBB15_95:
	s_or_b64 exec, exec, s[6:7]
	s_waitcnt lgkmcnt(0)
	; wave barrier
	s_waitcnt lgkmcnt(0)
	ds_read_b128 v[14:17], v56 offset:384
	ds_read_b128 v[10:13], v56 offset:400
	;; [unrolled: 1-line block ×4, first 2 shown]
	buffer_load_dword v20, off, s[0:3], 0 offset:112
	buffer_load_dword v21, off, s[0:3], 0 offset:116
	;; [unrolled: 1-line block ×20, first 2 shown]
	v_cmp_lt_u32_e32 vcc, 6, v76
	s_waitcnt vmcnt(12) lgkmcnt(3)
	v_mul_f64 v[78:79], v[14:15], v[60:61]
	v_fmac_f64_e32 v[78:79], v[16:17], v[54:55]
	v_add_f64 v[78:79], v[78:79], 0
	v_mul_f64 v[16:17], v[16:17], v[60:61]
	s_waitcnt vmcnt(8) lgkmcnt(2)
	v_mul_f64 v[80:81], v[10:11], v[96:97]
	v_fmac_f64_e32 v[80:81], v[12:13], v[94:95]
	v_add_f64 v[78:79], v[78:79], v[80:81]
	v_fma_f64 v[14:15], v[14:15], v[54:55], -v[16:17]
	s_waitcnt vmcnt(4) lgkmcnt(1)
	v_mul_f64 v[80:81], v[6:7], v[100:101]
	v_fmac_f64_e32 v[80:81], v[8:9], v[98:99]
	v_add_f64 v[78:79], v[78:79], v[80:81]
	s_waitcnt vmcnt(0) lgkmcnt(0)
	v_mul_f64 v[80:81], v[2:3], v[104:105]
	v_fmac_f64_e32 v[80:81], v[4:5], v[102:103]
	v_add_f64 v[82:83], v[78:79], v[80:81]
	ds_read_b128 v[78:81], v56 offset:448
	buffer_load_dword v107, off, s[0:3], 0 offset:196
	buffer_load_dword v106, off, s[0:3], 0 offset:192
	;; [unrolled: 1-line block ×4, first 2 shown]
	v_mul_f64 v[12:13], v[12:13], v[96:97]
	v_add_f64 v[14:15], v[14:15], 0
	v_fma_f64 v[10:11], v[10:11], v[94:95], -v[12:13]
	v_mul_f64 v[8:9], v[8:9], v[100:101]
	v_add_f64 v[10:11], v[14:15], v[10:11]
	v_fma_f64 v[6:7], v[6:7], v[98:99], -v[8:9]
	;; [unrolled: 3-line block ×3, first 2 shown]
	v_add_f64 v[2:3], v[6:7], v[2:3]
	s_waitcnt vmcnt(0) lgkmcnt(0)
	v_mul_f64 v[84:85], v[78:79], v[108:109]
	v_fmac_f64_e32 v[84:85], v[80:81], v[106:107]
	v_add_f64 v[86:87], v[82:83], v[84:85]
	ds_read_b128 v[82:85], v56 offset:464
	buffer_load_dword v111, off, s[0:3], 0 offset:212
	buffer_load_dword v110, off, s[0:3], 0 offset:208
	buffer_load_dword v113, off, s[0:3], 0 offset:220
	buffer_load_dword v112, off, s[0:3], 0 offset:216
	v_mul_f64 v[4:5], v[80:81], v[108:109]
	v_fma_f64 v[4:5], v[78:79], v[106:107], -v[4:5]
	v_add_f64 v[2:3], v[2:3], v[4:5]
	s_waitcnt vmcnt(0) lgkmcnt(0)
	v_mul_f64 v[88:89], v[82:83], v[112:113]
	v_fmac_f64_e32 v[88:89], v[84:85], v[110:111]
	v_add_f64 v[90:91], v[86:87], v[88:89]
	ds_read_b128 v[86:89], v56 offset:480
	buffer_load_dword v115, off, s[0:3], 0 offset:228
	buffer_load_dword v114, off, s[0:3], 0 offset:224
	buffer_load_dword v117, off, s[0:3], 0 offset:236
	buffer_load_dword v116, off, s[0:3], 0 offset:232
	v_mul_f64 v[4:5], v[84:85], v[112:113]
	v_fma_f64 v[4:5], v[82:83], v[110:111], -v[4:5]
	v_add_f64 v[2:3], v[2:3], v[4:5]
	s_waitcnt vmcnt(0) lgkmcnt(0)
	v_mul_f64 v[92:93], v[86:87], v[116:117]
	v_fmac_f64_e32 v[92:93], v[88:89], v[114:115]
	v_add_f64 v[118:119], v[90:91], v[92:93]
	ds_read_b128 v[90:93], v56 offset:496
	buffer_load_dword v57, off, s[0:3], 0 offset:244
	buffer_load_dword v56, off, s[0:3], 0 offset:240
	buffer_load_dword v121, off, s[0:3], 0 offset:252
	buffer_load_dword v120, off, s[0:3], 0 offset:248
	v_mul_f64 v[4:5], v[88:89], v[116:117]
	v_fma_f64 v[4:5], v[86:87], v[114:115], -v[4:5]
	v_add_f64 v[2:3], v[2:3], v[4:5]
	s_waitcnt vmcnt(0) lgkmcnt(0)
	v_mul_f64 v[4:5], v[92:93], v[120:121]
	v_mul_f64 v[122:123], v[90:91], v[120:121]
	v_fma_f64 v[4:5], v[90:91], v[56:57], -v[4:5]
	v_fmac_f64_e32 v[122:123], v[92:93], v[56:57]
	v_add_f64 v[2:3], v[2:3], v[4:5]
	v_add_f64 v[118:119], v[118:119], v[122:123]
	v_add_f64 v[2:3], v[20:21], -v[2:3]
	v_add_f64 v[4:5], v[18:19], -v[118:119]
	buffer_store_dword v3, off, s[0:3], 0 offset:116
	buffer_store_dword v2, off, s[0:3], 0 offset:112
	;; [unrolled: 1-line block ×4, first 2 shown]
	s_and_saveexec_b64 s[6:7], vcc
	s_cbranch_execz .LBB15_97
; %bb.96:
	buffer_load_dword v2, v72, s[0:3], 0 offen
	buffer_load_dword v3, v72, s[0:3], 0 offen offset:4
	buffer_load_dword v4, v72, s[0:3], 0 offen offset:8
	;; [unrolled: 1-line block ×3, first 2 shown]
	v_mov_b32_e32 v6, 0
	buffer_store_dword v6, off, s[0:3], 0 offset:96
	buffer_store_dword v6, off, s[0:3], 0 offset:100
	;; [unrolled: 1-line block ×4, first 2 shown]
	s_waitcnt vmcnt(4)
	ds_write_b128 v58, v[2:5]
.LBB15_97:
	s_or_b64 exec, exec, s[6:7]
	s_waitcnt lgkmcnt(0)
	; wave barrier
	s_waitcnt lgkmcnt(0)
	buffer_load_dword v20, off, s[0:3], 0 offset:120
	buffer_load_dword v21, off, s[0:3], 0 offset:124
	;; [unrolled: 1-line block ×40, first 2 shown]
	v_mov_b32_e32 v6, 0
	ds_read_b128 v[2:5], v6 offset:368
	ds_read_b128 v[8:11], v6 offset:384
	;; [unrolled: 1-line block ×9, first 2 shown]
	v_cmp_lt_u32_e32 vcc, 5, v76
	s_waitcnt vmcnt(38) lgkmcnt(8)
	v_mul_f64 v[130:131], v[2:3], v[20:21]
	v_mul_f64 v[20:21], v[4:5], v[20:21]
	s_waitcnt vmcnt(36) lgkmcnt(7)
	v_mul_f64 v[132:133], v[8:9], v[60:61]
	v_mul_f64 v[60:61], v[10:11], v[60:61]
	;; [unrolled: 3-line block ×3, first 2 shown]
	s_waitcnt vmcnt(32) lgkmcnt(4)
	v_mul_f64 v[138:139], v[54:55], v[96:97]
	s_waitcnt vmcnt(30)
	v_fmac_f64_e32 v[138:139], v[56:57], v[98:99]
	s_waitcnt vmcnt(28)
	v_mul_f64 v[136:137], v[16:17], v[100:101]
	v_mul_f64 v[100:101], v[18:19], v[100:101]
	s_waitcnt vmcnt(26) lgkmcnt(2)
	v_mul_f64 v[142:143], v[82:83], v[102:103]
	s_waitcnt vmcnt(24)
	v_fmac_f64_e32 v[142:143], v[84:85], v[104:105]
	s_waitcnt vmcnt(22)
	v_mul_f64 v[140:141], v[78:79], v[106:107]
	s_waitcnt vmcnt(18) lgkmcnt(1)
	v_mul_f64 v[144:145], v[86:87], v[112:113]
	s_waitcnt vmcnt(17) lgkmcnt(0)
	v_mul_f64 v[146:147], v[90:91], v[108:109]
	s_waitcnt vmcnt(15)
	v_fma_f64 v[2:3], v[2:3], v[114:115], -v[20:21]
	v_fmac_f64_e32 v[130:131], v[4:5], v[114:115]
	s_waitcnt vmcnt(13)
	v_fma_f64 v[4:5], v[8:9], v[116:117], -v[60:61]
	v_add_f64 v[2:3], v[2:3], 0
	s_waitcnt vmcnt(11)
	v_fma_f64 v[8:9], v[12:13], v[118:119], -v[94:95]
	v_add_f64 v[2:3], v[2:3], v[4:5]
	v_fmac_f64_e32 v[132:133], v[10:11], v[116:117]
	s_waitcnt vmcnt(9)
	v_fma_f64 v[10:11], v[16:17], v[120:121], -v[100:101]
	v_add_f64 v[2:3], v[2:3], v[8:9]
	v_mul_f64 v[8:9], v[56:57], v[96:97]
	v_add_f64 v[2:3], v[2:3], v[10:11]
	v_fma_f64 v[8:9], v[54:55], v[98:99], -v[8:9]
	v_add_f64 v[2:3], v[2:3], v[8:9]
	v_mul_f64 v[8:9], v[80:81], v[106:107]
	v_add_f64 v[12:13], v[130:131], 0
	s_waitcnt vmcnt(7)
	v_fma_f64 v[8:9], v[78:79], v[122:123], -v[8:9]
	v_fmac_f64_e32 v[134:135], v[14:15], v[118:119]
	v_add_f64 v[12:13], v[12:13], v[132:133]
	v_add_f64 v[2:3], v[2:3], v[8:9]
	v_mul_f64 v[8:9], v[84:85], v[102:103]
	v_fmac_f64_e32 v[136:137], v[18:19], v[120:121]
	v_add_f64 v[4:5], v[12:13], v[134:135]
	v_fma_f64 v[8:9], v[82:83], v[104:105], -v[8:9]
	v_add_f64 v[4:5], v[4:5], v[136:137]
	v_add_f64 v[2:3], v[2:3], v[8:9]
	v_mul_f64 v[8:9], v[88:89], v[112:113]
	v_fmac_f64_e32 v[140:141], v[80:81], v[122:123]
	v_add_f64 v[4:5], v[4:5], v[138:139]
	s_waitcnt vmcnt(5)
	v_fma_f64 v[8:9], v[86:87], v[124:125], -v[8:9]
	v_add_f64 v[4:5], v[4:5], v[140:141]
	v_add_f64 v[2:3], v[2:3], v[8:9]
	v_mul_f64 v[8:9], v[92:93], v[108:109]
	v_fmac_f64_e32 v[144:145], v[88:89], v[124:125]
	v_add_f64 v[4:5], v[4:5], v[142:143]
	s_waitcnt vmcnt(4)
	v_fma_f64 v[8:9], v[90:91], v[110:111], -v[8:9]
	v_fmac_f64_e32 v[146:147], v[92:93], v[110:111]
	v_add_f64 v[4:5], v[4:5], v[144:145]
	v_add_f64 v[2:3], v[2:3], v[8:9]
	;; [unrolled: 1-line block ×3, first 2 shown]
	s_waitcnt vmcnt(2)
	v_add_f64 v[2:3], v[126:127], -v[2:3]
	s_waitcnt vmcnt(0)
	v_add_f64 v[4:5], v[128:129], -v[4:5]
	buffer_store_dword v3, off, s[0:3], 0 offset:100
	buffer_store_dword v2, off, s[0:3], 0 offset:96
	;; [unrolled: 1-line block ×4, first 2 shown]
	s_and_saveexec_b64 s[6:7], vcc
	s_cbranch_execz .LBB15_99
; %bb.98:
	buffer_load_dword v2, v70, s[0:3], 0 offen
	buffer_load_dword v3, v70, s[0:3], 0 offen offset:4
	buffer_load_dword v4, v70, s[0:3], 0 offen offset:8
	;; [unrolled: 1-line block ×3, first 2 shown]
	s_nop 0
	buffer_store_dword v6, off, s[0:3], 0 offset:80
	buffer_store_dword v6, off, s[0:3], 0 offset:84
	;; [unrolled: 1-line block ×4, first 2 shown]
	s_waitcnt vmcnt(4)
	ds_write_b128 v58, v[2:5]
.LBB15_99:
	s_or_b64 exec, exec, s[6:7]
	s_waitcnt lgkmcnt(0)
	; wave barrier
	s_waitcnt lgkmcnt(0)
	buffer_load_dword v4, off, s[0:3], 0 offset:96
	buffer_load_dword v5, off, s[0:3], 0 offset:100
	;; [unrolled: 1-line block ×44, first 2 shown]
	ds_read_b128 v[8:11], v6 offset:352
	ds_read_b128 v[12:15], v6 offset:368
	;; [unrolled: 1-line block ×10, first 2 shown]
	v_cmp_lt_u32_e32 vcc, 4, v76
	s_waitcnt vmcnt(40) lgkmcnt(9)
	v_mul_f64 v[6:7], v[8:9], v[20:21]
	v_mul_f64 v[20:21], v[10:11], v[20:21]
	s_waitcnt vmcnt(38) lgkmcnt(8)
	v_mul_f64 v[138:139], v[12:13], v[60:61]
	v_mul_f64 v[60:61], v[14:15], v[60:61]
	v_fmac_f64_e32 v[6:7], v[10:11], v[4:5]
	v_fma_f64 v[4:5], v[8:9], v[4:5], -v[20:21]
	s_waitcnt vmcnt(36) lgkmcnt(7)
	v_mul_f64 v[140:141], v[16:17], v[2:3]
	v_add_f64 v[4:5], v[4:5], 0
	v_mul_f64 v[2:3], v[18:19], v[2:3]
	v_add_f64 v[6:7], v[6:7], 0
	s_waitcnt vmcnt(30) lgkmcnt(6)
	v_mul_f64 v[142:143], v[54:55], v[106:107]
	s_waitcnt lgkmcnt(5)
	v_mul_f64 v[144:145], v[78:79], v[102:103]
	v_fmac_f64_e32 v[144:145], v[80:81], v[104:105]
	s_waitcnt vmcnt(28) lgkmcnt(3)
	v_mul_f64 v[148:149], v[86:87], v[108:109]
	s_waitcnt vmcnt(26)
	v_fmac_f64_e32 v[148:149], v[88:89], v[110:111]
	s_waitcnt vmcnt(24)
	v_mul_f64 v[146:147], v[82:83], v[112:113]
	s_waitcnt vmcnt(22) lgkmcnt(1)
	v_mul_f64 v[152:153], v[94:95], v[114:115]
	s_waitcnt vmcnt(20)
	v_fmac_f64_e32 v[152:153], v[96:97], v[116:117]
	s_waitcnt vmcnt(18)
	v_mul_f64 v[150:151], v[90:91], v[118:119]
	s_waitcnt vmcnt(16) lgkmcnt(0)
	v_mul_f64 v[154:155], v[98:99], v[120:121]
	s_waitcnt vmcnt(14)
	v_fma_f64 v[8:9], v[12:13], v[122:123], -v[60:61]
	v_add_f64 v[4:5], v[4:5], v[8:9]
	s_waitcnt vmcnt(12)
	v_fma_f64 v[2:3], v[16:17], v[124:125], -v[2:3]
	v_add_f64 v[2:3], v[4:5], v[2:3]
	v_mul_f64 v[4:5], v[56:57], v[106:107]
	s_waitcnt vmcnt(10)
	v_fma_f64 v[4:5], v[54:55], v[126:127], -v[4:5]
	v_add_f64 v[2:3], v[2:3], v[4:5]
	v_mul_f64 v[4:5], v[80:81], v[102:103]
	v_fma_f64 v[4:5], v[78:79], v[104:105], -v[4:5]
	v_add_f64 v[2:3], v[2:3], v[4:5]
	v_mul_f64 v[4:5], v[84:85], v[112:113]
	s_waitcnt vmcnt(8)
	v_fma_f64 v[4:5], v[82:83], v[128:129], -v[4:5]
	v_fmac_f64_e32 v[138:139], v[14:15], v[122:123]
	v_add_f64 v[2:3], v[2:3], v[4:5]
	v_mul_f64 v[4:5], v[88:89], v[108:109]
	v_fmac_f64_e32 v[140:141], v[18:19], v[124:125]
	v_add_f64 v[6:7], v[6:7], v[138:139]
	v_fma_f64 v[4:5], v[86:87], v[110:111], -v[4:5]
	v_fmac_f64_e32 v[142:143], v[56:57], v[126:127]
	v_add_f64 v[6:7], v[6:7], v[140:141]
	v_add_f64 v[2:3], v[2:3], v[4:5]
	v_mul_f64 v[4:5], v[92:93], v[118:119]
	v_add_f64 v[6:7], v[6:7], v[142:143]
	s_waitcnt vmcnt(6)
	v_fma_f64 v[4:5], v[90:91], v[130:131], -v[4:5]
	v_fmac_f64_e32 v[146:147], v[84:85], v[128:129]
	v_add_f64 v[6:7], v[6:7], v[144:145]
	v_add_f64 v[2:3], v[2:3], v[4:5]
	v_mul_f64 v[4:5], v[96:97], v[114:115]
	v_add_f64 v[6:7], v[6:7], v[146:147]
	v_fma_f64 v[4:5], v[94:95], v[116:117], -v[4:5]
	v_fmac_f64_e32 v[150:151], v[92:93], v[130:131]
	v_add_f64 v[6:7], v[6:7], v[148:149]
	v_add_f64 v[2:3], v[2:3], v[4:5]
	v_mul_f64 v[4:5], v[100:101], v[120:121]
	v_add_f64 v[6:7], v[6:7], v[150:151]
	s_waitcnt vmcnt(4)
	v_fma_f64 v[4:5], v[98:99], v[132:133], -v[4:5]
	v_fmac_f64_e32 v[154:155], v[100:101], v[132:133]
	v_add_f64 v[6:7], v[6:7], v[152:153]
	v_add_f64 v[2:3], v[2:3], v[4:5]
	;; [unrolled: 1-line block ×3, first 2 shown]
	s_waitcnt vmcnt(2)
	v_add_f64 v[2:3], v[134:135], -v[2:3]
	s_waitcnt vmcnt(0)
	v_add_f64 v[4:5], v[136:137], -v[6:7]
	buffer_store_dword v3, off, s[0:3], 0 offset:84
	buffer_store_dword v2, off, s[0:3], 0 offset:80
	;; [unrolled: 1-line block ×4, first 2 shown]
	s_and_saveexec_b64 s[6:7], vcc
	s_cbranch_execz .LBB15_101
; %bb.100:
	buffer_load_dword v2, v71, s[0:3], 0 offen
	buffer_load_dword v3, v71, s[0:3], 0 offen offset:4
	buffer_load_dword v4, v71, s[0:3], 0 offen offset:8
	;; [unrolled: 1-line block ×3, first 2 shown]
	v_mov_b32_e32 v6, 0
	buffer_store_dword v6, off, s[0:3], 0 offset:64
	buffer_store_dword v6, off, s[0:3], 0 offset:68
	buffer_store_dword v6, off, s[0:3], 0 offset:72
	buffer_store_dword v6, off, s[0:3], 0 offset:76
	s_waitcnt vmcnt(4)
	ds_write_b128 v58, v[2:5]
.LBB15_101:
	s_or_b64 exec, exec, s[6:7]
	s_waitcnt lgkmcnt(0)
	; wave barrier
	s_waitcnt lgkmcnt(0)
	buffer_load_dword v2, off, s[0:3], 0 offset:80
	buffer_load_dword v3, off, s[0:3], 0 offset:84
	;; [unrolled: 1-line block ×48, first 2 shown]
	v_mov_b32_e32 v12, 0
	ds_read_b128 v[14:17], v12 offset:336
	ds_read_b128 v[18:21], v12 offset:352
	;; [unrolled: 1-line block ×11, first 2 shown]
	v_cmp_lt_u32_e32 vcc, 3, v76
	s_waitcnt vmcnt(44) lgkmcnt(10)
	v_mul_f64 v[146:147], v[14:15], v[6:7]
	v_mul_f64 v[6:7], v[16:17], v[6:7]
	v_fmac_f64_e32 v[146:147], v[16:17], v[2:3]
	v_fma_f64 v[2:3], v[14:15], v[2:3], -v[6:7]
	s_waitcnt vmcnt(40) lgkmcnt(9)
	v_mul_f64 v[148:149], v[18:19], v[8:9]
	v_mul_f64 v[6:7], v[20:21], v[8:9]
	v_fmac_f64_e32 v[148:149], v[20:21], v[4:5]
	v_add_f64 v[2:3], v[2:3], 0
	v_fma_f64 v[4:5], v[18:19], v[4:5], -v[6:7]
	v_add_f64 v[2:3], v[2:3], v[4:5]
	s_waitcnt vmcnt(38) lgkmcnt(8)
	v_mul_f64 v[4:5], v[56:57], v[10:11]
	v_mul_f64 v[150:151], v[54:55], v[10:11]
	v_add_f64 v[146:147], v[146:147], 0
	s_waitcnt vmcnt(32) lgkmcnt(7)
	v_mul_f64 v[152:153], v[78:79], v[112:113]
	v_add_f64 v[146:147], v[146:147], v[148:149]
	s_waitcnt lgkmcnt(6)
	v_mul_f64 v[154:155], v[82:83], v[60:61]
	v_fmac_f64_e32 v[154:155], v[84:85], v[110:111]
	s_waitcnt vmcnt(30) lgkmcnt(4)
	v_mul_f64 v[158:159], v[90:91], v[114:115]
	s_waitcnt vmcnt(26)
	v_mul_f64 v[156:157], v[86:87], v[118:119]
	v_fmac_f64_e32 v[158:159], v[92:93], v[116:117]
	s_waitcnt vmcnt(24) lgkmcnt(2)
	v_mul_f64 v[162:163], v[98:99], v[120:121]
	s_waitcnt vmcnt(22)
	v_fmac_f64_e32 v[162:163], v[100:101], v[122:123]
	s_waitcnt vmcnt(20)
	v_mul_f64 v[160:161], v[94:95], v[124:125]
	s_waitcnt vmcnt(16) lgkmcnt(1)
	v_mul_f64 v[164:165], v[102:103], v[130:131]
	s_waitcnt vmcnt(14)
	v_fma_f64 v[4:5], v[54:55], v[132:133], -v[4:5]
	v_add_f64 v[2:3], v[2:3], v[4:5]
	v_mul_f64 v[4:5], v[80:81], v[112:113]
	s_waitcnt vmcnt(12)
	v_fma_f64 v[4:5], v[78:79], v[134:135], -v[4:5]
	v_add_f64 v[2:3], v[2:3], v[4:5]
	v_mul_f64 v[4:5], v[84:85], v[60:61]
	v_fma_f64 v[4:5], v[82:83], v[110:111], -v[4:5]
	v_add_f64 v[2:3], v[2:3], v[4:5]
	v_mul_f64 v[4:5], v[88:89], v[118:119]
	s_waitcnt vmcnt(10)
	v_fma_f64 v[4:5], v[86:87], v[136:137], -v[4:5]
	v_add_f64 v[2:3], v[2:3], v[4:5]
	v_mul_f64 v[4:5], v[92:93], v[114:115]
	v_fma_f64 v[4:5], v[90:91], v[116:117], -v[4:5]
	v_fmac_f64_e32 v[150:151], v[56:57], v[132:133]
	v_add_f64 v[2:3], v[2:3], v[4:5]
	v_mul_f64 v[4:5], v[96:97], v[124:125]
	v_fmac_f64_e32 v[152:153], v[80:81], v[134:135]
	v_add_f64 v[146:147], v[146:147], v[150:151]
	s_waitcnt vmcnt(8)
	v_fma_f64 v[4:5], v[94:95], v[138:139], -v[4:5]
	v_add_f64 v[146:147], v[146:147], v[152:153]
	v_add_f64 v[2:3], v[2:3], v[4:5]
	v_mul_f64 v[4:5], v[100:101], v[120:121]
	v_fmac_f64_e32 v[156:157], v[88:89], v[136:137]
	v_add_f64 v[146:147], v[146:147], v[154:155]
	v_fma_f64 v[4:5], v[98:99], v[122:123], -v[4:5]
	v_add_f64 v[146:147], v[146:147], v[156:157]
	v_add_f64 v[2:3], v[2:3], v[4:5]
	v_mul_f64 v[4:5], v[104:105], v[130:131]
	v_fmac_f64_e32 v[160:161], v[96:97], v[138:139]
	v_add_f64 v[146:147], v[146:147], v[158:159]
	s_waitcnt vmcnt(6)
	v_fma_f64 v[4:5], v[102:103], v[140:141], -v[4:5]
	v_add_f64 v[146:147], v[146:147], v[160:161]
	v_add_f64 v[2:3], v[2:3], v[4:5]
	s_waitcnt vmcnt(5) lgkmcnt(0)
	v_mul_f64 v[4:5], v[108:109], v[126:127]
	v_fmac_f64_e32 v[164:165], v[104:105], v[140:141]
	v_add_f64 v[146:147], v[146:147], v[162:163]
	v_mul_f64 v[148:149], v[106:107], v[126:127]
	s_waitcnt vmcnt(4)
	v_fma_f64 v[4:5], v[106:107], v[128:129], -v[4:5]
	v_add_f64 v[146:147], v[146:147], v[164:165]
	v_fmac_f64_e32 v[148:149], v[108:109], v[128:129]
	v_add_f64 v[2:3], v[2:3], v[4:5]
	v_add_f64 v[146:147], v[146:147], v[148:149]
	s_waitcnt vmcnt(2)
	v_add_f64 v[2:3], v[142:143], -v[2:3]
	s_waitcnt vmcnt(0)
	v_add_f64 v[4:5], v[144:145], -v[146:147]
	buffer_store_dword v3, off, s[0:3], 0 offset:68
	buffer_store_dword v2, off, s[0:3], 0 offset:64
	;; [unrolled: 1-line block ×4, first 2 shown]
	s_and_saveexec_b64 s[6:7], vcc
	s_cbranch_execz .LBB15_103
; %bb.102:
	buffer_load_dword v2, v75, s[0:3], 0 offen
	buffer_load_dword v3, v75, s[0:3], 0 offen offset:4
	buffer_load_dword v4, v75, s[0:3], 0 offen offset:8
	;; [unrolled: 1-line block ×3, first 2 shown]
	s_nop 0
	buffer_store_dword v12, off, s[0:3], 0 offset:48
	buffer_store_dword v12, off, s[0:3], 0 offset:52
	;; [unrolled: 1-line block ×4, first 2 shown]
	s_waitcnt vmcnt(4)
	ds_write_b128 v58, v[2:5]
.LBB15_103:
	s_or_b64 exec, exec, s[6:7]
	s_waitcnt lgkmcnt(0)
	; wave barrier
	s_waitcnt lgkmcnt(0)
	buffer_load_dword v2, off, s[0:3], 0 offset:64
	buffer_load_dword v3, off, s[0:3], 0 offset:68
	;; [unrolled: 1-line block ×52, first 2 shown]
	ds_read_b128 v[14:17], v12 offset:320
	ds_read_b128 v[18:21], v12 offset:336
	;; [unrolled: 1-line block ×10, first 2 shown]
	v_cmp_lt_u32_e32 vcc, 2, v76
	s_waitcnt vmcnt(48) lgkmcnt(9)
	v_mul_f64 v[106:107], v[14:15], v[6:7]
	v_mul_f64 v[6:7], v[16:17], v[6:7]
	v_fmac_f64_e32 v[106:107], v[16:17], v[2:3]
	v_fma_f64 v[2:3], v[14:15], v[2:3], -v[6:7]
	s_waitcnt vmcnt(44) lgkmcnt(8)
	v_mul_f64 v[108:109], v[18:19], v[8:9]
	v_mul_f64 v[6:7], v[20:21], v[8:9]
	v_fmac_f64_e32 v[108:109], v[20:21], v[4:5]
	v_add_f64 v[2:3], v[2:3], 0
	v_fma_f64 v[4:5], v[18:19], v[4:5], -v[6:7]
	v_add_f64 v[2:3], v[2:3], v[4:5]
	s_waitcnt vmcnt(42) lgkmcnt(7)
	v_mul_f64 v[4:5], v[56:57], v[10:11]
	v_mul_f64 v[110:111], v[54:55], v[10:11]
	v_add_f64 v[106:107], v[106:107], 0
	s_waitcnt vmcnt(36) lgkmcnt(6)
	v_mul_f64 v[112:113], v[78:79], v[116:117]
	v_add_f64 v[106:107], v[106:107], v[108:109]
	s_waitcnt lgkmcnt(5)
	v_mul_f64 v[154:155], v[82:83], v[60:61]
	v_fmac_f64_e32 v[154:155], v[84:85], v[114:115]
	s_waitcnt vmcnt(34) lgkmcnt(3)
	v_mul_f64 v[158:159], v[90:91], v[118:119]
	s_waitcnt vmcnt(30)
	v_mul_f64 v[156:157], v[86:87], v[122:123]
	v_fmac_f64_e32 v[158:159], v[92:93], v[120:121]
	s_waitcnt vmcnt(26) lgkmcnt(2)
	v_mul_f64 v[160:161], v[94:95], v[128:129]
	s_waitcnt vmcnt(25) lgkmcnt(1)
	v_mul_f64 v[162:163], v[98:99], v[124:125]
	s_waitcnt vmcnt(23)
	v_fma_f64 v[4:5], v[54:55], v[130:131], -v[4:5]
	v_add_f64 v[2:3], v[2:3], v[4:5]
	v_mul_f64 v[4:5], v[80:81], v[116:117]
	s_waitcnt vmcnt(21)
	v_fma_f64 v[4:5], v[78:79], v[132:133], -v[4:5]
	v_fmac_f64_e32 v[110:111], v[56:57], v[130:131]
	v_add_f64 v[2:3], v[2:3], v[4:5]
	v_mul_f64 v[4:5], v[84:85], v[60:61]
	v_fmac_f64_e32 v[112:113], v[80:81], v[132:133]
	v_add_f64 v[106:107], v[106:107], v[110:111]
	v_fma_f64 v[4:5], v[82:83], v[114:115], -v[4:5]
	v_add_f64 v[106:107], v[106:107], v[112:113]
	v_add_f64 v[2:3], v[2:3], v[4:5]
	v_mul_f64 v[4:5], v[88:89], v[122:123]
	s_waitcnt vmcnt(19)
	v_fmac_f64_e32 v[156:157], v[88:89], v[134:135]
	v_add_f64 v[106:107], v[106:107], v[154:155]
	v_fma_f64 v[4:5], v[86:87], v[134:135], -v[4:5]
	v_add_f64 v[106:107], v[106:107], v[156:157]
	v_add_f64 v[2:3], v[2:3], v[4:5]
	v_mul_f64 v[4:5], v[92:93], v[118:119]
	s_waitcnt vmcnt(17)
	v_fmac_f64_e32 v[160:161], v[96:97], v[136:137]
	v_add_f64 v[106:107], v[106:107], v[158:159]
	v_fma_f64 v[4:5], v[90:91], v[120:121], -v[4:5]
	s_waitcnt vmcnt(16)
	v_fmac_f64_e32 v[162:163], v[100:101], v[126:127]
	v_add_f64 v[106:107], v[106:107], v[160:161]
	v_add_f64 v[2:3], v[2:3], v[4:5]
	v_mul_f64 v[4:5], v[96:97], v[128:129]
	v_add_f64 v[154:155], v[106:107], v[162:163]
	ds_read_b128 v[106:109], v12 offset:480
	ds_read_b128 v[110:113], v12 offset:496
	v_fma_f64 v[4:5], v[94:95], v[136:137], -v[4:5]
	v_add_f64 v[2:3], v[2:3], v[4:5]
	v_mul_f64 v[4:5], v[100:101], v[124:125]
	v_fma_f64 v[4:5], v[98:99], v[126:127], -v[4:5]
	v_add_f64 v[2:3], v[2:3], v[4:5]
	s_waitcnt vmcnt(12) lgkmcnt(2)
	v_mul_f64 v[4:5], v[104:105], v[142:143]
	v_mul_f64 v[156:157], v[102:103], v[142:143]
	s_waitcnt vmcnt(10)
	v_fma_f64 v[4:5], v[102:103], v[144:145], -v[4:5]
	v_fmac_f64_e32 v[156:157], v[104:105], v[144:145]
	v_add_f64 v[2:3], v[2:3], v[4:5]
	s_waitcnt vmcnt(8) lgkmcnt(1)
	v_mul_f64 v[4:5], v[108:109], v[138:139]
	v_add_f64 v[12:13], v[154:155], v[156:157]
	v_mul_f64 v[154:155], v[106:107], v[138:139]
	v_fma_f64 v[4:5], v[106:107], v[140:141], -v[4:5]
	v_fmac_f64_e32 v[154:155], v[108:109], v[140:141]
	v_add_f64 v[2:3], v[2:3], v[4:5]
	s_waitcnt vmcnt(6) lgkmcnt(0)
	v_mul_f64 v[4:5], v[112:113], v[146:147]
	v_add_f64 v[12:13], v[12:13], v[154:155]
	v_mul_f64 v[154:155], v[110:111], v[146:147]
	s_waitcnt vmcnt(4)
	v_fma_f64 v[4:5], v[110:111], v[148:149], -v[4:5]
	v_fmac_f64_e32 v[154:155], v[112:113], v[148:149]
	v_add_f64 v[2:3], v[2:3], v[4:5]
	v_add_f64 v[12:13], v[12:13], v[154:155]
	s_waitcnt vmcnt(2)
	v_add_f64 v[2:3], v[150:151], -v[2:3]
	s_waitcnt vmcnt(0)
	v_add_f64 v[4:5], v[152:153], -v[12:13]
	buffer_store_dword v3, off, s[0:3], 0 offset:52
	buffer_store_dword v2, off, s[0:3], 0 offset:48
	;; [unrolled: 1-line block ×4, first 2 shown]
	s_and_saveexec_b64 s[6:7], vcc
	s_cbranch_execz .LBB15_105
; %bb.104:
	buffer_load_dword v2, v74, s[0:3], 0 offen
	buffer_load_dword v3, v74, s[0:3], 0 offen offset:4
	buffer_load_dword v4, v74, s[0:3], 0 offen offset:8
	;; [unrolled: 1-line block ×3, first 2 shown]
	v_mov_b32_e32 v6, 0
	buffer_store_dword v6, off, s[0:3], 0 offset:32
	buffer_store_dword v6, off, s[0:3], 0 offset:36
	;; [unrolled: 1-line block ×4, first 2 shown]
	s_waitcnt vmcnt(4)
	ds_write_b128 v58, v[2:5]
.LBB15_105:
	s_or_b64 exec, exec, s[6:7]
	s_waitcnt lgkmcnt(0)
	; wave barrier
	s_waitcnt lgkmcnt(0)
	buffer_load_dword v2, off, s[0:3], 0 offset:48
	buffer_load_dword v3, off, s[0:3], 0 offset:52
	;; [unrolled: 1-line block ×56, first 2 shown]
	v_mov_b32_e32 v59, 0
	ds_read_b128 v[18:21], v59 offset:304
	ds_read_b128 v[54:57], v59 offset:320
	;; [unrolled: 1-line block ×9, first 2 shown]
	v_cmp_lt_u32_e32 vcc, 1, v76
	s_waitcnt vmcnt(52) lgkmcnt(8)
	v_mul_f64 v[102:103], v[18:19], v[6:7]
	v_fmac_f64_e32 v[102:103], v[20:21], v[2:3]
	v_mul_f64 v[6:7], v[20:21], v[6:7]
	v_add_f64 v[102:103], v[102:103], 0
	s_waitcnt vmcnt(48) lgkmcnt(7)
	v_mul_f64 v[104:105], v[54:55], v[8:9]
	v_fmac_f64_e32 v[104:105], v[56:57], v[4:5]
	s_waitcnt vmcnt(46) lgkmcnt(6)
	v_mul_f64 v[106:107], v[78:79], v[10:11]
	v_fma_f64 v[2:3], v[18:19], v[2:3], -v[6:7]
	v_mul_f64 v[6:7], v[56:57], v[8:9]
	v_add_f64 v[102:103], v[102:103], v[104:105]
	v_add_f64 v[2:3], v[2:3], 0
	v_fma_f64 v[4:5], v[54:55], v[4:5], -v[6:7]
	s_waitcnt vmcnt(40) lgkmcnt(5)
	v_mul_f64 v[108:109], v[82:83], v[16:17]
	s_waitcnt lgkmcnt(4)
	v_mul_f64 v[110:111], v[86:87], v[12:13]
	v_add_f64 v[2:3], v[2:3], v[4:5]
	v_mul_f64 v[4:5], v[80:81], v[10:11]
	s_waitcnt vmcnt(36) lgkmcnt(3)
	v_mul_f64 v[112:113], v[90:91], v[124:125]
	v_fmac_f64_e32 v[110:111], v[88:89], v[14:15]
	s_waitcnt vmcnt(35) lgkmcnt(2)
	v_mul_f64 v[114:115], v[94:95], v[60:61]
	s_waitcnt vmcnt(33)
	v_fmac_f64_e32 v[106:107], v[80:81], v[126:127]
	v_add_f64 v[102:103], v[102:103], v[106:107]
	s_waitcnt vmcnt(31)
	v_fmac_f64_e32 v[108:109], v[84:85], v[128:129]
	v_add_f64 v[102:103], v[102:103], v[108:109]
	v_fma_f64 v[4:5], v[78:79], v[126:127], -v[4:5]
	s_waitcnt vmcnt(29)
	v_fmac_f64_e32 v[112:113], v[92:93], v[130:131]
	v_add_f64 v[102:103], v[102:103], v[110:111]
	v_add_f64 v[2:3], v[2:3], v[4:5]
	v_mul_f64 v[4:5], v[84:85], v[16:17]
	s_waitcnt vmcnt(28)
	v_fmac_f64_e32 v[114:115], v[96:97], v[122:123]
	v_add_f64 v[102:103], v[102:103], v[112:113]
	v_fma_f64 v[4:5], v[82:83], v[128:129], -v[4:5]
	v_add_f64 v[106:107], v[102:103], v[114:115]
	ds_read_b128 v[102:105], v59 offset:432
	s_waitcnt vmcnt(24) lgkmcnt(2)
	v_mul_f64 v[108:109], v[98:99], v[136:137]
	v_add_f64 v[2:3], v[2:3], v[4:5]
	v_mul_f64 v[4:5], v[88:89], v[12:13]
	s_waitcnt vmcnt(22)
	v_fmac_f64_e32 v[108:109], v[100:101], v[138:139]
	v_fma_f64 v[4:5], v[86:87], v[14:15], -v[4:5]
	v_add_f64 v[110:111], v[106:107], v[108:109]
	ds_read_b128 v[106:109], v59 offset:448
	v_add_f64 v[2:3], v[2:3], v[4:5]
	v_mul_f64 v[4:5], v[92:93], v[124:125]
	v_fma_f64 v[4:5], v[90:91], v[130:131], -v[4:5]
	v_add_f64 v[2:3], v[2:3], v[4:5]
	v_mul_f64 v[4:5], v[96:97], v[60:61]
	s_waitcnt vmcnt(20) lgkmcnt(1)
	v_mul_f64 v[112:113], v[102:103], v[132:133]
	v_fma_f64 v[4:5], v[94:95], v[122:123], -v[4:5]
	v_fmac_f64_e32 v[112:113], v[104:105], v[134:135]
	v_add_f64 v[2:3], v[2:3], v[4:5]
	v_mul_f64 v[4:5], v[100:101], v[136:137]
	v_add_f64 v[114:115], v[110:111], v[112:113]
	ds_read_b128 v[110:113], v59 offset:464
	s_waitcnt vmcnt(16) lgkmcnt(1)
	v_mul_f64 v[116:117], v[106:107], v[144:145]
	v_fma_f64 v[4:5], v[98:99], v[138:139], -v[4:5]
	s_waitcnt vmcnt(14)
	v_fmac_f64_e32 v[116:117], v[108:109], v[146:147]
	v_add_f64 v[2:3], v[2:3], v[4:5]
	v_mul_f64 v[4:5], v[104:105], v[132:133]
	v_add_f64 v[160:161], v[114:115], v[116:117]
	ds_read_b128 v[114:117], v59 offset:480
	v_fma_f64 v[4:5], v[102:103], v[134:135], -v[4:5]
	v_add_f64 v[2:3], v[2:3], v[4:5]
	v_mul_f64 v[4:5], v[108:109], v[144:145]
	v_fma_f64 v[4:5], v[106:107], v[146:147], -v[4:5]
	v_add_f64 v[2:3], v[2:3], v[4:5]
	s_waitcnt vmcnt(12) lgkmcnt(1)
	v_mul_f64 v[4:5], v[112:113], v[140:141]
	v_mul_f64 v[162:163], v[110:111], v[140:141]
	v_fma_f64 v[4:5], v[110:111], v[142:143], -v[4:5]
	v_fmac_f64_e32 v[162:163], v[112:113], v[142:143]
	v_add_f64 v[2:3], v[2:3], v[4:5]
	s_waitcnt vmcnt(8) lgkmcnt(0)
	v_mul_f64 v[4:5], v[116:117], v[152:153]
	v_add_f64 v[160:161], v[160:161], v[162:163]
	v_mul_f64 v[162:163], v[114:115], v[152:153]
	s_waitcnt vmcnt(6)
	v_fma_f64 v[4:5], v[114:115], v[154:155], -v[4:5]
	v_fmac_f64_e32 v[162:163], v[116:117], v[154:155]
	v_add_f64 v[2:3], v[2:3], v[4:5]
	s_waitcnt vmcnt(5)
	v_mul_f64 v[4:5], v[120:121], v[148:149]
	v_add_f64 v[160:161], v[160:161], v[162:163]
	v_mul_f64 v[162:163], v[118:119], v[148:149]
	s_waitcnt vmcnt(4)
	v_fma_f64 v[4:5], v[118:119], v[150:151], -v[4:5]
	v_fmac_f64_e32 v[162:163], v[120:121], v[150:151]
	v_add_f64 v[2:3], v[2:3], v[4:5]
	v_add_f64 v[160:161], v[160:161], v[162:163]
	s_waitcnt vmcnt(2)
	v_add_f64 v[2:3], v[156:157], -v[2:3]
	s_waitcnt vmcnt(0)
	v_add_f64 v[4:5], v[158:159], -v[160:161]
	buffer_store_dword v3, off, s[0:3], 0 offset:36
	buffer_store_dword v2, off, s[0:3], 0 offset:32
	;; [unrolled: 1-line block ×4, first 2 shown]
	s_and_saveexec_b64 s[6:7], vcc
	s_cbranch_execz .LBB15_107
; %bb.106:
	buffer_load_dword v2, v73, s[0:3], 0 offen
	buffer_load_dword v3, v73, s[0:3], 0 offen offset:4
	buffer_load_dword v4, v73, s[0:3], 0 offen offset:8
	;; [unrolled: 1-line block ×3, first 2 shown]
	s_nop 0
	buffer_store_dword v59, off, s[0:3], 0 offset:16
	buffer_store_dword v59, off, s[0:3], 0 offset:20
	;; [unrolled: 1-line block ×4, first 2 shown]
	s_waitcnt vmcnt(4)
	ds_write_b128 v58, v[2:5]
.LBB15_107:
	s_or_b64 exec, exec, s[6:7]
	s_waitcnt lgkmcnt(0)
	; wave barrier
	s_waitcnt lgkmcnt(0)
	buffer_load_dword v2, off, s[0:3], 0 offset:32
	buffer_load_dword v3, off, s[0:3], 0 offset:36
	;; [unrolled: 1-line block ×60, first 2 shown]
	ds_read_b128 v[78:81], v59 offset:288
	ds_read_b128 v[82:85], v59 offset:304
	;; [unrolled: 1-line block ×8, first 2 shown]
	v_cmp_ne_u32_e32 vcc, 0, v76
	ds_read_b128 v[130:133], v59 offset:496
	s_waitcnt vmcnt(56) lgkmcnt(8)
	v_mul_f64 v[110:111], v[78:79], v[6:7]
	v_fmac_f64_e32 v[110:111], v[80:81], v[2:3]
	v_add_f64 v[110:111], v[110:111], 0
	v_mul_f64 v[6:7], v[80:81], v[6:7]
	s_waitcnt vmcnt(52) lgkmcnt(7)
	v_mul_f64 v[112:113], v[82:83], v[8:9]
	v_fmac_f64_e32 v[112:113], v[84:85], v[4:5]
	s_waitcnt vmcnt(50) lgkmcnt(6)
	v_mul_f64 v[114:115], v[86:87], v[10:11]
	v_add_f64 v[110:111], v[110:111], v[112:113]
	s_waitcnt vmcnt(48) lgkmcnt(4)
	v_mul_f64 v[118:119], v[94:95], v[12:13]
	v_fma_f64 v[2:3], v[78:79], v[2:3], -v[6:7]
	s_waitcnt vmcnt(46)
	v_fmac_f64_e32 v[118:119], v[96:97], v[14:15]
	v_mul_f64 v[6:7], v[84:85], v[8:9]
	s_waitcnt vmcnt(44)
	v_mul_f64 v[116:117], v[90:91], v[16:17]
	v_add_f64 v[2:3], v[2:3], 0
	s_waitcnt vmcnt(42) lgkmcnt(3)
	v_mul_f64 v[120:121], v[98:99], v[18:19]
	v_fma_f64 v[4:5], v[82:83], v[4:5], -v[6:7]
	s_waitcnt vmcnt(40)
	v_fmac_f64_e32 v[114:115], v[88:89], v[60:61]
	v_add_f64 v[110:111], v[110:111], v[114:115]
	s_waitcnt vmcnt(38)
	v_fmac_f64_e32 v[116:117], v[92:93], v[134:135]
	v_add_f64 v[110:111], v[110:111], v[116:117]
	;; [unrolled: 3-line block ×3, first 2 shown]
	v_add_f64 v[110:111], v[110:111], v[120:121]
	v_add_f64 v[2:3], v[2:3], v[4:5]
	s_waitcnt vmcnt(32) lgkmcnt(2)
	v_mul_f64 v[112:113], v[102:103], v[20:21]
	v_fmac_f64_e32 v[112:113], v[104:105], v[54:55]
	v_mul_f64 v[4:5], v[88:89], v[10:11]
	v_add_f64 v[114:115], v[110:111], v[112:113]
	ds_read_b128 v[110:113], v59 offset:416
	v_fma_f64 v[4:5], v[86:87], v[60:61], -v[4:5]
	v_add_f64 v[2:3], v[2:3], v[4:5]
	v_mul_f64 v[4:5], v[92:93], v[16:17]
	v_fma_f64 v[4:5], v[90:91], v[134:135], -v[4:5]
	s_waitcnt vmcnt(29) lgkmcnt(2)
	v_mul_f64 v[116:117], v[106:107], v[138:139]
	v_add_f64 v[2:3], v[2:3], v[4:5]
	v_mul_f64 v[4:5], v[96:97], v[12:13]
	s_waitcnt vmcnt(27)
	v_fmac_f64_e32 v[116:117], v[108:109], v[140:141]
	v_fma_f64 v[4:5], v[94:95], v[14:15], -v[4:5]
	v_add_f64 v[118:119], v[114:115], v[116:117]
	ds_read_b128 v[114:117], v59 offset:432
	s_waitcnt vmcnt(24) lgkmcnt(1)
	v_mul_f64 v[120:121], v[110:111], v[136:137]
	v_add_f64 v[2:3], v[2:3], v[4:5]
	v_mul_f64 v[4:5], v[100:101], v[18:19]
	v_fmac_f64_e32 v[120:121], v[112:113], v[142:143]
	v_fma_f64 v[4:5], v[98:99], v[56:57], -v[4:5]
	v_add_f64 v[122:123], v[118:119], v[120:121]
	ds_read_b128 v[118:121], v59 offset:448
	v_add_f64 v[2:3], v[2:3], v[4:5]
	v_mul_f64 v[4:5], v[104:105], v[20:21]
	v_fma_f64 v[4:5], v[102:103], v[54:55], -v[4:5]
	v_add_f64 v[2:3], v[2:3], v[4:5]
	v_mul_f64 v[4:5], v[108:109], v[138:139]
	s_waitcnt vmcnt(21) lgkmcnt(1)
	v_mul_f64 v[124:125], v[114:115], v[146:147]
	v_fma_f64 v[4:5], v[106:107], v[140:141], -v[4:5]
	s_waitcnt vmcnt(19)
	v_fmac_f64_e32 v[124:125], v[116:117], v[148:149]
	v_add_f64 v[2:3], v[2:3], v[4:5]
	v_mul_f64 v[4:5], v[112:113], v[136:137]
	v_add_f64 v[126:127], v[122:123], v[124:125]
	ds_read_b128 v[122:125], v59 offset:464
	s_waitcnt vmcnt(16) lgkmcnt(1)
	v_mul_f64 v[128:129], v[118:119], v[144:145]
	v_fma_f64 v[4:5], v[110:111], v[142:143], -v[4:5]
	v_fmac_f64_e32 v[128:129], v[120:121], v[150:151]
	v_add_f64 v[2:3], v[2:3], v[4:5]
	v_mul_f64 v[4:5], v[116:117], v[146:147]
	v_add_f64 v[168:169], v[126:127], v[128:129]
	ds_read_b128 v[126:129], v59 offset:480
	v_fma_f64 v[4:5], v[114:115], v[148:149], -v[4:5]
	v_add_f64 v[2:3], v[2:3], v[4:5]
	v_mul_f64 v[4:5], v[120:121], v[144:145]
	v_fma_f64 v[4:5], v[118:119], v[150:151], -v[4:5]
	v_add_f64 v[2:3], v[2:3], v[4:5]
	s_waitcnt vmcnt(13) lgkmcnt(1)
	v_mul_f64 v[4:5], v[124:125], v[154:155]
	v_mul_f64 v[170:171], v[122:123], v[154:155]
	s_waitcnt vmcnt(11)
	v_fma_f64 v[4:5], v[122:123], v[156:157], -v[4:5]
	v_fmac_f64_e32 v[170:171], v[124:125], v[156:157]
	v_add_f64 v[2:3], v[2:3], v[4:5]
	s_waitcnt vmcnt(8) lgkmcnt(0)
	v_mul_f64 v[4:5], v[128:129], v[152:153]
	v_add_f64 v[168:169], v[168:169], v[170:171]
	v_mul_f64 v[170:171], v[126:127], v[152:153]
	v_fma_f64 v[4:5], v[126:127], v[158:159], -v[4:5]
	v_fmac_f64_e32 v[170:171], v[128:129], v[158:159]
	v_add_f64 v[2:3], v[2:3], v[4:5]
	s_waitcnt vmcnt(6)
	v_mul_f64 v[4:5], v[132:133], v[160:161]
	v_add_f64 v[168:169], v[168:169], v[170:171]
	v_mul_f64 v[170:171], v[130:131], v[160:161]
	s_waitcnt vmcnt(4)
	v_fma_f64 v[4:5], v[130:131], v[162:163], -v[4:5]
	v_fmac_f64_e32 v[170:171], v[132:133], v[162:163]
	v_add_f64 v[2:3], v[2:3], v[4:5]
	v_add_f64 v[168:169], v[168:169], v[170:171]
	s_waitcnt vmcnt(2)
	v_add_f64 v[2:3], v[164:165], -v[2:3]
	s_waitcnt vmcnt(0)
	v_add_f64 v[4:5], v[166:167], -v[168:169]
	buffer_store_dword v3, off, s[0:3], 0 offset:20
	buffer_store_dword v2, off, s[0:3], 0 offset:16
	;; [unrolled: 1-line block ×4, first 2 shown]
	s_and_saveexec_b64 s[6:7], vcc
	s_cbranch_execz .LBB15_109
; %bb.108:
	buffer_load_dword v2, off, s[0:3], 0
	buffer_load_dword v3, off, s[0:3], 0 offset:4
	buffer_load_dword v4, off, s[0:3], 0 offset:8
	;; [unrolled: 1-line block ×3, first 2 shown]
	v_mov_b32_e32 v6, 0
	buffer_store_dword v6, off, s[0:3], 0
	buffer_store_dword v6, off, s[0:3], 0 offset:4
	buffer_store_dword v6, off, s[0:3], 0 offset:8
	;; [unrolled: 1-line block ×3, first 2 shown]
	s_waitcnt vmcnt(4)
	ds_write_b128 v58, v[2:5]
.LBB15_109:
	s_or_b64 exec, exec, s[6:7]
	s_waitcnt lgkmcnt(0)
	; wave barrier
	s_waitcnt lgkmcnt(0)
	buffer_load_dword v2, off, s[0:3], 0 offset:16
	buffer_load_dword v3, off, s[0:3], 0 offset:20
	;; [unrolled: 1-line block ×60, first 2 shown]
	buffer_load_dword v170, off, s[0:3], 0
	buffer_load_dword v171, off, s[0:3], 0 offset:4
	buffer_load_dword v172, off, s[0:3], 0 offset:8
	;; [unrolled: 1-line block ×3, first 2 shown]
	v_mov_b32_e32 v77, 0
	ds_read_b128 v[78:81], v77 offset:272
	ds_read_b128 v[82:85], v77 offset:288
	;; [unrolled: 1-line block ×7, first 2 shown]
	s_and_b64 vcc, exec, s[26:27]
	s_waitcnt vmcnt(60) lgkmcnt(6)
	v_mul_f64 v[102:103], v[78:79], v[6:7]
	v_fmac_f64_e32 v[102:103], v[80:81], v[2:3]
	v_add_f64 v[102:103], v[102:103], 0
	v_mul_f64 v[6:7], v[80:81], v[6:7]
	s_waitcnt vmcnt(56) lgkmcnt(5)
	v_mul_f64 v[104:105], v[82:83], v[8:9]
	v_fmac_f64_e32 v[104:105], v[84:85], v[4:5]
	s_waitcnt vmcnt(54) lgkmcnt(4)
	v_mul_f64 v[106:107], v[86:87], v[10:11]
	v_add_f64 v[102:103], v[102:103], v[104:105]
	v_fma_f64 v[2:3], v[78:79], v[2:3], -v[6:7]
	v_mul_f64 v[6:7], v[84:85], v[8:9]
	s_waitcnt vmcnt(50) lgkmcnt(3)
	v_mul_f64 v[108:109], v[90:91], v[16:17]
	s_waitcnt vmcnt(49) lgkmcnt(2)
	v_mul_f64 v[110:111], v[94:95], v[12:13]
	v_add_f64 v[2:3], v[2:3], 0
	s_waitcnt vmcnt(47)
	v_fmac_f64_e32 v[106:107], v[88:89], v[20:21]
	v_add_f64 v[102:103], v[102:103], v[106:107]
	s_waitcnt vmcnt(45)
	v_fmac_f64_e32 v[108:109], v[92:93], v[18:19]
	;; [unrolled: 3-line block ×3, first 2 shown]
	v_add_f64 v[106:107], v[102:103], v[110:111]
	ds_read_b128 v[102:105], v77 offset:368
	s_waitcnt vmcnt(40) lgkmcnt(2)
	v_mul_f64 v[108:109], v[98:99], v[58:59]
	v_fma_f64 v[4:5], v[82:83], v[4:5], -v[6:7]
	s_waitcnt vmcnt(38)
	v_fmac_f64_e32 v[108:109], v[100:101], v[60:61]
	v_add_f64 v[110:111], v[106:107], v[108:109]
	ds_read_b128 v[106:109], v77 offset:384
	s_waitcnt vmcnt(36) lgkmcnt(1)
	v_mul_f64 v[112:113], v[102:103], v[54:55]
	v_fmac_f64_e32 v[112:113], v[104:105], v[56:57]
	v_add_f64 v[2:3], v[2:3], v[4:5]
	v_mul_f64 v[4:5], v[88:89], v[10:11]
	v_add_f64 v[114:115], v[110:111], v[112:113]
	ds_read_b128 v[110:113], v77 offset:400
	s_waitcnt vmcnt(32) lgkmcnt(1)
	v_mul_f64 v[116:117], v[106:107], v[142:143]
	v_fma_f64 v[4:5], v[86:87], v[20:21], -v[4:5]
	s_waitcnt vmcnt(30)
	v_fmac_f64_e32 v[116:117], v[108:109], v[144:145]
	v_add_f64 v[2:3], v[2:3], v[4:5]
	v_mul_f64 v[4:5], v[92:93], v[16:17]
	v_add_f64 v[118:119], v[114:115], v[116:117]
	ds_read_b128 v[114:117], v77 offset:416
	v_fma_f64 v[4:5], v[90:91], v[18:19], -v[4:5]
	v_add_f64 v[2:3], v[2:3], v[4:5]
	v_mul_f64 v[4:5], v[96:97], v[12:13]
	v_fma_f64 v[4:5], v[94:95], v[14:15], -v[4:5]
	s_waitcnt vmcnt(28) lgkmcnt(1)
	v_mul_f64 v[120:121], v[110:111], v[138:139]
	v_add_f64 v[2:3], v[2:3], v[4:5]
	v_mul_f64 v[4:5], v[100:101], v[58:59]
	v_fmac_f64_e32 v[120:121], v[112:113], v[140:141]
	v_fma_f64 v[4:5], v[98:99], v[60:61], -v[4:5]
	v_add_f64 v[122:123], v[118:119], v[120:121]
	ds_read_b128 v[118:121], v77 offset:432
	s_waitcnt vmcnt(24) lgkmcnt(1)
	v_mul_f64 v[124:125], v[114:115], v[150:151]
	v_add_f64 v[2:3], v[2:3], v[4:5]
	v_mul_f64 v[4:5], v[104:105], v[54:55]
	s_waitcnt vmcnt(22)
	v_fmac_f64_e32 v[124:125], v[116:117], v[152:153]
	v_fma_f64 v[4:5], v[102:103], v[56:57], -v[4:5]
	v_add_f64 v[126:127], v[122:123], v[124:125]
	ds_read_b128 v[122:125], v77 offset:448
	v_add_f64 v[2:3], v[2:3], v[4:5]
	v_mul_f64 v[4:5], v[108:109], v[142:143]
	v_fma_f64 v[4:5], v[106:107], v[144:145], -v[4:5]
	v_add_f64 v[2:3], v[2:3], v[4:5]
	v_mul_f64 v[4:5], v[112:113], v[138:139]
	s_waitcnt vmcnt(20) lgkmcnt(1)
	v_mul_f64 v[128:129], v[118:119], v[146:147]
	v_fma_f64 v[4:5], v[110:111], v[140:141], -v[4:5]
	v_fmac_f64_e32 v[128:129], v[120:121], v[148:149]
	v_add_f64 v[2:3], v[2:3], v[4:5]
	v_mul_f64 v[4:5], v[116:117], v[150:151]
	v_add_f64 v[130:131], v[126:127], v[128:129]
	ds_read_b128 v[126:129], v77 offset:464
	s_waitcnt vmcnt(16) lgkmcnt(1)
	v_mul_f64 v[132:133], v[122:123], v[158:159]
	v_fma_f64 v[4:5], v[114:115], v[152:153], -v[4:5]
	s_waitcnt vmcnt(14)
	v_fmac_f64_e32 v[132:133], v[124:125], v[160:161]
	v_add_f64 v[2:3], v[2:3], v[4:5]
	v_mul_f64 v[4:5], v[120:121], v[146:147]
	v_add_f64 v[174:175], v[130:131], v[132:133]
	ds_read_b128 v[130:133], v77 offset:480
	v_fma_f64 v[4:5], v[118:119], v[148:149], -v[4:5]
	v_add_f64 v[2:3], v[2:3], v[4:5]
	v_mul_f64 v[4:5], v[124:125], v[158:159]
	v_fma_f64 v[4:5], v[122:123], v[160:161], -v[4:5]
	v_add_f64 v[2:3], v[2:3], v[4:5]
	s_waitcnt vmcnt(12) lgkmcnt(1)
	v_mul_f64 v[4:5], v[128:129], v[154:155]
	v_mul_f64 v[176:177], v[126:127], v[154:155]
	v_fma_f64 v[4:5], v[126:127], v[156:157], -v[4:5]
	v_fmac_f64_e32 v[176:177], v[128:129], v[156:157]
	v_add_f64 v[2:3], v[2:3], v[4:5]
	s_waitcnt vmcnt(8) lgkmcnt(0)
	v_mul_f64 v[4:5], v[132:133], v[166:167]
	v_add_f64 v[174:175], v[174:175], v[176:177]
	v_mul_f64 v[176:177], v[130:131], v[166:167]
	s_waitcnt vmcnt(6)
	v_fma_f64 v[4:5], v[130:131], v[168:169], -v[4:5]
	v_fmac_f64_e32 v[176:177], v[132:133], v[168:169]
	v_add_f64 v[2:3], v[2:3], v[4:5]
	s_waitcnt vmcnt(5)
	v_mul_f64 v[4:5], v[136:137], v[162:163]
	v_add_f64 v[174:175], v[174:175], v[176:177]
	v_mul_f64 v[176:177], v[134:135], v[162:163]
	s_waitcnt vmcnt(4)
	v_fma_f64 v[4:5], v[134:135], v[164:165], -v[4:5]
	v_fmac_f64_e32 v[176:177], v[136:137], v[164:165]
	v_add_f64 v[2:3], v[2:3], v[4:5]
	v_add_f64 v[174:175], v[174:175], v[176:177]
	s_waitcnt vmcnt(2)
	v_add_f64 v[2:3], v[170:171], -v[2:3]
	s_waitcnt vmcnt(0)
	v_add_f64 v[4:5], v[172:173], -v[174:175]
	buffer_store_dword v3, off, s[0:3], 0 offset:4
	buffer_store_dword v2, off, s[0:3], 0
	buffer_store_dword v5, off, s[0:3], 0 offset:12
	buffer_store_dword v4, off, s[0:3], 0 offset:8
	s_cbranch_vccz .LBB15_141
; %bb.110:
	v_pk_mov_b32 v[2:3], s[24:25], s[24:25] op_sel:[0,1]
	flat_load_dword v2, v[2:3] offset:56
	s_load_dwordx2 s[4:5], s[4:5], 0x4
	v_bfe_u32 v4, v0, 10, 10
	v_bfe_u32 v0, v0, 20, 10
	s_waitcnt lgkmcnt(0)
	s_lshr_b32 s4, s4, 16
	s_mul_i32 s4, s4, s5
	v_mul_u32_u24_e32 v3, s4, v76
	v_mul_u32_u24_e32 v4, s5, v4
	v_add3_u32 v0, v3, v4, v0
	v_mov_b32_e32 v3, 0x208
	v_lshl_add_u32 v0, v0, 4, v3
	s_waitcnt vmcnt(0)
	v_add_u32_e32 v2, -1, v2
	v_cmp_ne_u32_e32 vcc, 14, v2
	s_and_saveexec_b64 s[4:5], vcc
	s_cbranch_execz .LBB15_112
; %bb.111:
	v_mov_b32_e32 v3, 0
	v_lshl_add_u32 v6, v2, 4, v3
	buffer_load_dword v2, v64, s[0:3], 0 offen
	buffer_load_dword v3, v64, s[0:3], 0 offen offset:4
	buffer_load_dword v4, v64, s[0:3], 0 offen offset:8
	buffer_load_dword v5, v64, s[0:3], 0 offen offset:12
	buffer_load_dword v7, v6, s[0:3], 0 offen
	buffer_load_dword v8, v6, s[0:3], 0 offen offset:4
	buffer_load_dword v9, v6, s[0:3], 0 offen offset:8
	buffer_load_dword v10, v6, s[0:3], 0 offen offset:12
	s_waitcnt vmcnt(4)
	ds_write2_b64 v0, v[2:3], v[4:5] offset1:1
	s_waitcnt vmcnt(3)
	buffer_store_dword v7, v64, s[0:3], 0 offen
	s_waitcnt vmcnt(3)
	buffer_store_dword v8, v64, s[0:3], 0 offen offset:4
	s_waitcnt vmcnt(3)
	buffer_store_dword v9, v64, s[0:3], 0 offen offset:8
	s_waitcnt vmcnt(3)
	buffer_store_dword v10, v64, s[0:3], 0 offen offset:12
	buffer_store_dword v5, v6, s[0:3], 0 offen offset:12
	buffer_store_dword v4, v6, s[0:3], 0 offen offset:8
	buffer_store_dword v3, v6, s[0:3], 0 offen offset:4
	buffer_store_dword v2, v6, s[0:3], 0 offen
.LBB15_112:
	s_or_b64 exec, exec, s[4:5]
	v_pk_mov_b32 v[2:3], s[24:25], s[24:25] op_sel:[0,1]
	flat_load_dword v2, v[2:3] offset:52
	s_waitcnt vmcnt(0) lgkmcnt(0)
	v_add_u32_e32 v2, -1, v2
	v_cmp_ne_u32_e32 vcc, 13, v2
	s_and_saveexec_b64 s[4:5], vcc
	s_cbranch_execz .LBB15_114
; %bb.113:
	v_mov_b32_e32 v3, 0
	v_lshl_add_u32 v6, v2, 4, v3
	buffer_load_dword v2, v63, s[0:3], 0 offen
	buffer_load_dword v3, v63, s[0:3], 0 offen offset:4
	buffer_load_dword v4, v63, s[0:3], 0 offen offset:8
	buffer_load_dword v5, v63, s[0:3], 0 offen offset:12
	buffer_load_dword v7, v6, s[0:3], 0 offen
	buffer_load_dword v8, v6, s[0:3], 0 offen offset:4
	buffer_load_dword v9, v6, s[0:3], 0 offen offset:8
	buffer_load_dword v10, v6, s[0:3], 0 offen offset:12
	s_waitcnt vmcnt(4)
	ds_write2_b64 v0, v[2:3], v[4:5] offset1:1
	s_waitcnt vmcnt(3)
	buffer_store_dword v7, v63, s[0:3], 0 offen
	s_waitcnt vmcnt(3)
	buffer_store_dword v8, v63, s[0:3], 0 offen offset:4
	s_waitcnt vmcnt(3)
	buffer_store_dword v9, v63, s[0:3], 0 offen offset:8
	s_waitcnt vmcnt(3)
	buffer_store_dword v10, v63, s[0:3], 0 offen offset:12
	buffer_store_dword v5, v6, s[0:3], 0 offen offset:12
	buffer_store_dword v4, v6, s[0:3], 0 offen offset:8
	buffer_store_dword v3, v6, s[0:3], 0 offen offset:4
	buffer_store_dword v2, v6, s[0:3], 0 offen
.LBB15_114:
	s_or_b64 exec, exec, s[4:5]
	v_pk_mov_b32 v[2:3], s[24:25], s[24:25] op_sel:[0,1]
	flat_load_dword v2, v[2:3] offset:48
	s_waitcnt vmcnt(0) lgkmcnt(0)
	;; [unrolled: 34-line block ×13, first 2 shown]
	v_add_u32_e32 v2, -1, v2
	v_cmp_ne_u32_e32 vcc, 1, v2
	s_and_saveexec_b64 s[4:5], vcc
	s_cbranch_execz .LBB15_138
; %bb.137:
	v_mov_b32_e32 v3, 0
	v_lshl_add_u32 v6, v2, 4, v3
	buffer_load_dword v2, v73, s[0:3], 0 offen
	buffer_load_dword v3, v73, s[0:3], 0 offen offset:4
	buffer_load_dword v4, v73, s[0:3], 0 offen offset:8
	buffer_load_dword v5, v73, s[0:3], 0 offen offset:12
	buffer_load_dword v7, v6, s[0:3], 0 offen
	buffer_load_dword v8, v6, s[0:3], 0 offen offset:4
	buffer_load_dword v9, v6, s[0:3], 0 offen offset:8
	;; [unrolled: 1-line block ×3, first 2 shown]
	s_waitcnt vmcnt(4)
	ds_write2_b64 v0, v[2:3], v[4:5] offset1:1
	s_waitcnt vmcnt(3)
	buffer_store_dword v7, v73, s[0:3], 0 offen
	s_waitcnt vmcnt(3)
	buffer_store_dword v8, v73, s[0:3], 0 offen offset:4
	s_waitcnt vmcnt(3)
	buffer_store_dword v9, v73, s[0:3], 0 offen offset:8
	;; [unrolled: 2-line block ×3, first 2 shown]
	buffer_store_dword v5, v6, s[0:3], 0 offen offset:12
	buffer_store_dword v4, v6, s[0:3], 0 offen offset:8
	;; [unrolled: 1-line block ×3, first 2 shown]
	buffer_store_dword v2, v6, s[0:3], 0 offen
.LBB15_138:
	s_or_b64 exec, exec, s[4:5]
	v_pk_mov_b32 v[2:3], s[24:25], s[24:25] op_sel:[0,1]
	flat_load_dword v2, v[2:3]
	s_waitcnt vmcnt(0) lgkmcnt(0)
	v_add_u32_e32 v2, -1, v2
	v_cmp_ne_u32_e32 vcc, 0, v2
	s_and_saveexec_b64 s[4:5], vcc
	s_cbranch_execz .LBB15_140
; %bb.139:
	v_mov_b32_e32 v3, 0
	v_lshl_add_u32 v6, v2, 4, v3
	buffer_load_dword v2, off, s[0:3], 0
	buffer_load_dword v3, off, s[0:3], 0 offset:4
	buffer_load_dword v4, off, s[0:3], 0 offset:8
	;; [unrolled: 1-line block ×3, first 2 shown]
	buffer_load_dword v7, v6, s[0:3], 0 offen
	buffer_load_dword v8, v6, s[0:3], 0 offen offset:4
	buffer_load_dword v9, v6, s[0:3], 0 offen offset:8
	;; [unrolled: 1-line block ×3, first 2 shown]
	s_waitcnt vmcnt(4)
	ds_write2_b64 v0, v[2:3], v[4:5] offset1:1
	s_waitcnt vmcnt(3)
	buffer_store_dword v7, off, s[0:3], 0
	s_waitcnt vmcnt(3)
	buffer_store_dword v8, off, s[0:3], 0 offset:4
	s_waitcnt vmcnt(3)
	buffer_store_dword v9, off, s[0:3], 0 offset:8
	s_waitcnt vmcnt(3)
	buffer_store_dword v10, off, s[0:3], 0 offset:12
	buffer_store_dword v5, v6, s[0:3], 0 offen offset:12
	buffer_store_dword v4, v6, s[0:3], 0 offen offset:8
	;; [unrolled: 1-line block ×3, first 2 shown]
	buffer_store_dword v2, v6, s[0:3], 0 offen
.LBB15_140:
	s_or_b64 exec, exec, s[4:5]
.LBB15_141:
	buffer_load_dword v2, off, s[0:3], 0
	buffer_load_dword v3, off, s[0:3], 0 offset:4
	buffer_load_dword v4, off, s[0:3], 0 offset:8
	;; [unrolled: 1-line block ×3, first 2 shown]
	buffer_load_dword v7, v73, s[0:3], 0 offen offset:4
	buffer_load_dword v8, v73, s[0:3], 0 offen offset:8
	;; [unrolled: 1-line block ×3, first 2 shown]
	buffer_load_dword v10, v74, s[0:3], 0 offen
	buffer_load_dword v11, v74, s[0:3], 0 offen offset:4
	buffer_load_dword v12, v74, s[0:3], 0 offen offset:8
	buffer_load_dword v6, v73, s[0:3], 0 offen
	buffer_load_dword v13, v74, s[0:3], 0 offen offset:12
	buffer_load_dword v15, v75, s[0:3], 0 offen offset:4
	buffer_load_dword v16, v75, s[0:3], 0 offen offset:8
	buffer_load_dword v17, v75, s[0:3], 0 offen offset:12
	buffer_load_dword v18, v71, s[0:3], 0 offen
	buffer_load_dword v19, v71, s[0:3], 0 offen offset:4
	buffer_load_dword v20, v71, s[0:3], 0 offen offset:8
	buffer_load_dword v14, v75, s[0:3], 0 offen
                                        ; kill: killed $vgpr73
                                        ; kill: killed $vgpr75
                                        ; kill: killed $vgpr74
	buffer_load_dword v21, v71, s[0:3], 0 offen offset:12
	buffer_load_dword v55, v70, s[0:3], 0 offen offset:4
	;; [unrolled: 1-line block ×4, first 2 shown]
	buffer_load_dword v58, v72, s[0:3], 0 offen
	buffer_load_dword v59, v72, s[0:3], 0 offen offset:4
	buffer_load_dword v60, v72, s[0:3], 0 offen offset:8
	buffer_load_dword v54, v70, s[0:3], 0 offen
	buffer_load_dword v61, v72, s[0:3], 0 offen offset:12
	buffer_load_dword v73, v66, s[0:3], 0 offen offset:4
	;; [unrolled: 1-line block ×4, first 2 shown]
	buffer_load_dword v76, v68, s[0:3], 0 offen
	buffer_load_dword v77, v68, s[0:3], 0 offen offset:4
	buffer_load_dword v78, v68, s[0:3], 0 offen offset:8
                                        ; kill: killed $vgpr71
                                        ; kill: killed $vgpr72
                                        ; kill: killed $vgpr70
	buffer_load_dword v72, v66, s[0:3], 0 offen
	buffer_load_dword v79, v68, s[0:3], 0 offen offset:12
	buffer_load_dword v81, v67, s[0:3], 0 offen offset:4
	;; [unrolled: 1-line block ×4, first 2 shown]
	buffer_load_dword v84, v69, s[0:3], 0 offen
	buffer_load_dword v85, v69, s[0:3], 0 offen offset:4
	buffer_load_dword v86, v69, s[0:3], 0 offen offset:8
	buffer_load_dword v80, v67, s[0:3], 0 offen
	buffer_load_dword v87, v69, s[0:3], 0 offen offset:12
	buffer_load_dword v89, v62, s[0:3], 0 offen offset:4
	;; [unrolled: 1-line block ×4, first 2 shown]
	buffer_load_dword v92, v1, s[0:3], 0 offen
	buffer_load_dword v93, v1, s[0:3], 0 offen offset:4
                                        ; kill: killed $vgpr68
                                        ; kill: killed $vgpr69
                                        ; kill: killed $vgpr66
                                        ; kill: killed $vgpr67
	buffer_load_dword v94, v1, s[0:3], 0 offen offset:8
	buffer_load_dword v88, v62, s[0:3], 0 offen
	buffer_load_dword v95, v1, s[0:3], 0 offen offset:12
	buffer_load_dword v67, v63, s[0:3], 0 offen offset:4
	;; [unrolled: 1-line block ×4, first 2 shown]
	buffer_load_dword v96, v64, s[0:3], 0 offen
	buffer_load_dword v97, v64, s[0:3], 0 offen offset:4
	buffer_load_dword v98, v64, s[0:3], 0 offen offset:8
	buffer_load_dword v66, v63, s[0:3], 0 offen
	buffer_load_dword v99, v64, s[0:3], 0 offen offset:12
	buffer_load_dword v100, v65, s[0:3], 0 offen
	buffer_load_dword v101, v65, s[0:3], 0 offen offset:4
	buffer_load_dword v102, v65, s[0:3], 0 offen offset:8
	;; [unrolled: 1-line block ×3, first 2 shown]
	s_waitcnt vmcnt(60)
	global_store_dwordx4 v[22:23], v[2:5], off
	s_waitcnt vmcnt(54)
	global_store_dwordx4 v[24:25], v[6:9], off
	;; [unrolled: 2-line block ×16, first 2 shown]
	s_endpgm
	.section	.rodata,"a",@progbits
	.p2align	6, 0x0
	.amdhsa_kernel _ZN9rocsolver6v33100L18getri_kernel_smallILi16E19rocblas_complex_numIdEPS3_EEvT1_iilPiilS6_bb
		.amdhsa_group_segment_fixed_size 1544
		.amdhsa_private_segment_fixed_size 272
		.amdhsa_kernarg_size 60
		.amdhsa_user_sgpr_count 10
		.amdhsa_user_sgpr_private_segment_buffer 1
		.amdhsa_user_sgpr_dispatch_ptr 1
		.amdhsa_user_sgpr_queue_ptr 0
		.amdhsa_user_sgpr_kernarg_segment_ptr 1
		.amdhsa_user_sgpr_dispatch_id 0
		.amdhsa_user_sgpr_flat_scratch_init 1
		.amdhsa_user_sgpr_kernarg_preload_length 0
		.amdhsa_user_sgpr_kernarg_preload_offset 0
		.amdhsa_user_sgpr_private_segment_size 0
		.amdhsa_uses_dynamic_stack 0
		.amdhsa_system_sgpr_private_segment_wavefront_offset 1
		.amdhsa_system_sgpr_workgroup_id_x 1
		.amdhsa_system_sgpr_workgroup_id_y 0
		.amdhsa_system_sgpr_workgroup_id_z 0
		.amdhsa_system_sgpr_workgroup_info 0
		.amdhsa_system_vgpr_workitem_id 2
		.amdhsa_next_free_vgpr 178
		.amdhsa_next_free_sgpr 28
		.amdhsa_accum_offset 180
		.amdhsa_reserve_vcc 1
		.amdhsa_reserve_flat_scratch 1
		.amdhsa_float_round_mode_32 0
		.amdhsa_float_round_mode_16_64 0
		.amdhsa_float_denorm_mode_32 3
		.amdhsa_float_denorm_mode_16_64 3
		.amdhsa_dx10_clamp 1
		.amdhsa_ieee_mode 1
		.amdhsa_fp16_overflow 0
		.amdhsa_tg_split 0
		.amdhsa_exception_fp_ieee_invalid_op 0
		.amdhsa_exception_fp_denorm_src 0
		.amdhsa_exception_fp_ieee_div_zero 0
		.amdhsa_exception_fp_ieee_overflow 0
		.amdhsa_exception_fp_ieee_underflow 0
		.amdhsa_exception_fp_ieee_inexact 0
		.amdhsa_exception_int_div_zero 0
	.end_amdhsa_kernel
	.section	.text._ZN9rocsolver6v33100L18getri_kernel_smallILi16E19rocblas_complex_numIdEPS3_EEvT1_iilPiilS6_bb,"axG",@progbits,_ZN9rocsolver6v33100L18getri_kernel_smallILi16E19rocblas_complex_numIdEPS3_EEvT1_iilPiilS6_bb,comdat
.Lfunc_end15:
	.size	_ZN9rocsolver6v33100L18getri_kernel_smallILi16E19rocblas_complex_numIdEPS3_EEvT1_iilPiilS6_bb, .Lfunc_end15-_ZN9rocsolver6v33100L18getri_kernel_smallILi16E19rocblas_complex_numIdEPS3_EEvT1_iilPiilS6_bb
                                        ; -- End function
	.section	.AMDGPU.csdata,"",@progbits
; Kernel info:
; codeLenInByte = 24656
; NumSgprs: 34
; NumVgprs: 178
; NumAgprs: 0
; TotalNumVgprs: 178
; ScratchSize: 272
; MemoryBound: 0
; FloatMode: 240
; IeeeMode: 1
; LDSByteSize: 1544 bytes/workgroup (compile time only)
; SGPRBlocks: 4
; VGPRBlocks: 22
; NumSGPRsForWavesPerEU: 34
; NumVGPRsForWavesPerEU: 178
; AccumOffset: 180
; Occupancy: 2
; WaveLimiterHint : 1
; COMPUTE_PGM_RSRC2:SCRATCH_EN: 1
; COMPUTE_PGM_RSRC2:USER_SGPR: 10
; COMPUTE_PGM_RSRC2:TRAP_HANDLER: 0
; COMPUTE_PGM_RSRC2:TGID_X_EN: 1
; COMPUTE_PGM_RSRC2:TGID_Y_EN: 0
; COMPUTE_PGM_RSRC2:TGID_Z_EN: 0
; COMPUTE_PGM_RSRC2:TIDIG_COMP_CNT: 2
; COMPUTE_PGM_RSRC3_GFX90A:ACCUM_OFFSET: 44
; COMPUTE_PGM_RSRC3_GFX90A:TG_SPLIT: 0
	.section	.text._ZN9rocsolver6v33100L18getri_kernel_smallILi17E19rocblas_complex_numIdEPS3_EEvT1_iilPiilS6_bb,"axG",@progbits,_ZN9rocsolver6v33100L18getri_kernel_smallILi17E19rocblas_complex_numIdEPS3_EEvT1_iilPiilS6_bb,comdat
	.globl	_ZN9rocsolver6v33100L18getri_kernel_smallILi17E19rocblas_complex_numIdEPS3_EEvT1_iilPiilS6_bb ; -- Begin function _ZN9rocsolver6v33100L18getri_kernel_smallILi17E19rocblas_complex_numIdEPS3_EEvT1_iilPiilS6_bb
	.p2align	8
	.type	_ZN9rocsolver6v33100L18getri_kernel_smallILi17E19rocblas_complex_numIdEPS3_EEvT1_iilPiilS6_bb,@function
_ZN9rocsolver6v33100L18getri_kernel_smallILi17E19rocblas_complex_numIdEPS3_EEvT1_iilPiilS6_bb: ; @_ZN9rocsolver6v33100L18getri_kernel_smallILi17E19rocblas_complex_numIdEPS3_EEvT1_iilPiilS6_bb
; %bb.0:
	s_add_u32 flat_scratch_lo, s8, s11
	s_addc_u32 flat_scratch_hi, s9, 0
	s_add_u32 s0, s0, s11
	v_and_b32_e32 v87, 0x3ff, v0
	s_addc_u32 s1, s1, 0
	v_cmp_gt_u32_e32 vcc, 17, v87
	s_and_saveexec_b64 s[8:9], vcc
	s_cbranch_execz .LBB16_82
; %bb.1:
	s_load_dword s28, s[6:7], 0x38
	s_load_dwordx4 s[20:23], s[6:7], 0x10
	s_load_dwordx4 s[12:15], s[6:7], 0x28
                                        ; implicit-def: $sgpr24_sgpr25
	s_waitcnt lgkmcnt(0)
	s_bitcmp1_b32 s28, 8
	s_cselect_b64 s[26:27], -1, 0
	s_ashr_i32 s11, s10, 31
	s_bfe_u32 s8, s28, 0x10008
	s_cmp_eq_u32 s8, 0
	s_cbranch_scc1 .LBB16_3
; %bb.2:
	s_load_dword s8, s[6:7], 0x20
	s_mul_i32 s9, s10, s13
	s_mul_hi_u32 s13, s10, s12
	s_mul_i32 s16, s11, s12
	s_add_i32 s13, s13, s9
	s_add_i32 s13, s13, s16
	s_mul_i32 s12, s10, s12
	s_waitcnt lgkmcnt(0)
	s_ashr_i32 s9, s8, 31
	s_lshl_b64 s[12:13], s[12:13], 2
	s_add_u32 s12, s22, s12
	s_addc_u32 s13, s23, s13
	s_lshl_b64 s[8:9], s[8:9], 2
	s_add_u32 s24, s12, s8
	s_addc_u32 s25, s13, s9
.LBB16_3:
	s_load_dwordx4 s[16:19], s[6:7], 0x0
	s_mul_i32 s6, s10, s21
	s_mul_hi_u32 s7, s10, s20
	s_add_i32 s8, s7, s6
	s_mul_i32 s9, s11, s20
	s_add_i32 s9, s8, s9
	s_mul_i32 s8, s10, s20
	s_waitcnt lgkmcnt(0)
	s_ashr_i32 s7, s18, 31
	s_lshl_b64 s[8:9], s[8:9], 4
	s_mov_b32 s6, s18
	s_add_u32 s8, s16, s8
	s_addc_u32 s9, s17, s9
	s_lshl_b64 s[6:7], s[6:7], 4
	s_add_u32 s6, s8, s6
	s_addc_u32 s7, s9, s7
	v_lshlrev_b32_e32 v12, 4, v87
	global_load_dwordx4 v[2:5], v12, s[6:7]
	s_mov_b32 s8, s19
	s_ashr_i32 s9, s19, 31
	s_add_i32 s12, s19, s19
	v_mov_b32_e32 v1, s7
	v_add_co_u32_e32 v18, vcc, s6, v12
	s_lshl_b64 s[8:9], s[8:9], 4
	v_add_u32_e32 v6, s12, v87
	v_addc_co_u32_e32 v19, vcc, 0, v1, vcc
	v_mov_b32_e32 v1, s9
	v_ashrrev_i32_e32 v7, 31, v6
	v_add_co_u32_e32 v20, vcc, s8, v18
	v_add_u32_e32 v8, s19, v6
	v_addc_co_u32_e32 v21, vcc, v19, v1, vcc
	v_lshlrev_b64 v[6:7], 4, v[6:7]
	v_mov_b32_e32 v11, s7
	v_ashrrev_i32_e32 v9, 31, v8
	v_add_co_u32_e32 v22, vcc, s6, v6
	v_add_u32_e32 v10, s19, v8
	v_addc_co_u32_e32 v23, vcc, v11, v7, vcc
	v_lshlrev_b64 v[24:25], 4, v[8:9]
	;; [unrolled: 6-line block ×6, first 2 shown]
	v_mov_b32_e32 v35, s7
	v_ashrrev_i32_e32 v37, 31, v36
	v_add_co_u32_e32 v32, vcc, s6, v10
	global_load_dwordx4 v[6:9], v[20:21], off
	global_load_dwordx4 v[14:17], v[22:23], off
	;; [unrolled: 1-line block ×6, first 2 shown]
	v_addc_co_u32_e32 v33, vcc, v35, v11, vcc
	v_lshlrev_b64 v[10:11], 4, v[36:37]
	v_mov_b32_e32 v38, s7
	v_add_co_u32_e32 v34, vcc, s6, v10
	v_addc_co_u32_e32 v35, vcc, v38, v11, vcc
	s_waitcnt vmcnt(6)
	buffer_store_dword v5, off, s[0:3], 0 offset:12
	buffer_store_dword v4, off, s[0:3], 0 offset:8
	v_add_u32_e32 v4, s19, v36
	v_ashrrev_i32_e32 v5, 31, v4
	v_lshlrev_b64 v[10:11], 4, v[4:5]
	v_add_u32_e32 v4, s19, v4
	v_mov_b32_e32 v1, s7
	v_add_co_u32_e32 v36, vcc, s6, v10
	v_ashrrev_i32_e32 v5, 31, v4
	v_addc_co_u32_e32 v37, vcc, v1, v11, vcc
	v_lshlrev_b64 v[10:11], 4, v[4:5]
	v_add_u32_e32 v4, s19, v4
	v_add_co_u32_e32 v38, vcc, s6, v10
	v_ashrrev_i32_e32 v5, 31, v4
	v_addc_co_u32_e32 v39, vcc, v1, v11, vcc
	v_lshlrev_b64 v[10:11], 4, v[4:5]
	v_add_u32_e32 v4, s19, v4
	;; [unrolled: 5-line block ×6, first 2 shown]
	v_add_co_u32_e32 v48, vcc, s6, v10
	v_ashrrev_i32_e32 v5, 31, v4
	v_addc_co_u32_e32 v49, vcc, v1, v11, vcc
	v_lshlrev_b64 v[4:5], 4, v[4:5]
	v_add_co_u32_e32 v50, vcc, s6, v4
	global_load_dwordx4 v[68:71], v[32:33], off
	global_load_dwordx4 v[72:75], v[34:35], off
	;; [unrolled: 1-line block ×4, first 2 shown]
	v_addc_co_u32_e32 v51, vcc, v1, v5, vcc
	global_load_dwordx4 v[88:91], v[40:41], off
	global_load_dwordx4 v[92:95], v[42:43], off
	;; [unrolled: 1-line block ×6, first 2 shown]
	v_mov_b32_e32 v1, 0
	v_add_u32_e32 v85, 16, v1
	v_add_u32_e32 v84, 32, v1
	;; [unrolled: 1-line block ×3, first 2 shown]
	s_bitcmp0_b32 s28, 0
	s_mov_b64 s[8:9], -1
	buffer_store_dword v3, off, s[0:3], 0 offset:4
	buffer_store_dword v2, off, s[0:3], 0
	s_waitcnt vmcnt(19)
	buffer_store_dword v9, off, s[0:3], 0 offset:28
	buffer_store_dword v8, off, s[0:3], 0 offset:24
	buffer_store_dword v7, off, s[0:3], 0 offset:20
	buffer_store_dword v6, off, s[0:3], 0 offset:16
	s_waitcnt vmcnt(22)
	buffer_store_dword v17, off, s[0:3], 0 offset:44
	buffer_store_dword v16, off, s[0:3], 0 offset:40
	buffer_store_dword v15, off, s[0:3], 0 offset:36
	buffer_store_dword v14, off, s[0:3], 0 offset:32
	;; [unrolled: 5-line block ×11, first 2 shown]
	v_add_u32_e32 v80, 64, v1
	v_add_u32_e32 v82, 0x50, v1
	;; [unrolled: 1-line block ×13, first 2 shown]
	s_waitcnt vmcnt(50)
	buffer_store_dword v95, off, s[0:3], 0 offset:204
	buffer_store_dword v94, off, s[0:3], 0 offset:200
	buffer_store_dword v93, off, s[0:3], 0 offset:196
	buffer_store_dword v92, off, s[0:3], 0 offset:192
	s_waitcnt vmcnt(53)
	buffer_store_dword v99, off, s[0:3], 0 offset:220
	buffer_store_dword v98, off, s[0:3], 0 offset:216
	buffer_store_dword v97, off, s[0:3], 0 offset:212
	buffer_store_dword v96, off, s[0:3], 0 offset:208
	;; [unrolled: 5-line block ×5, first 2 shown]
	s_cbranch_scc1 .LBB16_80
; %bb.4:
	v_cmp_eq_u32_e64 s[6:7], 0, v87
	s_and_saveexec_b64 s[8:9], s[6:7]
	s_cbranch_execz .LBB16_6
; %bb.5:
	v_mov_b32_e32 v2, 0
	ds_write_b32 v2, v2 offset:544
.LBB16_6:
	s_or_b64 exec, exec, s[8:9]
	v_mov_b32_e32 v2, 0
	v_lshl_add_u32 v13, v87, 4, v2
	s_waitcnt lgkmcnt(0)
	; wave barrier
	s_waitcnt lgkmcnt(0)
	buffer_load_dword v2, v13, s[0:3], 0 offen
	buffer_load_dword v3, v13, s[0:3], 0 offen offset:4
	buffer_load_dword v4, v13, s[0:3], 0 offen offset:8
	;; [unrolled: 1-line block ×3, first 2 shown]
	s_waitcnt vmcnt(2)
	v_cmp_eq_f64_e32 vcc, 0, v[2:3]
	s_waitcnt vmcnt(0)
	v_cmp_eq_f64_e64 s[8:9], 0, v[4:5]
	s_and_b64 s[8:9], vcc, s[8:9]
	s_and_saveexec_b64 s[12:13], s[8:9]
	s_cbranch_execz .LBB16_10
; %bb.7:
	v_mov_b32_e32 v2, 0
	ds_read_b32 v4, v2 offset:544
	v_add_u32_e32 v3, 1, v87
	s_waitcnt lgkmcnt(0)
	v_readfirstlane_b32 s8, v4
	s_cmp_eq_u32 s8, 0
	s_cselect_b64 s[16:17], -1, 0
	v_cmp_gt_i32_e32 vcc, s8, v3
	s_or_b64 s[16:17], s[16:17], vcc
	s_and_b64 exec, exec, s[16:17]
	s_cbranch_execz .LBB16_10
; %bb.8:
	s_mov_b64 s[16:17], 0
	v_mov_b32_e32 v4, s8
.LBB16_9:                               ; =>This Inner Loop Header: Depth=1
	ds_cmpst_rtn_b32 v4, v2, v4, v3 offset:544
	s_waitcnt lgkmcnt(0)
	v_cmp_ne_u32_e32 vcc, 0, v4
	v_cmp_le_i32_e64 s[8:9], v4, v3
	s_and_b64 s[8:9], vcc, s[8:9]
	s_and_b64 s[8:9], exec, s[8:9]
	s_or_b64 s[16:17], s[8:9], s[16:17]
	s_andn2_b64 exec, exec, s[16:17]
	s_cbranch_execnz .LBB16_9
.LBB16_10:
	s_or_b64 exec, exec, s[12:13]
	v_mov_b32_e32 v3, 0
	s_waitcnt lgkmcnt(0)
	; wave barrier
	ds_read_b32 v2, v3 offset:544
	s_and_saveexec_b64 s[8:9], s[6:7]
	s_cbranch_execz .LBB16_12
; %bb.11:
	s_lshl_b64 s[12:13], s[10:11], 2
	s_add_u32 s12, s14, s12
	s_addc_u32 s13, s15, s13
	s_waitcnt lgkmcnt(0)
	global_store_dword v3, v2, s[12:13]
.LBB16_12:
	s_or_b64 exec, exec, s[8:9]
	s_waitcnt lgkmcnt(0)
	v_cmp_ne_u32_e32 vcc, 0, v2
	s_mov_b64 s[8:9], 0
	s_cbranch_vccnz .LBB16_80
; %bb.13:
	buffer_load_dword v7, v13, s[0:3], 0 offen offset:4
	buffer_load_dword v6, v13, s[0:3], 0 offen
	buffer_load_dword v9, v13, s[0:3], 0 offen offset:12
	buffer_load_dword v8, v13, s[0:3], 0 offen offset:8
                                        ; implicit-def: $vgpr10_vgpr11
	s_waitcnt vmcnt(3)
	v_xor_b32_e32 v3, 0x80000000, v7
	s_waitcnt vmcnt(2)
	v_cmp_gt_f64_e32 vcc, 0, v[6:7]
	s_waitcnt vmcnt(1)
	v_xor_b32_e32 v4, 0x80000000, v9
	v_cndmask_b32_e32 v3, v7, v3, vcc
	s_waitcnt vmcnt(0)
	v_cmp_gt_f64_e32 vcc, 0, v[8:9]
	v_mov_b32_e32 v2, v6
	v_cndmask_b32_e32 v5, v9, v4, vcc
	v_mov_b32_e32 v4, v8
	v_cmp_ngt_f64_e32 vcc, v[2:3], v[4:5]
                                        ; implicit-def: $vgpr4_vgpr5
	s_and_saveexec_b64 s[8:9], vcc
	s_xor_b64 s[8:9], exec, s[8:9]
	s_cbranch_execz .LBB16_15
; %bb.14:
	v_div_scale_f64 v[2:3], s[12:13], v[8:9], v[8:9], v[6:7]
	v_rcp_f64_e32 v[4:5], v[2:3]
	v_div_scale_f64 v[10:11], vcc, v[6:7], v[8:9], v[6:7]
	v_fma_f64 v[14:15], -v[2:3], v[4:5], 1.0
	v_fmac_f64_e32 v[4:5], v[4:5], v[14:15]
	v_fma_f64 v[14:15], -v[2:3], v[4:5], 1.0
	v_fmac_f64_e32 v[4:5], v[4:5], v[14:15]
	v_mul_f64 v[14:15], v[10:11], v[4:5]
	v_fma_f64 v[2:3], -v[2:3], v[14:15], v[10:11]
	v_div_fmas_f64 v[2:3], v[2:3], v[4:5], v[14:15]
	v_div_fixup_f64 v[2:3], v[2:3], v[8:9], v[6:7]
	v_fmac_f64_e32 v[8:9], v[6:7], v[2:3]
	v_div_scale_f64 v[4:5], s[12:13], v[8:9], v[8:9], 1.0
	v_rcp_f64_e32 v[6:7], v[4:5]
	v_fma_f64 v[10:11], -v[4:5], v[6:7], 1.0
	v_fmac_f64_e32 v[6:7], v[6:7], v[10:11]
	v_fma_f64 v[10:11], -v[4:5], v[6:7], 1.0
	v_fmac_f64_e32 v[6:7], v[6:7], v[10:11]
	v_div_scale_f64 v[10:11], vcc, 1.0, v[8:9], 1.0
	v_mul_f64 v[14:15], v[10:11], v[6:7]
	v_fma_f64 v[4:5], -v[4:5], v[14:15], v[10:11]
	s_nop 1
	v_div_fmas_f64 v[4:5], v[4:5], v[6:7], v[14:15]
	v_div_fixup_f64 v[4:5], v[4:5], v[8:9], 1.0
	v_mul_f64 v[10:11], v[2:3], v[4:5]
	v_xor_b32_e32 v5, 0x80000000, v5
	v_xor_b32_e32 v3, 0x80000000, v11
	v_mov_b32_e32 v2, v10
                                        ; implicit-def: $vgpr6_vgpr7
                                        ; implicit-def: $vgpr8_vgpr9
.LBB16_15:
	s_andn2_saveexec_b64 s[8:9], s[8:9]
	s_cbranch_execz .LBB16_17
; %bb.16:
	v_div_scale_f64 v[2:3], s[12:13], v[6:7], v[6:7], v[8:9]
	v_rcp_f64_e32 v[4:5], v[2:3]
	v_div_scale_f64 v[10:11], vcc, v[8:9], v[6:7], v[8:9]
	v_fma_f64 v[14:15], -v[2:3], v[4:5], 1.0
	v_fmac_f64_e32 v[4:5], v[4:5], v[14:15]
	v_fma_f64 v[14:15], -v[2:3], v[4:5], 1.0
	v_fmac_f64_e32 v[4:5], v[4:5], v[14:15]
	v_mul_f64 v[14:15], v[10:11], v[4:5]
	v_fma_f64 v[2:3], -v[2:3], v[14:15], v[10:11]
	v_div_fmas_f64 v[2:3], v[2:3], v[4:5], v[14:15]
	v_div_fixup_f64 v[4:5], v[2:3], v[6:7], v[8:9]
	v_fmac_f64_e32 v[6:7], v[8:9], v[4:5]
	v_div_scale_f64 v[2:3], s[12:13], v[6:7], v[6:7], 1.0
	v_rcp_f64_e32 v[8:9], v[2:3]
	v_fma_f64 v[10:11], -v[2:3], v[8:9], 1.0
	v_fmac_f64_e32 v[8:9], v[8:9], v[10:11]
	v_fma_f64 v[10:11], -v[2:3], v[8:9], 1.0
	v_fmac_f64_e32 v[8:9], v[8:9], v[10:11]
	v_div_scale_f64 v[10:11], vcc, 1.0, v[6:7], 1.0
	v_mul_f64 v[14:15], v[10:11], v[8:9]
	v_fma_f64 v[2:3], -v[2:3], v[14:15], v[10:11]
	s_nop 1
	v_div_fmas_f64 v[2:3], v[2:3], v[8:9], v[14:15]
	v_div_fixup_f64 v[10:11], v[2:3], v[6:7], 1.0
	v_xor_b32_e32 v3, 0x80000000, v11
	v_mov_b32_e32 v2, v10
	v_mul_f64 v[4:5], v[4:5], -v[10:11]
.LBB16_17:
	s_or_b64 exec, exec, s[8:9]
	buffer_store_dword v11, v13, s[0:3], 0 offen offset:4
	buffer_store_dword v10, v13, s[0:3], 0 offen
	buffer_store_dword v5, v13, s[0:3], 0 offen offset:12
	buffer_store_dword v4, v13, s[0:3], 0 offen offset:8
	buffer_load_dword v11, v85, s[0:3], 0 offen offset:12
	s_nop 0
	buffer_load_dword v10, v85, s[0:3], 0 offen offset:8
	buffer_load_dword v9, v85, s[0:3], 0 offen offset:4
	buffer_load_dword v8, v85, s[0:3], 0 offen
	v_xor_b32_e32 v5, 0x80000000, v5
	v_add_u32_e32 v6, 0x110, v12
	ds_write_b128 v12, v[2:5]
	s_waitcnt vmcnt(0)
	ds_write_b128 v12, v[8:11] offset:272
	s_waitcnt lgkmcnt(0)
	; wave barrier
	s_waitcnt lgkmcnt(0)
	s_and_saveexec_b64 s[8:9], s[6:7]
	s_cbranch_execz .LBB16_19
; %bb.18:
	buffer_load_dword v14, v13, s[0:3], 0 offen offset:8
	buffer_load_dword v15, v13, s[0:3], 0 offen offset:12
	buffer_load_dword v16, v13, s[0:3], 0 offen
	buffer_load_dword v17, v13, s[0:3], 0 offen offset:4
	ds_read_b128 v[2:5], v6
	v_mov_b32_e32 v7, 0
	ds_read_b128 v[8:11], v7 offset:16
	s_waitcnt vmcnt(2) lgkmcnt(1)
	v_mul_f64 v[52:53], v[4:5], v[14:15]
	v_mul_f64 v[14:15], v[2:3], v[14:15]
	s_waitcnt vmcnt(0)
	v_fmac_f64_e32 v[14:15], v[4:5], v[16:17]
	v_fma_f64 v[2:3], v[2:3], v[16:17], -v[52:53]
	v_add_f64 v[4:5], v[14:15], 0
	v_add_f64 v[2:3], v[2:3], 0
	s_waitcnt lgkmcnt(0)
	v_mul_f64 v[14:15], v[4:5], v[10:11]
	v_mul_f64 v[10:11], v[2:3], v[10:11]
	v_fma_f64 v[2:3], v[2:3], v[8:9], -v[14:15]
	v_fmac_f64_e32 v[10:11], v[4:5], v[8:9]
	buffer_store_dword v2, off, s[0:3], 0 offset:16
	buffer_store_dword v3, off, s[0:3], 0 offset:20
	;; [unrolled: 1-line block ×4, first 2 shown]
.LBB16_19:
	s_or_b64 exec, exec, s[8:9]
	s_waitcnt lgkmcnt(0)
	; wave barrier
	buffer_load_dword v2, v84, s[0:3], 0 offen
	buffer_load_dword v3, v84, s[0:3], 0 offen offset:4
	buffer_load_dword v4, v84, s[0:3], 0 offen offset:8
	;; [unrolled: 1-line block ×3, first 2 shown]
	v_cmp_gt_u32_e32 vcc, 2, v87
	s_waitcnt vmcnt(0)
	ds_write_b128 v6, v[2:5]
	s_waitcnt lgkmcnt(0)
	; wave barrier
	s_waitcnt lgkmcnt(0)
	s_and_saveexec_b64 s[8:9], vcc
	s_cbranch_execz .LBB16_23
; %bb.20:
	buffer_load_dword v8, v13, s[0:3], 0 offen offset:8
	buffer_load_dword v9, v13, s[0:3], 0 offen offset:12
	buffer_load_dword v10, v13, s[0:3], 0 offen
	buffer_load_dword v11, v13, s[0:3], 0 offen offset:4
	ds_read_b128 v[2:5], v6
	s_waitcnt vmcnt(2) lgkmcnt(0)
	v_mul_f64 v[14:15], v[4:5], v[8:9]
	v_mul_f64 v[8:9], v[2:3], v[8:9]
	s_waitcnt vmcnt(0)
	v_fma_f64 v[2:3], v[2:3], v[10:11], -v[14:15]
	v_fmac_f64_e32 v[8:9], v[4:5], v[10:11]
	v_add_f64 v[4:5], v[2:3], 0
	v_add_f64 v[2:3], v[8:9], 0
	s_and_saveexec_b64 s[12:13], s[6:7]
	s_cbranch_execz .LBB16_22
; %bb.21:
	buffer_load_dword v14, off, s[0:3], 0 offset:24
	buffer_load_dword v15, off, s[0:3], 0 offset:28
	;; [unrolled: 1-line block ×4, first 2 shown]
	v_mov_b32_e32 v7, 0
	ds_read_b128 v[8:11], v7 offset:288
	s_waitcnt vmcnt(2) lgkmcnt(0)
	v_mul_f64 v[52:53], v[8:9], v[14:15]
	v_mul_f64 v[14:15], v[10:11], v[14:15]
	s_waitcnt vmcnt(0)
	v_fmac_f64_e32 v[52:53], v[10:11], v[16:17]
	v_fma_f64 v[8:9], v[8:9], v[16:17], -v[14:15]
	v_add_f64 v[2:3], v[2:3], v[52:53]
	v_add_f64 v[4:5], v[4:5], v[8:9]
.LBB16_22:
	s_or_b64 exec, exec, s[12:13]
	v_mov_b32_e32 v7, 0
	ds_read_b128 v[8:11], v7 offset:32
	s_waitcnt lgkmcnt(0)
	v_mul_f64 v[14:15], v[2:3], v[10:11]
	v_mul_f64 v[10:11], v[4:5], v[10:11]
	v_fma_f64 v[4:5], v[4:5], v[8:9], -v[14:15]
	v_fmac_f64_e32 v[10:11], v[2:3], v[8:9]
	buffer_store_dword v5, off, s[0:3], 0 offset:36
	buffer_store_dword v4, off, s[0:3], 0 offset:32
	buffer_store_dword v11, off, s[0:3], 0 offset:44
	buffer_store_dword v10, off, s[0:3], 0 offset:40
.LBB16_23:
	s_or_b64 exec, exec, s[8:9]
	s_waitcnt lgkmcnt(0)
	; wave barrier
	buffer_load_dword v2, v86, s[0:3], 0 offen
	buffer_load_dword v3, v86, s[0:3], 0 offen offset:4
	buffer_load_dword v4, v86, s[0:3], 0 offen offset:8
	;; [unrolled: 1-line block ×3, first 2 shown]
	v_cmp_gt_u32_e32 vcc, 3, v87
	v_add_u32_e32 v7, -1, v87
	s_waitcnt vmcnt(0)
	ds_write_b128 v6, v[2:5]
	s_waitcnt lgkmcnt(0)
	; wave barrier
	s_waitcnt lgkmcnt(0)
	s_and_saveexec_b64 s[6:7], vcc
	s_cbranch_execz .LBB16_27
; %bb.24:
	v_pk_mov_b32 v[2:3], 0, 0
	v_add_u32_e32 v8, -1, v87
	v_add_u32_e32 v9, 0x110, v12
	v_add_u32_e32 v10, 0, v12
	s_mov_b64 s[8:9], 0
	v_pk_mov_b32 v[4:5], v[2:3], v[2:3] op_sel:[0,1]
.LBB16_25:                              ; =>This Inner Loop Header: Depth=1
	buffer_load_dword v52, v10, s[0:3], 0 offen offset:8
	buffer_load_dword v53, v10, s[0:3], 0 offen offset:12
	buffer_load_dword v54, v10, s[0:3], 0 offen
	buffer_load_dword v55, v10, s[0:3], 0 offen offset:4
	ds_read_b128 v[14:17], v9
	v_add_u32_e32 v8, 1, v8
	v_cmp_lt_u32_e32 vcc, 1, v8
	v_add_u32_e32 v9, 16, v9
	v_add_u32_e32 v10, 16, v10
	s_or_b64 s[8:9], vcc, s[8:9]
	s_waitcnt vmcnt(2) lgkmcnt(0)
	v_mul_f64 v[56:57], v[16:17], v[52:53]
	v_mul_f64 v[52:53], v[14:15], v[52:53]
	s_waitcnt vmcnt(0)
	v_fma_f64 v[14:15], v[14:15], v[54:55], -v[56:57]
	v_fmac_f64_e32 v[52:53], v[16:17], v[54:55]
	v_add_f64 v[4:5], v[4:5], v[14:15]
	v_add_f64 v[2:3], v[2:3], v[52:53]
	s_andn2_b64 exec, exec, s[8:9]
	s_cbranch_execnz .LBB16_25
; %bb.26:
	s_or_b64 exec, exec, s[8:9]
	v_mov_b32_e32 v8, 0
	ds_read_b128 v[8:11], v8 offset:48
	s_waitcnt lgkmcnt(0)
	v_mul_f64 v[14:15], v[2:3], v[10:11]
	v_mul_f64 v[10:11], v[4:5], v[10:11]
	v_fma_f64 v[4:5], v[4:5], v[8:9], -v[14:15]
	v_fmac_f64_e32 v[10:11], v[2:3], v[8:9]
	buffer_store_dword v5, off, s[0:3], 0 offset:52
	buffer_store_dword v4, off, s[0:3], 0 offset:48
	buffer_store_dword v11, off, s[0:3], 0 offset:60
	buffer_store_dword v10, off, s[0:3], 0 offset:56
.LBB16_27:
	s_or_b64 exec, exec, s[6:7]
	s_waitcnt lgkmcnt(0)
	; wave barrier
	buffer_load_dword v2, v80, s[0:3], 0 offen
	buffer_load_dword v3, v80, s[0:3], 0 offen offset:4
	buffer_load_dword v4, v80, s[0:3], 0 offen offset:8
	buffer_load_dword v5, v80, s[0:3], 0 offen offset:12
	v_cmp_gt_u32_e32 vcc, 4, v87
	s_waitcnt vmcnt(0)
	ds_write_b128 v6, v[2:5]
	s_waitcnt lgkmcnt(0)
	; wave barrier
	s_waitcnt lgkmcnt(0)
	s_and_saveexec_b64 s[6:7], vcc
	s_cbranch_execz .LBB16_31
; %bb.28:
	v_pk_mov_b32 v[2:3], 0, 0
	v_add_u32_e32 v8, -1, v87
	v_add_u32_e32 v9, 0x110, v12
	v_add_u32_e32 v10, 0, v12
	s_mov_b64 s[8:9], 0
	v_pk_mov_b32 v[4:5], v[2:3], v[2:3] op_sel:[0,1]
.LBB16_29:                              ; =>This Inner Loop Header: Depth=1
	buffer_load_dword v52, v10, s[0:3], 0 offen offset:8
	buffer_load_dword v53, v10, s[0:3], 0 offen offset:12
	buffer_load_dword v54, v10, s[0:3], 0 offen
	buffer_load_dword v55, v10, s[0:3], 0 offen offset:4
	ds_read_b128 v[14:17], v9
	v_add_u32_e32 v8, 1, v8
	v_cmp_lt_u32_e32 vcc, 2, v8
	v_add_u32_e32 v9, 16, v9
	v_add_u32_e32 v10, 16, v10
	s_or_b64 s[8:9], vcc, s[8:9]
	s_waitcnt vmcnt(2) lgkmcnt(0)
	v_mul_f64 v[56:57], v[16:17], v[52:53]
	v_mul_f64 v[52:53], v[14:15], v[52:53]
	s_waitcnt vmcnt(0)
	v_fma_f64 v[14:15], v[14:15], v[54:55], -v[56:57]
	v_fmac_f64_e32 v[52:53], v[16:17], v[54:55]
	v_add_f64 v[4:5], v[4:5], v[14:15]
	v_add_f64 v[2:3], v[2:3], v[52:53]
	s_andn2_b64 exec, exec, s[8:9]
	s_cbranch_execnz .LBB16_29
; %bb.30:
	s_or_b64 exec, exec, s[8:9]
	v_mov_b32_e32 v8, 0
	ds_read_b128 v[8:11], v8 offset:64
	s_waitcnt lgkmcnt(0)
	v_mul_f64 v[14:15], v[2:3], v[10:11]
	v_mul_f64 v[10:11], v[4:5], v[10:11]
	v_fma_f64 v[4:5], v[4:5], v[8:9], -v[14:15]
	v_fmac_f64_e32 v[10:11], v[2:3], v[8:9]
	buffer_store_dword v5, off, s[0:3], 0 offset:68
	buffer_store_dword v4, off, s[0:3], 0 offset:64
	buffer_store_dword v11, off, s[0:3], 0 offset:76
	buffer_store_dword v10, off, s[0:3], 0 offset:72
.LBB16_31:
	s_or_b64 exec, exec, s[6:7]
	s_waitcnt lgkmcnt(0)
	; wave barrier
	buffer_load_dword v2, v82, s[0:3], 0 offen
	buffer_load_dword v3, v82, s[0:3], 0 offen offset:4
	buffer_load_dword v4, v82, s[0:3], 0 offen offset:8
	buffer_load_dword v5, v82, s[0:3], 0 offen offset:12
	v_cmp_gt_u32_e32 vcc, 5, v87
	;; [unrolled: 57-line block ×12, first 2 shown]
	s_waitcnt vmcnt(0)
	ds_write_b128 v6, v[2:5]
	s_waitcnt lgkmcnt(0)
	; wave barrier
	s_waitcnt lgkmcnt(0)
	s_and_saveexec_b64 s[6:7], vcc
	s_cbranch_execz .LBB16_75
; %bb.72:
	v_pk_mov_b32 v[2:3], 0, 0
	v_add_u32_e32 v8, -1, v87
	v_add_u32_e32 v9, 0x110, v12
	v_add_u32_e32 v10, 0, v12
	s_mov_b64 s[8:9], 0
	v_pk_mov_b32 v[4:5], v[2:3], v[2:3] op_sel:[0,1]
.LBB16_73:                              ; =>This Inner Loop Header: Depth=1
	buffer_load_dword v52, v10, s[0:3], 0 offen offset:8
	buffer_load_dword v53, v10, s[0:3], 0 offen offset:12
	buffer_load_dword v54, v10, s[0:3], 0 offen
	buffer_load_dword v55, v10, s[0:3], 0 offen offset:4
	ds_read_b128 v[14:17], v9
	v_add_u32_e32 v8, 1, v8
	v_cmp_lt_u32_e32 vcc, 13, v8
	v_add_u32_e32 v9, 16, v9
	v_add_u32_e32 v10, 16, v10
	s_or_b64 s[8:9], vcc, s[8:9]
	s_waitcnt vmcnt(2) lgkmcnt(0)
	v_mul_f64 v[56:57], v[16:17], v[52:53]
	v_mul_f64 v[52:53], v[14:15], v[52:53]
	s_waitcnt vmcnt(0)
	v_fma_f64 v[14:15], v[14:15], v[54:55], -v[56:57]
	v_fmac_f64_e32 v[52:53], v[16:17], v[54:55]
	v_add_f64 v[4:5], v[4:5], v[14:15]
	v_add_f64 v[2:3], v[2:3], v[52:53]
	s_andn2_b64 exec, exec, s[8:9]
	s_cbranch_execnz .LBB16_73
; %bb.74:
	s_or_b64 exec, exec, s[8:9]
	v_mov_b32_e32 v8, 0
	ds_read_b128 v[8:11], v8 offset:240
	s_waitcnt lgkmcnt(0)
	v_mul_f64 v[14:15], v[2:3], v[10:11]
	v_mul_f64 v[10:11], v[4:5], v[10:11]
	v_fma_f64 v[4:5], v[4:5], v[8:9], -v[14:15]
	v_fmac_f64_e32 v[10:11], v[2:3], v[8:9]
	buffer_store_dword v5, off, s[0:3], 0 offset:244
	buffer_store_dword v4, off, s[0:3], 0 offset:240
	;; [unrolled: 1-line block ×4, first 2 shown]
.LBB16_75:
	s_or_b64 exec, exec, s[6:7]
	s_waitcnt lgkmcnt(0)
	; wave barrier
	buffer_load_dword v2, v1, s[0:3], 0 offen
	buffer_load_dword v3, v1, s[0:3], 0 offen offset:4
	buffer_load_dword v4, v1, s[0:3], 0 offen offset:8
	;; [unrolled: 1-line block ×3, first 2 shown]
	v_cmp_ne_u32_e32 vcc, 16, v87
	s_waitcnt vmcnt(0)
	ds_write_b128 v6, v[2:5]
	s_waitcnt lgkmcnt(0)
	; wave barrier
	s_waitcnt lgkmcnt(0)
	s_and_saveexec_b64 s[6:7], vcc
	s_cbranch_execz .LBB16_79
; %bb.76:
	v_pk_mov_b32 v[2:3], 0, 0
	v_add_u32_e32 v6, 0x110, v12
	v_add_u32_e32 v8, 0, v12
	s_mov_b64 s[8:9], 0
	v_pk_mov_b32 v[4:5], v[2:3], v[2:3] op_sel:[0,1]
.LBB16_77:                              ; =>This Inner Loop Header: Depth=1
	buffer_load_dword v14, v8, s[0:3], 0 offen offset:8
	buffer_load_dword v15, v8, s[0:3], 0 offen offset:12
	buffer_load_dword v16, v8, s[0:3], 0 offen
	buffer_load_dword v17, v8, s[0:3], 0 offen offset:4
	ds_read_b128 v[10:13], v6
	v_add_u32_e32 v7, 1, v7
	v_cmp_lt_u32_e32 vcc, 14, v7
	v_add_u32_e32 v6, 16, v6
	v_add_u32_e32 v8, 16, v8
	s_or_b64 s[8:9], vcc, s[8:9]
	s_waitcnt vmcnt(2) lgkmcnt(0)
	v_mul_f64 v[52:53], v[12:13], v[14:15]
	v_mul_f64 v[14:15], v[10:11], v[14:15]
	s_waitcnt vmcnt(0)
	v_fma_f64 v[10:11], v[10:11], v[16:17], -v[52:53]
	v_fmac_f64_e32 v[14:15], v[12:13], v[16:17]
	v_add_f64 v[4:5], v[4:5], v[10:11]
	v_add_f64 v[2:3], v[2:3], v[14:15]
	s_andn2_b64 exec, exec, s[8:9]
	s_cbranch_execnz .LBB16_77
; %bb.78:
	s_or_b64 exec, exec, s[8:9]
	v_mov_b32_e32 v6, 0
	ds_read_b128 v[6:9], v6 offset:256
	s_waitcnt lgkmcnt(0)
	v_mul_f64 v[10:11], v[2:3], v[8:9]
	v_mul_f64 v[8:9], v[4:5], v[8:9]
	v_fma_f64 v[4:5], v[4:5], v[6:7], -v[10:11]
	v_fmac_f64_e32 v[8:9], v[2:3], v[6:7]
	buffer_store_dword v5, off, s[0:3], 0 offset:260
	buffer_store_dword v4, off, s[0:3], 0 offset:256
	buffer_store_dword v9, off, s[0:3], 0 offset:268
	buffer_store_dword v8, off, s[0:3], 0 offset:264
.LBB16_79:
	s_or_b64 exec, exec, s[6:7]
	s_mov_b64 s[8:9], -1
	s_waitcnt lgkmcnt(0)
	; wave barrier
.LBB16_80:
	s_and_b64 vcc, exec, s[8:9]
	s_cbranch_vccz .LBB16_82
; %bb.81:
	s_lshl_b64 s[6:7], s[10:11], 2
	s_add_u32 s6, s14, s6
	s_addc_u32 s7, s15, s7
	v_mov_b32_e32 v2, 0
	global_load_dword v2, v2, s[6:7]
	s_waitcnt vmcnt(0)
	v_cmp_ne_u32_e32 vcc, 0, v2
	s_cbranch_vccz .LBB16_83
.LBB16_82:
	s_endpgm
.LBB16_83:
	v_mov_b32_e32 v2, 0x110
	v_lshl_add_u32 v64, v87, 4, v2
	v_cmp_eq_u32_e32 vcc, 16, v87
	s_and_saveexec_b64 s[6:7], vcc
	s_cbranch_execz .LBB16_85
; %bb.84:
	buffer_load_dword v2, v75, s[0:3], 0 offen
	buffer_load_dword v3, v75, s[0:3], 0 offen offset:4
	buffer_load_dword v4, v75, s[0:3], 0 offen offset:8
	;; [unrolled: 1-line block ×3, first 2 shown]
	v_mov_b32_e32 v6, 0
	buffer_store_dword v6, off, s[0:3], 0 offset:240
	buffer_store_dword v6, off, s[0:3], 0 offset:244
	;; [unrolled: 1-line block ×4, first 2 shown]
	s_waitcnt vmcnt(4)
	ds_write_b128 v64, v[2:5]
.LBB16_85:
	s_or_b64 exec, exec, s[6:7]
	s_waitcnt lgkmcnt(0)
	; wave barrier
	s_waitcnt lgkmcnt(0)
	buffer_load_dword v8, off, s[0:3], 0 offset:264
	buffer_load_dword v9, off, s[0:3], 0 offset:268
	;; [unrolled: 1-line block ×8, first 2 shown]
	v_mov_b32_e32 v2, 0
	ds_read_b128 v[4:7], v2 offset:528
	v_cmp_lt_u32_e32 vcc, 14, v87
	s_waitcnt vmcnt(6) lgkmcnt(0)
	v_mul_f64 v[16:17], v[4:5], v[8:9]
	v_mul_f64 v[8:9], v[6:7], v[8:9]
	s_waitcnt vmcnt(4)
	v_fma_f64 v[4:5], v[4:5], v[10:11], -v[8:9]
	v_fmac_f64_e32 v[16:17], v[6:7], v[10:11]
	v_add_f64 v[4:5], v[4:5], 0
	v_add_f64 v[6:7], v[16:17], 0
	s_waitcnt vmcnt(2)
	v_add_f64 v[4:5], v[12:13], -v[4:5]
	s_waitcnt vmcnt(0)
	v_add_f64 v[6:7], v[14:15], -v[6:7]
	buffer_store_dword v4, off, s[0:3], 0 offset:240
	buffer_store_dword v5, off, s[0:3], 0 offset:244
	;; [unrolled: 1-line block ×4, first 2 shown]
	s_and_saveexec_b64 s[6:7], vcc
	s_cbranch_execz .LBB16_87
; %bb.86:
	buffer_load_dword v4, v73, s[0:3], 0 offen
	buffer_load_dword v5, v73, s[0:3], 0 offen offset:4
	buffer_load_dword v6, v73, s[0:3], 0 offen offset:8
	;; [unrolled: 1-line block ×3, first 2 shown]
	s_nop 0
	buffer_store_dword v2, off, s[0:3], 0 offset:224
	buffer_store_dword v2, off, s[0:3], 0 offset:228
	buffer_store_dword v2, off, s[0:3], 0 offset:232
	buffer_store_dword v2, off, s[0:3], 0 offset:236
	s_waitcnt vmcnt(4)
	ds_write_b128 v64, v[4:7]
.LBB16_87:
	s_or_b64 exec, exec, s[6:7]
	s_waitcnt lgkmcnt(0)
	; wave barrier
	s_waitcnt lgkmcnt(0)
	buffer_load_dword v12, off, s[0:3], 0 offset:248
	buffer_load_dword v13, off, s[0:3], 0 offset:252
	;; [unrolled: 1-line block ×12, first 2 shown]
	ds_read_b128 v[4:7], v2 offset:512
	ds_read_b128 v[8:11], v2 offset:528
	v_cmp_lt_u32_e32 vcc, 13, v87
	s_waitcnt vmcnt(10) lgkmcnt(1)
	v_mul_f64 v[2:3], v[4:5], v[12:13]
	v_mul_f64 v[12:13], v[6:7], v[12:13]
	s_waitcnt vmcnt(8) lgkmcnt(0)
	v_mul_f64 v[58:59], v[8:9], v[14:15]
	v_mul_f64 v[14:15], v[10:11], v[14:15]
	s_waitcnt vmcnt(6)
	v_fma_f64 v[4:5], v[4:5], v[16:17], -v[12:13]
	v_fmac_f64_e32 v[2:3], v[6:7], v[16:17]
	s_waitcnt vmcnt(4)
	v_fma_f64 v[6:7], v[8:9], v[52:53], -v[14:15]
	v_add_f64 v[4:5], v[4:5], 0
	v_fmac_f64_e32 v[58:59], v[10:11], v[52:53]
	v_add_f64 v[2:3], v[2:3], 0
	v_add_f64 v[4:5], v[4:5], v[6:7]
	;; [unrolled: 1-line block ×3, first 2 shown]
	s_waitcnt vmcnt(2)
	v_add_f64 v[4:5], v[54:55], -v[4:5]
	s_waitcnt vmcnt(0)
	v_add_f64 v[2:3], v[56:57], -v[2:3]
	buffer_store_dword v4, off, s[0:3], 0 offset:224
	buffer_store_dword v5, off, s[0:3], 0 offset:228
	;; [unrolled: 1-line block ×4, first 2 shown]
	s_and_saveexec_b64 s[6:7], vcc
	s_cbranch_execz .LBB16_89
; %bb.88:
	buffer_load_dword v2, v74, s[0:3], 0 offen
	buffer_load_dword v3, v74, s[0:3], 0 offen offset:4
	buffer_load_dword v4, v74, s[0:3], 0 offen offset:8
	;; [unrolled: 1-line block ×3, first 2 shown]
	v_mov_b32_e32 v6, 0
	buffer_store_dword v6, off, s[0:3], 0 offset:208
	buffer_store_dword v6, off, s[0:3], 0 offset:212
	;; [unrolled: 1-line block ×4, first 2 shown]
	s_waitcnt vmcnt(4)
	ds_write_b128 v64, v[2:5]
.LBB16_89:
	s_or_b64 exec, exec, s[6:7]
	s_waitcnt lgkmcnt(0)
	; wave barrier
	s_waitcnt lgkmcnt(0)
	buffer_load_dword v16, off, s[0:3], 0 offset:232
	buffer_load_dword v17, off, s[0:3], 0 offset:236
	;; [unrolled: 1-line block ×16, first 2 shown]
	v_mov_b32_e32 v2, 0
	ds_read_b128 v[4:7], v2 offset:496
	ds_read_b128 v[8:11], v2 offset:512
	;; [unrolled: 1-line block ×3, first 2 shown]
	v_cmp_lt_u32_e32 vcc, 12, v87
	s_waitcnt vmcnt(14) lgkmcnt(2)
	v_mul_f64 v[68:69], v[4:5], v[16:17]
	v_mul_f64 v[16:17], v[6:7], v[16:17]
	s_waitcnt vmcnt(12) lgkmcnt(1)
	v_mul_f64 v[70:71], v[8:9], v[52:53]
	v_mul_f64 v[52:53], v[10:11], v[52:53]
	;; [unrolled: 3-line block ×3, first 2 shown]
	s_waitcnt vmcnt(8)
	v_fma_f64 v[4:5], v[4:5], v[56:57], -v[16:17]
	v_fmac_f64_e32 v[68:69], v[6:7], v[56:57]
	s_waitcnt vmcnt(6)
	v_fma_f64 v[6:7], v[8:9], v[58:59], -v[52:53]
	v_add_f64 v[4:5], v[4:5], 0
	v_fmac_f64_e32 v[70:71], v[10:11], v[58:59]
	s_waitcnt vmcnt(4)
	v_fma_f64 v[8:9], v[12:13], v[60:61], -v[54:55]
	v_add_f64 v[10:11], v[68:69], 0
	v_add_f64 v[4:5], v[4:5], v[6:7]
	v_fmac_f64_e32 v[88:89], v[14:15], v[60:61]
	v_add_f64 v[10:11], v[10:11], v[70:71]
	v_add_f64 v[4:5], v[4:5], v[8:9]
	;; [unrolled: 1-line block ×3, first 2 shown]
	s_waitcnt vmcnt(2)
	v_add_f64 v[4:5], v[62:63], -v[4:5]
	s_waitcnt vmcnt(0)
	v_add_f64 v[6:7], v[66:67], -v[6:7]
	buffer_store_dword v4, off, s[0:3], 0 offset:208
	buffer_store_dword v5, off, s[0:3], 0 offset:212
	buffer_store_dword v6, off, s[0:3], 0 offset:216
	buffer_store_dword v7, off, s[0:3], 0 offset:220
	s_and_saveexec_b64 s[6:7], vcc
	s_cbranch_execz .LBB16_91
; %bb.90:
	buffer_load_dword v4, v72, s[0:3], 0 offen
	buffer_load_dword v5, v72, s[0:3], 0 offen offset:4
	buffer_load_dword v6, v72, s[0:3], 0 offen offset:8
	;; [unrolled: 1-line block ×3, first 2 shown]
	s_nop 0
	buffer_store_dword v2, off, s[0:3], 0 offset:192
	buffer_store_dword v2, off, s[0:3], 0 offset:196
	buffer_store_dword v2, off, s[0:3], 0 offset:200
	buffer_store_dword v2, off, s[0:3], 0 offset:204
	s_waitcnt vmcnt(4)
	ds_write_b128 v64, v[4:7]
.LBB16_91:
	s_or_b64 exec, exec, s[6:7]
	s_waitcnt lgkmcnt(0)
	; wave barrier
	s_waitcnt lgkmcnt(0)
	buffer_load_dword v16, off, s[0:3], 0 offset:216
	buffer_load_dword v17, off, s[0:3], 0 offset:220
	;; [unrolled: 1-line block ×20, first 2 shown]
	ds_read_b128 v[4:7], v2 offset:480
	ds_read_b128 v[8:11], v2 offset:496
	;; [unrolled: 1-line block ×4, first 2 shown]
	v_cmp_lt_u32_e32 vcc, 11, v87
	s_waitcnt vmcnt(18) lgkmcnt(3)
	v_mul_f64 v[2:3], v[4:5], v[16:17]
	v_mul_f64 v[16:17], v[6:7], v[16:17]
	s_waitcnt vmcnt(16) lgkmcnt(2)
	v_mul_f64 v[92:93], v[8:9], v[56:57]
	v_mul_f64 v[56:57], v[10:11], v[56:57]
	;; [unrolled: 3-line block ×4, first 2 shown]
	s_waitcnt vmcnt(10)
	v_fma_f64 v[4:5], v[4:5], v[62:63], -v[16:17]
	v_fmac_f64_e32 v[2:3], v[6:7], v[62:63]
	s_waitcnt vmcnt(8)
	v_fma_f64 v[6:7], v[8:9], v[66:67], -v[56:57]
	v_add_f64 v[4:5], v[4:5], 0
	v_fmac_f64_e32 v[92:93], v[10:11], v[66:67]
	s_waitcnt vmcnt(6)
	v_fma_f64 v[8:9], v[12:13], v[68:69], -v[58:59]
	v_add_f64 v[2:3], v[2:3], 0
	v_add_f64 v[4:5], v[4:5], v[6:7]
	v_fmac_f64_e32 v[94:95], v[14:15], v[68:69]
	s_waitcnt vmcnt(4)
	v_fma_f64 v[10:11], v[52:53], v[70:71], -v[60:61]
	v_add_f64 v[2:3], v[2:3], v[92:93]
	v_add_f64 v[4:5], v[4:5], v[8:9]
	v_fmac_f64_e32 v[96:97], v[54:55], v[70:71]
	v_add_f64 v[2:3], v[2:3], v[94:95]
	v_add_f64 v[4:5], v[4:5], v[10:11]
	;; [unrolled: 1-line block ×3, first 2 shown]
	s_waitcnt vmcnt(2)
	v_add_f64 v[4:5], v[88:89], -v[4:5]
	s_waitcnt vmcnt(0)
	v_add_f64 v[2:3], v[90:91], -v[2:3]
	buffer_store_dword v4, off, s[0:3], 0 offset:192
	buffer_store_dword v5, off, s[0:3], 0 offset:196
	;; [unrolled: 1-line block ×4, first 2 shown]
	s_and_saveexec_b64 s[6:7], vcc
	s_cbranch_execz .LBB16_93
; %bb.92:
	buffer_load_dword v2, v77, s[0:3], 0 offen
	buffer_load_dword v3, v77, s[0:3], 0 offen offset:4
	buffer_load_dword v4, v77, s[0:3], 0 offen offset:8
	;; [unrolled: 1-line block ×3, first 2 shown]
	v_mov_b32_e32 v6, 0
	buffer_store_dword v6, off, s[0:3], 0 offset:176
	buffer_store_dword v6, off, s[0:3], 0 offset:180
	;; [unrolled: 1-line block ×4, first 2 shown]
	s_waitcnt vmcnt(4)
	ds_write_b128 v64, v[2:5]
.LBB16_93:
	s_or_b64 exec, exec, s[6:7]
	s_waitcnt lgkmcnt(0)
	; wave barrier
	s_waitcnt lgkmcnt(0)
	buffer_load_dword v16, off, s[0:3], 0 offset:200
	buffer_load_dword v17, off, s[0:3], 0 offset:204
	;; [unrolled: 1-line block ×24, first 2 shown]
	v_mov_b32_e32 v2, 0
	ds_read_b128 v[4:7], v2 offset:464
	ds_read_b128 v[8:11], v2 offset:480
	;; [unrolled: 1-line block ×5, first 2 shown]
	v_cmp_lt_u32_e32 vcc, 10, v87
	s_waitcnt vmcnt(22) lgkmcnt(4)
	v_mul_f64 v[100:101], v[4:5], v[16:17]
	v_mul_f64 v[16:17], v[6:7], v[16:17]
	s_waitcnt vmcnt(20) lgkmcnt(3)
	v_mul_f64 v[102:103], v[8:9], v[60:61]
	v_mul_f64 v[60:61], v[10:11], v[60:61]
	;; [unrolled: 3-line block ×4, first 2 shown]
	s_waitcnt vmcnt(13) lgkmcnt(0)
	v_mul_f64 v[108:109], v[56:57], v[66:67]
	s_waitcnt vmcnt(11)
	v_fma_f64 v[4:5], v[4:5], v[88:89], -v[16:17]
	v_fmac_f64_e32 v[100:101], v[6:7], v[88:89]
	s_waitcnt vmcnt(9)
	v_fma_f64 v[6:7], v[8:9], v[90:91], -v[60:61]
	v_add_f64 v[4:5], v[4:5], 0
	v_fmac_f64_e32 v[102:103], v[10:11], v[90:91]
	s_waitcnt vmcnt(7)
	v_fmac_f64_e32 v[104:105], v[14:15], v[92:93]
	v_fma_f64 v[8:9], v[12:13], v[92:93], -v[62:63]
	v_add_f64 v[14:15], v[100:101], 0
	v_add_f64 v[4:5], v[4:5], v[6:7]
	v_mul_f64 v[66:67], v[58:59], v[66:67]
	s_waitcnt vmcnt(5)
	v_fma_f64 v[10:11], v[52:53], v[94:95], -v[70:71]
	v_add_f64 v[14:15], v[14:15], v[102:103]
	v_add_f64 v[4:5], v[4:5], v[8:9]
	v_fmac_f64_e32 v[106:107], v[54:55], v[94:95]
	s_waitcnt vmcnt(4)
	v_fma_f64 v[12:13], v[56:57], v[68:69], -v[66:67]
	v_add_f64 v[6:7], v[14:15], v[104:105]
	v_add_f64 v[4:5], v[4:5], v[10:11]
	v_fmac_f64_e32 v[108:109], v[58:59], v[68:69]
	v_add_f64 v[6:7], v[6:7], v[106:107]
	v_add_f64 v[4:5], v[4:5], v[12:13]
	;; [unrolled: 1-line block ×3, first 2 shown]
	s_waitcnt vmcnt(2)
	v_add_f64 v[4:5], v[96:97], -v[4:5]
	s_waitcnt vmcnt(0)
	v_add_f64 v[6:7], v[98:99], -v[6:7]
	buffer_store_dword v5, off, s[0:3], 0 offset:180
	buffer_store_dword v4, off, s[0:3], 0 offset:176
	;; [unrolled: 1-line block ×4, first 2 shown]
	s_and_saveexec_b64 s[6:7], vcc
	s_cbranch_execz .LBB16_95
; %bb.94:
	buffer_load_dword v4, v79, s[0:3], 0 offen
	buffer_load_dword v5, v79, s[0:3], 0 offen offset:4
	buffer_load_dword v6, v79, s[0:3], 0 offen offset:8
	buffer_load_dword v7, v79, s[0:3], 0 offen offset:12
	s_nop 0
	buffer_store_dword v2, off, s[0:3], 0 offset:160
	buffer_store_dword v2, off, s[0:3], 0 offset:164
	;; [unrolled: 1-line block ×4, first 2 shown]
	s_waitcnt vmcnt(4)
	ds_write_b128 v64, v[4:7]
.LBB16_95:
	s_or_b64 exec, exec, s[6:7]
	s_waitcnt lgkmcnt(0)
	; wave barrier
	s_waitcnt lgkmcnt(0)
	buffer_load_dword v16, off, s[0:3], 0 offset:184
	buffer_load_dword v17, off, s[0:3], 0 offset:188
	;; [unrolled: 1-line block ×28, first 2 shown]
	ds_read_b128 v[4:7], v2 offset:448
	ds_read_b128 v[8:11], v2 offset:464
	;; [unrolled: 1-line block ×6, first 2 shown]
	v_cmp_lt_u32_e32 vcc, 9, v87
	s_waitcnt vmcnt(26) lgkmcnt(5)
	v_mul_f64 v[2:3], v[4:5], v[16:17]
	v_mul_f64 v[16:17], v[6:7], v[16:17]
	s_waitcnt vmcnt(24) lgkmcnt(4)
	v_mul_f64 v[108:109], v[8:9], v[66:67]
	v_mul_f64 v[66:67], v[10:11], v[66:67]
	;; [unrolled: 3-line block ×4, first 2 shown]
	s_waitcnt vmcnt(17)
	v_mul_f64 v[112:113], v[52:53], v[90:91]
	v_mul_f64 v[90:91], v[54:55], v[90:91]
	s_waitcnt vmcnt(15) lgkmcnt(0)
	v_mul_f64 v[116:117], v[60:61], v[92:93]
	v_mul_f64 v[92:93], v[62:63], v[92:93]
	s_waitcnt vmcnt(14)
	v_fmac_f64_e32 v[114:115], v[58:59], v[88:89]
	s_waitcnt vmcnt(12)
	v_fma_f64 v[4:5], v[4:5], v[94:95], -v[16:17]
	v_fmac_f64_e32 v[2:3], v[6:7], v[94:95]
	s_waitcnt vmcnt(10)
	v_fma_f64 v[6:7], v[8:9], v[96:97], -v[66:67]
	v_add_f64 v[4:5], v[4:5], 0
	v_fmac_f64_e32 v[108:109], v[10:11], v[96:97]
	s_waitcnt vmcnt(8)
	v_fma_f64 v[8:9], v[12:13], v[98:99], -v[68:69]
	v_add_f64 v[2:3], v[2:3], 0
	v_add_f64 v[4:5], v[4:5], v[6:7]
	v_fmac_f64_e32 v[110:111], v[14:15], v[98:99]
	s_waitcnt vmcnt(6)
	v_fma_f64 v[10:11], v[52:53], v[100:101], -v[90:91]
	v_add_f64 v[2:3], v[2:3], v[108:109]
	v_add_f64 v[4:5], v[4:5], v[8:9]
	v_fmac_f64_e32 v[112:113], v[54:55], v[100:101]
	v_fma_f64 v[12:13], v[56:57], v[88:89], -v[70:71]
	v_add_f64 v[2:3], v[2:3], v[110:111]
	v_add_f64 v[4:5], v[4:5], v[10:11]
	s_waitcnt vmcnt(4)
	v_fma_f64 v[14:15], v[60:61], v[102:103], -v[92:93]
	v_add_f64 v[2:3], v[2:3], v[112:113]
	v_add_f64 v[4:5], v[4:5], v[12:13]
	v_fmac_f64_e32 v[116:117], v[62:63], v[102:103]
	v_add_f64 v[2:3], v[2:3], v[114:115]
	v_add_f64 v[4:5], v[4:5], v[14:15]
	;; [unrolled: 1-line block ×3, first 2 shown]
	s_waitcnt vmcnt(2)
	v_add_f64 v[4:5], v[104:105], -v[4:5]
	s_waitcnt vmcnt(0)
	v_add_f64 v[2:3], v[106:107], -v[2:3]
	buffer_store_dword v5, off, s[0:3], 0 offset:164
	buffer_store_dword v4, off, s[0:3], 0 offset:160
	;; [unrolled: 1-line block ×4, first 2 shown]
	s_and_saveexec_b64 s[6:7], vcc
	s_cbranch_execz .LBB16_97
; %bb.96:
	buffer_load_dword v2, v76, s[0:3], 0 offen
	buffer_load_dword v3, v76, s[0:3], 0 offen offset:4
	buffer_load_dword v4, v76, s[0:3], 0 offen offset:8
	;; [unrolled: 1-line block ×3, first 2 shown]
	v_mov_b32_e32 v6, 0
	buffer_store_dword v6, off, s[0:3], 0 offset:144
	buffer_store_dword v6, off, s[0:3], 0 offset:148
	;; [unrolled: 1-line block ×4, first 2 shown]
	s_waitcnt vmcnt(4)
	ds_write_b128 v64, v[2:5]
.LBB16_97:
	s_or_b64 exec, exec, s[6:7]
	v_mov_b32_e32 v58, 0
	s_waitcnt lgkmcnt(0)
	; wave barrier
	s_waitcnt lgkmcnt(0)
	ds_read_b128 v[6:9], v58 offset:432
	ds_read_b128 v[10:13], v58 offset:448
	;; [unrolled: 1-line block ×4, first 2 shown]
	buffer_load_dword v4, off, s[0:3], 0 offset:144
	buffer_load_dword v5, off, s[0:3], 0 offset:148
	;; [unrolled: 1-line block ×20, first 2 shown]
	v_cmp_lt_u32_e32 vcc, 8, v87
	s_waitcnt vmcnt(12) lgkmcnt(3)
	v_mul_f64 v[60:61], v[6:7], v[70:71]
	v_fmac_f64_e32 v[60:61], v[8:9], v[56:57]
	v_add_f64 v[60:61], v[60:61], 0
	v_mul_f64 v[8:9], v[8:9], v[70:71]
	s_waitcnt vmcnt(8) lgkmcnt(2)
	v_mul_f64 v[62:63], v[10:11], v[94:95]
	v_fmac_f64_e32 v[62:63], v[12:13], v[92:93]
	v_add_f64 v[60:61], v[60:61], v[62:63]
	v_fma_f64 v[6:7], v[6:7], v[56:57], -v[8:9]
	s_waitcnt vmcnt(4) lgkmcnt(1)
	v_mul_f64 v[62:63], v[14:15], v[98:99]
	v_fmac_f64_e32 v[62:63], v[16:17], v[96:97]
	v_add_f64 v[60:61], v[60:61], v[62:63]
	s_waitcnt vmcnt(0) lgkmcnt(0)
	v_mul_f64 v[62:63], v[52:53], v[102:103]
	v_fmac_f64_e32 v[62:63], v[54:55], v[100:101]
	v_add_f64 v[66:67], v[60:61], v[62:63]
	ds_read_b128 v[60:63], v58 offset:496
	buffer_load_dword v105, off, s[0:3], 0 offset:228
	buffer_load_dword v104, off, s[0:3], 0 offset:224
	;; [unrolled: 1-line block ×4, first 2 shown]
	v_mul_f64 v[8:9], v[12:13], v[94:95]
	v_add_f64 v[6:7], v[6:7], 0
	v_fma_f64 v[8:9], v[10:11], v[92:93], -v[8:9]
	v_add_f64 v[6:7], v[6:7], v[8:9]
	v_mul_f64 v[8:9], v[16:17], v[98:99]
	v_fma_f64 v[8:9], v[14:15], v[96:97], -v[8:9]
	v_add_f64 v[6:7], v[6:7], v[8:9]
	v_mul_f64 v[8:9], v[54:55], v[102:103]
	v_fma_f64 v[8:9], v[52:53], v[100:101], -v[8:9]
	v_add_f64 v[6:7], v[6:7], v[8:9]
	s_waitcnt vmcnt(0) lgkmcnt(0)
	v_mul_f64 v[68:69], v[60:61], v[106:107]
	v_fmac_f64_e32 v[68:69], v[62:63], v[104:105]
	v_add_f64 v[88:89], v[66:67], v[68:69]
	ds_read_b128 v[66:69], v58 offset:512
	buffer_load_dword v109, off, s[0:3], 0 offset:244
	buffer_load_dword v108, off, s[0:3], 0 offset:240
	;; [unrolled: 1-line block ×4, first 2 shown]
	v_mul_f64 v[8:9], v[62:63], v[106:107]
	v_fma_f64 v[8:9], v[60:61], v[104:105], -v[8:9]
	v_add_f64 v[6:7], v[6:7], v[8:9]
	s_waitcnt vmcnt(0) lgkmcnt(0)
	v_mul_f64 v[90:91], v[66:67], v[110:111]
	v_fmac_f64_e32 v[90:91], v[68:69], v[108:109]
	v_add_f64 v[112:113], v[88:89], v[90:91]
	ds_read_b128 v[88:91], v58 offset:528
	buffer_load_dword v115, off, s[0:3], 0 offset:260
	buffer_load_dword v114, off, s[0:3], 0 offset:256
	;; [unrolled: 1-line block ×4, first 2 shown]
	v_mul_f64 v[8:9], v[68:69], v[110:111]
	v_fma_f64 v[8:9], v[66:67], v[108:109], -v[8:9]
	v_add_f64 v[6:7], v[6:7], v[8:9]
	s_waitcnt vmcnt(0) lgkmcnt(0)
	v_mul_f64 v[8:9], v[90:91], v[116:117]
	v_mul_f64 v[118:119], v[88:89], v[116:117]
	v_fma_f64 v[8:9], v[88:89], v[114:115], -v[8:9]
	v_fmac_f64_e32 v[118:119], v[90:91], v[114:115]
	v_add_f64 v[6:7], v[6:7], v[8:9]
	v_add_f64 v[112:113], v[112:113], v[118:119]
	v_add_f64 v[4:5], v[4:5], -v[6:7]
	v_add_f64 v[2:3], v[2:3], -v[112:113]
	buffer_store_dword v5, off, s[0:3], 0 offset:148
	buffer_store_dword v4, off, s[0:3], 0 offset:144
	;; [unrolled: 1-line block ×4, first 2 shown]
	s_and_saveexec_b64 s[6:7], vcc
	s_cbranch_execz .LBB16_99
; %bb.98:
	buffer_load_dword v2, v78, s[0:3], 0 offen
	buffer_load_dword v3, v78, s[0:3], 0 offen offset:4
	buffer_load_dword v4, v78, s[0:3], 0 offen offset:8
	;; [unrolled: 1-line block ×3, first 2 shown]
	s_nop 0
	buffer_store_dword v58, off, s[0:3], 0 offset:128
	buffer_store_dword v58, off, s[0:3], 0 offset:132
	buffer_store_dword v58, off, s[0:3], 0 offset:136
	buffer_store_dword v58, off, s[0:3], 0 offset:140
	s_waitcnt vmcnt(4)
	ds_write_b128 v64, v[2:5]
.LBB16_99:
	s_or_b64 exec, exec, s[6:7]
	s_waitcnt lgkmcnt(0)
	; wave barrier
	s_waitcnt lgkmcnt(0)
	ds_read_b128 v[14:17], v58 offset:416
	ds_read_b128 v[10:13], v58 offset:432
	;; [unrolled: 1-line block ×4, first 2 shown]
	buffer_load_dword v54, off, s[0:3], 0 offset:128
	buffer_load_dword v55, off, s[0:3], 0 offset:132
	;; [unrolled: 1-line block ×20, first 2 shown]
	v_cmp_lt_u32_e32 vcc, 7, v87
	s_waitcnt vmcnt(12) lgkmcnt(3)
	v_mul_f64 v[60:61], v[14:15], v[70:71]
	v_fmac_f64_e32 v[60:61], v[16:17], v[56:57]
	v_add_f64 v[60:61], v[60:61], 0
	v_mul_f64 v[16:17], v[16:17], v[70:71]
	s_waitcnt vmcnt(8) lgkmcnt(2)
	v_mul_f64 v[62:63], v[10:11], v[98:99]
	v_fmac_f64_e32 v[62:63], v[12:13], v[96:97]
	v_add_f64 v[60:61], v[60:61], v[62:63]
	v_fma_f64 v[14:15], v[14:15], v[56:57], -v[16:17]
	s_waitcnt vmcnt(4) lgkmcnt(1)
	v_mul_f64 v[62:63], v[6:7], v[102:103]
	v_fmac_f64_e32 v[62:63], v[8:9], v[100:101]
	v_add_f64 v[60:61], v[60:61], v[62:63]
	s_waitcnt vmcnt(0) lgkmcnt(0)
	v_mul_f64 v[62:63], v[2:3], v[106:107]
	v_fmac_f64_e32 v[62:63], v[4:5], v[104:105]
	v_add_f64 v[66:67], v[60:61], v[62:63]
	ds_read_b128 v[60:63], v58 offset:480
	buffer_load_dword v109, off, s[0:3], 0 offset:212
	buffer_load_dword v108, off, s[0:3], 0 offset:208
	;; [unrolled: 1-line block ×4, first 2 shown]
	v_mul_f64 v[12:13], v[12:13], v[98:99]
	v_add_f64 v[14:15], v[14:15], 0
	v_fma_f64 v[10:11], v[10:11], v[96:97], -v[12:13]
	v_mul_f64 v[8:9], v[8:9], v[102:103]
	v_add_f64 v[10:11], v[14:15], v[10:11]
	v_fma_f64 v[6:7], v[6:7], v[100:101], -v[8:9]
	;; [unrolled: 3-line block ×3, first 2 shown]
	v_add_f64 v[2:3], v[6:7], v[2:3]
	s_waitcnt vmcnt(0) lgkmcnt(0)
	v_mul_f64 v[68:69], v[60:61], v[110:111]
	v_fmac_f64_e32 v[68:69], v[62:63], v[108:109]
	v_add_f64 v[88:89], v[66:67], v[68:69]
	ds_read_b128 v[66:69], v58 offset:496
	buffer_load_dword v113, off, s[0:3], 0 offset:228
	buffer_load_dword v112, off, s[0:3], 0 offset:224
	buffer_load_dword v115, off, s[0:3], 0 offset:236
	buffer_load_dword v114, off, s[0:3], 0 offset:232
	v_mul_f64 v[4:5], v[62:63], v[110:111]
	v_fma_f64 v[4:5], v[60:61], v[108:109], -v[4:5]
	v_add_f64 v[2:3], v[2:3], v[4:5]
	s_waitcnt vmcnt(0) lgkmcnt(0)
	v_mul_f64 v[90:91], v[66:67], v[114:115]
	v_fmac_f64_e32 v[90:91], v[68:69], v[112:113]
	v_add_f64 v[92:93], v[88:89], v[90:91]
	ds_read_b128 v[88:91], v58 offset:512
	buffer_load_dword v117, off, s[0:3], 0 offset:244
	buffer_load_dword v116, off, s[0:3], 0 offset:240
	buffer_load_dword v119, off, s[0:3], 0 offset:252
	buffer_load_dword v118, off, s[0:3], 0 offset:248
	v_mul_f64 v[4:5], v[68:69], v[114:115]
	v_fma_f64 v[4:5], v[66:67], v[112:113], -v[4:5]
	;; [unrolled: 12-line block ×3, first 2 shown]
	v_add_f64 v[2:3], v[2:3], v[4:5]
	s_waitcnt vmcnt(0) lgkmcnt(0)
	v_mul_f64 v[4:5], v[94:95], v[122:123]
	v_mul_f64 v[124:125], v[92:93], v[122:123]
	v_fma_f64 v[4:5], v[92:93], v[58:59], -v[4:5]
	v_fmac_f64_e32 v[124:125], v[94:95], v[58:59]
	v_add_f64 v[2:3], v[2:3], v[4:5]
	v_add_f64 v[120:121], v[120:121], v[124:125]
	v_add_f64 v[2:3], v[54:55], -v[2:3]
	v_add_f64 v[4:5], v[52:53], -v[120:121]
	buffer_store_dword v3, off, s[0:3], 0 offset:132
	buffer_store_dword v2, off, s[0:3], 0 offset:128
	;; [unrolled: 1-line block ×4, first 2 shown]
	s_and_saveexec_b64 s[6:7], vcc
	s_cbranch_execz .LBB16_101
; %bb.100:
	buffer_load_dword v2, v83, s[0:3], 0 offen
	buffer_load_dword v3, v83, s[0:3], 0 offen offset:4
	buffer_load_dword v4, v83, s[0:3], 0 offen offset:8
	;; [unrolled: 1-line block ×3, first 2 shown]
	v_mov_b32_e32 v6, 0
	buffer_store_dword v6, off, s[0:3], 0 offset:112
	buffer_store_dword v6, off, s[0:3], 0 offset:116
	;; [unrolled: 1-line block ×4, first 2 shown]
	s_waitcnt vmcnt(4)
	ds_write_b128 v64, v[2:5]
.LBB16_101:
	s_or_b64 exec, exec, s[6:7]
	s_waitcnt lgkmcnt(0)
	; wave barrier
	s_waitcnt lgkmcnt(0)
	buffer_load_dword v16, off, s[0:3], 0 offset:136
	buffer_load_dword v17, off, s[0:3], 0 offset:140
	buffer_load_dword v70, off, s[0:3], 0 offset:152
	buffer_load_dword v71, off, s[0:3], 0 offset:156
	buffer_load_dword v96, off, s[0:3], 0 offset:168
	buffer_load_dword v97, off, s[0:3], 0 offset:172
	buffer_load_dword v99, off, s[0:3], 0 offset:204
	buffer_load_dword v98, off, s[0:3], 0 offset:200
	buffer_load_dword v101, off, s[0:3], 0 offset:196
	buffer_load_dword v100, off, s[0:3], 0 offset:192
	buffer_load_dword v103, off, s[0:3], 0 offset:188
	buffer_load_dword v102, off, s[0:3], 0 offset:184
	buffer_load_dword v105, off, s[0:3], 0 offset:236
	buffer_load_dword v104, off, s[0:3], 0 offset:232
	buffer_load_dword v107, off, s[0:3], 0 offset:228
	buffer_load_dword v106, off, s[0:3], 0 offset:224
	buffer_load_dword v109, off, s[0:3], 0 offset:220
	buffer_load_dword v108, off, s[0:3], 0 offset:216
	buffer_load_dword v110, off, s[0:3], 0 offset:264
	buffer_load_dword v112, off, s[0:3], 0 offset:256
	buffer_load_dword v115, off, s[0:3], 0 offset:252
	buffer_load_dword v114, off, s[0:3], 0 offset:248
	buffer_load_dword v111, off, s[0:3], 0 offset:268
	buffer_load_dword v116, off, s[0:3], 0 offset:128
	buffer_load_dword v117, off, s[0:3], 0 offset:132
	buffer_load_dword v118, off, s[0:3], 0 offset:144
	buffer_load_dword v119, off, s[0:3], 0 offset:148
	buffer_load_dword v120, off, s[0:3], 0 offset:160
	buffer_load_dword v121, off, s[0:3], 0 offset:164
	buffer_load_dword v123, off, s[0:3], 0 offset:180
	buffer_load_dword v122, off, s[0:3], 0 offset:176
	buffer_load_dword v125, off, s[0:3], 0 offset:212
	buffer_load_dword v124, off, s[0:3], 0 offset:208
	buffer_load_dword v127, off, s[0:3], 0 offset:244
	buffer_load_dword v126, off, s[0:3], 0 offset:240
	buffer_load_dword v113, off, s[0:3], 0 offset:260
	buffer_load_dword v128, off, s[0:3], 0 offset:112
	buffer_load_dword v129, off, s[0:3], 0 offset:116
	buffer_load_dword v130, off, s[0:3], 0 offset:120
	buffer_load_dword v131, off, s[0:3], 0 offset:124
	v_mov_b32_e32 v6, 0
	ds_read_b128 v[2:5], v6 offset:400
	ds_read_b128 v[8:11], v6 offset:416
	;; [unrolled: 1-line block ×9, first 2 shown]
	v_cmp_lt_u32_e32 vcc, 6, v87
	s_waitcnt vmcnt(38) lgkmcnt(8)
	v_mul_f64 v[132:133], v[2:3], v[16:17]
	v_mul_f64 v[16:17], v[4:5], v[16:17]
	s_waitcnt vmcnt(36) lgkmcnt(7)
	v_mul_f64 v[134:135], v[8:9], v[70:71]
	v_mul_f64 v[70:71], v[10:11], v[70:71]
	;; [unrolled: 3-line block ×3, first 2 shown]
	s_waitcnt vmcnt(32) lgkmcnt(4)
	v_mul_f64 v[140:141], v[56:57], v[98:99]
	s_waitcnt vmcnt(30)
	v_fmac_f64_e32 v[140:141], v[58:59], v[100:101]
	s_waitcnt vmcnt(28)
	v_mul_f64 v[138:139], v[52:53], v[102:103]
	v_mul_f64 v[102:103], v[54:55], v[102:103]
	s_waitcnt vmcnt(26) lgkmcnt(2)
	v_mul_f64 v[144:145], v[66:67], v[104:105]
	s_waitcnt vmcnt(24)
	v_fmac_f64_e32 v[144:145], v[68:69], v[106:107]
	s_waitcnt vmcnt(22)
	v_mul_f64 v[142:143], v[60:61], v[108:109]
	s_waitcnt vmcnt(18) lgkmcnt(1)
	v_mul_f64 v[146:147], v[88:89], v[114:115]
	s_waitcnt vmcnt(17) lgkmcnt(0)
	v_mul_f64 v[148:149], v[92:93], v[110:111]
	s_waitcnt vmcnt(15)
	v_fma_f64 v[2:3], v[2:3], v[116:117], -v[16:17]
	v_fmac_f64_e32 v[132:133], v[4:5], v[116:117]
	s_waitcnt vmcnt(13)
	v_fma_f64 v[4:5], v[8:9], v[118:119], -v[70:71]
	v_add_f64 v[2:3], v[2:3], 0
	s_waitcnt vmcnt(11)
	v_fma_f64 v[8:9], v[12:13], v[120:121], -v[96:97]
	v_add_f64 v[2:3], v[2:3], v[4:5]
	v_fmac_f64_e32 v[134:135], v[10:11], v[118:119]
	s_waitcnt vmcnt(9)
	v_fma_f64 v[10:11], v[52:53], v[122:123], -v[102:103]
	v_add_f64 v[2:3], v[2:3], v[8:9]
	v_mul_f64 v[8:9], v[58:59], v[98:99]
	v_add_f64 v[2:3], v[2:3], v[10:11]
	v_fma_f64 v[8:9], v[56:57], v[100:101], -v[8:9]
	v_add_f64 v[2:3], v[2:3], v[8:9]
	v_mul_f64 v[8:9], v[62:63], v[108:109]
	v_add_f64 v[12:13], v[132:133], 0
	s_waitcnt vmcnt(7)
	v_fma_f64 v[8:9], v[60:61], v[124:125], -v[8:9]
	v_fmac_f64_e32 v[136:137], v[14:15], v[120:121]
	v_add_f64 v[12:13], v[12:13], v[134:135]
	v_add_f64 v[2:3], v[2:3], v[8:9]
	v_mul_f64 v[8:9], v[68:69], v[104:105]
	v_fmac_f64_e32 v[138:139], v[54:55], v[122:123]
	v_add_f64 v[4:5], v[12:13], v[136:137]
	v_fma_f64 v[8:9], v[66:67], v[106:107], -v[8:9]
	v_add_f64 v[4:5], v[4:5], v[138:139]
	v_add_f64 v[2:3], v[2:3], v[8:9]
	v_mul_f64 v[8:9], v[90:91], v[114:115]
	v_fmac_f64_e32 v[142:143], v[62:63], v[124:125]
	v_add_f64 v[4:5], v[4:5], v[140:141]
	s_waitcnt vmcnt(5)
	v_fma_f64 v[8:9], v[88:89], v[126:127], -v[8:9]
	v_add_f64 v[4:5], v[4:5], v[142:143]
	v_add_f64 v[2:3], v[2:3], v[8:9]
	v_mul_f64 v[8:9], v[94:95], v[110:111]
	v_fmac_f64_e32 v[146:147], v[90:91], v[126:127]
	v_add_f64 v[4:5], v[4:5], v[144:145]
	s_waitcnt vmcnt(4)
	v_fma_f64 v[8:9], v[92:93], v[112:113], -v[8:9]
	v_fmac_f64_e32 v[148:149], v[94:95], v[112:113]
	v_add_f64 v[4:5], v[4:5], v[146:147]
	v_add_f64 v[2:3], v[2:3], v[8:9]
	;; [unrolled: 1-line block ×3, first 2 shown]
	s_waitcnt vmcnt(2)
	v_add_f64 v[2:3], v[128:129], -v[2:3]
	s_waitcnt vmcnt(0)
	v_add_f64 v[4:5], v[130:131], -v[4:5]
	buffer_store_dword v3, off, s[0:3], 0 offset:116
	buffer_store_dword v2, off, s[0:3], 0 offset:112
	;; [unrolled: 1-line block ×4, first 2 shown]
	s_and_saveexec_b64 s[6:7], vcc
	s_cbranch_execz .LBB16_103
; %bb.102:
	buffer_load_dword v2, v81, s[0:3], 0 offen
	buffer_load_dword v3, v81, s[0:3], 0 offen offset:4
	buffer_load_dword v4, v81, s[0:3], 0 offen offset:8
	;; [unrolled: 1-line block ×3, first 2 shown]
	s_nop 0
	buffer_store_dword v6, off, s[0:3], 0 offset:96
	buffer_store_dword v6, off, s[0:3], 0 offset:100
	;; [unrolled: 1-line block ×4, first 2 shown]
	s_waitcnt vmcnt(4)
	ds_write_b128 v64, v[2:5]
.LBB16_103:
	s_or_b64 exec, exec, s[6:7]
	s_waitcnt lgkmcnt(0)
	; wave barrier
	s_waitcnt lgkmcnt(0)
	buffer_load_dword v4, off, s[0:3], 0 offset:112
	buffer_load_dword v5, off, s[0:3], 0 offset:116
	;; [unrolled: 1-line block ×44, first 2 shown]
	ds_read_b128 v[8:11], v6 offset:384
	ds_read_b128 v[12:15], v6 offset:400
	ds_read_b128 v[52:55], v6 offset:416
	ds_read_b128 v[56:59], v6 offset:432
	ds_read_b128 v[60:63], v6 offset:448
	ds_read_b128 v[66:69], v6 offset:464
	ds_read_b128 v[88:91], v6 offset:480
	ds_read_b128 v[92:95], v6 offset:496
	ds_read_b128 v[96:99], v6 offset:512
	ds_read_b128 v[100:103], v6 offset:528
	v_cmp_lt_u32_e32 vcc, 5, v87
	s_waitcnt vmcnt(40) lgkmcnt(9)
	v_mul_f64 v[6:7], v[8:9], v[16:17]
	v_mul_f64 v[16:17], v[10:11], v[16:17]
	s_waitcnt vmcnt(38) lgkmcnt(8)
	v_mul_f64 v[140:141], v[12:13], v[70:71]
	v_mul_f64 v[70:71], v[14:15], v[70:71]
	v_fmac_f64_e32 v[6:7], v[10:11], v[4:5]
	v_fma_f64 v[4:5], v[8:9], v[4:5], -v[16:17]
	s_waitcnt vmcnt(36) lgkmcnt(7)
	v_mul_f64 v[142:143], v[52:53], v[2:3]
	v_add_f64 v[4:5], v[4:5], 0
	v_mul_f64 v[2:3], v[54:55], v[2:3]
	v_add_f64 v[6:7], v[6:7], 0
	s_waitcnt vmcnt(30) lgkmcnt(6)
	v_mul_f64 v[144:145], v[56:57], v[108:109]
	s_waitcnt lgkmcnt(5)
	v_mul_f64 v[146:147], v[60:61], v[104:105]
	v_fmac_f64_e32 v[146:147], v[62:63], v[106:107]
	s_waitcnt vmcnt(28) lgkmcnt(3)
	v_mul_f64 v[150:151], v[88:89], v[110:111]
	s_waitcnt vmcnt(26)
	v_fmac_f64_e32 v[150:151], v[90:91], v[112:113]
	s_waitcnt vmcnt(24)
	v_mul_f64 v[148:149], v[66:67], v[114:115]
	s_waitcnt vmcnt(22) lgkmcnt(1)
	v_mul_f64 v[154:155], v[96:97], v[116:117]
	s_waitcnt vmcnt(20)
	v_fmac_f64_e32 v[154:155], v[98:99], v[118:119]
	s_waitcnt vmcnt(18)
	v_mul_f64 v[152:153], v[92:93], v[120:121]
	s_waitcnt vmcnt(16) lgkmcnt(0)
	v_mul_f64 v[156:157], v[100:101], v[122:123]
	s_waitcnt vmcnt(14)
	v_fma_f64 v[8:9], v[12:13], v[124:125], -v[70:71]
	v_add_f64 v[4:5], v[4:5], v[8:9]
	s_waitcnt vmcnt(12)
	v_fma_f64 v[2:3], v[52:53], v[126:127], -v[2:3]
	v_add_f64 v[2:3], v[4:5], v[2:3]
	v_mul_f64 v[4:5], v[58:59], v[108:109]
	s_waitcnt vmcnt(10)
	v_fma_f64 v[4:5], v[56:57], v[128:129], -v[4:5]
	v_add_f64 v[2:3], v[2:3], v[4:5]
	v_mul_f64 v[4:5], v[62:63], v[104:105]
	v_fma_f64 v[4:5], v[60:61], v[106:107], -v[4:5]
	v_add_f64 v[2:3], v[2:3], v[4:5]
	v_mul_f64 v[4:5], v[68:69], v[114:115]
	s_waitcnt vmcnt(8)
	v_fma_f64 v[4:5], v[66:67], v[130:131], -v[4:5]
	v_fmac_f64_e32 v[140:141], v[14:15], v[124:125]
	v_add_f64 v[2:3], v[2:3], v[4:5]
	v_mul_f64 v[4:5], v[90:91], v[110:111]
	v_fmac_f64_e32 v[142:143], v[54:55], v[126:127]
	v_add_f64 v[6:7], v[6:7], v[140:141]
	v_fma_f64 v[4:5], v[88:89], v[112:113], -v[4:5]
	v_fmac_f64_e32 v[144:145], v[58:59], v[128:129]
	v_add_f64 v[6:7], v[6:7], v[142:143]
	v_add_f64 v[2:3], v[2:3], v[4:5]
	v_mul_f64 v[4:5], v[94:95], v[120:121]
	v_add_f64 v[6:7], v[6:7], v[144:145]
	s_waitcnt vmcnt(6)
	v_fma_f64 v[4:5], v[92:93], v[132:133], -v[4:5]
	v_fmac_f64_e32 v[148:149], v[68:69], v[130:131]
	v_add_f64 v[6:7], v[6:7], v[146:147]
	v_add_f64 v[2:3], v[2:3], v[4:5]
	v_mul_f64 v[4:5], v[98:99], v[116:117]
	v_add_f64 v[6:7], v[6:7], v[148:149]
	v_fma_f64 v[4:5], v[96:97], v[118:119], -v[4:5]
	v_fmac_f64_e32 v[152:153], v[94:95], v[132:133]
	v_add_f64 v[6:7], v[6:7], v[150:151]
	v_add_f64 v[2:3], v[2:3], v[4:5]
	v_mul_f64 v[4:5], v[102:103], v[122:123]
	v_add_f64 v[6:7], v[6:7], v[152:153]
	s_waitcnt vmcnt(4)
	v_fma_f64 v[4:5], v[100:101], v[134:135], -v[4:5]
	v_fmac_f64_e32 v[156:157], v[102:103], v[134:135]
	v_add_f64 v[6:7], v[6:7], v[154:155]
	v_add_f64 v[2:3], v[2:3], v[4:5]
	;; [unrolled: 1-line block ×3, first 2 shown]
	s_waitcnt vmcnt(2)
	v_add_f64 v[2:3], v[136:137], -v[2:3]
	s_waitcnt vmcnt(0)
	v_add_f64 v[4:5], v[138:139], -v[6:7]
	buffer_store_dword v3, off, s[0:3], 0 offset:100
	buffer_store_dword v2, off, s[0:3], 0 offset:96
	;; [unrolled: 1-line block ×4, first 2 shown]
	s_and_saveexec_b64 s[6:7], vcc
	s_cbranch_execz .LBB16_105
; %bb.104:
	buffer_load_dword v2, v82, s[0:3], 0 offen
	buffer_load_dword v3, v82, s[0:3], 0 offen offset:4
	buffer_load_dword v4, v82, s[0:3], 0 offen offset:8
	;; [unrolled: 1-line block ×3, first 2 shown]
	v_mov_b32_e32 v6, 0
	buffer_store_dword v6, off, s[0:3], 0 offset:80
	buffer_store_dword v6, off, s[0:3], 0 offset:84
	;; [unrolled: 1-line block ×4, first 2 shown]
	s_waitcnt vmcnt(4)
	ds_write_b128 v64, v[2:5]
.LBB16_105:
	s_or_b64 exec, exec, s[6:7]
	s_waitcnt lgkmcnt(0)
	; wave barrier
	s_waitcnt lgkmcnt(0)
	buffer_load_dword v2, off, s[0:3], 0 offset:96
	buffer_load_dword v3, off, s[0:3], 0 offset:100
	;; [unrolled: 1-line block ×48, first 2 shown]
	v_mov_b32_e32 v12, 0
	ds_read_b128 v[14:17], v12 offset:368
	ds_read_b128 v[52:55], v12 offset:384
	;; [unrolled: 1-line block ×11, first 2 shown]
	v_cmp_lt_u32_e32 vcc, 4, v87
	s_waitcnt vmcnt(44) lgkmcnt(10)
	v_mul_f64 v[148:149], v[14:15], v[6:7]
	v_mul_f64 v[6:7], v[16:17], v[6:7]
	v_fmac_f64_e32 v[148:149], v[16:17], v[2:3]
	v_fma_f64 v[2:3], v[14:15], v[2:3], -v[6:7]
	s_waitcnt vmcnt(40) lgkmcnt(9)
	v_mul_f64 v[150:151], v[52:53], v[8:9]
	v_mul_f64 v[6:7], v[54:55], v[8:9]
	v_fmac_f64_e32 v[150:151], v[54:55], v[4:5]
	v_add_f64 v[2:3], v[2:3], 0
	v_fma_f64 v[4:5], v[52:53], v[4:5], -v[6:7]
	v_add_f64 v[2:3], v[2:3], v[4:5]
	s_waitcnt vmcnt(38) lgkmcnt(8)
	v_mul_f64 v[4:5], v[58:59], v[10:11]
	v_mul_f64 v[152:153], v[56:57], v[10:11]
	v_add_f64 v[148:149], v[148:149], 0
	s_waitcnt vmcnt(32) lgkmcnt(7)
	v_mul_f64 v[154:155], v[60:61], v[114:115]
	v_add_f64 v[148:149], v[148:149], v[150:151]
	s_waitcnt lgkmcnt(6)
	v_mul_f64 v[156:157], v[66:67], v[70:71]
	v_fmac_f64_e32 v[156:157], v[68:69], v[112:113]
	s_waitcnt vmcnt(30) lgkmcnt(4)
	v_mul_f64 v[160:161], v[92:93], v[116:117]
	s_waitcnt vmcnt(26)
	v_mul_f64 v[158:159], v[88:89], v[120:121]
	v_fmac_f64_e32 v[160:161], v[94:95], v[118:119]
	s_waitcnt vmcnt(24) lgkmcnt(2)
	v_mul_f64 v[164:165], v[100:101], v[122:123]
	s_waitcnt vmcnt(22)
	v_fmac_f64_e32 v[164:165], v[102:103], v[124:125]
	s_waitcnt vmcnt(20)
	v_mul_f64 v[162:163], v[96:97], v[126:127]
	s_waitcnt vmcnt(16) lgkmcnt(1)
	v_mul_f64 v[166:167], v[104:105], v[132:133]
	s_waitcnt vmcnt(14)
	v_fma_f64 v[4:5], v[56:57], v[134:135], -v[4:5]
	v_add_f64 v[2:3], v[2:3], v[4:5]
	v_mul_f64 v[4:5], v[62:63], v[114:115]
	s_waitcnt vmcnt(12)
	v_fma_f64 v[4:5], v[60:61], v[136:137], -v[4:5]
	v_add_f64 v[2:3], v[2:3], v[4:5]
	v_mul_f64 v[4:5], v[68:69], v[70:71]
	v_fma_f64 v[4:5], v[66:67], v[112:113], -v[4:5]
	v_add_f64 v[2:3], v[2:3], v[4:5]
	v_mul_f64 v[4:5], v[90:91], v[120:121]
	s_waitcnt vmcnt(10)
	v_fma_f64 v[4:5], v[88:89], v[138:139], -v[4:5]
	v_add_f64 v[2:3], v[2:3], v[4:5]
	v_mul_f64 v[4:5], v[94:95], v[116:117]
	v_fma_f64 v[4:5], v[92:93], v[118:119], -v[4:5]
	v_fmac_f64_e32 v[152:153], v[58:59], v[134:135]
	v_add_f64 v[2:3], v[2:3], v[4:5]
	v_mul_f64 v[4:5], v[98:99], v[126:127]
	v_fmac_f64_e32 v[154:155], v[62:63], v[136:137]
	v_add_f64 v[148:149], v[148:149], v[152:153]
	s_waitcnt vmcnt(8)
	v_fma_f64 v[4:5], v[96:97], v[140:141], -v[4:5]
	v_add_f64 v[148:149], v[148:149], v[154:155]
	v_add_f64 v[2:3], v[2:3], v[4:5]
	v_mul_f64 v[4:5], v[102:103], v[122:123]
	v_fmac_f64_e32 v[158:159], v[90:91], v[138:139]
	v_add_f64 v[148:149], v[148:149], v[156:157]
	v_fma_f64 v[4:5], v[100:101], v[124:125], -v[4:5]
	v_add_f64 v[148:149], v[148:149], v[158:159]
	v_add_f64 v[2:3], v[2:3], v[4:5]
	v_mul_f64 v[4:5], v[106:107], v[132:133]
	v_fmac_f64_e32 v[162:163], v[98:99], v[140:141]
	v_add_f64 v[148:149], v[148:149], v[160:161]
	s_waitcnt vmcnt(6)
	v_fma_f64 v[4:5], v[104:105], v[142:143], -v[4:5]
	v_add_f64 v[148:149], v[148:149], v[162:163]
	v_add_f64 v[2:3], v[2:3], v[4:5]
	s_waitcnt vmcnt(5) lgkmcnt(0)
	v_mul_f64 v[4:5], v[110:111], v[128:129]
	v_fmac_f64_e32 v[166:167], v[106:107], v[142:143]
	v_add_f64 v[148:149], v[148:149], v[164:165]
	v_mul_f64 v[150:151], v[108:109], v[128:129]
	s_waitcnt vmcnt(4)
	v_fma_f64 v[4:5], v[108:109], v[130:131], -v[4:5]
	v_add_f64 v[148:149], v[148:149], v[166:167]
	v_fmac_f64_e32 v[150:151], v[110:111], v[130:131]
	v_add_f64 v[2:3], v[2:3], v[4:5]
	v_add_f64 v[148:149], v[148:149], v[150:151]
	s_waitcnt vmcnt(2)
	v_add_f64 v[2:3], v[144:145], -v[2:3]
	s_waitcnt vmcnt(0)
	v_add_f64 v[4:5], v[146:147], -v[148:149]
	buffer_store_dword v3, off, s[0:3], 0 offset:84
	buffer_store_dword v2, off, s[0:3], 0 offset:80
	buffer_store_dword v5, off, s[0:3], 0 offset:92
	buffer_store_dword v4, off, s[0:3], 0 offset:88
	s_and_saveexec_b64 s[6:7], vcc
	s_cbranch_execz .LBB16_107
; %bb.106:
	buffer_load_dword v2, v80, s[0:3], 0 offen
	buffer_load_dword v3, v80, s[0:3], 0 offen offset:4
	buffer_load_dword v4, v80, s[0:3], 0 offen offset:8
	;; [unrolled: 1-line block ×3, first 2 shown]
	s_nop 0
	buffer_store_dword v12, off, s[0:3], 0 offset:64
	buffer_store_dword v12, off, s[0:3], 0 offset:68
	;; [unrolled: 1-line block ×4, first 2 shown]
	s_waitcnt vmcnt(4)
	ds_write_b128 v64, v[2:5]
.LBB16_107:
	s_or_b64 exec, exec, s[6:7]
	s_waitcnt lgkmcnt(0)
	; wave barrier
	s_waitcnt lgkmcnt(0)
	buffer_load_dword v2, off, s[0:3], 0 offset:80
	buffer_load_dword v3, off, s[0:3], 0 offset:84
	;; [unrolled: 1-line block ×52, first 2 shown]
	ds_read_b128 v[14:17], v12 offset:352
	ds_read_b128 v[52:55], v12 offset:368
	;; [unrolled: 1-line block ×10, first 2 shown]
	v_cmp_lt_u32_e32 vcc, 3, v87
	s_waitcnt vmcnt(48) lgkmcnt(9)
	v_mul_f64 v[108:109], v[14:15], v[6:7]
	v_mul_f64 v[6:7], v[16:17], v[6:7]
	v_fmac_f64_e32 v[108:109], v[16:17], v[2:3]
	v_fma_f64 v[2:3], v[14:15], v[2:3], -v[6:7]
	s_waitcnt vmcnt(44) lgkmcnt(8)
	v_mul_f64 v[110:111], v[52:53], v[8:9]
	v_mul_f64 v[6:7], v[54:55], v[8:9]
	v_fmac_f64_e32 v[110:111], v[54:55], v[4:5]
	v_add_f64 v[2:3], v[2:3], 0
	v_fma_f64 v[4:5], v[52:53], v[4:5], -v[6:7]
	v_add_f64 v[2:3], v[2:3], v[4:5]
	s_waitcnt vmcnt(42) lgkmcnt(7)
	v_mul_f64 v[4:5], v[58:59], v[10:11]
	v_mul_f64 v[112:113], v[56:57], v[10:11]
	v_add_f64 v[108:109], v[108:109], 0
	s_waitcnt vmcnt(36) lgkmcnt(6)
	v_mul_f64 v[114:115], v[60:61], v[118:119]
	v_add_f64 v[108:109], v[108:109], v[110:111]
	s_waitcnt lgkmcnt(5)
	v_mul_f64 v[156:157], v[66:67], v[70:71]
	v_fmac_f64_e32 v[156:157], v[68:69], v[116:117]
	s_waitcnt vmcnt(34) lgkmcnt(3)
	v_mul_f64 v[160:161], v[92:93], v[120:121]
	s_waitcnt vmcnt(30)
	v_mul_f64 v[158:159], v[88:89], v[124:125]
	v_fmac_f64_e32 v[160:161], v[94:95], v[122:123]
	s_waitcnt vmcnt(26) lgkmcnt(2)
	v_mul_f64 v[162:163], v[96:97], v[130:131]
	s_waitcnt vmcnt(25) lgkmcnt(1)
	v_mul_f64 v[164:165], v[100:101], v[126:127]
	s_waitcnt vmcnt(23)
	v_fma_f64 v[4:5], v[56:57], v[132:133], -v[4:5]
	v_add_f64 v[2:3], v[2:3], v[4:5]
	v_mul_f64 v[4:5], v[62:63], v[118:119]
	s_waitcnt vmcnt(21)
	v_fma_f64 v[4:5], v[60:61], v[134:135], -v[4:5]
	v_fmac_f64_e32 v[112:113], v[58:59], v[132:133]
	v_add_f64 v[2:3], v[2:3], v[4:5]
	v_mul_f64 v[4:5], v[68:69], v[70:71]
	v_fmac_f64_e32 v[114:115], v[62:63], v[134:135]
	v_add_f64 v[108:109], v[108:109], v[112:113]
	v_fma_f64 v[4:5], v[66:67], v[116:117], -v[4:5]
	v_add_f64 v[108:109], v[108:109], v[114:115]
	v_add_f64 v[2:3], v[2:3], v[4:5]
	v_mul_f64 v[4:5], v[90:91], v[124:125]
	s_waitcnt vmcnt(19)
	v_fmac_f64_e32 v[158:159], v[90:91], v[136:137]
	v_add_f64 v[108:109], v[108:109], v[156:157]
	v_fma_f64 v[4:5], v[88:89], v[136:137], -v[4:5]
	v_add_f64 v[108:109], v[108:109], v[158:159]
	v_add_f64 v[2:3], v[2:3], v[4:5]
	v_mul_f64 v[4:5], v[94:95], v[120:121]
	s_waitcnt vmcnt(17)
	v_fmac_f64_e32 v[162:163], v[98:99], v[138:139]
	v_add_f64 v[108:109], v[108:109], v[160:161]
	v_fma_f64 v[4:5], v[92:93], v[122:123], -v[4:5]
	s_waitcnt vmcnt(16)
	v_fmac_f64_e32 v[164:165], v[102:103], v[128:129]
	v_add_f64 v[108:109], v[108:109], v[162:163]
	v_add_f64 v[2:3], v[2:3], v[4:5]
	v_mul_f64 v[4:5], v[98:99], v[130:131]
	v_add_f64 v[156:157], v[108:109], v[164:165]
	ds_read_b128 v[108:111], v12 offset:512
	ds_read_b128 v[112:115], v12 offset:528
	v_fma_f64 v[4:5], v[96:97], v[138:139], -v[4:5]
	v_add_f64 v[2:3], v[2:3], v[4:5]
	v_mul_f64 v[4:5], v[102:103], v[126:127]
	v_fma_f64 v[4:5], v[100:101], v[128:129], -v[4:5]
	v_add_f64 v[2:3], v[2:3], v[4:5]
	s_waitcnt vmcnt(12) lgkmcnt(2)
	v_mul_f64 v[4:5], v[106:107], v[144:145]
	v_mul_f64 v[158:159], v[104:105], v[144:145]
	s_waitcnt vmcnt(10)
	v_fma_f64 v[4:5], v[104:105], v[146:147], -v[4:5]
	v_fmac_f64_e32 v[158:159], v[106:107], v[146:147]
	v_add_f64 v[2:3], v[2:3], v[4:5]
	s_waitcnt vmcnt(8) lgkmcnt(1)
	v_mul_f64 v[4:5], v[110:111], v[140:141]
	v_add_f64 v[12:13], v[156:157], v[158:159]
	v_mul_f64 v[156:157], v[108:109], v[140:141]
	v_fma_f64 v[4:5], v[108:109], v[142:143], -v[4:5]
	v_fmac_f64_e32 v[156:157], v[110:111], v[142:143]
	v_add_f64 v[2:3], v[2:3], v[4:5]
	s_waitcnt vmcnt(6) lgkmcnt(0)
	v_mul_f64 v[4:5], v[114:115], v[148:149]
	v_add_f64 v[12:13], v[12:13], v[156:157]
	v_mul_f64 v[156:157], v[112:113], v[148:149]
	s_waitcnt vmcnt(4)
	v_fma_f64 v[4:5], v[112:113], v[150:151], -v[4:5]
	v_fmac_f64_e32 v[156:157], v[114:115], v[150:151]
	v_add_f64 v[2:3], v[2:3], v[4:5]
	v_add_f64 v[12:13], v[12:13], v[156:157]
	s_waitcnt vmcnt(2)
	v_add_f64 v[2:3], v[152:153], -v[2:3]
	s_waitcnt vmcnt(0)
	v_add_f64 v[4:5], v[154:155], -v[12:13]
	buffer_store_dword v3, off, s[0:3], 0 offset:68
	buffer_store_dword v2, off, s[0:3], 0 offset:64
	;; [unrolled: 1-line block ×4, first 2 shown]
	s_and_saveexec_b64 s[6:7], vcc
	s_cbranch_execz .LBB16_109
; %bb.108:
	buffer_load_dword v2, v86, s[0:3], 0 offen
	buffer_load_dword v3, v86, s[0:3], 0 offen offset:4
	buffer_load_dword v4, v86, s[0:3], 0 offen offset:8
	;; [unrolled: 1-line block ×3, first 2 shown]
	v_mov_b32_e32 v6, 0
	buffer_store_dword v6, off, s[0:3], 0 offset:48
	buffer_store_dword v6, off, s[0:3], 0 offset:52
	;; [unrolled: 1-line block ×4, first 2 shown]
	s_waitcnt vmcnt(4)
	ds_write_b128 v64, v[2:5]
.LBB16_109:
	s_or_b64 exec, exec, s[6:7]
	s_waitcnt lgkmcnt(0)
	; wave barrier
	s_waitcnt lgkmcnt(0)
	buffer_load_dword v2, off, s[0:3], 0 offset:64
	buffer_load_dword v3, off, s[0:3], 0 offset:68
	;; [unrolled: 1-line block ×56, first 2 shown]
	v_mov_b32_e32 v60, 0
	ds_read_b128 v[52:55], v60 offset:336
	ds_read_b128 v[56:59], v60 offset:352
	;; [unrolled: 1-line block ×9, first 2 shown]
	v_cmp_lt_u32_e32 vcc, 2, v87
	s_waitcnt vmcnt(52) lgkmcnt(8)
	v_mul_f64 v[108:109], v[52:53], v[6:7]
	v_fmac_f64_e32 v[108:109], v[54:55], v[2:3]
	v_mul_f64 v[6:7], v[54:55], v[6:7]
	v_add_f64 v[108:109], v[108:109], 0
	s_waitcnt vmcnt(48) lgkmcnt(7)
	v_mul_f64 v[110:111], v[56:57], v[8:9]
	v_fmac_f64_e32 v[110:111], v[58:59], v[4:5]
	s_waitcnt vmcnt(46) lgkmcnt(6)
	v_mul_f64 v[112:113], v[66:67], v[10:11]
	v_fma_f64 v[2:3], v[52:53], v[2:3], -v[6:7]
	v_mul_f64 v[6:7], v[58:59], v[8:9]
	v_add_f64 v[108:109], v[108:109], v[110:111]
	v_add_f64 v[2:3], v[2:3], 0
	v_fma_f64 v[4:5], v[56:57], v[4:5], -v[6:7]
	s_waitcnt vmcnt(40) lgkmcnt(5)
	v_mul_f64 v[114:115], v[88:89], v[16:17]
	s_waitcnt lgkmcnt(4)
	v_mul_f64 v[116:117], v[92:93], v[12:13]
	v_add_f64 v[2:3], v[2:3], v[4:5]
	v_mul_f64 v[4:5], v[68:69], v[10:11]
	s_waitcnt vmcnt(36) lgkmcnt(3)
	v_mul_f64 v[118:119], v[96:97], v[128:129]
	v_fmac_f64_e32 v[116:117], v[94:95], v[14:15]
	s_waitcnt vmcnt(35) lgkmcnt(2)
	v_mul_f64 v[120:121], v[100:101], v[62:63]
	s_waitcnt vmcnt(33)
	v_fmac_f64_e32 v[112:113], v[68:69], v[130:131]
	v_add_f64 v[108:109], v[108:109], v[112:113]
	s_waitcnt vmcnt(31)
	v_fmac_f64_e32 v[114:115], v[90:91], v[132:133]
	v_add_f64 v[108:109], v[108:109], v[114:115]
	v_fma_f64 v[4:5], v[66:67], v[130:131], -v[4:5]
	s_waitcnt vmcnt(29)
	v_fmac_f64_e32 v[118:119], v[98:99], v[134:135]
	v_add_f64 v[108:109], v[108:109], v[116:117]
	v_add_f64 v[2:3], v[2:3], v[4:5]
	v_mul_f64 v[4:5], v[90:91], v[16:17]
	s_waitcnt vmcnt(28)
	v_fmac_f64_e32 v[120:121], v[102:103], v[70:71]
	v_add_f64 v[108:109], v[108:109], v[118:119]
	v_fma_f64 v[4:5], v[88:89], v[132:133], -v[4:5]
	v_add_f64 v[112:113], v[108:109], v[120:121]
	ds_read_b128 v[108:111], v60 offset:464
	s_waitcnt vmcnt(24) lgkmcnt(2)
	v_mul_f64 v[114:115], v[104:105], v[140:141]
	v_add_f64 v[2:3], v[2:3], v[4:5]
	v_mul_f64 v[4:5], v[94:95], v[12:13]
	s_waitcnt vmcnt(22)
	v_fmac_f64_e32 v[114:115], v[106:107], v[142:143]
	v_fma_f64 v[4:5], v[92:93], v[14:15], -v[4:5]
	v_add_f64 v[116:117], v[112:113], v[114:115]
	ds_read_b128 v[112:115], v60 offset:480
	v_add_f64 v[2:3], v[2:3], v[4:5]
	v_mul_f64 v[4:5], v[98:99], v[128:129]
	v_fma_f64 v[4:5], v[96:97], v[134:135], -v[4:5]
	v_add_f64 v[2:3], v[2:3], v[4:5]
	v_mul_f64 v[4:5], v[102:103], v[62:63]
	s_waitcnt vmcnt(20) lgkmcnt(1)
	v_mul_f64 v[118:119], v[108:109], v[136:137]
	v_fma_f64 v[4:5], v[100:101], v[70:71], -v[4:5]
	v_fmac_f64_e32 v[118:119], v[110:111], v[138:139]
	v_add_f64 v[2:3], v[2:3], v[4:5]
	v_mul_f64 v[4:5], v[106:107], v[140:141]
	v_add_f64 v[120:121], v[116:117], v[118:119]
	ds_read_b128 v[116:119], v60 offset:496
	s_waitcnt vmcnt(16) lgkmcnt(1)
	v_mul_f64 v[122:123], v[112:113], v[148:149]
	v_fma_f64 v[4:5], v[104:105], v[142:143], -v[4:5]
	s_waitcnt vmcnt(14)
	v_fmac_f64_e32 v[122:123], v[114:115], v[150:151]
	v_add_f64 v[2:3], v[2:3], v[4:5]
	v_mul_f64 v[4:5], v[110:111], v[136:137]
	v_add_f64 v[164:165], v[120:121], v[122:123]
	ds_read_b128 v[120:123], v60 offset:512
	v_fma_f64 v[4:5], v[108:109], v[138:139], -v[4:5]
	v_add_f64 v[2:3], v[2:3], v[4:5]
	v_mul_f64 v[4:5], v[114:115], v[148:149]
	v_fma_f64 v[4:5], v[112:113], v[150:151], -v[4:5]
	v_add_f64 v[2:3], v[2:3], v[4:5]
	s_waitcnt vmcnt(12) lgkmcnt(1)
	v_mul_f64 v[4:5], v[118:119], v[144:145]
	v_mul_f64 v[166:167], v[116:117], v[144:145]
	v_fma_f64 v[4:5], v[116:117], v[146:147], -v[4:5]
	v_fmac_f64_e32 v[166:167], v[118:119], v[146:147]
	v_add_f64 v[2:3], v[2:3], v[4:5]
	s_waitcnt vmcnt(8) lgkmcnt(0)
	v_mul_f64 v[4:5], v[122:123], v[156:157]
	v_add_f64 v[164:165], v[164:165], v[166:167]
	v_mul_f64 v[166:167], v[120:121], v[156:157]
	s_waitcnt vmcnt(6)
	v_fma_f64 v[4:5], v[120:121], v[158:159], -v[4:5]
	v_fmac_f64_e32 v[166:167], v[122:123], v[158:159]
	v_add_f64 v[2:3], v[2:3], v[4:5]
	s_waitcnt vmcnt(5)
	v_mul_f64 v[4:5], v[126:127], v[152:153]
	v_add_f64 v[164:165], v[164:165], v[166:167]
	v_mul_f64 v[166:167], v[124:125], v[152:153]
	s_waitcnt vmcnt(4)
	v_fma_f64 v[4:5], v[124:125], v[154:155], -v[4:5]
	v_fmac_f64_e32 v[166:167], v[126:127], v[154:155]
	v_add_f64 v[2:3], v[2:3], v[4:5]
	v_add_f64 v[164:165], v[164:165], v[166:167]
	s_waitcnt vmcnt(2)
	v_add_f64 v[2:3], v[160:161], -v[2:3]
	s_waitcnt vmcnt(0)
	v_add_f64 v[4:5], v[162:163], -v[164:165]
	buffer_store_dword v3, off, s[0:3], 0 offset:52
	buffer_store_dword v2, off, s[0:3], 0 offset:48
	;; [unrolled: 1-line block ×4, first 2 shown]
	s_and_saveexec_b64 s[6:7], vcc
	s_cbranch_execz .LBB16_111
; %bb.110:
	buffer_load_dword v2, v84, s[0:3], 0 offen
	buffer_load_dword v3, v84, s[0:3], 0 offen offset:4
	buffer_load_dword v4, v84, s[0:3], 0 offen offset:8
	;; [unrolled: 1-line block ×3, first 2 shown]
	s_nop 0
	buffer_store_dword v60, off, s[0:3], 0 offset:32
	buffer_store_dword v60, off, s[0:3], 0 offset:36
	;; [unrolled: 1-line block ×4, first 2 shown]
	s_waitcnt vmcnt(4)
	ds_write_b128 v64, v[2:5]
.LBB16_111:
	s_or_b64 exec, exec, s[6:7]
	s_waitcnt lgkmcnt(0)
	; wave barrier
	s_waitcnt lgkmcnt(0)
	buffer_load_dword v2, off, s[0:3], 0 offset:48
	buffer_load_dword v3, off, s[0:3], 0 offset:52
	buffer_load_dword v6, off, s[0:3], 0 offset:56
	buffer_load_dword v7, off, s[0:3], 0 offset:60
	buffer_load_dword v4, off, s[0:3], 0 offset:64
	buffer_load_dword v5, off, s[0:3], 0 offset:68
	buffer_load_dword v8, off, s[0:3], 0 offset:72
	buffer_load_dword v9, off, s[0:3], 0 offset:76
	buffer_load_dword v10, off, s[0:3], 0 offset:88
	buffer_load_dword v11, off, s[0:3], 0 offset:92
	buffer_load_dword v13, off, s[0:3], 0 offset:124
	buffer_load_dword v12, off, s[0:3], 0 offset:120
	buffer_load_dword v15, off, s[0:3], 0 offset:116
	buffer_load_dword v14, off, s[0:3], 0 offset:112
	buffer_load_dword v17, off, s[0:3], 0 offset:108
	buffer_load_dword v16, off, s[0:3], 0 offset:104
	buffer_load_dword v53, off, s[0:3], 0 offset:140
	buffer_load_dword v52, off, s[0:3], 0 offset:136
	buffer_load_dword v70, off, s[0:3], 0 offset:80
	buffer_load_dword v71, off, s[0:3], 0 offset:84
	buffer_load_dword v137, off, s[0:3], 0 offset:100
	buffer_load_dword v136, off, s[0:3], 0 offset:96
	buffer_load_dword v59, off, s[0:3], 0 offset:132
	buffer_load_dword v58, off, s[0:3], 0 offset:128
	buffer_load_dword v54, off, s[0:3], 0 offset:152
	buffer_load_dword v56, off, s[0:3], 0 offset:144
	buffer_load_dword v57, off, s[0:3], 0 offset:148
	buffer_load_dword v55, off, s[0:3], 0 offset:156
	buffer_load_dword v138, off, s[0:3], 0 offset:184
	buffer_load_dword v141, off, s[0:3], 0 offset:172
	buffer_load_dword v140, off, s[0:3], 0 offset:168
	buffer_load_dword v143, off, s[0:3], 0 offset:164
	buffer_load_dword v142, off, s[0:3], 0 offset:160
	buffer_load_dword v144, off, s[0:3], 0 offset:176
	buffer_load_dword v145, off, s[0:3], 0 offset:180
	buffer_load_dword v139, off, s[0:3], 0 offset:188
	buffer_load_dword v146, off, s[0:3], 0 offset:216
	buffer_load_dword v149, off, s[0:3], 0 offset:204
	buffer_load_dword v148, off, s[0:3], 0 offset:200
	buffer_load_dword v151, off, s[0:3], 0 offset:196
	buffer_load_dword v150, off, s[0:3], 0 offset:192
	buffer_load_dword v152, off, s[0:3], 0 offset:208
	buffer_load_dword v153, off, s[0:3], 0 offset:212
	buffer_load_dword v147, off, s[0:3], 0 offset:220
	buffer_load_dword v154, off, s[0:3], 0 offset:248
	buffer_load_dword v157, off, s[0:3], 0 offset:236
	buffer_load_dword v156, off, s[0:3], 0 offset:232
	buffer_load_dword v159, off, s[0:3], 0 offset:228
	buffer_load_dword v158, off, s[0:3], 0 offset:224
	buffer_load_dword v160, off, s[0:3], 0 offset:240
	buffer_load_dword v161, off, s[0:3], 0 offset:244
	buffer_load_dword v155, off, s[0:3], 0 offset:252
	buffer_load_dword v163, off, s[0:3], 0 offset:268
	buffer_load_dword v162, off, s[0:3], 0 offset:264
	buffer_load_dword v165, off, s[0:3], 0 offset:260
	buffer_load_dword v164, off, s[0:3], 0 offset:256
	buffer_load_dword v166, off, s[0:3], 0 offset:32
	buffer_load_dword v167, off, s[0:3], 0 offset:36
	buffer_load_dword v168, off, s[0:3], 0 offset:40
	buffer_load_dword v169, off, s[0:3], 0 offset:44
	ds_read_b128 v[66:69], v60 offset:320
	ds_read_b128 v[88:91], v60 offset:336
	;; [unrolled: 1-line block ×8, first 2 shown]
	v_cmp_lt_u32_e32 vcc, 1, v87
	s_waitcnt vmcnt(56) lgkmcnt(7)
	v_mul_f64 v[62:63], v[66:67], v[6:7]
	v_fmac_f64_e32 v[62:63], v[68:69], v[2:3]
	v_add_f64 v[62:63], v[62:63], 0
	v_mul_f64 v[6:7], v[68:69], v[6:7]
	s_waitcnt vmcnt(52) lgkmcnt(6)
	v_mul_f64 v[116:117], v[88:89], v[8:9]
	v_fmac_f64_e32 v[116:117], v[90:91], v[4:5]
	s_waitcnt vmcnt(50) lgkmcnt(5)
	v_mul_f64 v[118:119], v[92:93], v[10:11]
	v_add_f64 v[62:63], v[62:63], v[116:117]
	s_waitcnt vmcnt(48) lgkmcnt(3)
	v_mul_f64 v[122:123], v[100:101], v[12:13]
	v_fma_f64 v[2:3], v[66:67], v[2:3], -v[6:7]
	s_waitcnt vmcnt(46)
	v_fmac_f64_e32 v[122:123], v[102:103], v[14:15]
	v_mul_f64 v[6:7], v[90:91], v[8:9]
	s_waitcnt vmcnt(44)
	v_mul_f64 v[120:121], v[96:97], v[16:17]
	v_add_f64 v[2:3], v[2:3], 0
	s_waitcnt vmcnt(42) lgkmcnt(2)
	v_mul_f64 v[124:125], v[104:105], v[52:53]
	v_fma_f64 v[4:5], v[88:89], v[4:5], -v[6:7]
	s_waitcnt vmcnt(40)
	v_fmac_f64_e32 v[118:119], v[94:95], v[70:71]
	v_add_f64 v[62:63], v[62:63], v[118:119]
	s_waitcnt vmcnt(38)
	v_fmac_f64_e32 v[120:121], v[98:99], v[136:137]
	v_add_f64 v[62:63], v[62:63], v[120:121]
	;; [unrolled: 3-line block ×3, first 2 shown]
	v_add_f64 v[62:63], v[62:63], v[124:125]
	v_add_f64 v[2:3], v[2:3], v[4:5]
	s_waitcnt vmcnt(32) lgkmcnt(1)
	v_mul_f64 v[116:117], v[108:109], v[54:55]
	v_fmac_f64_e32 v[116:117], v[110:111], v[56:57]
	v_mul_f64 v[4:5], v[94:95], v[10:11]
	v_add_f64 v[62:63], v[62:63], v[116:117]
	ds_read_b128 v[116:119], v60 offset:448
	v_fma_f64 v[4:5], v[92:93], v[70:71], -v[4:5]
	v_add_f64 v[2:3], v[2:3], v[4:5]
	v_mul_f64 v[4:5], v[98:99], v[16:17]
	v_fma_f64 v[4:5], v[96:97], v[136:137], -v[4:5]
	s_waitcnt vmcnt(29) lgkmcnt(1)
	v_mul_f64 v[120:121], v[112:113], v[140:141]
	v_add_f64 v[2:3], v[2:3], v[4:5]
	v_mul_f64 v[4:5], v[102:103], v[12:13]
	s_waitcnt vmcnt(27)
	v_fmac_f64_e32 v[120:121], v[114:115], v[142:143]
	v_fma_f64 v[4:5], v[100:101], v[14:15], -v[4:5]
	v_add_f64 v[62:63], v[62:63], v[120:121]
	ds_read_b128 v[120:123], v60 offset:464
	s_waitcnt vmcnt(24) lgkmcnt(1)
	v_mul_f64 v[124:125], v[116:117], v[138:139]
	v_add_f64 v[2:3], v[2:3], v[4:5]
	v_mul_f64 v[4:5], v[106:107], v[52:53]
	v_fmac_f64_e32 v[124:125], v[118:119], v[144:145]
	v_fma_f64 v[4:5], v[104:105], v[58:59], -v[4:5]
	v_add_f64 v[62:63], v[62:63], v[124:125]
	ds_read_b128 v[124:127], v60 offset:480
	v_add_f64 v[2:3], v[2:3], v[4:5]
	v_mul_f64 v[4:5], v[110:111], v[54:55]
	v_fma_f64 v[4:5], v[108:109], v[56:57], -v[4:5]
	v_add_f64 v[2:3], v[2:3], v[4:5]
	v_mul_f64 v[4:5], v[114:115], v[140:141]
	s_waitcnt vmcnt(21) lgkmcnt(1)
	v_mul_f64 v[128:129], v[120:121], v[148:149]
	v_fma_f64 v[4:5], v[112:113], v[142:143], -v[4:5]
	s_waitcnt vmcnt(19)
	v_fmac_f64_e32 v[128:129], v[122:123], v[150:151]
	v_add_f64 v[2:3], v[2:3], v[4:5]
	v_mul_f64 v[4:5], v[118:119], v[138:139]
	v_add_f64 v[62:63], v[62:63], v[128:129]
	ds_read_b128 v[128:131], v60 offset:496
	s_waitcnt vmcnt(16) lgkmcnt(1)
	v_mul_f64 v[132:133], v[124:125], v[146:147]
	v_fma_f64 v[4:5], v[116:117], v[144:145], -v[4:5]
	v_fmac_f64_e32 v[132:133], v[126:127], v[152:153]
	v_add_f64 v[2:3], v[2:3], v[4:5]
	v_mul_f64 v[4:5], v[122:123], v[148:149]
	v_add_f64 v[170:171], v[62:63], v[132:133]
	ds_read_b128 v[132:135], v60 offset:512
	v_fma_f64 v[4:5], v[120:121], v[150:151], -v[4:5]
	v_add_f64 v[2:3], v[2:3], v[4:5]
	v_mul_f64 v[4:5], v[126:127], v[146:147]
	ds_read_b128 v[60:63], v60 offset:528
	v_fma_f64 v[4:5], v[124:125], v[152:153], -v[4:5]
	v_add_f64 v[2:3], v[2:3], v[4:5]
	s_waitcnt vmcnt(13) lgkmcnt(2)
	v_mul_f64 v[4:5], v[130:131], v[156:157]
	v_mul_f64 v[172:173], v[128:129], v[156:157]
	s_waitcnt vmcnt(11)
	v_fma_f64 v[4:5], v[128:129], v[158:159], -v[4:5]
	v_fmac_f64_e32 v[172:173], v[130:131], v[158:159]
	v_add_f64 v[2:3], v[2:3], v[4:5]
	s_waitcnt vmcnt(8) lgkmcnt(1)
	v_mul_f64 v[4:5], v[134:135], v[154:155]
	v_add_f64 v[170:171], v[170:171], v[172:173]
	v_mul_f64 v[172:173], v[132:133], v[154:155]
	v_fma_f64 v[4:5], v[132:133], v[160:161], -v[4:5]
	v_fmac_f64_e32 v[172:173], v[134:135], v[160:161]
	v_add_f64 v[2:3], v[2:3], v[4:5]
	s_waitcnt vmcnt(6) lgkmcnt(0)
	v_mul_f64 v[4:5], v[62:63], v[162:163]
	v_add_f64 v[170:171], v[170:171], v[172:173]
	v_mul_f64 v[172:173], v[60:61], v[162:163]
	s_waitcnt vmcnt(4)
	v_fma_f64 v[4:5], v[60:61], v[164:165], -v[4:5]
	v_fmac_f64_e32 v[172:173], v[62:63], v[164:165]
	v_add_f64 v[2:3], v[2:3], v[4:5]
	v_add_f64 v[170:171], v[170:171], v[172:173]
	s_waitcnt vmcnt(2)
	v_add_f64 v[2:3], v[166:167], -v[2:3]
	s_waitcnt vmcnt(0)
	v_add_f64 v[4:5], v[168:169], -v[170:171]
	buffer_store_dword v3, off, s[0:3], 0 offset:36
	buffer_store_dword v2, off, s[0:3], 0 offset:32
	;; [unrolled: 1-line block ×4, first 2 shown]
	s_and_saveexec_b64 s[6:7], vcc
	s_cbranch_execz .LBB16_113
; %bb.112:
	buffer_load_dword v2, v85, s[0:3], 0 offen
	buffer_load_dword v3, v85, s[0:3], 0 offen offset:4
	buffer_load_dword v4, v85, s[0:3], 0 offen offset:8
	;; [unrolled: 1-line block ×3, first 2 shown]
	v_mov_b32_e32 v6, 0
	buffer_store_dword v6, off, s[0:3], 0 offset:16
	buffer_store_dword v6, off, s[0:3], 0 offset:20
	;; [unrolled: 1-line block ×4, first 2 shown]
	s_waitcnt vmcnt(4)
	ds_write_b128 v64, v[2:5]
.LBB16_113:
	s_or_b64 exec, exec, s[6:7]
	s_waitcnt lgkmcnt(0)
	; wave barrier
	s_waitcnt lgkmcnt(0)
	buffer_load_dword v2, off, s[0:3], 0 offset:32
	buffer_load_dword v3, off, s[0:3], 0 offset:36
	;; [unrolled: 1-line block ×64, first 2 shown]
	v_mov_b32_e32 v88, 0
	ds_read_b128 v[66:69], v88 offset:304
	ds_read_b128 v[90:93], v88 offset:320
	;; [unrolled: 1-line block ×7, first 2 shown]
	v_cmp_ne_u32_e32 vcc, 0, v87
	s_waitcnt vmcnt(60) lgkmcnt(6)
	v_mul_f64 v[110:111], v[66:67], v[6:7]
	v_fmac_f64_e32 v[110:111], v[68:69], v[2:3]
	v_add_f64 v[110:111], v[110:111], 0
	v_mul_f64 v[6:7], v[68:69], v[6:7]
	s_waitcnt vmcnt(56) lgkmcnt(5)
	v_mul_f64 v[112:113], v[90:91], v[8:9]
	v_fmac_f64_e32 v[112:113], v[92:93], v[4:5]
	s_waitcnt vmcnt(54) lgkmcnt(4)
	v_mul_f64 v[114:115], v[94:95], v[10:11]
	v_add_f64 v[110:111], v[110:111], v[112:113]
	v_fma_f64 v[2:3], v[66:67], v[2:3], -v[6:7]
	v_mul_f64 v[6:7], v[92:93], v[8:9]
	s_waitcnt vmcnt(50) lgkmcnt(3)
	v_mul_f64 v[116:117], v[98:99], v[16:17]
	s_waitcnt vmcnt(49) lgkmcnt(2)
	v_mul_f64 v[118:119], v[102:103], v[12:13]
	v_add_f64 v[2:3], v[2:3], 0
	s_waitcnt vmcnt(47)
	v_fmac_f64_e32 v[114:115], v[96:97], v[54:55]
	v_add_f64 v[110:111], v[110:111], v[114:115]
	s_waitcnt vmcnt(45)
	v_fmac_f64_e32 v[116:117], v[100:101], v[52:53]
	;; [unrolled: 3-line block ×3, first 2 shown]
	v_add_f64 v[114:115], v[110:111], v[118:119]
	ds_read_b128 v[110:113], v88 offset:400
	s_waitcnt vmcnt(40) lgkmcnt(2)
	v_mul_f64 v[116:117], v[106:107], v[60:61]
	v_fma_f64 v[4:5], v[90:91], v[4:5], -v[6:7]
	s_waitcnt vmcnt(38)
	v_fmac_f64_e32 v[116:117], v[108:109], v[62:63]
	v_add_f64 v[118:119], v[114:115], v[116:117]
	ds_read_b128 v[114:117], v88 offset:416
	s_waitcnt vmcnt(36) lgkmcnt(1)
	v_mul_f64 v[120:121], v[110:111], v[56:57]
	v_fmac_f64_e32 v[120:121], v[112:113], v[58:59]
	v_add_f64 v[2:3], v[2:3], v[4:5]
	v_mul_f64 v[4:5], v[96:97], v[10:11]
	v_add_f64 v[122:123], v[118:119], v[120:121]
	ds_read_b128 v[118:121], v88 offset:432
	s_waitcnt vmcnt(32) lgkmcnt(1)
	v_mul_f64 v[124:125], v[114:115], v[148:149]
	v_fma_f64 v[4:5], v[94:95], v[54:55], -v[4:5]
	s_waitcnt vmcnt(30)
	v_fmac_f64_e32 v[124:125], v[116:117], v[150:151]
	v_add_f64 v[2:3], v[2:3], v[4:5]
	v_mul_f64 v[4:5], v[100:101], v[16:17]
	v_add_f64 v[126:127], v[122:123], v[124:125]
	ds_read_b128 v[122:125], v88 offset:448
	v_fma_f64 v[4:5], v[98:99], v[52:53], -v[4:5]
	v_add_f64 v[2:3], v[2:3], v[4:5]
	v_mul_f64 v[4:5], v[104:105], v[12:13]
	v_fma_f64 v[4:5], v[102:103], v[14:15], -v[4:5]
	s_waitcnt vmcnt(28) lgkmcnt(1)
	v_mul_f64 v[128:129], v[118:119], v[70:71]
	v_add_f64 v[2:3], v[2:3], v[4:5]
	v_mul_f64 v[4:5], v[108:109], v[60:61]
	v_fmac_f64_e32 v[128:129], v[120:121], v[146:147]
	v_fma_f64 v[4:5], v[106:107], v[62:63], -v[4:5]
	v_add_f64 v[130:131], v[126:127], v[128:129]
	ds_read_b128 v[126:129], v88 offset:464
	s_waitcnt vmcnt(24) lgkmcnt(1)
	v_mul_f64 v[132:133], v[122:123], v[156:157]
	v_add_f64 v[2:3], v[2:3], v[4:5]
	v_mul_f64 v[4:5], v[112:113], v[56:57]
	s_waitcnt vmcnt(22)
	v_fmac_f64_e32 v[132:133], v[124:125], v[158:159]
	v_fma_f64 v[4:5], v[110:111], v[58:59], -v[4:5]
	v_add_f64 v[134:135], v[130:131], v[132:133]
	ds_read_b128 v[130:133], v88 offset:480
	v_add_f64 v[2:3], v[2:3], v[4:5]
	v_mul_f64 v[4:5], v[116:117], v[148:149]
	v_fma_f64 v[4:5], v[114:115], v[150:151], -v[4:5]
	v_add_f64 v[2:3], v[2:3], v[4:5]
	v_mul_f64 v[4:5], v[120:121], v[70:71]
	s_waitcnt vmcnt(20) lgkmcnt(1)
	v_mul_f64 v[136:137], v[126:127], v[152:153]
	v_fma_f64 v[4:5], v[118:119], v[146:147], -v[4:5]
	v_fmac_f64_e32 v[136:137], v[128:129], v[154:155]
	v_add_f64 v[2:3], v[2:3], v[4:5]
	v_mul_f64 v[4:5], v[124:125], v[156:157]
	v_add_f64 v[138:139], v[134:135], v[136:137]
	ds_read_b128 v[134:137], v88 offset:496
	s_waitcnt vmcnt(16) lgkmcnt(1)
	v_mul_f64 v[140:141], v[130:131], v[164:165]
	v_fma_f64 v[4:5], v[122:123], v[158:159], -v[4:5]
	s_waitcnt vmcnt(14)
	v_fmac_f64_e32 v[140:141], v[132:133], v[166:167]
	v_add_f64 v[2:3], v[2:3], v[4:5]
	v_mul_f64 v[4:5], v[128:129], v[152:153]
	v_add_f64 v[180:181], v[138:139], v[140:141]
	ds_read_b128 v[138:141], v88 offset:512
	v_fma_f64 v[4:5], v[126:127], v[154:155], -v[4:5]
	v_add_f64 v[2:3], v[2:3], v[4:5]
	v_mul_f64 v[4:5], v[132:133], v[164:165]
	v_fma_f64 v[4:5], v[130:131], v[166:167], -v[4:5]
	v_add_f64 v[2:3], v[2:3], v[4:5]
	s_waitcnt vmcnt(12) lgkmcnt(1)
	v_mul_f64 v[4:5], v[136:137], v[160:161]
	v_mul_f64 v[182:183], v[134:135], v[160:161]
	v_fma_f64 v[4:5], v[134:135], v[162:163], -v[4:5]
	v_fmac_f64_e32 v[182:183], v[136:137], v[162:163]
	v_add_f64 v[2:3], v[2:3], v[4:5]
	s_waitcnt vmcnt(8) lgkmcnt(0)
	v_mul_f64 v[4:5], v[140:141], v[172:173]
	v_add_f64 v[180:181], v[180:181], v[182:183]
	v_mul_f64 v[182:183], v[138:139], v[172:173]
	s_waitcnt vmcnt(6)
	v_fma_f64 v[4:5], v[138:139], v[174:175], -v[4:5]
	v_fmac_f64_e32 v[182:183], v[140:141], v[174:175]
	v_add_f64 v[2:3], v[2:3], v[4:5]
	s_waitcnt vmcnt(5)
	v_mul_f64 v[4:5], v[144:145], v[168:169]
	v_add_f64 v[180:181], v[180:181], v[182:183]
	v_mul_f64 v[182:183], v[142:143], v[168:169]
	s_waitcnt vmcnt(4)
	v_fma_f64 v[4:5], v[142:143], v[170:171], -v[4:5]
	v_fmac_f64_e32 v[182:183], v[144:145], v[170:171]
	v_add_f64 v[2:3], v[2:3], v[4:5]
	v_add_f64 v[180:181], v[180:181], v[182:183]
	s_waitcnt vmcnt(2)
	v_add_f64 v[2:3], v[176:177], -v[2:3]
	s_waitcnt vmcnt(0)
	v_add_f64 v[4:5], v[178:179], -v[180:181]
	buffer_store_dword v3, off, s[0:3], 0 offset:20
	buffer_store_dword v2, off, s[0:3], 0 offset:16
	;; [unrolled: 1-line block ×4, first 2 shown]
	s_and_saveexec_b64 s[6:7], vcc
	s_cbranch_execz .LBB16_115
; %bb.114:
	buffer_load_dword v2, off, s[0:3], 0
	buffer_load_dword v3, off, s[0:3], 0 offset:4
	buffer_load_dword v4, off, s[0:3], 0 offset:8
	;; [unrolled: 1-line block ×3, first 2 shown]
	s_nop 0
	buffer_store_dword v88, off, s[0:3], 0
	buffer_store_dword v88, off, s[0:3], 0 offset:4
	buffer_store_dword v88, off, s[0:3], 0 offset:8
	;; [unrolled: 1-line block ×3, first 2 shown]
	s_waitcnt vmcnt(4)
	ds_write_b128 v64, v[2:5]
.LBB16_115:
	s_or_b64 exec, exec, s[6:7]
	s_waitcnt lgkmcnt(0)
	; wave barrier
	s_waitcnt lgkmcnt(0)
	buffer_load_dword v2, off, s[0:3], 0 offset:16
	buffer_load_dword v3, off, s[0:3], 0 offset:20
	;; [unrolled: 1-line block ×64, first 2 shown]
	ds_read_b128 v[90:93], v88 offset:288
	ds_read_b128 v[94:97], v88 offset:304
	;; [unrolled: 1-line block ×4, first 2 shown]
	buffer_load_dword v182, off, s[0:3], 0
	buffer_load_dword v183, off, s[0:3], 0 offset:4
	buffer_load_dword v184, off, s[0:3], 0 offset:8
	;; [unrolled: 1-line block ×3, first 2 shown]
	s_and_b64 vcc, exec, s[26:27]
	ds_read_b128 v[150:153], v88 offset:528
	s_waitcnt vmcnt(62) lgkmcnt(4)
	v_mul_f64 v[106:107], v[90:91], v[4:5]
	v_fmac_f64_e32 v[106:107], v[92:93], v[2:3]
	s_waitcnt lgkmcnt(3)
	v_mul_f64 v[108:109], v[94:95], v[6:7]
	v_add_f64 v[106:107], v[106:107], 0
	s_waitcnt vmcnt(60) lgkmcnt(2)
	v_mul_f64 v[110:111], v[98:99], v[8:9]
	v_mul_f64 v[4:5], v[92:93], v[4:5]
	v_fma_f64 v[2:3], v[90:91], v[2:3], -v[4:5]
	v_mul_f64 v[4:5], v[96:97], v[6:7]
	s_waitcnt vmcnt(56) lgkmcnt(1)
	v_mul_f64 v[112:113], v[102:103], v[14:15]
	v_add_f64 v[2:3], v[2:3], 0
	s_waitcnt vmcnt(54)
	v_fmac_f64_e32 v[108:109], v[96:97], v[54:55]
	v_add_f64 v[114:115], v[106:107], v[108:109]
	ds_read_b128 v[106:109], v88 offset:352
	s_waitcnt vmcnt(52)
	v_fmac_f64_e32 v[110:111], v[100:101], v[52:53]
	v_add_f64 v[110:111], v[114:115], v[110:111]
	s_waitcnt vmcnt(50)
	v_fmac_f64_e32 v[112:113], v[104:105], v[16:17]
	v_add_f64 v[114:115], v[110:111], v[112:113]
	ds_read_b128 v[110:113], v88 offset:368
	s_waitcnt vmcnt(48) lgkmcnt(1)
	v_mul_f64 v[116:117], v[106:107], v[10:11]
	v_fmac_f64_e32 v[116:117], v[108:109], v[12:13]
	v_add_f64 v[118:119], v[114:115], v[116:117]
	ds_read_b128 v[114:117], v88 offset:384
	s_waitcnt vmcnt(44) lgkmcnt(1)
	v_mul_f64 v[120:121], v[110:111], v[60:61]
	s_waitcnt vmcnt(42)
	v_fmac_f64_e32 v[120:121], v[112:113], v[62:63]
	v_add_f64 v[122:123], v[118:119], v[120:121]
	ds_read_b128 v[118:121], v88 offset:400
	s_waitcnt vmcnt(40) lgkmcnt(1)
	v_mul_f64 v[124:125], v[114:115], v[56:57]
	v_fmac_f64_e32 v[124:125], v[116:117], v[58:59]
	v_add_f64 v[126:127], v[122:123], v[124:125]
	ds_read_b128 v[122:125], v88 offset:416
	v_fma_f64 v[4:5], v[94:95], v[54:55], -v[4:5]
	v_add_f64 v[2:3], v[2:3], v[4:5]
	v_mul_f64 v[4:5], v[100:101], v[8:9]
	s_waitcnt vmcnt(36) lgkmcnt(1)
	v_mul_f64 v[128:129], v[118:119], v[68:69]
	v_fma_f64 v[4:5], v[98:99], v[52:53], -v[4:5]
	s_waitcnt vmcnt(34)
	v_fmac_f64_e32 v[128:129], v[120:121], v[70:71]
	v_add_f64 v[2:3], v[2:3], v[4:5]
	v_mul_f64 v[4:5], v[104:105], v[14:15]
	v_add_f64 v[130:131], v[126:127], v[128:129]
	ds_read_b128 v[126:129], v88 offset:432
	s_waitcnt vmcnt(32) lgkmcnt(1)
	v_mul_f64 v[132:133], v[122:123], v[64:65]
	v_fma_f64 v[4:5], v[102:103], v[16:17], -v[4:5]
	v_fmac_f64_e32 v[132:133], v[124:125], v[66:67]
	v_add_f64 v[2:3], v[2:3], v[4:5]
	v_mul_f64 v[4:5], v[108:109], v[10:11]
	v_add_f64 v[134:135], v[130:131], v[132:133]
	ds_read_b128 v[130:133], v88 offset:448
	v_fma_f64 v[4:5], v[106:107], v[12:13], -v[4:5]
	v_add_f64 v[2:3], v[2:3], v[4:5]
	v_mul_f64 v[4:5], v[112:113], v[60:61]
	v_fma_f64 v[4:5], v[110:111], v[62:63], -v[4:5]
	s_waitcnt vmcnt(28) lgkmcnt(1)
	v_mul_f64 v[136:137], v[126:127], v[158:159]
	v_add_f64 v[2:3], v[2:3], v[4:5]
	v_mul_f64 v[4:5], v[116:117], v[56:57]
	s_waitcnt vmcnt(26)
	v_fmac_f64_e32 v[136:137], v[128:129], v[160:161]
	v_fma_f64 v[4:5], v[114:115], v[58:59], -v[4:5]
	v_add_f64 v[138:139], v[134:135], v[136:137]
	ds_read_b128 v[134:137], v88 offset:464
	s_waitcnt vmcnt(24) lgkmcnt(1)
	v_mul_f64 v[140:141], v[130:131], v[154:155]
	v_add_f64 v[2:3], v[2:3], v[4:5]
	v_mul_f64 v[4:5], v[120:121], v[68:69]
	v_fmac_f64_e32 v[140:141], v[132:133], v[156:157]
	v_fma_f64 v[4:5], v[118:119], v[70:71], -v[4:5]
	v_add_f64 v[142:143], v[138:139], v[140:141]
	ds_read_b128 v[138:141], v88 offset:480
	v_add_f64 v[2:3], v[2:3], v[4:5]
	v_mul_f64 v[4:5], v[124:125], v[64:65]
	v_fma_f64 v[4:5], v[122:123], v[66:67], -v[4:5]
	v_add_f64 v[2:3], v[2:3], v[4:5]
	v_mul_f64 v[4:5], v[128:129], v[158:159]
	s_waitcnt vmcnt(20) lgkmcnt(1)
	v_mul_f64 v[144:145], v[134:135], v[166:167]
	v_fma_f64 v[4:5], v[126:127], v[160:161], -v[4:5]
	s_waitcnt vmcnt(18)
	v_fmac_f64_e32 v[144:145], v[136:137], v[168:169]
	v_add_f64 v[2:3], v[2:3], v[4:5]
	v_mul_f64 v[4:5], v[132:133], v[154:155]
	v_add_f64 v[146:147], v[142:143], v[144:145]
	ds_read_b128 v[142:145], v88 offset:496
	s_waitcnt vmcnt(16) lgkmcnt(1)
	v_mul_f64 v[148:149], v[138:139], v[162:163]
	v_fma_f64 v[4:5], v[130:131], v[156:157], -v[4:5]
	v_fmac_f64_e32 v[148:149], v[140:141], v[164:165]
	v_add_f64 v[2:3], v[2:3], v[4:5]
	v_mul_f64 v[4:5], v[136:137], v[166:167]
	v_add_f64 v[186:187], v[146:147], v[148:149]
	ds_read_b128 v[146:149], v88 offset:512
	v_fma_f64 v[4:5], v[134:135], v[168:169], -v[4:5]
	v_add_f64 v[2:3], v[2:3], v[4:5]
	v_mul_f64 v[4:5], v[140:141], v[162:163]
	v_fma_f64 v[4:5], v[138:139], v[164:165], -v[4:5]
	v_add_f64 v[2:3], v[2:3], v[4:5]
	s_waitcnt vmcnt(12) lgkmcnt(1)
	v_mul_f64 v[4:5], v[144:145], v[174:175]
	v_mul_f64 v[188:189], v[142:143], v[174:175]
	s_waitcnt vmcnt(10)
	v_fma_f64 v[4:5], v[142:143], v[176:177], -v[4:5]
	v_fmac_f64_e32 v[188:189], v[144:145], v[176:177]
	v_add_f64 v[2:3], v[2:3], v[4:5]
	s_waitcnt vmcnt(8) lgkmcnt(0)
	v_mul_f64 v[4:5], v[148:149], v[170:171]
	v_add_f64 v[88:89], v[186:187], v[188:189]
	v_mul_f64 v[186:187], v[146:147], v[170:171]
	v_fma_f64 v[4:5], v[146:147], v[172:173], -v[4:5]
	v_fmac_f64_e32 v[186:187], v[148:149], v[172:173]
	v_add_f64 v[2:3], v[2:3], v[4:5]
	s_waitcnt vmcnt(6)
	v_mul_f64 v[4:5], v[152:153], v[178:179]
	v_add_f64 v[88:89], v[88:89], v[186:187]
	v_mul_f64 v[186:187], v[150:151], v[178:179]
	s_waitcnt vmcnt(4)
	v_fma_f64 v[4:5], v[150:151], v[180:181], -v[4:5]
	v_fmac_f64_e32 v[186:187], v[152:153], v[180:181]
	v_add_f64 v[2:3], v[2:3], v[4:5]
	v_add_f64 v[88:89], v[88:89], v[186:187]
	s_waitcnt vmcnt(2)
	v_add_f64 v[2:3], v[182:183], -v[2:3]
	s_waitcnt vmcnt(0)
	v_add_f64 v[4:5], v[184:185], -v[88:89]
	buffer_store_dword v3, off, s[0:3], 0 offset:4
	buffer_store_dword v2, off, s[0:3], 0
	buffer_store_dword v5, off, s[0:3], 0 offset:12
	buffer_store_dword v4, off, s[0:3], 0 offset:8
	s_cbranch_vccz .LBB16_149
; %bb.116:
	v_pk_mov_b32 v[2:3], s[24:25], s[24:25] op_sel:[0,1]
	flat_load_dword v2, v[2:3] offset:60
	s_load_dwordx2 s[4:5], s[4:5], 0x4
	v_bfe_u32 v4, v0, 10, 10
	v_bfe_u32 v0, v0, 20, 10
	s_waitcnt lgkmcnt(0)
	s_lshr_b32 s4, s4, 16
	s_mul_i32 s4, s4, s5
	v_mul_u32_u24_e32 v3, s4, v87
	v_mul_u32_u24_e32 v4, s5, v4
	v_add3_u32 v0, v3, v4, v0
	v_mov_b32_e32 v3, 0x228
	v_lshl_add_u32 v0, v0, 4, v3
	s_waitcnt vmcnt(0)
	v_add_u32_e32 v2, -1, v2
	v_cmp_ne_u32_e32 vcc, 15, v2
	s_and_saveexec_b64 s[4:5], vcc
	s_cbranch_execz .LBB16_118
; %bb.117:
	v_mov_b32_e32 v3, 0
	v_lshl_add_u32 v6, v2, 4, v3
	buffer_load_dword v2, v75, s[0:3], 0 offen
	buffer_load_dword v3, v75, s[0:3], 0 offen offset:4
	buffer_load_dword v4, v75, s[0:3], 0 offen offset:8
	buffer_load_dword v5, v75, s[0:3], 0 offen offset:12
	buffer_load_dword v7, v6, s[0:3], 0 offen
	buffer_load_dword v8, v6, s[0:3], 0 offen offset:4
	buffer_load_dword v9, v6, s[0:3], 0 offen offset:8
	buffer_load_dword v10, v6, s[0:3], 0 offen offset:12
	s_waitcnt vmcnt(4)
	ds_write2_b64 v0, v[2:3], v[4:5] offset1:1
	s_waitcnt vmcnt(3)
	buffer_store_dword v7, v75, s[0:3], 0 offen
	s_waitcnt vmcnt(3)
	buffer_store_dword v8, v75, s[0:3], 0 offen offset:4
	s_waitcnt vmcnt(3)
	buffer_store_dword v9, v75, s[0:3], 0 offen offset:8
	s_waitcnt vmcnt(3)
	buffer_store_dword v10, v75, s[0:3], 0 offen offset:12
	buffer_store_dword v5, v6, s[0:3], 0 offen offset:12
	buffer_store_dword v4, v6, s[0:3], 0 offen offset:8
	buffer_store_dword v3, v6, s[0:3], 0 offen offset:4
	buffer_store_dword v2, v6, s[0:3], 0 offen
.LBB16_118:
	s_or_b64 exec, exec, s[4:5]
	v_pk_mov_b32 v[2:3], s[24:25], s[24:25] op_sel:[0,1]
	flat_load_dword v2, v[2:3] offset:56
	s_waitcnt vmcnt(0) lgkmcnt(0)
	v_add_u32_e32 v2, -1, v2
	v_cmp_ne_u32_e32 vcc, 14, v2
	s_and_saveexec_b64 s[4:5], vcc
	s_cbranch_execz .LBB16_120
; %bb.119:
	v_mov_b32_e32 v3, 0
	v_lshl_add_u32 v6, v2, 4, v3
	buffer_load_dword v2, v73, s[0:3], 0 offen
	buffer_load_dword v3, v73, s[0:3], 0 offen offset:4
	buffer_load_dword v4, v73, s[0:3], 0 offen offset:8
	buffer_load_dword v5, v73, s[0:3], 0 offen offset:12
	buffer_load_dword v7, v6, s[0:3], 0 offen
	buffer_load_dword v8, v6, s[0:3], 0 offen offset:4
	buffer_load_dword v9, v6, s[0:3], 0 offen offset:8
	buffer_load_dword v10, v6, s[0:3], 0 offen offset:12
	s_waitcnt vmcnt(4)
	ds_write2_b64 v0, v[2:3], v[4:5] offset1:1
	s_waitcnt vmcnt(3)
	buffer_store_dword v7, v73, s[0:3], 0 offen
	s_waitcnt vmcnt(3)
	buffer_store_dword v8, v73, s[0:3], 0 offen offset:4
	s_waitcnt vmcnt(3)
	buffer_store_dword v9, v73, s[0:3], 0 offen offset:8
	s_waitcnt vmcnt(3)
	buffer_store_dword v10, v73, s[0:3], 0 offen offset:12
	buffer_store_dword v5, v6, s[0:3], 0 offen offset:12
	buffer_store_dword v4, v6, s[0:3], 0 offen offset:8
	buffer_store_dword v3, v6, s[0:3], 0 offen offset:4
	buffer_store_dword v2, v6, s[0:3], 0 offen
.LBB16_120:
	s_or_b64 exec, exec, s[4:5]
	v_pk_mov_b32 v[2:3], s[24:25], s[24:25] op_sel:[0,1]
	flat_load_dword v2, v[2:3] offset:52
	s_waitcnt vmcnt(0) lgkmcnt(0)
	v_add_u32_e32 v2, -1, v2
	v_cmp_ne_u32_e32 vcc, 13, v2
	s_and_saveexec_b64 s[4:5], vcc
	s_cbranch_execz .LBB16_122
; %bb.121:
	v_mov_b32_e32 v3, 0
	v_lshl_add_u32 v6, v2, 4, v3
	buffer_load_dword v2, v74, s[0:3], 0 offen
	buffer_load_dword v3, v74, s[0:3], 0 offen offset:4
	buffer_load_dword v4, v74, s[0:3], 0 offen offset:8
	buffer_load_dword v5, v74, s[0:3], 0 offen offset:12
	buffer_load_dword v7, v6, s[0:3], 0 offen
	buffer_load_dword v8, v6, s[0:3], 0 offen offset:4
	buffer_load_dword v9, v6, s[0:3], 0 offen offset:8
	buffer_load_dword v10, v6, s[0:3], 0 offen offset:12
	s_waitcnt vmcnt(4)
	ds_write2_b64 v0, v[2:3], v[4:5] offset1:1
	s_waitcnt vmcnt(3)
	buffer_store_dword v7, v74, s[0:3], 0 offen
	s_waitcnt vmcnt(3)
	buffer_store_dword v8, v74, s[0:3], 0 offen offset:4
	s_waitcnt vmcnt(3)
	buffer_store_dword v9, v74, s[0:3], 0 offen offset:8
	s_waitcnt vmcnt(3)
	buffer_store_dword v10, v74, s[0:3], 0 offen offset:12
	buffer_store_dword v5, v6, s[0:3], 0 offen offset:12
	buffer_store_dword v4, v6, s[0:3], 0 offen offset:8
	buffer_store_dword v3, v6, s[0:3], 0 offen offset:4
	buffer_store_dword v2, v6, s[0:3], 0 offen
.LBB16_122:
	s_or_b64 exec, exec, s[4:5]
	v_pk_mov_b32 v[2:3], s[24:25], s[24:25] op_sel:[0,1]
	flat_load_dword v2, v[2:3] offset:48
	s_waitcnt vmcnt(0) lgkmcnt(0)
	v_add_u32_e32 v2, -1, v2
	v_cmp_ne_u32_e32 vcc, 12, v2
	s_and_saveexec_b64 s[4:5], vcc
	s_cbranch_execz .LBB16_124
; %bb.123:
	v_mov_b32_e32 v3, 0
	v_lshl_add_u32 v6, v2, 4, v3
	buffer_load_dword v2, v72, s[0:3], 0 offen
	buffer_load_dword v3, v72, s[0:3], 0 offen offset:4
	buffer_load_dword v4, v72, s[0:3], 0 offen offset:8
	buffer_load_dword v5, v72, s[0:3], 0 offen offset:12
	buffer_load_dword v7, v6, s[0:3], 0 offen
	buffer_load_dword v8, v6, s[0:3], 0 offen offset:4
	buffer_load_dword v9, v6, s[0:3], 0 offen offset:8
	buffer_load_dword v10, v6, s[0:3], 0 offen offset:12
	s_waitcnt vmcnt(4)
	ds_write2_b64 v0, v[2:3], v[4:5] offset1:1
	s_waitcnt vmcnt(3)
	buffer_store_dword v7, v72, s[0:3], 0 offen
	s_waitcnt vmcnt(3)
	buffer_store_dword v8, v72, s[0:3], 0 offen offset:4
	s_waitcnt vmcnt(3)
	buffer_store_dword v9, v72, s[0:3], 0 offen offset:8
	s_waitcnt vmcnt(3)
	buffer_store_dword v10, v72, s[0:3], 0 offen offset:12
	buffer_store_dword v5, v6, s[0:3], 0 offen offset:12
	buffer_store_dword v4, v6, s[0:3], 0 offen offset:8
	buffer_store_dword v3, v6, s[0:3], 0 offen offset:4
	buffer_store_dword v2, v6, s[0:3], 0 offen
.LBB16_124:
	s_or_b64 exec, exec, s[4:5]
	v_pk_mov_b32 v[2:3], s[24:25], s[24:25] op_sel:[0,1]
	flat_load_dword v2, v[2:3] offset:44
	s_waitcnt vmcnt(0) lgkmcnt(0)
	v_add_u32_e32 v2, -1, v2
	v_cmp_ne_u32_e32 vcc, 11, v2
	s_and_saveexec_b64 s[4:5], vcc
	s_cbranch_execz .LBB16_126
; %bb.125:
	v_mov_b32_e32 v3, 0
	v_lshl_add_u32 v6, v2, 4, v3
	buffer_load_dword v2, v77, s[0:3], 0 offen
	buffer_load_dword v3, v77, s[0:3], 0 offen offset:4
	buffer_load_dword v4, v77, s[0:3], 0 offen offset:8
	buffer_load_dword v5, v77, s[0:3], 0 offen offset:12
	buffer_load_dword v7, v6, s[0:3], 0 offen
	buffer_load_dword v8, v6, s[0:3], 0 offen offset:4
	buffer_load_dword v9, v6, s[0:3], 0 offen offset:8
	buffer_load_dword v10, v6, s[0:3], 0 offen offset:12
	s_waitcnt vmcnt(4)
	ds_write2_b64 v0, v[2:3], v[4:5] offset1:1
	s_waitcnt vmcnt(3)
	buffer_store_dword v7, v77, s[0:3], 0 offen
	s_waitcnt vmcnt(3)
	buffer_store_dword v8, v77, s[0:3], 0 offen offset:4
	s_waitcnt vmcnt(3)
	buffer_store_dword v9, v77, s[0:3], 0 offen offset:8
	s_waitcnt vmcnt(3)
	buffer_store_dword v10, v77, s[0:3], 0 offen offset:12
	buffer_store_dword v5, v6, s[0:3], 0 offen offset:12
	buffer_store_dword v4, v6, s[0:3], 0 offen offset:8
	buffer_store_dword v3, v6, s[0:3], 0 offen offset:4
	buffer_store_dword v2, v6, s[0:3], 0 offen
.LBB16_126:
	s_or_b64 exec, exec, s[4:5]
	v_pk_mov_b32 v[2:3], s[24:25], s[24:25] op_sel:[0,1]
	flat_load_dword v2, v[2:3] offset:40
	s_waitcnt vmcnt(0) lgkmcnt(0)
	v_add_u32_e32 v2, -1, v2
	v_cmp_ne_u32_e32 vcc, 10, v2
	s_and_saveexec_b64 s[4:5], vcc
	s_cbranch_execz .LBB16_128
; %bb.127:
	v_mov_b32_e32 v3, 0
	v_lshl_add_u32 v6, v2, 4, v3
	buffer_load_dword v2, v79, s[0:3], 0 offen
	buffer_load_dword v3, v79, s[0:3], 0 offen offset:4
	buffer_load_dword v4, v79, s[0:3], 0 offen offset:8
	buffer_load_dword v5, v79, s[0:3], 0 offen offset:12
	buffer_load_dword v7, v6, s[0:3], 0 offen
	buffer_load_dword v8, v6, s[0:3], 0 offen offset:4
	buffer_load_dword v9, v6, s[0:3], 0 offen offset:8
	buffer_load_dword v10, v6, s[0:3], 0 offen offset:12
	s_waitcnt vmcnt(4)
	ds_write2_b64 v0, v[2:3], v[4:5] offset1:1
	s_waitcnt vmcnt(3)
	buffer_store_dword v7, v79, s[0:3], 0 offen
	s_waitcnt vmcnt(3)
	buffer_store_dword v8, v79, s[0:3], 0 offen offset:4
	s_waitcnt vmcnt(3)
	buffer_store_dword v9, v79, s[0:3], 0 offen offset:8
	s_waitcnt vmcnt(3)
	buffer_store_dword v10, v79, s[0:3], 0 offen offset:12
	buffer_store_dword v5, v6, s[0:3], 0 offen offset:12
	buffer_store_dword v4, v6, s[0:3], 0 offen offset:8
	buffer_store_dword v3, v6, s[0:3], 0 offen offset:4
	buffer_store_dword v2, v6, s[0:3], 0 offen
.LBB16_128:
	s_or_b64 exec, exec, s[4:5]
	v_pk_mov_b32 v[2:3], s[24:25], s[24:25] op_sel:[0,1]
	flat_load_dword v2, v[2:3] offset:36
	s_waitcnt vmcnt(0) lgkmcnt(0)
	v_add_u32_e32 v2, -1, v2
	v_cmp_ne_u32_e32 vcc, 9, v2
	s_and_saveexec_b64 s[4:5], vcc
	s_cbranch_execz .LBB16_130
; %bb.129:
	v_mov_b32_e32 v3, 0
	v_lshl_add_u32 v6, v2, 4, v3
	buffer_load_dword v2, v76, s[0:3], 0 offen
	buffer_load_dword v3, v76, s[0:3], 0 offen offset:4
	buffer_load_dword v4, v76, s[0:3], 0 offen offset:8
	buffer_load_dword v5, v76, s[0:3], 0 offen offset:12
	buffer_load_dword v7, v6, s[0:3], 0 offen
	buffer_load_dword v8, v6, s[0:3], 0 offen offset:4
	buffer_load_dword v9, v6, s[0:3], 0 offen offset:8
	buffer_load_dword v10, v6, s[0:3], 0 offen offset:12
	s_waitcnt vmcnt(4)
	ds_write2_b64 v0, v[2:3], v[4:5] offset1:1
	s_waitcnt vmcnt(3)
	buffer_store_dword v7, v76, s[0:3], 0 offen
	s_waitcnt vmcnt(3)
	buffer_store_dword v8, v76, s[0:3], 0 offen offset:4
	s_waitcnt vmcnt(3)
	buffer_store_dword v9, v76, s[0:3], 0 offen offset:8
	s_waitcnt vmcnt(3)
	buffer_store_dword v10, v76, s[0:3], 0 offen offset:12
	buffer_store_dword v5, v6, s[0:3], 0 offen offset:12
	buffer_store_dword v4, v6, s[0:3], 0 offen offset:8
	buffer_store_dword v3, v6, s[0:3], 0 offen offset:4
	buffer_store_dword v2, v6, s[0:3], 0 offen
.LBB16_130:
	s_or_b64 exec, exec, s[4:5]
	v_pk_mov_b32 v[2:3], s[24:25], s[24:25] op_sel:[0,1]
	flat_load_dword v2, v[2:3] offset:32
	s_waitcnt vmcnt(0) lgkmcnt(0)
	v_add_u32_e32 v2, -1, v2
	v_cmp_ne_u32_e32 vcc, 8, v2
	s_and_saveexec_b64 s[4:5], vcc
	s_cbranch_execz .LBB16_132
; %bb.131:
	v_mov_b32_e32 v3, 0
	v_lshl_add_u32 v6, v2, 4, v3
	buffer_load_dword v2, v78, s[0:3], 0 offen
	buffer_load_dword v3, v78, s[0:3], 0 offen offset:4
	buffer_load_dword v4, v78, s[0:3], 0 offen offset:8
	buffer_load_dword v5, v78, s[0:3], 0 offen offset:12
	buffer_load_dword v7, v6, s[0:3], 0 offen
	buffer_load_dword v8, v6, s[0:3], 0 offen offset:4
	buffer_load_dword v9, v6, s[0:3], 0 offen offset:8
	buffer_load_dword v10, v6, s[0:3], 0 offen offset:12
	s_waitcnt vmcnt(4)
	ds_write2_b64 v0, v[2:3], v[4:5] offset1:1
	s_waitcnt vmcnt(3)
	buffer_store_dword v7, v78, s[0:3], 0 offen
	s_waitcnt vmcnt(3)
	buffer_store_dword v8, v78, s[0:3], 0 offen offset:4
	s_waitcnt vmcnt(3)
	buffer_store_dword v9, v78, s[0:3], 0 offen offset:8
	s_waitcnt vmcnt(3)
	buffer_store_dword v10, v78, s[0:3], 0 offen offset:12
	buffer_store_dword v5, v6, s[0:3], 0 offen offset:12
	buffer_store_dword v4, v6, s[0:3], 0 offen offset:8
	buffer_store_dword v3, v6, s[0:3], 0 offen offset:4
	buffer_store_dword v2, v6, s[0:3], 0 offen
.LBB16_132:
	s_or_b64 exec, exec, s[4:5]
	v_pk_mov_b32 v[2:3], s[24:25], s[24:25] op_sel:[0,1]
	flat_load_dword v2, v[2:3] offset:28
	s_waitcnt vmcnt(0) lgkmcnt(0)
	v_add_u32_e32 v2, -1, v2
	v_cmp_ne_u32_e32 vcc, 7, v2
	s_and_saveexec_b64 s[4:5], vcc
	s_cbranch_execz .LBB16_134
; %bb.133:
	v_mov_b32_e32 v3, 0
	v_lshl_add_u32 v6, v2, 4, v3
	buffer_load_dword v2, v83, s[0:3], 0 offen
	buffer_load_dword v3, v83, s[0:3], 0 offen offset:4
	buffer_load_dword v4, v83, s[0:3], 0 offen offset:8
	buffer_load_dword v5, v83, s[0:3], 0 offen offset:12
	buffer_load_dword v7, v6, s[0:3], 0 offen
	buffer_load_dword v8, v6, s[0:3], 0 offen offset:4
	buffer_load_dword v9, v6, s[0:3], 0 offen offset:8
	buffer_load_dword v10, v6, s[0:3], 0 offen offset:12
	s_waitcnt vmcnt(4)
	ds_write2_b64 v0, v[2:3], v[4:5] offset1:1
	s_waitcnt vmcnt(3)
	buffer_store_dword v7, v83, s[0:3], 0 offen
	s_waitcnt vmcnt(3)
	buffer_store_dword v8, v83, s[0:3], 0 offen offset:4
	s_waitcnt vmcnt(3)
	buffer_store_dword v9, v83, s[0:3], 0 offen offset:8
	s_waitcnt vmcnt(3)
	buffer_store_dword v10, v83, s[0:3], 0 offen offset:12
	buffer_store_dword v5, v6, s[0:3], 0 offen offset:12
	buffer_store_dword v4, v6, s[0:3], 0 offen offset:8
	buffer_store_dword v3, v6, s[0:3], 0 offen offset:4
	buffer_store_dword v2, v6, s[0:3], 0 offen
.LBB16_134:
	s_or_b64 exec, exec, s[4:5]
	v_pk_mov_b32 v[2:3], s[24:25], s[24:25] op_sel:[0,1]
	flat_load_dword v2, v[2:3] offset:24
	s_waitcnt vmcnt(0) lgkmcnt(0)
	v_add_u32_e32 v2, -1, v2
	v_cmp_ne_u32_e32 vcc, 6, v2
	s_and_saveexec_b64 s[4:5], vcc
	s_cbranch_execz .LBB16_136
; %bb.135:
	v_mov_b32_e32 v3, 0
	v_lshl_add_u32 v6, v2, 4, v3
	buffer_load_dword v2, v81, s[0:3], 0 offen
	buffer_load_dword v3, v81, s[0:3], 0 offen offset:4
	buffer_load_dword v4, v81, s[0:3], 0 offen offset:8
	buffer_load_dword v5, v81, s[0:3], 0 offen offset:12
	buffer_load_dword v7, v6, s[0:3], 0 offen
	buffer_load_dword v8, v6, s[0:3], 0 offen offset:4
	buffer_load_dword v9, v6, s[0:3], 0 offen offset:8
	buffer_load_dword v10, v6, s[0:3], 0 offen offset:12
	s_waitcnt vmcnt(4)
	ds_write2_b64 v0, v[2:3], v[4:5] offset1:1
	s_waitcnt vmcnt(3)
	buffer_store_dword v7, v81, s[0:3], 0 offen
	s_waitcnt vmcnt(3)
	buffer_store_dword v8, v81, s[0:3], 0 offen offset:4
	s_waitcnt vmcnt(3)
	buffer_store_dword v9, v81, s[0:3], 0 offen offset:8
	s_waitcnt vmcnt(3)
	buffer_store_dword v10, v81, s[0:3], 0 offen offset:12
	buffer_store_dword v5, v6, s[0:3], 0 offen offset:12
	buffer_store_dword v4, v6, s[0:3], 0 offen offset:8
	buffer_store_dword v3, v6, s[0:3], 0 offen offset:4
	buffer_store_dword v2, v6, s[0:3], 0 offen
.LBB16_136:
	s_or_b64 exec, exec, s[4:5]
	v_pk_mov_b32 v[2:3], s[24:25], s[24:25] op_sel:[0,1]
	flat_load_dword v2, v[2:3] offset:20
	s_waitcnt vmcnt(0) lgkmcnt(0)
	v_add_u32_e32 v2, -1, v2
	v_cmp_ne_u32_e32 vcc, 5, v2
	s_and_saveexec_b64 s[4:5], vcc
	s_cbranch_execz .LBB16_138
; %bb.137:
	v_mov_b32_e32 v3, 0
	v_lshl_add_u32 v6, v2, 4, v3
	buffer_load_dword v2, v82, s[0:3], 0 offen
	buffer_load_dword v3, v82, s[0:3], 0 offen offset:4
	buffer_load_dword v4, v82, s[0:3], 0 offen offset:8
	buffer_load_dword v5, v82, s[0:3], 0 offen offset:12
	buffer_load_dword v7, v6, s[0:3], 0 offen
	buffer_load_dword v8, v6, s[0:3], 0 offen offset:4
	buffer_load_dword v9, v6, s[0:3], 0 offen offset:8
	buffer_load_dword v10, v6, s[0:3], 0 offen offset:12
	s_waitcnt vmcnt(4)
	ds_write2_b64 v0, v[2:3], v[4:5] offset1:1
	s_waitcnt vmcnt(3)
	buffer_store_dword v7, v82, s[0:3], 0 offen
	s_waitcnt vmcnt(3)
	buffer_store_dword v8, v82, s[0:3], 0 offen offset:4
	s_waitcnt vmcnt(3)
	buffer_store_dword v9, v82, s[0:3], 0 offen offset:8
	s_waitcnt vmcnt(3)
	buffer_store_dword v10, v82, s[0:3], 0 offen offset:12
	buffer_store_dword v5, v6, s[0:3], 0 offen offset:12
	buffer_store_dword v4, v6, s[0:3], 0 offen offset:8
	buffer_store_dword v3, v6, s[0:3], 0 offen offset:4
	buffer_store_dword v2, v6, s[0:3], 0 offen
.LBB16_138:
	s_or_b64 exec, exec, s[4:5]
	v_pk_mov_b32 v[2:3], s[24:25], s[24:25] op_sel:[0,1]
	flat_load_dword v2, v[2:3] offset:16
	s_waitcnt vmcnt(0) lgkmcnt(0)
	v_add_u32_e32 v2, -1, v2
	v_cmp_ne_u32_e32 vcc, 4, v2
	s_and_saveexec_b64 s[4:5], vcc
	s_cbranch_execz .LBB16_140
; %bb.139:
	v_mov_b32_e32 v3, 0
	v_lshl_add_u32 v6, v2, 4, v3
	buffer_load_dword v2, v80, s[0:3], 0 offen
	buffer_load_dword v3, v80, s[0:3], 0 offen offset:4
	buffer_load_dword v4, v80, s[0:3], 0 offen offset:8
	buffer_load_dword v5, v80, s[0:3], 0 offen offset:12
	buffer_load_dword v7, v6, s[0:3], 0 offen
	buffer_load_dword v8, v6, s[0:3], 0 offen offset:4
	buffer_load_dword v9, v6, s[0:3], 0 offen offset:8
	buffer_load_dword v10, v6, s[0:3], 0 offen offset:12
	s_waitcnt vmcnt(4)
	ds_write2_b64 v0, v[2:3], v[4:5] offset1:1
	s_waitcnt vmcnt(3)
	buffer_store_dword v7, v80, s[0:3], 0 offen
	s_waitcnt vmcnt(3)
	buffer_store_dword v8, v80, s[0:3], 0 offen offset:4
	s_waitcnt vmcnt(3)
	buffer_store_dword v9, v80, s[0:3], 0 offen offset:8
	s_waitcnt vmcnt(3)
	buffer_store_dword v10, v80, s[0:3], 0 offen offset:12
	buffer_store_dword v5, v6, s[0:3], 0 offen offset:12
	buffer_store_dword v4, v6, s[0:3], 0 offen offset:8
	buffer_store_dword v3, v6, s[0:3], 0 offen offset:4
	buffer_store_dword v2, v6, s[0:3], 0 offen
.LBB16_140:
	s_or_b64 exec, exec, s[4:5]
	v_pk_mov_b32 v[2:3], s[24:25], s[24:25] op_sel:[0,1]
	flat_load_dword v2, v[2:3] offset:12
	s_waitcnt vmcnt(0) lgkmcnt(0)
	v_add_u32_e32 v2, -1, v2
	v_cmp_ne_u32_e32 vcc, 3, v2
	s_and_saveexec_b64 s[4:5], vcc
	s_cbranch_execz .LBB16_142
; %bb.141:
	v_mov_b32_e32 v3, 0
	v_lshl_add_u32 v6, v2, 4, v3
	buffer_load_dword v2, v86, s[0:3], 0 offen
	buffer_load_dword v3, v86, s[0:3], 0 offen offset:4
	buffer_load_dword v4, v86, s[0:3], 0 offen offset:8
	buffer_load_dword v5, v86, s[0:3], 0 offen offset:12
	buffer_load_dword v7, v6, s[0:3], 0 offen
	buffer_load_dword v8, v6, s[0:3], 0 offen offset:4
	buffer_load_dword v9, v6, s[0:3], 0 offen offset:8
	buffer_load_dword v10, v6, s[0:3], 0 offen offset:12
	s_waitcnt vmcnt(4)
	ds_write2_b64 v0, v[2:3], v[4:5] offset1:1
	s_waitcnt vmcnt(3)
	buffer_store_dword v7, v86, s[0:3], 0 offen
	s_waitcnt vmcnt(3)
	buffer_store_dword v8, v86, s[0:3], 0 offen offset:4
	s_waitcnt vmcnt(3)
	buffer_store_dword v9, v86, s[0:3], 0 offen offset:8
	s_waitcnt vmcnt(3)
	buffer_store_dword v10, v86, s[0:3], 0 offen offset:12
	buffer_store_dword v5, v6, s[0:3], 0 offen offset:12
	buffer_store_dword v4, v6, s[0:3], 0 offen offset:8
	buffer_store_dword v3, v6, s[0:3], 0 offen offset:4
	buffer_store_dword v2, v6, s[0:3], 0 offen
.LBB16_142:
	s_or_b64 exec, exec, s[4:5]
	v_pk_mov_b32 v[2:3], s[24:25], s[24:25] op_sel:[0,1]
	flat_load_dword v2, v[2:3] offset:8
	s_waitcnt vmcnt(0) lgkmcnt(0)
	v_add_u32_e32 v2, -1, v2
	v_cmp_ne_u32_e32 vcc, 2, v2
	s_and_saveexec_b64 s[4:5], vcc
	s_cbranch_execz .LBB16_144
; %bb.143:
	v_mov_b32_e32 v3, 0
	v_lshl_add_u32 v6, v2, 4, v3
	buffer_load_dword v2, v84, s[0:3], 0 offen
	buffer_load_dword v3, v84, s[0:3], 0 offen offset:4
	buffer_load_dword v4, v84, s[0:3], 0 offen offset:8
	buffer_load_dword v5, v84, s[0:3], 0 offen offset:12
	buffer_load_dword v7, v6, s[0:3], 0 offen
	buffer_load_dword v8, v6, s[0:3], 0 offen offset:4
	buffer_load_dword v9, v6, s[0:3], 0 offen offset:8
	buffer_load_dword v10, v6, s[0:3], 0 offen offset:12
	s_waitcnt vmcnt(4)
	ds_write2_b64 v0, v[2:3], v[4:5] offset1:1
	s_waitcnt vmcnt(3)
	buffer_store_dword v7, v84, s[0:3], 0 offen
	s_waitcnt vmcnt(3)
	buffer_store_dword v8, v84, s[0:3], 0 offen offset:4
	s_waitcnt vmcnt(3)
	buffer_store_dword v9, v84, s[0:3], 0 offen offset:8
	s_waitcnt vmcnt(3)
	buffer_store_dword v10, v84, s[0:3], 0 offen offset:12
	buffer_store_dword v5, v6, s[0:3], 0 offen offset:12
	buffer_store_dword v4, v6, s[0:3], 0 offen offset:8
	buffer_store_dword v3, v6, s[0:3], 0 offen offset:4
	buffer_store_dword v2, v6, s[0:3], 0 offen
.LBB16_144:
	s_or_b64 exec, exec, s[4:5]
	v_pk_mov_b32 v[2:3], s[24:25], s[24:25] op_sel:[0,1]
	flat_load_dword v2, v[2:3] offset:4
	s_waitcnt vmcnt(0) lgkmcnt(0)
	v_add_u32_e32 v2, -1, v2
	v_cmp_ne_u32_e32 vcc, 1, v2
	s_and_saveexec_b64 s[4:5], vcc
	s_cbranch_execz .LBB16_146
; %bb.145:
	v_mov_b32_e32 v3, 0
	v_lshl_add_u32 v6, v2, 4, v3
	buffer_load_dword v2, v85, s[0:3], 0 offen
	buffer_load_dword v3, v85, s[0:3], 0 offen offset:4
	buffer_load_dword v4, v85, s[0:3], 0 offen offset:8
	;; [unrolled: 1-line block ×3, first 2 shown]
	buffer_load_dword v7, v6, s[0:3], 0 offen
	buffer_load_dword v8, v6, s[0:3], 0 offen offset:4
	buffer_load_dword v9, v6, s[0:3], 0 offen offset:8
	;; [unrolled: 1-line block ×3, first 2 shown]
	s_waitcnt vmcnt(4)
	ds_write2_b64 v0, v[2:3], v[4:5] offset1:1
	s_waitcnt vmcnt(3)
	buffer_store_dword v7, v85, s[0:3], 0 offen
	s_waitcnt vmcnt(3)
	buffer_store_dword v8, v85, s[0:3], 0 offen offset:4
	s_waitcnt vmcnt(3)
	buffer_store_dword v9, v85, s[0:3], 0 offen offset:8
	;; [unrolled: 2-line block ×3, first 2 shown]
	buffer_store_dword v5, v6, s[0:3], 0 offen offset:12
	buffer_store_dword v4, v6, s[0:3], 0 offen offset:8
	;; [unrolled: 1-line block ×3, first 2 shown]
	buffer_store_dword v2, v6, s[0:3], 0 offen
.LBB16_146:
	s_or_b64 exec, exec, s[4:5]
	v_pk_mov_b32 v[2:3], s[24:25], s[24:25] op_sel:[0,1]
	flat_load_dword v2, v[2:3]
	s_waitcnt vmcnt(0) lgkmcnt(0)
	v_add_u32_e32 v2, -1, v2
	v_cmp_ne_u32_e32 vcc, 0, v2
	s_and_saveexec_b64 s[4:5], vcc
	s_cbranch_execz .LBB16_148
; %bb.147:
	v_mov_b32_e32 v3, 0
	v_lshl_add_u32 v6, v2, 4, v3
	buffer_load_dword v2, off, s[0:3], 0
	buffer_load_dword v3, off, s[0:3], 0 offset:4
	buffer_load_dword v4, off, s[0:3], 0 offset:8
	;; [unrolled: 1-line block ×3, first 2 shown]
	buffer_load_dword v7, v6, s[0:3], 0 offen
	buffer_load_dword v8, v6, s[0:3], 0 offen offset:4
	buffer_load_dword v9, v6, s[0:3], 0 offen offset:8
	;; [unrolled: 1-line block ×3, first 2 shown]
	s_waitcnt vmcnt(4)
	ds_write2_b64 v0, v[2:3], v[4:5] offset1:1
	s_waitcnt vmcnt(3)
	buffer_store_dword v7, off, s[0:3], 0
	s_waitcnt vmcnt(3)
	buffer_store_dword v8, off, s[0:3], 0 offset:4
	s_waitcnt vmcnt(3)
	buffer_store_dword v9, off, s[0:3], 0 offset:8
	;; [unrolled: 2-line block ×3, first 2 shown]
	buffer_store_dword v5, v6, s[0:3], 0 offen offset:12
	buffer_store_dword v4, v6, s[0:3], 0 offen offset:8
	;; [unrolled: 1-line block ×3, first 2 shown]
	buffer_store_dword v2, v6, s[0:3], 0 offen
.LBB16_148:
	s_or_b64 exec, exec, s[4:5]
.LBB16_149:
	buffer_load_dword v2, off, s[0:3], 0
	buffer_load_dword v3, off, s[0:3], 0 offset:4
	buffer_load_dword v4, off, s[0:3], 0 offset:8
	;; [unrolled: 1-line block ×3, first 2 shown]
	buffer_load_dword v6, v85, s[0:3], 0 offen
	buffer_load_dword v7, v85, s[0:3], 0 offen offset:4
	buffer_load_dword v8, v85, s[0:3], 0 offen offset:8
	;; [unrolled: 1-line block ×6, first 2 shown]
	buffer_load_dword v14, v86, s[0:3], 0 offen
	buffer_load_dword v15, v86, s[0:3], 0 offen offset:4
	buffer_load_dword v16, v86, s[0:3], 0 offen offset:8
	buffer_load_dword v10, v84, s[0:3], 0 offen
	buffer_load_dword v17, v86, s[0:3], 0 offen offset:12
	buffer_load_dword v53, v80, s[0:3], 0 offen offset:4
	;; [unrolled: 1-line block ×4, first 2 shown]
                                        ; kill: killed $vgpr85
                                        ; kill: killed $vgpr86
                                        ; kill: killed $vgpr84
	buffer_load_dword v56, v82, s[0:3], 0 offen
	buffer_load_dword v57, v82, s[0:3], 0 offen offset:4
	buffer_load_dword v58, v82, s[0:3], 0 offen offset:8
	buffer_load_dword v52, v80, s[0:3], 0 offen
	buffer_load_dword v59, v82, s[0:3], 0 offen offset:12
	buffer_load_dword v61, v81, s[0:3], 0 offen offset:4
	;; [unrolled: 1-line block ×4, first 2 shown]
	buffer_load_dword v64, v83, s[0:3], 0 offen
	buffer_load_dword v65, v83, s[0:3], 0 offen offset:4
	buffer_load_dword v66, v83, s[0:3], 0 offen offset:8
	buffer_load_dword v60, v81, s[0:3], 0 offen
	buffer_load_dword v67, v83, s[0:3], 0 offen offset:12
	buffer_load_dword v69, v78, s[0:3], 0 offen offset:4
	;; [unrolled: 1-line block ×3, first 2 shown]
                                        ; kill: killed $vgpr82
                                        ; kill: killed $vgpr83
                                        ; kill: killed $vgpr80
                                        ; kill: killed $vgpr81
	buffer_load_dword v71, v78, s[0:3], 0 offen offset:12
	buffer_load_dword v80, v76, s[0:3], 0 offen
	buffer_load_dword v81, v76, s[0:3], 0 offen offset:4
	buffer_load_dword v82, v76, s[0:3], 0 offen offset:8
	buffer_load_dword v68, v78, s[0:3], 0 offen
	buffer_load_dword v83, v76, s[0:3], 0 offen offset:12
	buffer_load_dword v85, v79, s[0:3], 0 offen offset:4
	;; [unrolled: 1-line block ×4, first 2 shown]
	buffer_load_dword v88, v77, s[0:3], 0 offen
	buffer_load_dword v89, v77, s[0:3], 0 offen offset:4
	buffer_load_dword v90, v77, s[0:3], 0 offen offset:8
	buffer_load_dword v84, v79, s[0:3], 0 offen
	buffer_load_dword v91, v77, s[0:3], 0 offen offset:12
	buffer_load_dword v93, v72, s[0:3], 0 offen offset:4
                                        ; kill: killed $vgpr78
                                        ; kill: killed $vgpr79
                                        ; kill: killed $vgpr76
                                        ; kill: killed $vgpr77
	buffer_load_dword v94, v72, s[0:3], 0 offen offset:8
	buffer_load_dword v95, v72, s[0:3], 0 offen offset:12
	buffer_load_dword v76, v74, s[0:3], 0 offen
	s_nop 0
	buffer_load_dword v77, v74, s[0:3], 0 offen offset:4
	buffer_load_dword v78, v74, s[0:3], 0 offen offset:8
	buffer_load_dword v92, v72, s[0:3], 0 offen
	buffer_load_dword v79, v74, s[0:3], 0 offen offset:12
	buffer_load_dword v97, v73, s[0:3], 0 offen offset:4
	;; [unrolled: 1-line block ×4, first 2 shown]
	buffer_load_dword v100, v75, s[0:3], 0 offen
	buffer_load_dword v101, v75, s[0:3], 0 offen offset:4
	buffer_load_dword v102, v75, s[0:3], 0 offen offset:8
	buffer_load_dword v96, v73, s[0:3], 0 offen
	buffer_load_dword v103, v75, s[0:3], 0 offen offset:12
                                        ; kill: killed $vgpr74
                                        ; kill: killed $vgpr75
                                        ; kill: killed $vgpr72
                                        ; kill: killed $vgpr73
	buffer_load_dword v72, v1, s[0:3], 0 offen
	s_nop 0
	buffer_load_dword v73, v1, s[0:3], 0 offen offset:4
	buffer_load_dword v74, v1, s[0:3], 0 offen offset:8
	;; [unrolled: 1-line block ×3, first 2 shown]
	s_waitcnt vmcnt(62)
	global_store_dwordx4 v[18:19], v[2:5], off
	s_waitcnt vmcnt(61)
	global_store_dwordx4 v[20:21], v[6:9], off
	s_waitcnt vmcnt(55)
	global_store_dwordx4 v[22:23], v[10:13], off
	s_waitcnt vmcnt(55)
	global_store_dwordx4 v[24:25], v[14:17], off
	s_waitcnt vmcnt(49)
	global_store_dwordx4 v[26:27], v[52:55], off
	s_waitcnt vmcnt(49)
	global_store_dwordx4 v[28:29], v[56:59], off
	s_waitcnt vmcnt(43)
	global_store_dwordx4 v[30:31], v[60:63], off
	s_waitcnt vmcnt(43)
	global_store_dwordx4 v[32:33], v[64:67], off
	s_waitcnt vmcnt(37)
	global_store_dwordx4 v[34:35], v[68:71], off
	s_waitcnt vmcnt(37)
	global_store_dwordx4 v[36:37], v[80:83], off
	s_waitcnt vmcnt(31)
	global_store_dwordx4 v[38:39], v[84:87], off
	s_waitcnt vmcnt(31)
	global_store_dwordx4 v[40:41], v[88:91], off
	s_waitcnt vmcnt(25)
	global_store_dwordx4 v[42:43], v[92:95], off
	s_waitcnt vmcnt(25)
	global_store_dwordx4 v[44:45], v[76:79], off
	s_waitcnt vmcnt(19)
	global_store_dwordx4 v[46:47], v[96:99], off
	s_waitcnt vmcnt(19)
	global_store_dwordx4 v[48:49], v[100:103], off
	s_waitcnt vmcnt(16)
	global_store_dwordx4 v[50:51], v[72:75], off
	s_endpgm
	.section	.rodata,"a",@progbits
	.p2align	6, 0x0
	.amdhsa_kernel _ZN9rocsolver6v33100L18getri_kernel_smallILi17E19rocblas_complex_numIdEPS3_EEvT1_iilPiilS6_bb
		.amdhsa_group_segment_fixed_size 1576
		.amdhsa_private_segment_fixed_size 288
		.amdhsa_kernarg_size 60
		.amdhsa_user_sgpr_count 10
		.amdhsa_user_sgpr_private_segment_buffer 1
		.amdhsa_user_sgpr_dispatch_ptr 1
		.amdhsa_user_sgpr_queue_ptr 0
		.amdhsa_user_sgpr_kernarg_segment_ptr 1
		.amdhsa_user_sgpr_dispatch_id 0
		.amdhsa_user_sgpr_flat_scratch_init 1
		.amdhsa_user_sgpr_kernarg_preload_length 0
		.amdhsa_user_sgpr_kernarg_preload_offset 0
		.amdhsa_user_sgpr_private_segment_size 0
		.amdhsa_uses_dynamic_stack 0
		.amdhsa_system_sgpr_private_segment_wavefront_offset 1
		.amdhsa_system_sgpr_workgroup_id_x 1
		.amdhsa_system_sgpr_workgroup_id_y 0
		.amdhsa_system_sgpr_workgroup_id_z 0
		.amdhsa_system_sgpr_workgroup_info 0
		.amdhsa_system_vgpr_workitem_id 2
		.amdhsa_next_free_vgpr 190
		.amdhsa_next_free_sgpr 29
		.amdhsa_accum_offset 192
		.amdhsa_reserve_vcc 1
		.amdhsa_reserve_flat_scratch 1
		.amdhsa_float_round_mode_32 0
		.amdhsa_float_round_mode_16_64 0
		.amdhsa_float_denorm_mode_32 3
		.amdhsa_float_denorm_mode_16_64 3
		.amdhsa_dx10_clamp 1
		.amdhsa_ieee_mode 1
		.amdhsa_fp16_overflow 0
		.amdhsa_tg_split 0
		.amdhsa_exception_fp_ieee_invalid_op 0
		.amdhsa_exception_fp_denorm_src 0
		.amdhsa_exception_fp_ieee_div_zero 0
		.amdhsa_exception_fp_ieee_overflow 0
		.amdhsa_exception_fp_ieee_underflow 0
		.amdhsa_exception_fp_ieee_inexact 0
		.amdhsa_exception_int_div_zero 0
	.end_amdhsa_kernel
	.section	.text._ZN9rocsolver6v33100L18getri_kernel_smallILi17E19rocblas_complex_numIdEPS3_EEvT1_iilPiilS6_bb,"axG",@progbits,_ZN9rocsolver6v33100L18getri_kernel_smallILi17E19rocblas_complex_numIdEPS3_EEvT1_iilPiilS6_bb,comdat
.Lfunc_end16:
	.size	_ZN9rocsolver6v33100L18getri_kernel_smallILi17E19rocblas_complex_numIdEPS3_EEvT1_iilPiilS6_bb, .Lfunc_end16-_ZN9rocsolver6v33100L18getri_kernel_smallILi17E19rocblas_complex_numIdEPS3_EEvT1_iilPiilS6_bb
                                        ; -- End function
	.section	.AMDGPU.csdata,"",@progbits
; Kernel info:
; codeLenInByte = 26896
; NumSgprs: 35
; NumVgprs: 190
; NumAgprs: 0
; TotalNumVgprs: 190
; ScratchSize: 288
; MemoryBound: 0
; FloatMode: 240
; IeeeMode: 1
; LDSByteSize: 1576 bytes/workgroup (compile time only)
; SGPRBlocks: 4
; VGPRBlocks: 23
; NumSGPRsForWavesPerEU: 35
; NumVGPRsForWavesPerEU: 190
; AccumOffset: 192
; Occupancy: 2
; WaveLimiterHint : 1
; COMPUTE_PGM_RSRC2:SCRATCH_EN: 1
; COMPUTE_PGM_RSRC2:USER_SGPR: 10
; COMPUTE_PGM_RSRC2:TRAP_HANDLER: 0
; COMPUTE_PGM_RSRC2:TGID_X_EN: 1
; COMPUTE_PGM_RSRC2:TGID_Y_EN: 0
; COMPUTE_PGM_RSRC2:TGID_Z_EN: 0
; COMPUTE_PGM_RSRC2:TIDIG_COMP_CNT: 2
; COMPUTE_PGM_RSRC3_GFX90A:ACCUM_OFFSET: 47
; COMPUTE_PGM_RSRC3_GFX90A:TG_SPLIT: 0
	.section	.text._ZN9rocsolver6v33100L18getri_kernel_smallILi18E19rocblas_complex_numIdEPS3_EEvT1_iilPiilS6_bb,"axG",@progbits,_ZN9rocsolver6v33100L18getri_kernel_smallILi18E19rocblas_complex_numIdEPS3_EEvT1_iilPiilS6_bb,comdat
	.globl	_ZN9rocsolver6v33100L18getri_kernel_smallILi18E19rocblas_complex_numIdEPS3_EEvT1_iilPiilS6_bb ; -- Begin function _ZN9rocsolver6v33100L18getri_kernel_smallILi18E19rocblas_complex_numIdEPS3_EEvT1_iilPiilS6_bb
	.p2align	8
	.type	_ZN9rocsolver6v33100L18getri_kernel_smallILi18E19rocblas_complex_numIdEPS3_EEvT1_iilPiilS6_bb,@function
_ZN9rocsolver6v33100L18getri_kernel_smallILi18E19rocblas_complex_numIdEPS3_EEvT1_iilPiilS6_bb: ; @_ZN9rocsolver6v33100L18getri_kernel_smallILi18E19rocblas_complex_numIdEPS3_EEvT1_iilPiilS6_bb
; %bb.0:
	s_add_u32 flat_scratch_lo, s8, s11
	s_addc_u32 flat_scratch_hi, s9, 0
	s_add_u32 s0, s0, s11
	v_and_b32_e32 v112, 0x3ff, v0
	s_addc_u32 s1, s1, 0
	v_cmp_gt_u32_e32 vcc, 18, v112
	s_and_saveexec_b64 s[8:9], vcc
	s_cbranch_execz .LBB17_86
; %bb.1:
	s_load_dword s28, s[6:7], 0x38
	s_load_dwordx4 s[20:23], s[6:7], 0x10
	s_load_dwordx4 s[12:15], s[6:7], 0x28
                                        ; implicit-def: $sgpr24_sgpr25
	s_waitcnt lgkmcnt(0)
	s_bitcmp1_b32 s28, 8
	s_cselect_b64 s[26:27], -1, 0
	s_ashr_i32 s11, s10, 31
	s_bfe_u32 s8, s28, 0x10008
	s_cmp_eq_u32 s8, 0
	s_cbranch_scc1 .LBB17_3
; %bb.2:
	s_load_dword s8, s[6:7], 0x20
	s_mul_i32 s9, s10, s13
	s_mul_hi_u32 s13, s10, s12
	s_mul_i32 s16, s11, s12
	s_add_i32 s13, s13, s9
	s_add_i32 s13, s13, s16
	s_mul_i32 s12, s10, s12
	s_waitcnt lgkmcnt(0)
	s_ashr_i32 s9, s8, 31
	s_lshl_b64 s[12:13], s[12:13], 2
	s_add_u32 s12, s22, s12
	s_addc_u32 s13, s23, s13
	s_lshl_b64 s[8:9], s[8:9], 2
	s_add_u32 s24, s12, s8
	s_addc_u32 s25, s13, s9
.LBB17_3:
	s_load_dwordx4 s[16:19], s[6:7], 0x0
	s_mul_i32 s6, s10, s21
	s_mul_hi_u32 s7, s10, s20
	s_add_i32 s8, s7, s6
	s_mul_i32 s9, s11, s20
	s_add_i32 s9, s8, s9
	s_mul_i32 s8, s10, s20
	s_waitcnt lgkmcnt(0)
	s_ashr_i32 s7, s18, 31
	s_lshl_b64 s[8:9], s[8:9], 4
	s_mov_b32 s6, s18
	s_add_u32 s8, s16, s8
	s_addc_u32 s9, s17, s9
	s_lshl_b64 s[6:7], s[6:7], 4
	s_add_u32 s6, s8, s6
	s_addc_u32 s7, s9, s7
	v_lshlrev_b32_e32 v12, 4, v112
	s_mov_b32 s8, s19
	s_ashr_i32 s9, s19, 31
	s_add_i32 s12, s19, s19
	v_mov_b32_e32 v1, s7
	v_add_co_u32_e32 v30, vcc, s6, v12
	s_lshl_b64 s[8:9], s[8:9], 4
	v_add_u32_e32 v6, s12, v112
	v_addc_co_u32_e32 v31, vcc, 0, v1, vcc
	v_mov_b32_e32 v1, s9
	v_ashrrev_i32_e32 v7, 31, v6
	v_add_co_u32_e32 v32, vcc, s8, v30
	v_add_u32_e32 v8, s19, v6
	v_addc_co_u32_e32 v33, vcc, v31, v1, vcc
	v_lshlrev_b64 v[6:7], 4, v[6:7]
	v_mov_b32_e32 v11, s7
	v_ashrrev_i32_e32 v9, 31, v8
	v_add_co_u32_e32 v34, vcc, s6, v6
	v_add_u32_e32 v10, s19, v8
	v_addc_co_u32_e32 v35, vcc, v11, v7, vcc
	v_lshlrev_b64 v[18:19], 4, v[8:9]
	v_mov_b32_e32 v13, s7
	v_ashrrev_i32_e32 v11, 31, v10
	v_add_u32_e32 v26, s19, v10
	v_add_co_u32_e32 v36, vcc, s6, v18
	v_addc_co_u32_e32 v37, vcc, v13, v19, vcc
	v_lshlrev_b64 v[10:11], 4, v[10:11]
	v_add_u32_e32 v28, s19, v26
	v_add_co_u32_e32 v40, vcc, s6, v10
	v_add_u32_e32 v10, s19, v28
	v_add_u32_e32 v48, s19, v10
	;; [unrolled: 1-line block ×11, first 2 shown]
	v_mov_b32_e32 v20, s7
	v_ashrrev_i32_e32 v19, 31, v18
	v_addc_co_u32_e32 v41, vcc, v20, v11, vcc
	v_lshlrev_b64 v[18:19], 4, v[18:19]
	v_mov_b32_e32 v21, s7
	v_add_co_u32_e32 v38, vcc, s6, v18
	v_ashrrev_i32_e32 v27, 31, v26
	v_addc_co_u32_e32 v39, vcc, v21, v19, vcc
	v_lshlrev_b64 v[26:27], 4, v[26:27]
	v_mov_b32_e32 v1, s7
	v_add_co_u32_e32 v42, vcc, s6, v26
	v_ashrrev_i32_e32 v29, 31, v28
	v_addc_co_u32_e32 v43, vcc, v1, v27, vcc
	v_lshlrev_b64 v[26:27], 4, v[28:29]
	v_add_co_u32_e32 v44, vcc, s6, v26
	v_ashrrev_i32_e32 v11, 31, v10
	v_addc_co_u32_e32 v45, vcc, v1, v27, vcc
	v_lshlrev_b64 v[10:11], 4, v[10:11]
	;; [unrolled: 4-line block ×11, first 2 shown]
	global_load_dwordx4 v[2:5], v12, s[6:7]
	global_load_dwordx4 v[6:9], v[32:33], off
	global_load_dwordx4 v[14:17], v[34:35], off
	;; [unrolled: 1-line block ×10, first 2 shown]
	v_add_co_u32_e32 v64, vcc, s6, v10
	global_load_dwordx4 v[94:97], v[58:59], off
	global_load_dwordx4 v[98:101], v[60:61], off
	v_addc_co_u32_e32 v65, vcc, v1, v11, vcc
	global_load_dwordx4 v[86:89], v[54:55], off
	global_load_dwordx4 v[90:93], v[56:57], off
	;; [unrolled: 1-line block ×5, first 2 shown]
	s_waitcnt vmcnt(17)
	buffer_store_dword v5, off, s[0:3], 0 offset:12
	buffer_store_dword v4, off, s[0:3], 0 offset:8
	;; [unrolled: 1-line block ×3, first 2 shown]
	buffer_store_dword v2, off, s[0:3], 0
	s_waitcnt vmcnt(20)
	buffer_store_dword v9, off, s[0:3], 0 offset:28
	buffer_store_dword v8, off, s[0:3], 0 offset:24
	buffer_store_dword v7, off, s[0:3], 0 offset:20
	buffer_store_dword v6, off, s[0:3], 0 offset:16
	s_waitcnt vmcnt(23)
	buffer_store_dword v17, off, s[0:3], 0 offset:44
	buffer_store_dword v16, off, s[0:3], 0 offset:40
	buffer_store_dword v15, off, s[0:3], 0 offset:36
	buffer_store_dword v14, off, s[0:3], 0 offset:32
	;; [unrolled: 5-line block ×12, first 2 shown]
	v_mov_b32_e32 v2, 0
	v_add_u32_e32 v109, 16, v2
	buffer_store_dword v97, off, s[0:3], 0 offset:220
	buffer_store_dword v96, off, s[0:3], 0 offset:216
	buffer_store_dword v95, off, s[0:3], 0 offset:212
	buffer_store_dword v94, off, s[0:3], 0 offset:208
	v_add_u32_e32 v110, 32, v2
	v_add_u32_e32 v111, 48, v2
	;; [unrolled: 1-line block ×4, first 2 shown]
	buffer_store_dword v101, off, s[0:3], 0 offset:236
	buffer_store_dword v100, off, s[0:3], 0 offset:232
	;; [unrolled: 1-line block ×4, first 2 shown]
	v_add_u32_e32 v108, 0x60, v2
	v_add_u32_e32 v102, 0x70, v2
	;; [unrolled: 1-line block ×12, first 2 shown]
	s_bitcmp0_b32 s28, 0
	s_mov_b64 s[8:9], -1
	s_waitcnt vmcnt(62)
	buffer_store_dword v117, off, s[0:3], 0 offset:252
	buffer_store_dword v116, off, s[0:3], 0 offset:248
	;; [unrolled: 1-line block ×4, first 2 shown]
	s_waitcnt vmcnt(62)
	buffer_store_dword v121, off, s[0:3], 0 offset:268
	buffer_store_dword v120, off, s[0:3], 0 offset:264
	;; [unrolled: 1-line block ×8, first 2 shown]
	s_cbranch_scc1 .LBB17_84
; %bb.4:
	v_cmp_eq_u32_e64 s[6:7], 0, v112
	s_and_saveexec_b64 s[8:9], s[6:7]
	s_cbranch_execz .LBB17_6
; %bb.5:
	v_mov_b32_e32 v2, 0
	ds_write_b32 v2, v2 offset:576
.LBB17_6:
	s_or_b64 exec, exec, s[8:9]
	v_mov_b32_e32 v2, 0
	v_lshl_add_u32 v13, v112, 4, v2
	s_waitcnt lgkmcnt(0)
	; wave barrier
	s_waitcnt lgkmcnt(0)
	buffer_load_dword v2, v13, s[0:3], 0 offen
	buffer_load_dword v3, v13, s[0:3], 0 offen offset:4
	buffer_load_dword v4, v13, s[0:3], 0 offen offset:8
	;; [unrolled: 1-line block ×3, first 2 shown]
	s_waitcnt vmcnt(2)
	v_cmp_eq_f64_e32 vcc, 0, v[2:3]
	s_waitcnt vmcnt(0)
	v_cmp_eq_f64_e64 s[8:9], 0, v[4:5]
	s_and_b64 s[8:9], vcc, s[8:9]
	s_and_saveexec_b64 s[12:13], s[8:9]
	s_cbranch_execz .LBB17_10
; %bb.7:
	v_mov_b32_e32 v2, 0
	ds_read_b32 v4, v2 offset:576
	v_add_u32_e32 v3, 1, v112
	s_waitcnt lgkmcnt(0)
	v_readfirstlane_b32 s8, v4
	s_cmp_eq_u32 s8, 0
	s_cselect_b64 s[16:17], -1, 0
	v_cmp_gt_i32_e32 vcc, s8, v3
	s_or_b64 s[16:17], s[16:17], vcc
	s_and_b64 exec, exec, s[16:17]
	s_cbranch_execz .LBB17_10
; %bb.8:
	s_mov_b64 s[16:17], 0
	v_mov_b32_e32 v4, s8
.LBB17_9:                               ; =>This Inner Loop Header: Depth=1
	ds_cmpst_rtn_b32 v4, v2, v4, v3 offset:576
	s_waitcnt lgkmcnt(0)
	v_cmp_ne_u32_e32 vcc, 0, v4
	v_cmp_le_i32_e64 s[8:9], v4, v3
	s_and_b64 s[8:9], vcc, s[8:9]
	s_and_b64 s[8:9], exec, s[8:9]
	s_or_b64 s[16:17], s[8:9], s[16:17]
	s_andn2_b64 exec, exec, s[16:17]
	s_cbranch_execnz .LBB17_9
.LBB17_10:
	s_or_b64 exec, exec, s[12:13]
	v_mov_b32_e32 v3, 0
	s_waitcnt lgkmcnt(0)
	; wave barrier
	ds_read_b32 v2, v3 offset:576
	s_and_saveexec_b64 s[8:9], s[6:7]
	s_cbranch_execz .LBB17_12
; %bb.11:
	s_lshl_b64 s[12:13], s[10:11], 2
	s_add_u32 s12, s14, s12
	s_addc_u32 s13, s15, s13
	s_waitcnt lgkmcnt(0)
	global_store_dword v3, v2, s[12:13]
.LBB17_12:
	s_or_b64 exec, exec, s[8:9]
	s_waitcnt lgkmcnt(0)
	v_cmp_ne_u32_e32 vcc, 0, v2
	s_mov_b64 s[8:9], 0
	s_cbranch_vccnz .LBB17_84
; %bb.13:
	buffer_load_dword v7, v13, s[0:3], 0 offen offset:4
	buffer_load_dword v6, v13, s[0:3], 0 offen
	buffer_load_dword v9, v13, s[0:3], 0 offen offset:12
	buffer_load_dword v8, v13, s[0:3], 0 offen offset:8
                                        ; implicit-def: $vgpr10_vgpr11
	s_waitcnt vmcnt(3)
	v_xor_b32_e32 v3, 0x80000000, v7
	s_waitcnt vmcnt(2)
	v_cmp_gt_f64_e32 vcc, 0, v[6:7]
	s_waitcnt vmcnt(1)
	v_xor_b32_e32 v4, 0x80000000, v9
	v_cndmask_b32_e32 v3, v7, v3, vcc
	s_waitcnt vmcnt(0)
	v_cmp_gt_f64_e32 vcc, 0, v[8:9]
	v_mov_b32_e32 v2, v6
	v_cndmask_b32_e32 v5, v9, v4, vcc
	v_mov_b32_e32 v4, v8
	v_cmp_ngt_f64_e32 vcc, v[2:3], v[4:5]
                                        ; implicit-def: $vgpr4_vgpr5
	s_and_saveexec_b64 s[8:9], vcc
	s_xor_b64 s[8:9], exec, s[8:9]
	s_cbranch_execz .LBB17_15
; %bb.14:
	v_div_scale_f64 v[2:3], s[12:13], v[8:9], v[8:9], v[6:7]
	v_rcp_f64_e32 v[4:5], v[2:3]
	v_div_scale_f64 v[10:11], vcc, v[6:7], v[8:9], v[6:7]
	v_fma_f64 v[14:15], -v[2:3], v[4:5], 1.0
	v_fmac_f64_e32 v[4:5], v[4:5], v[14:15]
	v_fma_f64 v[14:15], -v[2:3], v[4:5], 1.0
	v_fmac_f64_e32 v[4:5], v[4:5], v[14:15]
	v_mul_f64 v[14:15], v[10:11], v[4:5]
	v_fma_f64 v[2:3], -v[2:3], v[14:15], v[10:11]
	v_div_fmas_f64 v[2:3], v[2:3], v[4:5], v[14:15]
	v_div_fixup_f64 v[2:3], v[2:3], v[8:9], v[6:7]
	v_fmac_f64_e32 v[8:9], v[6:7], v[2:3]
	v_div_scale_f64 v[4:5], s[12:13], v[8:9], v[8:9], 1.0
	v_rcp_f64_e32 v[6:7], v[4:5]
	v_fma_f64 v[10:11], -v[4:5], v[6:7], 1.0
	v_fmac_f64_e32 v[6:7], v[6:7], v[10:11]
	v_fma_f64 v[10:11], -v[4:5], v[6:7], 1.0
	v_fmac_f64_e32 v[6:7], v[6:7], v[10:11]
	v_div_scale_f64 v[10:11], vcc, 1.0, v[8:9], 1.0
	v_mul_f64 v[14:15], v[10:11], v[6:7]
	v_fma_f64 v[4:5], -v[4:5], v[14:15], v[10:11]
	s_nop 1
	v_div_fmas_f64 v[4:5], v[4:5], v[6:7], v[14:15]
	v_div_fixup_f64 v[4:5], v[4:5], v[8:9], 1.0
	v_mul_f64 v[10:11], v[2:3], v[4:5]
	v_xor_b32_e32 v5, 0x80000000, v5
	v_xor_b32_e32 v3, 0x80000000, v11
	v_mov_b32_e32 v2, v10
                                        ; implicit-def: $vgpr6_vgpr7
                                        ; implicit-def: $vgpr8_vgpr9
.LBB17_15:
	s_andn2_saveexec_b64 s[8:9], s[8:9]
	s_cbranch_execz .LBB17_17
; %bb.16:
	v_div_scale_f64 v[2:3], s[12:13], v[6:7], v[6:7], v[8:9]
	v_rcp_f64_e32 v[4:5], v[2:3]
	v_div_scale_f64 v[10:11], vcc, v[8:9], v[6:7], v[8:9]
	v_fma_f64 v[14:15], -v[2:3], v[4:5], 1.0
	v_fmac_f64_e32 v[4:5], v[4:5], v[14:15]
	v_fma_f64 v[14:15], -v[2:3], v[4:5], 1.0
	v_fmac_f64_e32 v[4:5], v[4:5], v[14:15]
	v_mul_f64 v[14:15], v[10:11], v[4:5]
	v_fma_f64 v[2:3], -v[2:3], v[14:15], v[10:11]
	v_div_fmas_f64 v[2:3], v[2:3], v[4:5], v[14:15]
	v_div_fixup_f64 v[4:5], v[2:3], v[6:7], v[8:9]
	v_fmac_f64_e32 v[6:7], v[8:9], v[4:5]
	v_div_scale_f64 v[2:3], s[12:13], v[6:7], v[6:7], 1.0
	v_rcp_f64_e32 v[8:9], v[2:3]
	v_fma_f64 v[10:11], -v[2:3], v[8:9], 1.0
	v_fmac_f64_e32 v[8:9], v[8:9], v[10:11]
	v_fma_f64 v[10:11], -v[2:3], v[8:9], 1.0
	v_fmac_f64_e32 v[8:9], v[8:9], v[10:11]
	v_div_scale_f64 v[10:11], vcc, 1.0, v[6:7], 1.0
	v_mul_f64 v[14:15], v[10:11], v[8:9]
	v_fma_f64 v[2:3], -v[2:3], v[14:15], v[10:11]
	s_nop 1
	v_div_fmas_f64 v[2:3], v[2:3], v[8:9], v[14:15]
	v_div_fixup_f64 v[10:11], v[2:3], v[6:7], 1.0
	v_xor_b32_e32 v3, 0x80000000, v11
	v_mov_b32_e32 v2, v10
	v_mul_f64 v[4:5], v[4:5], -v[10:11]
.LBB17_17:
	s_or_b64 exec, exec, s[8:9]
	buffer_store_dword v11, v13, s[0:3], 0 offen offset:4
	buffer_store_dword v10, v13, s[0:3], 0 offen
	buffer_store_dword v5, v13, s[0:3], 0 offen offset:12
	buffer_store_dword v4, v13, s[0:3], 0 offen offset:8
	buffer_load_dword v11, v109, s[0:3], 0 offen offset:12
	s_nop 0
	buffer_load_dword v10, v109, s[0:3], 0 offen offset:8
	buffer_load_dword v9, v109, s[0:3], 0 offen offset:4
	buffer_load_dword v8, v109, s[0:3], 0 offen
	v_xor_b32_e32 v5, 0x80000000, v5
	v_add_u32_e32 v6, 0x120, v12
	ds_write_b128 v12, v[2:5]
	s_waitcnt vmcnt(0)
	ds_write_b128 v12, v[8:11] offset:288
	s_waitcnt lgkmcnt(0)
	; wave barrier
	s_waitcnt lgkmcnt(0)
	s_and_saveexec_b64 s[8:9], s[6:7]
	s_cbranch_execz .LBB17_19
; %bb.18:
	buffer_load_dword v14, v13, s[0:3], 0 offen offset:8
	buffer_load_dword v15, v13, s[0:3], 0 offen offset:12
	buffer_load_dword v16, v13, s[0:3], 0 offen
	buffer_load_dword v17, v13, s[0:3], 0 offen offset:4
	ds_read_b128 v[2:5], v6
	v_mov_b32_e32 v7, 0
	ds_read_b128 v[8:11], v7 offset:16
	s_waitcnt vmcnt(2) lgkmcnt(1)
	v_mul_f64 v[18:19], v[4:5], v[14:15]
	v_mul_f64 v[14:15], v[2:3], v[14:15]
	s_waitcnt vmcnt(0)
	v_fmac_f64_e32 v[14:15], v[4:5], v[16:17]
	v_fma_f64 v[2:3], v[2:3], v[16:17], -v[18:19]
	v_add_f64 v[4:5], v[14:15], 0
	v_add_f64 v[2:3], v[2:3], 0
	s_waitcnt lgkmcnt(0)
	v_mul_f64 v[14:15], v[4:5], v[10:11]
	v_mul_f64 v[10:11], v[2:3], v[10:11]
	v_fma_f64 v[2:3], v[2:3], v[8:9], -v[14:15]
	v_fmac_f64_e32 v[10:11], v[4:5], v[8:9]
	buffer_store_dword v2, off, s[0:3], 0 offset:16
	buffer_store_dword v3, off, s[0:3], 0 offset:20
	;; [unrolled: 1-line block ×4, first 2 shown]
.LBB17_19:
	s_or_b64 exec, exec, s[8:9]
	s_waitcnt lgkmcnt(0)
	; wave barrier
	buffer_load_dword v2, v110, s[0:3], 0 offen
	buffer_load_dword v3, v110, s[0:3], 0 offen offset:4
	buffer_load_dword v4, v110, s[0:3], 0 offen offset:8
	;; [unrolled: 1-line block ×3, first 2 shown]
	v_cmp_gt_u32_e32 vcc, 2, v112
	s_waitcnt vmcnt(0)
	ds_write_b128 v6, v[2:5]
	s_waitcnt lgkmcnt(0)
	; wave barrier
	s_waitcnt lgkmcnt(0)
	s_and_saveexec_b64 s[8:9], vcc
	s_cbranch_execz .LBB17_23
; %bb.20:
	buffer_load_dword v8, v13, s[0:3], 0 offen offset:8
	buffer_load_dword v9, v13, s[0:3], 0 offen offset:12
	buffer_load_dword v10, v13, s[0:3], 0 offen
	buffer_load_dword v11, v13, s[0:3], 0 offen offset:4
	ds_read_b128 v[2:5], v6
	s_waitcnt vmcnt(2) lgkmcnt(0)
	v_mul_f64 v[14:15], v[4:5], v[8:9]
	v_mul_f64 v[8:9], v[2:3], v[8:9]
	s_waitcnt vmcnt(0)
	v_fma_f64 v[2:3], v[2:3], v[10:11], -v[14:15]
	v_fmac_f64_e32 v[8:9], v[4:5], v[10:11]
	v_add_f64 v[4:5], v[2:3], 0
	v_add_f64 v[2:3], v[8:9], 0
	s_and_saveexec_b64 s[12:13], s[6:7]
	s_cbranch_execz .LBB17_22
; %bb.21:
	buffer_load_dword v14, off, s[0:3], 0 offset:24
	buffer_load_dword v15, off, s[0:3], 0 offset:28
	;; [unrolled: 1-line block ×4, first 2 shown]
	v_mov_b32_e32 v7, 0
	ds_read_b128 v[8:11], v7 offset:304
	s_waitcnt vmcnt(2) lgkmcnt(0)
	v_mul_f64 v[18:19], v[8:9], v[14:15]
	v_mul_f64 v[14:15], v[10:11], v[14:15]
	s_waitcnt vmcnt(0)
	v_fmac_f64_e32 v[18:19], v[10:11], v[16:17]
	v_fma_f64 v[8:9], v[8:9], v[16:17], -v[14:15]
	v_add_f64 v[2:3], v[2:3], v[18:19]
	v_add_f64 v[4:5], v[4:5], v[8:9]
.LBB17_22:
	s_or_b64 exec, exec, s[12:13]
	v_mov_b32_e32 v7, 0
	ds_read_b128 v[8:11], v7 offset:32
	s_waitcnt lgkmcnt(0)
	v_mul_f64 v[14:15], v[2:3], v[10:11]
	v_mul_f64 v[10:11], v[4:5], v[10:11]
	v_fma_f64 v[4:5], v[4:5], v[8:9], -v[14:15]
	v_fmac_f64_e32 v[10:11], v[2:3], v[8:9]
	buffer_store_dword v5, off, s[0:3], 0 offset:36
	buffer_store_dword v4, off, s[0:3], 0 offset:32
	;; [unrolled: 1-line block ×4, first 2 shown]
.LBB17_23:
	s_or_b64 exec, exec, s[8:9]
	s_waitcnt lgkmcnt(0)
	; wave barrier
	buffer_load_dword v2, v111, s[0:3], 0 offen
	buffer_load_dword v3, v111, s[0:3], 0 offen offset:4
	buffer_load_dword v4, v111, s[0:3], 0 offen offset:8
	;; [unrolled: 1-line block ×3, first 2 shown]
	v_cmp_gt_u32_e32 vcc, 3, v112
	v_add_u32_e32 v7, -1, v112
	s_waitcnt vmcnt(0)
	ds_write_b128 v6, v[2:5]
	s_waitcnt lgkmcnt(0)
	; wave barrier
	s_waitcnt lgkmcnt(0)
	s_and_saveexec_b64 s[6:7], vcc
	s_cbranch_execz .LBB17_27
; %bb.24:
	v_pk_mov_b32 v[2:3], 0, 0
	v_add_u32_e32 v8, -1, v112
	v_add_u32_e32 v9, 0x120, v12
	v_add_u32_e32 v10, 0, v12
	s_mov_b64 s[8:9], 0
	v_pk_mov_b32 v[4:5], v[2:3], v[2:3] op_sel:[0,1]
.LBB17_25:                              ; =>This Inner Loop Header: Depth=1
	buffer_load_dword v18, v10, s[0:3], 0 offen offset:8
	buffer_load_dword v19, v10, s[0:3], 0 offen offset:12
	buffer_load_dword v20, v10, s[0:3], 0 offen
	buffer_load_dword v21, v10, s[0:3], 0 offen offset:4
	ds_read_b128 v[14:17], v9
	v_add_u32_e32 v8, 1, v8
	v_cmp_lt_u32_e32 vcc, 1, v8
	v_add_u32_e32 v9, 16, v9
	v_add_u32_e32 v10, 16, v10
	s_or_b64 s[8:9], vcc, s[8:9]
	s_waitcnt vmcnt(2) lgkmcnt(0)
	v_mul_f64 v[22:23], v[16:17], v[18:19]
	v_mul_f64 v[18:19], v[14:15], v[18:19]
	s_waitcnt vmcnt(0)
	v_fma_f64 v[14:15], v[14:15], v[20:21], -v[22:23]
	v_fmac_f64_e32 v[18:19], v[16:17], v[20:21]
	v_add_f64 v[4:5], v[4:5], v[14:15]
	v_add_f64 v[2:3], v[2:3], v[18:19]
	s_andn2_b64 exec, exec, s[8:9]
	s_cbranch_execnz .LBB17_25
; %bb.26:
	s_or_b64 exec, exec, s[8:9]
	v_mov_b32_e32 v8, 0
	ds_read_b128 v[8:11], v8 offset:48
	s_waitcnt lgkmcnt(0)
	v_mul_f64 v[14:15], v[2:3], v[10:11]
	v_mul_f64 v[10:11], v[4:5], v[10:11]
	v_fma_f64 v[4:5], v[4:5], v[8:9], -v[14:15]
	v_fmac_f64_e32 v[10:11], v[2:3], v[8:9]
	buffer_store_dword v5, off, s[0:3], 0 offset:52
	buffer_store_dword v4, off, s[0:3], 0 offset:48
	buffer_store_dword v11, off, s[0:3], 0 offset:60
	buffer_store_dword v10, off, s[0:3], 0 offset:56
.LBB17_27:
	s_or_b64 exec, exec, s[6:7]
	s_waitcnt lgkmcnt(0)
	; wave barrier
	buffer_load_dword v2, v106, s[0:3], 0 offen
	buffer_load_dword v3, v106, s[0:3], 0 offen offset:4
	buffer_load_dword v4, v106, s[0:3], 0 offen offset:8
	buffer_load_dword v5, v106, s[0:3], 0 offen offset:12
	v_cmp_gt_u32_e32 vcc, 4, v112
	s_waitcnt vmcnt(0)
	ds_write_b128 v6, v[2:5]
	s_waitcnt lgkmcnt(0)
	; wave barrier
	s_waitcnt lgkmcnt(0)
	s_and_saveexec_b64 s[6:7], vcc
	s_cbranch_execz .LBB17_31
; %bb.28:
	v_pk_mov_b32 v[2:3], 0, 0
	v_add_u32_e32 v8, -1, v112
	v_add_u32_e32 v9, 0x120, v12
	v_add_u32_e32 v10, 0, v12
	s_mov_b64 s[8:9], 0
	v_pk_mov_b32 v[4:5], v[2:3], v[2:3] op_sel:[0,1]
.LBB17_29:                              ; =>This Inner Loop Header: Depth=1
	buffer_load_dword v18, v10, s[0:3], 0 offen offset:8
	buffer_load_dword v19, v10, s[0:3], 0 offen offset:12
	buffer_load_dword v20, v10, s[0:3], 0 offen
	buffer_load_dword v21, v10, s[0:3], 0 offen offset:4
	ds_read_b128 v[14:17], v9
	v_add_u32_e32 v8, 1, v8
	v_cmp_lt_u32_e32 vcc, 2, v8
	v_add_u32_e32 v9, 16, v9
	v_add_u32_e32 v10, 16, v10
	s_or_b64 s[8:9], vcc, s[8:9]
	s_waitcnt vmcnt(2) lgkmcnt(0)
	v_mul_f64 v[22:23], v[16:17], v[18:19]
	v_mul_f64 v[18:19], v[14:15], v[18:19]
	s_waitcnt vmcnt(0)
	v_fma_f64 v[14:15], v[14:15], v[20:21], -v[22:23]
	v_fmac_f64_e32 v[18:19], v[16:17], v[20:21]
	v_add_f64 v[4:5], v[4:5], v[14:15]
	v_add_f64 v[2:3], v[2:3], v[18:19]
	s_andn2_b64 exec, exec, s[8:9]
	s_cbranch_execnz .LBB17_29
; %bb.30:
	s_or_b64 exec, exec, s[8:9]
	v_mov_b32_e32 v8, 0
	ds_read_b128 v[8:11], v8 offset:64
	s_waitcnt lgkmcnt(0)
	v_mul_f64 v[14:15], v[2:3], v[10:11]
	v_mul_f64 v[10:11], v[4:5], v[10:11]
	v_fma_f64 v[4:5], v[4:5], v[8:9], -v[14:15]
	v_fmac_f64_e32 v[10:11], v[2:3], v[8:9]
	buffer_store_dword v5, off, s[0:3], 0 offset:68
	buffer_store_dword v4, off, s[0:3], 0 offset:64
	buffer_store_dword v11, off, s[0:3], 0 offset:76
	buffer_store_dword v10, off, s[0:3], 0 offset:72
.LBB17_31:
	s_or_b64 exec, exec, s[6:7]
	s_waitcnt lgkmcnt(0)
	; wave barrier
	buffer_load_dword v2, v107, s[0:3], 0 offen
	buffer_load_dword v3, v107, s[0:3], 0 offen offset:4
	buffer_load_dword v4, v107, s[0:3], 0 offen offset:8
	buffer_load_dword v5, v107, s[0:3], 0 offen offset:12
	v_cmp_gt_u32_e32 vcc, 5, v112
	;; [unrolled: 57-line block ×13, first 2 shown]
	s_waitcnt vmcnt(0)
	ds_write_b128 v6, v[2:5]
	s_waitcnt lgkmcnt(0)
	; wave barrier
	s_waitcnt lgkmcnt(0)
	s_and_saveexec_b64 s[6:7], vcc
	s_cbranch_execz .LBB17_79
; %bb.76:
	v_pk_mov_b32 v[2:3], 0, 0
	v_add_u32_e32 v8, -1, v112
	v_add_u32_e32 v9, 0x120, v12
	v_add_u32_e32 v10, 0, v12
	s_mov_b64 s[8:9], 0
	v_pk_mov_b32 v[4:5], v[2:3], v[2:3] op_sel:[0,1]
.LBB17_77:                              ; =>This Inner Loop Header: Depth=1
	buffer_load_dword v18, v10, s[0:3], 0 offen offset:8
	buffer_load_dword v19, v10, s[0:3], 0 offen offset:12
	buffer_load_dword v20, v10, s[0:3], 0 offen
	buffer_load_dword v21, v10, s[0:3], 0 offen offset:4
	ds_read_b128 v[14:17], v9
	v_add_u32_e32 v8, 1, v8
	v_cmp_lt_u32_e32 vcc, 14, v8
	v_add_u32_e32 v9, 16, v9
	v_add_u32_e32 v10, 16, v10
	s_or_b64 s[8:9], vcc, s[8:9]
	s_waitcnt vmcnt(2) lgkmcnt(0)
	v_mul_f64 v[22:23], v[16:17], v[18:19]
	v_mul_f64 v[18:19], v[14:15], v[18:19]
	s_waitcnt vmcnt(0)
	v_fma_f64 v[14:15], v[14:15], v[20:21], -v[22:23]
	v_fmac_f64_e32 v[18:19], v[16:17], v[20:21]
	v_add_f64 v[4:5], v[4:5], v[14:15]
	v_add_f64 v[2:3], v[2:3], v[18:19]
	s_andn2_b64 exec, exec, s[8:9]
	s_cbranch_execnz .LBB17_77
; %bb.78:
	s_or_b64 exec, exec, s[8:9]
	v_mov_b32_e32 v8, 0
	ds_read_b128 v[8:11], v8 offset:256
	s_waitcnt lgkmcnt(0)
	v_mul_f64 v[14:15], v[2:3], v[10:11]
	v_mul_f64 v[10:11], v[4:5], v[10:11]
	v_fma_f64 v[4:5], v[4:5], v[8:9], -v[14:15]
	v_fmac_f64_e32 v[10:11], v[2:3], v[8:9]
	buffer_store_dword v5, off, s[0:3], 0 offset:260
	buffer_store_dword v4, off, s[0:3], 0 offset:256
	;; [unrolled: 1-line block ×4, first 2 shown]
.LBB17_79:
	s_or_b64 exec, exec, s[6:7]
	s_waitcnt lgkmcnt(0)
	; wave barrier
	buffer_load_dword v2, v97, s[0:3], 0 offen
	buffer_load_dword v3, v97, s[0:3], 0 offen offset:4
	buffer_load_dword v4, v97, s[0:3], 0 offen offset:8
	;; [unrolled: 1-line block ×3, first 2 shown]
	v_cmp_ne_u32_e32 vcc, 17, v112
	s_waitcnt vmcnt(0)
	ds_write_b128 v6, v[2:5]
	s_waitcnt lgkmcnt(0)
	; wave barrier
	s_waitcnt lgkmcnt(0)
	s_and_saveexec_b64 s[6:7], vcc
	s_cbranch_execz .LBB17_83
; %bb.80:
	v_pk_mov_b32 v[2:3], 0, 0
	v_add_u32_e32 v6, 0x120, v12
	v_add_u32_e32 v8, 0, v12
	s_mov_b64 s[8:9], 0
	v_pk_mov_b32 v[4:5], v[2:3], v[2:3] op_sel:[0,1]
.LBB17_81:                              ; =>This Inner Loop Header: Depth=1
	buffer_load_dword v14, v8, s[0:3], 0 offen offset:8
	buffer_load_dword v15, v8, s[0:3], 0 offen offset:12
	buffer_load_dword v16, v8, s[0:3], 0 offen
	buffer_load_dword v17, v8, s[0:3], 0 offen offset:4
	ds_read_b128 v[10:13], v6
	v_add_u32_e32 v7, 1, v7
	v_cmp_lt_u32_e32 vcc, 15, v7
	v_add_u32_e32 v6, 16, v6
	v_add_u32_e32 v8, 16, v8
	s_or_b64 s[8:9], vcc, s[8:9]
	s_waitcnt vmcnt(2) lgkmcnt(0)
	v_mul_f64 v[18:19], v[12:13], v[14:15]
	v_mul_f64 v[14:15], v[10:11], v[14:15]
	s_waitcnt vmcnt(0)
	v_fma_f64 v[10:11], v[10:11], v[16:17], -v[18:19]
	v_fmac_f64_e32 v[14:15], v[12:13], v[16:17]
	v_add_f64 v[4:5], v[4:5], v[10:11]
	v_add_f64 v[2:3], v[2:3], v[14:15]
	s_andn2_b64 exec, exec, s[8:9]
	s_cbranch_execnz .LBB17_81
; %bb.82:
	s_or_b64 exec, exec, s[8:9]
	v_mov_b32_e32 v6, 0
	ds_read_b128 v[6:9], v6 offset:272
	s_waitcnt lgkmcnt(0)
	v_mul_f64 v[10:11], v[2:3], v[8:9]
	v_mul_f64 v[8:9], v[4:5], v[8:9]
	v_fma_f64 v[4:5], v[4:5], v[6:7], -v[10:11]
	v_fmac_f64_e32 v[8:9], v[2:3], v[6:7]
	buffer_store_dword v5, off, s[0:3], 0 offset:276
	buffer_store_dword v4, off, s[0:3], 0 offset:272
	;; [unrolled: 1-line block ×4, first 2 shown]
.LBB17_83:
	s_or_b64 exec, exec, s[6:7]
	s_mov_b64 s[8:9], -1
	s_waitcnt lgkmcnt(0)
	; wave barrier
.LBB17_84:
	s_and_b64 vcc, exec, s[8:9]
	s_cbranch_vccz .LBB17_86
; %bb.85:
	s_lshl_b64 s[6:7], s[10:11], 2
	s_add_u32 s6, s14, s6
	s_addc_u32 s7, s15, s7
	v_mov_b32_e32 v2, 0
	global_load_dword v2, v2, s[6:7]
	s_waitcnt vmcnt(0)
	v_cmp_ne_u32_e32 vcc, 0, v2
	s_cbranch_vccz .LBB17_87
.LBB17_86:
	s_endpgm
.LBB17_87:
	v_mov_b32_e32 v2, 0x120
	v_lshl_add_u32 v113, v112, 4, v2
	v_cmp_eq_u32_e32 vcc, 17, v112
	s_and_saveexec_b64 s[6:7], vcc
	s_cbranch_execz .LBB17_89
; %bb.88:
	buffer_load_dword v2, v1, s[0:3], 0 offen
	buffer_load_dword v3, v1, s[0:3], 0 offen offset:4
	buffer_load_dword v4, v1, s[0:3], 0 offen offset:8
	;; [unrolled: 1-line block ×3, first 2 shown]
	v_mov_b32_e32 v6, 0
	buffer_store_dword v6, off, s[0:3], 0 offset:256
	buffer_store_dword v6, off, s[0:3], 0 offset:260
	;; [unrolled: 1-line block ×4, first 2 shown]
	s_waitcnt vmcnt(4)
	ds_write_b128 v113, v[2:5]
.LBB17_89:
	s_or_b64 exec, exec, s[6:7]
	s_waitcnt lgkmcnt(0)
	; wave barrier
	s_waitcnt lgkmcnt(0)
	buffer_load_dword v8, off, s[0:3], 0 offset:280
	buffer_load_dword v9, off, s[0:3], 0 offset:284
	;; [unrolled: 1-line block ×8, first 2 shown]
	v_mov_b32_e32 v2, 0
	ds_read_b128 v[4:7], v2 offset:560
	v_cmp_lt_u32_e32 vcc, 15, v112
	s_waitcnt vmcnt(6) lgkmcnt(0)
	v_mul_f64 v[16:17], v[4:5], v[8:9]
	v_mul_f64 v[8:9], v[6:7], v[8:9]
	s_waitcnt vmcnt(4)
	v_fma_f64 v[4:5], v[4:5], v[10:11], -v[8:9]
	v_fmac_f64_e32 v[16:17], v[6:7], v[10:11]
	v_add_f64 v[4:5], v[4:5], 0
	v_add_f64 v[6:7], v[16:17], 0
	s_waitcnt vmcnt(2)
	v_add_f64 v[4:5], v[12:13], -v[4:5]
	s_waitcnt vmcnt(0)
	v_add_f64 v[6:7], v[14:15], -v[6:7]
	buffer_store_dword v4, off, s[0:3], 0 offset:256
	buffer_store_dword v5, off, s[0:3], 0 offset:260
	;; [unrolled: 1-line block ×4, first 2 shown]
	s_and_saveexec_b64 s[6:7], vcc
	s_cbranch_execz .LBB17_91
; %bb.90:
	buffer_load_dword v4, v96, s[0:3], 0 offen
	buffer_load_dword v5, v96, s[0:3], 0 offen offset:4
	buffer_load_dword v6, v96, s[0:3], 0 offen offset:8
	;; [unrolled: 1-line block ×3, first 2 shown]
	s_nop 0
	buffer_store_dword v2, off, s[0:3], 0 offset:240
	buffer_store_dword v2, off, s[0:3], 0 offset:244
	;; [unrolled: 1-line block ×4, first 2 shown]
	s_waitcnt vmcnt(4)
	ds_write_b128 v113, v[4:7]
.LBB17_91:
	s_or_b64 exec, exec, s[6:7]
	s_waitcnt lgkmcnt(0)
	; wave barrier
	s_waitcnt lgkmcnt(0)
	buffer_load_dword v12, off, s[0:3], 0 offset:264
	buffer_load_dword v13, off, s[0:3], 0 offset:268
	;; [unrolled: 1-line block ×12, first 2 shown]
	ds_read_b128 v[4:7], v2 offset:544
	ds_read_b128 v[8:11], v2 offset:560
	v_cmp_lt_u32_e32 vcc, 14, v112
	s_waitcnt vmcnt(10) lgkmcnt(1)
	v_mul_f64 v[2:3], v[4:5], v[12:13]
	v_mul_f64 v[12:13], v[6:7], v[12:13]
	s_waitcnt vmcnt(8) lgkmcnt(0)
	v_mul_f64 v[24:25], v[8:9], v[14:15]
	v_mul_f64 v[14:15], v[10:11], v[14:15]
	s_waitcnt vmcnt(6)
	v_fma_f64 v[4:5], v[4:5], v[16:17], -v[12:13]
	v_fmac_f64_e32 v[2:3], v[6:7], v[16:17]
	s_waitcnt vmcnt(4)
	v_fma_f64 v[6:7], v[8:9], v[18:19], -v[14:15]
	v_add_f64 v[4:5], v[4:5], 0
	v_fmac_f64_e32 v[24:25], v[10:11], v[18:19]
	v_add_f64 v[2:3], v[2:3], 0
	v_add_f64 v[4:5], v[4:5], v[6:7]
	;; [unrolled: 1-line block ×3, first 2 shown]
	s_waitcnt vmcnt(2)
	v_add_f64 v[4:5], v[20:21], -v[4:5]
	s_waitcnt vmcnt(0)
	v_add_f64 v[2:3], v[22:23], -v[2:3]
	buffer_store_dword v4, off, s[0:3], 0 offset:240
	buffer_store_dword v5, off, s[0:3], 0 offset:244
	;; [unrolled: 1-line block ×4, first 2 shown]
	s_and_saveexec_b64 s[6:7], vcc
	s_cbranch_execz .LBB17_93
; %bb.92:
	buffer_load_dword v2, v101, s[0:3], 0 offen
	buffer_load_dword v3, v101, s[0:3], 0 offen offset:4
	buffer_load_dword v4, v101, s[0:3], 0 offen offset:8
	;; [unrolled: 1-line block ×3, first 2 shown]
	v_mov_b32_e32 v6, 0
	buffer_store_dword v6, off, s[0:3], 0 offset:224
	buffer_store_dword v6, off, s[0:3], 0 offset:228
	;; [unrolled: 1-line block ×4, first 2 shown]
	s_waitcnt vmcnt(4)
	ds_write_b128 v113, v[2:5]
.LBB17_93:
	s_or_b64 exec, exec, s[6:7]
	s_waitcnt lgkmcnt(0)
	; wave barrier
	s_waitcnt lgkmcnt(0)
	buffer_load_dword v16, off, s[0:3], 0 offset:248
	buffer_load_dword v17, off, s[0:3], 0 offset:252
	;; [unrolled: 1-line block ×16, first 2 shown]
	v_mov_b32_e32 v2, 0
	ds_read_b128 v[4:7], v2 offset:528
	ds_read_b128 v[8:11], v2 offset:544
	;; [unrolled: 1-line block ×3, first 2 shown]
	v_cmp_lt_u32_e32 vcc, 13, v112
	s_waitcnt vmcnt(14) lgkmcnt(2)
	v_mul_f64 v[68:69], v[4:5], v[16:17]
	v_mul_f64 v[16:17], v[6:7], v[16:17]
	s_waitcnt vmcnt(12) lgkmcnt(1)
	v_mul_f64 v[70:71], v[8:9], v[18:19]
	v_mul_f64 v[18:19], v[10:11], v[18:19]
	;; [unrolled: 3-line block ×3, first 2 shown]
	s_waitcnt vmcnt(8)
	v_fma_f64 v[4:5], v[4:5], v[22:23], -v[16:17]
	v_fmac_f64_e32 v[68:69], v[6:7], v[22:23]
	s_waitcnt vmcnt(6)
	v_fma_f64 v[6:7], v[8:9], v[24:25], -v[18:19]
	v_add_f64 v[4:5], v[4:5], 0
	v_fmac_f64_e32 v[70:71], v[10:11], v[24:25]
	s_waitcnt vmcnt(4)
	v_fma_f64 v[8:9], v[12:13], v[26:27], -v[20:21]
	v_add_f64 v[10:11], v[68:69], 0
	v_add_f64 v[4:5], v[4:5], v[6:7]
	v_fmac_f64_e32 v[72:73], v[14:15], v[26:27]
	v_add_f64 v[10:11], v[10:11], v[70:71]
	v_add_f64 v[4:5], v[4:5], v[8:9]
	;; [unrolled: 1-line block ×3, first 2 shown]
	s_waitcnt vmcnt(2)
	v_add_f64 v[4:5], v[28:29], -v[4:5]
	s_waitcnt vmcnt(0)
	v_add_f64 v[6:7], v[66:67], -v[6:7]
	buffer_store_dword v4, off, s[0:3], 0 offset:224
	buffer_store_dword v5, off, s[0:3], 0 offset:228
	;; [unrolled: 1-line block ×4, first 2 shown]
	s_and_saveexec_b64 s[6:7], vcc
	s_cbranch_execz .LBB17_95
; %bb.94:
	buffer_load_dword v4, v100, s[0:3], 0 offen
	buffer_load_dword v5, v100, s[0:3], 0 offen offset:4
	buffer_load_dword v6, v100, s[0:3], 0 offen offset:8
	;; [unrolled: 1-line block ×3, first 2 shown]
	s_nop 0
	buffer_store_dword v2, off, s[0:3], 0 offset:208
	buffer_store_dword v2, off, s[0:3], 0 offset:212
	;; [unrolled: 1-line block ×4, first 2 shown]
	s_waitcnt vmcnt(4)
	ds_write_b128 v113, v[4:7]
.LBB17_95:
	s_or_b64 exec, exec, s[6:7]
	s_waitcnt lgkmcnt(0)
	; wave barrier
	s_waitcnt lgkmcnt(0)
	buffer_load_dword v20, off, s[0:3], 0 offset:232
	buffer_load_dword v21, off, s[0:3], 0 offset:236
	;; [unrolled: 1-line block ×20, first 2 shown]
	ds_read_b128 v[4:7], v2 offset:512
	ds_read_b128 v[8:11], v2 offset:528
	;; [unrolled: 1-line block ×4, first 2 shown]
	v_cmp_lt_u32_e32 vcc, 12, v112
	s_waitcnt vmcnt(18) lgkmcnt(3)
	v_mul_f64 v[2:3], v[4:5], v[20:21]
	v_mul_f64 v[20:21], v[6:7], v[20:21]
	s_waitcnt vmcnt(16) lgkmcnt(2)
	v_mul_f64 v[76:77], v[8:9], v[22:23]
	v_mul_f64 v[22:23], v[10:11], v[22:23]
	;; [unrolled: 3-line block ×4, first 2 shown]
	s_waitcnt vmcnt(10)
	v_fma_f64 v[4:5], v[4:5], v[28:29], -v[20:21]
	v_fmac_f64_e32 v[2:3], v[6:7], v[28:29]
	s_waitcnt vmcnt(8)
	v_fma_f64 v[6:7], v[8:9], v[66:67], -v[22:23]
	v_add_f64 v[4:5], v[4:5], 0
	v_fmac_f64_e32 v[76:77], v[10:11], v[66:67]
	s_waitcnt vmcnt(6)
	v_fma_f64 v[8:9], v[12:13], v[68:69], -v[24:25]
	v_add_f64 v[2:3], v[2:3], 0
	v_add_f64 v[4:5], v[4:5], v[6:7]
	v_fmac_f64_e32 v[78:79], v[14:15], v[68:69]
	s_waitcnt vmcnt(4)
	v_fma_f64 v[10:11], v[16:17], v[70:71], -v[26:27]
	v_add_f64 v[2:3], v[2:3], v[76:77]
	v_add_f64 v[4:5], v[4:5], v[8:9]
	v_fmac_f64_e32 v[80:81], v[18:19], v[70:71]
	v_add_f64 v[2:3], v[2:3], v[78:79]
	v_add_f64 v[4:5], v[4:5], v[10:11]
	;; [unrolled: 1-line block ×3, first 2 shown]
	s_waitcnt vmcnt(2)
	v_add_f64 v[4:5], v[72:73], -v[4:5]
	s_waitcnt vmcnt(0)
	v_add_f64 v[2:3], v[74:75], -v[2:3]
	buffer_store_dword v4, off, s[0:3], 0 offset:208
	buffer_store_dword v5, off, s[0:3], 0 offset:212
	;; [unrolled: 1-line block ×4, first 2 shown]
	s_and_saveexec_b64 s[6:7], vcc
	s_cbranch_execz .LBB17_97
; %bb.96:
	buffer_load_dword v2, v99, s[0:3], 0 offen
	buffer_load_dword v3, v99, s[0:3], 0 offen offset:4
	buffer_load_dword v4, v99, s[0:3], 0 offen offset:8
	;; [unrolled: 1-line block ×3, first 2 shown]
	v_mov_b32_e32 v6, 0
	buffer_store_dword v6, off, s[0:3], 0 offset:192
	buffer_store_dword v6, off, s[0:3], 0 offset:196
	;; [unrolled: 1-line block ×4, first 2 shown]
	s_waitcnt vmcnt(4)
	ds_write_b128 v113, v[2:5]
.LBB17_97:
	s_or_b64 exec, exec, s[6:7]
	s_waitcnt lgkmcnt(0)
	; wave barrier
	s_waitcnt lgkmcnt(0)
	buffer_load_dword v24, off, s[0:3], 0 offset:216
	buffer_load_dword v25, off, s[0:3], 0 offset:220
	;; [unrolled: 1-line block ×24, first 2 shown]
	v_mov_b32_e32 v2, 0
	ds_read_b128 v[4:7], v2 offset:496
	ds_read_b128 v[8:11], v2 offset:512
	;; [unrolled: 1-line block ×5, first 2 shown]
	v_cmp_lt_u32_e32 vcc, 11, v112
	s_waitcnt vmcnt(22) lgkmcnt(4)
	v_mul_f64 v[84:85], v[4:5], v[24:25]
	v_mul_f64 v[24:25], v[6:7], v[24:25]
	s_waitcnt vmcnt(20) lgkmcnt(3)
	v_mul_f64 v[86:87], v[8:9], v[26:27]
	v_mul_f64 v[26:27], v[10:11], v[26:27]
	;; [unrolled: 3-line block ×4, first 2 shown]
	s_waitcnt vmcnt(13) lgkmcnt(0)
	v_mul_f64 v[92:93], v[20:21], v[66:67]
	s_waitcnt vmcnt(11)
	v_fma_f64 v[4:5], v[4:5], v[72:73], -v[24:25]
	v_fmac_f64_e32 v[84:85], v[6:7], v[72:73]
	s_waitcnt vmcnt(9)
	v_fma_f64 v[6:7], v[8:9], v[74:75], -v[26:27]
	v_add_f64 v[4:5], v[4:5], 0
	v_fmac_f64_e32 v[86:87], v[10:11], v[74:75]
	s_waitcnt vmcnt(7)
	v_fmac_f64_e32 v[88:89], v[14:15], v[76:77]
	v_fma_f64 v[8:9], v[12:13], v[76:77], -v[28:29]
	v_add_f64 v[14:15], v[84:85], 0
	v_add_f64 v[4:5], v[4:5], v[6:7]
	v_mul_f64 v[66:67], v[22:23], v[66:67]
	s_waitcnt vmcnt(5)
	v_fma_f64 v[10:11], v[16:17], v[78:79], -v[70:71]
	v_add_f64 v[14:15], v[14:15], v[86:87]
	v_add_f64 v[4:5], v[4:5], v[8:9]
	v_fmac_f64_e32 v[90:91], v[18:19], v[78:79]
	s_waitcnt vmcnt(4)
	v_fma_f64 v[12:13], v[20:21], v[68:69], -v[66:67]
	v_add_f64 v[6:7], v[14:15], v[88:89]
	v_add_f64 v[4:5], v[4:5], v[10:11]
	v_fmac_f64_e32 v[92:93], v[22:23], v[68:69]
	v_add_f64 v[6:7], v[6:7], v[90:91]
	v_add_f64 v[4:5], v[4:5], v[12:13]
	;; [unrolled: 1-line block ×3, first 2 shown]
	s_waitcnt vmcnt(2)
	v_add_f64 v[4:5], v[80:81], -v[4:5]
	s_waitcnt vmcnt(0)
	v_add_f64 v[6:7], v[82:83], -v[6:7]
	buffer_store_dword v5, off, s[0:3], 0 offset:196
	buffer_store_dword v4, off, s[0:3], 0 offset:192
	;; [unrolled: 1-line block ×4, first 2 shown]
	s_and_saveexec_b64 s[6:7], vcc
	s_cbranch_execz .LBB17_99
; %bb.98:
	buffer_load_dword v4, v98, s[0:3], 0 offen
	buffer_load_dword v5, v98, s[0:3], 0 offen offset:4
	buffer_load_dword v6, v98, s[0:3], 0 offen offset:8
	;; [unrolled: 1-line block ×3, first 2 shown]
	s_nop 0
	buffer_store_dword v2, off, s[0:3], 0 offset:176
	buffer_store_dword v2, off, s[0:3], 0 offset:180
	;; [unrolled: 1-line block ×4, first 2 shown]
	s_waitcnt vmcnt(4)
	ds_write_b128 v113, v[4:7]
.LBB17_99:
	s_or_b64 exec, exec, s[6:7]
	s_waitcnt lgkmcnt(0)
	; wave barrier
	s_waitcnt lgkmcnt(0)
	buffer_load_dword v28, off, s[0:3], 0 offset:200
	buffer_load_dword v29, off, s[0:3], 0 offset:204
	;; [unrolled: 1-line block ×28, first 2 shown]
	ds_read_b128 v[4:7], v2 offset:480
	ds_read_b128 v[8:11], v2 offset:496
	ds_read_b128 v[12:15], v2 offset:512
	ds_read_b128 v[16:19], v2 offset:528
	ds_read_b128 v[20:23], v2 offset:544
	ds_read_b128 v[24:27], v2 offset:560
	v_cmp_lt_u32_e32 vcc, 10, v112
	s_waitcnt vmcnt(26) lgkmcnt(5)
	v_mul_f64 v[2:3], v[4:5], v[28:29]
	v_mul_f64 v[28:29], v[6:7], v[28:29]
	s_waitcnt vmcnt(24) lgkmcnt(4)
	v_mul_f64 v[92:93], v[8:9], v[66:67]
	v_mul_f64 v[66:67], v[10:11], v[66:67]
	;; [unrolled: 3-line block ×4, first 2 shown]
	s_waitcnt vmcnt(17)
	v_mul_f64 v[114:115], v[16:17], v[74:75]
	v_mul_f64 v[74:75], v[18:19], v[74:75]
	s_waitcnt vmcnt(15) lgkmcnt(0)
	v_mul_f64 v[118:119], v[24:25], v[76:77]
	v_mul_f64 v[76:77], v[26:27], v[76:77]
	s_waitcnt vmcnt(14)
	v_fmac_f64_e32 v[116:117], v[22:23], v[72:73]
	s_waitcnt vmcnt(12)
	v_fma_f64 v[4:5], v[4:5], v[78:79], -v[28:29]
	v_fmac_f64_e32 v[2:3], v[6:7], v[78:79]
	s_waitcnt vmcnt(10)
	v_fma_f64 v[6:7], v[8:9], v[80:81], -v[66:67]
	v_add_f64 v[4:5], v[4:5], 0
	v_fmac_f64_e32 v[92:93], v[10:11], v[80:81]
	s_waitcnt vmcnt(8)
	v_fma_f64 v[8:9], v[12:13], v[82:83], -v[68:69]
	v_add_f64 v[2:3], v[2:3], 0
	v_add_f64 v[4:5], v[4:5], v[6:7]
	v_fmac_f64_e32 v[94:95], v[14:15], v[82:83]
	s_waitcnt vmcnt(6)
	v_fma_f64 v[10:11], v[16:17], v[84:85], -v[74:75]
	v_add_f64 v[2:3], v[2:3], v[92:93]
	v_add_f64 v[4:5], v[4:5], v[8:9]
	v_fmac_f64_e32 v[114:115], v[18:19], v[84:85]
	v_fma_f64 v[12:13], v[20:21], v[72:73], -v[70:71]
	v_add_f64 v[2:3], v[2:3], v[94:95]
	v_add_f64 v[4:5], v[4:5], v[10:11]
	s_waitcnt vmcnt(4)
	v_fma_f64 v[14:15], v[24:25], v[86:87], -v[76:77]
	v_add_f64 v[2:3], v[2:3], v[114:115]
	v_add_f64 v[4:5], v[4:5], v[12:13]
	v_fmac_f64_e32 v[118:119], v[26:27], v[86:87]
	v_add_f64 v[2:3], v[2:3], v[116:117]
	v_add_f64 v[4:5], v[4:5], v[14:15]
	;; [unrolled: 1-line block ×3, first 2 shown]
	s_waitcnt vmcnt(2)
	v_add_f64 v[4:5], v[88:89], -v[4:5]
	s_waitcnt vmcnt(0)
	v_add_f64 v[2:3], v[90:91], -v[2:3]
	buffer_store_dword v5, off, s[0:3], 0 offset:180
	buffer_store_dword v4, off, s[0:3], 0 offset:176
	;; [unrolled: 1-line block ×4, first 2 shown]
	s_and_saveexec_b64 s[6:7], vcc
	s_cbranch_execz .LBB17_101
; %bb.100:
	buffer_load_dword v2, v105, s[0:3], 0 offen
	buffer_load_dword v3, v105, s[0:3], 0 offen offset:4
	buffer_load_dword v4, v105, s[0:3], 0 offen offset:8
	;; [unrolled: 1-line block ×3, first 2 shown]
	v_mov_b32_e32 v6, 0
	buffer_store_dword v6, off, s[0:3], 0 offset:160
	buffer_store_dword v6, off, s[0:3], 0 offset:164
	buffer_store_dword v6, off, s[0:3], 0 offset:168
	buffer_store_dword v6, off, s[0:3], 0 offset:172
	s_waitcnt vmcnt(4)
	ds_write_b128 v113, v[2:5]
.LBB17_101:
	s_or_b64 exec, exec, s[6:7]
	v_mov_b32_e32 v6, 0
	s_waitcnt lgkmcnt(0)
	; wave barrier
	s_waitcnt lgkmcnt(0)
	ds_read_b128 v[8:11], v6 offset:464
	ds_read_b128 v[12:15], v6 offset:480
	;; [unrolled: 1-line block ×4, first 2 shown]
	buffer_load_dword v4, off, s[0:3], 0 offset:160
	buffer_load_dword v5, off, s[0:3], 0 offset:164
	;; [unrolled: 1-line block ×20, first 2 shown]
	v_cmp_lt_u32_e32 vcc, 9, v112
	s_waitcnt vmcnt(12) lgkmcnt(3)
	v_mul_f64 v[24:25], v[8:9], v[74:75]
	v_fmac_f64_e32 v[24:25], v[10:11], v[28:29]
	v_add_f64 v[24:25], v[24:25], 0
	v_mul_f64 v[10:11], v[10:11], v[74:75]
	s_waitcnt vmcnt(8) lgkmcnt(2)
	v_mul_f64 v[26:27], v[12:13], v[78:79]
	v_fmac_f64_e32 v[26:27], v[14:15], v[76:77]
	v_add_f64 v[24:25], v[24:25], v[26:27]
	v_fma_f64 v[8:9], v[8:9], v[28:29], -v[10:11]
	s_waitcnt vmcnt(4) lgkmcnt(1)
	v_mul_f64 v[26:27], v[16:17], v[82:83]
	v_fmac_f64_e32 v[26:27], v[18:19], v[80:81]
	v_add_f64 v[24:25], v[24:25], v[26:27]
	s_waitcnt vmcnt(0) lgkmcnt(0)
	v_mul_f64 v[26:27], v[20:21], v[86:87]
	v_fmac_f64_e32 v[26:27], v[22:23], v[84:85]
	v_add_f64 v[66:67], v[24:25], v[26:27]
	ds_read_b128 v[24:27], v6 offset:528
	buffer_load_dword v89, off, s[0:3], 0 offset:244
	buffer_load_dword v88, off, s[0:3], 0 offset:240
	buffer_load_dword v91, off, s[0:3], 0 offset:252
	buffer_load_dword v90, off, s[0:3], 0 offset:248
	v_mul_f64 v[10:11], v[14:15], v[78:79]
	v_add_f64 v[8:9], v[8:9], 0
	v_fma_f64 v[10:11], v[12:13], v[76:77], -v[10:11]
	v_add_f64 v[8:9], v[8:9], v[10:11]
	v_mul_f64 v[10:11], v[18:19], v[82:83]
	v_fma_f64 v[10:11], v[16:17], v[80:81], -v[10:11]
	v_add_f64 v[8:9], v[8:9], v[10:11]
	v_mul_f64 v[10:11], v[22:23], v[86:87]
	v_fma_f64 v[10:11], v[20:21], v[84:85], -v[10:11]
	v_add_f64 v[8:9], v[8:9], v[10:11]
	s_waitcnt vmcnt(0) lgkmcnt(0)
	v_mul_f64 v[68:69], v[24:25], v[90:91]
	v_fmac_f64_e32 v[68:69], v[26:27], v[88:89]
	v_add_f64 v[70:71], v[66:67], v[68:69]
	ds_read_b128 v[66:69], v6 offset:544
	buffer_load_dword v93, off, s[0:3], 0 offset:260
	buffer_load_dword v92, off, s[0:3], 0 offset:256
	;; [unrolled: 1-line block ×4, first 2 shown]
	v_mul_f64 v[10:11], v[26:27], v[90:91]
	v_fma_f64 v[10:11], v[24:25], v[88:89], -v[10:11]
	v_add_f64 v[8:9], v[8:9], v[10:11]
	s_waitcnt vmcnt(0) lgkmcnt(0)
	v_mul_f64 v[72:73], v[66:67], v[94:95]
	v_fmac_f64_e32 v[72:73], v[68:69], v[92:93]
	v_add_f64 v[114:115], v[70:71], v[72:73]
	ds_read_b128 v[70:73], v6 offset:560
	buffer_load_dword v117, off, s[0:3], 0 offset:276
	buffer_load_dword v116, off, s[0:3], 0 offset:272
	;; [unrolled: 1-line block ×4, first 2 shown]
	v_mul_f64 v[10:11], v[68:69], v[94:95]
	v_fma_f64 v[10:11], v[66:67], v[92:93], -v[10:11]
	v_add_f64 v[8:9], v[8:9], v[10:11]
	s_waitcnt vmcnt(0) lgkmcnt(0)
	v_mul_f64 v[10:11], v[72:73], v[118:119]
	v_mul_f64 v[120:121], v[70:71], v[118:119]
	v_fma_f64 v[10:11], v[70:71], v[116:117], -v[10:11]
	v_fmac_f64_e32 v[120:121], v[72:73], v[116:117]
	v_add_f64 v[8:9], v[8:9], v[10:11]
	v_add_f64 v[114:115], v[114:115], v[120:121]
	v_add_f64 v[4:5], v[4:5], -v[8:9]
	v_add_f64 v[2:3], v[2:3], -v[114:115]
	buffer_store_dword v5, off, s[0:3], 0 offset:164
	buffer_store_dword v4, off, s[0:3], 0 offset:160
	;; [unrolled: 1-line block ×4, first 2 shown]
	s_and_saveexec_b64 s[6:7], vcc
	s_cbranch_execz .LBB17_103
; %bb.102:
	buffer_load_dword v2, v103, s[0:3], 0 offen
	buffer_load_dword v3, v103, s[0:3], 0 offen offset:4
	buffer_load_dword v4, v103, s[0:3], 0 offen offset:8
	;; [unrolled: 1-line block ×3, first 2 shown]
	s_nop 0
	buffer_store_dword v6, off, s[0:3], 0 offset:144
	buffer_store_dword v6, off, s[0:3], 0 offset:148
	;; [unrolled: 1-line block ×4, first 2 shown]
	s_waitcnt vmcnt(4)
	ds_write_b128 v113, v[2:5]
.LBB17_103:
	s_or_b64 exec, exec, s[6:7]
	s_waitcnt lgkmcnt(0)
	; wave barrier
	s_waitcnt lgkmcnt(0)
	buffer_load_dword v28, off, s[0:3], 0 offset:168
	buffer_load_dword v29, off, s[0:3], 0 offset:172
	;; [unrolled: 1-line block ×36, first 2 shown]
	ds_read_b128 v[2:5], v6 offset:448
	ds_read_b128 v[8:11], v6 offset:464
	;; [unrolled: 1-line block ×8, first 2 shown]
	v_cmp_lt_u32_e32 vcc, 8, v112
	s_waitcnt vmcnt(34) lgkmcnt(7)
	v_mul_f64 v[6:7], v[2:3], v[28:29]
	v_mul_f64 v[28:29], v[4:5], v[28:29]
	s_waitcnt vmcnt(32) lgkmcnt(6)
	v_mul_f64 v[126:127], v[8:9], v[74:75]
	v_mul_f64 v[74:75], v[10:11], v[74:75]
	;; [unrolled: 3-line block ×4, first 2 shown]
	s_waitcnt vmcnt(25)
	v_mul_f64 v[130:131], v[16:17], v[82:83]
	v_mul_f64 v[82:83], v[18:19], v[82:83]
	s_waitcnt vmcnt(23) lgkmcnt(1)
	v_mul_f64 v[136:137], v[66:67], v[84:85]
	v_mul_f64 v[84:85], v[68:69], v[84:85]
	s_waitcnt vmcnt(20)
	v_mul_f64 v[134:135], v[24:25], v[88:89]
	v_mul_f64 v[88:89], v[26:27], v[88:89]
	s_waitcnt vmcnt(18) lgkmcnt(0)
	v_mul_f64 v[138:139], v[70:71], v[90:91]
	s_waitcnt vmcnt(17)
	v_fmac_f64_e32 v[132:133], v[22:23], v[80:81]
	s_waitcnt vmcnt(16)
	v_fmac_f64_e32 v[136:137], v[68:69], v[86:87]
	s_waitcnt vmcnt(14)
	v_fma_f64 v[2:3], v[2:3], v[92:93], -v[28:29]
	v_fmac_f64_e32 v[6:7], v[4:5], v[92:93]
	s_waitcnt vmcnt(12)
	v_fma_f64 v[4:5], v[8:9], v[94:95], -v[74:75]
	v_add_f64 v[2:3], v[2:3], 0
	v_fmac_f64_e32 v[126:127], v[10:11], v[94:95]
	s_waitcnt vmcnt(10)
	v_fma_f64 v[8:9], v[12:13], v[114:115], -v[76:77]
	v_add_f64 v[6:7], v[6:7], 0
	v_add_f64 v[2:3], v[2:3], v[4:5]
	v_fmac_f64_e32 v[128:129], v[14:15], v[114:115]
	s_waitcnt vmcnt(8)
	v_fma_f64 v[10:11], v[16:17], v[116:117], -v[82:83]
	v_add_f64 v[6:7], v[6:7], v[126:127]
	v_add_f64 v[2:3], v[2:3], v[8:9]
	v_fmac_f64_e32 v[130:131], v[18:19], v[116:117]
	v_fma_f64 v[12:13], v[20:21], v[80:81], -v[78:79]
	v_add_f64 v[4:5], v[6:7], v[128:129]
	v_add_f64 v[2:3], v[2:3], v[10:11]
	s_waitcnt vmcnt(6)
	v_fma_f64 v[14:15], v[24:25], v[118:119], -v[88:89]
	v_add_f64 v[4:5], v[4:5], v[130:131]
	v_add_f64 v[2:3], v[2:3], v[12:13]
	v_fmac_f64_e32 v[134:135], v[26:27], v[118:119]
	v_fma_f64 v[16:17], v[66:67], v[86:87], -v[84:85]
	v_add_f64 v[4:5], v[4:5], v[132:133]
	v_add_f64 v[2:3], v[2:3], v[14:15]
	v_mul_f64 v[6:7], v[72:73], v[90:91]
	v_add_f64 v[4:5], v[4:5], v[134:135]
	v_add_f64 v[2:3], v[2:3], v[16:17]
	s_waitcnt vmcnt(4)
	v_fma_f64 v[6:7], v[70:71], v[120:121], -v[6:7]
	v_fmac_f64_e32 v[138:139], v[72:73], v[120:121]
	v_add_f64 v[4:5], v[4:5], v[136:137]
	v_add_f64 v[2:3], v[2:3], v[6:7]
	;; [unrolled: 1-line block ×3, first 2 shown]
	s_waitcnt vmcnt(2)
	v_add_f64 v[2:3], v[122:123], -v[2:3]
	s_waitcnt vmcnt(0)
	v_add_f64 v[4:5], v[124:125], -v[4:5]
	buffer_store_dword v3, off, s[0:3], 0 offset:148
	buffer_store_dword v2, off, s[0:3], 0 offset:144
	;; [unrolled: 1-line block ×4, first 2 shown]
	s_and_saveexec_b64 s[6:7], vcc
	s_cbranch_execz .LBB17_105
; %bb.104:
	buffer_load_dword v2, v104, s[0:3], 0 offen
	buffer_load_dword v3, v104, s[0:3], 0 offen offset:4
	buffer_load_dword v4, v104, s[0:3], 0 offen offset:8
	;; [unrolled: 1-line block ×3, first 2 shown]
	v_mov_b32_e32 v6, 0
	buffer_store_dword v6, off, s[0:3], 0 offset:128
	buffer_store_dword v6, off, s[0:3], 0 offset:132
	;; [unrolled: 1-line block ×4, first 2 shown]
	s_waitcnt vmcnt(4)
	ds_write_b128 v113, v[2:5]
.LBB17_105:
	s_or_b64 exec, exec, s[6:7]
	s_waitcnt lgkmcnt(0)
	; wave barrier
	s_waitcnt lgkmcnt(0)
	buffer_load_dword v28, off, s[0:3], 0 offset:152
	buffer_load_dword v29, off, s[0:3], 0 offset:156
	;; [unrolled: 1-line block ×40, first 2 shown]
	v_mov_b32_e32 v6, 0
	ds_read_b128 v[2:5], v6 offset:432
	ds_read_b128 v[8:11], v6 offset:448
	;; [unrolled: 1-line block ×9, first 2 shown]
	v_cmp_lt_u32_e32 vcc, 7, v112
	s_waitcnt vmcnt(38) lgkmcnt(8)
	v_mul_f64 v[134:135], v[2:3], v[28:29]
	v_mul_f64 v[28:29], v[4:5], v[28:29]
	s_waitcnt vmcnt(36) lgkmcnt(7)
	v_mul_f64 v[136:137], v[8:9], v[78:79]
	v_mul_f64 v[78:79], v[10:11], v[78:79]
	s_waitcnt vmcnt(34) lgkmcnt(6)
	v_mul_f64 v[138:139], v[12:13], v[80:81]
	v_mul_f64 v[80:81], v[14:15], v[80:81]
	s_waitcnt vmcnt(32) lgkmcnt(4)
	v_mul_f64 v[142:143], v[20:21], v[82:83]
	s_waitcnt vmcnt(30)
	v_fmac_f64_e32 v[142:143], v[22:23], v[84:85]
	s_waitcnt vmcnt(28)
	v_mul_f64 v[140:141], v[16:17], v[86:87]
	v_mul_f64 v[86:87], v[18:19], v[86:87]
	s_waitcnt vmcnt(26) lgkmcnt(2)
	v_mul_f64 v[146:147], v[66:67], v[88:89]
	s_waitcnt vmcnt(24)
	v_fmac_f64_e32 v[146:147], v[68:69], v[90:91]
	s_waitcnt vmcnt(22)
	v_mul_f64 v[144:145], v[24:25], v[92:93]
	s_waitcnt vmcnt(18) lgkmcnt(1)
	v_mul_f64 v[148:149], v[70:71], v[116:117]
	s_waitcnt vmcnt(17) lgkmcnt(0)
	v_mul_f64 v[150:151], v[74:75], v[94:95]
	s_waitcnt vmcnt(15)
	v_fma_f64 v[2:3], v[2:3], v[118:119], -v[28:29]
	v_fmac_f64_e32 v[134:135], v[4:5], v[118:119]
	s_waitcnt vmcnt(13)
	v_fma_f64 v[4:5], v[8:9], v[120:121], -v[78:79]
	v_add_f64 v[2:3], v[2:3], 0
	s_waitcnt vmcnt(11)
	v_fma_f64 v[8:9], v[12:13], v[122:123], -v[80:81]
	v_add_f64 v[2:3], v[2:3], v[4:5]
	v_fmac_f64_e32 v[136:137], v[10:11], v[120:121]
	s_waitcnt vmcnt(9)
	v_fma_f64 v[10:11], v[16:17], v[124:125], -v[86:87]
	v_add_f64 v[2:3], v[2:3], v[8:9]
	v_mul_f64 v[8:9], v[22:23], v[82:83]
	v_add_f64 v[2:3], v[2:3], v[10:11]
	v_fma_f64 v[8:9], v[20:21], v[84:85], -v[8:9]
	v_add_f64 v[2:3], v[2:3], v[8:9]
	v_mul_f64 v[8:9], v[26:27], v[92:93]
	v_add_f64 v[12:13], v[134:135], 0
	s_waitcnt vmcnt(7)
	v_fma_f64 v[8:9], v[24:25], v[126:127], -v[8:9]
	v_fmac_f64_e32 v[138:139], v[14:15], v[122:123]
	v_add_f64 v[12:13], v[12:13], v[136:137]
	v_add_f64 v[2:3], v[2:3], v[8:9]
	v_mul_f64 v[8:9], v[68:69], v[88:89]
	v_fmac_f64_e32 v[140:141], v[18:19], v[124:125]
	v_add_f64 v[4:5], v[12:13], v[138:139]
	v_fma_f64 v[8:9], v[66:67], v[90:91], -v[8:9]
	v_add_f64 v[4:5], v[4:5], v[140:141]
	v_add_f64 v[2:3], v[2:3], v[8:9]
	v_mul_f64 v[8:9], v[72:73], v[116:117]
	v_fmac_f64_e32 v[144:145], v[26:27], v[126:127]
	v_add_f64 v[4:5], v[4:5], v[142:143]
	s_waitcnt vmcnt(5)
	v_fma_f64 v[8:9], v[70:71], v[128:129], -v[8:9]
	v_add_f64 v[4:5], v[4:5], v[144:145]
	v_add_f64 v[2:3], v[2:3], v[8:9]
	v_mul_f64 v[8:9], v[76:77], v[94:95]
	v_fmac_f64_e32 v[148:149], v[72:73], v[128:129]
	v_add_f64 v[4:5], v[4:5], v[146:147]
	s_waitcnt vmcnt(4)
	v_fma_f64 v[8:9], v[74:75], v[114:115], -v[8:9]
	v_fmac_f64_e32 v[150:151], v[76:77], v[114:115]
	v_add_f64 v[4:5], v[4:5], v[148:149]
	v_add_f64 v[2:3], v[2:3], v[8:9]
	;; [unrolled: 1-line block ×3, first 2 shown]
	s_waitcnt vmcnt(2)
	v_add_f64 v[2:3], v[130:131], -v[2:3]
	s_waitcnt vmcnt(0)
	v_add_f64 v[4:5], v[132:133], -v[4:5]
	buffer_store_dword v3, off, s[0:3], 0 offset:132
	buffer_store_dword v2, off, s[0:3], 0 offset:128
	;; [unrolled: 1-line block ×4, first 2 shown]
	s_and_saveexec_b64 s[6:7], vcc
	s_cbranch_execz .LBB17_107
; %bb.106:
	buffer_load_dword v2, v102, s[0:3], 0 offen
	buffer_load_dword v3, v102, s[0:3], 0 offen offset:4
	buffer_load_dword v4, v102, s[0:3], 0 offen offset:8
	;; [unrolled: 1-line block ×3, first 2 shown]
	s_nop 0
	buffer_store_dword v6, off, s[0:3], 0 offset:112
	buffer_store_dword v6, off, s[0:3], 0 offset:116
	buffer_store_dword v6, off, s[0:3], 0 offset:120
	buffer_store_dword v6, off, s[0:3], 0 offset:124
	s_waitcnt vmcnt(4)
	ds_write_b128 v113, v[2:5]
.LBB17_107:
	s_or_b64 exec, exec, s[6:7]
	s_waitcnt lgkmcnt(0)
	; wave barrier
	s_waitcnt lgkmcnt(0)
	buffer_load_dword v4, off, s[0:3], 0 offset:128
	buffer_load_dword v5, off, s[0:3], 0 offset:132
	buffer_load_dword v28, off, s[0:3], 0 offset:136
	buffer_load_dword v29, off, s[0:3], 0 offset:140
	buffer_load_dword v86, off, s[0:3], 0 offset:152
	buffer_load_dword v87, off, s[0:3], 0 offset:156
	buffer_load_dword v2, off, s[0:3], 0 offset:168
	buffer_load_dword v3, off, s[0:3], 0 offset:172
	buffer_load_dword v89, off, s[0:3], 0 offset:204
	buffer_load_dword v88, off, s[0:3], 0 offset:200
	buffer_load_dword v91, off, s[0:3], 0 offset:196
	buffer_load_dword v90, off, s[0:3], 0 offset:192
	buffer_load_dword v93, off, s[0:3], 0 offset:188
	buffer_load_dword v92, off, s[0:3], 0 offset:184
	buffer_load_dword v95, off, s[0:3], 0 offset:236
	buffer_load_dword v94, off, s[0:3], 0 offset:232
	buffer_load_dword v115, off, s[0:3], 0 offset:228
	buffer_load_dword v114, off, s[0:3], 0 offset:224
	buffer_load_dword v117, off, s[0:3], 0 offset:220
	buffer_load_dword v116, off, s[0:3], 0 offset:216
	buffer_load_dword v119, off, s[0:3], 0 offset:268
	buffer_load_dword v118, off, s[0:3], 0 offset:264
	buffer_load_dword v121, off, s[0:3], 0 offset:260
	buffer_load_dword v120, off, s[0:3], 0 offset:256
	buffer_load_dword v123, off, s[0:3], 0 offset:252
	buffer_load_dword v122, off, s[0:3], 0 offset:248
	buffer_load_dword v125, off, s[0:3], 0 offset:284
	buffer_load_dword v124, off, s[0:3], 0 offset:280
	buffer_load_dword v126, off, s[0:3], 0 offset:144
	buffer_load_dword v127, off, s[0:3], 0 offset:148
	buffer_load_dword v128, off, s[0:3], 0 offset:160
	buffer_load_dword v129, off, s[0:3], 0 offset:164
	buffer_load_dword v131, off, s[0:3], 0 offset:180
	buffer_load_dword v130, off, s[0:3], 0 offset:176
	buffer_load_dword v133, off, s[0:3], 0 offset:212
	buffer_load_dword v132, off, s[0:3], 0 offset:208
	buffer_load_dword v135, off, s[0:3], 0 offset:244
	buffer_load_dword v134, off, s[0:3], 0 offset:240
	buffer_load_dword v137, off, s[0:3], 0 offset:276
	buffer_load_dword v136, off, s[0:3], 0 offset:272
	buffer_load_dword v138, off, s[0:3], 0 offset:112
	buffer_load_dword v139, off, s[0:3], 0 offset:116
	buffer_load_dword v140, off, s[0:3], 0 offset:120
	buffer_load_dword v141, off, s[0:3], 0 offset:124
	ds_read_b128 v[8:11], v6 offset:416
	ds_read_b128 v[12:15], v6 offset:432
	;; [unrolled: 1-line block ×10, first 2 shown]
	v_cmp_lt_u32_e32 vcc, 6, v112
	s_waitcnt vmcnt(40) lgkmcnt(9)
	v_mul_f64 v[6:7], v[8:9], v[28:29]
	v_mul_f64 v[28:29], v[10:11], v[28:29]
	s_waitcnt vmcnt(38) lgkmcnt(8)
	v_mul_f64 v[142:143], v[12:13], v[86:87]
	v_mul_f64 v[86:87], v[14:15], v[86:87]
	v_fmac_f64_e32 v[6:7], v[10:11], v[4:5]
	v_fma_f64 v[4:5], v[8:9], v[4:5], -v[28:29]
	s_waitcnt vmcnt(36) lgkmcnt(7)
	v_mul_f64 v[144:145], v[16:17], v[2:3]
	v_add_f64 v[4:5], v[4:5], 0
	v_mul_f64 v[2:3], v[18:19], v[2:3]
	v_add_f64 v[6:7], v[6:7], 0
	s_waitcnt vmcnt(30) lgkmcnt(6)
	v_mul_f64 v[146:147], v[20:21], v[92:93]
	s_waitcnt lgkmcnt(5)
	v_mul_f64 v[148:149], v[24:25], v[88:89]
	v_fmac_f64_e32 v[148:149], v[26:27], v[90:91]
	s_waitcnt vmcnt(28) lgkmcnt(3)
	v_mul_f64 v[152:153], v[70:71], v[94:95]
	s_waitcnt vmcnt(26)
	v_fmac_f64_e32 v[152:153], v[72:73], v[114:115]
	s_waitcnt vmcnt(24)
	v_mul_f64 v[150:151], v[66:67], v[116:117]
	s_waitcnt vmcnt(22) lgkmcnt(1)
	v_mul_f64 v[156:157], v[78:79], v[118:119]
	s_waitcnt vmcnt(20)
	v_fmac_f64_e32 v[156:157], v[80:81], v[120:121]
	s_waitcnt vmcnt(18)
	v_mul_f64 v[154:155], v[74:75], v[122:123]
	s_waitcnt vmcnt(16) lgkmcnt(0)
	v_mul_f64 v[158:159], v[82:83], v[124:125]
	s_waitcnt vmcnt(14)
	v_fma_f64 v[8:9], v[12:13], v[126:127], -v[86:87]
	v_add_f64 v[4:5], v[4:5], v[8:9]
	s_waitcnt vmcnt(12)
	v_fma_f64 v[2:3], v[16:17], v[128:129], -v[2:3]
	v_add_f64 v[2:3], v[4:5], v[2:3]
	v_mul_f64 v[4:5], v[22:23], v[92:93]
	s_waitcnt vmcnt(10)
	v_fma_f64 v[4:5], v[20:21], v[130:131], -v[4:5]
	v_add_f64 v[2:3], v[2:3], v[4:5]
	v_mul_f64 v[4:5], v[26:27], v[88:89]
	v_fma_f64 v[4:5], v[24:25], v[90:91], -v[4:5]
	v_add_f64 v[2:3], v[2:3], v[4:5]
	v_mul_f64 v[4:5], v[68:69], v[116:117]
	s_waitcnt vmcnt(8)
	v_fma_f64 v[4:5], v[66:67], v[132:133], -v[4:5]
	v_fmac_f64_e32 v[142:143], v[14:15], v[126:127]
	v_add_f64 v[2:3], v[2:3], v[4:5]
	v_mul_f64 v[4:5], v[72:73], v[94:95]
	v_fmac_f64_e32 v[144:145], v[18:19], v[128:129]
	v_add_f64 v[6:7], v[6:7], v[142:143]
	v_fma_f64 v[4:5], v[70:71], v[114:115], -v[4:5]
	v_fmac_f64_e32 v[146:147], v[22:23], v[130:131]
	v_add_f64 v[6:7], v[6:7], v[144:145]
	v_add_f64 v[2:3], v[2:3], v[4:5]
	v_mul_f64 v[4:5], v[76:77], v[122:123]
	v_add_f64 v[6:7], v[6:7], v[146:147]
	s_waitcnt vmcnt(6)
	v_fma_f64 v[4:5], v[74:75], v[134:135], -v[4:5]
	v_fmac_f64_e32 v[150:151], v[68:69], v[132:133]
	v_add_f64 v[6:7], v[6:7], v[148:149]
	v_add_f64 v[2:3], v[2:3], v[4:5]
	v_mul_f64 v[4:5], v[80:81], v[118:119]
	v_add_f64 v[6:7], v[6:7], v[150:151]
	v_fma_f64 v[4:5], v[78:79], v[120:121], -v[4:5]
	v_fmac_f64_e32 v[154:155], v[76:77], v[134:135]
	v_add_f64 v[6:7], v[6:7], v[152:153]
	v_add_f64 v[2:3], v[2:3], v[4:5]
	v_mul_f64 v[4:5], v[84:85], v[124:125]
	v_add_f64 v[6:7], v[6:7], v[154:155]
	s_waitcnt vmcnt(4)
	v_fma_f64 v[4:5], v[82:83], v[136:137], -v[4:5]
	v_fmac_f64_e32 v[158:159], v[84:85], v[136:137]
	v_add_f64 v[6:7], v[6:7], v[156:157]
	v_add_f64 v[2:3], v[2:3], v[4:5]
	;; [unrolled: 1-line block ×3, first 2 shown]
	s_waitcnt vmcnt(2)
	v_add_f64 v[2:3], v[138:139], -v[2:3]
	s_waitcnt vmcnt(0)
	v_add_f64 v[4:5], v[140:141], -v[6:7]
	buffer_store_dword v3, off, s[0:3], 0 offset:116
	buffer_store_dword v2, off, s[0:3], 0 offset:112
	;; [unrolled: 1-line block ×4, first 2 shown]
	s_and_saveexec_b64 s[6:7], vcc
	s_cbranch_execz .LBB17_109
; %bb.108:
	buffer_load_dword v2, v108, s[0:3], 0 offen
	buffer_load_dword v3, v108, s[0:3], 0 offen offset:4
	buffer_load_dword v4, v108, s[0:3], 0 offen offset:8
	buffer_load_dword v5, v108, s[0:3], 0 offen offset:12
	v_mov_b32_e32 v6, 0
	buffer_store_dword v6, off, s[0:3], 0 offset:96
	buffer_store_dword v6, off, s[0:3], 0 offset:100
	;; [unrolled: 1-line block ×4, first 2 shown]
	s_waitcnt vmcnt(4)
	ds_write_b128 v113, v[2:5]
.LBB17_109:
	s_or_b64 exec, exec, s[6:7]
	v_mov_b32_e32 v114, 0
	s_waitcnt lgkmcnt(0)
	; wave barrier
	s_waitcnt lgkmcnt(0)
	ds_read_b128 v[14:17], v114 offset:400
	ds_read_b128 v[10:13], v114 offset:416
	;; [unrolled: 1-line block ×4, first 2 shown]
	buffer_load_dword v68, off, s[0:3], 0 offset:96
	buffer_load_dword v69, off, s[0:3], 0 offset:100
	;; [unrolled: 1-line block ×20, first 2 shown]
	v_cmp_lt_u32_e32 vcc, 5, v112
	s_waitcnt vmcnt(12) lgkmcnt(3)
	v_mul_f64 v[18:19], v[14:15], v[76:77]
	v_fmac_f64_e32 v[18:19], v[16:17], v[70:71]
	v_add_f64 v[18:19], v[18:19], 0
	v_mul_f64 v[16:17], v[16:17], v[76:77]
	s_waitcnt vmcnt(8) lgkmcnt(2)
	v_mul_f64 v[20:21], v[10:11], v[78:79]
	v_fmac_f64_e32 v[20:21], v[12:13], v[72:73]
	v_add_f64 v[18:19], v[18:19], v[20:21]
	v_fma_f64 v[14:15], v[14:15], v[70:71], -v[16:17]
	s_waitcnt vmcnt(4) lgkmcnt(1)
	v_mul_f64 v[20:21], v[6:7], v[80:81]
	v_fmac_f64_e32 v[20:21], v[8:9], v[74:75]
	v_add_f64 v[18:19], v[18:19], v[20:21]
	s_waitcnt vmcnt(0) lgkmcnt(0)
	v_mul_f64 v[20:21], v[2:3], v[84:85]
	v_fmac_f64_e32 v[20:21], v[4:5], v[82:83]
	v_add_f64 v[22:23], v[18:19], v[20:21]
	ds_read_b128 v[18:21], v114 offset:464
	buffer_load_dword v87, off, s[0:3], 0 offset:180
	buffer_load_dword v86, off, s[0:3], 0 offset:176
	;; [unrolled: 1-line block ×4, first 2 shown]
	v_mul_f64 v[12:13], v[12:13], v[78:79]
	v_add_f64 v[14:15], v[14:15], 0
	v_fma_f64 v[10:11], v[10:11], v[72:73], -v[12:13]
	v_mul_f64 v[8:9], v[8:9], v[80:81]
	v_add_f64 v[10:11], v[14:15], v[10:11]
	v_fma_f64 v[6:7], v[6:7], v[74:75], -v[8:9]
	;; [unrolled: 3-line block ×3, first 2 shown]
	v_add_f64 v[2:3], v[6:7], v[2:3]
	s_waitcnt vmcnt(0) lgkmcnt(0)
	v_mul_f64 v[24:25], v[18:19], v[88:89]
	v_fmac_f64_e32 v[24:25], v[20:21], v[86:87]
	v_add_f64 v[26:27], v[22:23], v[24:25]
	ds_read_b128 v[22:25], v114 offset:480
	buffer_load_dword v91, off, s[0:3], 0 offset:196
	buffer_load_dword v90, off, s[0:3], 0 offset:192
	buffer_load_dword v93, off, s[0:3], 0 offset:204
	buffer_load_dword v92, off, s[0:3], 0 offset:200
	v_mul_f64 v[4:5], v[20:21], v[88:89]
	v_fma_f64 v[4:5], v[18:19], v[86:87], -v[4:5]
	v_add_f64 v[2:3], v[2:3], v[4:5]
	s_waitcnt vmcnt(0) lgkmcnt(0)
	v_mul_f64 v[28:29], v[22:23], v[92:93]
	v_fmac_f64_e32 v[28:29], v[24:25], v[90:91]
	v_add_f64 v[94:95], v[26:27], v[28:29]
	ds_read_b128 v[26:29], v114 offset:496
	buffer_load_dword v133, off, s[0:3], 0 offset:212
	buffer_load_dword v132, off, s[0:3], 0 offset:208
	buffer_load_dword v135, off, s[0:3], 0 offset:220
	buffer_load_dword v134, off, s[0:3], 0 offset:216
	v_mul_f64 v[4:5], v[24:25], v[92:93]
	v_fma_f64 v[4:5], v[22:23], v[90:91], -v[4:5]
	;; [unrolled: 12-line block ×6, first 2 shown]
	v_add_f64 v[2:3], v[2:3], v[4:5]
	s_waitcnt vmcnt(0) lgkmcnt(0)
	v_mul_f64 v[4:5], v[130:131], v[150:151]
	v_mul_f64 v[152:153], v[128:129], v[150:151]
	v_fma_f64 v[4:5], v[128:129], v[148:149], -v[4:5]
	v_fmac_f64_e32 v[152:153], v[130:131], v[148:149]
	v_add_f64 v[2:3], v[2:3], v[4:5]
	v_add_f64 v[94:95], v[94:95], v[152:153]
	v_add_f64 v[2:3], v[68:69], -v[2:3]
	v_add_f64 v[4:5], v[66:67], -v[94:95]
	buffer_store_dword v3, off, s[0:3], 0 offset:100
	buffer_store_dword v2, off, s[0:3], 0 offset:96
	;; [unrolled: 1-line block ×4, first 2 shown]
	s_and_saveexec_b64 s[6:7], vcc
	s_cbranch_execz .LBB17_111
; %bb.110:
	buffer_load_dword v2, v107, s[0:3], 0 offen
	buffer_load_dword v3, v107, s[0:3], 0 offen offset:4
	buffer_load_dword v4, v107, s[0:3], 0 offen offset:8
	;; [unrolled: 1-line block ×3, first 2 shown]
	s_nop 0
	buffer_store_dword v114, off, s[0:3], 0 offset:80
	buffer_store_dword v114, off, s[0:3], 0 offset:84
	;; [unrolled: 1-line block ×4, first 2 shown]
	s_waitcnt vmcnt(4)
	ds_write_b128 v113, v[2:5]
.LBB17_111:
	s_or_b64 exec, exec, s[6:7]
	s_waitcnt lgkmcnt(0)
	; wave barrier
	s_waitcnt lgkmcnt(0)
	ds_read_b128 v[14:17], v114 offset:384
	ds_read_b128 v[10:13], v114 offset:400
	;; [unrolled: 1-line block ×4, first 2 shown]
	buffer_load_dword v68, off, s[0:3], 0 offset:80
	buffer_load_dword v69, off, s[0:3], 0 offset:84
	;; [unrolled: 1-line block ×20, first 2 shown]
	v_cmp_lt_u32_e32 vcc, 4, v112
	s_waitcnt vmcnt(12) lgkmcnt(3)
	v_mul_f64 v[18:19], v[14:15], v[76:77]
	v_fmac_f64_e32 v[18:19], v[16:17], v[70:71]
	v_add_f64 v[18:19], v[18:19], 0
	v_mul_f64 v[16:17], v[16:17], v[76:77]
	s_waitcnt vmcnt(8) lgkmcnt(2)
	v_mul_f64 v[20:21], v[10:11], v[78:79]
	v_fmac_f64_e32 v[20:21], v[12:13], v[72:73]
	v_add_f64 v[18:19], v[18:19], v[20:21]
	v_fma_f64 v[14:15], v[14:15], v[70:71], -v[16:17]
	s_waitcnt vmcnt(4) lgkmcnt(1)
	v_mul_f64 v[20:21], v[6:7], v[80:81]
	v_fmac_f64_e32 v[20:21], v[8:9], v[74:75]
	v_add_f64 v[18:19], v[18:19], v[20:21]
	s_waitcnt vmcnt(0) lgkmcnt(0)
	v_mul_f64 v[20:21], v[2:3], v[84:85]
	v_fmac_f64_e32 v[20:21], v[4:5], v[82:83]
	v_add_f64 v[22:23], v[18:19], v[20:21]
	ds_read_b128 v[18:21], v114 offset:448
	buffer_load_dword v87, off, s[0:3], 0 offset:164
	buffer_load_dword v86, off, s[0:3], 0 offset:160
	;; [unrolled: 1-line block ×4, first 2 shown]
	v_mul_f64 v[12:13], v[12:13], v[78:79]
	v_add_f64 v[14:15], v[14:15], 0
	v_fma_f64 v[10:11], v[10:11], v[72:73], -v[12:13]
	v_mul_f64 v[8:9], v[8:9], v[80:81]
	v_add_f64 v[10:11], v[14:15], v[10:11]
	v_fma_f64 v[6:7], v[6:7], v[74:75], -v[8:9]
	;; [unrolled: 3-line block ×3, first 2 shown]
	v_add_f64 v[2:3], v[6:7], v[2:3]
	s_waitcnt vmcnt(0) lgkmcnt(0)
	v_mul_f64 v[24:25], v[18:19], v[88:89]
	v_fmac_f64_e32 v[24:25], v[20:21], v[86:87]
	v_add_f64 v[26:27], v[22:23], v[24:25]
	ds_read_b128 v[22:25], v114 offset:464
	buffer_load_dword v91, off, s[0:3], 0 offset:180
	buffer_load_dword v90, off, s[0:3], 0 offset:176
	buffer_load_dword v93, off, s[0:3], 0 offset:188
	buffer_load_dword v92, off, s[0:3], 0 offset:184
	v_mul_f64 v[4:5], v[20:21], v[88:89]
	v_fma_f64 v[4:5], v[18:19], v[86:87], -v[4:5]
	v_add_f64 v[2:3], v[2:3], v[4:5]
	s_waitcnt vmcnt(0) lgkmcnt(0)
	v_mul_f64 v[28:29], v[22:23], v[92:93]
	v_fmac_f64_e32 v[28:29], v[24:25], v[90:91]
	v_add_f64 v[116:117], v[26:27], v[28:29]
	ds_read_b128 v[26:29], v114 offset:480
	buffer_load_dword v95, off, s[0:3], 0 offset:196
	buffer_load_dword v94, off, s[0:3], 0 offset:192
	buffer_load_dword v137, off, s[0:3], 0 offset:204
	buffer_load_dword v136, off, s[0:3], 0 offset:200
	v_mul_f64 v[4:5], v[24:25], v[92:93]
	v_fma_f64 v[4:5], v[22:23], v[90:91], -v[4:5]
	;; [unrolled: 12-line block ×7, first 2 shown]
	v_add_f64 v[2:3], v[2:3], v[4:5]
	s_waitcnt vmcnt(0) lgkmcnt(0)
	v_mul_f64 v[4:5], v[134:135], v[156:157]
	v_mul_f64 v[158:159], v[132:133], v[156:157]
	v_fma_f64 v[4:5], v[132:133], v[114:115], -v[4:5]
	v_fmac_f64_e32 v[158:159], v[134:135], v[114:115]
	v_add_f64 v[2:3], v[2:3], v[4:5]
	v_add_f64 v[154:155], v[154:155], v[158:159]
	v_add_f64 v[2:3], v[68:69], -v[2:3]
	v_add_f64 v[4:5], v[66:67], -v[154:155]
	buffer_store_dword v3, off, s[0:3], 0 offset:84
	buffer_store_dword v2, off, s[0:3], 0 offset:80
	;; [unrolled: 1-line block ×4, first 2 shown]
	s_and_saveexec_b64 s[6:7], vcc
	s_cbranch_execz .LBB17_113
; %bb.112:
	buffer_load_dword v2, v106, s[0:3], 0 offen
	buffer_load_dword v3, v106, s[0:3], 0 offen offset:4
	buffer_load_dword v4, v106, s[0:3], 0 offen offset:8
	;; [unrolled: 1-line block ×3, first 2 shown]
	v_mov_b32_e32 v6, 0
	buffer_store_dword v6, off, s[0:3], 0 offset:64
	buffer_store_dword v6, off, s[0:3], 0 offset:68
	;; [unrolled: 1-line block ×4, first 2 shown]
	s_waitcnt vmcnt(4)
	ds_write_b128 v113, v[2:5]
.LBB17_113:
	s_or_b64 exec, exec, s[6:7]
	s_waitcnt lgkmcnt(0)
	; wave barrier
	s_waitcnt lgkmcnt(0)
	buffer_load_dword v2, off, s[0:3], 0 offset:80
	buffer_load_dword v3, off, s[0:3], 0 offset:84
	;; [unrolled: 1-line block ×56, first 2 shown]
	v_mov_b32_e32 v24, 0
	ds_read_b128 v[26:29], v24 offset:368
	ds_read_b128 v[66:69], v24 offset:384
	;; [unrolled: 1-line block ×9, first 2 shown]
	v_cmp_lt_u32_e32 vcc, 3, v112
	s_waitcnt vmcnt(52) lgkmcnt(8)
	v_mul_f64 v[118:119], v[26:27], v[6:7]
	v_mul_f64 v[6:7], v[28:29], v[6:7]
	v_fmac_f64_e32 v[118:119], v[28:29], v[2:3]
	v_fma_f64 v[2:3], v[26:27], v[2:3], -v[6:7]
	s_waitcnt vmcnt(48) lgkmcnt(7)
	v_mul_f64 v[120:121], v[66:67], v[8:9]
	v_mul_f64 v[6:7], v[68:69], v[8:9]
	s_waitcnt vmcnt(46) lgkmcnt(6)
	v_mul_f64 v[122:123], v[70:71], v[10:11]
	v_fmac_f64_e32 v[120:121], v[68:69], v[4:5]
	v_add_f64 v[118:119], v[118:119], 0
	v_add_f64 v[2:3], v[2:3], 0
	v_fma_f64 v[4:5], v[66:67], v[4:5], -v[6:7]
	v_add_f64 v[118:119], v[118:119], v[120:121]
	s_waitcnt vmcnt(40) lgkmcnt(5)
	v_mul_f64 v[124:125], v[74:75], v[16:17]
	v_add_f64 v[2:3], v[2:3], v[4:5]
	v_mul_f64 v[4:5], v[72:73], v[10:11]
	s_waitcnt lgkmcnt(4)
	v_mul_f64 v[126:127], v[78:79], v[12:13]
	s_waitcnt vmcnt(36) lgkmcnt(3)
	v_mul_f64 v[128:129], v[82:83], v[22:23]
	v_fmac_f64_e32 v[126:127], v[80:81], v[14:15]
	s_waitcnt vmcnt(35) lgkmcnt(2)
	v_mul_f64 v[130:131], v[86:87], v[18:19]
	s_waitcnt vmcnt(33)
	v_fmac_f64_e32 v[122:123], v[72:73], v[94:95]
	v_add_f64 v[118:119], v[118:119], v[122:123]
	s_waitcnt vmcnt(31)
	v_fmac_f64_e32 v[124:125], v[76:77], v[134:135]
	v_fma_f64 v[4:5], v[70:71], v[94:95], -v[4:5]
	v_add_f64 v[118:119], v[118:119], v[124:125]
	v_add_f64 v[2:3], v[2:3], v[4:5]
	v_mul_f64 v[4:5], v[76:77], v[16:17]
	s_waitcnt vmcnt(29)
	v_fmac_f64_e32 v[128:129], v[84:85], v[136:137]
	v_add_f64 v[118:119], v[118:119], v[126:127]
	v_fma_f64 v[4:5], v[74:75], v[134:135], -v[4:5]
	s_waitcnt vmcnt(28)
	v_fmac_f64_e32 v[130:131], v[88:89], v[20:21]
	v_add_f64 v[118:119], v[118:119], v[128:129]
	s_waitcnt vmcnt(25) lgkmcnt(1)
	v_mul_f64 v[120:121], v[90:91], v[140:141]
	v_add_f64 v[2:3], v[2:3], v[4:5]
	v_mul_f64 v[4:5], v[80:81], v[12:13]
	v_add_f64 v[118:119], v[118:119], v[130:131]
	s_waitcnt vmcnt(23)
	v_fmac_f64_e32 v[120:121], v[92:93], v[142:143]
	v_fma_f64 v[4:5], v[78:79], v[14:15], -v[4:5]
	v_add_f64 v[122:123], v[118:119], v[120:121]
	ds_read_b128 v[118:121], v24 offset:512
	v_add_f64 v[2:3], v[2:3], v[4:5]
	v_mul_f64 v[4:5], v[84:85], v[22:23]
	v_fma_f64 v[4:5], v[82:83], v[136:137], -v[4:5]
	v_add_f64 v[2:3], v[2:3], v[4:5]
	v_mul_f64 v[4:5], v[88:89], v[18:19]
	s_waitcnt vmcnt(20) lgkmcnt(1)
	v_mul_f64 v[124:125], v[114:115], v[138:139]
	v_fma_f64 v[4:5], v[86:87], v[20:21], -v[4:5]
	v_fmac_f64_e32 v[124:125], v[116:117], v[144:145]
	v_add_f64 v[2:3], v[2:3], v[4:5]
	v_mul_f64 v[4:5], v[92:93], v[140:141]
	v_add_f64 v[126:127], v[122:123], v[124:125]
	ds_read_b128 v[122:125], v24 offset:528
	s_waitcnt vmcnt(17) lgkmcnt(1)
	v_mul_f64 v[128:129], v[118:119], v[148:149]
	v_fma_f64 v[4:5], v[90:91], v[142:143], -v[4:5]
	s_waitcnt vmcnt(15)
	v_fmac_f64_e32 v[128:129], v[120:121], v[150:151]
	v_add_f64 v[2:3], v[2:3], v[4:5]
	v_mul_f64 v[4:5], v[116:117], v[138:139]
	v_add_f64 v[166:167], v[126:127], v[128:129]
	ds_read_b128 v[126:129], v24 offset:544
	ds_read_b128 v[130:133], v24 offset:560
	v_fma_f64 v[4:5], v[114:115], v[144:145], -v[4:5]
	v_add_f64 v[2:3], v[2:3], v[4:5]
	v_mul_f64 v[4:5], v[120:121], v[148:149]
	v_fma_f64 v[4:5], v[118:119], v[150:151], -v[4:5]
	v_add_f64 v[2:3], v[2:3], v[4:5]
	s_waitcnt vmcnt(12) lgkmcnt(2)
	v_mul_f64 v[4:5], v[124:125], v[146:147]
	v_mul_f64 v[168:169], v[122:123], v[146:147]
	v_fma_f64 v[4:5], v[122:123], v[152:153], -v[4:5]
	v_fmac_f64_e32 v[168:169], v[124:125], v[152:153]
	v_add_f64 v[2:3], v[2:3], v[4:5]
	s_waitcnt vmcnt(9) lgkmcnt(1)
	v_mul_f64 v[4:5], v[128:129], v[156:157]
	v_add_f64 v[166:167], v[166:167], v[168:169]
	v_mul_f64 v[168:169], v[126:127], v[156:157]
	s_waitcnt vmcnt(7)
	v_fma_f64 v[4:5], v[126:127], v[158:159], -v[4:5]
	v_fmac_f64_e32 v[168:169], v[128:129], v[158:159]
	v_add_f64 v[2:3], v[2:3], v[4:5]
	s_waitcnt vmcnt(5) lgkmcnt(0)
	v_mul_f64 v[4:5], v[132:133], v[154:155]
	v_add_f64 v[166:167], v[166:167], v[168:169]
	v_mul_f64 v[168:169], v[130:131], v[154:155]
	s_waitcnt vmcnt(4)
	v_fma_f64 v[4:5], v[130:131], v[160:161], -v[4:5]
	v_fmac_f64_e32 v[168:169], v[132:133], v[160:161]
	v_add_f64 v[2:3], v[2:3], v[4:5]
	v_add_f64 v[166:167], v[166:167], v[168:169]
	s_waitcnt vmcnt(2)
	v_add_f64 v[2:3], v[162:163], -v[2:3]
	s_waitcnt vmcnt(0)
	v_add_f64 v[4:5], v[164:165], -v[166:167]
	buffer_store_dword v3, off, s[0:3], 0 offset:68
	buffer_store_dword v2, off, s[0:3], 0 offset:64
	;; [unrolled: 1-line block ×4, first 2 shown]
	s_and_saveexec_b64 s[6:7], vcc
	s_cbranch_execz .LBB17_115
; %bb.114:
	buffer_load_dword v2, v111, s[0:3], 0 offen
	buffer_load_dword v3, v111, s[0:3], 0 offen offset:4
	buffer_load_dword v4, v111, s[0:3], 0 offen offset:8
	;; [unrolled: 1-line block ×3, first 2 shown]
	s_nop 0
	buffer_store_dword v24, off, s[0:3], 0 offset:48
	buffer_store_dword v24, off, s[0:3], 0 offset:52
	;; [unrolled: 1-line block ×4, first 2 shown]
	s_waitcnt vmcnt(4)
	ds_write_b128 v113, v[2:5]
.LBB17_115:
	s_or_b64 exec, exec, s[6:7]
	s_waitcnt lgkmcnt(0)
	; wave barrier
	s_waitcnt lgkmcnt(0)
	buffer_load_dword v2, off, s[0:3], 0 offset:64
	buffer_load_dword v3, off, s[0:3], 0 offset:68
	;; [unrolled: 1-line block ×60, first 2 shown]
	ds_read_b128 v[26:29], v24 offset:352
	ds_read_b128 v[66:69], v24 offset:368
	;; [unrolled: 1-line block ×8, first 2 shown]
	v_cmp_lt_u32_e32 vcc, 2, v112
	ds_read_b128 v[134:137], v24 offset:560
	s_waitcnt vmcnt(56) lgkmcnt(8)
	v_mul_f64 v[114:115], v[26:27], v[6:7]
	v_fmac_f64_e32 v[114:115], v[28:29], v[2:3]
	v_add_f64 v[114:115], v[114:115], 0
	v_mul_f64 v[6:7], v[28:29], v[6:7]
	s_waitcnt vmcnt(52) lgkmcnt(7)
	v_mul_f64 v[116:117], v[66:67], v[8:9]
	v_fmac_f64_e32 v[116:117], v[68:69], v[4:5]
	s_waitcnt vmcnt(50) lgkmcnt(6)
	v_mul_f64 v[118:119], v[70:71], v[10:11]
	v_add_f64 v[114:115], v[114:115], v[116:117]
	s_waitcnt vmcnt(48) lgkmcnt(4)
	v_mul_f64 v[122:123], v[78:79], v[12:13]
	v_fma_f64 v[2:3], v[26:27], v[2:3], -v[6:7]
	s_waitcnt vmcnt(46)
	v_fmac_f64_e32 v[122:123], v[80:81], v[14:15]
	v_mul_f64 v[6:7], v[68:69], v[8:9]
	s_waitcnt vmcnt(44)
	v_mul_f64 v[120:121], v[74:75], v[16:17]
	v_add_f64 v[2:3], v[2:3], 0
	v_fma_f64 v[4:5], v[66:67], v[4:5], -v[6:7]
	v_add_f64 v[2:3], v[2:3], v[4:5]
	s_waitcnt vmcnt(40) lgkmcnt(3)
	v_mul_f64 v[124:125], v[82:83], v[22:23]
	v_mul_f64 v[4:5], v[72:73], v[10:11]
	s_waitcnt vmcnt(38)
	v_fmac_f64_e32 v[118:119], v[72:73], v[94:95]
	v_add_f64 v[114:115], v[114:115], v[118:119]
	s_waitcnt vmcnt(36)
	v_fmac_f64_e32 v[120:121], v[76:77], v[138:139]
	v_add_f64 v[114:115], v[114:115], v[120:121]
	;; [unrolled: 3-line block ×3, first 2 shown]
	s_waitcnt vmcnt(32) lgkmcnt(2)
	v_mul_f64 v[116:117], v[86:87], v[18:19]
	v_add_f64 v[114:115], v[114:115], v[124:125]
	v_fmac_f64_e32 v[116:117], v[88:89], v[20:21]
	v_add_f64 v[118:119], v[114:115], v[116:117]
	ds_read_b128 v[114:117], v24 offset:480
	v_fma_f64 v[4:5], v[70:71], v[94:95], -v[4:5]
	v_add_f64 v[2:3], v[2:3], v[4:5]
	v_mul_f64 v[4:5], v[76:77], v[16:17]
	v_fma_f64 v[4:5], v[74:75], v[138:139], -v[4:5]
	s_waitcnt vmcnt(28) lgkmcnt(2)
	v_mul_f64 v[120:121], v[90:91], v[146:147]
	v_add_f64 v[2:3], v[2:3], v[4:5]
	v_mul_f64 v[4:5], v[80:81], v[12:13]
	s_waitcnt vmcnt(26)
	v_fmac_f64_e32 v[120:121], v[92:93], v[148:149]
	v_fma_f64 v[4:5], v[78:79], v[14:15], -v[4:5]
	v_add_f64 v[122:123], v[118:119], v[120:121]
	ds_read_b128 v[118:121], v24 offset:496
	s_waitcnt vmcnt(24) lgkmcnt(1)
	v_mul_f64 v[124:125], v[114:115], v[142:143]
	v_add_f64 v[2:3], v[2:3], v[4:5]
	v_mul_f64 v[4:5], v[84:85], v[22:23]
	v_fmac_f64_e32 v[124:125], v[116:117], v[144:145]
	v_fma_f64 v[4:5], v[82:83], v[140:141], -v[4:5]
	v_add_f64 v[126:127], v[122:123], v[124:125]
	ds_read_b128 v[122:125], v24 offset:512
	v_add_f64 v[2:3], v[2:3], v[4:5]
	v_mul_f64 v[4:5], v[88:89], v[18:19]
	v_fma_f64 v[4:5], v[86:87], v[20:21], -v[4:5]
	v_add_f64 v[2:3], v[2:3], v[4:5]
	v_mul_f64 v[4:5], v[92:93], v[146:147]
	s_waitcnt vmcnt(20) lgkmcnt(1)
	v_mul_f64 v[128:129], v[118:119], v[154:155]
	v_fma_f64 v[4:5], v[90:91], v[148:149], -v[4:5]
	s_waitcnt vmcnt(18)
	v_fmac_f64_e32 v[128:129], v[120:121], v[156:157]
	v_add_f64 v[2:3], v[2:3], v[4:5]
	v_mul_f64 v[4:5], v[116:117], v[142:143]
	v_add_f64 v[130:131], v[126:127], v[128:129]
	ds_read_b128 v[126:129], v24 offset:528
	s_waitcnt vmcnt(16) lgkmcnt(1)
	v_mul_f64 v[132:133], v[122:123], v[150:151]
	v_fma_f64 v[4:5], v[114:115], v[144:145], -v[4:5]
	v_fmac_f64_e32 v[132:133], v[124:125], v[152:153]
	v_add_f64 v[2:3], v[2:3], v[4:5]
	v_mul_f64 v[4:5], v[120:121], v[154:155]
	v_add_f64 v[174:175], v[130:131], v[132:133]
	ds_read_b128 v[130:133], v24 offset:544
	v_fma_f64 v[4:5], v[118:119], v[156:157], -v[4:5]
	v_add_f64 v[2:3], v[2:3], v[4:5]
	v_mul_f64 v[4:5], v[124:125], v[150:151]
	v_fma_f64 v[4:5], v[122:123], v[152:153], -v[4:5]
	v_add_f64 v[2:3], v[2:3], v[4:5]
	s_waitcnt vmcnt(12) lgkmcnt(1)
	v_mul_f64 v[4:5], v[128:129], v[162:163]
	v_mul_f64 v[176:177], v[126:127], v[162:163]
	s_waitcnt vmcnt(10)
	v_fma_f64 v[4:5], v[126:127], v[164:165], -v[4:5]
	v_fmac_f64_e32 v[176:177], v[128:129], v[164:165]
	v_add_f64 v[2:3], v[2:3], v[4:5]
	s_waitcnt vmcnt(8) lgkmcnt(0)
	v_mul_f64 v[4:5], v[132:133], v[158:159]
	v_add_f64 v[24:25], v[174:175], v[176:177]
	v_mul_f64 v[174:175], v[130:131], v[158:159]
	v_fma_f64 v[4:5], v[130:131], v[160:161], -v[4:5]
	v_fmac_f64_e32 v[174:175], v[132:133], v[160:161]
	v_add_f64 v[2:3], v[2:3], v[4:5]
	s_waitcnt vmcnt(6)
	v_mul_f64 v[4:5], v[136:137], v[166:167]
	v_add_f64 v[24:25], v[24:25], v[174:175]
	v_mul_f64 v[174:175], v[134:135], v[166:167]
	s_waitcnt vmcnt(4)
	v_fma_f64 v[4:5], v[134:135], v[168:169], -v[4:5]
	v_fmac_f64_e32 v[174:175], v[136:137], v[168:169]
	v_add_f64 v[2:3], v[2:3], v[4:5]
	v_add_f64 v[24:25], v[24:25], v[174:175]
	s_waitcnt vmcnt(2)
	v_add_f64 v[2:3], v[170:171], -v[2:3]
	s_waitcnt vmcnt(0)
	v_add_f64 v[4:5], v[172:173], -v[24:25]
	buffer_store_dword v3, off, s[0:3], 0 offset:52
	buffer_store_dword v2, off, s[0:3], 0 offset:48
	;; [unrolled: 1-line block ×4, first 2 shown]
	s_and_saveexec_b64 s[6:7], vcc
	s_cbranch_execz .LBB17_117
; %bb.116:
	buffer_load_dword v2, v110, s[0:3], 0 offen
	buffer_load_dword v3, v110, s[0:3], 0 offen offset:4
	buffer_load_dword v4, v110, s[0:3], 0 offen offset:8
	;; [unrolled: 1-line block ×3, first 2 shown]
	v_mov_b32_e32 v6, 0
	buffer_store_dword v6, off, s[0:3], 0 offset:32
	buffer_store_dword v6, off, s[0:3], 0 offset:36
	;; [unrolled: 1-line block ×4, first 2 shown]
	s_waitcnt vmcnt(4)
	ds_write_b128 v113, v[2:5]
.LBB17_117:
	s_or_b64 exec, exec, s[6:7]
	s_waitcnt lgkmcnt(0)
	; wave barrier
	s_waitcnt lgkmcnt(0)
	buffer_load_dword v2, off, s[0:3], 0 offset:48
	buffer_load_dword v3, off, s[0:3], 0 offset:52
	;; [unrolled: 1-line block ×64, first 2 shown]
	v_mov_b32_e32 v74, 0
	ds_read_b128 v[66:69], v74 offset:336
	ds_read_b128 v[70:73], v74 offset:352
	;; [unrolled: 1-line block ×7, first 2 shown]
	v_cmp_lt_u32_e32 vcc, 1, v112
	s_waitcnt vmcnt(60) lgkmcnt(6)
	v_mul_f64 v[92:93], v[66:67], v[6:7]
	v_fmac_f64_e32 v[92:93], v[68:69], v[2:3]
	v_add_f64 v[92:93], v[92:93], 0
	v_mul_f64 v[6:7], v[68:69], v[6:7]
	s_waitcnt vmcnt(56) lgkmcnt(5)
	v_mul_f64 v[94:95], v[70:71], v[8:9]
	v_fmac_f64_e32 v[94:95], v[72:73], v[4:5]
	s_waitcnt vmcnt(54) lgkmcnt(4)
	v_mul_f64 v[114:115], v[76:77], v[10:11]
	v_add_f64 v[92:93], v[92:93], v[94:95]
	v_fma_f64 v[2:3], v[66:67], v[2:3], -v[6:7]
	v_mul_f64 v[6:7], v[72:73], v[8:9]
	s_waitcnt vmcnt(50) lgkmcnt(3)
	v_mul_f64 v[116:117], v[80:81], v[16:17]
	s_waitcnt vmcnt(49) lgkmcnt(2)
	v_mul_f64 v[118:119], v[84:85], v[12:13]
	v_add_f64 v[2:3], v[2:3], 0
	s_waitcnt vmcnt(47)
	v_fmac_f64_e32 v[114:115], v[78:79], v[20:21]
	v_add_f64 v[92:93], v[92:93], v[114:115]
	s_waitcnt vmcnt(45)
	v_fmac_f64_e32 v[116:117], v[82:83], v[18:19]
	;; [unrolled: 3-line block ×3, first 2 shown]
	v_add_f64 v[114:115], v[92:93], v[118:119]
	ds_read_b128 v[92:95], v74 offset:432
	s_waitcnt vmcnt(40) lgkmcnt(2)
	v_mul_f64 v[116:117], v[88:89], v[26:27]
	v_fma_f64 v[4:5], v[70:71], v[4:5], -v[6:7]
	s_waitcnt vmcnt(38)
	v_fmac_f64_e32 v[116:117], v[90:91], v[28:29]
	v_add_f64 v[118:119], v[114:115], v[116:117]
	ds_read_b128 v[114:117], v74 offset:448
	s_waitcnt vmcnt(36) lgkmcnt(1)
	v_mul_f64 v[120:121], v[92:93], v[22:23]
	v_fmac_f64_e32 v[120:121], v[94:95], v[24:25]
	v_add_f64 v[2:3], v[2:3], v[4:5]
	v_mul_f64 v[4:5], v[78:79], v[10:11]
	v_add_f64 v[122:123], v[118:119], v[120:121]
	ds_read_b128 v[118:121], v74 offset:464
	s_waitcnt vmcnt(32) lgkmcnt(1)
	v_mul_f64 v[124:125], v[114:115], v[150:151]
	v_fma_f64 v[4:5], v[76:77], v[20:21], -v[4:5]
	s_waitcnt vmcnt(30)
	v_fmac_f64_e32 v[124:125], v[116:117], v[152:153]
	v_add_f64 v[2:3], v[2:3], v[4:5]
	v_mul_f64 v[4:5], v[82:83], v[16:17]
	v_add_f64 v[126:127], v[122:123], v[124:125]
	ds_read_b128 v[122:125], v74 offset:480
	v_fma_f64 v[4:5], v[80:81], v[18:19], -v[4:5]
	v_add_f64 v[2:3], v[2:3], v[4:5]
	v_mul_f64 v[4:5], v[86:87], v[12:13]
	v_fma_f64 v[4:5], v[84:85], v[14:15], -v[4:5]
	s_waitcnt vmcnt(28) lgkmcnt(1)
	v_mul_f64 v[128:129], v[118:119], v[146:147]
	v_add_f64 v[2:3], v[2:3], v[4:5]
	v_mul_f64 v[4:5], v[90:91], v[26:27]
	v_fmac_f64_e32 v[128:129], v[120:121], v[148:149]
	v_fma_f64 v[4:5], v[88:89], v[28:29], -v[4:5]
	v_add_f64 v[130:131], v[126:127], v[128:129]
	ds_read_b128 v[126:129], v74 offset:496
	s_waitcnt vmcnt(24) lgkmcnt(1)
	v_mul_f64 v[132:133], v[122:123], v[158:159]
	v_add_f64 v[2:3], v[2:3], v[4:5]
	v_mul_f64 v[4:5], v[94:95], v[22:23]
	s_waitcnt vmcnt(22)
	v_fmac_f64_e32 v[132:133], v[124:125], v[160:161]
	v_fma_f64 v[4:5], v[92:93], v[24:25], -v[4:5]
	v_add_f64 v[134:135], v[130:131], v[132:133]
	ds_read_b128 v[130:133], v74 offset:512
	v_add_f64 v[2:3], v[2:3], v[4:5]
	v_mul_f64 v[4:5], v[116:117], v[150:151]
	v_fma_f64 v[4:5], v[114:115], v[152:153], -v[4:5]
	v_add_f64 v[2:3], v[2:3], v[4:5]
	v_mul_f64 v[4:5], v[120:121], v[146:147]
	s_waitcnt vmcnt(20) lgkmcnt(1)
	v_mul_f64 v[136:137], v[126:127], v[154:155]
	v_fma_f64 v[4:5], v[118:119], v[148:149], -v[4:5]
	v_fmac_f64_e32 v[136:137], v[128:129], v[156:157]
	v_add_f64 v[2:3], v[2:3], v[4:5]
	v_mul_f64 v[4:5], v[124:125], v[158:159]
	v_add_f64 v[138:139], v[134:135], v[136:137]
	ds_read_b128 v[134:137], v74 offset:528
	s_waitcnt vmcnt(16) lgkmcnt(1)
	v_mul_f64 v[140:141], v[130:131], v[166:167]
	v_fma_f64 v[4:5], v[122:123], v[160:161], -v[4:5]
	s_waitcnt vmcnt(14)
	v_fmac_f64_e32 v[140:141], v[132:133], v[168:169]
	v_add_f64 v[2:3], v[2:3], v[4:5]
	v_mul_f64 v[4:5], v[128:129], v[154:155]
	v_add_f64 v[182:183], v[138:139], v[140:141]
	ds_read_b128 v[138:141], v74 offset:544
	v_fma_f64 v[4:5], v[126:127], v[156:157], -v[4:5]
	v_add_f64 v[2:3], v[2:3], v[4:5]
	v_mul_f64 v[4:5], v[132:133], v[166:167]
	v_fma_f64 v[4:5], v[130:131], v[168:169], -v[4:5]
	v_add_f64 v[2:3], v[2:3], v[4:5]
	s_waitcnt vmcnt(12) lgkmcnt(1)
	v_mul_f64 v[4:5], v[136:137], v[162:163]
	v_mul_f64 v[184:185], v[134:135], v[162:163]
	v_fma_f64 v[4:5], v[134:135], v[164:165], -v[4:5]
	v_fmac_f64_e32 v[184:185], v[136:137], v[164:165]
	v_add_f64 v[2:3], v[2:3], v[4:5]
	s_waitcnt vmcnt(8) lgkmcnt(0)
	v_mul_f64 v[4:5], v[140:141], v[174:175]
	v_add_f64 v[182:183], v[182:183], v[184:185]
	v_mul_f64 v[184:185], v[138:139], v[174:175]
	s_waitcnt vmcnt(6)
	v_fma_f64 v[4:5], v[138:139], v[176:177], -v[4:5]
	v_fmac_f64_e32 v[184:185], v[140:141], v[176:177]
	v_add_f64 v[2:3], v[2:3], v[4:5]
	s_waitcnt vmcnt(5)
	v_mul_f64 v[4:5], v[144:145], v[170:171]
	v_add_f64 v[182:183], v[182:183], v[184:185]
	v_mul_f64 v[184:185], v[142:143], v[170:171]
	s_waitcnt vmcnt(4)
	v_fma_f64 v[4:5], v[142:143], v[172:173], -v[4:5]
	v_fmac_f64_e32 v[184:185], v[144:145], v[172:173]
	v_add_f64 v[2:3], v[2:3], v[4:5]
	v_add_f64 v[182:183], v[182:183], v[184:185]
	s_waitcnt vmcnt(2)
	v_add_f64 v[2:3], v[178:179], -v[2:3]
	s_waitcnt vmcnt(0)
	v_add_f64 v[4:5], v[180:181], -v[182:183]
	buffer_store_dword v3, off, s[0:3], 0 offset:36
	buffer_store_dword v2, off, s[0:3], 0 offset:32
	buffer_store_dword v5, off, s[0:3], 0 offset:44
	buffer_store_dword v4, off, s[0:3], 0 offset:40
	s_and_saveexec_b64 s[6:7], vcc
	s_cbranch_execz .LBB17_119
; %bb.118:
	buffer_load_dword v2, v109, s[0:3], 0 offen
	buffer_load_dword v3, v109, s[0:3], 0 offen offset:4
	buffer_load_dword v4, v109, s[0:3], 0 offen offset:8
	;; [unrolled: 1-line block ×3, first 2 shown]
	s_nop 0
	buffer_store_dword v74, off, s[0:3], 0 offset:16
	buffer_store_dword v74, off, s[0:3], 0 offset:20
	;; [unrolled: 1-line block ×4, first 2 shown]
	s_waitcnt vmcnt(4)
	ds_write_b128 v113, v[2:5]
.LBB17_119:
	s_or_b64 exec, exec, s[6:7]
	s_waitcnt lgkmcnt(0)
	; wave barrier
	s_waitcnt lgkmcnt(0)
	buffer_load_dword v2, off, s[0:3], 0 offset:32
	buffer_load_dword v3, off, s[0:3], 0 offset:36
	buffer_load_dword v4, off, s[0:3], 0 offset:40
	buffer_load_dword v5, off, s[0:3], 0 offset:44
	buffer_load_dword v6, off, s[0:3], 0 offset:56
	buffer_load_dword v7, off, s[0:3], 0 offset:60
	buffer_load_dword v8, off, s[0:3], 0 offset:72
	buffer_load_dword v9, off, s[0:3], 0 offset:76
	buffer_load_dword v10, off, s[0:3], 0 offset:104
	buffer_load_dword v12, off, s[0:3], 0 offset:96
	buffer_load_dword v15, off, s[0:3], 0 offset:92
	buffer_load_dword v14, off, s[0:3], 0 offset:88
	buffer_load_dword v20, off, s[0:3], 0 offset:48
	buffer_load_dword v21, off, s[0:3], 0 offset:52
	buffer_load_dword v18, off, s[0:3], 0 offset:64
	buffer_load_dword v19, off, s[0:3], 0 offset:68
	buffer_load_dword v17, off, s[0:3], 0 offset:84
	buffer_load_dword v16, off, s[0:3], 0 offset:80
	buffer_load_dword v13, off, s[0:3], 0 offset:100
	buffer_load_dword v11, off, s[0:3], 0 offset:108
	buffer_load_dword v22, off, s[0:3], 0 offset:136
	buffer_load_dword v24, off, s[0:3], 0 offset:128
	buffer_load_dword v27, off, s[0:3], 0 offset:124
	buffer_load_dword v26, off, s[0:3], 0 offset:120
	buffer_load_dword v29, off, s[0:3], 0 offset:116
	buffer_load_dword v28, off, s[0:3], 0 offset:112
	buffer_load_dword v25, off, s[0:3], 0 offset:132
	buffer_load_dword v23, off, s[0:3], 0 offset:140
	buffer_load_dword v66, off, s[0:3], 0 offset:168
	buffer_load_dword v68, off, s[0:3], 0 offset:160
	buffer_load_dword v71, off, s[0:3], 0 offset:156
	buffer_load_dword v70, off, s[0:3], 0 offset:152
	buffer_load_dword v73, off, s[0:3], 0 offset:148
	buffer_load_dword v72, off, s[0:3], 0 offset:144
	buffer_load_dword v69, off, s[0:3], 0 offset:164
	buffer_load_dword v67, off, s[0:3], 0 offset:172
	buffer_load_dword v158, off, s[0:3], 0 offset:200
	buffer_load_dword v160, off, s[0:3], 0 offset:192
	buffer_load_dword v163, off, s[0:3], 0 offset:188
	buffer_load_dword v162, off, s[0:3], 0 offset:184
	buffer_load_dword v165, off, s[0:3], 0 offset:180
	buffer_load_dword v164, off, s[0:3], 0 offset:176
	buffer_load_dword v161, off, s[0:3], 0 offset:196
	buffer_load_dword v159, off, s[0:3], 0 offset:204
	buffer_load_dword v166, off, s[0:3], 0 offset:232
	buffer_load_dword v168, off, s[0:3], 0 offset:224
	buffer_load_dword v171, off, s[0:3], 0 offset:220
	buffer_load_dword v170, off, s[0:3], 0 offset:216
	buffer_load_dword v173, off, s[0:3], 0 offset:212
	buffer_load_dword v172, off, s[0:3], 0 offset:208
	buffer_load_dword v169, off, s[0:3], 0 offset:228
	buffer_load_dword v167, off, s[0:3], 0 offset:236
	buffer_load_dword v174, off, s[0:3], 0 offset:264
	buffer_load_dword v176, off, s[0:3], 0 offset:256
	buffer_load_dword v179, off, s[0:3], 0 offset:252
	buffer_load_dword v178, off, s[0:3], 0 offset:248
	buffer_load_dword v181, off, s[0:3], 0 offset:244
	buffer_load_dword v180, off, s[0:3], 0 offset:240
	buffer_load_dword v177, off, s[0:3], 0 offset:260
	buffer_load_dword v175, off, s[0:3], 0 offset:268
	buffer_load_dword v183, off, s[0:3], 0 offset:284
	buffer_load_dword v182, off, s[0:3], 0 offset:280
	buffer_load_dword v185, off, s[0:3], 0 offset:276
	buffer_load_dword v184, off, s[0:3], 0 offset:272
	ds_read_b128 v[76:79], v74 offset:320
	ds_read_b128 v[80:83], v74 offset:336
	;; [unrolled: 1-line block ×4, first 2 shown]
	buffer_load_dword v186, off, s[0:3], 0 offset:16
	buffer_load_dword v187, off, s[0:3], 0 offset:20
	;; [unrolled: 1-line block ×4, first 2 shown]
	v_cmp_ne_u32_e32 vcc, 0, v112
	ds_read_b128 v[154:157], v74 offset:560
	s_waitcnt vmcnt(62) lgkmcnt(4)
	v_mul_f64 v[92:93], v[76:77], v[4:5]
	v_fmac_f64_e32 v[92:93], v[78:79], v[2:3]
	s_waitcnt lgkmcnt(3)
	v_mul_f64 v[94:95], v[80:81], v[6:7]
	v_add_f64 v[92:93], v[92:93], 0
	s_waitcnt vmcnt(60) lgkmcnt(2)
	v_mul_f64 v[114:115], v[84:85], v[8:9]
	v_mul_f64 v[4:5], v[78:79], v[4:5]
	v_fma_f64 v[2:3], v[76:77], v[2:3], -v[4:5]
	v_mul_f64 v[4:5], v[82:83], v[6:7]
	s_waitcnt vmcnt(56) lgkmcnt(1)
	v_mul_f64 v[116:117], v[88:89], v[14:15]
	v_add_f64 v[2:3], v[2:3], 0
	s_waitcnt vmcnt(54)
	v_fmac_f64_e32 v[94:95], v[82:83], v[20:21]
	v_add_f64 v[118:119], v[92:93], v[94:95]
	ds_read_b128 v[92:95], v74 offset:384
	s_waitcnt vmcnt(52)
	v_fmac_f64_e32 v[114:115], v[86:87], v[18:19]
	v_add_f64 v[114:115], v[118:119], v[114:115]
	s_waitcnt vmcnt(50)
	v_fmac_f64_e32 v[116:117], v[90:91], v[16:17]
	v_add_f64 v[118:119], v[114:115], v[116:117]
	ds_read_b128 v[114:117], v74 offset:400
	s_waitcnt vmcnt(48) lgkmcnt(1)
	v_mul_f64 v[120:121], v[92:93], v[10:11]
	v_fmac_f64_e32 v[120:121], v[94:95], v[12:13]
	v_add_f64 v[122:123], v[118:119], v[120:121]
	ds_read_b128 v[118:121], v74 offset:416
	s_waitcnt vmcnt(44) lgkmcnt(1)
	v_mul_f64 v[124:125], v[114:115], v[26:27]
	s_waitcnt vmcnt(42)
	v_fmac_f64_e32 v[124:125], v[116:117], v[28:29]
	v_add_f64 v[126:127], v[122:123], v[124:125]
	ds_read_b128 v[122:125], v74 offset:432
	s_waitcnt vmcnt(40) lgkmcnt(1)
	v_mul_f64 v[128:129], v[118:119], v[22:23]
	v_fmac_f64_e32 v[128:129], v[120:121], v[24:25]
	v_add_f64 v[130:131], v[126:127], v[128:129]
	ds_read_b128 v[126:129], v74 offset:448
	v_fma_f64 v[4:5], v[80:81], v[20:21], -v[4:5]
	v_add_f64 v[2:3], v[2:3], v[4:5]
	v_mul_f64 v[4:5], v[86:87], v[8:9]
	s_waitcnt vmcnt(36) lgkmcnt(1)
	v_mul_f64 v[132:133], v[122:123], v[70:71]
	v_fma_f64 v[4:5], v[84:85], v[18:19], -v[4:5]
	s_waitcnt vmcnt(34)
	v_fmac_f64_e32 v[132:133], v[124:125], v[72:73]
	v_add_f64 v[2:3], v[2:3], v[4:5]
	v_mul_f64 v[4:5], v[90:91], v[14:15]
	v_add_f64 v[134:135], v[130:131], v[132:133]
	ds_read_b128 v[130:133], v74 offset:464
	s_waitcnt vmcnt(32) lgkmcnt(1)
	v_mul_f64 v[136:137], v[126:127], v[66:67]
	v_fma_f64 v[4:5], v[88:89], v[16:17], -v[4:5]
	v_fmac_f64_e32 v[136:137], v[128:129], v[68:69]
	v_add_f64 v[2:3], v[2:3], v[4:5]
	v_mul_f64 v[4:5], v[94:95], v[10:11]
	v_add_f64 v[138:139], v[134:135], v[136:137]
	ds_read_b128 v[134:137], v74 offset:480
	v_fma_f64 v[4:5], v[92:93], v[12:13], -v[4:5]
	v_add_f64 v[2:3], v[2:3], v[4:5]
	v_mul_f64 v[4:5], v[116:117], v[26:27]
	v_fma_f64 v[4:5], v[114:115], v[28:29], -v[4:5]
	s_waitcnt vmcnt(28) lgkmcnt(1)
	v_mul_f64 v[140:141], v[130:131], v[162:163]
	v_add_f64 v[2:3], v[2:3], v[4:5]
	v_mul_f64 v[4:5], v[120:121], v[22:23]
	s_waitcnt vmcnt(26)
	v_fmac_f64_e32 v[140:141], v[132:133], v[164:165]
	v_fma_f64 v[4:5], v[118:119], v[24:25], -v[4:5]
	v_add_f64 v[142:143], v[138:139], v[140:141]
	ds_read_b128 v[138:141], v74 offset:496
	s_waitcnt vmcnt(24) lgkmcnt(1)
	v_mul_f64 v[144:145], v[134:135], v[158:159]
	v_add_f64 v[2:3], v[2:3], v[4:5]
	v_mul_f64 v[4:5], v[124:125], v[70:71]
	v_fmac_f64_e32 v[144:145], v[136:137], v[160:161]
	v_fma_f64 v[4:5], v[122:123], v[72:73], -v[4:5]
	v_add_f64 v[146:147], v[142:143], v[144:145]
	ds_read_b128 v[142:145], v74 offset:512
	v_add_f64 v[2:3], v[2:3], v[4:5]
	v_mul_f64 v[4:5], v[128:129], v[66:67]
	v_fma_f64 v[4:5], v[126:127], v[68:69], -v[4:5]
	v_add_f64 v[2:3], v[2:3], v[4:5]
	v_mul_f64 v[4:5], v[132:133], v[162:163]
	s_waitcnt vmcnt(20) lgkmcnt(1)
	v_mul_f64 v[148:149], v[138:139], v[170:171]
	v_fma_f64 v[4:5], v[130:131], v[164:165], -v[4:5]
	s_waitcnt vmcnt(18)
	v_fmac_f64_e32 v[148:149], v[140:141], v[172:173]
	v_add_f64 v[2:3], v[2:3], v[4:5]
	v_mul_f64 v[4:5], v[136:137], v[158:159]
	v_add_f64 v[150:151], v[146:147], v[148:149]
	ds_read_b128 v[146:149], v74 offset:528
	s_waitcnt vmcnt(16) lgkmcnt(1)
	v_mul_f64 v[152:153], v[142:143], v[166:167]
	v_fma_f64 v[4:5], v[134:135], v[160:161], -v[4:5]
	v_fmac_f64_e32 v[152:153], v[144:145], v[168:169]
	v_add_f64 v[2:3], v[2:3], v[4:5]
	v_mul_f64 v[4:5], v[140:141], v[170:171]
	v_add_f64 v[190:191], v[150:151], v[152:153]
	ds_read_b128 v[150:153], v74 offset:544
	v_fma_f64 v[4:5], v[138:139], v[172:173], -v[4:5]
	v_add_f64 v[2:3], v[2:3], v[4:5]
	v_mul_f64 v[4:5], v[144:145], v[166:167]
	v_fma_f64 v[4:5], v[142:143], v[168:169], -v[4:5]
	v_add_f64 v[2:3], v[2:3], v[4:5]
	s_waitcnt vmcnt(12) lgkmcnt(1)
	v_mul_f64 v[4:5], v[148:149], v[178:179]
	v_mul_f64 v[192:193], v[146:147], v[178:179]
	s_waitcnt vmcnt(10)
	v_fma_f64 v[4:5], v[146:147], v[180:181], -v[4:5]
	v_fmac_f64_e32 v[192:193], v[148:149], v[180:181]
	v_add_f64 v[2:3], v[2:3], v[4:5]
	s_waitcnt vmcnt(8) lgkmcnt(0)
	v_mul_f64 v[4:5], v[152:153], v[174:175]
	v_add_f64 v[74:75], v[190:191], v[192:193]
	v_mul_f64 v[190:191], v[150:151], v[174:175]
	v_fma_f64 v[4:5], v[150:151], v[176:177], -v[4:5]
	v_fmac_f64_e32 v[190:191], v[152:153], v[176:177]
	v_add_f64 v[2:3], v[2:3], v[4:5]
	s_waitcnt vmcnt(6)
	v_mul_f64 v[4:5], v[156:157], v[182:183]
	v_add_f64 v[74:75], v[74:75], v[190:191]
	v_mul_f64 v[190:191], v[154:155], v[182:183]
	s_waitcnt vmcnt(4)
	v_fma_f64 v[4:5], v[154:155], v[184:185], -v[4:5]
	v_fmac_f64_e32 v[190:191], v[156:157], v[184:185]
	v_add_f64 v[2:3], v[2:3], v[4:5]
	v_add_f64 v[74:75], v[74:75], v[190:191]
	s_waitcnt vmcnt(2)
	v_add_f64 v[2:3], v[186:187], -v[2:3]
	s_waitcnt vmcnt(0)
	v_add_f64 v[4:5], v[188:189], -v[74:75]
	buffer_store_dword v3, off, s[0:3], 0 offset:20
	buffer_store_dword v2, off, s[0:3], 0 offset:16
	;; [unrolled: 1-line block ×4, first 2 shown]
	s_and_saveexec_b64 s[6:7], vcc
	s_cbranch_execz .LBB17_121
; %bb.120:
	buffer_load_dword v2, off, s[0:3], 0
	buffer_load_dword v3, off, s[0:3], 0 offset:4
	buffer_load_dword v4, off, s[0:3], 0 offset:8
	;; [unrolled: 1-line block ×3, first 2 shown]
	v_mov_b32_e32 v6, 0
	buffer_store_dword v6, off, s[0:3], 0
	buffer_store_dword v6, off, s[0:3], 0 offset:4
	buffer_store_dword v6, off, s[0:3], 0 offset:8
	buffer_store_dword v6, off, s[0:3], 0 offset:12
	s_waitcnt vmcnt(4)
	ds_write_b128 v113, v[2:5]
.LBB17_121:
	s_or_b64 exec, exec, s[6:7]
	s_waitcnt lgkmcnt(0)
	; wave barrier
	s_waitcnt lgkmcnt(0)
	buffer_load_dword v2, off, s[0:3], 0 offset:16
	buffer_load_dword v3, off, s[0:3], 0 offset:20
	;; [unrolled: 1-line block ×68, first 2 shown]
	v_mov_b32_e32 v113, 0
	ds_read_b128 v[78:81], v113 offset:304
	ds_read_b128 v[82:85], v113 offset:320
	buffer_load_dword v192, off, s[0:3], 0
	buffer_load_dword v193, off, s[0:3], 0 offset:4
	buffer_load_dword v194, off, s[0:3], 0 offset:8
	;; [unrolled: 1-line block ×3, first 2 shown]
	ds_read_b128 v[86:89], v113 offset:336
	ds_read_b128 v[90:93], v113 offset:352
	;; [unrolled: 1-line block ×3, first 2 shown]
	s_and_b64 vcc, exec, s[26:27]
	s_waitcnt vmcnt(62) lgkmcnt(4)
	v_mul_f64 v[114:115], v[78:79], v[8:9]
	v_fmac_f64_e32 v[114:115], v[80:81], v[2:3]
	v_add_f64 v[114:115], v[114:115], 0
	v_mul_f64 v[8:9], v[80:81], v[8:9]
	s_waitcnt lgkmcnt(3)
	v_mul_f64 v[116:117], v[82:83], v[10:11]
	v_fmac_f64_e32 v[116:117], v[84:85], v[4:5]
	v_add_f64 v[114:115], v[114:115], v[116:117]
	v_fma_f64 v[2:3], v[78:79], v[2:3], -v[8:9]
	s_waitcnt vmcnt(60) lgkmcnt(2)
	v_mul_f64 v[116:117], v[86:87], v[12:13]
	v_fmac_f64_e32 v[116:117], v[88:89], v[6:7]
	v_add_f64 v[118:119], v[114:115], v[116:117]
	ds_read_b128 v[114:117], v113 offset:368
	s_waitcnt vmcnt(56) lgkmcnt(2)
	v_mul_f64 v[120:121], v[90:91], v[18:19]
	v_mul_f64 v[8:9], v[84:85], v[10:11]
	s_waitcnt vmcnt(54)
	v_fmac_f64_e32 v[120:121], v[92:93], v[20:21]
	v_add_f64 v[122:123], v[118:119], v[120:121]
	ds_read_b128 v[118:121], v113 offset:384
	s_waitcnt vmcnt(52) lgkmcnt(1)
	v_mul_f64 v[124:125], v[114:115], v[14:15]
	v_fmac_f64_e32 v[124:125], v[116:117], v[16:17]
	v_add_f64 v[126:127], v[122:123], v[124:125]
	ds_read_b128 v[122:125], v113 offset:400
	s_waitcnt vmcnt(48) lgkmcnt(1)
	v_mul_f64 v[128:129], v[118:119], v[26:27]
	s_waitcnt vmcnt(46)
	v_fmac_f64_e32 v[128:129], v[120:121], v[28:29]
	v_add_f64 v[130:131], v[126:127], v[128:129]
	ds_read_b128 v[126:129], v113 offset:416
	s_waitcnt vmcnt(44) lgkmcnt(1)
	v_mul_f64 v[132:133], v[122:123], v[22:23]
	v_fmac_f64_e32 v[132:133], v[124:125], v[24:25]
	v_add_f64 v[134:135], v[130:131], v[132:133]
	ds_read_b128 v[130:133], v113 offset:432
	s_waitcnt vmcnt(40) lgkmcnt(1)
	v_mul_f64 v[136:137], v[126:127], v[70:71]
	s_waitcnt vmcnt(38)
	v_fmac_f64_e32 v[136:137], v[128:129], v[72:73]
	v_add_f64 v[2:3], v[2:3], 0
	v_fma_f64 v[4:5], v[82:83], v[4:5], -v[8:9]
	v_add_f64 v[138:139], v[134:135], v[136:137]
	ds_read_b128 v[134:137], v113 offset:448
	v_add_f64 v[2:3], v[2:3], v[4:5]
	v_mul_f64 v[4:5], v[88:89], v[12:13]
	v_fma_f64 v[4:5], v[86:87], v[6:7], -v[4:5]
	v_add_f64 v[2:3], v[2:3], v[4:5]
	v_mul_f64 v[4:5], v[92:93], v[18:19]
	s_waitcnt vmcnt(36) lgkmcnt(1)
	v_mul_f64 v[140:141], v[130:131], v[66:67]
	v_fma_f64 v[4:5], v[90:91], v[20:21], -v[4:5]
	v_fmac_f64_e32 v[140:141], v[132:133], v[68:69]
	v_add_f64 v[2:3], v[2:3], v[4:5]
	v_mul_f64 v[4:5], v[116:117], v[14:15]
	v_add_f64 v[142:143], v[138:139], v[140:141]
	ds_read_b128 v[138:141], v113 offset:464
	s_waitcnt vmcnt(32) lgkmcnt(1)
	v_mul_f64 v[144:145], v[134:135], v[94:95]
	v_fma_f64 v[4:5], v[114:115], v[16:17], -v[4:5]
	s_waitcnt vmcnt(30)
	v_fmac_f64_e32 v[144:145], v[136:137], v[166:167]
	v_add_f64 v[2:3], v[2:3], v[4:5]
	v_mul_f64 v[4:5], v[120:121], v[26:27]
	v_add_f64 v[146:147], v[142:143], v[144:145]
	ds_read_b128 v[142:145], v113 offset:480
	v_fma_f64 v[4:5], v[118:119], v[28:29], -v[4:5]
	v_add_f64 v[2:3], v[2:3], v[4:5]
	v_mul_f64 v[4:5], v[124:125], v[22:23]
	v_fma_f64 v[4:5], v[122:123], v[24:25], -v[4:5]
	s_waitcnt vmcnt(28) lgkmcnt(1)
	v_mul_f64 v[148:149], v[138:139], v[74:75]
	v_add_f64 v[2:3], v[2:3], v[4:5]
	v_mul_f64 v[4:5], v[128:129], v[70:71]
	v_fmac_f64_e32 v[148:149], v[140:141], v[76:77]
	v_fma_f64 v[4:5], v[126:127], v[72:73], -v[4:5]
	v_add_f64 v[150:151], v[146:147], v[148:149]
	ds_read_b128 v[146:149], v113 offset:496
	s_waitcnt vmcnt(24) lgkmcnt(1)
	v_mul_f64 v[152:153], v[142:143], v[172:173]
	v_add_f64 v[2:3], v[2:3], v[4:5]
	v_mul_f64 v[4:5], v[132:133], v[66:67]
	s_waitcnt vmcnt(22)
	v_fmac_f64_e32 v[152:153], v[144:145], v[174:175]
	v_fma_f64 v[4:5], v[130:131], v[68:69], -v[4:5]
	v_add_f64 v[154:155], v[150:151], v[152:153]
	ds_read_b128 v[150:153], v113 offset:512
	v_add_f64 v[2:3], v[2:3], v[4:5]
	v_mul_f64 v[4:5], v[136:137], v[94:95]
	v_fma_f64 v[4:5], v[134:135], v[166:167], -v[4:5]
	v_add_f64 v[2:3], v[2:3], v[4:5]
	v_mul_f64 v[4:5], v[140:141], v[74:75]
	s_waitcnt vmcnt(20) lgkmcnt(1)
	v_mul_f64 v[156:157], v[146:147], v[168:169]
	v_fma_f64 v[4:5], v[138:139], v[76:77], -v[4:5]
	v_fmac_f64_e32 v[156:157], v[148:149], v[170:171]
	v_add_f64 v[2:3], v[2:3], v[4:5]
	v_mul_f64 v[4:5], v[144:145], v[172:173]
	v_add_f64 v[158:159], v[154:155], v[156:157]
	ds_read_b128 v[154:157], v113 offset:528
	s_waitcnt vmcnt(16) lgkmcnt(1)
	v_mul_f64 v[160:161], v[150:151], v[180:181]
	v_fma_f64 v[4:5], v[142:143], v[174:175], -v[4:5]
	s_waitcnt vmcnt(14)
	v_fmac_f64_e32 v[160:161], v[152:153], v[182:183]
	v_add_f64 v[2:3], v[2:3], v[4:5]
	v_mul_f64 v[4:5], v[148:149], v[168:169]
	v_add_f64 v[196:197], v[158:159], v[160:161]
	ds_read_b128 v[158:161], v113 offset:544
	v_fma_f64 v[4:5], v[146:147], v[170:171], -v[4:5]
	v_add_f64 v[2:3], v[2:3], v[4:5]
	v_mul_f64 v[4:5], v[152:153], v[180:181]
	v_fma_f64 v[4:5], v[150:151], v[182:183], -v[4:5]
	v_add_f64 v[2:3], v[2:3], v[4:5]
	s_waitcnt vmcnt(12) lgkmcnt(1)
	v_mul_f64 v[4:5], v[156:157], v[176:177]
	v_mul_f64 v[198:199], v[154:155], v[176:177]
	v_fma_f64 v[4:5], v[154:155], v[178:179], -v[4:5]
	v_fmac_f64_e32 v[198:199], v[156:157], v[178:179]
	v_add_f64 v[2:3], v[2:3], v[4:5]
	s_waitcnt vmcnt(8) lgkmcnt(0)
	v_mul_f64 v[4:5], v[160:161], v[188:189]
	v_add_f64 v[196:197], v[196:197], v[198:199]
	v_mul_f64 v[198:199], v[158:159], v[188:189]
	s_waitcnt vmcnt(6)
	v_fma_f64 v[4:5], v[158:159], v[190:191], -v[4:5]
	v_fmac_f64_e32 v[198:199], v[160:161], v[190:191]
	v_add_f64 v[2:3], v[2:3], v[4:5]
	s_waitcnt vmcnt(5)
	v_mul_f64 v[4:5], v[164:165], v[184:185]
	v_add_f64 v[196:197], v[196:197], v[198:199]
	v_mul_f64 v[198:199], v[162:163], v[184:185]
	s_waitcnt vmcnt(4)
	v_fma_f64 v[4:5], v[162:163], v[186:187], -v[4:5]
	v_fmac_f64_e32 v[198:199], v[164:165], v[186:187]
	v_add_f64 v[2:3], v[2:3], v[4:5]
	v_add_f64 v[196:197], v[196:197], v[198:199]
	s_waitcnt vmcnt(2)
	v_add_f64 v[2:3], v[192:193], -v[2:3]
	s_waitcnt vmcnt(0)
	v_add_f64 v[4:5], v[194:195], -v[196:197]
	buffer_store_dword v3, off, s[0:3], 0 offset:4
	buffer_store_dword v2, off, s[0:3], 0
	buffer_store_dword v5, off, s[0:3], 0 offset:12
	buffer_store_dword v4, off, s[0:3], 0 offset:8
	s_cbranch_vccz .LBB17_157
; %bb.122:
	v_pk_mov_b32 v[2:3], s[24:25], s[24:25] op_sel:[0,1]
	flat_load_dword v2, v[2:3] offset:64
	s_load_dwordx2 s[4:5], s[4:5], 0x4
	v_bfe_u32 v4, v0, 10, 10
	v_bfe_u32 v0, v0, 20, 10
	s_waitcnt lgkmcnt(0)
	s_lshr_b32 s4, s4, 16
	s_mul_i32 s4, s4, s5
	v_mul_u32_u24_e32 v3, s4, v112
	v_mul_u32_u24_e32 v4, s5, v4
	v_add3_u32 v0, v3, v4, v0
	v_mov_b32_e32 v3, 0x248
	v_lshl_add_u32 v0, v0, 4, v3
	s_waitcnt vmcnt(0)
	v_add_u32_e32 v2, -1, v2
	v_cmp_ne_u32_e32 vcc, 16, v2
	s_and_saveexec_b64 s[4:5], vcc
	s_cbranch_execz .LBB17_124
; %bb.123:
	v_mov_b32_e32 v3, 0
	v_lshl_add_u32 v6, v2, 4, v3
	buffer_load_dword v2, v1, s[0:3], 0 offen
	buffer_load_dword v3, v1, s[0:3], 0 offen offset:4
	buffer_load_dword v4, v1, s[0:3], 0 offen offset:8
	buffer_load_dword v5, v1, s[0:3], 0 offen offset:12
	buffer_load_dword v7, v6, s[0:3], 0 offen
	buffer_load_dword v8, v6, s[0:3], 0 offen offset:4
	buffer_load_dword v9, v6, s[0:3], 0 offen offset:8
	buffer_load_dword v10, v6, s[0:3], 0 offen offset:12
	s_waitcnt vmcnt(4)
	ds_write2_b64 v0, v[2:3], v[4:5] offset1:1
	s_waitcnt vmcnt(3)
	buffer_store_dword v7, v1, s[0:3], 0 offen
	s_waitcnt vmcnt(3)
	buffer_store_dword v8, v1, s[0:3], 0 offen offset:4
	s_waitcnt vmcnt(3)
	buffer_store_dword v9, v1, s[0:3], 0 offen offset:8
	s_waitcnt vmcnt(3)
	buffer_store_dword v10, v1, s[0:3], 0 offen offset:12
	buffer_store_dword v5, v6, s[0:3], 0 offen offset:12
	buffer_store_dword v4, v6, s[0:3], 0 offen offset:8
	buffer_store_dword v3, v6, s[0:3], 0 offen offset:4
	buffer_store_dword v2, v6, s[0:3], 0 offen
.LBB17_124:
	s_or_b64 exec, exec, s[4:5]
	v_pk_mov_b32 v[2:3], s[24:25], s[24:25] op_sel:[0,1]
	flat_load_dword v2, v[2:3] offset:60
	s_waitcnt vmcnt(0) lgkmcnt(0)
	v_add_u32_e32 v2, -1, v2
	v_cmp_ne_u32_e32 vcc, 15, v2
	s_and_saveexec_b64 s[4:5], vcc
	s_cbranch_execz .LBB17_126
; %bb.125:
	v_mov_b32_e32 v3, 0
	v_lshl_add_u32 v6, v2, 4, v3
	buffer_load_dword v2, v96, s[0:3], 0 offen
	buffer_load_dword v3, v96, s[0:3], 0 offen offset:4
	buffer_load_dword v4, v96, s[0:3], 0 offen offset:8
	buffer_load_dword v5, v96, s[0:3], 0 offen offset:12
	buffer_load_dword v7, v6, s[0:3], 0 offen
	buffer_load_dword v8, v6, s[0:3], 0 offen offset:4
	buffer_load_dword v9, v6, s[0:3], 0 offen offset:8
	buffer_load_dword v10, v6, s[0:3], 0 offen offset:12
	s_waitcnt vmcnt(4)
	ds_write2_b64 v0, v[2:3], v[4:5] offset1:1
	s_waitcnt vmcnt(3)
	buffer_store_dword v7, v96, s[0:3], 0 offen
	s_waitcnt vmcnt(3)
	buffer_store_dword v8, v96, s[0:3], 0 offen offset:4
	s_waitcnt vmcnt(3)
	buffer_store_dword v9, v96, s[0:3], 0 offen offset:8
	s_waitcnt vmcnt(3)
	buffer_store_dword v10, v96, s[0:3], 0 offen offset:12
	buffer_store_dword v5, v6, s[0:3], 0 offen offset:12
	buffer_store_dword v4, v6, s[0:3], 0 offen offset:8
	buffer_store_dword v3, v6, s[0:3], 0 offen offset:4
	buffer_store_dword v2, v6, s[0:3], 0 offen
.LBB17_126:
	s_or_b64 exec, exec, s[4:5]
	v_pk_mov_b32 v[2:3], s[24:25], s[24:25] op_sel:[0,1]
	flat_load_dword v2, v[2:3] offset:56
	s_waitcnt vmcnt(0) lgkmcnt(0)
	;; [unrolled: 34-line block ×15, first 2 shown]
	v_add_u32_e32 v2, -1, v2
	v_cmp_ne_u32_e32 vcc, 1, v2
	s_and_saveexec_b64 s[4:5], vcc
	s_cbranch_execz .LBB17_154
; %bb.153:
	v_mov_b32_e32 v3, 0
	v_lshl_add_u32 v6, v2, 4, v3
	buffer_load_dword v2, v109, s[0:3], 0 offen
	buffer_load_dword v3, v109, s[0:3], 0 offen offset:4
	buffer_load_dword v4, v109, s[0:3], 0 offen offset:8
	;; [unrolled: 1-line block ×3, first 2 shown]
	buffer_load_dword v7, v6, s[0:3], 0 offen
	buffer_load_dword v8, v6, s[0:3], 0 offen offset:4
	buffer_load_dword v9, v6, s[0:3], 0 offen offset:8
	;; [unrolled: 1-line block ×3, first 2 shown]
	s_waitcnt vmcnt(4)
	ds_write2_b64 v0, v[2:3], v[4:5] offset1:1
	s_waitcnt vmcnt(3)
	buffer_store_dword v7, v109, s[0:3], 0 offen
	s_waitcnt vmcnt(3)
	buffer_store_dword v8, v109, s[0:3], 0 offen offset:4
	s_waitcnt vmcnt(3)
	buffer_store_dword v9, v109, s[0:3], 0 offen offset:8
	;; [unrolled: 2-line block ×3, first 2 shown]
	buffer_store_dword v5, v6, s[0:3], 0 offen offset:12
	buffer_store_dword v4, v6, s[0:3], 0 offen offset:8
	;; [unrolled: 1-line block ×3, first 2 shown]
	buffer_store_dword v2, v6, s[0:3], 0 offen
.LBB17_154:
	s_or_b64 exec, exec, s[4:5]
	v_pk_mov_b32 v[2:3], s[24:25], s[24:25] op_sel:[0,1]
	flat_load_dword v2, v[2:3]
	s_waitcnt vmcnt(0) lgkmcnt(0)
	v_add_u32_e32 v2, -1, v2
	v_cmp_ne_u32_e32 vcc, 0, v2
	s_and_saveexec_b64 s[4:5], vcc
	s_cbranch_execz .LBB17_156
; %bb.155:
	v_mov_b32_e32 v3, 0
	v_lshl_add_u32 v6, v2, 4, v3
	buffer_load_dword v2, off, s[0:3], 0
	buffer_load_dword v3, off, s[0:3], 0 offset:4
	buffer_load_dword v4, off, s[0:3], 0 offset:8
	;; [unrolled: 1-line block ×3, first 2 shown]
	buffer_load_dword v7, v6, s[0:3], 0 offen
	buffer_load_dword v8, v6, s[0:3], 0 offen offset:4
	buffer_load_dword v9, v6, s[0:3], 0 offen offset:8
	;; [unrolled: 1-line block ×3, first 2 shown]
	s_waitcnt vmcnt(4)
	ds_write2_b64 v0, v[2:3], v[4:5] offset1:1
	s_waitcnt vmcnt(3)
	buffer_store_dword v7, off, s[0:3], 0
	s_waitcnt vmcnt(3)
	buffer_store_dword v8, off, s[0:3], 0 offset:4
	s_waitcnt vmcnt(3)
	buffer_store_dword v9, off, s[0:3], 0 offset:8
	;; [unrolled: 2-line block ×3, first 2 shown]
	buffer_store_dword v5, v6, s[0:3], 0 offen offset:12
	buffer_store_dword v4, v6, s[0:3], 0 offen offset:8
	;; [unrolled: 1-line block ×3, first 2 shown]
	buffer_store_dword v2, v6, s[0:3], 0 offen
.LBB17_156:
	s_or_b64 exec, exec, s[4:5]
.LBB17_157:
	buffer_load_dword v2, off, s[0:3], 0
	buffer_load_dword v3, off, s[0:3], 0 offset:4
	buffer_load_dword v4, off, s[0:3], 0 offset:8
	;; [unrolled: 1-line block ×3, first 2 shown]
	buffer_load_dword v7, v109, s[0:3], 0 offen offset:4
	buffer_load_dword v8, v109, s[0:3], 0 offen offset:8
	;; [unrolled: 1-line block ×3, first 2 shown]
	buffer_load_dword v10, v110, s[0:3], 0 offen
	buffer_load_dword v11, v110, s[0:3], 0 offen offset:4
	buffer_load_dword v12, v110, s[0:3], 0 offen offset:8
	buffer_load_dword v6, v109, s[0:3], 0 offen
	buffer_load_dword v13, v110, s[0:3], 0 offen offset:12
	buffer_load_dword v15, v111, s[0:3], 0 offen offset:4
	;; [unrolled: 1-line block ×4, first 2 shown]
	buffer_load_dword v18, v106, s[0:3], 0 offen
	buffer_load_dword v19, v106, s[0:3], 0 offen offset:4
	buffer_load_dword v20, v106, s[0:3], 0 offen offset:8
	buffer_load_dword v14, v111, s[0:3], 0 offen
                                        ; kill: killed $vgpr109
                                        ; kill: killed $vgpr111
                                        ; kill: killed $vgpr110
	buffer_load_dword v21, v106, s[0:3], 0 offen offset:12
	buffer_load_dword v23, v107, s[0:3], 0 offen offset:4
	;; [unrolled: 1-line block ×4, first 2 shown]
	buffer_load_dword v26, v108, s[0:3], 0 offen
	buffer_load_dword v27, v108, s[0:3], 0 offen offset:4
	buffer_load_dword v28, v108, s[0:3], 0 offen offset:8
	buffer_load_dword v22, v107, s[0:3], 0 offen
	buffer_load_dword v29, v108, s[0:3], 0 offen offset:12
	buffer_load_dword v67, v102, s[0:3], 0 offen offset:4
	;; [unrolled: 1-line block ×4, first 2 shown]
	buffer_load_dword v70, v104, s[0:3], 0 offen
	buffer_load_dword v71, v104, s[0:3], 0 offen offset:4
	buffer_load_dword v72, v104, s[0:3], 0 offen offset:8
                                        ; kill: killed $vgpr108
                                        ; kill: killed $vgpr107
                                        ; kill: killed $vgpr106
	buffer_load_dword v66, v102, s[0:3], 0 offen
	buffer_load_dword v73, v104, s[0:3], 0 offen offset:12
	buffer_load_dword v75, v103, s[0:3], 0 offen offset:4
	;; [unrolled: 1-line block ×4, first 2 shown]
	buffer_load_dword v78, v105, s[0:3], 0 offen
	buffer_load_dword v79, v105, s[0:3], 0 offen offset:4
	buffer_load_dword v80, v105, s[0:3], 0 offen offset:8
	buffer_load_dword v74, v103, s[0:3], 0 offen
	buffer_load_dword v81, v105, s[0:3], 0 offen offset:12
	buffer_load_dword v83, v98, s[0:3], 0 offen offset:4
	;; [unrolled: 1-line block ×4, first 2 shown]
	buffer_load_dword v86, v99, s[0:3], 0 offen
	buffer_load_dword v87, v99, s[0:3], 0 offen offset:4
                                        ; kill: killed $vgpr104
                                        ; kill: killed $vgpr105
                                        ; kill: killed $vgpr102
                                        ; kill: killed $vgpr103
	buffer_load_dword v88, v99, s[0:3], 0 offen offset:8
	buffer_load_dword v82, v98, s[0:3], 0 offen
	buffer_load_dword v89, v99, s[0:3], 0 offen offset:12
	buffer_load_dword v91, v100, s[0:3], 0 offen offset:4
	;; [unrolled: 1-line block ×4, first 2 shown]
	buffer_load_dword v102, v101, s[0:3], 0 offen
	buffer_load_dword v103, v101, s[0:3], 0 offen offset:4
	buffer_load_dword v104, v101, s[0:3], 0 offen offset:8
	buffer_load_dword v90, v100, s[0:3], 0 offen
	buffer_load_dword v105, v101, s[0:3], 0 offen offset:12
	buffer_load_dword v107, v96, s[0:3], 0 offen offset:4
	;; [unrolled: 1-line block ×4, first 2 shown]
	buffer_load_dword v110, v1, s[0:3], 0 offen
                                        ; kill: killed $vgpr100
                                        ; kill: killed $vgpr99
                                        ; kill: killed $vgpr101
                                        ; kill: killed $vgpr98
	buffer_load_dword v111, v1, s[0:3], 0 offen offset:4
	buffer_load_dword v112, v1, s[0:3], 0 offen offset:8
	buffer_load_dword v106, v96, s[0:3], 0 offen
	buffer_load_dword v113, v1, s[0:3], 0 offen offset:12
	buffer_load_dword v98, v97, s[0:3], 0 offen
	buffer_load_dword v99, v97, s[0:3], 0 offen offset:4
	buffer_load_dword v100, v97, s[0:3], 0 offen offset:8
	buffer_load_dword v101, v97, s[0:3], 0 offen offset:12
	s_waitcnt vmcnt(62)
	global_store_dwordx4 v[30:31], v[2:5], off
	s_waitcnt vmcnt(62)
	global_store_dwordx4 v[32:33], v[6:9], off
	;; [unrolled: 2-line block ×18, first 2 shown]
	s_endpgm
	.section	.rodata,"a",@progbits
	.p2align	6, 0x0
	.amdhsa_kernel _ZN9rocsolver6v33100L18getri_kernel_smallILi18E19rocblas_complex_numIdEPS3_EEvT1_iilPiilS6_bb
		.amdhsa_group_segment_fixed_size 1608
		.amdhsa_private_segment_fixed_size 304
		.amdhsa_kernarg_size 60
		.amdhsa_user_sgpr_count 10
		.amdhsa_user_sgpr_private_segment_buffer 1
		.amdhsa_user_sgpr_dispatch_ptr 1
		.amdhsa_user_sgpr_queue_ptr 0
		.amdhsa_user_sgpr_kernarg_segment_ptr 1
		.amdhsa_user_sgpr_dispatch_id 0
		.amdhsa_user_sgpr_flat_scratch_init 1
		.amdhsa_user_sgpr_kernarg_preload_length 0
		.amdhsa_user_sgpr_kernarg_preload_offset 0
		.amdhsa_user_sgpr_private_segment_size 0
		.amdhsa_uses_dynamic_stack 0
		.amdhsa_system_sgpr_private_segment_wavefront_offset 1
		.amdhsa_system_sgpr_workgroup_id_x 1
		.amdhsa_system_sgpr_workgroup_id_y 0
		.amdhsa_system_sgpr_workgroup_id_z 0
		.amdhsa_system_sgpr_workgroup_info 0
		.amdhsa_system_vgpr_workitem_id 2
		.amdhsa_next_free_vgpr 200
		.amdhsa_next_free_sgpr 29
		.amdhsa_accum_offset 200
		.amdhsa_reserve_vcc 1
		.amdhsa_reserve_flat_scratch 1
		.amdhsa_float_round_mode_32 0
		.amdhsa_float_round_mode_16_64 0
		.amdhsa_float_denorm_mode_32 3
		.amdhsa_float_denorm_mode_16_64 3
		.amdhsa_dx10_clamp 1
		.amdhsa_ieee_mode 1
		.amdhsa_fp16_overflow 0
		.amdhsa_tg_split 0
		.amdhsa_exception_fp_ieee_invalid_op 0
		.amdhsa_exception_fp_denorm_src 0
		.amdhsa_exception_fp_ieee_div_zero 0
		.amdhsa_exception_fp_ieee_overflow 0
		.amdhsa_exception_fp_ieee_underflow 0
		.amdhsa_exception_fp_ieee_inexact 0
		.amdhsa_exception_int_div_zero 0
	.end_amdhsa_kernel
	.section	.text._ZN9rocsolver6v33100L18getri_kernel_smallILi18E19rocblas_complex_numIdEPS3_EEvT1_iilPiilS6_bb,"axG",@progbits,_ZN9rocsolver6v33100L18getri_kernel_smallILi18E19rocblas_complex_numIdEPS3_EEvT1_iilPiilS6_bb,comdat
.Lfunc_end17:
	.size	_ZN9rocsolver6v33100L18getri_kernel_smallILi18E19rocblas_complex_numIdEPS3_EEvT1_iilPiilS6_bb, .Lfunc_end17-_ZN9rocsolver6v33100L18getri_kernel_smallILi18E19rocblas_complex_numIdEPS3_EEvT1_iilPiilS6_bb
                                        ; -- End function
	.section	.AMDGPU.csdata,"",@progbits
; Kernel info:
; codeLenInByte = 29192
; NumSgprs: 35
; NumVgprs: 200
; NumAgprs: 0
; TotalNumVgprs: 200
; ScratchSize: 304
; MemoryBound: 0
; FloatMode: 240
; IeeeMode: 1
; LDSByteSize: 1608 bytes/workgroup (compile time only)
; SGPRBlocks: 4
; VGPRBlocks: 24
; NumSGPRsForWavesPerEU: 35
; NumVGPRsForWavesPerEU: 200
; AccumOffset: 200
; Occupancy: 2
; WaveLimiterHint : 1
; COMPUTE_PGM_RSRC2:SCRATCH_EN: 1
; COMPUTE_PGM_RSRC2:USER_SGPR: 10
; COMPUTE_PGM_RSRC2:TRAP_HANDLER: 0
; COMPUTE_PGM_RSRC2:TGID_X_EN: 1
; COMPUTE_PGM_RSRC2:TGID_Y_EN: 0
; COMPUTE_PGM_RSRC2:TGID_Z_EN: 0
; COMPUTE_PGM_RSRC2:TIDIG_COMP_CNT: 2
; COMPUTE_PGM_RSRC3_GFX90A:ACCUM_OFFSET: 49
; COMPUTE_PGM_RSRC3_GFX90A:TG_SPLIT: 0
	.section	.text._ZN9rocsolver6v33100L18getri_kernel_smallILi19E19rocblas_complex_numIdEPS3_EEvT1_iilPiilS6_bb,"axG",@progbits,_ZN9rocsolver6v33100L18getri_kernel_smallILi19E19rocblas_complex_numIdEPS3_EEvT1_iilPiilS6_bb,comdat
	.globl	_ZN9rocsolver6v33100L18getri_kernel_smallILi19E19rocblas_complex_numIdEPS3_EEvT1_iilPiilS6_bb ; -- Begin function _ZN9rocsolver6v33100L18getri_kernel_smallILi19E19rocblas_complex_numIdEPS3_EEvT1_iilPiilS6_bb
	.p2align	8
	.type	_ZN9rocsolver6v33100L18getri_kernel_smallILi19E19rocblas_complex_numIdEPS3_EEvT1_iilPiilS6_bb,@function
_ZN9rocsolver6v33100L18getri_kernel_smallILi19E19rocblas_complex_numIdEPS3_EEvT1_iilPiilS6_bb: ; @_ZN9rocsolver6v33100L18getri_kernel_smallILi19E19rocblas_complex_numIdEPS3_EEvT1_iilPiilS6_bb
; %bb.0:
	s_add_u32 flat_scratch_lo, s8, s11
	s_addc_u32 flat_scratch_hi, s9, 0
	s_add_u32 s0, s0, s11
	v_and_b32_e32 v115, 0x3ff, v0
	s_addc_u32 s1, s1, 0
	v_cmp_gt_u32_e32 vcc, 19, v115
	s_and_saveexec_b64 s[8:9], vcc
	s_cbranch_execz .LBB18_90
; %bb.1:
	s_load_dword s8, s[6:7], 0x38
	s_load_dwordx4 s[20:23], s[6:7], 0x10
	s_load_dwordx4 s[12:15], s[6:7], 0x28
                                        ; implicit-def: $sgpr24_sgpr25
	s_waitcnt lgkmcnt(0)
	s_bitcmp1_b32 s8, 8
	s_cselect_b64 s[26:27], -1, 0
	s_ashr_i32 s11, s10, 31
	s_bfe_u32 s9, s8, 0x10008
	s_cmp_eq_u32 s9, 0
	s_cbranch_scc1 .LBB18_3
; %bb.2:
	s_load_dword s16, s[6:7], 0x20
	s_mul_i32 s9, s10, s13
	s_mul_hi_u32 s13, s10, s12
	s_mul_i32 s18, s11, s12
	s_add_i32 s9, s13, s9
	s_add_i32 s13, s9, s18
	s_mul_i32 s12, s10, s12
	s_waitcnt lgkmcnt(0)
	s_ashr_i32 s17, s16, 31
	s_lshl_b64 s[12:13], s[12:13], 2
	s_add_u32 s9, s22, s12
	s_addc_u32 s18, s23, s13
	s_lshl_b64 s[12:13], s[16:17], 2
	s_add_u32 s24, s9, s12
	s_addc_u32 s25, s18, s13
.LBB18_3:
	s_load_dwordx4 s[16:19], s[6:7], 0x0
	s_mul_i32 s6, s10, s21
	s_mul_hi_u32 s7, s10, s20
	s_add_i32 s9, s7, s6
	s_mul_i32 s12, s11, s20
	s_add_i32 s13, s9, s12
	s_mul_i32 s12, s10, s20
	s_waitcnt lgkmcnt(0)
	s_ashr_i32 s7, s18, 31
	s_lshl_b64 s[12:13], s[12:13], 4
	s_mov_b32 s6, s18
	s_add_u32 s9, s16, s12
	s_addc_u32 s12, s17, s13
	s_lshl_b64 s[6:7], s[6:7], 4
	s_add_u32 s6, s9, s6
	s_addc_u32 s7, s12, s7
	v_lshlrev_b32_e32 v14, 4, v115
	v_mov_b32_e32 v1, s7
	v_add_co_u32_e32 v30, vcc, s6, v14
	global_load_dwordx4 v[16:19], v14, s[6:7]
	s_ashr_i32 s13, s19, 31
	s_mov_b32 s12, s19
	v_addc_co_u32_e32 v31, vcc, 0, v1, vcc
	s_lshl_b64 s[12:13], s[12:13], 4
	v_mov_b32_e32 v1, s13
	v_add_co_u32_e32 v32, vcc, s12, v30
	s_add_i32 s9, s19, s19
	v_addc_co_u32_e32 v33, vcc, v31, v1, vcc
	global_load_dwordx4 v[20:23], v[32:33], off
	v_add_u32_e32 v6, s9, v115
	v_ashrrev_i32_e32 v7, 31, v6
	v_lshlrev_b64 v[2:3], 4, v[6:7]
	v_mov_b32_e32 v1, s7
	v_add_co_u32_e32 v34, vcc, s6, v2
	v_addc_co_u32_e32 v35, vcc, v1, v3, vcc
	global_load_dwordx4 v[2:5], v[34:35], off
	v_add_u32_e32 v6, s19, v6
	v_ashrrev_i32_e32 v7, 31, v6
	v_add_u32_e32 v8, s19, v6
	v_lshlrev_b64 v[6:7], 4, v[6:7]
	v_ashrrev_i32_e32 v9, 31, v8
	v_add_co_u32_e32 v36, vcc, s6, v6
	v_add_u32_e32 v10, s19, v8
	v_addc_co_u32_e32 v37, vcc, v1, v7, vcc
	v_lshlrev_b64 v[6:7], 4, v[8:9]
	v_mov_b32_e32 v12, s7
	v_ashrrev_i32_e32 v11, 31, v10
	v_add_co_u32_e32 v38, vcc, s6, v6
	v_add_u32_e32 v24, s19, v10
	v_addc_co_u32_e32 v39, vcc, v12, v7, vcc
	v_lshlrev_b64 v[26:27], 4, v[10:11]
	v_mov_b32_e32 v15, s7
	;; [unrolled: 6-line block ×4, first 2 shown]
	v_add_co_u32_e32 v44, vcc, s6, v28
	v_ashrrev_i32_e32 v49, 31, v48
	global_load_dwordx4 v[10:13], v[36:37], off
	global_load_dwordx4 v[6:9], v[38:39], off
	;; [unrolled: 1-line block ×4, first 2 shown]
	v_addc_co_u32_e32 v45, vcc, v45, v29, vcc
	v_add_u32_e32 v28, s19, v48
	v_ashrrev_i32_e32 v29, 31, v28
	s_bitcmp0_b32 s8, 0
	s_mov_b64 s[8:9], -1
	s_waitcnt vmcnt(6)
	buffer_store_dword v19, off, s[0:3], 0 offset:12
	buffer_store_dword v18, off, s[0:3], 0 offset:8
	;; [unrolled: 1-line block ×3, first 2 shown]
	buffer_store_dword v16, off, s[0:3], 0
	s_waitcnt vmcnt(9)
	buffer_store_dword v23, off, s[0:3], 0 offset:28
	buffer_store_dword v22, off, s[0:3], 0 offset:24
	;; [unrolled: 1-line block ×4, first 2 shown]
	s_waitcnt vmcnt(12)
	buffer_store_dword v5, off, s[0:3], 0 offset:44
	v_lshlrev_b64 v[16:17], 4, v[48:49]
	v_add_co_u32_e32 v46, vcc, s6, v16
	v_addc_co_u32_e32 v47, vcc, v1, v17, vcc
	v_lshlrev_b64 v[48:49], 4, v[28:29]
	v_add_u32_e32 v28, s19, v28
	v_add_co_u32_e32 v48, vcc, s6, v48
	v_ashrrev_i32_e32 v29, 31, v28
	v_addc_co_u32_e32 v49, vcc, v1, v49, vcc
	v_lshlrev_b64 v[50:51], 4, v[28:29]
	v_add_u32_e32 v28, s19, v28
	v_add_co_u32_e32 v50, vcc, s6, v50
	v_ashrrev_i32_e32 v29, 31, v28
	v_addc_co_u32_e32 v51, vcc, v1, v51, vcc
	v_lshlrev_b64 v[52:53], 4, v[28:29]
	v_add_u32_e32 v28, s19, v28
	v_add_co_u32_e32 v52, vcc, s6, v52
	v_ashrrev_i32_e32 v29, 31, v28
	v_addc_co_u32_e32 v53, vcc, v1, v53, vcc
	v_lshlrev_b64 v[54:55], 4, v[28:29]
	v_add_u32_e32 v28, s19, v28
	v_add_co_u32_e32 v54, vcc, s6, v54
	v_ashrrev_i32_e32 v29, 31, v28
	v_addc_co_u32_e32 v55, vcc, v1, v55, vcc
	v_lshlrev_b64 v[56:57], 4, v[28:29]
	v_add_u32_e32 v28, s19, v28
	v_add_co_u32_e32 v56, vcc, s6, v56
	v_ashrrev_i32_e32 v29, 31, v28
	v_addc_co_u32_e32 v57, vcc, v1, v57, vcc
	v_lshlrev_b64 v[58:59], 4, v[28:29]
	v_add_u32_e32 v28, s19, v28
	v_add_co_u32_e32 v58, vcc, s6, v58
	v_ashrrev_i32_e32 v29, 31, v28
	v_addc_co_u32_e32 v59, vcc, v1, v59, vcc
	v_lshlrev_b64 v[60:61], 4, v[28:29]
	v_add_u32_e32 v28, s19, v28
	v_add_co_u32_e32 v60, vcc, s6, v60
	v_ashrrev_i32_e32 v29, 31, v28
	v_addc_co_u32_e32 v61, vcc, v1, v61, vcc
	v_lshlrev_b64 v[62:63], 4, v[28:29]
	v_add_u32_e32 v28, s19, v28
	v_add_co_u32_e32 v62, vcc, s6, v62
	v_ashrrev_i32_e32 v29, 31, v28
	v_addc_co_u32_e32 v63, vcc, v1, v63, vcc
	v_lshlrev_b64 v[64:65], 4, v[28:29]
	v_add_u32_e32 v28, s19, v28
	v_add_co_u32_e32 v64, vcc, s6, v64
	v_ashrrev_i32_e32 v29, 31, v28
	v_addc_co_u32_e32 v65, vcc, v1, v65, vcc
	v_lshlrev_b64 v[28:29], 4, v[28:29]
	global_load_dwordx4 v[16:19], v[44:45], off
	global_load_dwordx4 v[20:23], v[46:47], off
	;; [unrolled: 1-line block ×8, first 2 shown]
	v_add_co_u32_e32 v66, vcc, s6, v28
	global_load_dwordx4 v[96:99], v[60:61], off
	global_load_dwordx4 v[100:103], v[62:63], off
	v_addc_co_u32_e32 v67, vcc, v1, v29, vcc
	global_load_dwordx4 v[116:119], v[64:65], off
	global_load_dwordx4 v[120:123], v[66:67], off
	s_nop 0
	buffer_store_dword v4, off, s[0:3], 0 offset:40
	buffer_store_dword v3, off, s[0:3], 0 offset:36
	buffer_store_dword v2, off, s[0:3], 0 offset:32
	s_waitcnt vmcnt(27)
	buffer_store_dword v13, off, s[0:3], 0 offset:60
	buffer_store_dword v12, off, s[0:3], 0 offset:56
	buffer_store_dword v11, off, s[0:3], 0 offset:52
	buffer_store_dword v10, off, s[0:3], 0 offset:48
	s_waitcnt vmcnt(30)
	buffer_store_dword v9, off, s[0:3], 0 offset:76
	;; [unrolled: 5-line block ×12, first 2 shown]
	buffer_store_dword v94, off, s[0:3], 0 offset:232
	buffer_store_dword v93, off, s[0:3], 0 offset:228
	;; [unrolled: 1-line block ×3, first 2 shown]
	v_mov_b32_e32 v2, 0
	v_add_u32_e32 v112, 16, v2
	v_add_u32_e32 v114, 32, v2
	;; [unrolled: 1-line block ×3, first 2 shown]
	s_waitcnt vmcnt(54)
	buffer_store_dword v99, off, s[0:3], 0 offset:252
	buffer_store_dword v98, off, s[0:3], 0 offset:248
	;; [unrolled: 1-line block ×4, first 2 shown]
	v_add_u32_e32 v110, 64, v2
	v_add_u32_e32 v108, 0x50, v2
	;; [unrolled: 1-line block ×4, first 2 shown]
	s_waitcnt vmcnt(57)
	buffer_store_dword v103, off, s[0:3], 0 offset:268
	buffer_store_dword v102, off, s[0:3], 0 offset:264
	;; [unrolled: 1-line block ×4, first 2 shown]
	v_add_u32_e32 v104, 0x80, v2
	v_add_u32_e32 v106, 0x90, v2
	;; [unrolled: 1-line block ×11, first 2 shown]
	s_waitcnt vmcnt(60)
	buffer_store_dword v119, off, s[0:3], 0 offset:284
	buffer_store_dword v118, off, s[0:3], 0 offset:280
	;; [unrolled: 1-line block ×4, first 2 shown]
	s_waitcnt vmcnt(62)
	buffer_store_dword v123, off, s[0:3], 0 offset:300
	buffer_store_dword v122, off, s[0:3], 0 offset:296
	;; [unrolled: 1-line block ×4, first 2 shown]
	s_cbranch_scc1 .LBB18_88
; %bb.4:
	v_cmp_eq_u32_e64 s[6:7], 0, v115
	s_and_saveexec_b64 s[8:9], s[6:7]
	s_cbranch_execz .LBB18_6
; %bb.5:
	v_mov_b32_e32 v2, 0
	ds_write_b32 v2, v2 offset:608
.LBB18_6:
	s_or_b64 exec, exec, s[8:9]
	v_mov_b32_e32 v2, 0
	v_lshl_add_u32 v12, v115, 4, v2
	s_waitcnt lgkmcnt(0)
	; wave barrier
	s_waitcnt lgkmcnt(0)
	buffer_load_dword v2, v12, s[0:3], 0 offen
	buffer_load_dword v3, v12, s[0:3], 0 offen offset:4
	buffer_load_dword v4, v12, s[0:3], 0 offen offset:8
	;; [unrolled: 1-line block ×3, first 2 shown]
	s_waitcnt vmcnt(2)
	v_cmp_eq_f64_e32 vcc, 0, v[2:3]
	s_waitcnt vmcnt(0)
	v_cmp_eq_f64_e64 s[8:9], 0, v[4:5]
	s_and_b64 s[8:9], vcc, s[8:9]
	s_and_saveexec_b64 s[12:13], s[8:9]
	s_cbranch_execz .LBB18_10
; %bb.7:
	v_mov_b32_e32 v2, 0
	ds_read_b32 v4, v2 offset:608
	v_add_u32_e32 v3, 1, v115
	s_waitcnt lgkmcnt(0)
	v_readfirstlane_b32 s8, v4
	s_cmp_eq_u32 s8, 0
	s_cselect_b64 s[16:17], -1, 0
	v_cmp_gt_i32_e32 vcc, s8, v3
	s_or_b64 s[16:17], s[16:17], vcc
	s_and_b64 exec, exec, s[16:17]
	s_cbranch_execz .LBB18_10
; %bb.8:
	s_mov_b64 s[16:17], 0
	v_mov_b32_e32 v4, s8
.LBB18_9:                               ; =>This Inner Loop Header: Depth=1
	ds_cmpst_rtn_b32 v4, v2, v4, v3 offset:608
	s_waitcnt lgkmcnt(0)
	v_cmp_ne_u32_e32 vcc, 0, v4
	v_cmp_le_i32_e64 s[8:9], v4, v3
	s_and_b64 s[8:9], vcc, s[8:9]
	s_and_b64 s[8:9], exec, s[8:9]
	s_or_b64 s[16:17], s[8:9], s[16:17]
	s_andn2_b64 exec, exec, s[16:17]
	s_cbranch_execnz .LBB18_9
.LBB18_10:
	s_or_b64 exec, exec, s[12:13]
	v_mov_b32_e32 v3, 0
	s_waitcnt lgkmcnt(0)
	; wave barrier
	ds_read_b32 v2, v3 offset:608
	s_and_saveexec_b64 s[8:9], s[6:7]
	s_cbranch_execz .LBB18_12
; %bb.11:
	s_lshl_b64 s[12:13], s[10:11], 2
	s_add_u32 s12, s14, s12
	s_addc_u32 s13, s15, s13
	s_waitcnt lgkmcnt(0)
	global_store_dword v3, v2, s[12:13]
.LBB18_12:
	s_or_b64 exec, exec, s[8:9]
	s_waitcnt lgkmcnt(0)
	v_cmp_ne_u32_e32 vcc, 0, v2
	s_mov_b64 s[8:9], 0
	s_cbranch_vccnz .LBB18_88
; %bb.13:
	buffer_load_dword v7, v12, s[0:3], 0 offen offset:4
	buffer_load_dword v6, v12, s[0:3], 0 offen
	buffer_load_dword v9, v12, s[0:3], 0 offen offset:12
	buffer_load_dword v8, v12, s[0:3], 0 offen offset:8
                                        ; implicit-def: $vgpr10_vgpr11
	s_waitcnt vmcnt(3)
	v_xor_b32_e32 v3, 0x80000000, v7
	s_waitcnt vmcnt(2)
	v_cmp_gt_f64_e32 vcc, 0, v[6:7]
	s_waitcnt vmcnt(1)
	v_xor_b32_e32 v4, 0x80000000, v9
	v_cndmask_b32_e32 v3, v7, v3, vcc
	s_waitcnt vmcnt(0)
	v_cmp_gt_f64_e32 vcc, 0, v[8:9]
	v_mov_b32_e32 v2, v6
	v_cndmask_b32_e32 v5, v9, v4, vcc
	v_mov_b32_e32 v4, v8
	v_cmp_ngt_f64_e32 vcc, v[2:3], v[4:5]
                                        ; implicit-def: $vgpr4_vgpr5
	s_and_saveexec_b64 s[8:9], vcc
	s_xor_b64 s[8:9], exec, s[8:9]
	s_cbranch_execz .LBB18_15
; %bb.14:
	v_div_scale_f64 v[2:3], s[12:13], v[8:9], v[8:9], v[6:7]
	v_rcp_f64_e32 v[4:5], v[2:3]
	v_div_scale_f64 v[10:11], vcc, v[6:7], v[8:9], v[6:7]
	v_fma_f64 v[16:17], -v[2:3], v[4:5], 1.0
	v_fmac_f64_e32 v[4:5], v[4:5], v[16:17]
	v_fma_f64 v[16:17], -v[2:3], v[4:5], 1.0
	v_fmac_f64_e32 v[4:5], v[4:5], v[16:17]
	v_mul_f64 v[16:17], v[10:11], v[4:5]
	v_fma_f64 v[2:3], -v[2:3], v[16:17], v[10:11]
	v_div_fmas_f64 v[2:3], v[2:3], v[4:5], v[16:17]
	v_div_fixup_f64 v[2:3], v[2:3], v[8:9], v[6:7]
	v_fmac_f64_e32 v[8:9], v[6:7], v[2:3]
	v_div_scale_f64 v[4:5], s[12:13], v[8:9], v[8:9], 1.0
	v_rcp_f64_e32 v[6:7], v[4:5]
	v_fma_f64 v[10:11], -v[4:5], v[6:7], 1.0
	v_fmac_f64_e32 v[6:7], v[6:7], v[10:11]
	v_fma_f64 v[10:11], -v[4:5], v[6:7], 1.0
	v_fmac_f64_e32 v[6:7], v[6:7], v[10:11]
	v_div_scale_f64 v[10:11], vcc, 1.0, v[8:9], 1.0
	v_mul_f64 v[16:17], v[10:11], v[6:7]
	v_fma_f64 v[4:5], -v[4:5], v[16:17], v[10:11]
	s_nop 1
	v_div_fmas_f64 v[4:5], v[4:5], v[6:7], v[16:17]
	v_div_fixup_f64 v[4:5], v[4:5], v[8:9], 1.0
	v_mul_f64 v[10:11], v[2:3], v[4:5]
	v_xor_b32_e32 v5, 0x80000000, v5
	v_xor_b32_e32 v3, 0x80000000, v11
	v_mov_b32_e32 v2, v10
                                        ; implicit-def: $vgpr6_vgpr7
                                        ; implicit-def: $vgpr8_vgpr9
.LBB18_15:
	s_andn2_saveexec_b64 s[8:9], s[8:9]
	s_cbranch_execz .LBB18_17
; %bb.16:
	v_div_scale_f64 v[2:3], s[12:13], v[6:7], v[6:7], v[8:9]
	v_rcp_f64_e32 v[4:5], v[2:3]
	v_div_scale_f64 v[10:11], vcc, v[8:9], v[6:7], v[8:9]
	v_fma_f64 v[16:17], -v[2:3], v[4:5], 1.0
	v_fmac_f64_e32 v[4:5], v[4:5], v[16:17]
	v_fma_f64 v[16:17], -v[2:3], v[4:5], 1.0
	v_fmac_f64_e32 v[4:5], v[4:5], v[16:17]
	v_mul_f64 v[16:17], v[10:11], v[4:5]
	v_fma_f64 v[2:3], -v[2:3], v[16:17], v[10:11]
	v_div_fmas_f64 v[2:3], v[2:3], v[4:5], v[16:17]
	v_div_fixup_f64 v[4:5], v[2:3], v[6:7], v[8:9]
	v_fmac_f64_e32 v[6:7], v[8:9], v[4:5]
	v_div_scale_f64 v[2:3], s[12:13], v[6:7], v[6:7], 1.0
	v_rcp_f64_e32 v[8:9], v[2:3]
	v_fma_f64 v[10:11], -v[2:3], v[8:9], 1.0
	v_fmac_f64_e32 v[8:9], v[8:9], v[10:11]
	v_fma_f64 v[10:11], -v[2:3], v[8:9], 1.0
	v_fmac_f64_e32 v[8:9], v[8:9], v[10:11]
	v_div_scale_f64 v[10:11], vcc, 1.0, v[6:7], 1.0
	v_mul_f64 v[16:17], v[10:11], v[8:9]
	v_fma_f64 v[2:3], -v[2:3], v[16:17], v[10:11]
	s_nop 1
	v_div_fmas_f64 v[2:3], v[2:3], v[8:9], v[16:17]
	v_div_fixup_f64 v[10:11], v[2:3], v[6:7], 1.0
	v_xor_b32_e32 v3, 0x80000000, v11
	v_mov_b32_e32 v2, v10
	v_mul_f64 v[4:5], v[4:5], -v[10:11]
.LBB18_17:
	s_or_b64 exec, exec, s[8:9]
	buffer_store_dword v11, v12, s[0:3], 0 offen offset:4
	buffer_store_dword v10, v12, s[0:3], 0 offen
	buffer_store_dword v5, v12, s[0:3], 0 offen offset:12
	buffer_store_dword v4, v12, s[0:3], 0 offen offset:8
	buffer_load_dword v11, v112, s[0:3], 0 offen offset:12
	s_nop 0
	buffer_load_dword v10, v112, s[0:3], 0 offen offset:8
	buffer_load_dword v9, v112, s[0:3], 0 offen offset:4
	buffer_load_dword v8, v112, s[0:3], 0 offen
	v_xor_b32_e32 v5, 0x80000000, v5
	v_add_u32_e32 v6, 0x130, v14
	ds_write_b128 v14, v[2:5]
	s_waitcnt vmcnt(0)
	ds_write_b128 v14, v[8:11] offset:304
	s_waitcnt lgkmcnt(0)
	; wave barrier
	s_waitcnt lgkmcnt(0)
	s_and_saveexec_b64 s[8:9], s[6:7]
	s_cbranch_execz .LBB18_19
; %bb.18:
	buffer_load_dword v16, v12, s[0:3], 0 offen offset:8
	buffer_load_dword v17, v12, s[0:3], 0 offen offset:12
	buffer_load_dword v18, v12, s[0:3], 0 offen
	buffer_load_dword v19, v12, s[0:3], 0 offen offset:4
	ds_read_b128 v[2:5], v6
	v_mov_b32_e32 v7, 0
	ds_read_b128 v[8:11], v7 offset:16
	s_waitcnt vmcnt(2) lgkmcnt(1)
	v_mul_f64 v[20:21], v[4:5], v[16:17]
	v_mul_f64 v[16:17], v[2:3], v[16:17]
	s_waitcnt vmcnt(0)
	v_fmac_f64_e32 v[16:17], v[4:5], v[18:19]
	v_fma_f64 v[2:3], v[2:3], v[18:19], -v[20:21]
	v_add_f64 v[4:5], v[16:17], 0
	v_add_f64 v[2:3], v[2:3], 0
	s_waitcnt lgkmcnt(0)
	v_mul_f64 v[16:17], v[4:5], v[10:11]
	v_mul_f64 v[10:11], v[2:3], v[10:11]
	v_fma_f64 v[2:3], v[2:3], v[8:9], -v[16:17]
	v_fmac_f64_e32 v[10:11], v[4:5], v[8:9]
	buffer_store_dword v2, off, s[0:3], 0 offset:16
	buffer_store_dword v3, off, s[0:3], 0 offset:20
	;; [unrolled: 1-line block ×4, first 2 shown]
.LBB18_19:
	s_or_b64 exec, exec, s[8:9]
	s_waitcnt lgkmcnt(0)
	; wave barrier
	buffer_load_dword v2, v114, s[0:3], 0 offen
	buffer_load_dword v3, v114, s[0:3], 0 offen offset:4
	buffer_load_dword v4, v114, s[0:3], 0 offen offset:8
	;; [unrolled: 1-line block ×3, first 2 shown]
	v_cmp_gt_u32_e32 vcc, 2, v115
	s_waitcnt vmcnt(0)
	ds_write_b128 v6, v[2:5]
	s_waitcnt lgkmcnt(0)
	; wave barrier
	s_waitcnt lgkmcnt(0)
	s_and_saveexec_b64 s[8:9], vcc
	s_cbranch_execz .LBB18_23
; %bb.20:
	buffer_load_dword v8, v12, s[0:3], 0 offen offset:8
	buffer_load_dword v9, v12, s[0:3], 0 offen offset:12
	buffer_load_dword v10, v12, s[0:3], 0 offen
	buffer_load_dword v11, v12, s[0:3], 0 offen offset:4
	ds_read_b128 v[2:5], v6
	s_waitcnt vmcnt(2) lgkmcnt(0)
	v_mul_f64 v[12:13], v[4:5], v[8:9]
	v_mul_f64 v[8:9], v[2:3], v[8:9]
	s_waitcnt vmcnt(0)
	v_fma_f64 v[2:3], v[2:3], v[10:11], -v[12:13]
	v_fmac_f64_e32 v[8:9], v[4:5], v[10:11]
	v_add_f64 v[4:5], v[2:3], 0
	v_add_f64 v[2:3], v[8:9], 0
	s_and_saveexec_b64 s[12:13], s[6:7]
	s_cbranch_execz .LBB18_22
; %bb.21:
	buffer_load_dword v12, off, s[0:3], 0 offset:24
	buffer_load_dword v13, off, s[0:3], 0 offset:28
	;; [unrolled: 1-line block ×4, first 2 shown]
	v_mov_b32_e32 v7, 0
	ds_read_b128 v[8:11], v7 offset:320
	s_waitcnt vmcnt(2) lgkmcnt(0)
	v_mul_f64 v[18:19], v[8:9], v[12:13]
	v_mul_f64 v[12:13], v[10:11], v[12:13]
	s_waitcnt vmcnt(0)
	v_fmac_f64_e32 v[18:19], v[10:11], v[16:17]
	v_fma_f64 v[8:9], v[8:9], v[16:17], -v[12:13]
	v_add_f64 v[2:3], v[2:3], v[18:19]
	v_add_f64 v[4:5], v[4:5], v[8:9]
.LBB18_22:
	s_or_b64 exec, exec, s[12:13]
	v_mov_b32_e32 v7, 0
	ds_read_b128 v[8:11], v7 offset:32
	s_waitcnt lgkmcnt(0)
	v_mul_f64 v[12:13], v[2:3], v[10:11]
	v_mul_f64 v[10:11], v[4:5], v[10:11]
	v_fma_f64 v[4:5], v[4:5], v[8:9], -v[12:13]
	v_fmac_f64_e32 v[10:11], v[2:3], v[8:9]
	buffer_store_dword v5, off, s[0:3], 0 offset:36
	buffer_store_dword v4, off, s[0:3], 0 offset:32
	;; [unrolled: 1-line block ×4, first 2 shown]
.LBB18_23:
	s_or_b64 exec, exec, s[8:9]
	s_waitcnt lgkmcnt(0)
	; wave barrier
	buffer_load_dword v2, v113, s[0:3], 0 offen
	buffer_load_dword v3, v113, s[0:3], 0 offen offset:4
	buffer_load_dword v4, v113, s[0:3], 0 offen offset:8
	buffer_load_dword v5, v113, s[0:3], 0 offen offset:12
	v_cmp_gt_u32_e32 vcc, 3, v115
	v_add_u32_e32 v7, -1, v115
	s_waitcnt vmcnt(0)
	ds_write_b128 v6, v[2:5]
	s_waitcnt lgkmcnt(0)
	; wave barrier
	s_waitcnt lgkmcnt(0)
	s_and_saveexec_b64 s[6:7], vcc
	s_cbranch_execz .LBB18_27
; %bb.24:
	v_pk_mov_b32 v[2:3], 0, 0
	v_add_u32_e32 v8, -1, v115
	v_add_u32_e32 v9, 0x130, v14
	v_add_u32_e32 v10, 0, v14
	s_mov_b64 s[8:9], 0
	v_pk_mov_b32 v[4:5], v[2:3], v[2:3] op_sel:[0,1]
.LBB18_25:                              ; =>This Inner Loop Header: Depth=1
	buffer_load_dword v12, v10, s[0:3], 0 offen offset:8
	buffer_load_dword v13, v10, s[0:3], 0 offen offset:12
	buffer_load_dword v20, v10, s[0:3], 0 offen
	buffer_load_dword v21, v10, s[0:3], 0 offen offset:4
	ds_read_b128 v[16:19], v9
	v_add_u32_e32 v8, 1, v8
	v_cmp_lt_u32_e32 vcc, 1, v8
	v_add_u32_e32 v9, 16, v9
	v_add_u32_e32 v10, 16, v10
	s_or_b64 s[8:9], vcc, s[8:9]
	s_waitcnt vmcnt(2) lgkmcnt(0)
	v_mul_f64 v[22:23], v[18:19], v[12:13]
	v_mul_f64 v[12:13], v[16:17], v[12:13]
	s_waitcnt vmcnt(0)
	v_fma_f64 v[16:17], v[16:17], v[20:21], -v[22:23]
	v_fmac_f64_e32 v[12:13], v[18:19], v[20:21]
	v_add_f64 v[4:5], v[4:5], v[16:17]
	v_add_f64 v[2:3], v[2:3], v[12:13]
	s_andn2_b64 exec, exec, s[8:9]
	s_cbranch_execnz .LBB18_25
; %bb.26:
	s_or_b64 exec, exec, s[8:9]
	v_mov_b32_e32 v8, 0
	ds_read_b128 v[8:11], v8 offset:48
	s_waitcnt lgkmcnt(0)
	v_mul_f64 v[12:13], v[2:3], v[10:11]
	v_mul_f64 v[10:11], v[4:5], v[10:11]
	v_fma_f64 v[4:5], v[4:5], v[8:9], -v[12:13]
	v_fmac_f64_e32 v[10:11], v[2:3], v[8:9]
	buffer_store_dword v5, off, s[0:3], 0 offset:52
	buffer_store_dword v4, off, s[0:3], 0 offset:48
	buffer_store_dword v11, off, s[0:3], 0 offset:60
	buffer_store_dword v10, off, s[0:3], 0 offset:56
.LBB18_27:
	s_or_b64 exec, exec, s[6:7]
	s_waitcnt lgkmcnt(0)
	; wave barrier
	buffer_load_dword v2, v110, s[0:3], 0 offen
	buffer_load_dword v3, v110, s[0:3], 0 offen offset:4
	buffer_load_dword v4, v110, s[0:3], 0 offen offset:8
	buffer_load_dword v5, v110, s[0:3], 0 offen offset:12
	v_cmp_gt_u32_e32 vcc, 4, v115
	s_waitcnt vmcnt(0)
	ds_write_b128 v6, v[2:5]
	s_waitcnt lgkmcnt(0)
	; wave barrier
	s_waitcnt lgkmcnt(0)
	s_and_saveexec_b64 s[6:7], vcc
	s_cbranch_execz .LBB18_31
; %bb.28:
	v_pk_mov_b32 v[2:3], 0, 0
	v_add_u32_e32 v8, -1, v115
	v_add_u32_e32 v9, 0x130, v14
	v_add_u32_e32 v10, 0, v14
	s_mov_b64 s[8:9], 0
	v_pk_mov_b32 v[4:5], v[2:3], v[2:3] op_sel:[0,1]
.LBB18_29:                              ; =>This Inner Loop Header: Depth=1
	buffer_load_dword v12, v10, s[0:3], 0 offen offset:8
	buffer_load_dword v13, v10, s[0:3], 0 offen offset:12
	buffer_load_dword v20, v10, s[0:3], 0 offen
	buffer_load_dword v21, v10, s[0:3], 0 offen offset:4
	ds_read_b128 v[16:19], v9
	v_add_u32_e32 v8, 1, v8
	v_cmp_lt_u32_e32 vcc, 2, v8
	v_add_u32_e32 v9, 16, v9
	v_add_u32_e32 v10, 16, v10
	s_or_b64 s[8:9], vcc, s[8:9]
	s_waitcnt vmcnt(2) lgkmcnt(0)
	v_mul_f64 v[22:23], v[18:19], v[12:13]
	v_mul_f64 v[12:13], v[16:17], v[12:13]
	s_waitcnt vmcnt(0)
	v_fma_f64 v[16:17], v[16:17], v[20:21], -v[22:23]
	v_fmac_f64_e32 v[12:13], v[18:19], v[20:21]
	v_add_f64 v[4:5], v[4:5], v[16:17]
	v_add_f64 v[2:3], v[2:3], v[12:13]
	s_andn2_b64 exec, exec, s[8:9]
	s_cbranch_execnz .LBB18_29
; %bb.30:
	s_or_b64 exec, exec, s[8:9]
	v_mov_b32_e32 v8, 0
	ds_read_b128 v[8:11], v8 offset:64
	s_waitcnt lgkmcnt(0)
	v_mul_f64 v[12:13], v[2:3], v[10:11]
	v_mul_f64 v[10:11], v[4:5], v[10:11]
	v_fma_f64 v[4:5], v[4:5], v[8:9], -v[12:13]
	v_fmac_f64_e32 v[10:11], v[2:3], v[8:9]
	buffer_store_dword v5, off, s[0:3], 0 offset:68
	buffer_store_dword v4, off, s[0:3], 0 offset:64
	buffer_store_dword v11, off, s[0:3], 0 offset:76
	buffer_store_dword v10, off, s[0:3], 0 offset:72
.LBB18_31:
	s_or_b64 exec, exec, s[6:7]
	s_waitcnt lgkmcnt(0)
	; wave barrier
	buffer_load_dword v2, v108, s[0:3], 0 offen
	buffer_load_dword v3, v108, s[0:3], 0 offen offset:4
	buffer_load_dword v4, v108, s[0:3], 0 offen offset:8
	buffer_load_dword v5, v108, s[0:3], 0 offen offset:12
	v_cmp_gt_u32_e32 vcc, 5, v115
	;; [unrolled: 57-line block ×14, first 2 shown]
	s_waitcnt vmcnt(0)
	ds_write_b128 v6, v[2:5]
	s_waitcnt lgkmcnt(0)
	; wave barrier
	s_waitcnt lgkmcnt(0)
	s_and_saveexec_b64 s[6:7], vcc
	s_cbranch_execz .LBB18_83
; %bb.80:
	v_pk_mov_b32 v[2:3], 0, 0
	v_add_u32_e32 v8, -1, v115
	v_add_u32_e32 v9, 0x130, v14
	v_add_u32_e32 v10, 0, v14
	s_mov_b64 s[8:9], 0
	v_pk_mov_b32 v[4:5], v[2:3], v[2:3] op_sel:[0,1]
.LBB18_81:                              ; =>This Inner Loop Header: Depth=1
	buffer_load_dword v12, v10, s[0:3], 0 offen offset:8
	buffer_load_dword v13, v10, s[0:3], 0 offen offset:12
	buffer_load_dword v20, v10, s[0:3], 0 offen
	buffer_load_dword v21, v10, s[0:3], 0 offen offset:4
	ds_read_b128 v[16:19], v9
	v_add_u32_e32 v8, 1, v8
	v_cmp_lt_u32_e32 vcc, 15, v8
	v_add_u32_e32 v9, 16, v9
	v_add_u32_e32 v10, 16, v10
	s_or_b64 s[8:9], vcc, s[8:9]
	s_waitcnt vmcnt(2) lgkmcnt(0)
	v_mul_f64 v[22:23], v[18:19], v[12:13]
	v_mul_f64 v[12:13], v[16:17], v[12:13]
	s_waitcnt vmcnt(0)
	v_fma_f64 v[16:17], v[16:17], v[20:21], -v[22:23]
	v_fmac_f64_e32 v[12:13], v[18:19], v[20:21]
	v_add_f64 v[4:5], v[4:5], v[16:17]
	v_add_f64 v[2:3], v[2:3], v[12:13]
	s_andn2_b64 exec, exec, s[8:9]
	s_cbranch_execnz .LBB18_81
; %bb.82:
	s_or_b64 exec, exec, s[8:9]
	v_mov_b32_e32 v8, 0
	ds_read_b128 v[8:11], v8 offset:272
	s_waitcnt lgkmcnt(0)
	v_mul_f64 v[12:13], v[2:3], v[10:11]
	v_mul_f64 v[10:11], v[4:5], v[10:11]
	v_fma_f64 v[4:5], v[4:5], v[8:9], -v[12:13]
	v_fmac_f64_e32 v[10:11], v[2:3], v[8:9]
	buffer_store_dword v5, off, s[0:3], 0 offset:276
	buffer_store_dword v4, off, s[0:3], 0 offset:272
	;; [unrolled: 1-line block ×4, first 2 shown]
.LBB18_83:
	s_or_b64 exec, exec, s[6:7]
	s_waitcnt lgkmcnt(0)
	; wave barrier
	buffer_load_dword v2, v99, s[0:3], 0 offen
	buffer_load_dword v3, v99, s[0:3], 0 offen offset:4
	buffer_load_dword v4, v99, s[0:3], 0 offen offset:8
	;; [unrolled: 1-line block ×3, first 2 shown]
	v_cmp_ne_u32_e32 vcc, 18, v115
	s_waitcnt vmcnt(0)
	ds_write_b128 v6, v[2:5]
	s_waitcnt lgkmcnt(0)
	; wave barrier
	s_waitcnt lgkmcnt(0)
	s_and_saveexec_b64 s[6:7], vcc
	s_cbranch_execz .LBB18_87
; %bb.84:
	v_pk_mov_b32 v[2:3], 0, 0
	v_add_u32_e32 v6, 0x130, v14
	v_add_u32_e32 v8, 0, v14
	s_mov_b64 s[8:9], 0
	v_pk_mov_b32 v[4:5], v[2:3], v[2:3] op_sel:[0,1]
.LBB18_85:                              ; =>This Inner Loop Header: Depth=1
	buffer_load_dword v14, v8, s[0:3], 0 offen offset:8
	buffer_load_dword v15, v8, s[0:3], 0 offen offset:12
	buffer_load_dword v16, v8, s[0:3], 0 offen
	buffer_load_dword v17, v8, s[0:3], 0 offen offset:4
	ds_read_b128 v[10:13], v6
	v_add_u32_e32 v7, 1, v7
	v_cmp_lt_u32_e32 vcc, 16, v7
	v_add_u32_e32 v6, 16, v6
	v_add_u32_e32 v8, 16, v8
	s_or_b64 s[8:9], vcc, s[8:9]
	s_waitcnt vmcnt(2) lgkmcnt(0)
	v_mul_f64 v[18:19], v[12:13], v[14:15]
	v_mul_f64 v[14:15], v[10:11], v[14:15]
	s_waitcnt vmcnt(0)
	v_fma_f64 v[10:11], v[10:11], v[16:17], -v[18:19]
	v_fmac_f64_e32 v[14:15], v[12:13], v[16:17]
	v_add_f64 v[4:5], v[4:5], v[10:11]
	v_add_f64 v[2:3], v[2:3], v[14:15]
	s_andn2_b64 exec, exec, s[8:9]
	s_cbranch_execnz .LBB18_85
; %bb.86:
	s_or_b64 exec, exec, s[8:9]
	v_mov_b32_e32 v6, 0
	ds_read_b128 v[6:9], v6 offset:288
	s_waitcnt lgkmcnt(0)
	v_mul_f64 v[10:11], v[2:3], v[8:9]
	v_mul_f64 v[8:9], v[4:5], v[8:9]
	v_fma_f64 v[4:5], v[4:5], v[6:7], -v[10:11]
	v_fmac_f64_e32 v[8:9], v[2:3], v[6:7]
	buffer_store_dword v5, off, s[0:3], 0 offset:292
	buffer_store_dword v4, off, s[0:3], 0 offset:288
	;; [unrolled: 1-line block ×4, first 2 shown]
.LBB18_87:
	s_or_b64 exec, exec, s[6:7]
	s_mov_b64 s[8:9], -1
	s_waitcnt lgkmcnt(0)
	; wave barrier
.LBB18_88:
	s_and_b64 vcc, exec, s[8:9]
	s_cbranch_vccz .LBB18_90
; %bb.89:
	s_lshl_b64 s[6:7], s[10:11], 2
	s_add_u32 s6, s14, s6
	s_addc_u32 s7, s15, s7
	v_mov_b32_e32 v2, 0
	global_load_dword v2, v2, s[6:7]
	s_waitcnt vmcnt(0)
	v_cmp_ne_u32_e32 vcc, 0, v2
	s_cbranch_vccz .LBB18_91
.LBB18_90:
	s_endpgm
.LBB18_91:
	v_mov_b32_e32 v2, 0x130
	v_lshl_add_u32 v116, v115, 4, v2
	v_cmp_eq_u32_e32 vcc, 18, v115
	s_and_saveexec_b64 s[6:7], vcc
	s_cbranch_execz .LBB18_93
; %bb.92:
	buffer_load_dword v2, v1, s[0:3], 0 offen
	buffer_load_dword v3, v1, s[0:3], 0 offen offset:4
	buffer_load_dword v4, v1, s[0:3], 0 offen offset:8
	;; [unrolled: 1-line block ×3, first 2 shown]
	v_mov_b32_e32 v6, 0
	buffer_store_dword v6, off, s[0:3], 0 offset:272
	buffer_store_dword v6, off, s[0:3], 0 offset:276
	buffer_store_dword v6, off, s[0:3], 0 offset:280
	buffer_store_dword v6, off, s[0:3], 0 offset:284
	s_waitcnt vmcnt(4)
	ds_write_b128 v116, v[2:5]
.LBB18_93:
	s_or_b64 exec, exec, s[6:7]
	s_waitcnt lgkmcnt(0)
	; wave barrier
	s_waitcnt lgkmcnt(0)
	buffer_load_dword v8, off, s[0:3], 0 offset:296
	buffer_load_dword v9, off, s[0:3], 0 offset:300
	;; [unrolled: 1-line block ×8, first 2 shown]
	v_mov_b32_e32 v2, 0
	ds_read_b128 v[4:7], v2 offset:592
	v_cmp_lt_u32_e32 vcc, 16, v115
	s_waitcnt vmcnt(6) lgkmcnt(0)
	v_mul_f64 v[16:17], v[4:5], v[8:9]
	v_mul_f64 v[8:9], v[6:7], v[8:9]
	s_waitcnt vmcnt(4)
	v_fma_f64 v[4:5], v[4:5], v[10:11], -v[8:9]
	v_fmac_f64_e32 v[16:17], v[6:7], v[10:11]
	v_add_f64 v[4:5], v[4:5], 0
	v_add_f64 v[6:7], v[16:17], 0
	s_waitcnt vmcnt(2)
	v_add_f64 v[4:5], v[12:13], -v[4:5]
	s_waitcnt vmcnt(0)
	v_add_f64 v[6:7], v[14:15], -v[6:7]
	buffer_store_dword v4, off, s[0:3], 0 offset:272
	buffer_store_dword v5, off, s[0:3], 0 offset:276
	;; [unrolled: 1-line block ×4, first 2 shown]
	s_and_saveexec_b64 s[6:7], vcc
	s_cbranch_execz .LBB18_95
; %bb.94:
	buffer_load_dword v4, v98, s[0:3], 0 offen
	buffer_load_dword v5, v98, s[0:3], 0 offen offset:4
	buffer_load_dword v6, v98, s[0:3], 0 offen offset:8
	buffer_load_dword v7, v98, s[0:3], 0 offen offset:12
	s_nop 0
	buffer_store_dword v2, off, s[0:3], 0 offset:256
	buffer_store_dword v2, off, s[0:3], 0 offset:260
	;; [unrolled: 1-line block ×4, first 2 shown]
	s_waitcnt vmcnt(4)
	ds_write_b128 v116, v[4:7]
.LBB18_95:
	s_or_b64 exec, exec, s[6:7]
	s_waitcnt lgkmcnt(0)
	; wave barrier
	s_waitcnt lgkmcnt(0)
	buffer_load_dword v12, off, s[0:3], 0 offset:280
	buffer_load_dword v13, off, s[0:3], 0 offset:284
	;; [unrolled: 1-line block ×12, first 2 shown]
	ds_read_b128 v[4:7], v2 offset:576
	ds_read_b128 v[8:11], v2 offset:592
	v_cmp_lt_u32_e32 vcc, 15, v115
	s_waitcnt vmcnt(10) lgkmcnt(1)
	v_mul_f64 v[2:3], v[4:5], v[12:13]
	v_mul_f64 v[12:13], v[6:7], v[12:13]
	s_waitcnt vmcnt(8) lgkmcnt(0)
	v_mul_f64 v[24:25], v[8:9], v[14:15]
	v_mul_f64 v[14:15], v[10:11], v[14:15]
	s_waitcnt vmcnt(6)
	v_fma_f64 v[4:5], v[4:5], v[16:17], -v[12:13]
	v_fmac_f64_e32 v[2:3], v[6:7], v[16:17]
	s_waitcnt vmcnt(4)
	v_fma_f64 v[6:7], v[8:9], v[18:19], -v[14:15]
	v_add_f64 v[4:5], v[4:5], 0
	v_fmac_f64_e32 v[24:25], v[10:11], v[18:19]
	v_add_f64 v[2:3], v[2:3], 0
	v_add_f64 v[4:5], v[4:5], v[6:7]
	;; [unrolled: 1-line block ×3, first 2 shown]
	s_waitcnt vmcnt(2)
	v_add_f64 v[4:5], v[20:21], -v[4:5]
	s_waitcnt vmcnt(0)
	v_add_f64 v[2:3], v[22:23], -v[2:3]
	buffer_store_dword v4, off, s[0:3], 0 offset:256
	buffer_store_dword v5, off, s[0:3], 0 offset:260
	;; [unrolled: 1-line block ×4, first 2 shown]
	s_and_saveexec_b64 s[6:7], vcc
	s_cbranch_execz .LBB18_97
; %bb.96:
	buffer_load_dword v2, v103, s[0:3], 0 offen
	buffer_load_dword v3, v103, s[0:3], 0 offen offset:4
	buffer_load_dword v4, v103, s[0:3], 0 offen offset:8
	;; [unrolled: 1-line block ×3, first 2 shown]
	v_mov_b32_e32 v6, 0
	buffer_store_dword v6, off, s[0:3], 0 offset:240
	buffer_store_dword v6, off, s[0:3], 0 offset:244
	;; [unrolled: 1-line block ×4, first 2 shown]
	s_waitcnt vmcnt(4)
	ds_write_b128 v116, v[2:5]
.LBB18_97:
	s_or_b64 exec, exec, s[6:7]
	s_waitcnt lgkmcnt(0)
	; wave barrier
	s_waitcnt lgkmcnt(0)
	buffer_load_dword v16, off, s[0:3], 0 offset:264
	buffer_load_dword v17, off, s[0:3], 0 offset:268
	;; [unrolled: 1-line block ×16, first 2 shown]
	v_mov_b32_e32 v2, 0
	ds_read_b128 v[4:7], v2 offset:560
	ds_read_b128 v[8:11], v2 offset:576
	;; [unrolled: 1-line block ×3, first 2 shown]
	v_cmp_lt_u32_e32 vcc, 14, v115
	s_waitcnt vmcnt(14) lgkmcnt(2)
	v_mul_f64 v[70:71], v[4:5], v[16:17]
	v_mul_f64 v[16:17], v[6:7], v[16:17]
	s_waitcnt vmcnt(12) lgkmcnt(1)
	v_mul_f64 v[72:73], v[8:9], v[18:19]
	v_mul_f64 v[18:19], v[10:11], v[18:19]
	;; [unrolled: 3-line block ×3, first 2 shown]
	s_waitcnt vmcnt(8)
	v_fma_f64 v[4:5], v[4:5], v[22:23], -v[16:17]
	v_fmac_f64_e32 v[70:71], v[6:7], v[22:23]
	s_waitcnt vmcnt(6)
	v_fma_f64 v[6:7], v[8:9], v[24:25], -v[18:19]
	v_add_f64 v[4:5], v[4:5], 0
	v_fmac_f64_e32 v[72:73], v[10:11], v[24:25]
	s_waitcnt vmcnt(4)
	v_fma_f64 v[8:9], v[12:13], v[26:27], -v[20:21]
	v_add_f64 v[10:11], v[70:71], 0
	v_add_f64 v[4:5], v[4:5], v[6:7]
	v_fmac_f64_e32 v[74:75], v[14:15], v[26:27]
	v_add_f64 v[10:11], v[10:11], v[72:73]
	v_add_f64 v[4:5], v[4:5], v[8:9]
	;; [unrolled: 1-line block ×3, first 2 shown]
	s_waitcnt vmcnt(2)
	v_add_f64 v[4:5], v[28:29], -v[4:5]
	s_waitcnt vmcnt(0)
	v_add_f64 v[6:7], v[68:69], -v[6:7]
	buffer_store_dword v4, off, s[0:3], 0 offset:240
	buffer_store_dword v5, off, s[0:3], 0 offset:244
	;; [unrolled: 1-line block ×4, first 2 shown]
	s_and_saveexec_b64 s[6:7], vcc
	s_cbranch_execz .LBB18_99
; %bb.98:
	buffer_load_dword v4, v101, s[0:3], 0 offen
	buffer_load_dword v5, v101, s[0:3], 0 offen offset:4
	buffer_load_dword v6, v101, s[0:3], 0 offen offset:8
	;; [unrolled: 1-line block ×3, first 2 shown]
	s_nop 0
	buffer_store_dword v2, off, s[0:3], 0 offset:224
	buffer_store_dword v2, off, s[0:3], 0 offset:228
	;; [unrolled: 1-line block ×4, first 2 shown]
	s_waitcnt vmcnt(4)
	ds_write_b128 v116, v[4:7]
.LBB18_99:
	s_or_b64 exec, exec, s[6:7]
	s_waitcnt lgkmcnt(0)
	; wave barrier
	s_waitcnt lgkmcnt(0)
	buffer_load_dword v20, off, s[0:3], 0 offset:248
	buffer_load_dword v21, off, s[0:3], 0 offset:252
	;; [unrolled: 1-line block ×20, first 2 shown]
	ds_read_b128 v[4:7], v2 offset:544
	ds_read_b128 v[8:11], v2 offset:560
	;; [unrolled: 1-line block ×4, first 2 shown]
	v_cmp_lt_u32_e32 vcc, 13, v115
	s_waitcnt vmcnt(18) lgkmcnt(3)
	v_mul_f64 v[2:3], v[4:5], v[20:21]
	v_mul_f64 v[20:21], v[6:7], v[20:21]
	s_waitcnt vmcnt(16) lgkmcnt(2)
	v_mul_f64 v[78:79], v[8:9], v[22:23]
	v_mul_f64 v[22:23], v[10:11], v[22:23]
	;; [unrolled: 3-line block ×4, first 2 shown]
	s_waitcnt vmcnt(10)
	v_fma_f64 v[4:5], v[4:5], v[28:29], -v[20:21]
	v_fmac_f64_e32 v[2:3], v[6:7], v[28:29]
	s_waitcnt vmcnt(8)
	v_fma_f64 v[6:7], v[8:9], v[68:69], -v[22:23]
	v_add_f64 v[4:5], v[4:5], 0
	v_fmac_f64_e32 v[78:79], v[10:11], v[68:69]
	s_waitcnt vmcnt(6)
	v_fma_f64 v[8:9], v[12:13], v[70:71], -v[24:25]
	v_add_f64 v[2:3], v[2:3], 0
	v_add_f64 v[4:5], v[4:5], v[6:7]
	v_fmac_f64_e32 v[80:81], v[14:15], v[70:71]
	s_waitcnt vmcnt(4)
	v_fma_f64 v[10:11], v[16:17], v[72:73], -v[26:27]
	v_add_f64 v[2:3], v[2:3], v[78:79]
	v_add_f64 v[4:5], v[4:5], v[8:9]
	v_fmac_f64_e32 v[82:83], v[18:19], v[72:73]
	v_add_f64 v[2:3], v[2:3], v[80:81]
	v_add_f64 v[4:5], v[4:5], v[10:11]
	;; [unrolled: 1-line block ×3, first 2 shown]
	s_waitcnt vmcnt(2)
	v_add_f64 v[4:5], v[74:75], -v[4:5]
	s_waitcnt vmcnt(0)
	v_add_f64 v[2:3], v[76:77], -v[2:3]
	buffer_store_dword v4, off, s[0:3], 0 offset:224
	buffer_store_dword v5, off, s[0:3], 0 offset:228
	;; [unrolled: 1-line block ×4, first 2 shown]
	s_and_saveexec_b64 s[6:7], vcc
	s_cbranch_execz .LBB18_101
; %bb.100:
	buffer_load_dword v2, v102, s[0:3], 0 offen
	buffer_load_dword v3, v102, s[0:3], 0 offen offset:4
	buffer_load_dword v4, v102, s[0:3], 0 offen offset:8
	;; [unrolled: 1-line block ×3, first 2 shown]
	v_mov_b32_e32 v6, 0
	buffer_store_dword v6, off, s[0:3], 0 offset:208
	buffer_store_dword v6, off, s[0:3], 0 offset:212
	;; [unrolled: 1-line block ×4, first 2 shown]
	s_waitcnt vmcnt(4)
	ds_write_b128 v116, v[2:5]
.LBB18_101:
	s_or_b64 exec, exec, s[6:7]
	s_waitcnt lgkmcnt(0)
	; wave barrier
	s_waitcnt lgkmcnt(0)
	buffer_load_dword v24, off, s[0:3], 0 offset:232
	buffer_load_dword v25, off, s[0:3], 0 offset:236
	;; [unrolled: 1-line block ×24, first 2 shown]
	v_mov_b32_e32 v2, 0
	ds_read_b128 v[4:7], v2 offset:528
	ds_read_b128 v[8:11], v2 offset:544
	;; [unrolled: 1-line block ×5, first 2 shown]
	v_cmp_lt_u32_e32 vcc, 12, v115
	s_waitcnt vmcnt(22) lgkmcnt(4)
	v_mul_f64 v[86:87], v[4:5], v[24:25]
	v_mul_f64 v[24:25], v[6:7], v[24:25]
	s_waitcnt vmcnt(20) lgkmcnt(3)
	v_mul_f64 v[88:89], v[8:9], v[26:27]
	v_mul_f64 v[26:27], v[10:11], v[26:27]
	;; [unrolled: 3-line block ×4, first 2 shown]
	s_waitcnt vmcnt(13) lgkmcnt(0)
	v_mul_f64 v[94:95], v[20:21], v[68:69]
	s_waitcnt vmcnt(11)
	v_fma_f64 v[4:5], v[4:5], v[74:75], -v[24:25]
	v_fmac_f64_e32 v[86:87], v[6:7], v[74:75]
	s_waitcnt vmcnt(9)
	v_fma_f64 v[6:7], v[8:9], v[76:77], -v[26:27]
	v_add_f64 v[4:5], v[4:5], 0
	v_fmac_f64_e32 v[88:89], v[10:11], v[76:77]
	s_waitcnt vmcnt(7)
	v_fmac_f64_e32 v[90:91], v[14:15], v[78:79]
	v_fma_f64 v[8:9], v[12:13], v[78:79], -v[28:29]
	v_add_f64 v[14:15], v[86:87], 0
	v_add_f64 v[4:5], v[4:5], v[6:7]
	v_mul_f64 v[68:69], v[22:23], v[68:69]
	s_waitcnt vmcnt(5)
	v_fma_f64 v[10:11], v[16:17], v[80:81], -v[72:73]
	v_add_f64 v[14:15], v[14:15], v[88:89]
	v_add_f64 v[4:5], v[4:5], v[8:9]
	v_fmac_f64_e32 v[92:93], v[18:19], v[80:81]
	s_waitcnt vmcnt(4)
	v_fma_f64 v[12:13], v[20:21], v[70:71], -v[68:69]
	v_add_f64 v[6:7], v[14:15], v[90:91]
	v_add_f64 v[4:5], v[4:5], v[10:11]
	v_fmac_f64_e32 v[94:95], v[22:23], v[70:71]
	v_add_f64 v[6:7], v[6:7], v[92:93]
	v_add_f64 v[4:5], v[4:5], v[12:13]
	;; [unrolled: 1-line block ×3, first 2 shown]
	s_waitcnt vmcnt(2)
	v_add_f64 v[4:5], v[82:83], -v[4:5]
	s_waitcnt vmcnt(0)
	v_add_f64 v[6:7], v[84:85], -v[6:7]
	buffer_store_dword v5, off, s[0:3], 0 offset:212
	buffer_store_dword v4, off, s[0:3], 0 offset:208
	;; [unrolled: 1-line block ×4, first 2 shown]
	s_and_saveexec_b64 s[6:7], vcc
	s_cbranch_execz .LBB18_103
; %bb.102:
	buffer_load_dword v4, v100, s[0:3], 0 offen
	buffer_load_dword v5, v100, s[0:3], 0 offen offset:4
	buffer_load_dword v6, v100, s[0:3], 0 offen offset:8
	;; [unrolled: 1-line block ×3, first 2 shown]
	s_nop 0
	buffer_store_dword v2, off, s[0:3], 0 offset:192
	buffer_store_dword v2, off, s[0:3], 0 offset:196
	;; [unrolled: 1-line block ×4, first 2 shown]
	s_waitcnt vmcnt(4)
	ds_write_b128 v116, v[4:7]
.LBB18_103:
	s_or_b64 exec, exec, s[6:7]
	s_waitcnt lgkmcnt(0)
	; wave barrier
	s_waitcnt lgkmcnt(0)
	buffer_load_dword v28, off, s[0:3], 0 offset:216
	buffer_load_dword v29, off, s[0:3], 0 offset:220
	;; [unrolled: 1-line block ×28, first 2 shown]
	ds_read_b128 v[4:7], v2 offset:512
	ds_read_b128 v[8:11], v2 offset:528
	ds_read_b128 v[12:15], v2 offset:544
	ds_read_b128 v[16:19], v2 offset:560
	ds_read_b128 v[20:23], v2 offset:576
	ds_read_b128 v[24:27], v2 offset:592
	v_cmp_lt_u32_e32 vcc, 11, v115
	s_waitcnt vmcnt(26) lgkmcnt(5)
	v_mul_f64 v[2:3], v[4:5], v[28:29]
	v_mul_f64 v[28:29], v[6:7], v[28:29]
	s_waitcnt vmcnt(24) lgkmcnt(4)
	v_mul_f64 v[94:95], v[8:9], v[68:69]
	v_mul_f64 v[68:69], v[10:11], v[68:69]
	;; [unrolled: 3-line block ×4, first 2 shown]
	s_waitcnt vmcnt(17)
	v_mul_f64 v[118:119], v[16:17], v[76:77]
	v_mul_f64 v[76:77], v[18:19], v[76:77]
	s_waitcnt vmcnt(15) lgkmcnt(0)
	v_mul_f64 v[122:123], v[24:25], v[78:79]
	v_mul_f64 v[78:79], v[26:27], v[78:79]
	s_waitcnt vmcnt(14)
	v_fmac_f64_e32 v[120:121], v[22:23], v[74:75]
	s_waitcnt vmcnt(12)
	v_fma_f64 v[4:5], v[4:5], v[80:81], -v[28:29]
	v_fmac_f64_e32 v[2:3], v[6:7], v[80:81]
	s_waitcnt vmcnt(10)
	v_fma_f64 v[6:7], v[8:9], v[82:83], -v[68:69]
	v_add_f64 v[4:5], v[4:5], 0
	v_fmac_f64_e32 v[94:95], v[10:11], v[82:83]
	s_waitcnt vmcnt(8)
	v_fma_f64 v[8:9], v[12:13], v[84:85], -v[70:71]
	v_add_f64 v[2:3], v[2:3], 0
	v_add_f64 v[4:5], v[4:5], v[6:7]
	v_fmac_f64_e32 v[96:97], v[14:15], v[84:85]
	s_waitcnt vmcnt(6)
	v_fma_f64 v[10:11], v[16:17], v[86:87], -v[76:77]
	v_add_f64 v[2:3], v[2:3], v[94:95]
	v_add_f64 v[4:5], v[4:5], v[8:9]
	v_fmac_f64_e32 v[118:119], v[18:19], v[86:87]
	v_fma_f64 v[12:13], v[20:21], v[74:75], -v[72:73]
	v_add_f64 v[2:3], v[2:3], v[96:97]
	v_add_f64 v[4:5], v[4:5], v[10:11]
	s_waitcnt vmcnt(4)
	v_fma_f64 v[14:15], v[24:25], v[88:89], -v[78:79]
	v_add_f64 v[2:3], v[2:3], v[118:119]
	v_add_f64 v[4:5], v[4:5], v[12:13]
	v_fmac_f64_e32 v[122:123], v[26:27], v[88:89]
	v_add_f64 v[2:3], v[2:3], v[120:121]
	v_add_f64 v[4:5], v[4:5], v[14:15]
	;; [unrolled: 1-line block ×3, first 2 shown]
	s_waitcnt vmcnt(2)
	v_add_f64 v[4:5], v[90:91], -v[4:5]
	s_waitcnt vmcnt(0)
	v_add_f64 v[2:3], v[92:93], -v[2:3]
	buffer_store_dword v5, off, s[0:3], 0 offset:196
	buffer_store_dword v4, off, s[0:3], 0 offset:192
	;; [unrolled: 1-line block ×4, first 2 shown]
	s_and_saveexec_b64 s[6:7], vcc
	s_cbranch_execz .LBB18_105
; %bb.104:
	buffer_load_dword v2, v107, s[0:3], 0 offen
	buffer_load_dword v3, v107, s[0:3], 0 offen offset:4
	buffer_load_dword v4, v107, s[0:3], 0 offen offset:8
	;; [unrolled: 1-line block ×3, first 2 shown]
	v_mov_b32_e32 v6, 0
	buffer_store_dword v6, off, s[0:3], 0 offset:176
	buffer_store_dword v6, off, s[0:3], 0 offset:180
	;; [unrolled: 1-line block ×4, first 2 shown]
	s_waitcnt vmcnt(4)
	ds_write_b128 v116, v[2:5]
.LBB18_105:
	s_or_b64 exec, exec, s[6:7]
	v_mov_b32_e32 v6, 0
	s_waitcnt lgkmcnt(0)
	; wave barrier
	s_waitcnt lgkmcnt(0)
	ds_read_b128 v[8:11], v6 offset:496
	ds_read_b128 v[12:15], v6 offset:512
	;; [unrolled: 1-line block ×4, first 2 shown]
	buffer_load_dword v4, off, s[0:3], 0 offset:176
	buffer_load_dword v5, off, s[0:3], 0 offset:180
	;; [unrolled: 1-line block ×20, first 2 shown]
	v_cmp_lt_u32_e32 vcc, 10, v115
	s_waitcnt vmcnt(12) lgkmcnt(3)
	v_mul_f64 v[24:25], v[8:9], v[76:77]
	v_fmac_f64_e32 v[24:25], v[10:11], v[28:29]
	v_add_f64 v[24:25], v[24:25], 0
	v_mul_f64 v[10:11], v[10:11], v[76:77]
	s_waitcnt vmcnt(8) lgkmcnt(2)
	v_mul_f64 v[26:27], v[12:13], v[80:81]
	v_fmac_f64_e32 v[26:27], v[14:15], v[78:79]
	v_add_f64 v[24:25], v[24:25], v[26:27]
	v_fma_f64 v[8:9], v[8:9], v[28:29], -v[10:11]
	s_waitcnt vmcnt(4) lgkmcnt(1)
	v_mul_f64 v[26:27], v[16:17], v[84:85]
	v_fmac_f64_e32 v[26:27], v[18:19], v[82:83]
	v_add_f64 v[24:25], v[24:25], v[26:27]
	s_waitcnt vmcnt(0) lgkmcnt(0)
	v_mul_f64 v[26:27], v[20:21], v[88:89]
	v_fmac_f64_e32 v[26:27], v[22:23], v[86:87]
	v_add_f64 v[68:69], v[24:25], v[26:27]
	ds_read_b128 v[24:27], v6 offset:560
	buffer_load_dword v91, off, s[0:3], 0 offset:260
	buffer_load_dword v90, off, s[0:3], 0 offset:256
	;; [unrolled: 1-line block ×4, first 2 shown]
	v_mul_f64 v[10:11], v[14:15], v[80:81]
	v_add_f64 v[8:9], v[8:9], 0
	v_fma_f64 v[10:11], v[12:13], v[78:79], -v[10:11]
	v_add_f64 v[8:9], v[8:9], v[10:11]
	v_mul_f64 v[10:11], v[18:19], v[84:85]
	v_fma_f64 v[10:11], v[16:17], v[82:83], -v[10:11]
	v_add_f64 v[8:9], v[8:9], v[10:11]
	v_mul_f64 v[10:11], v[22:23], v[88:89]
	v_fma_f64 v[10:11], v[20:21], v[86:87], -v[10:11]
	v_add_f64 v[8:9], v[8:9], v[10:11]
	s_waitcnt vmcnt(0) lgkmcnt(0)
	v_mul_f64 v[70:71], v[24:25], v[92:93]
	v_fmac_f64_e32 v[70:71], v[26:27], v[90:91]
	v_add_f64 v[72:73], v[68:69], v[70:71]
	ds_read_b128 v[68:71], v6 offset:576
	buffer_load_dword v95, off, s[0:3], 0 offset:276
	buffer_load_dword v94, off, s[0:3], 0 offset:272
	;; [unrolled: 1-line block ×4, first 2 shown]
	v_mul_f64 v[10:11], v[26:27], v[92:93]
	v_fma_f64 v[10:11], v[24:25], v[90:91], -v[10:11]
	v_add_f64 v[8:9], v[8:9], v[10:11]
	s_waitcnt vmcnt(0) lgkmcnt(0)
	v_mul_f64 v[74:75], v[68:69], v[96:97]
	v_fmac_f64_e32 v[74:75], v[70:71], v[94:95]
	v_add_f64 v[118:119], v[72:73], v[74:75]
	ds_read_b128 v[72:75], v6 offset:592
	buffer_load_dword v121, off, s[0:3], 0 offset:292
	buffer_load_dword v120, off, s[0:3], 0 offset:288
	;; [unrolled: 1-line block ×4, first 2 shown]
	v_mul_f64 v[10:11], v[70:71], v[96:97]
	v_fma_f64 v[10:11], v[68:69], v[94:95], -v[10:11]
	v_add_f64 v[8:9], v[8:9], v[10:11]
	s_waitcnt vmcnt(0) lgkmcnt(0)
	v_mul_f64 v[10:11], v[74:75], v[122:123]
	v_mul_f64 v[124:125], v[72:73], v[122:123]
	v_fma_f64 v[10:11], v[72:73], v[120:121], -v[10:11]
	v_fmac_f64_e32 v[124:125], v[74:75], v[120:121]
	v_add_f64 v[8:9], v[8:9], v[10:11]
	v_add_f64 v[118:119], v[118:119], v[124:125]
	v_add_f64 v[4:5], v[4:5], -v[8:9]
	v_add_f64 v[2:3], v[2:3], -v[118:119]
	buffer_store_dword v5, off, s[0:3], 0 offset:180
	buffer_store_dword v4, off, s[0:3], 0 offset:176
	;; [unrolled: 1-line block ×4, first 2 shown]
	s_and_saveexec_b64 s[6:7], vcc
	s_cbranch_execz .LBB18_107
; %bb.106:
	buffer_load_dword v2, v105, s[0:3], 0 offen
	buffer_load_dword v3, v105, s[0:3], 0 offen offset:4
	buffer_load_dword v4, v105, s[0:3], 0 offen offset:8
	buffer_load_dword v5, v105, s[0:3], 0 offen offset:12
	s_nop 0
	buffer_store_dword v6, off, s[0:3], 0 offset:160
	buffer_store_dword v6, off, s[0:3], 0 offset:164
	;; [unrolled: 1-line block ×4, first 2 shown]
	s_waitcnt vmcnt(4)
	ds_write_b128 v116, v[2:5]
.LBB18_107:
	s_or_b64 exec, exec, s[6:7]
	s_waitcnt lgkmcnt(0)
	; wave barrier
	s_waitcnt lgkmcnt(0)
	buffer_load_dword v28, off, s[0:3], 0 offset:184
	buffer_load_dword v29, off, s[0:3], 0 offset:188
	;; [unrolled: 1-line block ×36, first 2 shown]
	ds_read_b128 v[2:5], v6 offset:480
	ds_read_b128 v[8:11], v6 offset:496
	ds_read_b128 v[12:15], v6 offset:512
	ds_read_b128 v[16:19], v6 offset:528
	ds_read_b128 v[20:23], v6 offset:544
	ds_read_b128 v[24:27], v6 offset:560
	ds_read_b128 v[68:71], v6 offset:576
	ds_read_b128 v[72:75], v6 offset:592
	v_cmp_lt_u32_e32 vcc, 9, v115
	s_waitcnt vmcnt(34) lgkmcnt(7)
	v_mul_f64 v[6:7], v[2:3], v[28:29]
	v_mul_f64 v[28:29], v[4:5], v[28:29]
	s_waitcnt vmcnt(32) lgkmcnt(6)
	v_mul_f64 v[130:131], v[8:9], v[76:77]
	v_mul_f64 v[76:77], v[10:11], v[76:77]
	;; [unrolled: 3-line block ×4, first 2 shown]
	s_waitcnt vmcnt(25)
	v_mul_f64 v[134:135], v[16:17], v[84:85]
	v_mul_f64 v[84:85], v[18:19], v[84:85]
	s_waitcnt vmcnt(23) lgkmcnt(1)
	v_mul_f64 v[140:141], v[68:69], v[86:87]
	v_mul_f64 v[86:87], v[70:71], v[86:87]
	s_waitcnt vmcnt(20)
	v_mul_f64 v[138:139], v[24:25], v[90:91]
	v_mul_f64 v[90:91], v[26:27], v[90:91]
	s_waitcnt vmcnt(18) lgkmcnt(0)
	v_mul_f64 v[142:143], v[72:73], v[92:93]
	s_waitcnt vmcnt(17)
	v_fmac_f64_e32 v[136:137], v[22:23], v[82:83]
	s_waitcnt vmcnt(16)
	v_fmac_f64_e32 v[140:141], v[70:71], v[88:89]
	s_waitcnt vmcnt(14)
	v_fma_f64 v[2:3], v[2:3], v[94:95], -v[28:29]
	v_fmac_f64_e32 v[6:7], v[4:5], v[94:95]
	s_waitcnt vmcnt(12)
	v_fma_f64 v[4:5], v[8:9], v[96:97], -v[76:77]
	v_add_f64 v[2:3], v[2:3], 0
	v_fmac_f64_e32 v[130:131], v[10:11], v[96:97]
	s_waitcnt vmcnt(10)
	v_fma_f64 v[8:9], v[12:13], v[118:119], -v[78:79]
	v_add_f64 v[6:7], v[6:7], 0
	v_add_f64 v[2:3], v[2:3], v[4:5]
	v_fmac_f64_e32 v[132:133], v[14:15], v[118:119]
	s_waitcnt vmcnt(8)
	v_fma_f64 v[10:11], v[16:17], v[120:121], -v[84:85]
	v_add_f64 v[6:7], v[6:7], v[130:131]
	v_add_f64 v[2:3], v[2:3], v[8:9]
	v_fmac_f64_e32 v[134:135], v[18:19], v[120:121]
	v_fma_f64 v[12:13], v[20:21], v[82:83], -v[80:81]
	v_add_f64 v[4:5], v[6:7], v[132:133]
	v_add_f64 v[2:3], v[2:3], v[10:11]
	s_waitcnt vmcnt(6)
	v_fma_f64 v[14:15], v[24:25], v[122:123], -v[90:91]
	v_add_f64 v[4:5], v[4:5], v[134:135]
	v_add_f64 v[2:3], v[2:3], v[12:13]
	v_fmac_f64_e32 v[138:139], v[26:27], v[122:123]
	v_fma_f64 v[16:17], v[68:69], v[88:89], -v[86:87]
	v_add_f64 v[4:5], v[4:5], v[136:137]
	v_add_f64 v[2:3], v[2:3], v[14:15]
	v_mul_f64 v[6:7], v[74:75], v[92:93]
	v_add_f64 v[4:5], v[4:5], v[138:139]
	v_add_f64 v[2:3], v[2:3], v[16:17]
	s_waitcnt vmcnt(4)
	v_fma_f64 v[6:7], v[72:73], v[124:125], -v[6:7]
	v_fmac_f64_e32 v[142:143], v[74:75], v[124:125]
	v_add_f64 v[4:5], v[4:5], v[140:141]
	v_add_f64 v[2:3], v[2:3], v[6:7]
	;; [unrolled: 1-line block ×3, first 2 shown]
	s_waitcnt vmcnt(2)
	v_add_f64 v[2:3], v[126:127], -v[2:3]
	s_waitcnt vmcnt(0)
	v_add_f64 v[4:5], v[128:129], -v[4:5]
	buffer_store_dword v3, off, s[0:3], 0 offset:164
	buffer_store_dword v2, off, s[0:3], 0 offset:160
	;; [unrolled: 1-line block ×4, first 2 shown]
	s_and_saveexec_b64 s[6:7], vcc
	s_cbranch_execz .LBB18_109
; %bb.108:
	buffer_load_dword v2, v106, s[0:3], 0 offen
	buffer_load_dword v3, v106, s[0:3], 0 offen offset:4
	buffer_load_dword v4, v106, s[0:3], 0 offen offset:8
	;; [unrolled: 1-line block ×3, first 2 shown]
	v_mov_b32_e32 v6, 0
	buffer_store_dword v6, off, s[0:3], 0 offset:144
	buffer_store_dword v6, off, s[0:3], 0 offset:148
	;; [unrolled: 1-line block ×4, first 2 shown]
	s_waitcnt vmcnt(4)
	ds_write_b128 v116, v[2:5]
.LBB18_109:
	s_or_b64 exec, exec, s[6:7]
	s_waitcnt lgkmcnt(0)
	; wave barrier
	s_waitcnt lgkmcnt(0)
	buffer_load_dword v28, off, s[0:3], 0 offset:168
	buffer_load_dword v29, off, s[0:3], 0 offset:172
	;; [unrolled: 1-line block ×40, first 2 shown]
	v_mov_b32_e32 v6, 0
	ds_read_b128 v[2:5], v6 offset:464
	ds_read_b128 v[8:11], v6 offset:480
	;; [unrolled: 1-line block ×9, first 2 shown]
	v_cmp_lt_u32_e32 vcc, 8, v115
	s_waitcnt vmcnt(38) lgkmcnt(8)
	v_mul_f64 v[138:139], v[2:3], v[28:29]
	v_mul_f64 v[28:29], v[4:5], v[28:29]
	s_waitcnt vmcnt(36) lgkmcnt(7)
	v_mul_f64 v[140:141], v[8:9], v[80:81]
	v_mul_f64 v[80:81], v[10:11], v[80:81]
	;; [unrolled: 3-line block ×3, first 2 shown]
	s_waitcnt vmcnt(32) lgkmcnt(4)
	v_mul_f64 v[146:147], v[20:21], v[84:85]
	s_waitcnt vmcnt(30)
	v_fmac_f64_e32 v[146:147], v[22:23], v[86:87]
	s_waitcnt vmcnt(28)
	v_mul_f64 v[144:145], v[16:17], v[88:89]
	v_mul_f64 v[88:89], v[18:19], v[88:89]
	s_waitcnt vmcnt(26) lgkmcnt(2)
	v_mul_f64 v[150:151], v[68:69], v[90:91]
	s_waitcnt vmcnt(24)
	v_fmac_f64_e32 v[150:151], v[70:71], v[92:93]
	s_waitcnt vmcnt(22)
	v_mul_f64 v[148:149], v[24:25], v[94:95]
	s_waitcnt vmcnt(18) lgkmcnt(1)
	v_mul_f64 v[152:153], v[72:73], v[120:121]
	s_waitcnt vmcnt(17) lgkmcnt(0)
	v_mul_f64 v[154:155], v[76:77], v[96:97]
	s_waitcnt vmcnt(15)
	v_fma_f64 v[2:3], v[2:3], v[122:123], -v[28:29]
	v_fmac_f64_e32 v[138:139], v[4:5], v[122:123]
	s_waitcnt vmcnt(13)
	v_fma_f64 v[4:5], v[8:9], v[124:125], -v[80:81]
	v_add_f64 v[2:3], v[2:3], 0
	s_waitcnt vmcnt(11)
	v_fma_f64 v[8:9], v[12:13], v[126:127], -v[82:83]
	v_add_f64 v[2:3], v[2:3], v[4:5]
	v_fmac_f64_e32 v[140:141], v[10:11], v[124:125]
	s_waitcnt vmcnt(9)
	v_fma_f64 v[10:11], v[16:17], v[128:129], -v[88:89]
	v_add_f64 v[2:3], v[2:3], v[8:9]
	v_mul_f64 v[8:9], v[22:23], v[84:85]
	v_add_f64 v[2:3], v[2:3], v[10:11]
	v_fma_f64 v[8:9], v[20:21], v[86:87], -v[8:9]
	v_add_f64 v[2:3], v[2:3], v[8:9]
	v_mul_f64 v[8:9], v[26:27], v[94:95]
	v_add_f64 v[12:13], v[138:139], 0
	s_waitcnt vmcnt(7)
	v_fma_f64 v[8:9], v[24:25], v[130:131], -v[8:9]
	v_fmac_f64_e32 v[142:143], v[14:15], v[126:127]
	v_add_f64 v[12:13], v[12:13], v[140:141]
	v_add_f64 v[2:3], v[2:3], v[8:9]
	v_mul_f64 v[8:9], v[70:71], v[90:91]
	v_fmac_f64_e32 v[144:145], v[18:19], v[128:129]
	v_add_f64 v[4:5], v[12:13], v[142:143]
	v_fma_f64 v[8:9], v[68:69], v[92:93], -v[8:9]
	v_add_f64 v[4:5], v[4:5], v[144:145]
	v_add_f64 v[2:3], v[2:3], v[8:9]
	v_mul_f64 v[8:9], v[74:75], v[120:121]
	v_fmac_f64_e32 v[148:149], v[26:27], v[130:131]
	v_add_f64 v[4:5], v[4:5], v[146:147]
	s_waitcnt vmcnt(5)
	v_fma_f64 v[8:9], v[72:73], v[132:133], -v[8:9]
	v_add_f64 v[4:5], v[4:5], v[148:149]
	v_add_f64 v[2:3], v[2:3], v[8:9]
	v_mul_f64 v[8:9], v[78:79], v[96:97]
	v_fmac_f64_e32 v[152:153], v[74:75], v[132:133]
	v_add_f64 v[4:5], v[4:5], v[150:151]
	s_waitcnt vmcnt(4)
	v_fma_f64 v[8:9], v[76:77], v[118:119], -v[8:9]
	v_fmac_f64_e32 v[154:155], v[78:79], v[118:119]
	v_add_f64 v[4:5], v[4:5], v[152:153]
	v_add_f64 v[2:3], v[2:3], v[8:9]
	;; [unrolled: 1-line block ×3, first 2 shown]
	s_waitcnt vmcnt(2)
	v_add_f64 v[2:3], v[134:135], -v[2:3]
	s_waitcnt vmcnt(0)
	v_add_f64 v[4:5], v[136:137], -v[4:5]
	buffer_store_dword v3, off, s[0:3], 0 offset:148
	buffer_store_dword v2, off, s[0:3], 0 offset:144
	;; [unrolled: 1-line block ×4, first 2 shown]
	s_and_saveexec_b64 s[6:7], vcc
	s_cbranch_execz .LBB18_111
; %bb.110:
	buffer_load_dword v2, v104, s[0:3], 0 offen
	buffer_load_dword v3, v104, s[0:3], 0 offen offset:4
	buffer_load_dword v4, v104, s[0:3], 0 offen offset:8
	;; [unrolled: 1-line block ×3, first 2 shown]
	s_nop 0
	buffer_store_dword v6, off, s[0:3], 0 offset:128
	buffer_store_dword v6, off, s[0:3], 0 offset:132
	;; [unrolled: 1-line block ×4, first 2 shown]
	s_waitcnt vmcnt(4)
	ds_write_b128 v116, v[2:5]
.LBB18_111:
	s_or_b64 exec, exec, s[6:7]
	s_waitcnt lgkmcnt(0)
	; wave barrier
	s_waitcnt lgkmcnt(0)
	buffer_load_dword v4, off, s[0:3], 0 offset:144
	buffer_load_dword v5, off, s[0:3], 0 offset:148
	;; [unrolled: 1-line block ×44, first 2 shown]
	ds_read_b128 v[8:11], v6 offset:448
	ds_read_b128 v[12:15], v6 offset:464
	;; [unrolled: 1-line block ×10, first 2 shown]
	v_cmp_lt_u32_e32 vcc, 7, v115
	s_waitcnt vmcnt(40) lgkmcnt(9)
	v_mul_f64 v[6:7], v[8:9], v[28:29]
	v_mul_f64 v[28:29], v[10:11], v[28:29]
	s_waitcnt vmcnt(38) lgkmcnt(8)
	v_mul_f64 v[146:147], v[12:13], v[88:89]
	v_mul_f64 v[88:89], v[14:15], v[88:89]
	v_fmac_f64_e32 v[6:7], v[10:11], v[4:5]
	v_fma_f64 v[4:5], v[8:9], v[4:5], -v[28:29]
	s_waitcnt vmcnt(36) lgkmcnt(7)
	v_mul_f64 v[148:149], v[16:17], v[2:3]
	v_add_f64 v[4:5], v[4:5], 0
	v_mul_f64 v[2:3], v[18:19], v[2:3]
	v_add_f64 v[6:7], v[6:7], 0
	s_waitcnt vmcnt(30) lgkmcnt(6)
	v_mul_f64 v[150:151], v[20:21], v[94:95]
	s_waitcnt lgkmcnt(5)
	v_mul_f64 v[152:153], v[24:25], v[90:91]
	v_fmac_f64_e32 v[152:153], v[26:27], v[92:93]
	s_waitcnt vmcnt(28) lgkmcnt(3)
	v_mul_f64 v[156:157], v[72:73], v[96:97]
	s_waitcnt vmcnt(26)
	v_fmac_f64_e32 v[156:157], v[74:75], v[118:119]
	s_waitcnt vmcnt(24)
	v_mul_f64 v[154:155], v[68:69], v[120:121]
	s_waitcnt vmcnt(22) lgkmcnt(1)
	v_mul_f64 v[160:161], v[80:81], v[122:123]
	s_waitcnt vmcnt(20)
	v_fmac_f64_e32 v[160:161], v[82:83], v[124:125]
	s_waitcnt vmcnt(18)
	v_mul_f64 v[158:159], v[76:77], v[126:127]
	s_waitcnt vmcnt(16) lgkmcnt(0)
	v_mul_f64 v[162:163], v[84:85], v[128:129]
	s_waitcnt vmcnt(14)
	v_fma_f64 v[8:9], v[12:13], v[130:131], -v[88:89]
	v_add_f64 v[4:5], v[4:5], v[8:9]
	s_waitcnt vmcnt(12)
	v_fma_f64 v[2:3], v[16:17], v[132:133], -v[2:3]
	v_add_f64 v[2:3], v[4:5], v[2:3]
	v_mul_f64 v[4:5], v[22:23], v[94:95]
	s_waitcnt vmcnt(10)
	v_fma_f64 v[4:5], v[20:21], v[134:135], -v[4:5]
	v_add_f64 v[2:3], v[2:3], v[4:5]
	v_mul_f64 v[4:5], v[26:27], v[90:91]
	v_fma_f64 v[4:5], v[24:25], v[92:93], -v[4:5]
	v_add_f64 v[2:3], v[2:3], v[4:5]
	v_mul_f64 v[4:5], v[70:71], v[120:121]
	s_waitcnt vmcnt(8)
	v_fma_f64 v[4:5], v[68:69], v[136:137], -v[4:5]
	v_fmac_f64_e32 v[146:147], v[14:15], v[130:131]
	v_add_f64 v[2:3], v[2:3], v[4:5]
	v_mul_f64 v[4:5], v[74:75], v[96:97]
	v_fmac_f64_e32 v[148:149], v[18:19], v[132:133]
	v_add_f64 v[6:7], v[6:7], v[146:147]
	v_fma_f64 v[4:5], v[72:73], v[118:119], -v[4:5]
	v_fmac_f64_e32 v[150:151], v[22:23], v[134:135]
	v_add_f64 v[6:7], v[6:7], v[148:149]
	v_add_f64 v[2:3], v[2:3], v[4:5]
	v_mul_f64 v[4:5], v[78:79], v[126:127]
	v_add_f64 v[6:7], v[6:7], v[150:151]
	s_waitcnt vmcnt(6)
	v_fma_f64 v[4:5], v[76:77], v[138:139], -v[4:5]
	v_fmac_f64_e32 v[154:155], v[70:71], v[136:137]
	v_add_f64 v[6:7], v[6:7], v[152:153]
	v_add_f64 v[2:3], v[2:3], v[4:5]
	v_mul_f64 v[4:5], v[82:83], v[122:123]
	v_add_f64 v[6:7], v[6:7], v[154:155]
	v_fma_f64 v[4:5], v[80:81], v[124:125], -v[4:5]
	v_fmac_f64_e32 v[158:159], v[78:79], v[138:139]
	v_add_f64 v[6:7], v[6:7], v[156:157]
	v_add_f64 v[2:3], v[2:3], v[4:5]
	v_mul_f64 v[4:5], v[86:87], v[128:129]
	v_add_f64 v[6:7], v[6:7], v[158:159]
	s_waitcnt vmcnt(4)
	v_fma_f64 v[4:5], v[84:85], v[140:141], -v[4:5]
	v_fmac_f64_e32 v[162:163], v[86:87], v[140:141]
	v_add_f64 v[6:7], v[6:7], v[160:161]
	v_add_f64 v[2:3], v[2:3], v[4:5]
	;; [unrolled: 1-line block ×3, first 2 shown]
	s_waitcnt vmcnt(2)
	v_add_f64 v[2:3], v[142:143], -v[2:3]
	s_waitcnt vmcnt(0)
	v_add_f64 v[4:5], v[144:145], -v[6:7]
	buffer_store_dword v3, off, s[0:3], 0 offset:132
	buffer_store_dword v2, off, s[0:3], 0 offset:128
	;; [unrolled: 1-line block ×4, first 2 shown]
	s_and_saveexec_b64 s[6:7], vcc
	s_cbranch_execz .LBB18_113
; %bb.112:
	buffer_load_dword v2, v109, s[0:3], 0 offen
	buffer_load_dword v3, v109, s[0:3], 0 offen offset:4
	buffer_load_dword v4, v109, s[0:3], 0 offen offset:8
	;; [unrolled: 1-line block ×3, first 2 shown]
	v_mov_b32_e32 v6, 0
	buffer_store_dword v6, off, s[0:3], 0 offset:112
	buffer_store_dword v6, off, s[0:3], 0 offset:116
	;; [unrolled: 1-line block ×4, first 2 shown]
	s_waitcnt vmcnt(4)
	ds_write_b128 v116, v[2:5]
.LBB18_113:
	s_or_b64 exec, exec, s[6:7]
	v_mov_b32_e32 v117, 0
	s_waitcnt lgkmcnt(0)
	; wave barrier
	s_waitcnt lgkmcnt(0)
	ds_read_b128 v[14:17], v117 offset:432
	ds_read_b128 v[10:13], v117 offset:448
	ds_read_b128 v[6:9], v117 offset:464
	ds_read_b128 v[2:5], v117 offset:480
	buffer_load_dword v70, off, s[0:3], 0 offset:112
	buffer_load_dword v71, off, s[0:3], 0 offset:116
	;; [unrolled: 1-line block ×20, first 2 shown]
	v_cmp_lt_u32_e32 vcc, 6, v115
	s_waitcnt vmcnt(12) lgkmcnt(3)
	v_mul_f64 v[18:19], v[14:15], v[78:79]
	v_fmac_f64_e32 v[18:19], v[16:17], v[72:73]
	v_add_f64 v[18:19], v[18:19], 0
	v_mul_f64 v[16:17], v[16:17], v[78:79]
	s_waitcnt vmcnt(8) lgkmcnt(2)
	v_mul_f64 v[20:21], v[10:11], v[80:81]
	v_fmac_f64_e32 v[20:21], v[12:13], v[74:75]
	v_add_f64 v[18:19], v[18:19], v[20:21]
	v_fma_f64 v[14:15], v[14:15], v[72:73], -v[16:17]
	s_waitcnt vmcnt(4) lgkmcnt(1)
	v_mul_f64 v[20:21], v[6:7], v[82:83]
	v_fmac_f64_e32 v[20:21], v[8:9], v[76:77]
	v_add_f64 v[18:19], v[18:19], v[20:21]
	s_waitcnt vmcnt(0) lgkmcnt(0)
	v_mul_f64 v[20:21], v[2:3], v[86:87]
	v_fmac_f64_e32 v[20:21], v[4:5], v[84:85]
	v_add_f64 v[22:23], v[18:19], v[20:21]
	ds_read_b128 v[18:21], v117 offset:496
	buffer_load_dword v89, off, s[0:3], 0 offset:196
	buffer_load_dword v88, off, s[0:3], 0 offset:192
	;; [unrolled: 1-line block ×4, first 2 shown]
	v_mul_f64 v[12:13], v[12:13], v[80:81]
	v_add_f64 v[14:15], v[14:15], 0
	v_fma_f64 v[10:11], v[10:11], v[74:75], -v[12:13]
	v_mul_f64 v[8:9], v[8:9], v[82:83]
	v_add_f64 v[10:11], v[14:15], v[10:11]
	v_fma_f64 v[6:7], v[6:7], v[76:77], -v[8:9]
	;; [unrolled: 3-line block ×3, first 2 shown]
	v_add_f64 v[2:3], v[6:7], v[2:3]
	s_waitcnt vmcnt(0) lgkmcnt(0)
	v_mul_f64 v[24:25], v[18:19], v[90:91]
	v_fmac_f64_e32 v[24:25], v[20:21], v[88:89]
	v_add_f64 v[26:27], v[22:23], v[24:25]
	ds_read_b128 v[22:25], v117 offset:512
	buffer_load_dword v93, off, s[0:3], 0 offset:212
	buffer_load_dword v92, off, s[0:3], 0 offset:208
	buffer_load_dword v95, off, s[0:3], 0 offset:220
	buffer_load_dword v94, off, s[0:3], 0 offset:216
	v_mul_f64 v[4:5], v[20:21], v[90:91]
	v_fma_f64 v[4:5], v[18:19], v[88:89], -v[4:5]
	v_add_f64 v[2:3], v[2:3], v[4:5]
	s_waitcnt vmcnt(0) lgkmcnt(0)
	v_mul_f64 v[28:29], v[22:23], v[94:95]
	v_fmac_f64_e32 v[28:29], v[24:25], v[92:93]
	v_add_f64 v[96:97], v[26:27], v[28:29]
	ds_read_b128 v[26:29], v117 offset:528
	buffer_load_dword v135, off, s[0:3], 0 offset:228
	buffer_load_dword v134, off, s[0:3], 0 offset:224
	buffer_load_dword v137, off, s[0:3], 0 offset:236
	buffer_load_dword v136, off, s[0:3], 0 offset:232
	v_mul_f64 v[4:5], v[24:25], v[94:95]
	v_fma_f64 v[4:5], v[22:23], v[92:93], -v[4:5]
	;; [unrolled: 12-line block ×6, first 2 shown]
	v_add_f64 v[2:3], v[2:3], v[4:5]
	s_waitcnt vmcnt(0) lgkmcnt(0)
	v_mul_f64 v[4:5], v[132:133], v[152:153]
	v_mul_f64 v[154:155], v[130:131], v[152:153]
	v_fma_f64 v[4:5], v[130:131], v[150:151], -v[4:5]
	v_fmac_f64_e32 v[154:155], v[132:133], v[150:151]
	v_add_f64 v[2:3], v[2:3], v[4:5]
	v_add_f64 v[96:97], v[96:97], v[154:155]
	v_add_f64 v[2:3], v[70:71], -v[2:3]
	v_add_f64 v[4:5], v[68:69], -v[96:97]
	buffer_store_dword v3, off, s[0:3], 0 offset:116
	buffer_store_dword v2, off, s[0:3], 0 offset:112
	;; [unrolled: 1-line block ×4, first 2 shown]
	s_and_saveexec_b64 s[6:7], vcc
	s_cbranch_execz .LBB18_115
; %bb.114:
	buffer_load_dword v2, v111, s[0:3], 0 offen
	buffer_load_dword v3, v111, s[0:3], 0 offen offset:4
	buffer_load_dword v4, v111, s[0:3], 0 offen offset:8
	;; [unrolled: 1-line block ×3, first 2 shown]
	s_nop 0
	buffer_store_dword v117, off, s[0:3], 0 offset:96
	buffer_store_dword v117, off, s[0:3], 0 offset:100
	;; [unrolled: 1-line block ×4, first 2 shown]
	s_waitcnt vmcnt(4)
	ds_write_b128 v116, v[2:5]
.LBB18_115:
	s_or_b64 exec, exec, s[6:7]
	s_waitcnt lgkmcnt(0)
	; wave barrier
	s_waitcnt lgkmcnt(0)
	ds_read_b128 v[14:17], v117 offset:416
	ds_read_b128 v[10:13], v117 offset:432
	;; [unrolled: 1-line block ×4, first 2 shown]
	buffer_load_dword v70, off, s[0:3], 0 offset:96
	buffer_load_dword v71, off, s[0:3], 0 offset:100
	;; [unrolled: 1-line block ×20, first 2 shown]
	v_cmp_lt_u32_e32 vcc, 5, v115
	s_waitcnt vmcnt(12) lgkmcnt(3)
	v_mul_f64 v[18:19], v[14:15], v[78:79]
	v_fmac_f64_e32 v[18:19], v[16:17], v[72:73]
	v_add_f64 v[18:19], v[18:19], 0
	v_mul_f64 v[16:17], v[16:17], v[78:79]
	s_waitcnt vmcnt(8) lgkmcnt(2)
	v_mul_f64 v[20:21], v[10:11], v[80:81]
	v_fmac_f64_e32 v[20:21], v[12:13], v[74:75]
	v_add_f64 v[18:19], v[18:19], v[20:21]
	v_fma_f64 v[14:15], v[14:15], v[72:73], -v[16:17]
	s_waitcnt vmcnt(4) lgkmcnt(1)
	v_mul_f64 v[20:21], v[6:7], v[82:83]
	v_fmac_f64_e32 v[20:21], v[8:9], v[76:77]
	v_add_f64 v[18:19], v[18:19], v[20:21]
	s_waitcnt vmcnt(0) lgkmcnt(0)
	v_mul_f64 v[20:21], v[2:3], v[86:87]
	v_fmac_f64_e32 v[20:21], v[4:5], v[84:85]
	v_add_f64 v[22:23], v[18:19], v[20:21]
	ds_read_b128 v[18:21], v117 offset:480
	buffer_load_dword v89, off, s[0:3], 0 offset:180
	buffer_load_dword v88, off, s[0:3], 0 offset:176
	;; [unrolled: 1-line block ×4, first 2 shown]
	v_mul_f64 v[12:13], v[12:13], v[80:81]
	v_add_f64 v[14:15], v[14:15], 0
	v_fma_f64 v[10:11], v[10:11], v[74:75], -v[12:13]
	v_mul_f64 v[8:9], v[8:9], v[82:83]
	v_add_f64 v[10:11], v[14:15], v[10:11]
	v_fma_f64 v[6:7], v[6:7], v[76:77], -v[8:9]
	;; [unrolled: 3-line block ×3, first 2 shown]
	v_add_f64 v[2:3], v[6:7], v[2:3]
	s_waitcnt vmcnt(0) lgkmcnt(0)
	v_mul_f64 v[24:25], v[18:19], v[90:91]
	v_fmac_f64_e32 v[24:25], v[20:21], v[88:89]
	v_add_f64 v[26:27], v[22:23], v[24:25]
	ds_read_b128 v[22:25], v117 offset:496
	buffer_load_dword v93, off, s[0:3], 0 offset:196
	buffer_load_dword v92, off, s[0:3], 0 offset:192
	buffer_load_dword v95, off, s[0:3], 0 offset:204
	buffer_load_dword v94, off, s[0:3], 0 offset:200
	v_mul_f64 v[4:5], v[20:21], v[90:91]
	v_fma_f64 v[4:5], v[18:19], v[88:89], -v[4:5]
	v_add_f64 v[2:3], v[2:3], v[4:5]
	s_waitcnt vmcnt(0) lgkmcnt(0)
	v_mul_f64 v[28:29], v[22:23], v[94:95]
	v_fmac_f64_e32 v[28:29], v[24:25], v[92:93]
	v_add_f64 v[118:119], v[26:27], v[28:29]
	ds_read_b128 v[26:29], v117 offset:512
	buffer_load_dword v97, off, s[0:3], 0 offset:212
	buffer_load_dword v96, off, s[0:3], 0 offset:208
	buffer_load_dword v139, off, s[0:3], 0 offset:220
	buffer_load_dword v138, off, s[0:3], 0 offset:216
	v_mul_f64 v[4:5], v[24:25], v[94:95]
	v_fma_f64 v[4:5], v[22:23], v[92:93], -v[4:5]
	;; [unrolled: 12-line block ×7, first 2 shown]
	v_add_f64 v[2:3], v[2:3], v[4:5]
	s_waitcnt vmcnt(0) lgkmcnt(0)
	v_mul_f64 v[4:5], v[136:137], v[160:161]
	v_mul_f64 v[162:163], v[134:135], v[160:161]
	v_fma_f64 v[4:5], v[134:135], v[158:159], -v[4:5]
	v_fmac_f64_e32 v[162:163], v[136:137], v[158:159]
	v_add_f64 v[2:3], v[2:3], v[4:5]
	v_add_f64 v[156:157], v[156:157], v[162:163]
	v_add_f64 v[2:3], v[70:71], -v[2:3]
	v_add_f64 v[4:5], v[68:69], -v[156:157]
	buffer_store_dword v3, off, s[0:3], 0 offset:100
	buffer_store_dword v2, off, s[0:3], 0 offset:96
	;; [unrolled: 1-line block ×4, first 2 shown]
	s_and_saveexec_b64 s[6:7], vcc
	s_cbranch_execz .LBB18_117
; %bb.116:
	buffer_load_dword v2, v108, s[0:3], 0 offen
	buffer_load_dword v3, v108, s[0:3], 0 offen offset:4
	buffer_load_dword v4, v108, s[0:3], 0 offen offset:8
	;; [unrolled: 1-line block ×3, first 2 shown]
	v_mov_b32_e32 v6, 0
	buffer_store_dword v6, off, s[0:3], 0 offset:80
	buffer_store_dword v6, off, s[0:3], 0 offset:84
	;; [unrolled: 1-line block ×4, first 2 shown]
	s_waitcnt vmcnt(4)
	ds_write_b128 v116, v[2:5]
.LBB18_117:
	s_or_b64 exec, exec, s[6:7]
	s_waitcnt lgkmcnt(0)
	; wave barrier
	s_waitcnt lgkmcnt(0)
	buffer_load_dword v2, off, s[0:3], 0 offset:96
	buffer_load_dword v3, off, s[0:3], 0 offset:100
	buffer_load_dword v6, off, s[0:3], 0 offset:104
	buffer_load_dword v7, off, s[0:3], 0 offset:108
	buffer_load_dword v4, off, s[0:3], 0 offset:112
	buffer_load_dword v5, off, s[0:3], 0 offset:116
	buffer_load_dword v8, off, s[0:3], 0 offset:120
	buffer_load_dword v9, off, s[0:3], 0 offset:124
	buffer_load_dword v10, off, s[0:3], 0 offset:136
	buffer_load_dword v11, off, s[0:3], 0 offset:140
	buffer_load_dword v13, off, s[0:3], 0 offset:172
	buffer_load_dword v12, off, s[0:3], 0 offset:168
	buffer_load_dword v15, off, s[0:3], 0 offset:164
	buffer_load_dword v14, off, s[0:3], 0 offset:160
	buffer_load_dword v17, off, s[0:3], 0 offset:156
	buffer_load_dword v16, off, s[0:3], 0 offset:152
	buffer_load_dword v18, off, s[0:3], 0 offset:200
	buffer_load_dword v20, off, s[0:3], 0 offset:192
	buffer_load_dword v23, off, s[0:3], 0 offset:188
	buffer_load_dword v22, off, s[0:3], 0 offset:184
	buffer_load_dword v19, off, s[0:3], 0 offset:204
	buffer_load_dword v96, off, s[0:3], 0 offset:128
	buffer_load_dword v97, off, s[0:3], 0 offset:132
	buffer_load_dword v139, off, s[0:3], 0 offset:148
	buffer_load_dword v138, off, s[0:3], 0 offset:144
	buffer_load_dword v141, off, s[0:3], 0 offset:180
	buffer_load_dword v140, off, s[0:3], 0 offset:176
	buffer_load_dword v21, off, s[0:3], 0 offset:196
	buffer_load_dword v142, off, s[0:3], 0 offset:232
	buffer_load_dword v145, off, s[0:3], 0 offset:220
	buffer_load_dword v144, off, s[0:3], 0 offset:216
	buffer_load_dword v147, off, s[0:3], 0 offset:212
	buffer_load_dword v146, off, s[0:3], 0 offset:208
	buffer_load_dword v148, off, s[0:3], 0 offset:224
	buffer_load_dword v149, off, s[0:3], 0 offset:228
	buffer_load_dword v143, off, s[0:3], 0 offset:236
	buffer_load_dword v150, off, s[0:3], 0 offset:264
	buffer_load_dword v153, off, s[0:3], 0 offset:252
	buffer_load_dword v152, off, s[0:3], 0 offset:248
	buffer_load_dword v155, off, s[0:3], 0 offset:244
	buffer_load_dword v154, off, s[0:3], 0 offset:240
	buffer_load_dword v156, off, s[0:3], 0 offset:256
	buffer_load_dword v157, off, s[0:3], 0 offset:260
	buffer_load_dword v151, off, s[0:3], 0 offset:268
	buffer_load_dword v158, off, s[0:3], 0 offset:296
	buffer_load_dword v161, off, s[0:3], 0 offset:284
	buffer_load_dword v160, off, s[0:3], 0 offset:280
	buffer_load_dword v163, off, s[0:3], 0 offset:276
	buffer_load_dword v162, off, s[0:3], 0 offset:272
	buffer_load_dword v164, off, s[0:3], 0 offset:288
	buffer_load_dword v159, off, s[0:3], 0 offset:300
	buffer_load_dword v165, off, s[0:3], 0 offset:292
	buffer_load_dword v166, off, s[0:3], 0 offset:80
	buffer_load_dword v167, off, s[0:3], 0 offset:84
	buffer_load_dword v168, off, s[0:3], 0 offset:88
	buffer_load_dword v169, off, s[0:3], 0 offset:92
	v_mov_b32_e32 v24, 0
	ds_read_b128 v[26:29], v24 offset:400
	ds_read_b128 v[68:71], v24 offset:416
	;; [unrolled: 1-line block ×9, first 2 shown]
	v_cmp_lt_u32_e32 vcc, 4, v115
	s_waitcnt vmcnt(52) lgkmcnt(8)
	v_mul_f64 v[122:123], v[26:27], v[6:7]
	v_mul_f64 v[6:7], v[28:29], v[6:7]
	v_fmac_f64_e32 v[122:123], v[28:29], v[2:3]
	v_fma_f64 v[2:3], v[26:27], v[2:3], -v[6:7]
	s_waitcnt vmcnt(48) lgkmcnt(7)
	v_mul_f64 v[124:125], v[68:69], v[8:9]
	v_mul_f64 v[6:7], v[70:71], v[8:9]
	s_waitcnt vmcnt(46) lgkmcnt(6)
	v_mul_f64 v[126:127], v[72:73], v[10:11]
	v_fmac_f64_e32 v[124:125], v[70:71], v[4:5]
	v_add_f64 v[122:123], v[122:123], 0
	v_add_f64 v[2:3], v[2:3], 0
	v_fma_f64 v[4:5], v[68:69], v[4:5], -v[6:7]
	v_add_f64 v[122:123], v[122:123], v[124:125]
	s_waitcnt vmcnt(40) lgkmcnt(5)
	v_mul_f64 v[128:129], v[76:77], v[16:17]
	v_add_f64 v[2:3], v[2:3], v[4:5]
	v_mul_f64 v[4:5], v[74:75], v[10:11]
	s_waitcnt lgkmcnt(4)
	v_mul_f64 v[130:131], v[80:81], v[12:13]
	s_waitcnt vmcnt(36) lgkmcnt(3)
	v_mul_f64 v[132:133], v[84:85], v[22:23]
	v_fmac_f64_e32 v[130:131], v[82:83], v[14:15]
	s_waitcnt vmcnt(35) lgkmcnt(2)
	v_mul_f64 v[134:135], v[88:89], v[18:19]
	s_waitcnt vmcnt(33)
	v_fmac_f64_e32 v[126:127], v[74:75], v[96:97]
	v_add_f64 v[122:123], v[122:123], v[126:127]
	s_waitcnt vmcnt(31)
	v_fmac_f64_e32 v[128:129], v[78:79], v[138:139]
	v_fma_f64 v[4:5], v[72:73], v[96:97], -v[4:5]
	v_add_f64 v[122:123], v[122:123], v[128:129]
	v_add_f64 v[2:3], v[2:3], v[4:5]
	v_mul_f64 v[4:5], v[78:79], v[16:17]
	s_waitcnt vmcnt(29)
	v_fmac_f64_e32 v[132:133], v[86:87], v[140:141]
	v_add_f64 v[122:123], v[122:123], v[130:131]
	v_fma_f64 v[4:5], v[76:77], v[138:139], -v[4:5]
	s_waitcnt vmcnt(28)
	v_fmac_f64_e32 v[134:135], v[90:91], v[20:21]
	v_add_f64 v[122:123], v[122:123], v[132:133]
	s_waitcnt vmcnt(25) lgkmcnt(1)
	v_mul_f64 v[124:125], v[92:93], v[144:145]
	v_add_f64 v[2:3], v[2:3], v[4:5]
	v_mul_f64 v[4:5], v[82:83], v[12:13]
	v_add_f64 v[122:123], v[122:123], v[134:135]
	s_waitcnt vmcnt(23)
	v_fmac_f64_e32 v[124:125], v[94:95], v[146:147]
	v_fma_f64 v[4:5], v[80:81], v[14:15], -v[4:5]
	v_add_f64 v[126:127], v[122:123], v[124:125]
	ds_read_b128 v[122:125], v24 offset:544
	v_add_f64 v[2:3], v[2:3], v[4:5]
	v_mul_f64 v[4:5], v[86:87], v[22:23]
	v_fma_f64 v[4:5], v[84:85], v[140:141], -v[4:5]
	v_add_f64 v[2:3], v[2:3], v[4:5]
	v_mul_f64 v[4:5], v[90:91], v[18:19]
	s_waitcnt vmcnt(20) lgkmcnt(1)
	v_mul_f64 v[128:129], v[118:119], v[142:143]
	v_fma_f64 v[4:5], v[88:89], v[20:21], -v[4:5]
	v_fmac_f64_e32 v[128:129], v[120:121], v[148:149]
	v_add_f64 v[2:3], v[2:3], v[4:5]
	v_mul_f64 v[4:5], v[94:95], v[144:145]
	v_add_f64 v[130:131], v[126:127], v[128:129]
	ds_read_b128 v[126:129], v24 offset:560
	s_waitcnt vmcnt(17) lgkmcnt(1)
	v_mul_f64 v[132:133], v[122:123], v[152:153]
	v_fma_f64 v[4:5], v[92:93], v[146:147], -v[4:5]
	s_waitcnt vmcnt(15)
	v_fmac_f64_e32 v[132:133], v[124:125], v[154:155]
	v_add_f64 v[2:3], v[2:3], v[4:5]
	v_mul_f64 v[4:5], v[120:121], v[142:143]
	v_add_f64 v[170:171], v[130:131], v[132:133]
	ds_read_b128 v[130:133], v24 offset:576
	ds_read_b128 v[134:137], v24 offset:592
	v_fma_f64 v[4:5], v[118:119], v[148:149], -v[4:5]
	v_add_f64 v[2:3], v[2:3], v[4:5]
	v_mul_f64 v[4:5], v[124:125], v[152:153]
	v_fma_f64 v[4:5], v[122:123], v[154:155], -v[4:5]
	v_add_f64 v[2:3], v[2:3], v[4:5]
	s_waitcnt vmcnt(12) lgkmcnt(2)
	v_mul_f64 v[4:5], v[128:129], v[150:151]
	v_mul_f64 v[172:173], v[126:127], v[150:151]
	v_fma_f64 v[4:5], v[126:127], v[156:157], -v[4:5]
	v_fmac_f64_e32 v[172:173], v[128:129], v[156:157]
	v_add_f64 v[2:3], v[2:3], v[4:5]
	s_waitcnt vmcnt(9) lgkmcnt(1)
	v_mul_f64 v[4:5], v[132:133], v[160:161]
	v_add_f64 v[170:171], v[170:171], v[172:173]
	v_mul_f64 v[172:173], v[130:131], v[160:161]
	s_waitcnt vmcnt(7)
	v_fma_f64 v[4:5], v[130:131], v[162:163], -v[4:5]
	v_fmac_f64_e32 v[172:173], v[132:133], v[162:163]
	v_add_f64 v[2:3], v[2:3], v[4:5]
	s_waitcnt vmcnt(5) lgkmcnt(0)
	v_mul_f64 v[4:5], v[136:137], v[158:159]
	v_add_f64 v[170:171], v[170:171], v[172:173]
	v_mul_f64 v[172:173], v[134:135], v[158:159]
	s_waitcnt vmcnt(4)
	v_fma_f64 v[4:5], v[134:135], v[164:165], -v[4:5]
	v_fmac_f64_e32 v[172:173], v[136:137], v[164:165]
	v_add_f64 v[2:3], v[2:3], v[4:5]
	v_add_f64 v[170:171], v[170:171], v[172:173]
	s_waitcnt vmcnt(2)
	v_add_f64 v[2:3], v[166:167], -v[2:3]
	s_waitcnt vmcnt(0)
	v_add_f64 v[4:5], v[168:169], -v[170:171]
	buffer_store_dword v3, off, s[0:3], 0 offset:84
	buffer_store_dword v2, off, s[0:3], 0 offset:80
	;; [unrolled: 1-line block ×4, first 2 shown]
	s_and_saveexec_b64 s[6:7], vcc
	s_cbranch_execz .LBB18_119
; %bb.118:
	buffer_load_dword v2, v110, s[0:3], 0 offen
	buffer_load_dword v3, v110, s[0:3], 0 offen offset:4
	buffer_load_dword v4, v110, s[0:3], 0 offen offset:8
	;; [unrolled: 1-line block ×3, first 2 shown]
	s_nop 0
	buffer_store_dword v24, off, s[0:3], 0 offset:64
	buffer_store_dword v24, off, s[0:3], 0 offset:68
	;; [unrolled: 1-line block ×4, first 2 shown]
	s_waitcnt vmcnt(4)
	ds_write_b128 v116, v[2:5]
.LBB18_119:
	s_or_b64 exec, exec, s[6:7]
	s_waitcnt lgkmcnt(0)
	; wave barrier
	s_waitcnt lgkmcnt(0)
	buffer_load_dword v2, off, s[0:3], 0 offset:80
	buffer_load_dword v3, off, s[0:3], 0 offset:84
	buffer_load_dword v6, off, s[0:3], 0 offset:88
	buffer_load_dword v7, off, s[0:3], 0 offset:92
	buffer_load_dword v4, off, s[0:3], 0 offset:96
	buffer_load_dword v5, off, s[0:3], 0 offset:100
	buffer_load_dword v8, off, s[0:3], 0 offset:104
	buffer_load_dword v9, off, s[0:3], 0 offset:108
	buffer_load_dword v10, off, s[0:3], 0 offset:120
	buffer_load_dword v11, off, s[0:3], 0 offset:124
	buffer_load_dword v13, off, s[0:3], 0 offset:156
	buffer_load_dword v12, off, s[0:3], 0 offset:152
	buffer_load_dword v15, off, s[0:3], 0 offset:148
	buffer_load_dword v14, off, s[0:3], 0 offset:144
	buffer_load_dword v17, off, s[0:3], 0 offset:140
	buffer_load_dword v16, off, s[0:3], 0 offset:136
	buffer_load_dword v18, off, s[0:3], 0 offset:184
	buffer_load_dword v20, off, s[0:3], 0 offset:176
	buffer_load_dword v23, off, s[0:3], 0 offset:172
	buffer_load_dword v22, off, s[0:3], 0 offset:168
	buffer_load_dword v96, off, s[0:3], 0 offset:112
	buffer_load_dword v97, off, s[0:3], 0 offset:116
	buffer_load_dword v143, off, s[0:3], 0 offset:132
	buffer_load_dword v142, off, s[0:3], 0 offset:128
	buffer_load_dword v145, off, s[0:3], 0 offset:164
	buffer_load_dword v144, off, s[0:3], 0 offset:160
	buffer_load_dword v21, off, s[0:3], 0 offset:180
	buffer_load_dword v19, off, s[0:3], 0 offset:188
	buffer_load_dword v146, off, s[0:3], 0 offset:216
	buffer_load_dword v148, off, s[0:3], 0 offset:208
	buffer_load_dword v151, off, s[0:3], 0 offset:204
	buffer_load_dword v150, off, s[0:3], 0 offset:200
	buffer_load_dword v153, off, s[0:3], 0 offset:196
	buffer_load_dword v152, off, s[0:3], 0 offset:192
	buffer_load_dword v149, off, s[0:3], 0 offset:212
	buffer_load_dword v147, off, s[0:3], 0 offset:220
	buffer_load_dword v154, off, s[0:3], 0 offset:248
	buffer_load_dword v156, off, s[0:3], 0 offset:240
	buffer_load_dword v159, off, s[0:3], 0 offset:236
	buffer_load_dword v158, off, s[0:3], 0 offset:232
	buffer_load_dword v161, off, s[0:3], 0 offset:228
	buffer_load_dword v160, off, s[0:3], 0 offset:224
	buffer_load_dword v157, off, s[0:3], 0 offset:244
	buffer_load_dword v155, off, s[0:3], 0 offset:252
	buffer_load_dword v162, off, s[0:3], 0 offset:280
	buffer_load_dword v164, off, s[0:3], 0 offset:272
	buffer_load_dword v167, off, s[0:3], 0 offset:268
	buffer_load_dword v166, off, s[0:3], 0 offset:264
	buffer_load_dword v169, off, s[0:3], 0 offset:260
	buffer_load_dword v168, off, s[0:3], 0 offset:256
	buffer_load_dword v165, off, s[0:3], 0 offset:276
	buffer_load_dword v163, off, s[0:3], 0 offset:284
	buffer_load_dword v171, off, s[0:3], 0 offset:300
	buffer_load_dword v170, off, s[0:3], 0 offset:296
	buffer_load_dword v173, off, s[0:3], 0 offset:292
	buffer_load_dword v172, off, s[0:3], 0 offset:288
	buffer_load_dword v174, off, s[0:3], 0 offset:64
	buffer_load_dword v175, off, s[0:3], 0 offset:68
	buffer_load_dword v176, off, s[0:3], 0 offset:72
	buffer_load_dword v177, off, s[0:3], 0 offset:76
	ds_read_b128 v[26:29], v24 offset:384
	ds_read_b128 v[68:71], v24 offset:400
	;; [unrolled: 1-line block ×8, first 2 shown]
	v_cmp_lt_u32_e32 vcc, 3, v115
	ds_read_b128 v[138:141], v24 offset:592
	s_waitcnt vmcnt(56) lgkmcnt(8)
	v_mul_f64 v[118:119], v[26:27], v[6:7]
	v_fmac_f64_e32 v[118:119], v[28:29], v[2:3]
	v_add_f64 v[118:119], v[118:119], 0
	v_mul_f64 v[6:7], v[28:29], v[6:7]
	s_waitcnt vmcnt(52) lgkmcnt(7)
	v_mul_f64 v[120:121], v[68:69], v[8:9]
	v_fmac_f64_e32 v[120:121], v[70:71], v[4:5]
	s_waitcnt vmcnt(50) lgkmcnt(6)
	v_mul_f64 v[122:123], v[72:73], v[10:11]
	v_add_f64 v[118:119], v[118:119], v[120:121]
	s_waitcnt vmcnt(48) lgkmcnt(4)
	v_mul_f64 v[126:127], v[80:81], v[12:13]
	v_fma_f64 v[2:3], v[26:27], v[2:3], -v[6:7]
	s_waitcnt vmcnt(46)
	v_fmac_f64_e32 v[126:127], v[82:83], v[14:15]
	v_mul_f64 v[6:7], v[70:71], v[8:9]
	s_waitcnt vmcnt(44)
	v_mul_f64 v[124:125], v[76:77], v[16:17]
	v_add_f64 v[2:3], v[2:3], 0
	v_fma_f64 v[4:5], v[68:69], v[4:5], -v[6:7]
	v_add_f64 v[2:3], v[2:3], v[4:5]
	s_waitcnt vmcnt(40) lgkmcnt(3)
	v_mul_f64 v[128:129], v[84:85], v[22:23]
	v_mul_f64 v[4:5], v[74:75], v[10:11]
	s_waitcnt vmcnt(38)
	v_fmac_f64_e32 v[122:123], v[74:75], v[96:97]
	v_add_f64 v[118:119], v[118:119], v[122:123]
	s_waitcnt vmcnt(36)
	v_fmac_f64_e32 v[124:125], v[78:79], v[142:143]
	v_add_f64 v[118:119], v[118:119], v[124:125]
	;; [unrolled: 3-line block ×3, first 2 shown]
	s_waitcnt vmcnt(32) lgkmcnt(2)
	v_mul_f64 v[120:121], v[88:89], v[18:19]
	v_add_f64 v[118:119], v[118:119], v[128:129]
	v_fmac_f64_e32 v[120:121], v[90:91], v[20:21]
	v_add_f64 v[122:123], v[118:119], v[120:121]
	ds_read_b128 v[118:121], v24 offset:512
	v_fma_f64 v[4:5], v[72:73], v[96:97], -v[4:5]
	v_add_f64 v[2:3], v[2:3], v[4:5]
	v_mul_f64 v[4:5], v[78:79], v[16:17]
	v_fma_f64 v[4:5], v[76:77], v[142:143], -v[4:5]
	s_waitcnt vmcnt(28) lgkmcnt(2)
	v_mul_f64 v[124:125], v[92:93], v[150:151]
	v_add_f64 v[2:3], v[2:3], v[4:5]
	v_mul_f64 v[4:5], v[82:83], v[12:13]
	s_waitcnt vmcnt(26)
	v_fmac_f64_e32 v[124:125], v[94:95], v[152:153]
	v_fma_f64 v[4:5], v[80:81], v[14:15], -v[4:5]
	v_add_f64 v[126:127], v[122:123], v[124:125]
	ds_read_b128 v[122:125], v24 offset:528
	s_waitcnt vmcnt(24) lgkmcnt(1)
	v_mul_f64 v[128:129], v[118:119], v[146:147]
	v_add_f64 v[2:3], v[2:3], v[4:5]
	v_mul_f64 v[4:5], v[86:87], v[22:23]
	v_fmac_f64_e32 v[128:129], v[120:121], v[148:149]
	v_fma_f64 v[4:5], v[84:85], v[144:145], -v[4:5]
	v_add_f64 v[130:131], v[126:127], v[128:129]
	ds_read_b128 v[126:129], v24 offset:544
	v_add_f64 v[2:3], v[2:3], v[4:5]
	v_mul_f64 v[4:5], v[90:91], v[18:19]
	v_fma_f64 v[4:5], v[88:89], v[20:21], -v[4:5]
	v_add_f64 v[2:3], v[2:3], v[4:5]
	v_mul_f64 v[4:5], v[94:95], v[150:151]
	s_waitcnt vmcnt(20) lgkmcnt(1)
	v_mul_f64 v[132:133], v[122:123], v[158:159]
	v_fma_f64 v[4:5], v[92:93], v[152:153], -v[4:5]
	s_waitcnt vmcnt(18)
	v_fmac_f64_e32 v[132:133], v[124:125], v[160:161]
	v_add_f64 v[2:3], v[2:3], v[4:5]
	v_mul_f64 v[4:5], v[120:121], v[146:147]
	v_add_f64 v[134:135], v[130:131], v[132:133]
	ds_read_b128 v[130:133], v24 offset:560
	s_waitcnt vmcnt(16) lgkmcnt(1)
	v_mul_f64 v[136:137], v[126:127], v[154:155]
	v_fma_f64 v[4:5], v[118:119], v[148:149], -v[4:5]
	v_fmac_f64_e32 v[136:137], v[128:129], v[156:157]
	v_add_f64 v[2:3], v[2:3], v[4:5]
	v_mul_f64 v[4:5], v[124:125], v[158:159]
	v_add_f64 v[178:179], v[134:135], v[136:137]
	ds_read_b128 v[134:137], v24 offset:576
	v_fma_f64 v[4:5], v[122:123], v[160:161], -v[4:5]
	v_add_f64 v[2:3], v[2:3], v[4:5]
	v_mul_f64 v[4:5], v[128:129], v[154:155]
	v_fma_f64 v[4:5], v[126:127], v[156:157], -v[4:5]
	v_add_f64 v[2:3], v[2:3], v[4:5]
	s_waitcnt vmcnt(12) lgkmcnt(1)
	v_mul_f64 v[4:5], v[132:133], v[166:167]
	v_mul_f64 v[180:181], v[130:131], v[166:167]
	s_waitcnt vmcnt(10)
	v_fma_f64 v[4:5], v[130:131], v[168:169], -v[4:5]
	v_fmac_f64_e32 v[180:181], v[132:133], v[168:169]
	v_add_f64 v[2:3], v[2:3], v[4:5]
	s_waitcnt vmcnt(8) lgkmcnt(0)
	v_mul_f64 v[4:5], v[136:137], v[162:163]
	v_add_f64 v[24:25], v[178:179], v[180:181]
	v_mul_f64 v[178:179], v[134:135], v[162:163]
	v_fma_f64 v[4:5], v[134:135], v[164:165], -v[4:5]
	v_fmac_f64_e32 v[178:179], v[136:137], v[164:165]
	v_add_f64 v[2:3], v[2:3], v[4:5]
	s_waitcnt vmcnt(6)
	v_mul_f64 v[4:5], v[140:141], v[170:171]
	v_add_f64 v[24:25], v[24:25], v[178:179]
	v_mul_f64 v[178:179], v[138:139], v[170:171]
	s_waitcnt vmcnt(4)
	v_fma_f64 v[4:5], v[138:139], v[172:173], -v[4:5]
	v_fmac_f64_e32 v[178:179], v[140:141], v[172:173]
	v_add_f64 v[2:3], v[2:3], v[4:5]
	v_add_f64 v[24:25], v[24:25], v[178:179]
	s_waitcnt vmcnt(2)
	v_add_f64 v[2:3], v[174:175], -v[2:3]
	s_waitcnt vmcnt(0)
	v_add_f64 v[4:5], v[176:177], -v[24:25]
	buffer_store_dword v3, off, s[0:3], 0 offset:68
	buffer_store_dword v2, off, s[0:3], 0 offset:64
	;; [unrolled: 1-line block ×4, first 2 shown]
	s_and_saveexec_b64 s[6:7], vcc
	s_cbranch_execz .LBB18_121
; %bb.120:
	buffer_load_dword v2, v113, s[0:3], 0 offen
	buffer_load_dword v3, v113, s[0:3], 0 offen offset:4
	buffer_load_dword v4, v113, s[0:3], 0 offen offset:8
	;; [unrolled: 1-line block ×3, first 2 shown]
	v_mov_b32_e32 v6, 0
	buffer_store_dword v6, off, s[0:3], 0 offset:48
	buffer_store_dword v6, off, s[0:3], 0 offset:52
	;; [unrolled: 1-line block ×4, first 2 shown]
	s_waitcnt vmcnt(4)
	ds_write_b128 v116, v[2:5]
.LBB18_121:
	s_or_b64 exec, exec, s[6:7]
	s_waitcnt lgkmcnt(0)
	; wave barrier
	s_waitcnt lgkmcnt(0)
	buffer_load_dword v2, off, s[0:3], 0 offset:64
	buffer_load_dword v3, off, s[0:3], 0 offset:68
	;; [unrolled: 1-line block ×64, first 2 shown]
	v_mov_b32_e32 v76, 0
	ds_read_b128 v[68:71], v76 offset:368
	ds_read_b128 v[72:75], v76 offset:384
	;; [unrolled: 1-line block ×7, first 2 shown]
	v_cmp_lt_u32_e32 vcc, 2, v115
	s_waitcnt vmcnt(60) lgkmcnt(6)
	v_mul_f64 v[94:95], v[68:69], v[6:7]
	v_fmac_f64_e32 v[94:95], v[70:71], v[2:3]
	v_add_f64 v[94:95], v[94:95], 0
	v_mul_f64 v[6:7], v[70:71], v[6:7]
	s_waitcnt vmcnt(56) lgkmcnt(5)
	v_mul_f64 v[96:97], v[72:73], v[8:9]
	v_fmac_f64_e32 v[96:97], v[74:75], v[4:5]
	s_waitcnt vmcnt(54) lgkmcnt(4)
	v_mul_f64 v[118:119], v[78:79], v[10:11]
	v_add_f64 v[94:95], v[94:95], v[96:97]
	v_fma_f64 v[2:3], v[68:69], v[2:3], -v[6:7]
	v_mul_f64 v[6:7], v[74:75], v[8:9]
	s_waitcnt vmcnt(50) lgkmcnt(3)
	v_mul_f64 v[120:121], v[82:83], v[16:17]
	s_waitcnt vmcnt(49) lgkmcnt(2)
	v_mul_f64 v[122:123], v[86:87], v[12:13]
	v_add_f64 v[2:3], v[2:3], 0
	s_waitcnt vmcnt(47)
	v_fmac_f64_e32 v[118:119], v[80:81], v[20:21]
	v_add_f64 v[94:95], v[94:95], v[118:119]
	s_waitcnt vmcnt(45)
	v_fmac_f64_e32 v[120:121], v[84:85], v[18:19]
	;; [unrolled: 3-line block ×3, first 2 shown]
	v_add_f64 v[118:119], v[94:95], v[122:123]
	ds_read_b128 v[94:97], v76 offset:464
	s_waitcnt vmcnt(40) lgkmcnt(2)
	v_mul_f64 v[120:121], v[90:91], v[26:27]
	v_fma_f64 v[4:5], v[72:73], v[4:5], -v[6:7]
	s_waitcnt vmcnt(38)
	v_fmac_f64_e32 v[120:121], v[92:93], v[28:29]
	v_add_f64 v[122:123], v[118:119], v[120:121]
	ds_read_b128 v[118:121], v76 offset:480
	s_waitcnt vmcnt(36) lgkmcnt(1)
	v_mul_f64 v[124:125], v[94:95], v[22:23]
	v_fmac_f64_e32 v[124:125], v[96:97], v[24:25]
	v_add_f64 v[2:3], v[2:3], v[4:5]
	v_mul_f64 v[4:5], v[80:81], v[10:11]
	v_add_f64 v[126:127], v[122:123], v[124:125]
	ds_read_b128 v[122:125], v76 offset:496
	s_waitcnt vmcnt(32) lgkmcnt(1)
	v_mul_f64 v[128:129], v[118:119], v[154:155]
	v_fma_f64 v[4:5], v[78:79], v[20:21], -v[4:5]
	s_waitcnt vmcnt(30)
	v_fmac_f64_e32 v[128:129], v[120:121], v[156:157]
	v_add_f64 v[2:3], v[2:3], v[4:5]
	v_mul_f64 v[4:5], v[84:85], v[16:17]
	v_add_f64 v[130:131], v[126:127], v[128:129]
	ds_read_b128 v[126:129], v76 offset:512
	v_fma_f64 v[4:5], v[82:83], v[18:19], -v[4:5]
	v_add_f64 v[2:3], v[2:3], v[4:5]
	v_mul_f64 v[4:5], v[88:89], v[12:13]
	v_fma_f64 v[4:5], v[86:87], v[14:15], -v[4:5]
	s_waitcnt vmcnt(28) lgkmcnt(1)
	v_mul_f64 v[132:133], v[122:123], v[150:151]
	v_add_f64 v[2:3], v[2:3], v[4:5]
	v_mul_f64 v[4:5], v[92:93], v[26:27]
	v_fmac_f64_e32 v[132:133], v[124:125], v[152:153]
	v_fma_f64 v[4:5], v[90:91], v[28:29], -v[4:5]
	v_add_f64 v[134:135], v[130:131], v[132:133]
	ds_read_b128 v[130:133], v76 offset:528
	s_waitcnt vmcnt(24) lgkmcnt(1)
	v_mul_f64 v[136:137], v[126:127], v[162:163]
	v_add_f64 v[2:3], v[2:3], v[4:5]
	v_mul_f64 v[4:5], v[96:97], v[22:23]
	s_waitcnt vmcnt(22)
	v_fmac_f64_e32 v[136:137], v[128:129], v[164:165]
	v_fma_f64 v[4:5], v[94:95], v[24:25], -v[4:5]
	v_add_f64 v[138:139], v[134:135], v[136:137]
	ds_read_b128 v[134:137], v76 offset:544
	v_add_f64 v[2:3], v[2:3], v[4:5]
	v_mul_f64 v[4:5], v[120:121], v[154:155]
	v_fma_f64 v[4:5], v[118:119], v[156:157], -v[4:5]
	v_add_f64 v[2:3], v[2:3], v[4:5]
	v_mul_f64 v[4:5], v[124:125], v[150:151]
	s_waitcnt vmcnt(20) lgkmcnt(1)
	v_mul_f64 v[140:141], v[130:131], v[158:159]
	v_fma_f64 v[4:5], v[122:123], v[152:153], -v[4:5]
	v_fmac_f64_e32 v[140:141], v[132:133], v[160:161]
	v_add_f64 v[2:3], v[2:3], v[4:5]
	v_mul_f64 v[4:5], v[128:129], v[162:163]
	v_add_f64 v[142:143], v[138:139], v[140:141]
	ds_read_b128 v[138:141], v76 offset:560
	s_waitcnt vmcnt(16) lgkmcnt(1)
	v_mul_f64 v[144:145], v[134:135], v[170:171]
	v_fma_f64 v[4:5], v[126:127], v[164:165], -v[4:5]
	s_waitcnt vmcnt(14)
	v_fmac_f64_e32 v[144:145], v[136:137], v[172:173]
	v_add_f64 v[2:3], v[2:3], v[4:5]
	v_mul_f64 v[4:5], v[132:133], v[158:159]
	v_add_f64 v[186:187], v[142:143], v[144:145]
	ds_read_b128 v[142:145], v76 offset:576
	v_fma_f64 v[4:5], v[130:131], v[160:161], -v[4:5]
	v_add_f64 v[2:3], v[2:3], v[4:5]
	v_mul_f64 v[4:5], v[136:137], v[170:171]
	v_fma_f64 v[4:5], v[134:135], v[172:173], -v[4:5]
	v_add_f64 v[2:3], v[2:3], v[4:5]
	s_waitcnt vmcnt(12) lgkmcnt(1)
	v_mul_f64 v[4:5], v[140:141], v[166:167]
	v_mul_f64 v[188:189], v[138:139], v[166:167]
	v_fma_f64 v[4:5], v[138:139], v[168:169], -v[4:5]
	v_fmac_f64_e32 v[188:189], v[140:141], v[168:169]
	v_add_f64 v[2:3], v[2:3], v[4:5]
	s_waitcnt vmcnt(8) lgkmcnt(0)
	v_mul_f64 v[4:5], v[144:145], v[178:179]
	v_add_f64 v[186:187], v[186:187], v[188:189]
	v_mul_f64 v[188:189], v[142:143], v[178:179]
	s_waitcnt vmcnt(6)
	v_fma_f64 v[4:5], v[142:143], v[180:181], -v[4:5]
	v_fmac_f64_e32 v[188:189], v[144:145], v[180:181]
	v_add_f64 v[2:3], v[2:3], v[4:5]
	s_waitcnt vmcnt(5)
	v_mul_f64 v[4:5], v[148:149], v[174:175]
	v_add_f64 v[186:187], v[186:187], v[188:189]
	v_mul_f64 v[188:189], v[146:147], v[174:175]
	s_waitcnt vmcnt(4)
	v_fma_f64 v[4:5], v[146:147], v[176:177], -v[4:5]
	v_fmac_f64_e32 v[188:189], v[148:149], v[176:177]
	v_add_f64 v[2:3], v[2:3], v[4:5]
	v_add_f64 v[186:187], v[186:187], v[188:189]
	s_waitcnt vmcnt(2)
	v_add_f64 v[2:3], v[182:183], -v[2:3]
	s_waitcnt vmcnt(0)
	v_add_f64 v[4:5], v[184:185], -v[186:187]
	buffer_store_dword v3, off, s[0:3], 0 offset:52
	buffer_store_dword v2, off, s[0:3], 0 offset:48
	;; [unrolled: 1-line block ×4, first 2 shown]
	s_and_saveexec_b64 s[6:7], vcc
	s_cbranch_execz .LBB18_123
; %bb.122:
	buffer_load_dword v2, v114, s[0:3], 0 offen
	buffer_load_dword v3, v114, s[0:3], 0 offen offset:4
	buffer_load_dword v4, v114, s[0:3], 0 offen offset:8
	;; [unrolled: 1-line block ×3, first 2 shown]
	s_nop 0
	buffer_store_dword v76, off, s[0:3], 0 offset:32
	buffer_store_dword v76, off, s[0:3], 0 offset:36
	;; [unrolled: 1-line block ×4, first 2 shown]
	s_waitcnt vmcnt(4)
	ds_write_b128 v116, v[2:5]
.LBB18_123:
	s_or_b64 exec, exec, s[6:7]
	s_waitcnt lgkmcnt(0)
	; wave barrier
	s_waitcnt lgkmcnt(0)
	buffer_load_dword v2, off, s[0:3], 0 offset:48
	buffer_load_dword v3, off, s[0:3], 0 offset:52
	;; [unrolled: 1-line block ×64, first 2 shown]
	ds_read_b128 v[78:81], v76 offset:352
	ds_read_b128 v[82:85], v76 offset:368
	;; [unrolled: 1-line block ×4, first 2 shown]
	buffer_load_dword v190, off, s[0:3], 0 offset:32
	buffer_load_dword v191, off, s[0:3], 0 offset:36
	;; [unrolled: 1-line block ×4, first 2 shown]
	v_cmp_lt_u32_e32 vcc, 1, v115
	ds_read_b128 v[158:161], v76 offset:592
	s_waitcnt vmcnt(62) lgkmcnt(4)
	v_mul_f64 v[94:95], v[78:79], v[4:5]
	v_fmac_f64_e32 v[94:95], v[80:81], v[2:3]
	s_waitcnt lgkmcnt(3)
	v_mul_f64 v[96:97], v[82:83], v[6:7]
	v_add_f64 v[94:95], v[94:95], 0
	s_waitcnt vmcnt(60) lgkmcnt(2)
	v_mul_f64 v[118:119], v[86:87], v[8:9]
	v_mul_f64 v[4:5], v[80:81], v[4:5]
	v_fma_f64 v[2:3], v[78:79], v[2:3], -v[4:5]
	v_mul_f64 v[4:5], v[84:85], v[6:7]
	s_waitcnt vmcnt(56) lgkmcnt(1)
	v_mul_f64 v[120:121], v[90:91], v[14:15]
	v_add_f64 v[2:3], v[2:3], 0
	s_waitcnt vmcnt(54)
	v_fmac_f64_e32 v[96:97], v[84:85], v[20:21]
	v_add_f64 v[122:123], v[94:95], v[96:97]
	ds_read_b128 v[94:97], v76 offset:416
	s_waitcnt vmcnt(52)
	v_fmac_f64_e32 v[118:119], v[88:89], v[18:19]
	v_add_f64 v[118:119], v[122:123], v[118:119]
	s_waitcnt vmcnt(50)
	v_fmac_f64_e32 v[120:121], v[92:93], v[16:17]
	v_add_f64 v[122:123], v[118:119], v[120:121]
	ds_read_b128 v[118:121], v76 offset:432
	s_waitcnt vmcnt(48) lgkmcnt(1)
	v_mul_f64 v[124:125], v[94:95], v[10:11]
	v_fmac_f64_e32 v[124:125], v[96:97], v[12:13]
	v_add_f64 v[126:127], v[122:123], v[124:125]
	ds_read_b128 v[122:125], v76 offset:448
	s_waitcnt vmcnt(44) lgkmcnt(1)
	v_mul_f64 v[128:129], v[118:119], v[26:27]
	s_waitcnt vmcnt(42)
	v_fmac_f64_e32 v[128:129], v[120:121], v[28:29]
	v_add_f64 v[130:131], v[126:127], v[128:129]
	ds_read_b128 v[126:129], v76 offset:464
	s_waitcnt vmcnt(40) lgkmcnt(1)
	v_mul_f64 v[132:133], v[122:123], v[22:23]
	v_fmac_f64_e32 v[132:133], v[124:125], v[24:25]
	v_add_f64 v[134:135], v[130:131], v[132:133]
	ds_read_b128 v[130:133], v76 offset:480
	v_fma_f64 v[4:5], v[82:83], v[20:21], -v[4:5]
	v_add_f64 v[2:3], v[2:3], v[4:5]
	v_mul_f64 v[4:5], v[88:89], v[8:9]
	s_waitcnt vmcnt(36) lgkmcnt(1)
	v_mul_f64 v[136:137], v[126:127], v[72:73]
	v_fma_f64 v[4:5], v[86:87], v[18:19], -v[4:5]
	s_waitcnt vmcnt(34)
	v_fmac_f64_e32 v[136:137], v[128:129], v[74:75]
	v_add_f64 v[2:3], v[2:3], v[4:5]
	v_mul_f64 v[4:5], v[92:93], v[14:15]
	v_add_f64 v[138:139], v[134:135], v[136:137]
	ds_read_b128 v[134:137], v76 offset:496
	s_waitcnt vmcnt(32) lgkmcnt(1)
	v_mul_f64 v[140:141], v[130:131], v[68:69]
	v_fma_f64 v[4:5], v[90:91], v[16:17], -v[4:5]
	v_fmac_f64_e32 v[140:141], v[132:133], v[70:71]
	v_add_f64 v[2:3], v[2:3], v[4:5]
	v_mul_f64 v[4:5], v[96:97], v[10:11]
	v_add_f64 v[142:143], v[138:139], v[140:141]
	ds_read_b128 v[138:141], v76 offset:512
	v_fma_f64 v[4:5], v[94:95], v[12:13], -v[4:5]
	v_add_f64 v[2:3], v[2:3], v[4:5]
	v_mul_f64 v[4:5], v[120:121], v[26:27]
	v_fma_f64 v[4:5], v[118:119], v[28:29], -v[4:5]
	s_waitcnt vmcnt(28) lgkmcnt(1)
	v_mul_f64 v[144:145], v[134:135], v[166:167]
	v_add_f64 v[2:3], v[2:3], v[4:5]
	v_mul_f64 v[4:5], v[124:125], v[22:23]
	s_waitcnt vmcnt(26)
	v_fmac_f64_e32 v[144:145], v[136:137], v[168:169]
	v_fma_f64 v[4:5], v[122:123], v[24:25], -v[4:5]
	v_add_f64 v[146:147], v[142:143], v[144:145]
	ds_read_b128 v[142:145], v76 offset:528
	s_waitcnt vmcnt(24) lgkmcnt(1)
	v_mul_f64 v[148:149], v[138:139], v[162:163]
	v_add_f64 v[2:3], v[2:3], v[4:5]
	v_mul_f64 v[4:5], v[128:129], v[72:73]
	v_fmac_f64_e32 v[148:149], v[140:141], v[164:165]
	v_fma_f64 v[4:5], v[126:127], v[74:75], -v[4:5]
	v_add_f64 v[150:151], v[146:147], v[148:149]
	ds_read_b128 v[146:149], v76 offset:544
	v_add_f64 v[2:3], v[2:3], v[4:5]
	v_mul_f64 v[4:5], v[132:133], v[68:69]
	v_fma_f64 v[4:5], v[130:131], v[70:71], -v[4:5]
	v_add_f64 v[2:3], v[2:3], v[4:5]
	v_mul_f64 v[4:5], v[136:137], v[166:167]
	s_waitcnt vmcnt(20) lgkmcnt(1)
	v_mul_f64 v[152:153], v[142:143], v[174:175]
	v_fma_f64 v[4:5], v[134:135], v[168:169], -v[4:5]
	s_waitcnt vmcnt(18)
	v_fmac_f64_e32 v[152:153], v[144:145], v[176:177]
	v_add_f64 v[2:3], v[2:3], v[4:5]
	v_mul_f64 v[4:5], v[140:141], v[162:163]
	v_add_f64 v[154:155], v[150:151], v[152:153]
	ds_read_b128 v[150:153], v76 offset:560
	s_waitcnt vmcnt(16) lgkmcnt(1)
	v_mul_f64 v[156:157], v[146:147], v[170:171]
	v_fma_f64 v[4:5], v[138:139], v[164:165], -v[4:5]
	v_fmac_f64_e32 v[156:157], v[148:149], v[172:173]
	v_add_f64 v[2:3], v[2:3], v[4:5]
	v_mul_f64 v[4:5], v[144:145], v[174:175]
	v_add_f64 v[194:195], v[154:155], v[156:157]
	ds_read_b128 v[154:157], v76 offset:576
	v_fma_f64 v[4:5], v[142:143], v[176:177], -v[4:5]
	v_add_f64 v[2:3], v[2:3], v[4:5]
	v_mul_f64 v[4:5], v[148:149], v[170:171]
	v_fma_f64 v[4:5], v[146:147], v[172:173], -v[4:5]
	v_add_f64 v[2:3], v[2:3], v[4:5]
	s_waitcnt vmcnt(12) lgkmcnt(1)
	v_mul_f64 v[4:5], v[152:153], v[182:183]
	v_mul_f64 v[196:197], v[150:151], v[182:183]
	s_waitcnt vmcnt(10)
	v_fma_f64 v[4:5], v[150:151], v[184:185], -v[4:5]
	v_fmac_f64_e32 v[196:197], v[152:153], v[184:185]
	v_add_f64 v[2:3], v[2:3], v[4:5]
	s_waitcnt vmcnt(8) lgkmcnt(0)
	v_mul_f64 v[4:5], v[156:157], v[178:179]
	v_add_f64 v[76:77], v[194:195], v[196:197]
	v_mul_f64 v[194:195], v[154:155], v[178:179]
	v_fma_f64 v[4:5], v[154:155], v[180:181], -v[4:5]
	v_fmac_f64_e32 v[194:195], v[156:157], v[180:181]
	v_add_f64 v[2:3], v[2:3], v[4:5]
	s_waitcnt vmcnt(6)
	v_mul_f64 v[4:5], v[160:161], v[186:187]
	v_add_f64 v[76:77], v[76:77], v[194:195]
	v_mul_f64 v[194:195], v[158:159], v[186:187]
	s_waitcnt vmcnt(4)
	v_fma_f64 v[4:5], v[158:159], v[188:189], -v[4:5]
	v_fmac_f64_e32 v[194:195], v[160:161], v[188:189]
	v_add_f64 v[2:3], v[2:3], v[4:5]
	v_add_f64 v[76:77], v[76:77], v[194:195]
	s_waitcnt vmcnt(2)
	v_add_f64 v[2:3], v[190:191], -v[2:3]
	s_waitcnt vmcnt(0)
	v_add_f64 v[4:5], v[192:193], -v[76:77]
	buffer_store_dword v3, off, s[0:3], 0 offset:36
	buffer_store_dword v2, off, s[0:3], 0 offset:32
	;; [unrolled: 1-line block ×4, first 2 shown]
	s_and_saveexec_b64 s[6:7], vcc
	s_cbranch_execz .LBB18_125
; %bb.124:
	buffer_load_dword v2, v112, s[0:3], 0 offen
	buffer_load_dword v3, v112, s[0:3], 0 offen offset:4
	buffer_load_dword v4, v112, s[0:3], 0 offen offset:8
	;; [unrolled: 1-line block ×3, first 2 shown]
	v_mov_b32_e32 v6, 0
	buffer_store_dword v6, off, s[0:3], 0 offset:16
	buffer_store_dword v6, off, s[0:3], 0 offset:20
	;; [unrolled: 1-line block ×4, first 2 shown]
	s_waitcnt vmcnt(4)
	ds_write_b128 v116, v[2:5]
.LBB18_125:
	s_or_b64 exec, exec, s[6:7]
	s_waitcnt lgkmcnt(0)
	; wave barrier
	s_waitcnt lgkmcnt(0)
	buffer_load_dword v2, off, s[0:3], 0 offset:32
	buffer_load_dword v3, off, s[0:3], 0 offset:36
	;; [unrolled: 1-line block ×68, first 2 shown]
	v_mov_b32_e32 v84, 0
	ds_read_b128 v[80:83], v84 offset:336
	ds_read_b128 v[86:89], v84 offset:352
	buffer_load_dword v198, off, s[0:3], 0 offset:16
	buffer_load_dword v199, off, s[0:3], 0 offset:20
	;; [unrolled: 1-line block ×4, first 2 shown]
	ds_read_b128 v[90:93], v84 offset:368
	ds_read_b128 v[94:97], v84 offset:384
	;; [unrolled: 1-line block ×3, first 2 shown]
	v_cmp_ne_u32_e32 vcc, 0, v115
	s_waitcnt vmcnt(62) lgkmcnt(4)
	v_mul_f64 v[118:119], v[80:81], v[8:9]
	v_fmac_f64_e32 v[118:119], v[82:83], v[2:3]
	v_add_f64 v[118:119], v[118:119], 0
	v_mul_f64 v[8:9], v[82:83], v[8:9]
	s_waitcnt lgkmcnt(3)
	v_mul_f64 v[120:121], v[86:87], v[10:11]
	v_fmac_f64_e32 v[120:121], v[88:89], v[4:5]
	v_add_f64 v[118:119], v[118:119], v[120:121]
	v_fma_f64 v[2:3], v[80:81], v[2:3], -v[8:9]
	s_waitcnt vmcnt(60) lgkmcnt(2)
	v_mul_f64 v[120:121], v[90:91], v[12:13]
	v_fmac_f64_e32 v[120:121], v[92:93], v[6:7]
	v_add_f64 v[122:123], v[118:119], v[120:121]
	ds_read_b128 v[118:121], v84 offset:400
	s_waitcnt vmcnt(56) lgkmcnt(2)
	v_mul_f64 v[124:125], v[94:95], v[18:19]
	v_mul_f64 v[8:9], v[88:89], v[10:11]
	s_waitcnt vmcnt(54)
	v_fmac_f64_e32 v[124:125], v[96:97], v[20:21]
	v_add_f64 v[126:127], v[122:123], v[124:125]
	ds_read_b128 v[122:125], v84 offset:416
	s_waitcnt vmcnt(52) lgkmcnt(1)
	v_mul_f64 v[128:129], v[118:119], v[14:15]
	v_fmac_f64_e32 v[128:129], v[120:121], v[16:17]
	v_add_f64 v[130:131], v[126:127], v[128:129]
	ds_read_b128 v[126:129], v84 offset:432
	s_waitcnt vmcnt(48) lgkmcnt(1)
	v_mul_f64 v[132:133], v[122:123], v[26:27]
	s_waitcnt vmcnt(46)
	v_fmac_f64_e32 v[132:133], v[124:125], v[28:29]
	v_add_f64 v[134:135], v[130:131], v[132:133]
	ds_read_b128 v[130:133], v84 offset:448
	s_waitcnt vmcnt(44) lgkmcnt(1)
	v_mul_f64 v[136:137], v[126:127], v[22:23]
	v_fmac_f64_e32 v[136:137], v[128:129], v[24:25]
	v_add_f64 v[138:139], v[134:135], v[136:137]
	ds_read_b128 v[134:137], v84 offset:464
	s_waitcnt vmcnt(40) lgkmcnt(1)
	v_mul_f64 v[140:141], v[130:131], v[72:73]
	s_waitcnt vmcnt(38)
	v_fmac_f64_e32 v[140:141], v[132:133], v[74:75]
	v_add_f64 v[2:3], v[2:3], 0
	v_fma_f64 v[4:5], v[86:87], v[4:5], -v[8:9]
	v_add_f64 v[142:143], v[138:139], v[140:141]
	ds_read_b128 v[138:141], v84 offset:480
	v_add_f64 v[2:3], v[2:3], v[4:5]
	v_mul_f64 v[4:5], v[92:93], v[12:13]
	v_fma_f64 v[4:5], v[90:91], v[6:7], -v[4:5]
	v_add_f64 v[2:3], v[2:3], v[4:5]
	v_mul_f64 v[4:5], v[96:97], v[18:19]
	s_waitcnt vmcnt(36) lgkmcnt(1)
	v_mul_f64 v[144:145], v[134:135], v[68:69]
	v_fma_f64 v[4:5], v[94:95], v[20:21], -v[4:5]
	v_fmac_f64_e32 v[144:145], v[136:137], v[70:71]
	v_add_f64 v[2:3], v[2:3], v[4:5]
	v_mul_f64 v[4:5], v[120:121], v[14:15]
	v_add_f64 v[146:147], v[142:143], v[144:145]
	ds_read_b128 v[142:145], v84 offset:496
	s_waitcnt vmcnt(32) lgkmcnt(1)
	v_mul_f64 v[148:149], v[138:139], v[170:171]
	v_fma_f64 v[4:5], v[118:119], v[16:17], -v[4:5]
	s_waitcnt vmcnt(30)
	v_fmac_f64_e32 v[148:149], v[140:141], v[172:173]
	v_add_f64 v[2:3], v[2:3], v[4:5]
	v_mul_f64 v[4:5], v[124:125], v[26:27]
	v_add_f64 v[150:151], v[146:147], v[148:149]
	ds_read_b128 v[146:149], v84 offset:512
	v_fma_f64 v[4:5], v[122:123], v[28:29], -v[4:5]
	v_add_f64 v[2:3], v[2:3], v[4:5]
	v_mul_f64 v[4:5], v[128:129], v[22:23]
	v_fma_f64 v[4:5], v[126:127], v[24:25], -v[4:5]
	s_waitcnt vmcnt(28) lgkmcnt(1)
	v_mul_f64 v[152:153], v[142:143], v[76:77]
	v_add_f64 v[2:3], v[2:3], v[4:5]
	v_mul_f64 v[4:5], v[132:133], v[72:73]
	v_fmac_f64_e32 v[152:153], v[144:145], v[78:79]
	v_fma_f64 v[4:5], v[130:131], v[74:75], -v[4:5]
	v_add_f64 v[154:155], v[150:151], v[152:153]
	ds_read_b128 v[150:153], v84 offset:528
	s_waitcnt vmcnt(24) lgkmcnt(1)
	v_mul_f64 v[156:157], v[146:147], v[178:179]
	v_add_f64 v[2:3], v[2:3], v[4:5]
	v_mul_f64 v[4:5], v[136:137], v[68:69]
	s_waitcnt vmcnt(22)
	v_fmac_f64_e32 v[156:157], v[148:149], v[180:181]
	v_fma_f64 v[4:5], v[134:135], v[70:71], -v[4:5]
	v_add_f64 v[158:159], v[154:155], v[156:157]
	ds_read_b128 v[154:157], v84 offset:544
	v_add_f64 v[2:3], v[2:3], v[4:5]
	v_mul_f64 v[4:5], v[140:141], v[170:171]
	v_fma_f64 v[4:5], v[138:139], v[172:173], -v[4:5]
	v_add_f64 v[2:3], v[2:3], v[4:5]
	v_mul_f64 v[4:5], v[144:145], v[76:77]
	s_waitcnt vmcnt(20) lgkmcnt(1)
	v_mul_f64 v[160:161], v[150:151], v[174:175]
	v_fma_f64 v[4:5], v[142:143], v[78:79], -v[4:5]
	v_fmac_f64_e32 v[160:161], v[152:153], v[176:177]
	v_add_f64 v[2:3], v[2:3], v[4:5]
	v_mul_f64 v[4:5], v[148:149], v[178:179]
	v_add_f64 v[162:163], v[158:159], v[160:161]
	ds_read_b128 v[158:161], v84 offset:560
	s_waitcnt vmcnt(16) lgkmcnt(1)
	v_mul_f64 v[164:165], v[154:155], v[186:187]
	v_fma_f64 v[4:5], v[146:147], v[180:181], -v[4:5]
	s_waitcnt vmcnt(14)
	v_fmac_f64_e32 v[164:165], v[156:157], v[188:189]
	v_add_f64 v[2:3], v[2:3], v[4:5]
	v_mul_f64 v[4:5], v[152:153], v[174:175]
	v_add_f64 v[202:203], v[162:163], v[164:165]
	ds_read_b128 v[162:165], v84 offset:576
	v_fma_f64 v[4:5], v[150:151], v[176:177], -v[4:5]
	v_add_f64 v[2:3], v[2:3], v[4:5]
	v_mul_f64 v[4:5], v[156:157], v[186:187]
	v_fma_f64 v[4:5], v[154:155], v[188:189], -v[4:5]
	v_add_f64 v[2:3], v[2:3], v[4:5]
	s_waitcnt vmcnt(12) lgkmcnt(1)
	v_mul_f64 v[4:5], v[160:161], v[182:183]
	v_mul_f64 v[204:205], v[158:159], v[182:183]
	v_fma_f64 v[4:5], v[158:159], v[184:185], -v[4:5]
	v_fmac_f64_e32 v[204:205], v[160:161], v[184:185]
	v_add_f64 v[2:3], v[2:3], v[4:5]
	s_waitcnt vmcnt(8) lgkmcnt(0)
	v_mul_f64 v[4:5], v[164:165], v[194:195]
	v_add_f64 v[202:203], v[202:203], v[204:205]
	v_mul_f64 v[204:205], v[162:163], v[194:195]
	s_waitcnt vmcnt(6)
	v_fma_f64 v[4:5], v[162:163], v[196:197], -v[4:5]
	v_fmac_f64_e32 v[204:205], v[164:165], v[196:197]
	v_add_f64 v[2:3], v[2:3], v[4:5]
	s_waitcnt vmcnt(5)
	v_mul_f64 v[4:5], v[168:169], v[190:191]
	v_add_f64 v[202:203], v[202:203], v[204:205]
	v_mul_f64 v[204:205], v[166:167], v[190:191]
	s_waitcnt vmcnt(4)
	v_fma_f64 v[4:5], v[166:167], v[192:193], -v[4:5]
	v_fmac_f64_e32 v[204:205], v[168:169], v[192:193]
	v_add_f64 v[2:3], v[2:3], v[4:5]
	v_add_f64 v[202:203], v[202:203], v[204:205]
	s_waitcnt vmcnt(2)
	v_add_f64 v[2:3], v[198:199], -v[2:3]
	s_waitcnt vmcnt(0)
	v_add_f64 v[4:5], v[200:201], -v[202:203]
	buffer_store_dword v3, off, s[0:3], 0 offset:20
	buffer_store_dword v2, off, s[0:3], 0 offset:16
	;; [unrolled: 1-line block ×4, first 2 shown]
	s_and_saveexec_b64 s[6:7], vcc
	s_cbranch_execz .LBB18_127
; %bb.126:
	buffer_load_dword v2, off, s[0:3], 0
	buffer_load_dword v3, off, s[0:3], 0 offset:4
	buffer_load_dword v4, off, s[0:3], 0 offset:8
	;; [unrolled: 1-line block ×3, first 2 shown]
	s_nop 0
	buffer_store_dword v84, off, s[0:3], 0
	buffer_store_dword v84, off, s[0:3], 0 offset:4
	buffer_store_dword v84, off, s[0:3], 0 offset:8
	;; [unrolled: 1-line block ×3, first 2 shown]
	s_waitcnt vmcnt(4)
	ds_write_b128 v116, v[2:5]
.LBB18_127:
	s_or_b64 exec, exec, s[6:7]
	s_waitcnt lgkmcnt(0)
	; wave barrier
	s_waitcnt lgkmcnt(0)
	buffer_load_dword v2, off, s[0:3], 0 offset:16
	buffer_load_dword v3, off, s[0:3], 0 offset:20
	buffer_load_dword v8, off, s[0:3], 0 offset:24
	buffer_load_dword v9, off, s[0:3], 0 offset:28
	buffer_load_dword v4, off, s[0:3], 0 offset:32
	buffer_load_dword v5, off, s[0:3], 0 offset:36
	buffer_load_dword v10, off, s[0:3], 0 offset:40
	buffer_load_dword v11, off, s[0:3], 0 offset:44
	buffer_load_dword v6, off, s[0:3], 0 offset:48
	buffer_load_dword v7, off, s[0:3], 0 offset:52
	buffer_load_dword v12, off, s[0:3], 0 offset:56
	buffer_load_dword v13, off, s[0:3], 0 offset:60
	buffer_load_dword v14, off, s[0:3], 0 offset:88
	buffer_load_dword v16, off, s[0:3], 0 offset:80
	buffer_load_dword v19, off, s[0:3], 0 offset:76
	buffer_load_dword v18, off, s[0:3], 0 offset:72
	buffer_load_dword v21, off, s[0:3], 0 offset:68
	buffer_load_dword v20, off, s[0:3], 0 offset:64
	buffer_load_dword v17, off, s[0:3], 0 offset:84
	buffer_load_dword v15, off, s[0:3], 0 offset:92
	buffer_load_dword v22, off, s[0:3], 0 offset:120
	buffer_load_dword v24, off, s[0:3], 0 offset:112
	buffer_load_dword v27, off, s[0:3], 0 offset:108
	buffer_load_dword v26, off, s[0:3], 0 offset:104
	buffer_load_dword v29, off, s[0:3], 0 offset:100
	buffer_load_dword v28, off, s[0:3], 0 offset:96
	buffer_load_dword v25, off, s[0:3], 0 offset:116
	buffer_load_dword v23, off, s[0:3], 0 offset:124
	buffer_load_dword v68, off, s[0:3], 0 offset:152
	buffer_load_dword v70, off, s[0:3], 0 offset:144
	buffer_load_dword v73, off, s[0:3], 0 offset:140
	buffer_load_dword v72, off, s[0:3], 0 offset:136
	buffer_load_dword v75, off, s[0:3], 0 offset:132
	buffer_load_dword v74, off, s[0:3], 0 offset:128
	buffer_load_dword v71, off, s[0:3], 0 offset:148
	buffer_load_dword v69, off, s[0:3], 0 offset:156
	buffer_load_dword v76, off, s[0:3], 0 offset:184
	buffer_load_dword v78, off, s[0:3], 0 offset:176
	buffer_load_dword v81, off, s[0:3], 0 offset:172
	buffer_load_dword v80, off, s[0:3], 0 offset:168
	buffer_load_dword v83, off, s[0:3], 0 offset:164
	buffer_load_dword v82, off, s[0:3], 0 offset:160
	buffer_load_dword v79, off, s[0:3], 0 offset:180
	buffer_load_dword v77, off, s[0:3], 0 offset:188
	buffer_load_dword v176, off, s[0:3], 0 offset:216
	buffer_load_dword v178, off, s[0:3], 0 offset:208
	buffer_load_dword v181, off, s[0:3], 0 offset:204
	buffer_load_dword v180, off, s[0:3], 0 offset:200
	buffer_load_dword v183, off, s[0:3], 0 offset:196
	buffer_load_dword v182, off, s[0:3], 0 offset:192
	buffer_load_dword v179, off, s[0:3], 0 offset:212
	buffer_load_dword v177, off, s[0:3], 0 offset:220
	buffer_load_dword v184, off, s[0:3], 0 offset:248
	buffer_load_dword v186, off, s[0:3], 0 offset:240
	buffer_load_dword v189, off, s[0:3], 0 offset:236
	buffer_load_dword v188, off, s[0:3], 0 offset:232
	buffer_load_dword v191, off, s[0:3], 0 offset:228
	buffer_load_dword v190, off, s[0:3], 0 offset:224
	buffer_load_dword v187, off, s[0:3], 0 offset:244
	buffer_load_dword v185, off, s[0:3], 0 offset:252
	buffer_load_dword v192, off, s[0:3], 0 offset:280
	buffer_load_dword v194, off, s[0:3], 0 offset:272
	buffer_load_dword v197, off, s[0:3], 0 offset:268
	buffer_load_dword v196, off, s[0:3], 0 offset:264
	buffer_load_dword v199, off, s[0:3], 0 offset:260
	buffer_load_dword v198, off, s[0:3], 0 offset:256
	buffer_load_dword v195, off, s[0:3], 0 offset:276
	buffer_load_dword v193, off, s[0:3], 0 offset:284
	buffer_load_dword v201, off, s[0:3], 0 offset:300
	buffer_load_dword v200, off, s[0:3], 0 offset:296
	buffer_load_dword v203, off, s[0:3], 0 offset:292
	buffer_load_dword v202, off, s[0:3], 0 offset:288
	ds_read_b128 v[86:89], v84 offset:320
	buffer_load_dword v204, off, s[0:3], 0
	buffer_load_dword v205, off, s[0:3], 0 offset:4
	buffer_load_dword v206, off, s[0:3], 0 offset:8
	;; [unrolled: 1-line block ×3, first 2 shown]
	ds_read_b128 v[90:93], v84 offset:336
	ds_read_b128 v[94:97], v84 offset:352
	;; [unrolled: 1-line block ×3, first 2 shown]
	s_and_b64 vcc, exec, s[26:27]
	ds_read_b128 v[172:175], v84 offset:592
	s_waitcnt vmcnt(62) lgkmcnt(4)
	v_mul_f64 v[120:121], v[86:87], v[8:9]
	v_fmac_f64_e32 v[120:121], v[88:89], v[2:3]
	v_add_f64 v[120:121], v[120:121], 0
	v_mul_f64 v[8:9], v[88:89], v[8:9]
	s_waitcnt lgkmcnt(3)
	v_mul_f64 v[122:123], v[90:91], v[10:11]
	v_fmac_f64_e32 v[122:123], v[92:93], v[4:5]
	v_add_f64 v[120:121], v[120:121], v[122:123]
	v_fma_f64 v[2:3], v[86:87], v[2:3], -v[8:9]
	s_waitcnt lgkmcnt(2)
	v_mul_f64 v[122:123], v[94:95], v[12:13]
	v_fmac_f64_e32 v[122:123], v[96:97], v[6:7]
	v_add_f64 v[124:125], v[120:121], v[122:123]
	ds_read_b128 v[120:123], v84 offset:384
	s_waitcnt vmcnt(60) lgkmcnt(2)
	v_mul_f64 v[126:127], v[116:117], v[18:19]
	v_mul_f64 v[8:9], v[92:93], v[10:11]
	s_waitcnt vmcnt(58)
	v_fmac_f64_e32 v[126:127], v[118:119], v[20:21]
	v_add_f64 v[128:129], v[124:125], v[126:127]
	ds_read_b128 v[124:127], v84 offset:400
	s_waitcnt vmcnt(56) lgkmcnt(1)
	v_mul_f64 v[130:131], v[120:121], v[14:15]
	v_fmac_f64_e32 v[130:131], v[122:123], v[16:17]
	v_add_f64 v[132:133], v[128:129], v[130:131]
	ds_read_b128 v[128:131], v84 offset:416
	s_waitcnt vmcnt(52) lgkmcnt(1)
	v_mul_f64 v[134:135], v[124:125], v[26:27]
	s_waitcnt vmcnt(50)
	v_fmac_f64_e32 v[134:135], v[126:127], v[28:29]
	v_add_f64 v[136:137], v[132:133], v[134:135]
	ds_read_b128 v[132:135], v84 offset:432
	s_waitcnt vmcnt(48) lgkmcnt(1)
	v_mul_f64 v[138:139], v[128:129], v[22:23]
	v_fmac_f64_e32 v[138:139], v[130:131], v[24:25]
	v_add_f64 v[140:141], v[136:137], v[138:139]
	ds_read_b128 v[136:139], v84 offset:448
	s_waitcnt vmcnt(44) lgkmcnt(1)
	v_mul_f64 v[142:143], v[132:133], v[72:73]
	s_waitcnt vmcnt(42)
	v_fmac_f64_e32 v[142:143], v[134:135], v[74:75]
	v_add_f64 v[2:3], v[2:3], 0
	v_fma_f64 v[4:5], v[90:91], v[4:5], -v[8:9]
	v_add_f64 v[144:145], v[140:141], v[142:143]
	ds_read_b128 v[140:143], v84 offset:464
	s_waitcnt vmcnt(40) lgkmcnt(1)
	v_mul_f64 v[146:147], v[136:137], v[68:69]
	v_add_f64 v[2:3], v[2:3], v[4:5]
	v_mul_f64 v[4:5], v[96:97], v[12:13]
	v_fmac_f64_e32 v[146:147], v[138:139], v[70:71]
	v_fma_f64 v[4:5], v[94:95], v[6:7], -v[4:5]
	v_add_f64 v[148:149], v[144:145], v[146:147]
	ds_read_b128 v[144:147], v84 offset:480
	v_add_f64 v[2:3], v[2:3], v[4:5]
	v_mul_f64 v[4:5], v[118:119], v[18:19]
	v_fma_f64 v[4:5], v[116:117], v[20:21], -v[4:5]
	v_add_f64 v[2:3], v[2:3], v[4:5]
	v_mul_f64 v[4:5], v[122:123], v[14:15]
	s_waitcnt vmcnt(36) lgkmcnt(1)
	v_mul_f64 v[150:151], v[140:141], v[80:81]
	v_fma_f64 v[4:5], v[120:121], v[16:17], -v[4:5]
	s_waitcnt vmcnt(34)
	v_fmac_f64_e32 v[150:151], v[142:143], v[82:83]
	v_add_f64 v[2:3], v[2:3], v[4:5]
	v_mul_f64 v[4:5], v[126:127], v[26:27]
	v_add_f64 v[152:153], v[148:149], v[150:151]
	ds_read_b128 v[148:151], v84 offset:496
	s_waitcnt vmcnt(32) lgkmcnt(1)
	v_mul_f64 v[154:155], v[144:145], v[76:77]
	v_fma_f64 v[4:5], v[124:125], v[28:29], -v[4:5]
	v_fmac_f64_e32 v[154:155], v[146:147], v[78:79]
	v_add_f64 v[2:3], v[2:3], v[4:5]
	v_mul_f64 v[4:5], v[130:131], v[22:23]
	v_add_f64 v[156:157], v[152:153], v[154:155]
	ds_read_b128 v[152:155], v84 offset:512
	v_fma_f64 v[4:5], v[128:129], v[24:25], -v[4:5]
	v_add_f64 v[2:3], v[2:3], v[4:5]
	v_mul_f64 v[4:5], v[134:135], v[72:73]
	v_fma_f64 v[4:5], v[132:133], v[74:75], -v[4:5]
	s_waitcnt vmcnt(28) lgkmcnt(1)
	v_mul_f64 v[158:159], v[148:149], v[180:181]
	v_add_f64 v[2:3], v[2:3], v[4:5]
	v_mul_f64 v[4:5], v[138:139], v[68:69]
	s_waitcnt vmcnt(26)
	v_fmac_f64_e32 v[158:159], v[150:151], v[182:183]
	v_fma_f64 v[4:5], v[136:137], v[70:71], -v[4:5]
	v_add_f64 v[160:161], v[156:157], v[158:159]
	ds_read_b128 v[156:159], v84 offset:528
	s_waitcnt vmcnt(24) lgkmcnt(1)
	v_mul_f64 v[162:163], v[152:153], v[176:177]
	v_add_f64 v[2:3], v[2:3], v[4:5]
	v_mul_f64 v[4:5], v[142:143], v[80:81]
	v_fmac_f64_e32 v[162:163], v[154:155], v[178:179]
	v_fma_f64 v[4:5], v[140:141], v[82:83], -v[4:5]
	v_add_f64 v[164:165], v[160:161], v[162:163]
	ds_read_b128 v[160:163], v84 offset:544
	v_add_f64 v[2:3], v[2:3], v[4:5]
	v_mul_f64 v[4:5], v[146:147], v[76:77]
	v_fma_f64 v[4:5], v[144:145], v[78:79], -v[4:5]
	v_add_f64 v[2:3], v[2:3], v[4:5]
	v_mul_f64 v[4:5], v[150:151], v[180:181]
	s_waitcnt vmcnt(20) lgkmcnt(1)
	v_mul_f64 v[166:167], v[156:157], v[188:189]
	v_fma_f64 v[4:5], v[148:149], v[182:183], -v[4:5]
	s_waitcnt vmcnt(18)
	v_fmac_f64_e32 v[166:167], v[158:159], v[190:191]
	v_add_f64 v[2:3], v[2:3], v[4:5]
	v_mul_f64 v[4:5], v[154:155], v[176:177]
	v_add_f64 v[168:169], v[164:165], v[166:167]
	ds_read_b128 v[164:167], v84 offset:560
	s_waitcnt vmcnt(16) lgkmcnt(1)
	v_mul_f64 v[170:171], v[160:161], v[184:185]
	v_fma_f64 v[4:5], v[152:153], v[178:179], -v[4:5]
	v_fmac_f64_e32 v[170:171], v[162:163], v[186:187]
	v_add_f64 v[2:3], v[2:3], v[4:5]
	v_mul_f64 v[4:5], v[158:159], v[188:189]
	v_add_f64 v[208:209], v[168:169], v[170:171]
	ds_read_b128 v[168:171], v84 offset:576
	v_fma_f64 v[4:5], v[156:157], v[190:191], -v[4:5]
	v_add_f64 v[2:3], v[2:3], v[4:5]
	v_mul_f64 v[4:5], v[162:163], v[184:185]
	v_fma_f64 v[4:5], v[160:161], v[186:187], -v[4:5]
	v_add_f64 v[2:3], v[2:3], v[4:5]
	s_waitcnt vmcnt(12) lgkmcnt(1)
	v_mul_f64 v[4:5], v[166:167], v[196:197]
	v_mul_f64 v[210:211], v[164:165], v[196:197]
	s_waitcnt vmcnt(10)
	v_fma_f64 v[4:5], v[164:165], v[198:199], -v[4:5]
	v_fmac_f64_e32 v[210:211], v[166:167], v[198:199]
	v_add_f64 v[2:3], v[2:3], v[4:5]
	s_waitcnt vmcnt(8) lgkmcnt(0)
	v_mul_f64 v[4:5], v[170:171], v[192:193]
	v_add_f64 v[84:85], v[208:209], v[210:211]
	v_mul_f64 v[208:209], v[168:169], v[192:193]
	v_fma_f64 v[4:5], v[168:169], v[194:195], -v[4:5]
	v_fmac_f64_e32 v[208:209], v[170:171], v[194:195]
	v_add_f64 v[2:3], v[2:3], v[4:5]
	s_waitcnt vmcnt(6)
	v_mul_f64 v[4:5], v[174:175], v[200:201]
	v_add_f64 v[84:85], v[84:85], v[208:209]
	v_mul_f64 v[208:209], v[172:173], v[200:201]
	s_waitcnt vmcnt(4)
	v_fma_f64 v[4:5], v[172:173], v[202:203], -v[4:5]
	v_fmac_f64_e32 v[208:209], v[174:175], v[202:203]
	v_add_f64 v[2:3], v[2:3], v[4:5]
	v_add_f64 v[84:85], v[84:85], v[208:209]
	s_waitcnt vmcnt(2)
	v_add_f64 v[2:3], v[204:205], -v[2:3]
	s_waitcnt vmcnt(0)
	v_add_f64 v[4:5], v[206:207], -v[84:85]
	buffer_store_dword v3, off, s[0:3], 0 offset:4
	buffer_store_dword v2, off, s[0:3], 0
	buffer_store_dword v5, off, s[0:3], 0 offset:12
	buffer_store_dword v4, off, s[0:3], 0 offset:8
	s_cbranch_vccz .LBB18_165
; %bb.128:
	v_pk_mov_b32 v[2:3], s[24:25], s[24:25] op_sel:[0,1]
	flat_load_dword v2, v[2:3] offset:68
	s_load_dwordx2 s[4:5], s[4:5], 0x4
	v_bfe_u32 v4, v0, 10, 10
	v_bfe_u32 v0, v0, 20, 10
	s_waitcnt lgkmcnt(0)
	s_lshr_b32 s4, s4, 16
	s_mul_i32 s4, s4, s5
	v_mul_u32_u24_e32 v3, s4, v115
	v_mul_u32_u24_e32 v4, s5, v4
	v_add3_u32 v0, v3, v4, v0
	v_mov_b32_e32 v3, 0x268
	v_lshl_add_u32 v0, v0, 4, v3
	s_waitcnt vmcnt(0)
	v_add_u32_e32 v2, -1, v2
	v_cmp_ne_u32_e32 vcc, 17, v2
	s_and_saveexec_b64 s[4:5], vcc
	s_cbranch_execz .LBB18_130
; %bb.129:
	v_mov_b32_e32 v3, 0
	v_lshl_add_u32 v6, v2, 4, v3
	buffer_load_dword v2, v1, s[0:3], 0 offen
	buffer_load_dword v3, v1, s[0:3], 0 offen offset:4
	buffer_load_dword v4, v1, s[0:3], 0 offen offset:8
	buffer_load_dword v5, v1, s[0:3], 0 offen offset:12
	buffer_load_dword v7, v6, s[0:3], 0 offen
	buffer_load_dword v8, v6, s[0:3], 0 offen offset:4
	buffer_load_dword v9, v6, s[0:3], 0 offen offset:8
	buffer_load_dword v10, v6, s[0:3], 0 offen offset:12
	s_waitcnt vmcnt(4)
	ds_write2_b64 v0, v[2:3], v[4:5] offset1:1
	s_waitcnt vmcnt(3)
	buffer_store_dword v7, v1, s[0:3], 0 offen
	s_waitcnt vmcnt(3)
	buffer_store_dword v8, v1, s[0:3], 0 offen offset:4
	s_waitcnt vmcnt(3)
	buffer_store_dword v9, v1, s[0:3], 0 offen offset:8
	s_waitcnt vmcnt(3)
	buffer_store_dword v10, v1, s[0:3], 0 offen offset:12
	buffer_store_dword v5, v6, s[0:3], 0 offen offset:12
	buffer_store_dword v4, v6, s[0:3], 0 offen offset:8
	buffer_store_dword v3, v6, s[0:3], 0 offen offset:4
	buffer_store_dword v2, v6, s[0:3], 0 offen
.LBB18_130:
	s_or_b64 exec, exec, s[4:5]
	v_pk_mov_b32 v[2:3], s[24:25], s[24:25] op_sel:[0,1]
	flat_load_dword v2, v[2:3] offset:64
	s_waitcnt vmcnt(0) lgkmcnt(0)
	v_add_u32_e32 v2, -1, v2
	v_cmp_ne_u32_e32 vcc, 16, v2
	s_and_saveexec_b64 s[4:5], vcc
	s_cbranch_execz .LBB18_132
; %bb.131:
	v_mov_b32_e32 v3, 0
	v_lshl_add_u32 v6, v2, 4, v3
	buffer_load_dword v2, v98, s[0:3], 0 offen
	buffer_load_dword v3, v98, s[0:3], 0 offen offset:4
	buffer_load_dword v4, v98, s[0:3], 0 offen offset:8
	buffer_load_dword v5, v98, s[0:3], 0 offen offset:12
	buffer_load_dword v7, v6, s[0:3], 0 offen
	buffer_load_dword v8, v6, s[0:3], 0 offen offset:4
	buffer_load_dword v9, v6, s[0:3], 0 offen offset:8
	buffer_load_dword v10, v6, s[0:3], 0 offen offset:12
	s_waitcnt vmcnt(4)
	ds_write2_b64 v0, v[2:3], v[4:5] offset1:1
	s_waitcnt vmcnt(3)
	buffer_store_dword v7, v98, s[0:3], 0 offen
	s_waitcnt vmcnt(3)
	buffer_store_dword v8, v98, s[0:3], 0 offen offset:4
	s_waitcnt vmcnt(3)
	buffer_store_dword v9, v98, s[0:3], 0 offen offset:8
	s_waitcnt vmcnt(3)
	buffer_store_dword v10, v98, s[0:3], 0 offen offset:12
	buffer_store_dword v5, v6, s[0:3], 0 offen offset:12
	buffer_store_dword v4, v6, s[0:3], 0 offen offset:8
	buffer_store_dword v3, v6, s[0:3], 0 offen offset:4
	buffer_store_dword v2, v6, s[0:3], 0 offen
.LBB18_132:
	s_or_b64 exec, exec, s[4:5]
	v_pk_mov_b32 v[2:3], s[24:25], s[24:25] op_sel:[0,1]
	flat_load_dword v2, v[2:3] offset:60
	s_waitcnt vmcnt(0) lgkmcnt(0)
	;; [unrolled: 34-line block ×16, first 2 shown]
	v_add_u32_e32 v2, -1, v2
	v_cmp_ne_u32_e32 vcc, 1, v2
	s_and_saveexec_b64 s[4:5], vcc
	s_cbranch_execz .LBB18_162
; %bb.161:
	v_mov_b32_e32 v3, 0
	v_lshl_add_u32 v6, v2, 4, v3
	buffer_load_dword v2, v112, s[0:3], 0 offen
	buffer_load_dword v3, v112, s[0:3], 0 offen offset:4
	buffer_load_dword v4, v112, s[0:3], 0 offen offset:8
	;; [unrolled: 1-line block ×3, first 2 shown]
	buffer_load_dword v7, v6, s[0:3], 0 offen
	buffer_load_dword v8, v6, s[0:3], 0 offen offset:4
	buffer_load_dword v9, v6, s[0:3], 0 offen offset:8
	;; [unrolled: 1-line block ×3, first 2 shown]
	s_waitcnt vmcnt(4)
	ds_write2_b64 v0, v[2:3], v[4:5] offset1:1
	s_waitcnt vmcnt(3)
	buffer_store_dword v7, v112, s[0:3], 0 offen
	s_waitcnt vmcnt(3)
	buffer_store_dword v8, v112, s[0:3], 0 offen offset:4
	s_waitcnt vmcnt(3)
	buffer_store_dword v9, v112, s[0:3], 0 offen offset:8
	;; [unrolled: 2-line block ×3, first 2 shown]
	buffer_store_dword v5, v6, s[0:3], 0 offen offset:12
	buffer_store_dword v4, v6, s[0:3], 0 offen offset:8
	;; [unrolled: 1-line block ×3, first 2 shown]
	buffer_store_dword v2, v6, s[0:3], 0 offen
.LBB18_162:
	s_or_b64 exec, exec, s[4:5]
	v_pk_mov_b32 v[2:3], s[24:25], s[24:25] op_sel:[0,1]
	flat_load_dword v2, v[2:3]
	s_waitcnt vmcnt(0) lgkmcnt(0)
	v_add_u32_e32 v2, -1, v2
	v_cmp_ne_u32_e32 vcc, 0, v2
	s_and_saveexec_b64 s[4:5], vcc
	s_cbranch_execz .LBB18_164
; %bb.163:
	v_mov_b32_e32 v3, 0
	v_lshl_add_u32 v6, v2, 4, v3
	buffer_load_dword v2, off, s[0:3], 0
	buffer_load_dword v3, off, s[0:3], 0 offset:4
	buffer_load_dword v4, off, s[0:3], 0 offset:8
	;; [unrolled: 1-line block ×3, first 2 shown]
	buffer_load_dword v7, v6, s[0:3], 0 offen
	buffer_load_dword v8, v6, s[0:3], 0 offen offset:4
	buffer_load_dword v9, v6, s[0:3], 0 offen offset:8
	;; [unrolled: 1-line block ×3, first 2 shown]
	s_waitcnt vmcnt(4)
	ds_write2_b64 v0, v[2:3], v[4:5] offset1:1
	s_waitcnt vmcnt(3)
	buffer_store_dword v7, off, s[0:3], 0
	s_waitcnt vmcnt(3)
	buffer_store_dword v8, off, s[0:3], 0 offset:4
	s_waitcnt vmcnt(3)
	buffer_store_dword v9, off, s[0:3], 0 offset:8
	;; [unrolled: 2-line block ×3, first 2 shown]
	buffer_store_dword v5, v6, s[0:3], 0 offen offset:12
	buffer_store_dword v4, v6, s[0:3], 0 offen offset:8
	buffer_store_dword v3, v6, s[0:3], 0 offen offset:4
	buffer_store_dword v2, v6, s[0:3], 0 offen
.LBB18_164:
	s_or_b64 exec, exec, s[4:5]
.LBB18_165:
	buffer_load_dword v2, off, s[0:3], 0
	buffer_load_dword v3, off, s[0:3], 0 offset:4
	buffer_load_dword v4, off, s[0:3], 0 offset:8
	;; [unrolled: 1-line block ×3, first 2 shown]
	buffer_load_dword v6, v112, s[0:3], 0 offen
	buffer_load_dword v7, v112, s[0:3], 0 offen offset:4
	buffer_load_dword v8, v112, s[0:3], 0 offen offset:8
	;; [unrolled: 1-line block ×6, first 2 shown]
	buffer_load_dword v14, v113, s[0:3], 0 offen
	buffer_load_dword v15, v113, s[0:3], 0 offen offset:4
	buffer_load_dword v16, v113, s[0:3], 0 offen offset:8
	buffer_load_dword v10, v114, s[0:3], 0 offen
	buffer_load_dword v17, v113, s[0:3], 0 offen offset:12
	buffer_load_dword v19, v110, s[0:3], 0 offen offset:4
	buffer_load_dword v20, v110, s[0:3], 0 offen offset:8
	buffer_load_dword v21, v110, s[0:3], 0 offen offset:12
                                        ; kill: killed $vgpr114
                                        ; kill: killed $vgpr112
                                        ; kill: killed $vgpr113
	buffer_load_dword v22, v108, s[0:3], 0 offen
	buffer_load_dword v23, v108, s[0:3], 0 offen offset:4
	buffer_load_dword v24, v108, s[0:3], 0 offen offset:8
	buffer_load_dword v18, v110, s[0:3], 0 offen
	buffer_load_dword v25, v108, s[0:3], 0 offen offset:12
	buffer_load_dword v27, v111, s[0:3], 0 offen offset:4
	;; [unrolled: 1-line block ×4, first 2 shown]
	buffer_load_dword v68, v109, s[0:3], 0 offen
	buffer_load_dword v69, v109, s[0:3], 0 offen offset:4
	buffer_load_dword v70, v109, s[0:3], 0 offen offset:8
	buffer_load_dword v26, v111, s[0:3], 0 offen
	buffer_load_dword v71, v109, s[0:3], 0 offen offset:12
	buffer_load_dword v73, v104, s[0:3], 0 offen offset:4
	;; [unrolled: 1-line block ×3, first 2 shown]
                                        ; kill: killed $vgpr110
                                        ; kill: killed $vgpr111
                                        ; kill: killed $vgpr108
                                        ; kill: killed $vgpr109
	buffer_load_dword v75, v104, s[0:3], 0 offen offset:12
	buffer_load_dword v76, v106, s[0:3], 0 offen
	buffer_load_dword v77, v106, s[0:3], 0 offen offset:4
	buffer_load_dword v78, v106, s[0:3], 0 offen offset:8
	buffer_load_dword v72, v104, s[0:3], 0 offen
	buffer_load_dword v79, v106, s[0:3], 0 offen offset:12
	buffer_load_dword v81, v105, s[0:3], 0 offen offset:4
	;; [unrolled: 1-line block ×4, first 2 shown]
	buffer_load_dword v84, v107, s[0:3], 0 offen
	buffer_load_dword v85, v107, s[0:3], 0 offen offset:4
	buffer_load_dword v86, v107, s[0:3], 0 offen offset:8
	buffer_load_dword v80, v105, s[0:3], 0 offen
	buffer_load_dword v87, v107, s[0:3], 0 offen offset:12
	buffer_load_dword v89, v100, s[0:3], 0 offen offset:4
                                        ; kill: killed $vgpr106
                                        ; kill: killed $vgpr107
                                        ; kill: killed $vgpr104
                                        ; kill: killed $vgpr105
	buffer_load_dword v90, v100, s[0:3], 0 offen offset:8
	buffer_load_dword v91, v100, s[0:3], 0 offen offset:12
	buffer_load_dword v92, v102, s[0:3], 0 offen
	buffer_load_dword v93, v102, s[0:3], 0 offen offset:4
	buffer_load_dword v94, v102, s[0:3], 0 offen offset:8
	buffer_load_dword v88, v100, s[0:3], 0 offen
	buffer_load_dword v95, v102, s[0:3], 0 offen offset:12
	buffer_load_dword v105, v101, s[0:3], 0 offen offset:4
	;; [unrolled: 1-line block ×4, first 2 shown]
	buffer_load_dword v108, v103, s[0:3], 0 offen
	buffer_load_dword v109, v103, s[0:3], 0 offen offset:4
	buffer_load_dword v110, v103, s[0:3], 0 offen offset:8
	buffer_load_dword v104, v101, s[0:3], 0 offen
	buffer_load_dword v111, v103, s[0:3], 0 offen offset:12
                                        ; kill: killed $vgpr102
                                        ; kill: killed $vgpr103
                                        ; kill: killed $vgpr100
                                        ; kill: killed $vgpr101
	s_nop 0
	buffer_load_dword v101, v98, s[0:3], 0 offen offset:4
	buffer_load_dword v102, v98, s[0:3], 0 offen offset:8
	buffer_load_dword v103, v98, s[0:3], 0 offen offset:12
	buffer_load_dword v112, v1, s[0:3], 0 offen
	buffer_load_dword v113, v1, s[0:3], 0 offen offset:4
	buffer_load_dword v114, v1, s[0:3], 0 offen offset:8
	buffer_load_dword v100, v98, s[0:3], 0 offen
	buffer_load_dword v115, v1, s[0:3], 0 offen offset:12
	buffer_load_dword v116, v99, s[0:3], 0 offen
	buffer_load_dword v117, v99, s[0:3], 0 offen offset:4
	buffer_load_dword v118, v99, s[0:3], 0 offen offset:8
	;; [unrolled: 1-line block ×3, first 2 shown]
	s_waitcnt vmcnt(62)
	global_store_dwordx4 v[30:31], v[2:5], off
	global_store_dwordx4 v[32:33], v[6:9], off
	s_waitcnt vmcnt(62)
	global_store_dwordx4 v[34:35], v[10:13], off
	global_store_dwordx4 v[36:37], v[14:17], off
	s_waitcnt vmcnt(57)
	global_store_dwordx4 v[38:39], v[18:21], off
	s_waitcnt vmcnt(57)
	global_store_dwordx4 v[40:41], v[22:25], off
	s_waitcnt vmcnt(51)
	global_store_dwordx4 v[42:43], v[26:29], off
	s_waitcnt vmcnt(51)
	global_store_dwordx4 v[44:45], v[68:71], off
	s_waitcnt vmcnt(45)
	global_store_dwordx4 v[46:47], v[72:75], off
	s_waitcnt vmcnt(45)
	global_store_dwordx4 v[48:49], v[76:79], off
	s_waitcnt vmcnt(39)
	global_store_dwordx4 v[50:51], v[80:83], off
	s_waitcnt vmcnt(39)
	global_store_dwordx4 v[52:53], v[84:87], off
	s_waitcnt vmcnt(33)
	global_store_dwordx4 v[54:55], v[88:91], off
	s_waitcnt vmcnt(33)
	global_store_dwordx4 v[56:57], v[92:95], off
	s_waitcnt vmcnt(27)
	global_store_dwordx4 v[58:59], v[104:107], off
	s_waitcnt vmcnt(27)
	global_store_dwordx4 v[60:61], v[108:111], off
	s_waitcnt vmcnt(21)
	global_store_dwordx4 v[62:63], v[100:103], off
	s_waitcnt vmcnt(21)
	global_store_dwordx4 v[64:65], v[112:115], off
	s_waitcnt vmcnt(18)
	global_store_dwordx4 v[66:67], v[116:119], off
	s_endpgm
	.section	.rodata,"a",@progbits
	.p2align	6, 0x0
	.amdhsa_kernel _ZN9rocsolver6v33100L18getri_kernel_smallILi19E19rocblas_complex_numIdEPS3_EEvT1_iilPiilS6_bb
		.amdhsa_group_segment_fixed_size 1640
		.amdhsa_private_segment_fixed_size 320
		.amdhsa_kernarg_size 60
		.amdhsa_user_sgpr_count 10
		.amdhsa_user_sgpr_private_segment_buffer 1
		.amdhsa_user_sgpr_dispatch_ptr 1
		.amdhsa_user_sgpr_queue_ptr 0
		.amdhsa_user_sgpr_kernarg_segment_ptr 1
		.amdhsa_user_sgpr_dispatch_id 0
		.amdhsa_user_sgpr_flat_scratch_init 1
		.amdhsa_user_sgpr_kernarg_preload_length 0
		.amdhsa_user_sgpr_kernarg_preload_offset 0
		.amdhsa_user_sgpr_private_segment_size 0
		.amdhsa_uses_dynamic_stack 0
		.amdhsa_system_sgpr_private_segment_wavefront_offset 1
		.amdhsa_system_sgpr_workgroup_id_x 1
		.amdhsa_system_sgpr_workgroup_id_y 0
		.amdhsa_system_sgpr_workgroup_id_z 0
		.amdhsa_system_sgpr_workgroup_info 0
		.amdhsa_system_vgpr_workitem_id 2
		.amdhsa_next_free_vgpr 212
		.amdhsa_next_free_sgpr 28
		.amdhsa_accum_offset 212
		.amdhsa_reserve_vcc 1
		.amdhsa_reserve_flat_scratch 1
		.amdhsa_float_round_mode_32 0
		.amdhsa_float_round_mode_16_64 0
		.amdhsa_float_denorm_mode_32 3
		.amdhsa_float_denorm_mode_16_64 3
		.amdhsa_dx10_clamp 1
		.amdhsa_ieee_mode 1
		.amdhsa_fp16_overflow 0
		.amdhsa_tg_split 0
		.amdhsa_exception_fp_ieee_invalid_op 0
		.amdhsa_exception_fp_denorm_src 0
		.amdhsa_exception_fp_ieee_div_zero 0
		.amdhsa_exception_fp_ieee_overflow 0
		.amdhsa_exception_fp_ieee_underflow 0
		.amdhsa_exception_fp_ieee_inexact 0
		.amdhsa_exception_int_div_zero 0
	.end_amdhsa_kernel
	.section	.text._ZN9rocsolver6v33100L18getri_kernel_smallILi19E19rocblas_complex_numIdEPS3_EEvT1_iilPiilS6_bb,"axG",@progbits,_ZN9rocsolver6v33100L18getri_kernel_smallILi19E19rocblas_complex_numIdEPS3_EEvT1_iilPiilS6_bb,comdat
.Lfunc_end18:
	.size	_ZN9rocsolver6v33100L18getri_kernel_smallILi19E19rocblas_complex_numIdEPS3_EEvT1_iilPiilS6_bb, .Lfunc_end18-_ZN9rocsolver6v33100L18getri_kernel_smallILi19E19rocblas_complex_numIdEPS3_EEvT1_iilPiilS6_bb
                                        ; -- End function
	.section	.AMDGPU.csdata,"",@progbits
; Kernel info:
; codeLenInByte = 31648
; NumSgprs: 34
; NumVgprs: 212
; NumAgprs: 0
; TotalNumVgprs: 212
; ScratchSize: 320
; MemoryBound: 0
; FloatMode: 240
; IeeeMode: 1
; LDSByteSize: 1640 bytes/workgroup (compile time only)
; SGPRBlocks: 4
; VGPRBlocks: 26
; NumSGPRsForWavesPerEU: 34
; NumVGPRsForWavesPerEU: 212
; AccumOffset: 212
; Occupancy: 2
; WaveLimiterHint : 1
; COMPUTE_PGM_RSRC2:SCRATCH_EN: 1
; COMPUTE_PGM_RSRC2:USER_SGPR: 10
; COMPUTE_PGM_RSRC2:TRAP_HANDLER: 0
; COMPUTE_PGM_RSRC2:TGID_X_EN: 1
; COMPUTE_PGM_RSRC2:TGID_Y_EN: 0
; COMPUTE_PGM_RSRC2:TGID_Z_EN: 0
; COMPUTE_PGM_RSRC2:TIDIG_COMP_CNT: 2
; COMPUTE_PGM_RSRC3_GFX90A:ACCUM_OFFSET: 52
; COMPUTE_PGM_RSRC3_GFX90A:TG_SPLIT: 0
	.section	.text._ZN9rocsolver6v33100L18getri_kernel_smallILi20E19rocblas_complex_numIdEPS3_EEvT1_iilPiilS6_bb,"axG",@progbits,_ZN9rocsolver6v33100L18getri_kernel_smallILi20E19rocblas_complex_numIdEPS3_EEvT1_iilPiilS6_bb,comdat
	.globl	_ZN9rocsolver6v33100L18getri_kernel_smallILi20E19rocblas_complex_numIdEPS3_EEvT1_iilPiilS6_bb ; -- Begin function _ZN9rocsolver6v33100L18getri_kernel_smallILi20E19rocblas_complex_numIdEPS3_EEvT1_iilPiilS6_bb
	.p2align	8
	.type	_ZN9rocsolver6v33100L18getri_kernel_smallILi20E19rocblas_complex_numIdEPS3_EEvT1_iilPiilS6_bb,@function
_ZN9rocsolver6v33100L18getri_kernel_smallILi20E19rocblas_complex_numIdEPS3_EEvT1_iilPiilS6_bb: ; @_ZN9rocsolver6v33100L18getri_kernel_smallILi20E19rocblas_complex_numIdEPS3_EEvT1_iilPiilS6_bb
; %bb.0:
	s_add_u32 flat_scratch_lo, s8, s11
	s_addc_u32 flat_scratch_hi, s9, 0
	s_add_u32 s0, s0, s11
	v_and_b32_e32 v118, 0x3ff, v0
	s_addc_u32 s1, s1, 0
	v_cmp_gt_u32_e32 vcc, 20, v118
	s_and_saveexec_b64 s[8:9], vcc
	s_cbranch_execz .LBB19_94
; %bb.1:
	s_load_dword s28, s[6:7], 0x38
	s_load_dwordx4 s[20:23], s[6:7], 0x10
	s_load_dwordx4 s[12:15], s[6:7], 0x28
                                        ; implicit-def: $sgpr24_sgpr25
	s_waitcnt lgkmcnt(0)
	s_bitcmp1_b32 s28, 8
	s_cselect_b64 s[26:27], -1, 0
	s_ashr_i32 s11, s10, 31
	s_bfe_u32 s8, s28, 0x10008
	s_cmp_eq_u32 s8, 0
	s_cbranch_scc1 .LBB19_3
; %bb.2:
	s_load_dword s8, s[6:7], 0x20
	s_mul_i32 s9, s10, s13
	s_mul_hi_u32 s13, s10, s12
	s_mul_i32 s16, s11, s12
	s_add_i32 s13, s13, s9
	s_add_i32 s13, s13, s16
	s_mul_i32 s12, s10, s12
	s_waitcnt lgkmcnt(0)
	s_ashr_i32 s9, s8, 31
	s_lshl_b64 s[12:13], s[12:13], 2
	s_add_u32 s12, s22, s12
	s_addc_u32 s13, s23, s13
	s_lshl_b64 s[8:9], s[8:9], 2
	s_add_u32 s24, s12, s8
	s_addc_u32 s25, s13, s9
.LBB19_3:
	s_load_dwordx4 s[16:19], s[6:7], 0x0
	s_mul_i32 s6, s10, s21
	s_mul_hi_u32 s7, s10, s20
	s_add_i32 s8, s7, s6
	s_mul_i32 s9, s11, s20
	s_add_i32 s9, s8, s9
	s_mul_i32 s8, s10, s20
	s_waitcnt lgkmcnt(0)
	s_ashr_i32 s7, s18, 31
	s_lshl_b64 s[8:9], s[8:9], 4
	s_mov_b32 s6, s18
	s_add_u32 s8, s16, s8
	s_addc_u32 s9, s17, s9
	s_lshl_b64 s[6:7], s[6:7], 4
	s_add_u32 s6, s8, s6
	s_addc_u32 s7, s9, s7
	v_lshlrev_b32_e32 v12, 4, v118
	global_load_dwordx4 v[2:5], v12, s[6:7]
	s_mov_b32 s8, s19
	s_ashr_i32 s9, s19, 31
	s_add_i32 s12, s19, s19
	v_mov_b32_e32 v1, s7
	v_add_co_u32_e32 v30, vcc, s6, v12
	s_lshl_b64 s[8:9], s[8:9], 4
	v_add_u32_e32 v6, s12, v118
	v_addc_co_u32_e32 v31, vcc, 0, v1, vcc
	v_mov_b32_e32 v1, s9
	v_ashrrev_i32_e32 v7, 31, v6
	v_add_co_u32_e32 v32, vcc, s8, v30
	v_add_u32_e32 v8, s19, v6
	v_addc_co_u32_e32 v33, vcc, v31, v1, vcc
	v_lshlrev_b64 v[6:7], 4, v[6:7]
	v_mov_b32_e32 v11, s7
	v_ashrrev_i32_e32 v9, 31, v8
	v_add_co_u32_e32 v34, vcc, s6, v6
	v_add_u32_e32 v10, s19, v8
	v_addc_co_u32_e32 v35, vcc, v11, v7, vcc
	v_lshlrev_b64 v[18:19], 4, v[8:9]
	v_mov_b32_e32 v13, s7
	v_ashrrev_i32_e32 v11, 31, v10
	v_add_u32_e32 v20, s19, v10
	v_add_co_u32_e32 v36, vcc, s6, v18
	v_addc_co_u32_e32 v37, vcc, v13, v19, vcc
	v_lshlrev_b64 v[10:11], 4, v[10:11]
	v_add_u32_e32 v44, s19, v20
	v_add_co_u32_e32 v38, vcc, s6, v10
	v_add_u32_e32 v10, s19, v44
	v_add_u32_e32 v48, s19, v10
	;; [unrolled: 1-line block ×13, first 2 shown]
	v_mov_b32_e32 v22, s7
	v_ashrrev_i32_e32 v27, 31, v26
	v_addc_co_u32_e32 v39, vcc, v22, v11, vcc
	v_lshlrev_b64 v[26:27], 4, v[26:27]
	v_mov_b32_e32 v28, s7
	v_ashrrev_i32_e32 v21, 31, v20
	v_add_co_u32_e32 v40, vcc, s6, v26
	v_lshlrev_b64 v[42:43], 4, v[20:21]
	v_addc_co_u32_e32 v41, vcc, v28, v27, vcc
	v_mov_b32_e32 v45, s7
	v_add_co_u32_e32 v42, vcc, s6, v42
	v_addc_co_u32_e32 v43, vcc, v45, v43, vcc
	v_ashrrev_i32_e32 v45, 31, v44
	global_load_dwordx4 v[6:9], v[32:33], off
	global_load_dwordx4 v[14:17], v[34:35], off
	;; [unrolled: 1-line block ×5, first 2 shown]
	v_mov_b32_e32 v1, s7
	v_ashrrev_i32_e32 v11, 31, v10
	s_waitcnt vmcnt(5)
	buffer_store_dword v5, off, s[0:3], 0 offset:12
	buffer_store_dword v4, off, s[0:3], 0 offset:8
	;; [unrolled: 1-line block ×3, first 2 shown]
	v_lshlrev_b64 v[4:5], 4, v[44:45]
	v_add_co_u32_e32 v44, vcc, s6, v4
	v_addc_co_u32_e32 v45, vcc, v1, v5, vcc
	v_lshlrev_b64 v[4:5], 4, v[10:11]
	v_add_co_u32_e32 v46, vcc, s6, v4
	v_ashrrev_i32_e32 v49, 31, v48
	v_addc_co_u32_e32 v47, vcc, v1, v5, vcc
	v_lshlrev_b64 v[4:5], 4, v[48:49]
	v_add_co_u32_e32 v48, vcc, s6, v4
	v_ashrrev_i32_e32 v51, 31, v50
	;; [unrolled: 4-line block ×11, first 2 shown]
	v_addc_co_u32_e32 v67, vcc, v1, v5, vcc
	v_lshlrev_b64 v[4:5], 4, v[68:69]
	global_load_dwordx4 v[70:73], v[42:43], off
	global_load_dwordx4 v[74:77], v[44:45], off
	;; [unrolled: 1-line block ×10, first 2 shown]
	v_add_co_u32_e32 v68, vcc, s6, v4
	v_addc_co_u32_e32 v69, vcc, v1, v5, vcc
	global_load_dwordx4 v[110:113], v[62:63], off
	global_load_dwordx4 v[120:123], v[64:65], off
	;; [unrolled: 1-line block ×4, first 2 shown]
	s_bitcmp0_b32 s28, 0
	s_mov_b64 s[8:9], -1
	buffer_store_dword v2, off, s[0:3], 0
	s_waitcnt vmcnt(22)
	buffer_store_dword v9, off, s[0:3], 0 offset:28
	buffer_store_dword v8, off, s[0:3], 0 offset:24
	buffer_store_dword v7, off, s[0:3], 0 offset:20
	buffer_store_dword v6, off, s[0:3], 0 offset:16
	s_waitcnt vmcnt(25)
	buffer_store_dword v17, off, s[0:3], 0 offset:44
	buffer_store_dword v16, off, s[0:3], 0 offset:40
	buffer_store_dword v15, off, s[0:3], 0 offset:36
	buffer_store_dword v14, off, s[0:3], 0 offset:32
	;; [unrolled: 5-line block ×15, first 2 shown]
	v_mov_b32_e32 v2, 0
	v_add_u32_e32 v115, 16, v2
	v_add_u32_e32 v117, 32, v2
	v_add_u32_e32 v116, 48, v2
	v_add_u32_e32 v113, 64, v2
	v_add_u32_e32 v112, 0x50, v2
	v_add_u32_e32 v114, 0x60, v2
	v_add_u32_e32 v108, 0x70, v2
	v_add_u32_e32 v109, 0x80, v2
	v_add_u32_e32 v110, 0x90, v2
	v_add_u32_e32 v111, 0xa0, v2
	v_add_u32_e32 v105, 0xb0, v2
	v_add_u32_e32 v104, 0xc0, v2
	v_add_u32_e32 v106, 0xd0, v2
	v_add_u32_e32 v107, 0xe0, v2
	v_add_u32_e32 v1, 0xf0, v2
	v_add_u32_e32 v102, 0x100, v2
	v_add_u32_e32 v100, 0x110, v2
	v_add_u32_e32 v103, 0x120, v2
	v_add_u32_e32 v101, 0x130, v2
	s_waitcnt vmcnt(62)
	buffer_store_dword v123, off, s[0:3], 0 offset:268
	buffer_store_dword v122, off, s[0:3], 0 offset:264
	;; [unrolled: 1-line block ×8, first 2 shown]
	s_waitcnt vmcnt(62)
	buffer_store_dword v131, off, s[0:3], 0 offset:300
	buffer_store_dword v130, off, s[0:3], 0 offset:296
	;; [unrolled: 1-line block ×8, first 2 shown]
	s_cbranch_scc1 .LBB19_92
; %bb.4:
	v_cmp_eq_u32_e64 s[6:7], 0, v118
	s_and_saveexec_b64 s[8:9], s[6:7]
	s_cbranch_execz .LBB19_6
; %bb.5:
	v_mov_b32_e32 v2, 0
	ds_write_b32 v2, v2 offset:640
.LBB19_6:
	s_or_b64 exec, exec, s[8:9]
	v_mov_b32_e32 v2, 0
	v_lshl_add_u32 v13, v118, 4, v2
	s_waitcnt lgkmcnt(0)
	; wave barrier
	s_waitcnt lgkmcnt(0)
	buffer_load_dword v2, v13, s[0:3], 0 offen
	buffer_load_dword v3, v13, s[0:3], 0 offen offset:4
	buffer_load_dword v4, v13, s[0:3], 0 offen offset:8
	;; [unrolled: 1-line block ×3, first 2 shown]
	s_waitcnt vmcnt(2)
	v_cmp_eq_f64_e32 vcc, 0, v[2:3]
	s_waitcnt vmcnt(0)
	v_cmp_eq_f64_e64 s[8:9], 0, v[4:5]
	s_and_b64 s[8:9], vcc, s[8:9]
	s_and_saveexec_b64 s[12:13], s[8:9]
	s_cbranch_execz .LBB19_10
; %bb.7:
	v_mov_b32_e32 v2, 0
	ds_read_b32 v4, v2 offset:640
	v_add_u32_e32 v3, 1, v118
	s_waitcnt lgkmcnt(0)
	v_readfirstlane_b32 s8, v4
	s_cmp_eq_u32 s8, 0
	s_cselect_b64 s[16:17], -1, 0
	v_cmp_gt_i32_e32 vcc, s8, v3
	s_or_b64 s[16:17], s[16:17], vcc
	s_and_b64 exec, exec, s[16:17]
	s_cbranch_execz .LBB19_10
; %bb.8:
	s_mov_b64 s[16:17], 0
	v_mov_b32_e32 v4, s8
.LBB19_9:                               ; =>This Inner Loop Header: Depth=1
	ds_cmpst_rtn_b32 v4, v2, v4, v3 offset:640
	s_waitcnt lgkmcnt(0)
	v_cmp_ne_u32_e32 vcc, 0, v4
	v_cmp_le_i32_e64 s[8:9], v4, v3
	s_and_b64 s[8:9], vcc, s[8:9]
	s_and_b64 s[8:9], exec, s[8:9]
	s_or_b64 s[16:17], s[8:9], s[16:17]
	s_andn2_b64 exec, exec, s[16:17]
	s_cbranch_execnz .LBB19_9
.LBB19_10:
	s_or_b64 exec, exec, s[12:13]
	v_mov_b32_e32 v3, 0
	s_waitcnt lgkmcnt(0)
	; wave barrier
	ds_read_b32 v2, v3 offset:640
	s_and_saveexec_b64 s[8:9], s[6:7]
	s_cbranch_execz .LBB19_12
; %bb.11:
	s_lshl_b64 s[12:13], s[10:11], 2
	s_add_u32 s12, s14, s12
	s_addc_u32 s13, s15, s13
	s_waitcnt lgkmcnt(0)
	global_store_dword v3, v2, s[12:13]
.LBB19_12:
	s_or_b64 exec, exec, s[8:9]
	s_waitcnt lgkmcnt(0)
	v_cmp_ne_u32_e32 vcc, 0, v2
	s_mov_b64 s[8:9], 0
	s_cbranch_vccnz .LBB19_92
; %bb.13:
	buffer_load_dword v7, v13, s[0:3], 0 offen offset:4
	buffer_load_dword v6, v13, s[0:3], 0 offen
	buffer_load_dword v9, v13, s[0:3], 0 offen offset:12
	buffer_load_dword v8, v13, s[0:3], 0 offen offset:8
                                        ; implicit-def: $vgpr10_vgpr11
	s_waitcnt vmcnt(3)
	v_xor_b32_e32 v3, 0x80000000, v7
	s_waitcnt vmcnt(2)
	v_cmp_gt_f64_e32 vcc, 0, v[6:7]
	s_waitcnt vmcnt(1)
	v_xor_b32_e32 v4, 0x80000000, v9
	v_cndmask_b32_e32 v3, v7, v3, vcc
	s_waitcnt vmcnt(0)
	v_cmp_gt_f64_e32 vcc, 0, v[8:9]
	v_mov_b32_e32 v2, v6
	v_cndmask_b32_e32 v5, v9, v4, vcc
	v_mov_b32_e32 v4, v8
	v_cmp_ngt_f64_e32 vcc, v[2:3], v[4:5]
                                        ; implicit-def: $vgpr4_vgpr5
	s_and_saveexec_b64 s[8:9], vcc
	s_xor_b64 s[8:9], exec, s[8:9]
	s_cbranch_execz .LBB19_15
; %bb.14:
	v_div_scale_f64 v[2:3], s[12:13], v[8:9], v[8:9], v[6:7]
	v_rcp_f64_e32 v[4:5], v[2:3]
	v_div_scale_f64 v[10:11], vcc, v[6:7], v[8:9], v[6:7]
	v_fma_f64 v[14:15], -v[2:3], v[4:5], 1.0
	v_fmac_f64_e32 v[4:5], v[4:5], v[14:15]
	v_fma_f64 v[14:15], -v[2:3], v[4:5], 1.0
	v_fmac_f64_e32 v[4:5], v[4:5], v[14:15]
	v_mul_f64 v[14:15], v[10:11], v[4:5]
	v_fma_f64 v[2:3], -v[2:3], v[14:15], v[10:11]
	v_div_fmas_f64 v[2:3], v[2:3], v[4:5], v[14:15]
	v_div_fixup_f64 v[2:3], v[2:3], v[8:9], v[6:7]
	v_fmac_f64_e32 v[8:9], v[6:7], v[2:3]
	v_div_scale_f64 v[4:5], s[12:13], v[8:9], v[8:9], 1.0
	v_rcp_f64_e32 v[6:7], v[4:5]
	v_fma_f64 v[10:11], -v[4:5], v[6:7], 1.0
	v_fmac_f64_e32 v[6:7], v[6:7], v[10:11]
	v_fma_f64 v[10:11], -v[4:5], v[6:7], 1.0
	v_fmac_f64_e32 v[6:7], v[6:7], v[10:11]
	v_div_scale_f64 v[10:11], vcc, 1.0, v[8:9], 1.0
	v_mul_f64 v[14:15], v[10:11], v[6:7]
	v_fma_f64 v[4:5], -v[4:5], v[14:15], v[10:11]
	s_nop 1
	v_div_fmas_f64 v[4:5], v[4:5], v[6:7], v[14:15]
	v_div_fixup_f64 v[4:5], v[4:5], v[8:9], 1.0
	v_mul_f64 v[10:11], v[2:3], v[4:5]
	v_xor_b32_e32 v5, 0x80000000, v5
	v_xor_b32_e32 v3, 0x80000000, v11
	v_mov_b32_e32 v2, v10
                                        ; implicit-def: $vgpr6_vgpr7
                                        ; implicit-def: $vgpr8_vgpr9
.LBB19_15:
	s_andn2_saveexec_b64 s[8:9], s[8:9]
	s_cbranch_execz .LBB19_17
; %bb.16:
	v_div_scale_f64 v[2:3], s[12:13], v[6:7], v[6:7], v[8:9]
	v_rcp_f64_e32 v[4:5], v[2:3]
	v_div_scale_f64 v[10:11], vcc, v[8:9], v[6:7], v[8:9]
	v_fma_f64 v[14:15], -v[2:3], v[4:5], 1.0
	v_fmac_f64_e32 v[4:5], v[4:5], v[14:15]
	v_fma_f64 v[14:15], -v[2:3], v[4:5], 1.0
	v_fmac_f64_e32 v[4:5], v[4:5], v[14:15]
	v_mul_f64 v[14:15], v[10:11], v[4:5]
	v_fma_f64 v[2:3], -v[2:3], v[14:15], v[10:11]
	v_div_fmas_f64 v[2:3], v[2:3], v[4:5], v[14:15]
	v_div_fixup_f64 v[4:5], v[2:3], v[6:7], v[8:9]
	v_fmac_f64_e32 v[6:7], v[8:9], v[4:5]
	v_div_scale_f64 v[2:3], s[12:13], v[6:7], v[6:7], 1.0
	v_rcp_f64_e32 v[8:9], v[2:3]
	v_fma_f64 v[10:11], -v[2:3], v[8:9], 1.0
	v_fmac_f64_e32 v[8:9], v[8:9], v[10:11]
	v_fma_f64 v[10:11], -v[2:3], v[8:9], 1.0
	v_fmac_f64_e32 v[8:9], v[8:9], v[10:11]
	v_div_scale_f64 v[10:11], vcc, 1.0, v[6:7], 1.0
	v_mul_f64 v[14:15], v[10:11], v[8:9]
	v_fma_f64 v[2:3], -v[2:3], v[14:15], v[10:11]
	s_nop 1
	v_div_fmas_f64 v[2:3], v[2:3], v[8:9], v[14:15]
	v_div_fixup_f64 v[10:11], v[2:3], v[6:7], 1.0
	v_xor_b32_e32 v3, 0x80000000, v11
	v_mov_b32_e32 v2, v10
	v_mul_f64 v[4:5], v[4:5], -v[10:11]
.LBB19_17:
	s_or_b64 exec, exec, s[8:9]
	buffer_store_dword v11, v13, s[0:3], 0 offen offset:4
	buffer_store_dword v10, v13, s[0:3], 0 offen
	buffer_store_dword v5, v13, s[0:3], 0 offen offset:12
	buffer_store_dword v4, v13, s[0:3], 0 offen offset:8
	buffer_load_dword v11, v115, s[0:3], 0 offen offset:12
	s_nop 0
	buffer_load_dword v10, v115, s[0:3], 0 offen offset:8
	buffer_load_dword v9, v115, s[0:3], 0 offen offset:4
	buffer_load_dword v8, v115, s[0:3], 0 offen
	v_xor_b32_e32 v5, 0x80000000, v5
	v_add_u32_e32 v6, 0x140, v12
	ds_write_b128 v12, v[2:5]
	s_waitcnt vmcnt(0)
	ds_write_b128 v12, v[8:11] offset:320
	s_waitcnt lgkmcnt(0)
	; wave barrier
	s_waitcnt lgkmcnt(0)
	s_and_saveexec_b64 s[8:9], s[6:7]
	s_cbranch_execz .LBB19_19
; %bb.18:
	buffer_load_dword v14, v13, s[0:3], 0 offen offset:8
	buffer_load_dword v15, v13, s[0:3], 0 offen offset:12
	buffer_load_dword v16, v13, s[0:3], 0 offen
	buffer_load_dword v17, v13, s[0:3], 0 offen offset:4
	ds_read_b128 v[2:5], v6
	v_mov_b32_e32 v7, 0
	ds_read_b128 v[8:11], v7 offset:16
	s_waitcnt vmcnt(2) lgkmcnt(1)
	v_mul_f64 v[18:19], v[4:5], v[14:15]
	v_mul_f64 v[14:15], v[2:3], v[14:15]
	s_waitcnt vmcnt(0)
	v_fmac_f64_e32 v[14:15], v[4:5], v[16:17]
	v_fma_f64 v[2:3], v[2:3], v[16:17], -v[18:19]
	v_add_f64 v[4:5], v[14:15], 0
	v_add_f64 v[2:3], v[2:3], 0
	s_waitcnt lgkmcnt(0)
	v_mul_f64 v[14:15], v[4:5], v[10:11]
	v_mul_f64 v[10:11], v[2:3], v[10:11]
	v_fma_f64 v[2:3], v[2:3], v[8:9], -v[14:15]
	v_fmac_f64_e32 v[10:11], v[4:5], v[8:9]
	buffer_store_dword v2, off, s[0:3], 0 offset:16
	buffer_store_dword v3, off, s[0:3], 0 offset:20
	;; [unrolled: 1-line block ×4, first 2 shown]
.LBB19_19:
	s_or_b64 exec, exec, s[8:9]
	s_waitcnt lgkmcnt(0)
	; wave barrier
	buffer_load_dword v2, v117, s[0:3], 0 offen
	buffer_load_dword v3, v117, s[0:3], 0 offen offset:4
	buffer_load_dword v4, v117, s[0:3], 0 offen offset:8
	;; [unrolled: 1-line block ×3, first 2 shown]
	v_cmp_gt_u32_e32 vcc, 2, v118
	s_waitcnt vmcnt(0)
	ds_write_b128 v6, v[2:5]
	s_waitcnt lgkmcnt(0)
	; wave barrier
	s_waitcnt lgkmcnt(0)
	s_and_saveexec_b64 s[8:9], vcc
	s_cbranch_execz .LBB19_23
; %bb.20:
	buffer_load_dword v8, v13, s[0:3], 0 offen offset:8
	buffer_load_dword v9, v13, s[0:3], 0 offen offset:12
	buffer_load_dword v10, v13, s[0:3], 0 offen
	buffer_load_dword v11, v13, s[0:3], 0 offen offset:4
	ds_read_b128 v[2:5], v6
	s_waitcnt vmcnt(2) lgkmcnt(0)
	v_mul_f64 v[14:15], v[4:5], v[8:9]
	v_mul_f64 v[8:9], v[2:3], v[8:9]
	s_waitcnt vmcnt(0)
	v_fma_f64 v[2:3], v[2:3], v[10:11], -v[14:15]
	v_fmac_f64_e32 v[8:9], v[4:5], v[10:11]
	v_add_f64 v[4:5], v[2:3], 0
	v_add_f64 v[2:3], v[8:9], 0
	s_and_saveexec_b64 s[12:13], s[6:7]
	s_cbranch_execz .LBB19_22
; %bb.21:
	buffer_load_dword v14, off, s[0:3], 0 offset:24
	buffer_load_dword v15, off, s[0:3], 0 offset:28
	;; [unrolled: 1-line block ×4, first 2 shown]
	v_mov_b32_e32 v7, 0
	ds_read_b128 v[8:11], v7 offset:336
	s_waitcnt vmcnt(2) lgkmcnt(0)
	v_mul_f64 v[18:19], v[8:9], v[14:15]
	v_mul_f64 v[14:15], v[10:11], v[14:15]
	s_waitcnt vmcnt(0)
	v_fmac_f64_e32 v[18:19], v[10:11], v[16:17]
	v_fma_f64 v[8:9], v[8:9], v[16:17], -v[14:15]
	v_add_f64 v[2:3], v[2:3], v[18:19]
	v_add_f64 v[4:5], v[4:5], v[8:9]
.LBB19_22:
	s_or_b64 exec, exec, s[12:13]
	v_mov_b32_e32 v7, 0
	ds_read_b128 v[8:11], v7 offset:32
	s_waitcnt lgkmcnt(0)
	v_mul_f64 v[14:15], v[2:3], v[10:11]
	v_mul_f64 v[10:11], v[4:5], v[10:11]
	v_fma_f64 v[4:5], v[4:5], v[8:9], -v[14:15]
	v_fmac_f64_e32 v[10:11], v[2:3], v[8:9]
	buffer_store_dword v5, off, s[0:3], 0 offset:36
	buffer_store_dword v4, off, s[0:3], 0 offset:32
	;; [unrolled: 1-line block ×4, first 2 shown]
.LBB19_23:
	s_or_b64 exec, exec, s[8:9]
	s_waitcnt lgkmcnt(0)
	; wave barrier
	buffer_load_dword v2, v116, s[0:3], 0 offen
	buffer_load_dword v3, v116, s[0:3], 0 offen offset:4
	buffer_load_dword v4, v116, s[0:3], 0 offen offset:8
	;; [unrolled: 1-line block ×3, first 2 shown]
	v_cmp_gt_u32_e32 vcc, 3, v118
	v_add_u32_e32 v7, -1, v118
	s_waitcnt vmcnt(0)
	ds_write_b128 v6, v[2:5]
	s_waitcnt lgkmcnt(0)
	; wave barrier
	s_waitcnt lgkmcnt(0)
	s_and_saveexec_b64 s[6:7], vcc
	s_cbranch_execz .LBB19_27
; %bb.24:
	v_pk_mov_b32 v[2:3], 0, 0
	v_add_u32_e32 v8, -1, v118
	v_add_u32_e32 v9, 0x140, v12
	v_add_u32_e32 v10, 0, v12
	s_mov_b64 s[8:9], 0
	v_pk_mov_b32 v[4:5], v[2:3], v[2:3] op_sel:[0,1]
.LBB19_25:                              ; =>This Inner Loop Header: Depth=1
	buffer_load_dword v18, v10, s[0:3], 0 offen offset:8
	buffer_load_dword v19, v10, s[0:3], 0 offen offset:12
	buffer_load_dword v20, v10, s[0:3], 0 offen
	buffer_load_dword v21, v10, s[0:3], 0 offen offset:4
	ds_read_b128 v[14:17], v9
	v_add_u32_e32 v8, 1, v8
	v_cmp_lt_u32_e32 vcc, 1, v8
	v_add_u32_e32 v9, 16, v9
	v_add_u32_e32 v10, 16, v10
	s_or_b64 s[8:9], vcc, s[8:9]
	s_waitcnt vmcnt(2) lgkmcnt(0)
	v_mul_f64 v[22:23], v[16:17], v[18:19]
	v_mul_f64 v[18:19], v[14:15], v[18:19]
	s_waitcnt vmcnt(0)
	v_fma_f64 v[14:15], v[14:15], v[20:21], -v[22:23]
	v_fmac_f64_e32 v[18:19], v[16:17], v[20:21]
	v_add_f64 v[4:5], v[4:5], v[14:15]
	v_add_f64 v[2:3], v[2:3], v[18:19]
	s_andn2_b64 exec, exec, s[8:9]
	s_cbranch_execnz .LBB19_25
; %bb.26:
	s_or_b64 exec, exec, s[8:9]
	v_mov_b32_e32 v8, 0
	ds_read_b128 v[8:11], v8 offset:48
	s_waitcnt lgkmcnt(0)
	v_mul_f64 v[14:15], v[2:3], v[10:11]
	v_mul_f64 v[10:11], v[4:5], v[10:11]
	v_fma_f64 v[4:5], v[4:5], v[8:9], -v[14:15]
	v_fmac_f64_e32 v[10:11], v[2:3], v[8:9]
	buffer_store_dword v5, off, s[0:3], 0 offset:52
	buffer_store_dword v4, off, s[0:3], 0 offset:48
	buffer_store_dword v11, off, s[0:3], 0 offset:60
	buffer_store_dword v10, off, s[0:3], 0 offset:56
.LBB19_27:
	s_or_b64 exec, exec, s[6:7]
	s_waitcnt lgkmcnt(0)
	; wave barrier
	buffer_load_dword v2, v113, s[0:3], 0 offen
	buffer_load_dword v3, v113, s[0:3], 0 offen offset:4
	buffer_load_dword v4, v113, s[0:3], 0 offen offset:8
	buffer_load_dword v5, v113, s[0:3], 0 offen offset:12
	v_cmp_gt_u32_e32 vcc, 4, v118
	s_waitcnt vmcnt(0)
	ds_write_b128 v6, v[2:5]
	s_waitcnt lgkmcnt(0)
	; wave barrier
	s_waitcnt lgkmcnt(0)
	s_and_saveexec_b64 s[6:7], vcc
	s_cbranch_execz .LBB19_31
; %bb.28:
	v_pk_mov_b32 v[2:3], 0, 0
	v_add_u32_e32 v8, -1, v118
	v_add_u32_e32 v9, 0x140, v12
	v_add_u32_e32 v10, 0, v12
	s_mov_b64 s[8:9], 0
	v_pk_mov_b32 v[4:5], v[2:3], v[2:3] op_sel:[0,1]
.LBB19_29:                              ; =>This Inner Loop Header: Depth=1
	buffer_load_dword v18, v10, s[0:3], 0 offen offset:8
	buffer_load_dword v19, v10, s[0:3], 0 offen offset:12
	buffer_load_dword v20, v10, s[0:3], 0 offen
	buffer_load_dword v21, v10, s[0:3], 0 offen offset:4
	ds_read_b128 v[14:17], v9
	v_add_u32_e32 v8, 1, v8
	v_cmp_lt_u32_e32 vcc, 2, v8
	v_add_u32_e32 v9, 16, v9
	v_add_u32_e32 v10, 16, v10
	s_or_b64 s[8:9], vcc, s[8:9]
	s_waitcnt vmcnt(2) lgkmcnt(0)
	v_mul_f64 v[22:23], v[16:17], v[18:19]
	v_mul_f64 v[18:19], v[14:15], v[18:19]
	s_waitcnt vmcnt(0)
	v_fma_f64 v[14:15], v[14:15], v[20:21], -v[22:23]
	v_fmac_f64_e32 v[18:19], v[16:17], v[20:21]
	v_add_f64 v[4:5], v[4:5], v[14:15]
	v_add_f64 v[2:3], v[2:3], v[18:19]
	s_andn2_b64 exec, exec, s[8:9]
	s_cbranch_execnz .LBB19_29
; %bb.30:
	s_or_b64 exec, exec, s[8:9]
	v_mov_b32_e32 v8, 0
	ds_read_b128 v[8:11], v8 offset:64
	s_waitcnt lgkmcnt(0)
	v_mul_f64 v[14:15], v[2:3], v[10:11]
	v_mul_f64 v[10:11], v[4:5], v[10:11]
	v_fma_f64 v[4:5], v[4:5], v[8:9], -v[14:15]
	v_fmac_f64_e32 v[10:11], v[2:3], v[8:9]
	buffer_store_dword v5, off, s[0:3], 0 offset:68
	buffer_store_dword v4, off, s[0:3], 0 offset:64
	buffer_store_dword v11, off, s[0:3], 0 offset:76
	buffer_store_dword v10, off, s[0:3], 0 offset:72
.LBB19_31:
	s_or_b64 exec, exec, s[6:7]
	s_waitcnt lgkmcnt(0)
	; wave barrier
	buffer_load_dword v2, v112, s[0:3], 0 offen
	buffer_load_dword v3, v112, s[0:3], 0 offen offset:4
	buffer_load_dword v4, v112, s[0:3], 0 offen offset:8
	buffer_load_dword v5, v112, s[0:3], 0 offen offset:12
	v_cmp_gt_u32_e32 vcc, 5, v118
	;; [unrolled: 57-line block ×15, first 2 shown]
	s_waitcnt vmcnt(0)
	ds_write_b128 v6, v[2:5]
	s_waitcnt lgkmcnt(0)
	; wave barrier
	s_waitcnt lgkmcnt(0)
	s_and_saveexec_b64 s[6:7], vcc
	s_cbranch_execz .LBB19_87
; %bb.84:
	v_pk_mov_b32 v[2:3], 0, 0
	v_add_u32_e32 v8, -1, v118
	v_add_u32_e32 v9, 0x140, v12
	v_add_u32_e32 v10, 0, v12
	s_mov_b64 s[8:9], 0
	v_pk_mov_b32 v[4:5], v[2:3], v[2:3] op_sel:[0,1]
.LBB19_85:                              ; =>This Inner Loop Header: Depth=1
	buffer_load_dword v18, v10, s[0:3], 0 offen offset:8
	buffer_load_dword v19, v10, s[0:3], 0 offen offset:12
	buffer_load_dword v20, v10, s[0:3], 0 offen
	buffer_load_dword v21, v10, s[0:3], 0 offen offset:4
	ds_read_b128 v[14:17], v9
	v_add_u32_e32 v8, 1, v8
	v_cmp_lt_u32_e32 vcc, 16, v8
	v_add_u32_e32 v9, 16, v9
	v_add_u32_e32 v10, 16, v10
	s_or_b64 s[8:9], vcc, s[8:9]
	s_waitcnt vmcnt(2) lgkmcnt(0)
	v_mul_f64 v[22:23], v[16:17], v[18:19]
	v_mul_f64 v[18:19], v[14:15], v[18:19]
	s_waitcnt vmcnt(0)
	v_fma_f64 v[14:15], v[14:15], v[20:21], -v[22:23]
	v_fmac_f64_e32 v[18:19], v[16:17], v[20:21]
	v_add_f64 v[4:5], v[4:5], v[14:15]
	v_add_f64 v[2:3], v[2:3], v[18:19]
	s_andn2_b64 exec, exec, s[8:9]
	s_cbranch_execnz .LBB19_85
; %bb.86:
	s_or_b64 exec, exec, s[8:9]
	v_mov_b32_e32 v8, 0
	ds_read_b128 v[8:11], v8 offset:288
	s_waitcnt lgkmcnt(0)
	v_mul_f64 v[14:15], v[2:3], v[10:11]
	v_mul_f64 v[10:11], v[4:5], v[10:11]
	v_fma_f64 v[4:5], v[4:5], v[8:9], -v[14:15]
	v_fmac_f64_e32 v[10:11], v[2:3], v[8:9]
	buffer_store_dword v5, off, s[0:3], 0 offset:292
	buffer_store_dword v4, off, s[0:3], 0 offset:288
	;; [unrolled: 1-line block ×4, first 2 shown]
.LBB19_87:
	s_or_b64 exec, exec, s[6:7]
	s_waitcnt lgkmcnt(0)
	; wave barrier
	buffer_load_dword v2, v101, s[0:3], 0 offen
	buffer_load_dword v3, v101, s[0:3], 0 offen offset:4
	buffer_load_dword v4, v101, s[0:3], 0 offen offset:8
	;; [unrolled: 1-line block ×3, first 2 shown]
	v_cmp_ne_u32_e32 vcc, 19, v118
	s_waitcnt vmcnt(0)
	ds_write_b128 v6, v[2:5]
	s_waitcnt lgkmcnt(0)
	; wave barrier
	s_waitcnt lgkmcnt(0)
	s_and_saveexec_b64 s[6:7], vcc
	s_cbranch_execz .LBB19_91
; %bb.88:
	v_pk_mov_b32 v[2:3], 0, 0
	v_add_u32_e32 v6, 0x140, v12
	v_add_u32_e32 v8, 0, v12
	s_mov_b64 s[8:9], 0
	v_pk_mov_b32 v[4:5], v[2:3], v[2:3] op_sel:[0,1]
.LBB19_89:                              ; =>This Inner Loop Header: Depth=1
	buffer_load_dword v14, v8, s[0:3], 0 offen offset:8
	buffer_load_dword v15, v8, s[0:3], 0 offen offset:12
	buffer_load_dword v16, v8, s[0:3], 0 offen
	buffer_load_dword v17, v8, s[0:3], 0 offen offset:4
	ds_read_b128 v[10:13], v6
	v_add_u32_e32 v7, 1, v7
	v_cmp_lt_u32_e32 vcc, 17, v7
	v_add_u32_e32 v6, 16, v6
	v_add_u32_e32 v8, 16, v8
	s_or_b64 s[8:9], vcc, s[8:9]
	s_waitcnt vmcnt(2) lgkmcnt(0)
	v_mul_f64 v[18:19], v[12:13], v[14:15]
	v_mul_f64 v[14:15], v[10:11], v[14:15]
	s_waitcnt vmcnt(0)
	v_fma_f64 v[10:11], v[10:11], v[16:17], -v[18:19]
	v_fmac_f64_e32 v[14:15], v[12:13], v[16:17]
	v_add_f64 v[4:5], v[4:5], v[10:11]
	v_add_f64 v[2:3], v[2:3], v[14:15]
	s_andn2_b64 exec, exec, s[8:9]
	s_cbranch_execnz .LBB19_89
; %bb.90:
	s_or_b64 exec, exec, s[8:9]
	v_mov_b32_e32 v6, 0
	ds_read_b128 v[6:9], v6 offset:304
	s_waitcnt lgkmcnt(0)
	v_mul_f64 v[10:11], v[2:3], v[8:9]
	v_mul_f64 v[8:9], v[4:5], v[8:9]
	v_fma_f64 v[4:5], v[4:5], v[6:7], -v[10:11]
	v_fmac_f64_e32 v[8:9], v[2:3], v[6:7]
	buffer_store_dword v5, off, s[0:3], 0 offset:308
	buffer_store_dword v4, off, s[0:3], 0 offset:304
	buffer_store_dword v9, off, s[0:3], 0 offset:316
	buffer_store_dword v8, off, s[0:3], 0 offset:312
.LBB19_91:
	s_or_b64 exec, exec, s[6:7]
	s_mov_b64 s[8:9], -1
	s_waitcnt lgkmcnt(0)
	; wave barrier
.LBB19_92:
	s_and_b64 vcc, exec, s[8:9]
	s_cbranch_vccz .LBB19_94
; %bb.93:
	s_lshl_b64 s[6:7], s[10:11], 2
	s_add_u32 s6, s14, s6
	s_addc_u32 s7, s15, s7
	v_mov_b32_e32 v2, 0
	global_load_dword v2, v2, s[6:7]
	s_waitcnt vmcnt(0)
	v_cmp_ne_u32_e32 vcc, 0, v2
	s_cbranch_vccz .LBB19_95
.LBB19_94:
	s_endpgm
.LBB19_95:
	v_mov_b32_e32 v2, 0x140
	v_lshl_add_u32 v119, v118, 4, v2
	v_cmp_eq_u32_e32 vcc, 19, v118
	s_and_saveexec_b64 s[6:7], vcc
	s_cbranch_execz .LBB19_97
; %bb.96:
	buffer_load_dword v2, v103, s[0:3], 0 offen
	buffer_load_dword v3, v103, s[0:3], 0 offen offset:4
	buffer_load_dword v4, v103, s[0:3], 0 offen offset:8
	;; [unrolled: 1-line block ×3, first 2 shown]
	v_mov_b32_e32 v6, 0
	buffer_store_dword v6, off, s[0:3], 0 offset:288
	buffer_store_dword v6, off, s[0:3], 0 offset:292
	;; [unrolled: 1-line block ×4, first 2 shown]
	s_waitcnt vmcnt(4)
	ds_write_b128 v119, v[2:5]
.LBB19_97:
	s_or_b64 exec, exec, s[6:7]
	s_waitcnt lgkmcnt(0)
	; wave barrier
	s_waitcnt lgkmcnt(0)
	buffer_load_dword v8, off, s[0:3], 0 offset:312
	buffer_load_dword v9, off, s[0:3], 0 offset:316
	;; [unrolled: 1-line block ×8, first 2 shown]
	v_mov_b32_e32 v2, 0
	ds_read_b128 v[4:7], v2 offset:624
	v_cmp_lt_u32_e32 vcc, 17, v118
	s_waitcnt vmcnt(6) lgkmcnt(0)
	v_mul_f64 v[16:17], v[4:5], v[8:9]
	v_mul_f64 v[8:9], v[6:7], v[8:9]
	s_waitcnt vmcnt(4)
	v_fma_f64 v[4:5], v[4:5], v[10:11], -v[8:9]
	v_fmac_f64_e32 v[16:17], v[6:7], v[10:11]
	v_add_f64 v[4:5], v[4:5], 0
	v_add_f64 v[6:7], v[16:17], 0
	s_waitcnt vmcnt(2)
	v_add_f64 v[4:5], v[12:13], -v[4:5]
	s_waitcnt vmcnt(0)
	v_add_f64 v[6:7], v[14:15], -v[6:7]
	buffer_store_dword v4, off, s[0:3], 0 offset:288
	buffer_store_dword v5, off, s[0:3], 0 offset:292
	;; [unrolled: 1-line block ×4, first 2 shown]
	s_and_saveexec_b64 s[6:7], vcc
	s_cbranch_execz .LBB19_99
; %bb.98:
	buffer_load_dword v4, v100, s[0:3], 0 offen
	buffer_load_dword v5, v100, s[0:3], 0 offen offset:4
	buffer_load_dword v6, v100, s[0:3], 0 offen offset:8
	;; [unrolled: 1-line block ×3, first 2 shown]
	s_nop 0
	buffer_store_dword v2, off, s[0:3], 0 offset:272
	buffer_store_dword v2, off, s[0:3], 0 offset:276
	;; [unrolled: 1-line block ×4, first 2 shown]
	s_waitcnt vmcnt(4)
	ds_write_b128 v119, v[4:7]
.LBB19_99:
	s_or_b64 exec, exec, s[6:7]
	s_waitcnt lgkmcnt(0)
	; wave barrier
	s_waitcnt lgkmcnt(0)
	buffer_load_dword v12, off, s[0:3], 0 offset:296
	buffer_load_dword v13, off, s[0:3], 0 offset:300
	;; [unrolled: 1-line block ×12, first 2 shown]
	ds_read_b128 v[4:7], v2 offset:608
	ds_read_b128 v[8:11], v2 offset:624
	v_cmp_lt_u32_e32 vcc, 16, v118
	s_waitcnt vmcnt(10) lgkmcnt(1)
	v_mul_f64 v[2:3], v[4:5], v[12:13]
	v_mul_f64 v[12:13], v[6:7], v[12:13]
	s_waitcnt vmcnt(8) lgkmcnt(0)
	v_mul_f64 v[24:25], v[8:9], v[14:15]
	v_mul_f64 v[14:15], v[10:11], v[14:15]
	s_waitcnt vmcnt(6)
	v_fma_f64 v[4:5], v[4:5], v[16:17], -v[12:13]
	v_fmac_f64_e32 v[2:3], v[6:7], v[16:17]
	s_waitcnt vmcnt(4)
	v_fma_f64 v[6:7], v[8:9], v[18:19], -v[14:15]
	v_add_f64 v[4:5], v[4:5], 0
	v_fmac_f64_e32 v[24:25], v[10:11], v[18:19]
	v_add_f64 v[2:3], v[2:3], 0
	v_add_f64 v[4:5], v[4:5], v[6:7]
	;; [unrolled: 1-line block ×3, first 2 shown]
	s_waitcnt vmcnt(2)
	v_add_f64 v[4:5], v[20:21], -v[4:5]
	s_waitcnt vmcnt(0)
	v_add_f64 v[2:3], v[22:23], -v[2:3]
	buffer_store_dword v4, off, s[0:3], 0 offset:272
	buffer_store_dword v5, off, s[0:3], 0 offset:276
	buffer_store_dword v2, off, s[0:3], 0 offset:280
	buffer_store_dword v3, off, s[0:3], 0 offset:284
	s_and_saveexec_b64 s[6:7], vcc
	s_cbranch_execz .LBB19_101
; %bb.100:
	buffer_load_dword v2, v102, s[0:3], 0 offen
	buffer_load_dword v3, v102, s[0:3], 0 offen offset:4
	buffer_load_dword v4, v102, s[0:3], 0 offen offset:8
	;; [unrolled: 1-line block ×3, first 2 shown]
	v_mov_b32_e32 v6, 0
	buffer_store_dword v6, off, s[0:3], 0 offset:256
	buffer_store_dword v6, off, s[0:3], 0 offset:260
	;; [unrolled: 1-line block ×4, first 2 shown]
	s_waitcnt vmcnt(4)
	ds_write_b128 v119, v[2:5]
.LBB19_101:
	s_or_b64 exec, exec, s[6:7]
	s_waitcnt lgkmcnt(0)
	; wave barrier
	s_waitcnt lgkmcnt(0)
	buffer_load_dword v16, off, s[0:3], 0 offset:280
	buffer_load_dword v17, off, s[0:3], 0 offset:284
	;; [unrolled: 1-line block ×16, first 2 shown]
	v_mov_b32_e32 v2, 0
	ds_read_b128 v[4:7], v2 offset:592
	ds_read_b128 v[8:11], v2 offset:608
	;; [unrolled: 1-line block ×3, first 2 shown]
	v_cmp_lt_u32_e32 vcc, 15, v118
	s_waitcnt vmcnt(14) lgkmcnt(2)
	v_mul_f64 v[72:73], v[4:5], v[16:17]
	v_mul_f64 v[16:17], v[6:7], v[16:17]
	s_waitcnt vmcnt(12) lgkmcnt(1)
	v_mul_f64 v[74:75], v[8:9], v[18:19]
	v_mul_f64 v[18:19], v[10:11], v[18:19]
	;; [unrolled: 3-line block ×3, first 2 shown]
	s_waitcnt vmcnt(8)
	v_fma_f64 v[4:5], v[4:5], v[22:23], -v[16:17]
	v_fmac_f64_e32 v[72:73], v[6:7], v[22:23]
	s_waitcnt vmcnt(6)
	v_fma_f64 v[6:7], v[8:9], v[24:25], -v[18:19]
	v_add_f64 v[4:5], v[4:5], 0
	v_fmac_f64_e32 v[74:75], v[10:11], v[24:25]
	s_waitcnt vmcnt(4)
	v_fma_f64 v[8:9], v[12:13], v[26:27], -v[20:21]
	v_add_f64 v[10:11], v[72:73], 0
	v_add_f64 v[4:5], v[4:5], v[6:7]
	v_fmac_f64_e32 v[76:77], v[14:15], v[26:27]
	v_add_f64 v[10:11], v[10:11], v[74:75]
	v_add_f64 v[4:5], v[4:5], v[8:9]
	;; [unrolled: 1-line block ×3, first 2 shown]
	s_waitcnt vmcnt(2)
	v_add_f64 v[4:5], v[28:29], -v[4:5]
	s_waitcnt vmcnt(0)
	v_add_f64 v[6:7], v[70:71], -v[6:7]
	buffer_store_dword v4, off, s[0:3], 0 offset:256
	buffer_store_dword v5, off, s[0:3], 0 offset:260
	;; [unrolled: 1-line block ×4, first 2 shown]
	s_and_saveexec_b64 s[6:7], vcc
	s_cbranch_execz .LBB19_103
; %bb.102:
	buffer_load_dword v4, v1, s[0:3], 0 offen
	buffer_load_dword v5, v1, s[0:3], 0 offen offset:4
	buffer_load_dword v6, v1, s[0:3], 0 offen offset:8
	;; [unrolled: 1-line block ×3, first 2 shown]
	s_nop 0
	buffer_store_dword v2, off, s[0:3], 0 offset:240
	buffer_store_dword v2, off, s[0:3], 0 offset:244
	;; [unrolled: 1-line block ×4, first 2 shown]
	s_waitcnt vmcnt(4)
	ds_write_b128 v119, v[4:7]
.LBB19_103:
	s_or_b64 exec, exec, s[6:7]
	s_waitcnt lgkmcnt(0)
	; wave barrier
	s_waitcnt lgkmcnt(0)
	buffer_load_dword v20, off, s[0:3], 0 offset:264
	buffer_load_dword v21, off, s[0:3], 0 offset:268
	;; [unrolled: 1-line block ×20, first 2 shown]
	ds_read_b128 v[4:7], v2 offset:576
	ds_read_b128 v[8:11], v2 offset:592
	ds_read_b128 v[12:15], v2 offset:608
	ds_read_b128 v[16:19], v2 offset:624
	v_cmp_lt_u32_e32 vcc, 14, v118
	s_waitcnt vmcnt(18) lgkmcnt(3)
	v_mul_f64 v[2:3], v[4:5], v[20:21]
	v_mul_f64 v[20:21], v[6:7], v[20:21]
	s_waitcnt vmcnt(16) lgkmcnt(2)
	v_mul_f64 v[80:81], v[8:9], v[22:23]
	v_mul_f64 v[22:23], v[10:11], v[22:23]
	;; [unrolled: 3-line block ×4, first 2 shown]
	s_waitcnt vmcnt(10)
	v_fma_f64 v[4:5], v[4:5], v[28:29], -v[20:21]
	v_fmac_f64_e32 v[2:3], v[6:7], v[28:29]
	s_waitcnt vmcnt(8)
	v_fma_f64 v[6:7], v[8:9], v[70:71], -v[22:23]
	v_add_f64 v[4:5], v[4:5], 0
	v_fmac_f64_e32 v[80:81], v[10:11], v[70:71]
	s_waitcnt vmcnt(6)
	v_fma_f64 v[8:9], v[12:13], v[72:73], -v[24:25]
	v_add_f64 v[2:3], v[2:3], 0
	v_add_f64 v[4:5], v[4:5], v[6:7]
	v_fmac_f64_e32 v[82:83], v[14:15], v[72:73]
	s_waitcnt vmcnt(4)
	v_fma_f64 v[10:11], v[16:17], v[74:75], -v[26:27]
	v_add_f64 v[2:3], v[2:3], v[80:81]
	v_add_f64 v[4:5], v[4:5], v[8:9]
	v_fmac_f64_e32 v[84:85], v[18:19], v[74:75]
	v_add_f64 v[2:3], v[2:3], v[82:83]
	v_add_f64 v[4:5], v[4:5], v[10:11]
	;; [unrolled: 1-line block ×3, first 2 shown]
	s_waitcnt vmcnt(2)
	v_add_f64 v[4:5], v[76:77], -v[4:5]
	s_waitcnt vmcnt(0)
	v_add_f64 v[2:3], v[78:79], -v[2:3]
	buffer_store_dword v4, off, s[0:3], 0 offset:240
	buffer_store_dword v5, off, s[0:3], 0 offset:244
	buffer_store_dword v2, off, s[0:3], 0 offset:248
	buffer_store_dword v3, off, s[0:3], 0 offset:252
	s_and_saveexec_b64 s[6:7], vcc
	s_cbranch_execz .LBB19_105
; %bb.104:
	buffer_load_dword v2, v107, s[0:3], 0 offen
	buffer_load_dword v3, v107, s[0:3], 0 offen offset:4
	buffer_load_dword v4, v107, s[0:3], 0 offen offset:8
	;; [unrolled: 1-line block ×3, first 2 shown]
	v_mov_b32_e32 v6, 0
	buffer_store_dword v6, off, s[0:3], 0 offset:224
	buffer_store_dword v6, off, s[0:3], 0 offset:228
	;; [unrolled: 1-line block ×4, first 2 shown]
	s_waitcnt vmcnt(4)
	ds_write_b128 v119, v[2:5]
.LBB19_105:
	s_or_b64 exec, exec, s[6:7]
	s_waitcnt lgkmcnt(0)
	; wave barrier
	s_waitcnt lgkmcnt(0)
	buffer_load_dword v24, off, s[0:3], 0 offset:248
	buffer_load_dword v25, off, s[0:3], 0 offset:252
	;; [unrolled: 1-line block ×24, first 2 shown]
	v_mov_b32_e32 v2, 0
	ds_read_b128 v[4:7], v2 offset:560
	ds_read_b128 v[8:11], v2 offset:576
	ds_read_b128 v[12:15], v2 offset:592
	ds_read_b128 v[16:19], v2 offset:608
	ds_read_b128 v[20:23], v2 offset:624
	v_cmp_lt_u32_e32 vcc, 13, v118
	s_waitcnt vmcnt(22) lgkmcnt(4)
	v_mul_f64 v[88:89], v[4:5], v[24:25]
	v_mul_f64 v[24:25], v[6:7], v[24:25]
	s_waitcnt vmcnt(20) lgkmcnt(3)
	v_mul_f64 v[90:91], v[8:9], v[26:27]
	v_mul_f64 v[26:27], v[10:11], v[26:27]
	;; [unrolled: 3-line block ×4, first 2 shown]
	s_waitcnt vmcnt(13) lgkmcnt(0)
	v_mul_f64 v[96:97], v[20:21], v[70:71]
	s_waitcnt vmcnt(11)
	v_fma_f64 v[4:5], v[4:5], v[76:77], -v[24:25]
	v_fmac_f64_e32 v[88:89], v[6:7], v[76:77]
	s_waitcnt vmcnt(9)
	v_fma_f64 v[6:7], v[8:9], v[78:79], -v[26:27]
	v_add_f64 v[4:5], v[4:5], 0
	v_fmac_f64_e32 v[90:91], v[10:11], v[78:79]
	s_waitcnt vmcnt(7)
	v_fmac_f64_e32 v[92:93], v[14:15], v[80:81]
	v_fma_f64 v[8:9], v[12:13], v[80:81], -v[28:29]
	v_add_f64 v[14:15], v[88:89], 0
	v_add_f64 v[4:5], v[4:5], v[6:7]
	v_mul_f64 v[70:71], v[22:23], v[70:71]
	s_waitcnt vmcnt(5)
	v_fma_f64 v[10:11], v[16:17], v[82:83], -v[74:75]
	v_add_f64 v[14:15], v[14:15], v[90:91]
	v_add_f64 v[4:5], v[4:5], v[8:9]
	v_fmac_f64_e32 v[94:95], v[18:19], v[82:83]
	s_waitcnt vmcnt(4)
	v_fma_f64 v[12:13], v[20:21], v[72:73], -v[70:71]
	v_add_f64 v[6:7], v[14:15], v[92:93]
	v_add_f64 v[4:5], v[4:5], v[10:11]
	v_fmac_f64_e32 v[96:97], v[22:23], v[72:73]
	v_add_f64 v[6:7], v[6:7], v[94:95]
	v_add_f64 v[4:5], v[4:5], v[12:13]
	;; [unrolled: 1-line block ×3, first 2 shown]
	s_waitcnt vmcnt(2)
	v_add_f64 v[4:5], v[84:85], -v[4:5]
	s_waitcnt vmcnt(0)
	v_add_f64 v[6:7], v[86:87], -v[6:7]
	buffer_store_dword v5, off, s[0:3], 0 offset:228
	buffer_store_dword v4, off, s[0:3], 0 offset:224
	;; [unrolled: 1-line block ×4, first 2 shown]
	s_and_saveexec_b64 s[6:7], vcc
	s_cbranch_execz .LBB19_107
; %bb.106:
	buffer_load_dword v4, v106, s[0:3], 0 offen
	buffer_load_dword v5, v106, s[0:3], 0 offen offset:4
	buffer_load_dword v6, v106, s[0:3], 0 offen offset:8
	;; [unrolled: 1-line block ×3, first 2 shown]
	s_nop 0
	buffer_store_dword v2, off, s[0:3], 0 offset:208
	buffer_store_dword v2, off, s[0:3], 0 offset:212
	;; [unrolled: 1-line block ×4, first 2 shown]
	s_waitcnt vmcnt(4)
	ds_write_b128 v119, v[4:7]
.LBB19_107:
	s_or_b64 exec, exec, s[6:7]
	s_waitcnt lgkmcnt(0)
	; wave barrier
	s_waitcnt lgkmcnt(0)
	buffer_load_dword v28, off, s[0:3], 0 offset:232
	buffer_load_dword v29, off, s[0:3], 0 offset:236
	;; [unrolled: 1-line block ×28, first 2 shown]
	ds_read_b128 v[4:7], v2 offset:544
	ds_read_b128 v[8:11], v2 offset:560
	;; [unrolled: 1-line block ×6, first 2 shown]
	v_cmp_lt_u32_e32 vcc, 12, v118
	s_waitcnt vmcnt(26) lgkmcnt(5)
	v_mul_f64 v[2:3], v[4:5], v[28:29]
	v_mul_f64 v[28:29], v[6:7], v[28:29]
	s_waitcnt vmcnt(24) lgkmcnt(4)
	v_mul_f64 v[96:97], v[8:9], v[70:71]
	v_mul_f64 v[70:71], v[10:11], v[70:71]
	;; [unrolled: 3-line block ×4, first 2 shown]
	s_waitcnt vmcnt(17)
	v_mul_f64 v[120:121], v[16:17], v[78:79]
	v_mul_f64 v[78:79], v[18:19], v[78:79]
	s_waitcnt vmcnt(15) lgkmcnt(0)
	v_mul_f64 v[124:125], v[24:25], v[80:81]
	v_mul_f64 v[80:81], v[26:27], v[80:81]
	s_waitcnt vmcnt(14)
	v_fmac_f64_e32 v[122:123], v[22:23], v[76:77]
	s_waitcnt vmcnt(12)
	v_fma_f64 v[4:5], v[4:5], v[82:83], -v[28:29]
	v_fmac_f64_e32 v[2:3], v[6:7], v[82:83]
	s_waitcnt vmcnt(10)
	v_fma_f64 v[6:7], v[8:9], v[84:85], -v[70:71]
	v_add_f64 v[4:5], v[4:5], 0
	v_fmac_f64_e32 v[96:97], v[10:11], v[84:85]
	s_waitcnt vmcnt(8)
	v_fma_f64 v[8:9], v[12:13], v[86:87], -v[72:73]
	v_add_f64 v[2:3], v[2:3], 0
	v_add_f64 v[4:5], v[4:5], v[6:7]
	v_fmac_f64_e32 v[98:99], v[14:15], v[86:87]
	s_waitcnt vmcnt(6)
	v_fma_f64 v[10:11], v[16:17], v[88:89], -v[78:79]
	v_add_f64 v[2:3], v[2:3], v[96:97]
	v_add_f64 v[4:5], v[4:5], v[8:9]
	v_fmac_f64_e32 v[120:121], v[18:19], v[88:89]
	v_fma_f64 v[12:13], v[20:21], v[76:77], -v[74:75]
	v_add_f64 v[2:3], v[2:3], v[98:99]
	v_add_f64 v[4:5], v[4:5], v[10:11]
	s_waitcnt vmcnt(4)
	v_fma_f64 v[14:15], v[24:25], v[90:91], -v[80:81]
	v_add_f64 v[2:3], v[2:3], v[120:121]
	v_add_f64 v[4:5], v[4:5], v[12:13]
	v_fmac_f64_e32 v[124:125], v[26:27], v[90:91]
	v_add_f64 v[2:3], v[2:3], v[122:123]
	v_add_f64 v[4:5], v[4:5], v[14:15]
	;; [unrolled: 1-line block ×3, first 2 shown]
	s_waitcnt vmcnt(2)
	v_add_f64 v[4:5], v[92:93], -v[4:5]
	s_waitcnt vmcnt(0)
	v_add_f64 v[2:3], v[94:95], -v[2:3]
	buffer_store_dword v5, off, s[0:3], 0 offset:212
	buffer_store_dword v4, off, s[0:3], 0 offset:208
	;; [unrolled: 1-line block ×4, first 2 shown]
	s_and_saveexec_b64 s[6:7], vcc
	s_cbranch_execz .LBB19_109
; %bb.108:
	buffer_load_dword v2, v104, s[0:3], 0 offen
	buffer_load_dword v3, v104, s[0:3], 0 offen offset:4
	buffer_load_dword v4, v104, s[0:3], 0 offen offset:8
	;; [unrolled: 1-line block ×3, first 2 shown]
	v_mov_b32_e32 v6, 0
	buffer_store_dword v6, off, s[0:3], 0 offset:192
	buffer_store_dword v6, off, s[0:3], 0 offset:196
	;; [unrolled: 1-line block ×4, first 2 shown]
	s_waitcnt vmcnt(4)
	ds_write_b128 v119, v[2:5]
.LBB19_109:
	s_or_b64 exec, exec, s[6:7]
	s_waitcnt lgkmcnt(0)
	; wave barrier
	s_waitcnt lgkmcnt(0)
	buffer_load_dword v28, off, s[0:3], 0 offset:216
	buffer_load_dword v29, off, s[0:3], 0 offset:220
	;; [unrolled: 1-line block ×32, first 2 shown]
	v_mov_b32_e32 v2, 0
	ds_read_b128 v[4:7], v2 offset:528
	ds_read_b128 v[8:11], v2 offset:544
	;; [unrolled: 1-line block ×7, first 2 shown]
	v_cmp_lt_u32_e32 vcc, 11, v118
	s_waitcnt vmcnt(30) lgkmcnt(6)
	v_mul_f64 v[124:125], v[4:5], v[28:29]
	v_mul_f64 v[28:29], v[6:7], v[28:29]
	s_waitcnt vmcnt(28) lgkmcnt(5)
	v_mul_f64 v[126:127], v[8:9], v[74:75]
	v_mul_f64 v[74:75], v[10:11], v[74:75]
	;; [unrolled: 3-line block ×4, first 2 shown]
	s_waitcnt vmcnt(21)
	v_mul_f64 v[130:131], v[16:17], v[82:83]
	v_mul_f64 v[82:83], v[18:19], v[82:83]
	s_waitcnt vmcnt(17) lgkmcnt(1)
	v_mul_f64 v[134:135], v[24:25], v[88:89]
	v_mul_f64 v[88:89], v[26:27], v[88:89]
	s_waitcnt vmcnt(16) lgkmcnt(0)
	v_mul_f64 v[136:137], v[70:71], v[84:85]
	v_mul_f64 v[84:85], v[72:73], v[84:85]
	s_waitcnt vmcnt(13)
	v_fma_f64 v[4:5], v[4:5], v[90:91], -v[28:29]
	v_fmac_f64_e32 v[124:125], v[6:7], v[90:91]
	s_waitcnt vmcnt(11)
	v_fma_f64 v[6:7], v[8:9], v[92:93], -v[74:75]
	v_add_f64 v[4:5], v[4:5], 0
	v_fmac_f64_e32 v[126:127], v[10:11], v[92:93]
	s_waitcnt vmcnt(9)
	v_fma_f64 v[8:9], v[12:13], v[94:95], -v[76:77]
	s_waitcnt vmcnt(7)
	v_fmac_f64_e32 v[130:131], v[18:19], v[96:97]
	v_add_f64 v[18:19], v[124:125], 0
	v_add_f64 v[4:5], v[4:5], v[6:7]
	v_fmac_f64_e32 v[128:129], v[14:15], v[94:95]
	v_fma_f64 v[10:11], v[16:17], v[96:97], -v[82:83]
	v_add_f64 v[18:19], v[18:19], v[126:127]
	v_add_f64 v[4:5], v[4:5], v[8:9]
	v_fma_f64 v[12:13], v[20:21], v[80:81], -v[78:79]
	v_add_f64 v[6:7], v[18:19], v[128:129]
	v_add_f64 v[4:5], v[4:5], v[10:11]
	v_fmac_f64_e32 v[132:133], v[22:23], v[80:81]
	s_waitcnt vmcnt(5)
	v_fma_f64 v[14:15], v[24:25], v[98:99], -v[88:89]
	v_add_f64 v[6:7], v[6:7], v[130:131]
	v_add_f64 v[4:5], v[4:5], v[12:13]
	v_fmac_f64_e32 v[134:135], v[26:27], v[98:99]
	s_waitcnt vmcnt(4)
	v_fma_f64 v[16:17], v[70:71], v[86:87], -v[84:85]
	v_add_f64 v[6:7], v[6:7], v[132:133]
	v_add_f64 v[4:5], v[4:5], v[14:15]
	v_fmac_f64_e32 v[136:137], v[72:73], v[86:87]
	v_add_f64 v[6:7], v[6:7], v[134:135]
	v_add_f64 v[4:5], v[4:5], v[16:17]
	;; [unrolled: 1-line block ×3, first 2 shown]
	s_waitcnt vmcnt(2)
	v_add_f64 v[4:5], v[120:121], -v[4:5]
	s_waitcnt vmcnt(0)
	v_add_f64 v[6:7], v[122:123], -v[6:7]
	buffer_store_dword v5, off, s[0:3], 0 offset:196
	buffer_store_dword v4, off, s[0:3], 0 offset:192
	;; [unrolled: 1-line block ×4, first 2 shown]
	s_and_saveexec_b64 s[6:7], vcc
	s_cbranch_execz .LBB19_111
; %bb.110:
	buffer_load_dword v4, v105, s[0:3], 0 offen
	buffer_load_dword v5, v105, s[0:3], 0 offen offset:4
	buffer_load_dword v6, v105, s[0:3], 0 offen offset:8
	;; [unrolled: 1-line block ×3, first 2 shown]
	s_nop 0
	buffer_store_dword v2, off, s[0:3], 0 offset:176
	buffer_store_dword v2, off, s[0:3], 0 offset:180
	;; [unrolled: 1-line block ×4, first 2 shown]
	s_waitcnt vmcnt(4)
	ds_write_b128 v119, v[4:7]
.LBB19_111:
	s_or_b64 exec, exec, s[6:7]
	s_waitcnt lgkmcnt(0)
	; wave barrier
	s_waitcnt lgkmcnt(0)
	buffer_load_dword v28, off, s[0:3], 0 offset:200
	buffer_load_dword v29, off, s[0:3], 0 offset:204
	;; [unrolled: 1-line block ×36, first 2 shown]
	ds_read_b128 v[4:7], v2 offset:512
	ds_read_b128 v[8:11], v2 offset:528
	;; [unrolled: 1-line block ×8, first 2 shown]
	v_cmp_lt_u32_e32 vcc, 10, v118
	s_waitcnt vmcnt(34) lgkmcnt(7)
	v_mul_f64 v[2:3], v[4:5], v[28:29]
	v_mul_f64 v[28:29], v[6:7], v[28:29]
	s_waitcnt vmcnt(32) lgkmcnt(6)
	v_mul_f64 v[132:133], v[8:9], v[78:79]
	v_mul_f64 v[78:79], v[10:11], v[78:79]
	;; [unrolled: 3-line block ×4, first 2 shown]
	s_waitcnt vmcnt(25)
	v_mul_f64 v[136:137], v[16:17], v[86:87]
	v_mul_f64 v[86:87], v[18:19], v[86:87]
	s_waitcnt vmcnt(23) lgkmcnt(1)
	v_mul_f64 v[142:143], v[70:71], v[88:89]
	v_mul_f64 v[88:89], v[72:73], v[88:89]
	s_waitcnt vmcnt(20)
	v_mul_f64 v[140:141], v[24:25], v[92:93]
	v_mul_f64 v[92:93], v[26:27], v[92:93]
	s_waitcnt vmcnt(18) lgkmcnt(0)
	v_mul_f64 v[144:145], v[74:75], v[94:95]
	s_waitcnt vmcnt(17)
	v_fmac_f64_e32 v[138:139], v[22:23], v[84:85]
	s_waitcnt vmcnt(16)
	v_fmac_f64_e32 v[142:143], v[72:73], v[90:91]
	s_waitcnt vmcnt(14)
	v_fma_f64 v[4:5], v[4:5], v[96:97], -v[28:29]
	v_fmac_f64_e32 v[2:3], v[6:7], v[96:97]
	s_waitcnt vmcnt(12)
	v_fma_f64 v[6:7], v[8:9], v[98:99], -v[78:79]
	v_add_f64 v[4:5], v[4:5], 0
	v_fmac_f64_e32 v[132:133], v[10:11], v[98:99]
	s_waitcnt vmcnt(10)
	v_fma_f64 v[8:9], v[12:13], v[120:121], -v[80:81]
	v_add_f64 v[2:3], v[2:3], 0
	v_add_f64 v[4:5], v[4:5], v[6:7]
	v_fmac_f64_e32 v[134:135], v[14:15], v[120:121]
	s_waitcnt vmcnt(8)
	v_fma_f64 v[10:11], v[16:17], v[122:123], -v[86:87]
	v_add_f64 v[2:3], v[2:3], v[132:133]
	v_add_f64 v[4:5], v[4:5], v[8:9]
	v_fmac_f64_e32 v[136:137], v[18:19], v[122:123]
	v_fma_f64 v[12:13], v[20:21], v[84:85], -v[82:83]
	v_add_f64 v[2:3], v[2:3], v[134:135]
	v_add_f64 v[4:5], v[4:5], v[10:11]
	s_waitcnt vmcnt(6)
	v_fma_f64 v[14:15], v[24:25], v[124:125], -v[92:93]
	v_add_f64 v[2:3], v[2:3], v[136:137]
	v_add_f64 v[4:5], v[4:5], v[12:13]
	v_fmac_f64_e32 v[140:141], v[26:27], v[124:125]
	v_fma_f64 v[16:17], v[70:71], v[90:91], -v[88:89]
	v_add_f64 v[2:3], v[2:3], v[138:139]
	v_add_f64 v[4:5], v[4:5], v[14:15]
	v_mul_f64 v[6:7], v[76:77], v[94:95]
	v_add_f64 v[2:3], v[2:3], v[140:141]
	v_add_f64 v[4:5], v[4:5], v[16:17]
	s_waitcnt vmcnt(4)
	v_fma_f64 v[6:7], v[74:75], v[126:127], -v[6:7]
	v_fmac_f64_e32 v[144:145], v[76:77], v[126:127]
	v_add_f64 v[2:3], v[2:3], v[142:143]
	v_add_f64 v[4:5], v[4:5], v[6:7]
	;; [unrolled: 1-line block ×3, first 2 shown]
	s_waitcnt vmcnt(2)
	v_add_f64 v[4:5], v[128:129], -v[4:5]
	s_waitcnt vmcnt(0)
	v_add_f64 v[2:3], v[130:131], -v[2:3]
	buffer_store_dword v5, off, s[0:3], 0 offset:180
	buffer_store_dword v4, off, s[0:3], 0 offset:176
	;; [unrolled: 1-line block ×4, first 2 shown]
	s_and_saveexec_b64 s[6:7], vcc
	s_cbranch_execz .LBB19_113
; %bb.112:
	buffer_load_dword v2, v111, s[0:3], 0 offen
	buffer_load_dword v3, v111, s[0:3], 0 offen offset:4
	buffer_load_dword v4, v111, s[0:3], 0 offen offset:8
	;; [unrolled: 1-line block ×3, first 2 shown]
	v_mov_b32_e32 v6, 0
	buffer_store_dword v6, off, s[0:3], 0 offset:160
	buffer_store_dword v6, off, s[0:3], 0 offset:164
	;; [unrolled: 1-line block ×4, first 2 shown]
	s_waitcnt vmcnt(4)
	ds_write_b128 v119, v[2:5]
.LBB19_113:
	s_or_b64 exec, exec, s[6:7]
	s_waitcnt lgkmcnt(0)
	; wave barrier
	s_waitcnt lgkmcnt(0)
	buffer_load_dword v28, off, s[0:3], 0 offset:184
	buffer_load_dword v29, off, s[0:3], 0 offset:188
	;; [unrolled: 1-line block ×40, first 2 shown]
	v_mov_b32_e32 v6, 0
	ds_read_b128 v[2:5], v6 offset:496
	ds_read_b128 v[8:11], v6 offset:512
	;; [unrolled: 1-line block ×9, first 2 shown]
	v_cmp_lt_u32_e32 vcc, 9, v118
	s_waitcnt vmcnt(38) lgkmcnt(8)
	v_mul_f64 v[140:141], v[2:3], v[28:29]
	v_mul_f64 v[28:29], v[4:5], v[28:29]
	s_waitcnt vmcnt(36) lgkmcnt(7)
	v_mul_f64 v[142:143], v[8:9], v[82:83]
	v_mul_f64 v[82:83], v[10:11], v[82:83]
	s_waitcnt vmcnt(34) lgkmcnt(6)
	v_mul_f64 v[144:145], v[12:13], v[84:85]
	v_mul_f64 v[84:85], v[14:15], v[84:85]
	s_waitcnt vmcnt(32) lgkmcnt(4)
	v_mul_f64 v[148:149], v[20:21], v[86:87]
	s_waitcnt vmcnt(30)
	v_fmac_f64_e32 v[148:149], v[22:23], v[88:89]
	s_waitcnt vmcnt(28)
	v_mul_f64 v[146:147], v[16:17], v[90:91]
	v_mul_f64 v[90:91], v[18:19], v[90:91]
	s_waitcnt vmcnt(26) lgkmcnt(2)
	v_mul_f64 v[152:153], v[70:71], v[92:93]
	s_waitcnt vmcnt(24)
	v_fmac_f64_e32 v[152:153], v[72:73], v[94:95]
	s_waitcnt vmcnt(22)
	v_mul_f64 v[150:151], v[24:25], v[96:97]
	s_waitcnt vmcnt(18) lgkmcnt(1)
	v_mul_f64 v[154:155], v[74:75], v[122:123]
	s_waitcnt vmcnt(17) lgkmcnt(0)
	v_mul_f64 v[156:157], v[78:79], v[98:99]
	s_waitcnt vmcnt(15)
	v_fma_f64 v[2:3], v[2:3], v[124:125], -v[28:29]
	v_fmac_f64_e32 v[140:141], v[4:5], v[124:125]
	s_waitcnt vmcnt(13)
	v_fma_f64 v[4:5], v[8:9], v[126:127], -v[82:83]
	v_add_f64 v[2:3], v[2:3], 0
	s_waitcnt vmcnt(11)
	v_fma_f64 v[8:9], v[12:13], v[128:129], -v[84:85]
	v_add_f64 v[2:3], v[2:3], v[4:5]
	v_fmac_f64_e32 v[142:143], v[10:11], v[126:127]
	s_waitcnt vmcnt(9)
	v_fma_f64 v[10:11], v[16:17], v[130:131], -v[90:91]
	v_add_f64 v[2:3], v[2:3], v[8:9]
	v_mul_f64 v[8:9], v[22:23], v[86:87]
	v_add_f64 v[2:3], v[2:3], v[10:11]
	v_fma_f64 v[8:9], v[20:21], v[88:89], -v[8:9]
	v_add_f64 v[2:3], v[2:3], v[8:9]
	v_mul_f64 v[8:9], v[26:27], v[96:97]
	v_add_f64 v[12:13], v[140:141], 0
	s_waitcnt vmcnt(7)
	v_fma_f64 v[8:9], v[24:25], v[132:133], -v[8:9]
	v_fmac_f64_e32 v[144:145], v[14:15], v[128:129]
	v_add_f64 v[12:13], v[12:13], v[142:143]
	v_add_f64 v[2:3], v[2:3], v[8:9]
	v_mul_f64 v[8:9], v[72:73], v[92:93]
	v_fmac_f64_e32 v[146:147], v[18:19], v[130:131]
	v_add_f64 v[4:5], v[12:13], v[144:145]
	v_fma_f64 v[8:9], v[70:71], v[94:95], -v[8:9]
	v_add_f64 v[4:5], v[4:5], v[146:147]
	v_add_f64 v[2:3], v[2:3], v[8:9]
	v_mul_f64 v[8:9], v[76:77], v[122:123]
	v_fmac_f64_e32 v[150:151], v[26:27], v[132:133]
	v_add_f64 v[4:5], v[4:5], v[148:149]
	s_waitcnt vmcnt(5)
	v_fma_f64 v[8:9], v[74:75], v[134:135], -v[8:9]
	v_add_f64 v[4:5], v[4:5], v[150:151]
	v_add_f64 v[2:3], v[2:3], v[8:9]
	v_mul_f64 v[8:9], v[80:81], v[98:99]
	v_fmac_f64_e32 v[154:155], v[76:77], v[134:135]
	v_add_f64 v[4:5], v[4:5], v[152:153]
	s_waitcnt vmcnt(4)
	v_fma_f64 v[8:9], v[78:79], v[120:121], -v[8:9]
	v_fmac_f64_e32 v[156:157], v[80:81], v[120:121]
	v_add_f64 v[4:5], v[4:5], v[154:155]
	v_add_f64 v[2:3], v[2:3], v[8:9]
	v_add_f64 v[4:5], v[4:5], v[156:157]
	s_waitcnt vmcnt(2)
	v_add_f64 v[2:3], v[136:137], -v[2:3]
	s_waitcnt vmcnt(0)
	v_add_f64 v[4:5], v[138:139], -v[4:5]
	buffer_store_dword v3, off, s[0:3], 0 offset:164
	buffer_store_dword v2, off, s[0:3], 0 offset:160
	;; [unrolled: 1-line block ×4, first 2 shown]
	s_and_saveexec_b64 s[6:7], vcc
	s_cbranch_execz .LBB19_115
; %bb.114:
	buffer_load_dword v2, v110, s[0:3], 0 offen
	buffer_load_dword v3, v110, s[0:3], 0 offen offset:4
	buffer_load_dword v4, v110, s[0:3], 0 offen offset:8
	;; [unrolled: 1-line block ×3, first 2 shown]
	s_nop 0
	buffer_store_dword v6, off, s[0:3], 0 offset:144
	buffer_store_dword v6, off, s[0:3], 0 offset:148
	;; [unrolled: 1-line block ×4, first 2 shown]
	s_waitcnt vmcnt(4)
	ds_write_b128 v119, v[2:5]
.LBB19_115:
	s_or_b64 exec, exec, s[6:7]
	s_waitcnt lgkmcnt(0)
	; wave barrier
	s_waitcnt lgkmcnt(0)
	buffer_load_dword v4, off, s[0:3], 0 offset:160
	buffer_load_dword v5, off, s[0:3], 0 offset:164
	;; [unrolled: 1-line block ×44, first 2 shown]
	ds_read_b128 v[8:11], v6 offset:480
	ds_read_b128 v[12:15], v6 offset:496
	;; [unrolled: 1-line block ×10, first 2 shown]
	v_cmp_lt_u32_e32 vcc, 8, v118
	s_waitcnt vmcnt(40) lgkmcnt(9)
	v_mul_f64 v[6:7], v[8:9], v[28:29]
	v_mul_f64 v[28:29], v[10:11], v[28:29]
	s_waitcnt vmcnt(38) lgkmcnt(8)
	v_mul_f64 v[148:149], v[12:13], v[90:91]
	v_mul_f64 v[90:91], v[14:15], v[90:91]
	v_fmac_f64_e32 v[6:7], v[10:11], v[4:5]
	v_fma_f64 v[4:5], v[8:9], v[4:5], -v[28:29]
	s_waitcnt vmcnt(36) lgkmcnt(7)
	v_mul_f64 v[150:151], v[16:17], v[2:3]
	v_add_f64 v[4:5], v[4:5], 0
	v_mul_f64 v[2:3], v[18:19], v[2:3]
	v_add_f64 v[6:7], v[6:7], 0
	s_waitcnt vmcnt(30) lgkmcnt(6)
	v_mul_f64 v[152:153], v[20:21], v[96:97]
	s_waitcnt lgkmcnt(5)
	v_mul_f64 v[154:155], v[24:25], v[92:93]
	v_fmac_f64_e32 v[154:155], v[26:27], v[94:95]
	s_waitcnt vmcnt(28) lgkmcnt(3)
	v_mul_f64 v[158:159], v[74:75], v[98:99]
	s_waitcnt vmcnt(26)
	v_fmac_f64_e32 v[158:159], v[76:77], v[120:121]
	s_waitcnt vmcnt(24)
	v_mul_f64 v[156:157], v[70:71], v[122:123]
	s_waitcnt vmcnt(22) lgkmcnt(1)
	v_mul_f64 v[162:163], v[82:83], v[124:125]
	s_waitcnt vmcnt(20)
	v_fmac_f64_e32 v[162:163], v[84:85], v[126:127]
	s_waitcnt vmcnt(18)
	v_mul_f64 v[160:161], v[78:79], v[128:129]
	s_waitcnt vmcnt(16) lgkmcnt(0)
	v_mul_f64 v[164:165], v[86:87], v[130:131]
	s_waitcnt vmcnt(14)
	v_fma_f64 v[8:9], v[12:13], v[132:133], -v[90:91]
	v_add_f64 v[4:5], v[4:5], v[8:9]
	s_waitcnt vmcnt(12)
	v_fma_f64 v[2:3], v[16:17], v[134:135], -v[2:3]
	v_add_f64 v[2:3], v[4:5], v[2:3]
	v_mul_f64 v[4:5], v[22:23], v[96:97]
	s_waitcnt vmcnt(10)
	v_fma_f64 v[4:5], v[20:21], v[136:137], -v[4:5]
	v_add_f64 v[2:3], v[2:3], v[4:5]
	v_mul_f64 v[4:5], v[26:27], v[92:93]
	v_fma_f64 v[4:5], v[24:25], v[94:95], -v[4:5]
	v_add_f64 v[2:3], v[2:3], v[4:5]
	v_mul_f64 v[4:5], v[72:73], v[122:123]
	s_waitcnt vmcnt(8)
	v_fma_f64 v[4:5], v[70:71], v[138:139], -v[4:5]
	v_fmac_f64_e32 v[148:149], v[14:15], v[132:133]
	v_add_f64 v[2:3], v[2:3], v[4:5]
	v_mul_f64 v[4:5], v[76:77], v[98:99]
	v_fmac_f64_e32 v[150:151], v[18:19], v[134:135]
	v_add_f64 v[6:7], v[6:7], v[148:149]
	v_fma_f64 v[4:5], v[74:75], v[120:121], -v[4:5]
	v_fmac_f64_e32 v[152:153], v[22:23], v[136:137]
	v_add_f64 v[6:7], v[6:7], v[150:151]
	v_add_f64 v[2:3], v[2:3], v[4:5]
	v_mul_f64 v[4:5], v[80:81], v[128:129]
	v_add_f64 v[6:7], v[6:7], v[152:153]
	s_waitcnt vmcnt(6)
	v_fma_f64 v[4:5], v[78:79], v[140:141], -v[4:5]
	v_fmac_f64_e32 v[156:157], v[72:73], v[138:139]
	v_add_f64 v[6:7], v[6:7], v[154:155]
	v_add_f64 v[2:3], v[2:3], v[4:5]
	v_mul_f64 v[4:5], v[84:85], v[124:125]
	v_add_f64 v[6:7], v[6:7], v[156:157]
	v_fma_f64 v[4:5], v[82:83], v[126:127], -v[4:5]
	v_fmac_f64_e32 v[160:161], v[80:81], v[140:141]
	v_add_f64 v[6:7], v[6:7], v[158:159]
	v_add_f64 v[2:3], v[2:3], v[4:5]
	v_mul_f64 v[4:5], v[88:89], v[130:131]
	v_add_f64 v[6:7], v[6:7], v[160:161]
	s_waitcnt vmcnt(4)
	v_fma_f64 v[4:5], v[86:87], v[142:143], -v[4:5]
	v_fmac_f64_e32 v[164:165], v[88:89], v[142:143]
	v_add_f64 v[6:7], v[6:7], v[162:163]
	v_add_f64 v[2:3], v[2:3], v[4:5]
	;; [unrolled: 1-line block ×3, first 2 shown]
	s_waitcnt vmcnt(2)
	v_add_f64 v[2:3], v[144:145], -v[2:3]
	s_waitcnt vmcnt(0)
	v_add_f64 v[4:5], v[146:147], -v[6:7]
	buffer_store_dword v3, off, s[0:3], 0 offset:148
	buffer_store_dword v2, off, s[0:3], 0 offset:144
	;; [unrolled: 1-line block ×4, first 2 shown]
	s_and_saveexec_b64 s[6:7], vcc
	s_cbranch_execz .LBB19_117
; %bb.116:
	buffer_load_dword v2, v109, s[0:3], 0 offen
	buffer_load_dword v3, v109, s[0:3], 0 offen offset:4
	buffer_load_dword v4, v109, s[0:3], 0 offen offset:8
	;; [unrolled: 1-line block ×3, first 2 shown]
	v_mov_b32_e32 v6, 0
	buffer_store_dword v6, off, s[0:3], 0 offset:128
	buffer_store_dword v6, off, s[0:3], 0 offset:132
	;; [unrolled: 1-line block ×4, first 2 shown]
	s_waitcnt vmcnt(4)
	ds_write_b128 v119, v[2:5]
.LBB19_117:
	s_or_b64 exec, exec, s[6:7]
	v_mov_b32_e32 v120, 0
	s_waitcnt lgkmcnt(0)
	; wave barrier
	s_waitcnt lgkmcnt(0)
	ds_read_b128 v[14:17], v120 offset:464
	ds_read_b128 v[10:13], v120 offset:480
	;; [unrolled: 1-line block ×4, first 2 shown]
	buffer_load_dword v72, off, s[0:3], 0 offset:128
	buffer_load_dword v73, off, s[0:3], 0 offset:132
	;; [unrolled: 1-line block ×20, first 2 shown]
	v_cmp_lt_u32_e32 vcc, 7, v118
	s_waitcnt vmcnt(12) lgkmcnt(3)
	v_mul_f64 v[18:19], v[14:15], v[80:81]
	v_fmac_f64_e32 v[18:19], v[16:17], v[74:75]
	v_add_f64 v[18:19], v[18:19], 0
	v_mul_f64 v[16:17], v[16:17], v[80:81]
	s_waitcnt vmcnt(8) lgkmcnt(2)
	v_mul_f64 v[20:21], v[10:11], v[82:83]
	v_fmac_f64_e32 v[20:21], v[12:13], v[76:77]
	v_add_f64 v[18:19], v[18:19], v[20:21]
	v_fma_f64 v[14:15], v[14:15], v[74:75], -v[16:17]
	s_waitcnt vmcnt(4) lgkmcnt(1)
	v_mul_f64 v[20:21], v[6:7], v[84:85]
	v_fmac_f64_e32 v[20:21], v[8:9], v[78:79]
	v_add_f64 v[18:19], v[18:19], v[20:21]
	s_waitcnt vmcnt(0) lgkmcnt(0)
	v_mul_f64 v[20:21], v[2:3], v[88:89]
	v_fmac_f64_e32 v[20:21], v[4:5], v[86:87]
	v_add_f64 v[22:23], v[18:19], v[20:21]
	ds_read_b128 v[18:21], v120 offset:528
	buffer_load_dword v91, off, s[0:3], 0 offset:212
	buffer_load_dword v90, off, s[0:3], 0 offset:208
	;; [unrolled: 1-line block ×4, first 2 shown]
	v_mul_f64 v[12:13], v[12:13], v[82:83]
	v_add_f64 v[14:15], v[14:15], 0
	v_fma_f64 v[10:11], v[10:11], v[76:77], -v[12:13]
	v_mul_f64 v[8:9], v[8:9], v[84:85]
	v_add_f64 v[10:11], v[14:15], v[10:11]
	v_fma_f64 v[6:7], v[6:7], v[78:79], -v[8:9]
	;; [unrolled: 3-line block ×3, first 2 shown]
	v_add_f64 v[2:3], v[6:7], v[2:3]
	s_waitcnt vmcnt(0) lgkmcnt(0)
	v_mul_f64 v[24:25], v[18:19], v[92:93]
	v_fmac_f64_e32 v[24:25], v[20:21], v[90:91]
	v_add_f64 v[26:27], v[22:23], v[24:25]
	ds_read_b128 v[22:25], v120 offset:544
	buffer_load_dword v95, off, s[0:3], 0 offset:228
	buffer_load_dword v94, off, s[0:3], 0 offset:224
	buffer_load_dword v97, off, s[0:3], 0 offset:236
	buffer_load_dword v96, off, s[0:3], 0 offset:232
	v_mul_f64 v[4:5], v[20:21], v[92:93]
	v_fma_f64 v[4:5], v[18:19], v[90:91], -v[4:5]
	v_add_f64 v[2:3], v[2:3], v[4:5]
	s_waitcnt vmcnt(0) lgkmcnt(0)
	v_mul_f64 v[28:29], v[22:23], v[96:97]
	v_fmac_f64_e32 v[28:29], v[24:25], v[94:95]
	v_add_f64 v[98:99], v[26:27], v[28:29]
	ds_read_b128 v[26:29], v120 offset:560
	buffer_load_dword v139, off, s[0:3], 0 offset:244
	buffer_load_dword v138, off, s[0:3], 0 offset:240
	buffer_load_dword v141, off, s[0:3], 0 offset:252
	buffer_load_dword v140, off, s[0:3], 0 offset:248
	v_mul_f64 v[4:5], v[24:25], v[96:97]
	v_fma_f64 v[4:5], v[22:23], v[94:95], -v[4:5]
	;; [unrolled: 12-line block ×6, first 2 shown]
	v_add_f64 v[2:3], v[2:3], v[4:5]
	s_waitcnt vmcnt(0) lgkmcnt(0)
	v_mul_f64 v[4:5], v[136:137], v[156:157]
	v_mul_f64 v[158:159], v[134:135], v[156:157]
	v_fma_f64 v[4:5], v[134:135], v[154:155], -v[4:5]
	v_fmac_f64_e32 v[158:159], v[136:137], v[154:155]
	v_add_f64 v[2:3], v[2:3], v[4:5]
	v_add_f64 v[98:99], v[98:99], v[158:159]
	v_add_f64 v[2:3], v[72:73], -v[2:3]
	v_add_f64 v[4:5], v[70:71], -v[98:99]
	buffer_store_dword v3, off, s[0:3], 0 offset:132
	buffer_store_dword v2, off, s[0:3], 0 offset:128
	;; [unrolled: 1-line block ×4, first 2 shown]
	s_and_saveexec_b64 s[6:7], vcc
	s_cbranch_execz .LBB19_119
; %bb.118:
	buffer_load_dword v2, v108, s[0:3], 0 offen
	buffer_load_dword v3, v108, s[0:3], 0 offen offset:4
	buffer_load_dword v4, v108, s[0:3], 0 offen offset:8
	;; [unrolled: 1-line block ×3, first 2 shown]
	s_nop 0
	buffer_store_dword v120, off, s[0:3], 0 offset:112
	buffer_store_dword v120, off, s[0:3], 0 offset:116
	;; [unrolled: 1-line block ×4, first 2 shown]
	s_waitcnt vmcnt(4)
	ds_write_b128 v119, v[2:5]
.LBB19_119:
	s_or_b64 exec, exec, s[6:7]
	s_waitcnt lgkmcnt(0)
	; wave barrier
	s_waitcnt lgkmcnt(0)
	ds_read_b128 v[14:17], v120 offset:448
	ds_read_b128 v[10:13], v120 offset:464
	;; [unrolled: 1-line block ×4, first 2 shown]
	buffer_load_dword v72, off, s[0:3], 0 offset:112
	buffer_load_dword v73, off, s[0:3], 0 offset:116
	;; [unrolled: 1-line block ×20, first 2 shown]
	v_cmp_lt_u32_e32 vcc, 6, v118
	s_waitcnt vmcnt(12) lgkmcnt(3)
	v_mul_f64 v[18:19], v[14:15], v[80:81]
	v_fmac_f64_e32 v[18:19], v[16:17], v[74:75]
	v_add_f64 v[18:19], v[18:19], 0
	v_mul_f64 v[16:17], v[16:17], v[80:81]
	s_waitcnt vmcnt(8) lgkmcnt(2)
	v_mul_f64 v[20:21], v[10:11], v[82:83]
	v_fmac_f64_e32 v[20:21], v[12:13], v[76:77]
	v_add_f64 v[18:19], v[18:19], v[20:21]
	v_fma_f64 v[14:15], v[14:15], v[74:75], -v[16:17]
	s_waitcnt vmcnt(4) lgkmcnt(1)
	v_mul_f64 v[20:21], v[6:7], v[84:85]
	v_fmac_f64_e32 v[20:21], v[8:9], v[78:79]
	v_add_f64 v[18:19], v[18:19], v[20:21]
	s_waitcnt vmcnt(0) lgkmcnt(0)
	v_mul_f64 v[20:21], v[2:3], v[88:89]
	v_fmac_f64_e32 v[20:21], v[4:5], v[86:87]
	v_add_f64 v[22:23], v[18:19], v[20:21]
	ds_read_b128 v[18:21], v120 offset:512
	buffer_load_dword v91, off, s[0:3], 0 offset:196
	buffer_load_dword v90, off, s[0:3], 0 offset:192
	;; [unrolled: 1-line block ×4, first 2 shown]
	v_mul_f64 v[12:13], v[12:13], v[82:83]
	v_add_f64 v[14:15], v[14:15], 0
	v_fma_f64 v[10:11], v[10:11], v[76:77], -v[12:13]
	v_mul_f64 v[8:9], v[8:9], v[84:85]
	v_add_f64 v[10:11], v[14:15], v[10:11]
	v_fma_f64 v[6:7], v[6:7], v[78:79], -v[8:9]
	;; [unrolled: 3-line block ×3, first 2 shown]
	v_add_f64 v[2:3], v[6:7], v[2:3]
	s_waitcnt vmcnt(0) lgkmcnt(0)
	v_mul_f64 v[24:25], v[18:19], v[92:93]
	v_fmac_f64_e32 v[24:25], v[20:21], v[90:91]
	v_add_f64 v[26:27], v[22:23], v[24:25]
	ds_read_b128 v[22:25], v120 offset:528
	buffer_load_dword v95, off, s[0:3], 0 offset:212
	buffer_load_dword v94, off, s[0:3], 0 offset:208
	buffer_load_dword v97, off, s[0:3], 0 offset:220
	buffer_load_dword v96, off, s[0:3], 0 offset:216
	v_mul_f64 v[4:5], v[20:21], v[92:93]
	v_fma_f64 v[4:5], v[18:19], v[90:91], -v[4:5]
	v_add_f64 v[2:3], v[2:3], v[4:5]
	s_waitcnt vmcnt(0) lgkmcnt(0)
	v_mul_f64 v[28:29], v[22:23], v[96:97]
	v_fmac_f64_e32 v[28:29], v[24:25], v[94:95]
	v_add_f64 v[122:123], v[26:27], v[28:29]
	ds_read_b128 v[26:29], v120 offset:544
	buffer_load_dword v99, off, s[0:3], 0 offset:228
	buffer_load_dword v98, off, s[0:3], 0 offset:224
	buffer_load_dword v143, off, s[0:3], 0 offset:236
	buffer_load_dword v142, off, s[0:3], 0 offset:232
	v_mul_f64 v[4:5], v[24:25], v[96:97]
	v_fma_f64 v[4:5], v[22:23], v[94:95], -v[4:5]
	;; [unrolled: 12-line block ×7, first 2 shown]
	v_add_f64 v[2:3], v[2:3], v[4:5]
	s_waitcnt vmcnt(0) lgkmcnt(0)
	v_mul_f64 v[4:5], v[140:141], v[162:163]
	v_mul_f64 v[164:165], v[138:139], v[162:163]
	v_fma_f64 v[4:5], v[138:139], v[120:121], -v[4:5]
	v_fmac_f64_e32 v[164:165], v[140:141], v[120:121]
	v_add_f64 v[2:3], v[2:3], v[4:5]
	v_add_f64 v[160:161], v[160:161], v[164:165]
	v_add_f64 v[2:3], v[72:73], -v[2:3]
	v_add_f64 v[4:5], v[70:71], -v[160:161]
	buffer_store_dword v3, off, s[0:3], 0 offset:116
	buffer_store_dword v2, off, s[0:3], 0 offset:112
	;; [unrolled: 1-line block ×4, first 2 shown]
	s_and_saveexec_b64 s[6:7], vcc
	s_cbranch_execz .LBB19_121
; %bb.120:
	buffer_load_dword v2, v114, s[0:3], 0 offen
	buffer_load_dword v3, v114, s[0:3], 0 offen offset:4
	buffer_load_dword v4, v114, s[0:3], 0 offen offset:8
	;; [unrolled: 1-line block ×3, first 2 shown]
	v_mov_b32_e32 v6, 0
	buffer_store_dword v6, off, s[0:3], 0 offset:96
	buffer_store_dword v6, off, s[0:3], 0 offset:100
	buffer_store_dword v6, off, s[0:3], 0 offset:104
	buffer_store_dword v6, off, s[0:3], 0 offset:108
	s_waitcnt vmcnt(4)
	ds_write_b128 v119, v[2:5]
.LBB19_121:
	s_or_b64 exec, exec, s[6:7]
	s_waitcnt lgkmcnt(0)
	; wave barrier
	s_waitcnt lgkmcnt(0)
	buffer_load_dword v2, off, s[0:3], 0 offset:112
	buffer_load_dword v3, off, s[0:3], 0 offset:116
	;; [unrolled: 1-line block ×56, first 2 shown]
	v_mov_b32_e32 v24, 0
	ds_read_b128 v[26:29], v24 offset:432
	ds_read_b128 v[70:73], v24 offset:448
	;; [unrolled: 1-line block ×9, first 2 shown]
	v_cmp_lt_u32_e32 vcc, 5, v118
	s_waitcnt vmcnt(52) lgkmcnt(8)
	v_mul_f64 v[124:125], v[26:27], v[6:7]
	v_mul_f64 v[6:7], v[28:29], v[6:7]
	v_fmac_f64_e32 v[124:125], v[28:29], v[2:3]
	v_fma_f64 v[2:3], v[26:27], v[2:3], -v[6:7]
	s_waitcnt vmcnt(48) lgkmcnt(7)
	v_mul_f64 v[126:127], v[70:71], v[8:9]
	v_mul_f64 v[6:7], v[72:73], v[8:9]
	s_waitcnt vmcnt(46) lgkmcnt(6)
	v_mul_f64 v[128:129], v[74:75], v[10:11]
	v_fmac_f64_e32 v[126:127], v[72:73], v[4:5]
	v_add_f64 v[124:125], v[124:125], 0
	v_add_f64 v[2:3], v[2:3], 0
	v_fma_f64 v[4:5], v[70:71], v[4:5], -v[6:7]
	v_add_f64 v[124:125], v[124:125], v[126:127]
	s_waitcnt vmcnt(40) lgkmcnt(5)
	v_mul_f64 v[130:131], v[78:79], v[16:17]
	v_add_f64 v[2:3], v[2:3], v[4:5]
	v_mul_f64 v[4:5], v[76:77], v[10:11]
	s_waitcnt lgkmcnt(4)
	v_mul_f64 v[132:133], v[82:83], v[12:13]
	s_waitcnt vmcnt(36) lgkmcnt(3)
	v_mul_f64 v[134:135], v[86:87], v[22:23]
	v_fmac_f64_e32 v[132:133], v[84:85], v[14:15]
	s_waitcnt vmcnt(35) lgkmcnt(2)
	v_mul_f64 v[136:137], v[90:91], v[18:19]
	s_waitcnt vmcnt(33)
	v_fmac_f64_e32 v[128:129], v[76:77], v[98:99]
	v_add_f64 v[124:125], v[124:125], v[128:129]
	s_waitcnt vmcnt(31)
	v_fmac_f64_e32 v[130:131], v[80:81], v[140:141]
	v_fma_f64 v[4:5], v[74:75], v[98:99], -v[4:5]
	v_add_f64 v[124:125], v[124:125], v[130:131]
	v_add_f64 v[2:3], v[2:3], v[4:5]
	v_mul_f64 v[4:5], v[80:81], v[16:17]
	s_waitcnt vmcnt(29)
	v_fmac_f64_e32 v[134:135], v[88:89], v[142:143]
	v_add_f64 v[124:125], v[124:125], v[132:133]
	v_fma_f64 v[4:5], v[78:79], v[140:141], -v[4:5]
	s_waitcnt vmcnt(28)
	v_fmac_f64_e32 v[136:137], v[92:93], v[20:21]
	v_add_f64 v[124:125], v[124:125], v[134:135]
	s_waitcnt vmcnt(25) lgkmcnt(1)
	v_mul_f64 v[126:127], v[94:95], v[146:147]
	v_add_f64 v[2:3], v[2:3], v[4:5]
	v_mul_f64 v[4:5], v[84:85], v[12:13]
	v_add_f64 v[124:125], v[124:125], v[136:137]
	s_waitcnt vmcnt(23)
	v_fmac_f64_e32 v[126:127], v[96:97], v[148:149]
	v_fma_f64 v[4:5], v[82:83], v[14:15], -v[4:5]
	v_add_f64 v[128:129], v[124:125], v[126:127]
	ds_read_b128 v[124:127], v24 offset:576
	v_add_f64 v[2:3], v[2:3], v[4:5]
	v_mul_f64 v[4:5], v[88:89], v[22:23]
	v_fma_f64 v[4:5], v[86:87], v[142:143], -v[4:5]
	v_add_f64 v[2:3], v[2:3], v[4:5]
	v_mul_f64 v[4:5], v[92:93], v[18:19]
	s_waitcnt vmcnt(20) lgkmcnt(1)
	v_mul_f64 v[130:131], v[120:121], v[144:145]
	v_fma_f64 v[4:5], v[90:91], v[20:21], -v[4:5]
	v_fmac_f64_e32 v[130:131], v[122:123], v[150:151]
	v_add_f64 v[2:3], v[2:3], v[4:5]
	v_mul_f64 v[4:5], v[96:97], v[146:147]
	v_add_f64 v[132:133], v[128:129], v[130:131]
	ds_read_b128 v[128:131], v24 offset:592
	s_waitcnt vmcnt(17) lgkmcnt(1)
	v_mul_f64 v[134:135], v[124:125], v[154:155]
	v_fma_f64 v[4:5], v[94:95], v[148:149], -v[4:5]
	s_waitcnt vmcnt(15)
	v_fmac_f64_e32 v[134:135], v[126:127], v[156:157]
	v_add_f64 v[2:3], v[2:3], v[4:5]
	v_mul_f64 v[4:5], v[122:123], v[144:145]
	v_add_f64 v[172:173], v[132:133], v[134:135]
	ds_read_b128 v[132:135], v24 offset:608
	ds_read_b128 v[136:139], v24 offset:624
	v_fma_f64 v[4:5], v[120:121], v[150:151], -v[4:5]
	v_add_f64 v[2:3], v[2:3], v[4:5]
	v_mul_f64 v[4:5], v[126:127], v[154:155]
	v_fma_f64 v[4:5], v[124:125], v[156:157], -v[4:5]
	v_add_f64 v[2:3], v[2:3], v[4:5]
	s_waitcnt vmcnt(12) lgkmcnt(2)
	v_mul_f64 v[4:5], v[130:131], v[152:153]
	v_mul_f64 v[174:175], v[128:129], v[152:153]
	v_fma_f64 v[4:5], v[128:129], v[158:159], -v[4:5]
	v_fmac_f64_e32 v[174:175], v[130:131], v[158:159]
	v_add_f64 v[2:3], v[2:3], v[4:5]
	s_waitcnt vmcnt(9) lgkmcnt(1)
	v_mul_f64 v[4:5], v[134:135], v[162:163]
	v_add_f64 v[172:173], v[172:173], v[174:175]
	v_mul_f64 v[174:175], v[132:133], v[162:163]
	s_waitcnt vmcnt(7)
	v_fma_f64 v[4:5], v[132:133], v[164:165], -v[4:5]
	v_fmac_f64_e32 v[174:175], v[134:135], v[164:165]
	v_add_f64 v[2:3], v[2:3], v[4:5]
	s_waitcnt vmcnt(5) lgkmcnt(0)
	v_mul_f64 v[4:5], v[138:139], v[160:161]
	v_add_f64 v[172:173], v[172:173], v[174:175]
	v_mul_f64 v[174:175], v[136:137], v[160:161]
	s_waitcnt vmcnt(4)
	v_fma_f64 v[4:5], v[136:137], v[166:167], -v[4:5]
	v_fmac_f64_e32 v[174:175], v[138:139], v[166:167]
	v_add_f64 v[2:3], v[2:3], v[4:5]
	v_add_f64 v[172:173], v[172:173], v[174:175]
	s_waitcnt vmcnt(2)
	v_add_f64 v[2:3], v[168:169], -v[2:3]
	s_waitcnt vmcnt(0)
	v_add_f64 v[4:5], v[170:171], -v[172:173]
	buffer_store_dword v3, off, s[0:3], 0 offset:100
	buffer_store_dword v2, off, s[0:3], 0 offset:96
	;; [unrolled: 1-line block ×4, first 2 shown]
	s_and_saveexec_b64 s[6:7], vcc
	s_cbranch_execz .LBB19_123
; %bb.122:
	buffer_load_dword v2, v112, s[0:3], 0 offen
	buffer_load_dword v3, v112, s[0:3], 0 offen offset:4
	buffer_load_dword v4, v112, s[0:3], 0 offen offset:8
	;; [unrolled: 1-line block ×3, first 2 shown]
	s_nop 0
	buffer_store_dword v24, off, s[0:3], 0 offset:80
	buffer_store_dword v24, off, s[0:3], 0 offset:84
	;; [unrolled: 1-line block ×4, first 2 shown]
	s_waitcnt vmcnt(4)
	ds_write_b128 v119, v[2:5]
.LBB19_123:
	s_or_b64 exec, exec, s[6:7]
	s_waitcnt lgkmcnt(0)
	; wave barrier
	s_waitcnt lgkmcnt(0)
	buffer_load_dword v2, off, s[0:3], 0 offset:96
	buffer_load_dword v3, off, s[0:3], 0 offset:100
	;; [unrolled: 1-line block ×60, first 2 shown]
	ds_read_b128 v[26:29], v24 offset:416
	ds_read_b128 v[70:73], v24 offset:432
	;; [unrolled: 1-line block ×8, first 2 shown]
	v_cmp_lt_u32_e32 vcc, 4, v118
	ds_read_b128 v[140:143], v24 offset:624
	s_waitcnt vmcnt(56) lgkmcnt(8)
	v_mul_f64 v[120:121], v[26:27], v[6:7]
	v_fmac_f64_e32 v[120:121], v[28:29], v[2:3]
	v_add_f64 v[120:121], v[120:121], 0
	v_mul_f64 v[6:7], v[28:29], v[6:7]
	s_waitcnt vmcnt(52) lgkmcnt(7)
	v_mul_f64 v[122:123], v[70:71], v[8:9]
	v_fmac_f64_e32 v[122:123], v[72:73], v[4:5]
	s_waitcnt vmcnt(50) lgkmcnt(6)
	v_mul_f64 v[124:125], v[74:75], v[10:11]
	v_add_f64 v[120:121], v[120:121], v[122:123]
	s_waitcnt vmcnt(48) lgkmcnt(4)
	v_mul_f64 v[128:129], v[82:83], v[12:13]
	v_fma_f64 v[2:3], v[26:27], v[2:3], -v[6:7]
	s_waitcnt vmcnt(46)
	v_fmac_f64_e32 v[128:129], v[84:85], v[14:15]
	v_mul_f64 v[6:7], v[72:73], v[8:9]
	s_waitcnt vmcnt(44)
	v_mul_f64 v[126:127], v[78:79], v[16:17]
	v_add_f64 v[2:3], v[2:3], 0
	v_fma_f64 v[4:5], v[70:71], v[4:5], -v[6:7]
	v_add_f64 v[2:3], v[2:3], v[4:5]
	s_waitcnt vmcnt(40) lgkmcnt(3)
	v_mul_f64 v[130:131], v[86:87], v[22:23]
	v_mul_f64 v[4:5], v[76:77], v[10:11]
	s_waitcnt vmcnt(38)
	v_fmac_f64_e32 v[124:125], v[76:77], v[98:99]
	v_add_f64 v[120:121], v[120:121], v[124:125]
	s_waitcnt vmcnt(36)
	v_fmac_f64_e32 v[126:127], v[80:81], v[144:145]
	v_add_f64 v[120:121], v[120:121], v[126:127]
	;; [unrolled: 3-line block ×3, first 2 shown]
	s_waitcnt vmcnt(32) lgkmcnt(2)
	v_mul_f64 v[122:123], v[90:91], v[18:19]
	v_add_f64 v[120:121], v[120:121], v[130:131]
	v_fmac_f64_e32 v[122:123], v[92:93], v[20:21]
	v_add_f64 v[124:125], v[120:121], v[122:123]
	ds_read_b128 v[120:123], v24 offset:544
	v_fma_f64 v[4:5], v[74:75], v[98:99], -v[4:5]
	v_add_f64 v[2:3], v[2:3], v[4:5]
	v_mul_f64 v[4:5], v[80:81], v[16:17]
	v_fma_f64 v[4:5], v[78:79], v[144:145], -v[4:5]
	s_waitcnt vmcnt(28) lgkmcnt(2)
	v_mul_f64 v[126:127], v[94:95], v[152:153]
	v_add_f64 v[2:3], v[2:3], v[4:5]
	v_mul_f64 v[4:5], v[84:85], v[12:13]
	s_waitcnt vmcnt(26)
	v_fmac_f64_e32 v[126:127], v[96:97], v[154:155]
	v_fma_f64 v[4:5], v[82:83], v[14:15], -v[4:5]
	v_add_f64 v[128:129], v[124:125], v[126:127]
	ds_read_b128 v[124:127], v24 offset:560
	s_waitcnt vmcnt(24) lgkmcnt(1)
	v_mul_f64 v[130:131], v[120:121], v[148:149]
	v_add_f64 v[2:3], v[2:3], v[4:5]
	v_mul_f64 v[4:5], v[88:89], v[22:23]
	v_fmac_f64_e32 v[130:131], v[122:123], v[150:151]
	v_fma_f64 v[4:5], v[86:87], v[146:147], -v[4:5]
	v_add_f64 v[132:133], v[128:129], v[130:131]
	ds_read_b128 v[128:131], v24 offset:576
	v_add_f64 v[2:3], v[2:3], v[4:5]
	v_mul_f64 v[4:5], v[92:93], v[18:19]
	v_fma_f64 v[4:5], v[90:91], v[20:21], -v[4:5]
	v_add_f64 v[2:3], v[2:3], v[4:5]
	v_mul_f64 v[4:5], v[96:97], v[152:153]
	s_waitcnt vmcnt(20) lgkmcnt(1)
	v_mul_f64 v[134:135], v[124:125], v[160:161]
	v_fma_f64 v[4:5], v[94:95], v[154:155], -v[4:5]
	s_waitcnt vmcnt(18)
	v_fmac_f64_e32 v[134:135], v[126:127], v[162:163]
	v_add_f64 v[2:3], v[2:3], v[4:5]
	v_mul_f64 v[4:5], v[122:123], v[148:149]
	v_add_f64 v[136:137], v[132:133], v[134:135]
	ds_read_b128 v[132:135], v24 offset:592
	s_waitcnt vmcnt(16) lgkmcnt(1)
	v_mul_f64 v[138:139], v[128:129], v[156:157]
	v_fma_f64 v[4:5], v[120:121], v[150:151], -v[4:5]
	v_fmac_f64_e32 v[138:139], v[130:131], v[158:159]
	v_add_f64 v[2:3], v[2:3], v[4:5]
	v_mul_f64 v[4:5], v[126:127], v[160:161]
	v_add_f64 v[180:181], v[136:137], v[138:139]
	ds_read_b128 v[136:139], v24 offset:608
	v_fma_f64 v[4:5], v[124:125], v[162:163], -v[4:5]
	v_add_f64 v[2:3], v[2:3], v[4:5]
	v_mul_f64 v[4:5], v[130:131], v[156:157]
	v_fma_f64 v[4:5], v[128:129], v[158:159], -v[4:5]
	v_add_f64 v[2:3], v[2:3], v[4:5]
	s_waitcnt vmcnt(12) lgkmcnt(1)
	v_mul_f64 v[4:5], v[134:135], v[168:169]
	v_mul_f64 v[182:183], v[132:133], v[168:169]
	s_waitcnt vmcnt(10)
	v_fma_f64 v[4:5], v[132:133], v[170:171], -v[4:5]
	v_fmac_f64_e32 v[182:183], v[134:135], v[170:171]
	v_add_f64 v[2:3], v[2:3], v[4:5]
	s_waitcnt vmcnt(8) lgkmcnt(0)
	v_mul_f64 v[4:5], v[138:139], v[164:165]
	v_add_f64 v[24:25], v[180:181], v[182:183]
	v_mul_f64 v[180:181], v[136:137], v[164:165]
	v_fma_f64 v[4:5], v[136:137], v[166:167], -v[4:5]
	v_fmac_f64_e32 v[180:181], v[138:139], v[166:167]
	v_add_f64 v[2:3], v[2:3], v[4:5]
	s_waitcnt vmcnt(6)
	v_mul_f64 v[4:5], v[142:143], v[172:173]
	v_add_f64 v[24:25], v[24:25], v[180:181]
	v_mul_f64 v[180:181], v[140:141], v[172:173]
	s_waitcnt vmcnt(4)
	v_fma_f64 v[4:5], v[140:141], v[174:175], -v[4:5]
	v_fmac_f64_e32 v[180:181], v[142:143], v[174:175]
	v_add_f64 v[2:3], v[2:3], v[4:5]
	v_add_f64 v[24:25], v[24:25], v[180:181]
	s_waitcnt vmcnt(2)
	v_add_f64 v[2:3], v[176:177], -v[2:3]
	s_waitcnt vmcnt(0)
	v_add_f64 v[4:5], v[178:179], -v[24:25]
	buffer_store_dword v3, off, s[0:3], 0 offset:84
	buffer_store_dword v2, off, s[0:3], 0 offset:80
	;; [unrolled: 1-line block ×4, first 2 shown]
	s_and_saveexec_b64 s[6:7], vcc
	s_cbranch_execz .LBB19_125
; %bb.124:
	buffer_load_dword v2, v113, s[0:3], 0 offen
	buffer_load_dword v3, v113, s[0:3], 0 offen offset:4
	buffer_load_dword v4, v113, s[0:3], 0 offen offset:8
	;; [unrolled: 1-line block ×3, first 2 shown]
	v_mov_b32_e32 v6, 0
	buffer_store_dword v6, off, s[0:3], 0 offset:64
	buffer_store_dword v6, off, s[0:3], 0 offset:68
	;; [unrolled: 1-line block ×4, first 2 shown]
	s_waitcnt vmcnt(4)
	ds_write_b128 v119, v[2:5]
.LBB19_125:
	s_or_b64 exec, exec, s[6:7]
	s_waitcnt lgkmcnt(0)
	; wave barrier
	s_waitcnt lgkmcnt(0)
	buffer_load_dword v2, off, s[0:3], 0 offset:80
	buffer_load_dword v3, off, s[0:3], 0 offset:84
	;; [unrolled: 1-line block ×64, first 2 shown]
	v_mov_b32_e32 v78, 0
	ds_read_b128 v[70:73], v78 offset:400
	ds_read_b128 v[74:77], v78 offset:416
	;; [unrolled: 1-line block ×7, first 2 shown]
	v_cmp_lt_u32_e32 vcc, 3, v118
	s_waitcnt vmcnt(60) lgkmcnt(6)
	v_mul_f64 v[96:97], v[70:71], v[6:7]
	v_fmac_f64_e32 v[96:97], v[72:73], v[2:3]
	v_add_f64 v[96:97], v[96:97], 0
	v_mul_f64 v[6:7], v[72:73], v[6:7]
	s_waitcnt vmcnt(56) lgkmcnt(5)
	v_mul_f64 v[98:99], v[74:75], v[8:9]
	v_fmac_f64_e32 v[98:99], v[76:77], v[4:5]
	s_waitcnt vmcnt(54) lgkmcnt(4)
	v_mul_f64 v[120:121], v[80:81], v[10:11]
	v_add_f64 v[96:97], v[96:97], v[98:99]
	v_fma_f64 v[2:3], v[70:71], v[2:3], -v[6:7]
	v_mul_f64 v[6:7], v[76:77], v[8:9]
	s_waitcnt vmcnt(50) lgkmcnt(3)
	v_mul_f64 v[122:123], v[84:85], v[16:17]
	s_waitcnt vmcnt(49) lgkmcnt(2)
	v_mul_f64 v[124:125], v[88:89], v[12:13]
	v_add_f64 v[2:3], v[2:3], 0
	s_waitcnt vmcnt(47)
	v_fmac_f64_e32 v[120:121], v[82:83], v[20:21]
	v_add_f64 v[96:97], v[96:97], v[120:121]
	s_waitcnt vmcnt(45)
	v_fmac_f64_e32 v[122:123], v[86:87], v[18:19]
	;; [unrolled: 3-line block ×3, first 2 shown]
	v_add_f64 v[120:121], v[96:97], v[124:125]
	ds_read_b128 v[96:99], v78 offset:496
	s_waitcnt vmcnt(40) lgkmcnt(2)
	v_mul_f64 v[122:123], v[92:93], v[26:27]
	v_fma_f64 v[4:5], v[74:75], v[4:5], -v[6:7]
	s_waitcnt vmcnt(38)
	v_fmac_f64_e32 v[122:123], v[94:95], v[28:29]
	v_add_f64 v[124:125], v[120:121], v[122:123]
	ds_read_b128 v[120:123], v78 offset:512
	s_waitcnt vmcnt(36) lgkmcnt(1)
	v_mul_f64 v[126:127], v[96:97], v[22:23]
	v_fmac_f64_e32 v[126:127], v[98:99], v[24:25]
	v_add_f64 v[2:3], v[2:3], v[4:5]
	v_mul_f64 v[4:5], v[82:83], v[10:11]
	v_add_f64 v[128:129], v[124:125], v[126:127]
	ds_read_b128 v[124:127], v78 offset:528
	s_waitcnt vmcnt(32) lgkmcnt(1)
	v_mul_f64 v[130:131], v[120:121], v[156:157]
	v_fma_f64 v[4:5], v[80:81], v[20:21], -v[4:5]
	s_waitcnt vmcnt(30)
	v_fmac_f64_e32 v[130:131], v[122:123], v[158:159]
	v_add_f64 v[2:3], v[2:3], v[4:5]
	v_mul_f64 v[4:5], v[86:87], v[16:17]
	v_add_f64 v[132:133], v[128:129], v[130:131]
	ds_read_b128 v[128:131], v78 offset:544
	v_fma_f64 v[4:5], v[84:85], v[18:19], -v[4:5]
	v_add_f64 v[2:3], v[2:3], v[4:5]
	v_mul_f64 v[4:5], v[90:91], v[12:13]
	v_fma_f64 v[4:5], v[88:89], v[14:15], -v[4:5]
	s_waitcnt vmcnt(28) lgkmcnt(1)
	v_mul_f64 v[134:135], v[124:125], v[152:153]
	v_add_f64 v[2:3], v[2:3], v[4:5]
	v_mul_f64 v[4:5], v[94:95], v[26:27]
	v_fmac_f64_e32 v[134:135], v[126:127], v[154:155]
	v_fma_f64 v[4:5], v[92:93], v[28:29], -v[4:5]
	v_add_f64 v[136:137], v[132:133], v[134:135]
	ds_read_b128 v[132:135], v78 offset:560
	s_waitcnt vmcnt(24) lgkmcnt(1)
	v_mul_f64 v[138:139], v[128:129], v[164:165]
	v_add_f64 v[2:3], v[2:3], v[4:5]
	v_mul_f64 v[4:5], v[98:99], v[22:23]
	s_waitcnt vmcnt(22)
	v_fmac_f64_e32 v[138:139], v[130:131], v[166:167]
	v_fma_f64 v[4:5], v[96:97], v[24:25], -v[4:5]
	v_add_f64 v[140:141], v[136:137], v[138:139]
	ds_read_b128 v[136:139], v78 offset:576
	v_add_f64 v[2:3], v[2:3], v[4:5]
	v_mul_f64 v[4:5], v[122:123], v[156:157]
	v_fma_f64 v[4:5], v[120:121], v[158:159], -v[4:5]
	v_add_f64 v[2:3], v[2:3], v[4:5]
	v_mul_f64 v[4:5], v[126:127], v[152:153]
	s_waitcnt vmcnt(20) lgkmcnt(1)
	v_mul_f64 v[142:143], v[132:133], v[160:161]
	v_fma_f64 v[4:5], v[124:125], v[154:155], -v[4:5]
	v_fmac_f64_e32 v[142:143], v[134:135], v[162:163]
	v_add_f64 v[2:3], v[2:3], v[4:5]
	v_mul_f64 v[4:5], v[130:131], v[164:165]
	v_add_f64 v[144:145], v[140:141], v[142:143]
	ds_read_b128 v[140:143], v78 offset:592
	s_waitcnt vmcnt(16) lgkmcnt(1)
	v_mul_f64 v[146:147], v[136:137], v[172:173]
	v_fma_f64 v[4:5], v[128:129], v[166:167], -v[4:5]
	s_waitcnt vmcnt(14)
	v_fmac_f64_e32 v[146:147], v[138:139], v[174:175]
	v_add_f64 v[2:3], v[2:3], v[4:5]
	v_mul_f64 v[4:5], v[134:135], v[160:161]
	v_add_f64 v[188:189], v[144:145], v[146:147]
	ds_read_b128 v[144:147], v78 offset:608
	v_fma_f64 v[4:5], v[132:133], v[162:163], -v[4:5]
	v_add_f64 v[2:3], v[2:3], v[4:5]
	v_mul_f64 v[4:5], v[138:139], v[172:173]
	v_fma_f64 v[4:5], v[136:137], v[174:175], -v[4:5]
	v_add_f64 v[2:3], v[2:3], v[4:5]
	s_waitcnt vmcnt(12) lgkmcnt(1)
	v_mul_f64 v[4:5], v[142:143], v[168:169]
	v_mul_f64 v[190:191], v[140:141], v[168:169]
	v_fma_f64 v[4:5], v[140:141], v[170:171], -v[4:5]
	v_fmac_f64_e32 v[190:191], v[142:143], v[170:171]
	v_add_f64 v[2:3], v[2:3], v[4:5]
	s_waitcnt vmcnt(8) lgkmcnt(0)
	v_mul_f64 v[4:5], v[146:147], v[180:181]
	v_add_f64 v[188:189], v[188:189], v[190:191]
	v_mul_f64 v[190:191], v[144:145], v[180:181]
	s_waitcnt vmcnt(6)
	v_fma_f64 v[4:5], v[144:145], v[182:183], -v[4:5]
	v_fmac_f64_e32 v[190:191], v[146:147], v[182:183]
	v_add_f64 v[2:3], v[2:3], v[4:5]
	s_waitcnt vmcnt(5)
	v_mul_f64 v[4:5], v[150:151], v[176:177]
	v_add_f64 v[188:189], v[188:189], v[190:191]
	v_mul_f64 v[190:191], v[148:149], v[176:177]
	s_waitcnt vmcnt(4)
	v_fma_f64 v[4:5], v[148:149], v[178:179], -v[4:5]
	v_fmac_f64_e32 v[190:191], v[150:151], v[178:179]
	v_add_f64 v[2:3], v[2:3], v[4:5]
	v_add_f64 v[188:189], v[188:189], v[190:191]
	s_waitcnt vmcnt(2)
	v_add_f64 v[2:3], v[184:185], -v[2:3]
	s_waitcnt vmcnt(0)
	v_add_f64 v[4:5], v[186:187], -v[188:189]
	buffer_store_dword v3, off, s[0:3], 0 offset:68
	buffer_store_dword v2, off, s[0:3], 0 offset:64
	;; [unrolled: 1-line block ×4, first 2 shown]
	s_and_saveexec_b64 s[6:7], vcc
	s_cbranch_execz .LBB19_127
; %bb.126:
	buffer_load_dword v2, v116, s[0:3], 0 offen
	buffer_load_dword v3, v116, s[0:3], 0 offen offset:4
	buffer_load_dword v4, v116, s[0:3], 0 offen offset:8
	;; [unrolled: 1-line block ×3, first 2 shown]
	s_nop 0
	buffer_store_dword v78, off, s[0:3], 0 offset:48
	buffer_store_dword v78, off, s[0:3], 0 offset:52
	;; [unrolled: 1-line block ×4, first 2 shown]
	s_waitcnt vmcnt(4)
	ds_write_b128 v119, v[2:5]
.LBB19_127:
	s_or_b64 exec, exec, s[6:7]
	s_waitcnt lgkmcnt(0)
	; wave barrier
	s_waitcnt lgkmcnt(0)
	buffer_load_dword v2, off, s[0:3], 0 offset:64
	buffer_load_dword v3, off, s[0:3], 0 offset:68
	;; [unrolled: 1-line block ×64, first 2 shown]
	ds_read_b128 v[80:83], v78 offset:384
	ds_read_b128 v[84:87], v78 offset:400
	;; [unrolled: 1-line block ×4, first 2 shown]
	buffer_load_dword v192, off, s[0:3], 0 offset:48
	buffer_load_dword v193, off, s[0:3], 0 offset:52
	;; [unrolled: 1-line block ×4, first 2 shown]
	v_cmp_lt_u32_e32 vcc, 2, v118
	ds_read_b128 v[160:163], v78 offset:624
	s_waitcnt vmcnt(62) lgkmcnt(4)
	v_mul_f64 v[96:97], v[80:81], v[4:5]
	v_fmac_f64_e32 v[96:97], v[82:83], v[2:3]
	s_waitcnt lgkmcnt(3)
	v_mul_f64 v[98:99], v[84:85], v[6:7]
	v_add_f64 v[96:97], v[96:97], 0
	s_waitcnt vmcnt(60) lgkmcnt(2)
	v_mul_f64 v[120:121], v[88:89], v[8:9]
	v_mul_f64 v[4:5], v[82:83], v[4:5]
	v_fma_f64 v[2:3], v[80:81], v[2:3], -v[4:5]
	v_mul_f64 v[4:5], v[86:87], v[6:7]
	s_waitcnt vmcnt(56) lgkmcnt(1)
	v_mul_f64 v[122:123], v[92:93], v[14:15]
	v_add_f64 v[2:3], v[2:3], 0
	s_waitcnt vmcnt(54)
	v_fmac_f64_e32 v[98:99], v[86:87], v[20:21]
	v_add_f64 v[124:125], v[96:97], v[98:99]
	ds_read_b128 v[96:99], v78 offset:448
	s_waitcnt vmcnt(52)
	v_fmac_f64_e32 v[120:121], v[90:91], v[18:19]
	v_add_f64 v[120:121], v[124:125], v[120:121]
	s_waitcnt vmcnt(50)
	v_fmac_f64_e32 v[122:123], v[94:95], v[16:17]
	v_add_f64 v[124:125], v[120:121], v[122:123]
	ds_read_b128 v[120:123], v78 offset:464
	s_waitcnt vmcnt(48) lgkmcnt(1)
	v_mul_f64 v[126:127], v[96:97], v[10:11]
	v_fmac_f64_e32 v[126:127], v[98:99], v[12:13]
	v_add_f64 v[128:129], v[124:125], v[126:127]
	ds_read_b128 v[124:127], v78 offset:480
	s_waitcnt vmcnt(44) lgkmcnt(1)
	v_mul_f64 v[130:131], v[120:121], v[26:27]
	s_waitcnt vmcnt(42)
	v_fmac_f64_e32 v[130:131], v[122:123], v[28:29]
	v_add_f64 v[132:133], v[128:129], v[130:131]
	ds_read_b128 v[128:131], v78 offset:496
	s_waitcnt vmcnt(40) lgkmcnt(1)
	v_mul_f64 v[134:135], v[124:125], v[22:23]
	v_fmac_f64_e32 v[134:135], v[126:127], v[24:25]
	v_add_f64 v[136:137], v[132:133], v[134:135]
	ds_read_b128 v[132:135], v78 offset:512
	v_fma_f64 v[4:5], v[84:85], v[20:21], -v[4:5]
	v_add_f64 v[2:3], v[2:3], v[4:5]
	v_mul_f64 v[4:5], v[90:91], v[8:9]
	s_waitcnt vmcnt(36) lgkmcnt(1)
	v_mul_f64 v[138:139], v[128:129], v[74:75]
	v_fma_f64 v[4:5], v[88:89], v[18:19], -v[4:5]
	s_waitcnt vmcnt(34)
	v_fmac_f64_e32 v[138:139], v[130:131], v[76:77]
	v_add_f64 v[2:3], v[2:3], v[4:5]
	v_mul_f64 v[4:5], v[94:95], v[14:15]
	v_add_f64 v[140:141], v[136:137], v[138:139]
	ds_read_b128 v[136:139], v78 offset:528
	s_waitcnt vmcnt(32) lgkmcnt(1)
	v_mul_f64 v[142:143], v[132:133], v[70:71]
	v_fma_f64 v[4:5], v[92:93], v[16:17], -v[4:5]
	v_fmac_f64_e32 v[142:143], v[134:135], v[72:73]
	v_add_f64 v[2:3], v[2:3], v[4:5]
	v_mul_f64 v[4:5], v[98:99], v[10:11]
	v_add_f64 v[144:145], v[140:141], v[142:143]
	ds_read_b128 v[140:143], v78 offset:544
	v_fma_f64 v[4:5], v[96:97], v[12:13], -v[4:5]
	v_add_f64 v[2:3], v[2:3], v[4:5]
	v_mul_f64 v[4:5], v[122:123], v[26:27]
	v_fma_f64 v[4:5], v[120:121], v[28:29], -v[4:5]
	s_waitcnt vmcnt(28) lgkmcnt(1)
	v_mul_f64 v[146:147], v[136:137], v[168:169]
	v_add_f64 v[2:3], v[2:3], v[4:5]
	v_mul_f64 v[4:5], v[126:127], v[22:23]
	s_waitcnt vmcnt(26)
	v_fmac_f64_e32 v[146:147], v[138:139], v[170:171]
	v_fma_f64 v[4:5], v[124:125], v[24:25], -v[4:5]
	v_add_f64 v[148:149], v[144:145], v[146:147]
	ds_read_b128 v[144:147], v78 offset:560
	s_waitcnt vmcnt(24) lgkmcnt(1)
	v_mul_f64 v[150:151], v[140:141], v[164:165]
	v_add_f64 v[2:3], v[2:3], v[4:5]
	v_mul_f64 v[4:5], v[130:131], v[74:75]
	v_fmac_f64_e32 v[150:151], v[142:143], v[166:167]
	v_fma_f64 v[4:5], v[128:129], v[76:77], -v[4:5]
	v_add_f64 v[152:153], v[148:149], v[150:151]
	ds_read_b128 v[148:151], v78 offset:576
	v_add_f64 v[2:3], v[2:3], v[4:5]
	v_mul_f64 v[4:5], v[134:135], v[70:71]
	v_fma_f64 v[4:5], v[132:133], v[72:73], -v[4:5]
	v_add_f64 v[2:3], v[2:3], v[4:5]
	v_mul_f64 v[4:5], v[138:139], v[168:169]
	s_waitcnt vmcnt(20) lgkmcnt(1)
	v_mul_f64 v[154:155], v[144:145], v[176:177]
	v_fma_f64 v[4:5], v[136:137], v[170:171], -v[4:5]
	s_waitcnt vmcnt(18)
	v_fmac_f64_e32 v[154:155], v[146:147], v[178:179]
	v_add_f64 v[2:3], v[2:3], v[4:5]
	v_mul_f64 v[4:5], v[142:143], v[164:165]
	v_add_f64 v[156:157], v[152:153], v[154:155]
	ds_read_b128 v[152:155], v78 offset:592
	s_waitcnt vmcnt(16) lgkmcnt(1)
	v_mul_f64 v[158:159], v[148:149], v[172:173]
	v_fma_f64 v[4:5], v[140:141], v[166:167], -v[4:5]
	v_fmac_f64_e32 v[158:159], v[150:151], v[174:175]
	v_add_f64 v[2:3], v[2:3], v[4:5]
	v_mul_f64 v[4:5], v[146:147], v[176:177]
	v_add_f64 v[196:197], v[156:157], v[158:159]
	ds_read_b128 v[156:159], v78 offset:608
	v_fma_f64 v[4:5], v[144:145], v[178:179], -v[4:5]
	v_add_f64 v[2:3], v[2:3], v[4:5]
	v_mul_f64 v[4:5], v[150:151], v[172:173]
	v_fma_f64 v[4:5], v[148:149], v[174:175], -v[4:5]
	v_add_f64 v[2:3], v[2:3], v[4:5]
	s_waitcnt vmcnt(12) lgkmcnt(1)
	v_mul_f64 v[4:5], v[154:155], v[184:185]
	v_mul_f64 v[198:199], v[152:153], v[184:185]
	s_waitcnt vmcnt(10)
	v_fma_f64 v[4:5], v[152:153], v[186:187], -v[4:5]
	v_fmac_f64_e32 v[198:199], v[154:155], v[186:187]
	v_add_f64 v[2:3], v[2:3], v[4:5]
	s_waitcnt vmcnt(8) lgkmcnt(0)
	v_mul_f64 v[4:5], v[158:159], v[180:181]
	v_add_f64 v[78:79], v[196:197], v[198:199]
	v_mul_f64 v[196:197], v[156:157], v[180:181]
	v_fma_f64 v[4:5], v[156:157], v[182:183], -v[4:5]
	v_fmac_f64_e32 v[196:197], v[158:159], v[182:183]
	v_add_f64 v[2:3], v[2:3], v[4:5]
	s_waitcnt vmcnt(6)
	v_mul_f64 v[4:5], v[162:163], v[188:189]
	v_add_f64 v[78:79], v[78:79], v[196:197]
	v_mul_f64 v[196:197], v[160:161], v[188:189]
	s_waitcnt vmcnt(4)
	v_fma_f64 v[4:5], v[160:161], v[190:191], -v[4:5]
	v_fmac_f64_e32 v[196:197], v[162:163], v[190:191]
	v_add_f64 v[2:3], v[2:3], v[4:5]
	v_add_f64 v[78:79], v[78:79], v[196:197]
	s_waitcnt vmcnt(2)
	v_add_f64 v[2:3], v[192:193], -v[2:3]
	s_waitcnt vmcnt(0)
	v_add_f64 v[4:5], v[194:195], -v[78:79]
	buffer_store_dword v3, off, s[0:3], 0 offset:52
	buffer_store_dword v2, off, s[0:3], 0 offset:48
	;; [unrolled: 1-line block ×4, first 2 shown]
	s_and_saveexec_b64 s[6:7], vcc
	s_cbranch_execz .LBB19_129
; %bb.128:
	buffer_load_dword v2, v117, s[0:3], 0 offen
	buffer_load_dword v3, v117, s[0:3], 0 offen offset:4
	buffer_load_dword v4, v117, s[0:3], 0 offen offset:8
	;; [unrolled: 1-line block ×3, first 2 shown]
	v_mov_b32_e32 v6, 0
	buffer_store_dword v6, off, s[0:3], 0 offset:32
	buffer_store_dword v6, off, s[0:3], 0 offset:36
	;; [unrolled: 1-line block ×4, first 2 shown]
	s_waitcnt vmcnt(4)
	ds_write_b128 v119, v[2:5]
.LBB19_129:
	s_or_b64 exec, exec, s[6:7]
	s_waitcnt lgkmcnt(0)
	; wave barrier
	s_waitcnt lgkmcnt(0)
	buffer_load_dword v2, off, s[0:3], 0 offset:48
	buffer_load_dword v3, off, s[0:3], 0 offset:52
	;; [unrolled: 1-line block ×68, first 2 shown]
	v_mov_b32_e32 v86, 0
	ds_read_b128 v[82:85], v86 offset:368
	ds_read_b128 v[88:91], v86 offset:384
	buffer_load_dword v200, off, s[0:3], 0 offset:32
	buffer_load_dword v201, off, s[0:3], 0 offset:36
	;; [unrolled: 1-line block ×4, first 2 shown]
	ds_read_b128 v[92:95], v86 offset:400
	ds_read_b128 v[96:99], v86 offset:416
	;; [unrolled: 1-line block ×3, first 2 shown]
	v_cmp_lt_u32_e32 vcc, 1, v118
	s_waitcnt vmcnt(62) lgkmcnt(4)
	v_mul_f64 v[120:121], v[82:83], v[8:9]
	v_fmac_f64_e32 v[120:121], v[84:85], v[2:3]
	v_add_f64 v[120:121], v[120:121], 0
	v_mul_f64 v[8:9], v[84:85], v[8:9]
	s_waitcnt lgkmcnt(3)
	v_mul_f64 v[122:123], v[88:89], v[10:11]
	v_fmac_f64_e32 v[122:123], v[90:91], v[4:5]
	v_add_f64 v[120:121], v[120:121], v[122:123]
	v_fma_f64 v[2:3], v[82:83], v[2:3], -v[8:9]
	s_waitcnt vmcnt(60) lgkmcnt(2)
	v_mul_f64 v[122:123], v[92:93], v[12:13]
	v_fmac_f64_e32 v[122:123], v[94:95], v[6:7]
	v_add_f64 v[124:125], v[120:121], v[122:123]
	ds_read_b128 v[120:123], v86 offset:432
	s_waitcnt vmcnt(56) lgkmcnt(2)
	v_mul_f64 v[126:127], v[96:97], v[18:19]
	v_mul_f64 v[8:9], v[90:91], v[10:11]
	s_waitcnt vmcnt(54)
	v_fmac_f64_e32 v[126:127], v[98:99], v[20:21]
	v_add_f64 v[128:129], v[124:125], v[126:127]
	ds_read_b128 v[124:127], v86 offset:448
	s_waitcnt vmcnt(52) lgkmcnt(1)
	v_mul_f64 v[130:131], v[120:121], v[14:15]
	v_fmac_f64_e32 v[130:131], v[122:123], v[16:17]
	v_add_f64 v[132:133], v[128:129], v[130:131]
	ds_read_b128 v[128:131], v86 offset:464
	s_waitcnt vmcnt(48) lgkmcnt(1)
	v_mul_f64 v[134:135], v[124:125], v[26:27]
	s_waitcnt vmcnt(46)
	v_fmac_f64_e32 v[134:135], v[126:127], v[28:29]
	v_add_f64 v[136:137], v[132:133], v[134:135]
	ds_read_b128 v[132:135], v86 offset:480
	s_waitcnt vmcnt(44) lgkmcnt(1)
	v_mul_f64 v[138:139], v[128:129], v[22:23]
	v_fmac_f64_e32 v[138:139], v[130:131], v[24:25]
	v_add_f64 v[140:141], v[136:137], v[138:139]
	ds_read_b128 v[136:139], v86 offset:496
	s_waitcnt vmcnt(40) lgkmcnt(1)
	v_mul_f64 v[142:143], v[132:133], v[74:75]
	s_waitcnt vmcnt(38)
	v_fmac_f64_e32 v[142:143], v[134:135], v[76:77]
	v_add_f64 v[2:3], v[2:3], 0
	v_fma_f64 v[4:5], v[88:89], v[4:5], -v[8:9]
	v_add_f64 v[144:145], v[140:141], v[142:143]
	ds_read_b128 v[140:143], v86 offset:512
	v_add_f64 v[2:3], v[2:3], v[4:5]
	v_mul_f64 v[4:5], v[94:95], v[12:13]
	v_fma_f64 v[4:5], v[92:93], v[6:7], -v[4:5]
	v_add_f64 v[2:3], v[2:3], v[4:5]
	v_mul_f64 v[4:5], v[98:99], v[18:19]
	s_waitcnt vmcnt(36) lgkmcnt(1)
	v_mul_f64 v[146:147], v[136:137], v[70:71]
	v_fma_f64 v[4:5], v[96:97], v[20:21], -v[4:5]
	v_fmac_f64_e32 v[146:147], v[138:139], v[72:73]
	v_add_f64 v[2:3], v[2:3], v[4:5]
	v_mul_f64 v[4:5], v[122:123], v[14:15]
	v_add_f64 v[148:149], v[144:145], v[146:147]
	ds_read_b128 v[144:147], v86 offset:528
	s_waitcnt vmcnt(32) lgkmcnt(1)
	v_mul_f64 v[150:151], v[140:141], v[172:173]
	v_fma_f64 v[4:5], v[120:121], v[16:17], -v[4:5]
	s_waitcnt vmcnt(30)
	v_fmac_f64_e32 v[150:151], v[142:143], v[174:175]
	v_add_f64 v[2:3], v[2:3], v[4:5]
	v_mul_f64 v[4:5], v[126:127], v[26:27]
	v_add_f64 v[152:153], v[148:149], v[150:151]
	ds_read_b128 v[148:151], v86 offset:544
	v_fma_f64 v[4:5], v[124:125], v[28:29], -v[4:5]
	v_add_f64 v[2:3], v[2:3], v[4:5]
	v_mul_f64 v[4:5], v[130:131], v[22:23]
	v_fma_f64 v[4:5], v[128:129], v[24:25], -v[4:5]
	s_waitcnt vmcnt(28) lgkmcnt(1)
	v_mul_f64 v[154:155], v[144:145], v[78:79]
	v_add_f64 v[2:3], v[2:3], v[4:5]
	v_mul_f64 v[4:5], v[134:135], v[74:75]
	v_fmac_f64_e32 v[154:155], v[146:147], v[80:81]
	v_fma_f64 v[4:5], v[132:133], v[76:77], -v[4:5]
	v_add_f64 v[156:157], v[152:153], v[154:155]
	ds_read_b128 v[152:155], v86 offset:560
	s_waitcnt vmcnt(24) lgkmcnt(1)
	v_mul_f64 v[158:159], v[148:149], v[180:181]
	v_add_f64 v[2:3], v[2:3], v[4:5]
	v_mul_f64 v[4:5], v[138:139], v[70:71]
	s_waitcnt vmcnt(22)
	v_fmac_f64_e32 v[158:159], v[150:151], v[182:183]
	v_fma_f64 v[4:5], v[136:137], v[72:73], -v[4:5]
	v_add_f64 v[160:161], v[156:157], v[158:159]
	ds_read_b128 v[156:159], v86 offset:576
	v_add_f64 v[2:3], v[2:3], v[4:5]
	v_mul_f64 v[4:5], v[142:143], v[172:173]
	v_fma_f64 v[4:5], v[140:141], v[174:175], -v[4:5]
	v_add_f64 v[2:3], v[2:3], v[4:5]
	v_mul_f64 v[4:5], v[146:147], v[78:79]
	s_waitcnt vmcnt(20) lgkmcnt(1)
	v_mul_f64 v[162:163], v[152:153], v[176:177]
	v_fma_f64 v[4:5], v[144:145], v[80:81], -v[4:5]
	v_fmac_f64_e32 v[162:163], v[154:155], v[178:179]
	v_add_f64 v[2:3], v[2:3], v[4:5]
	v_mul_f64 v[4:5], v[150:151], v[180:181]
	v_add_f64 v[164:165], v[160:161], v[162:163]
	ds_read_b128 v[160:163], v86 offset:592
	s_waitcnt vmcnt(16) lgkmcnt(1)
	v_mul_f64 v[166:167], v[156:157], v[188:189]
	v_fma_f64 v[4:5], v[148:149], v[182:183], -v[4:5]
	s_waitcnt vmcnt(14)
	v_fmac_f64_e32 v[166:167], v[158:159], v[190:191]
	v_add_f64 v[2:3], v[2:3], v[4:5]
	v_mul_f64 v[4:5], v[154:155], v[176:177]
	v_add_f64 v[204:205], v[164:165], v[166:167]
	ds_read_b128 v[164:167], v86 offset:608
	v_fma_f64 v[4:5], v[152:153], v[178:179], -v[4:5]
	v_add_f64 v[2:3], v[2:3], v[4:5]
	v_mul_f64 v[4:5], v[158:159], v[188:189]
	v_fma_f64 v[4:5], v[156:157], v[190:191], -v[4:5]
	v_add_f64 v[2:3], v[2:3], v[4:5]
	s_waitcnt vmcnt(12) lgkmcnt(1)
	v_mul_f64 v[4:5], v[162:163], v[184:185]
	v_mul_f64 v[206:207], v[160:161], v[184:185]
	v_fma_f64 v[4:5], v[160:161], v[186:187], -v[4:5]
	v_fmac_f64_e32 v[206:207], v[162:163], v[186:187]
	v_add_f64 v[2:3], v[2:3], v[4:5]
	s_waitcnt vmcnt(8) lgkmcnt(0)
	v_mul_f64 v[4:5], v[166:167], v[196:197]
	v_add_f64 v[204:205], v[204:205], v[206:207]
	v_mul_f64 v[206:207], v[164:165], v[196:197]
	s_waitcnt vmcnt(6)
	v_fma_f64 v[4:5], v[164:165], v[198:199], -v[4:5]
	v_fmac_f64_e32 v[206:207], v[166:167], v[198:199]
	v_add_f64 v[2:3], v[2:3], v[4:5]
	s_waitcnt vmcnt(5)
	v_mul_f64 v[4:5], v[170:171], v[192:193]
	v_add_f64 v[204:205], v[204:205], v[206:207]
	v_mul_f64 v[206:207], v[168:169], v[192:193]
	s_waitcnt vmcnt(4)
	v_fma_f64 v[4:5], v[168:169], v[194:195], -v[4:5]
	v_fmac_f64_e32 v[206:207], v[170:171], v[194:195]
	v_add_f64 v[2:3], v[2:3], v[4:5]
	v_add_f64 v[204:205], v[204:205], v[206:207]
	s_waitcnt vmcnt(2)
	v_add_f64 v[2:3], v[200:201], -v[2:3]
	s_waitcnt vmcnt(0)
	v_add_f64 v[4:5], v[202:203], -v[204:205]
	buffer_store_dword v3, off, s[0:3], 0 offset:36
	buffer_store_dword v2, off, s[0:3], 0 offset:32
	;; [unrolled: 1-line block ×4, first 2 shown]
	s_and_saveexec_b64 s[6:7], vcc
	s_cbranch_execz .LBB19_131
; %bb.130:
	buffer_load_dword v2, v115, s[0:3], 0 offen
	buffer_load_dword v3, v115, s[0:3], 0 offen offset:4
	buffer_load_dword v4, v115, s[0:3], 0 offen offset:8
	;; [unrolled: 1-line block ×3, first 2 shown]
	s_nop 0
	buffer_store_dword v86, off, s[0:3], 0 offset:16
	buffer_store_dword v86, off, s[0:3], 0 offset:20
	buffer_store_dword v86, off, s[0:3], 0 offset:24
	buffer_store_dword v86, off, s[0:3], 0 offset:28
	s_waitcnt vmcnt(4)
	ds_write_b128 v119, v[2:5]
.LBB19_131:
	s_or_b64 exec, exec, s[6:7]
	s_waitcnt lgkmcnt(0)
	; wave barrier
	s_waitcnt lgkmcnt(0)
	buffer_load_dword v2, off, s[0:3], 0 offset:32
	buffer_load_dword v3, off, s[0:3], 0 offset:36
	;; [unrolled: 1-line block ×72, first 2 shown]
	ds_read_b128 v[88:91], v86 offset:352
	buffer_load_dword v208, off, s[0:3], 0 offset:16
	buffer_load_dword v209, off, s[0:3], 0 offset:20
	;; [unrolled: 1-line block ×4, first 2 shown]
	ds_read_b128 v[92:95], v86 offset:368
	ds_read_b128 v[96:99], v86 offset:384
	;; [unrolled: 1-line block ×3, first 2 shown]
	v_cmp_ne_u32_e32 vcc, 0, v118
	ds_read_b128 v[176:179], v86 offset:624
	s_waitcnt vmcnt(62) lgkmcnt(4)
	v_mul_f64 v[124:125], v[88:89], v[8:9]
	v_fmac_f64_e32 v[124:125], v[90:91], v[2:3]
	v_add_f64 v[124:125], v[124:125], 0
	v_mul_f64 v[8:9], v[90:91], v[8:9]
	s_waitcnt lgkmcnt(3)
	v_mul_f64 v[126:127], v[92:93], v[10:11]
	v_fmac_f64_e32 v[126:127], v[94:95], v[4:5]
	v_add_f64 v[124:125], v[124:125], v[126:127]
	v_fma_f64 v[2:3], v[88:89], v[2:3], -v[8:9]
	s_waitcnt lgkmcnt(2)
	v_mul_f64 v[126:127], v[96:97], v[12:13]
	v_fmac_f64_e32 v[126:127], v[98:99], v[6:7]
	v_add_f64 v[128:129], v[124:125], v[126:127]
	ds_read_b128 v[124:127], v86 offset:416
	s_waitcnt vmcnt(60) lgkmcnt(2)
	v_mul_f64 v[130:131], v[120:121], v[18:19]
	v_mul_f64 v[8:9], v[94:95], v[10:11]
	s_waitcnt vmcnt(58)
	v_fmac_f64_e32 v[130:131], v[122:123], v[20:21]
	v_add_f64 v[132:133], v[128:129], v[130:131]
	ds_read_b128 v[128:131], v86 offset:432
	s_waitcnt vmcnt(56) lgkmcnt(1)
	v_mul_f64 v[134:135], v[124:125], v[14:15]
	v_fmac_f64_e32 v[134:135], v[126:127], v[16:17]
	v_add_f64 v[136:137], v[132:133], v[134:135]
	ds_read_b128 v[132:135], v86 offset:448
	s_waitcnt vmcnt(52) lgkmcnt(1)
	v_mul_f64 v[138:139], v[128:129], v[26:27]
	s_waitcnt vmcnt(50)
	v_fmac_f64_e32 v[138:139], v[130:131], v[28:29]
	v_add_f64 v[140:141], v[136:137], v[138:139]
	ds_read_b128 v[136:139], v86 offset:464
	s_waitcnt vmcnt(48) lgkmcnt(1)
	v_mul_f64 v[142:143], v[132:133], v[22:23]
	v_fmac_f64_e32 v[142:143], v[134:135], v[24:25]
	v_add_f64 v[144:145], v[140:141], v[142:143]
	ds_read_b128 v[140:143], v86 offset:480
	s_waitcnt vmcnt(44) lgkmcnt(1)
	v_mul_f64 v[146:147], v[136:137], v[74:75]
	s_waitcnt vmcnt(42)
	v_fmac_f64_e32 v[146:147], v[138:139], v[76:77]
	v_add_f64 v[2:3], v[2:3], 0
	v_fma_f64 v[4:5], v[92:93], v[4:5], -v[8:9]
	v_add_f64 v[148:149], v[144:145], v[146:147]
	ds_read_b128 v[144:147], v86 offset:496
	s_waitcnt vmcnt(40) lgkmcnt(1)
	v_mul_f64 v[150:151], v[140:141], v[70:71]
	v_add_f64 v[2:3], v[2:3], v[4:5]
	v_mul_f64 v[4:5], v[98:99], v[12:13]
	v_fmac_f64_e32 v[150:151], v[142:143], v[72:73]
	v_fma_f64 v[4:5], v[96:97], v[6:7], -v[4:5]
	v_add_f64 v[152:153], v[148:149], v[150:151]
	ds_read_b128 v[148:151], v86 offset:512
	v_add_f64 v[2:3], v[2:3], v[4:5]
	v_mul_f64 v[4:5], v[122:123], v[18:19]
	v_fma_f64 v[4:5], v[120:121], v[20:21], -v[4:5]
	v_add_f64 v[2:3], v[2:3], v[4:5]
	v_mul_f64 v[4:5], v[126:127], v[14:15]
	s_waitcnt vmcnt(36) lgkmcnt(1)
	v_mul_f64 v[154:155], v[144:145], v[82:83]
	v_fma_f64 v[4:5], v[124:125], v[16:17], -v[4:5]
	s_waitcnt vmcnt(34)
	v_fmac_f64_e32 v[154:155], v[146:147], v[84:85]
	v_add_f64 v[2:3], v[2:3], v[4:5]
	v_mul_f64 v[4:5], v[130:131], v[26:27]
	v_add_f64 v[156:157], v[152:153], v[154:155]
	ds_read_b128 v[152:155], v86 offset:528
	s_waitcnt vmcnt(32) lgkmcnt(1)
	v_mul_f64 v[158:159], v[148:149], v[78:79]
	v_fma_f64 v[4:5], v[128:129], v[28:29], -v[4:5]
	v_fmac_f64_e32 v[158:159], v[150:151], v[80:81]
	v_add_f64 v[2:3], v[2:3], v[4:5]
	v_mul_f64 v[4:5], v[134:135], v[22:23]
	v_add_f64 v[160:161], v[156:157], v[158:159]
	ds_read_b128 v[156:159], v86 offset:544
	v_fma_f64 v[4:5], v[132:133], v[24:25], -v[4:5]
	v_add_f64 v[2:3], v[2:3], v[4:5]
	v_mul_f64 v[4:5], v[138:139], v[74:75]
	v_fma_f64 v[4:5], v[136:137], v[76:77], -v[4:5]
	s_waitcnt vmcnt(28) lgkmcnt(1)
	v_mul_f64 v[162:163], v[152:153], v[184:185]
	v_add_f64 v[2:3], v[2:3], v[4:5]
	v_mul_f64 v[4:5], v[142:143], v[70:71]
	s_waitcnt vmcnt(26)
	v_fmac_f64_e32 v[162:163], v[154:155], v[186:187]
	v_fma_f64 v[4:5], v[140:141], v[72:73], -v[4:5]
	v_add_f64 v[164:165], v[160:161], v[162:163]
	ds_read_b128 v[160:163], v86 offset:560
	s_waitcnt vmcnt(24) lgkmcnt(1)
	v_mul_f64 v[166:167], v[156:157], v[180:181]
	v_add_f64 v[2:3], v[2:3], v[4:5]
	v_mul_f64 v[4:5], v[146:147], v[82:83]
	v_fmac_f64_e32 v[166:167], v[158:159], v[182:183]
	v_fma_f64 v[4:5], v[144:145], v[84:85], -v[4:5]
	v_add_f64 v[168:169], v[164:165], v[166:167]
	ds_read_b128 v[164:167], v86 offset:576
	v_add_f64 v[2:3], v[2:3], v[4:5]
	v_mul_f64 v[4:5], v[150:151], v[78:79]
	v_fma_f64 v[4:5], v[148:149], v[80:81], -v[4:5]
	v_add_f64 v[2:3], v[2:3], v[4:5]
	v_mul_f64 v[4:5], v[154:155], v[184:185]
	s_waitcnt vmcnt(20) lgkmcnt(1)
	v_mul_f64 v[170:171], v[160:161], v[192:193]
	v_fma_f64 v[4:5], v[152:153], v[186:187], -v[4:5]
	s_waitcnt vmcnt(18)
	v_fmac_f64_e32 v[170:171], v[162:163], v[194:195]
	v_add_f64 v[2:3], v[2:3], v[4:5]
	v_mul_f64 v[4:5], v[158:159], v[180:181]
	v_add_f64 v[172:173], v[168:169], v[170:171]
	ds_read_b128 v[168:171], v86 offset:592
	s_waitcnt vmcnt(16) lgkmcnt(1)
	v_mul_f64 v[174:175], v[164:165], v[188:189]
	v_fma_f64 v[4:5], v[156:157], v[182:183], -v[4:5]
	v_fmac_f64_e32 v[174:175], v[166:167], v[190:191]
	v_add_f64 v[2:3], v[2:3], v[4:5]
	v_mul_f64 v[4:5], v[162:163], v[192:193]
	v_add_f64 v[212:213], v[172:173], v[174:175]
	ds_read_b128 v[172:175], v86 offset:608
	v_fma_f64 v[4:5], v[160:161], v[194:195], -v[4:5]
	v_add_f64 v[2:3], v[2:3], v[4:5]
	v_mul_f64 v[4:5], v[166:167], v[188:189]
	v_fma_f64 v[4:5], v[164:165], v[190:191], -v[4:5]
	v_add_f64 v[2:3], v[2:3], v[4:5]
	s_waitcnt vmcnt(12) lgkmcnt(1)
	v_mul_f64 v[4:5], v[170:171], v[200:201]
	v_mul_f64 v[214:215], v[168:169], v[200:201]
	s_waitcnt vmcnt(10)
	v_fma_f64 v[4:5], v[168:169], v[202:203], -v[4:5]
	v_fmac_f64_e32 v[214:215], v[170:171], v[202:203]
	v_add_f64 v[2:3], v[2:3], v[4:5]
	s_waitcnt vmcnt(8) lgkmcnt(0)
	v_mul_f64 v[4:5], v[174:175], v[196:197]
	v_add_f64 v[86:87], v[212:213], v[214:215]
	v_mul_f64 v[212:213], v[172:173], v[196:197]
	v_fma_f64 v[4:5], v[172:173], v[198:199], -v[4:5]
	v_fmac_f64_e32 v[212:213], v[174:175], v[198:199]
	v_add_f64 v[2:3], v[2:3], v[4:5]
	s_waitcnt vmcnt(6)
	v_mul_f64 v[4:5], v[178:179], v[204:205]
	v_add_f64 v[86:87], v[86:87], v[212:213]
	v_mul_f64 v[212:213], v[176:177], v[204:205]
	s_waitcnt vmcnt(4)
	v_fma_f64 v[4:5], v[176:177], v[206:207], -v[4:5]
	v_fmac_f64_e32 v[212:213], v[178:179], v[206:207]
	v_add_f64 v[2:3], v[2:3], v[4:5]
	v_add_f64 v[86:87], v[86:87], v[212:213]
	s_waitcnt vmcnt(2)
	v_add_f64 v[2:3], v[208:209], -v[2:3]
	s_waitcnt vmcnt(0)
	v_add_f64 v[4:5], v[210:211], -v[86:87]
	buffer_store_dword v3, off, s[0:3], 0 offset:20
	buffer_store_dword v2, off, s[0:3], 0 offset:16
	;; [unrolled: 1-line block ×4, first 2 shown]
	s_and_saveexec_b64 s[6:7], vcc
	s_cbranch_execz .LBB19_133
; %bb.132:
	buffer_load_dword v2, off, s[0:3], 0
	buffer_load_dword v3, off, s[0:3], 0 offset:4
	buffer_load_dword v4, off, s[0:3], 0 offset:8
	;; [unrolled: 1-line block ×3, first 2 shown]
	v_mov_b32_e32 v6, 0
	buffer_store_dword v6, off, s[0:3], 0
	buffer_store_dword v6, off, s[0:3], 0 offset:4
	buffer_store_dword v6, off, s[0:3], 0 offset:8
	;; [unrolled: 1-line block ×3, first 2 shown]
	s_waitcnt vmcnt(4)
	ds_write_b128 v119, v[2:5]
.LBB19_133:
	s_or_b64 exec, exec, s[6:7]
	s_waitcnt lgkmcnt(0)
	; wave barrier
	s_waitcnt lgkmcnt(0)
	buffer_load_dword v2, off, s[0:3], 0 offset:16
	buffer_load_dword v3, off, s[0:3], 0 offset:20
	;; [unrolled: 1-line block ×76, first 2 shown]
	v_mov_b32_e32 v119, 0
	ds_read_b128 v[94:97], v119 offset:336
	buffer_load_dword v214, off, s[0:3], 0
	buffer_load_dword v215, off, s[0:3], 0 offset:4
	buffer_load_dword v216, off, s[0:3], 0 offset:8
	;; [unrolled: 1-line block ×3, first 2 shown]
	ds_read_b128 v[120:123], v119 offset:352
	ds_read_b128 v[124:127], v119 offset:368
	;; [unrolled: 1-line block ×4, first 2 shown]
	s_and_b64 vcc, exec, s[26:27]
	s_waitcnt vmcnt(62) lgkmcnt(4)
	v_mul_f64 v[132:133], v[94:95], v[8:9]
	v_fmac_f64_e32 v[132:133], v[96:97], v[2:3]
	v_add_f64 v[132:133], v[132:133], 0
	v_mul_f64 v[8:9], v[96:97], v[8:9]
	s_waitcnt lgkmcnt(3)
	v_mul_f64 v[134:135], v[120:121], v[10:11]
	v_fmac_f64_e32 v[134:135], v[122:123], v[4:5]
	v_add_f64 v[132:133], v[132:133], v[134:135]
	v_fma_f64 v[2:3], v[94:95], v[2:3], -v[8:9]
	s_waitcnt lgkmcnt(2)
	v_mul_f64 v[134:135], v[124:125], v[12:13]
	v_fmac_f64_e32 v[134:135], v[126:127], v[6:7]
	v_add_f64 v[136:137], v[132:133], v[134:135]
	ds_read_b128 v[132:135], v119 offset:400
	s_waitcnt lgkmcnt(2)
	v_mul_f64 v[138:139], v[128:129], v[18:19]
	v_mul_f64 v[8:9], v[122:123], v[10:11]
	v_fmac_f64_e32 v[138:139], v[130:131], v[20:21]
	v_add_f64 v[140:141], v[136:137], v[138:139]
	ds_read_b128 v[136:139], v119 offset:416
	s_waitcnt vmcnt(60) lgkmcnt(1)
	v_mul_f64 v[142:143], v[132:133], v[14:15]
	v_fmac_f64_e32 v[142:143], v[134:135], v[16:17]
	v_add_f64 v[144:145], v[140:141], v[142:143]
	ds_read_b128 v[140:143], v119 offset:432
	s_waitcnt vmcnt(56) lgkmcnt(1)
	v_mul_f64 v[146:147], v[136:137], v[26:27]
	s_waitcnt vmcnt(54)
	v_fmac_f64_e32 v[146:147], v[138:139], v[28:29]
	v_add_f64 v[148:149], v[144:145], v[146:147]
	ds_read_b128 v[144:147], v119 offset:448
	s_waitcnt vmcnt(52) lgkmcnt(1)
	v_mul_f64 v[150:151], v[140:141], v[22:23]
	v_fmac_f64_e32 v[150:151], v[142:143], v[24:25]
	v_add_f64 v[152:153], v[148:149], v[150:151]
	ds_read_b128 v[148:151], v119 offset:464
	s_waitcnt vmcnt(48) lgkmcnt(1)
	v_mul_f64 v[154:155], v[144:145], v[74:75]
	s_waitcnt vmcnt(46)
	v_fmac_f64_e32 v[154:155], v[146:147], v[76:77]
	v_add_f64 v[156:157], v[152:153], v[154:155]
	ds_read_b128 v[152:155], v119 offset:480
	v_add_f64 v[2:3], v[2:3], 0
	v_fma_f64 v[4:5], v[120:121], v[4:5], -v[8:9]
	s_waitcnt vmcnt(44) lgkmcnt(1)
	v_mul_f64 v[158:159], v[148:149], v[70:71]
	v_add_f64 v[2:3], v[2:3], v[4:5]
	v_mul_f64 v[4:5], v[126:127], v[12:13]
	v_fmac_f64_e32 v[158:159], v[150:151], v[72:73]
	v_fma_f64 v[4:5], v[124:125], v[6:7], -v[4:5]
	v_add_f64 v[160:161], v[156:157], v[158:159]
	ds_read_b128 v[156:159], v119 offset:496
	s_waitcnt vmcnt(40) lgkmcnt(1)
	v_mul_f64 v[162:163], v[152:153], v[82:83]
	v_add_f64 v[2:3], v[2:3], v[4:5]
	v_mul_f64 v[4:5], v[130:131], v[18:19]
	s_waitcnt vmcnt(38)
	v_fmac_f64_e32 v[162:163], v[154:155], v[84:85]
	v_fma_f64 v[4:5], v[128:129], v[20:21], -v[4:5]
	v_add_f64 v[164:165], v[160:161], v[162:163]
	ds_read_b128 v[160:163], v119 offset:512
	v_add_f64 v[2:3], v[2:3], v[4:5]
	v_mul_f64 v[4:5], v[134:135], v[14:15]
	v_fma_f64 v[4:5], v[132:133], v[16:17], -v[4:5]
	v_add_f64 v[2:3], v[2:3], v[4:5]
	v_mul_f64 v[4:5], v[138:139], v[26:27]
	s_waitcnt vmcnt(36) lgkmcnt(1)
	v_mul_f64 v[166:167], v[156:157], v[78:79]
	v_fma_f64 v[4:5], v[136:137], v[28:29], -v[4:5]
	v_fmac_f64_e32 v[166:167], v[158:159], v[80:81]
	v_add_f64 v[2:3], v[2:3], v[4:5]
	v_mul_f64 v[4:5], v[142:143], v[22:23]
	v_add_f64 v[168:169], v[164:165], v[166:167]
	ds_read_b128 v[164:167], v119 offset:528
	s_waitcnt vmcnt(32) lgkmcnt(1)
	v_mul_f64 v[170:171], v[160:161], v[90:91]
	v_fma_f64 v[4:5], v[140:141], v[24:25], -v[4:5]
	s_waitcnt vmcnt(30)
	v_fmac_f64_e32 v[170:171], v[162:163], v[92:93]
	v_add_f64 v[2:3], v[2:3], v[4:5]
	v_mul_f64 v[4:5], v[146:147], v[74:75]
	v_add_f64 v[172:173], v[168:169], v[170:171]
	ds_read_b128 v[168:171], v119 offset:544
	v_fma_f64 v[4:5], v[144:145], v[76:77], -v[4:5]
	v_add_f64 v[2:3], v[2:3], v[4:5]
	v_mul_f64 v[4:5], v[150:151], v[70:71]
	v_fma_f64 v[4:5], v[148:149], v[72:73], -v[4:5]
	s_waitcnt vmcnt(28) lgkmcnt(1)
	v_mul_f64 v[174:175], v[164:165], v[86:87]
	v_add_f64 v[2:3], v[2:3], v[4:5]
	v_mul_f64 v[4:5], v[154:155], v[82:83]
	v_fmac_f64_e32 v[174:175], v[166:167], v[88:89]
	v_fma_f64 v[4:5], v[152:153], v[84:85], -v[4:5]
	v_add_f64 v[176:177], v[172:173], v[174:175]
	ds_read_b128 v[172:175], v119 offset:560
	s_waitcnt vmcnt(24) lgkmcnt(1)
	v_mul_f64 v[178:179], v[168:169], v[194:195]
	v_add_f64 v[2:3], v[2:3], v[4:5]
	v_mul_f64 v[4:5], v[158:159], v[78:79]
	s_waitcnt vmcnt(22)
	v_fmac_f64_e32 v[178:179], v[170:171], v[196:197]
	v_fma_f64 v[4:5], v[156:157], v[80:81], -v[4:5]
	v_add_f64 v[180:181], v[176:177], v[178:179]
	ds_read_b128 v[176:179], v119 offset:576
	v_add_f64 v[2:3], v[2:3], v[4:5]
	v_mul_f64 v[4:5], v[162:163], v[90:91]
	v_fma_f64 v[4:5], v[160:161], v[92:93], -v[4:5]
	v_add_f64 v[2:3], v[2:3], v[4:5]
	v_mul_f64 v[4:5], v[166:167], v[86:87]
	s_waitcnt vmcnt(20) lgkmcnt(1)
	v_mul_f64 v[182:183], v[172:173], v[98:99]
	v_fma_f64 v[4:5], v[164:165], v[88:89], -v[4:5]
	v_fmac_f64_e32 v[182:183], v[174:175], v[192:193]
	v_add_f64 v[2:3], v[2:3], v[4:5]
	v_mul_f64 v[4:5], v[170:171], v[194:195]
	v_add_f64 v[184:185], v[180:181], v[182:183]
	ds_read_b128 v[180:183], v119 offset:592
	s_waitcnt vmcnt(16) lgkmcnt(1)
	v_mul_f64 v[186:187], v[176:177], v[202:203]
	v_fma_f64 v[4:5], v[168:169], v[196:197], -v[4:5]
	s_waitcnt vmcnt(14)
	v_fmac_f64_e32 v[186:187], v[178:179], v[204:205]
	v_add_f64 v[2:3], v[2:3], v[4:5]
	v_mul_f64 v[4:5], v[174:175], v[98:99]
	v_add_f64 v[218:219], v[184:185], v[186:187]
	ds_read_b128 v[184:187], v119 offset:608
	v_fma_f64 v[4:5], v[172:173], v[192:193], -v[4:5]
	v_add_f64 v[2:3], v[2:3], v[4:5]
	v_mul_f64 v[4:5], v[178:179], v[202:203]
	v_fma_f64 v[4:5], v[176:177], v[204:205], -v[4:5]
	v_add_f64 v[2:3], v[2:3], v[4:5]
	s_waitcnt vmcnt(12) lgkmcnt(1)
	v_mul_f64 v[4:5], v[182:183], v[198:199]
	v_mul_f64 v[220:221], v[180:181], v[198:199]
	v_fma_f64 v[4:5], v[180:181], v[200:201], -v[4:5]
	v_fmac_f64_e32 v[220:221], v[182:183], v[200:201]
	v_add_f64 v[2:3], v[2:3], v[4:5]
	s_waitcnt vmcnt(8) lgkmcnt(0)
	v_mul_f64 v[4:5], v[186:187], v[210:211]
	v_add_f64 v[218:219], v[218:219], v[220:221]
	v_mul_f64 v[220:221], v[184:185], v[210:211]
	s_waitcnt vmcnt(6)
	v_fma_f64 v[4:5], v[184:185], v[212:213], -v[4:5]
	v_fmac_f64_e32 v[220:221], v[186:187], v[212:213]
	v_add_f64 v[2:3], v[2:3], v[4:5]
	s_waitcnt vmcnt(5)
	v_mul_f64 v[4:5], v[190:191], v[206:207]
	v_add_f64 v[218:219], v[218:219], v[220:221]
	v_mul_f64 v[220:221], v[188:189], v[206:207]
	s_waitcnt vmcnt(4)
	v_fma_f64 v[4:5], v[188:189], v[208:209], -v[4:5]
	v_fmac_f64_e32 v[220:221], v[190:191], v[208:209]
	v_add_f64 v[2:3], v[2:3], v[4:5]
	v_add_f64 v[218:219], v[218:219], v[220:221]
	s_waitcnt vmcnt(2)
	v_add_f64 v[2:3], v[214:215], -v[2:3]
	s_waitcnt vmcnt(0)
	v_add_f64 v[4:5], v[216:217], -v[218:219]
	buffer_store_dword v3, off, s[0:3], 0 offset:4
	buffer_store_dword v2, off, s[0:3], 0
	buffer_store_dword v5, off, s[0:3], 0 offset:12
	buffer_store_dword v4, off, s[0:3], 0 offset:8
	s_cbranch_vccz .LBB19_173
; %bb.134:
	v_pk_mov_b32 v[2:3], s[24:25], s[24:25] op_sel:[0,1]
	flat_load_dword v2, v[2:3] offset:72
	s_load_dwordx2 s[4:5], s[4:5], 0x4
	v_bfe_u32 v4, v0, 10, 10
	v_bfe_u32 v0, v0, 20, 10
	s_waitcnt lgkmcnt(0)
	s_lshr_b32 s4, s4, 16
	s_mul_i32 s4, s4, s5
	v_mul_u32_u24_e32 v3, s4, v118
	v_mul_u32_u24_e32 v4, s5, v4
	v_add3_u32 v0, v3, v4, v0
	v_mov_b32_e32 v3, 0x288
	v_lshl_add_u32 v0, v0, 4, v3
	s_waitcnt vmcnt(0)
	v_add_u32_e32 v2, -1, v2
	v_cmp_ne_u32_e32 vcc, 18, v2
	s_and_saveexec_b64 s[4:5], vcc
	s_cbranch_execz .LBB19_136
; %bb.135:
	v_mov_b32_e32 v3, 0
	v_lshl_add_u32 v6, v2, 4, v3
	buffer_load_dword v2, v103, s[0:3], 0 offen
	buffer_load_dword v3, v103, s[0:3], 0 offen offset:4
	buffer_load_dword v4, v103, s[0:3], 0 offen offset:8
	buffer_load_dword v5, v103, s[0:3], 0 offen offset:12
	buffer_load_dword v7, v6, s[0:3], 0 offen
	buffer_load_dword v8, v6, s[0:3], 0 offen offset:4
	buffer_load_dword v9, v6, s[0:3], 0 offen offset:8
	buffer_load_dword v10, v6, s[0:3], 0 offen offset:12
	s_waitcnt vmcnt(4)
	ds_write2_b64 v0, v[2:3], v[4:5] offset1:1
	s_waitcnt vmcnt(3)
	buffer_store_dword v7, v103, s[0:3], 0 offen
	s_waitcnt vmcnt(3)
	buffer_store_dword v8, v103, s[0:3], 0 offen offset:4
	s_waitcnt vmcnt(3)
	buffer_store_dword v9, v103, s[0:3], 0 offen offset:8
	s_waitcnt vmcnt(3)
	buffer_store_dword v10, v103, s[0:3], 0 offen offset:12
	buffer_store_dword v5, v6, s[0:3], 0 offen offset:12
	buffer_store_dword v4, v6, s[0:3], 0 offen offset:8
	buffer_store_dword v3, v6, s[0:3], 0 offen offset:4
	buffer_store_dword v2, v6, s[0:3], 0 offen
.LBB19_136:
	s_or_b64 exec, exec, s[4:5]
	v_pk_mov_b32 v[2:3], s[24:25], s[24:25] op_sel:[0,1]
	flat_load_dword v2, v[2:3] offset:68
	s_waitcnt vmcnt(0) lgkmcnt(0)
	v_add_u32_e32 v2, -1, v2
	v_cmp_ne_u32_e32 vcc, 17, v2
	s_and_saveexec_b64 s[4:5], vcc
	s_cbranch_execz .LBB19_138
; %bb.137:
	v_mov_b32_e32 v3, 0
	v_lshl_add_u32 v6, v2, 4, v3
	buffer_load_dword v2, v100, s[0:3], 0 offen
	buffer_load_dword v3, v100, s[0:3], 0 offen offset:4
	buffer_load_dword v4, v100, s[0:3], 0 offen offset:8
	buffer_load_dword v5, v100, s[0:3], 0 offen offset:12
	buffer_load_dword v7, v6, s[0:3], 0 offen
	buffer_load_dword v8, v6, s[0:3], 0 offen offset:4
	buffer_load_dword v9, v6, s[0:3], 0 offen offset:8
	buffer_load_dword v10, v6, s[0:3], 0 offen offset:12
	s_waitcnt vmcnt(4)
	ds_write2_b64 v0, v[2:3], v[4:5] offset1:1
	s_waitcnt vmcnt(3)
	buffer_store_dword v7, v100, s[0:3], 0 offen
	s_waitcnt vmcnt(3)
	buffer_store_dword v8, v100, s[0:3], 0 offen offset:4
	s_waitcnt vmcnt(3)
	buffer_store_dword v9, v100, s[0:3], 0 offen offset:8
	s_waitcnt vmcnt(3)
	buffer_store_dword v10, v100, s[0:3], 0 offen offset:12
	buffer_store_dword v5, v6, s[0:3], 0 offen offset:12
	buffer_store_dword v4, v6, s[0:3], 0 offen offset:8
	buffer_store_dword v3, v6, s[0:3], 0 offen offset:4
	buffer_store_dword v2, v6, s[0:3], 0 offen
.LBB19_138:
	s_or_b64 exec, exec, s[4:5]
	v_pk_mov_b32 v[2:3], s[24:25], s[24:25] op_sel:[0,1]
	flat_load_dword v2, v[2:3] offset:64
	s_waitcnt vmcnt(0) lgkmcnt(0)
	;; [unrolled: 34-line block ×17, first 2 shown]
	v_add_u32_e32 v2, -1, v2
	v_cmp_ne_u32_e32 vcc, 1, v2
	s_and_saveexec_b64 s[4:5], vcc
	s_cbranch_execz .LBB19_170
; %bb.169:
	v_mov_b32_e32 v3, 0
	v_lshl_add_u32 v6, v2, 4, v3
	buffer_load_dword v2, v115, s[0:3], 0 offen
	buffer_load_dword v3, v115, s[0:3], 0 offen offset:4
	buffer_load_dword v4, v115, s[0:3], 0 offen offset:8
	;; [unrolled: 1-line block ×3, first 2 shown]
	buffer_load_dword v7, v6, s[0:3], 0 offen
	buffer_load_dword v8, v6, s[0:3], 0 offen offset:4
	buffer_load_dword v9, v6, s[0:3], 0 offen offset:8
	;; [unrolled: 1-line block ×3, first 2 shown]
	s_waitcnt vmcnt(4)
	ds_write2_b64 v0, v[2:3], v[4:5] offset1:1
	s_waitcnt vmcnt(3)
	buffer_store_dword v7, v115, s[0:3], 0 offen
	s_waitcnt vmcnt(3)
	buffer_store_dword v8, v115, s[0:3], 0 offen offset:4
	s_waitcnt vmcnt(3)
	buffer_store_dword v9, v115, s[0:3], 0 offen offset:8
	;; [unrolled: 2-line block ×3, first 2 shown]
	buffer_store_dword v5, v6, s[0:3], 0 offen offset:12
	buffer_store_dword v4, v6, s[0:3], 0 offen offset:8
	buffer_store_dword v3, v6, s[0:3], 0 offen offset:4
	buffer_store_dword v2, v6, s[0:3], 0 offen
.LBB19_170:
	s_or_b64 exec, exec, s[4:5]
	v_pk_mov_b32 v[2:3], s[24:25], s[24:25] op_sel:[0,1]
	flat_load_dword v2, v[2:3]
	s_waitcnt vmcnt(0) lgkmcnt(0)
	v_add_u32_e32 v2, -1, v2
	v_cmp_ne_u32_e32 vcc, 0, v2
	s_and_saveexec_b64 s[4:5], vcc
	s_cbranch_execz .LBB19_172
; %bb.171:
	v_mov_b32_e32 v3, 0
	v_lshl_add_u32 v6, v2, 4, v3
	buffer_load_dword v2, off, s[0:3], 0
	buffer_load_dword v3, off, s[0:3], 0 offset:4
	buffer_load_dword v4, off, s[0:3], 0 offset:8
	;; [unrolled: 1-line block ×3, first 2 shown]
	buffer_load_dword v7, v6, s[0:3], 0 offen
	buffer_load_dword v8, v6, s[0:3], 0 offen offset:4
	buffer_load_dword v9, v6, s[0:3], 0 offen offset:8
	;; [unrolled: 1-line block ×3, first 2 shown]
	s_waitcnt vmcnt(4)
	ds_write2_b64 v0, v[2:3], v[4:5] offset1:1
	s_waitcnt vmcnt(3)
	buffer_store_dword v7, off, s[0:3], 0
	s_waitcnt vmcnt(3)
	buffer_store_dword v8, off, s[0:3], 0 offset:4
	s_waitcnt vmcnt(3)
	buffer_store_dword v9, off, s[0:3], 0 offset:8
	;; [unrolled: 2-line block ×3, first 2 shown]
	buffer_store_dword v5, v6, s[0:3], 0 offen offset:12
	buffer_store_dword v4, v6, s[0:3], 0 offen offset:8
	;; [unrolled: 1-line block ×3, first 2 shown]
	buffer_store_dword v2, v6, s[0:3], 0 offen
.LBB19_172:
	s_or_b64 exec, exec, s[4:5]
.LBB19_173:
	buffer_load_dword v2, off, s[0:3], 0
	buffer_load_dword v3, off, s[0:3], 0 offset:4
	buffer_load_dword v4, off, s[0:3], 0 offset:8
	buffer_load_dword v5, off, s[0:3], 0 offset:12
	buffer_load_dword v7, v115, s[0:3], 0 offen offset:4
	buffer_load_dword v8, v115, s[0:3], 0 offen offset:8
	buffer_load_dword v9, v115, s[0:3], 0 offen offset:12
	buffer_load_dword v10, v117, s[0:3], 0 offen
	buffer_load_dword v11, v117, s[0:3], 0 offen offset:4
	buffer_load_dword v12, v117, s[0:3], 0 offen offset:8
	buffer_load_dword v6, v115, s[0:3], 0 offen
	buffer_load_dword v13, v117, s[0:3], 0 offen offset:12
	buffer_load_dword v15, v116, s[0:3], 0 offen offset:4
	;; [unrolled: 1-line block ×4, first 2 shown]
	buffer_load_dword v18, v113, s[0:3], 0 offen
	buffer_load_dword v19, v113, s[0:3], 0 offen offset:4
	buffer_load_dword v20, v113, s[0:3], 0 offen offset:8
	buffer_load_dword v14, v116, s[0:3], 0 offen
                                        ; kill: killed $vgpr117
                                        ; kill: killed $vgpr115
                                        ; kill: killed $vgpr116
	buffer_load_dword v21, v113, s[0:3], 0 offen offset:12
	buffer_load_dword v23, v112, s[0:3], 0 offen offset:4
	;; [unrolled: 1-line block ×4, first 2 shown]
	buffer_load_dword v26, v114, s[0:3], 0 offen
	buffer_load_dword v27, v114, s[0:3], 0 offen offset:4
	buffer_load_dword v28, v114, s[0:3], 0 offen offset:8
	buffer_load_dword v22, v112, s[0:3], 0 offen
	buffer_load_dword v29, v114, s[0:3], 0 offen offset:12
	buffer_load_dword v71, v108, s[0:3], 0 offen offset:4
	;; [unrolled: 1-line block ×4, first 2 shown]
	buffer_load_dword v74, v109, s[0:3], 0 offen
	buffer_load_dword v75, v109, s[0:3], 0 offen offset:4
	buffer_load_dword v76, v109, s[0:3], 0 offen offset:8
                                        ; kill: killed $vgpr113
                                        ; kill: killed $vgpr114
                                        ; kill: killed $vgpr112
	buffer_load_dword v70, v108, s[0:3], 0 offen
	buffer_load_dword v77, v109, s[0:3], 0 offen offset:12
	buffer_load_dword v79, v110, s[0:3], 0 offen offset:4
	;; [unrolled: 1-line block ×4, first 2 shown]
	buffer_load_dword v82, v111, s[0:3], 0 offen
	buffer_load_dword v83, v111, s[0:3], 0 offen offset:4
	buffer_load_dword v84, v111, s[0:3], 0 offen offset:8
	buffer_load_dword v78, v110, s[0:3], 0 offen
	buffer_load_dword v85, v111, s[0:3], 0 offen offset:12
	buffer_load_dword v87, v105, s[0:3], 0 offen offset:4
	;; [unrolled: 1-line block ×4, first 2 shown]
	buffer_load_dword v90, v104, s[0:3], 0 offen
	buffer_load_dword v91, v104, s[0:3], 0 offen offset:4
                                        ; kill: killed $vgpr110
                                        ; kill: killed $vgpr109
                                        ; kill: killed $vgpr111
                                        ; kill: killed $vgpr108
	buffer_load_dword v92, v104, s[0:3], 0 offen offset:8
	buffer_load_dword v86, v105, s[0:3], 0 offen
	buffer_load_dword v93, v104, s[0:3], 0 offen offset:12
	buffer_load_dword v95, v106, s[0:3], 0 offen offset:4
	;; [unrolled: 1-line block ×4, first 2 shown]
	buffer_load_dword v108, v107, s[0:3], 0 offen
	buffer_load_dword v109, v107, s[0:3], 0 offen offset:4
	buffer_load_dword v110, v107, s[0:3], 0 offen offset:8
	buffer_load_dword v94, v106, s[0:3], 0 offen
	buffer_load_dword v111, v107, s[0:3], 0 offen offset:12
	buffer_load_dword v113, v1, s[0:3], 0 offen offset:4
	;; [unrolled: 1-line block ×4, first 2 shown]
	buffer_load_dword v116, v102, s[0:3], 0 offen
                                        ; kill: killed $vgpr105
                                        ; kill: killed $vgpr106
                                        ; kill: killed $vgpr104
                                        ; kill: killed $vgpr107
	buffer_load_dword v117, v102, s[0:3], 0 offen offset:4
	buffer_load_dword v118, v102, s[0:3], 0 offen offset:8
	buffer_load_dword v112, v1, s[0:3], 0 offen
	buffer_load_dword v119, v102, s[0:3], 0 offen offset:12
	buffer_load_dword v105, v100, s[0:3], 0 offen offset:4
	;; [unrolled: 1-line block ×4, first 2 shown]
	buffer_load_dword v120, v103, s[0:3], 0 offen
	buffer_load_dword v121, v103, s[0:3], 0 offen offset:4
	buffer_load_dword v122, v103, s[0:3], 0 offen offset:8
	buffer_load_dword v104, v100, s[0:3], 0 offen
	buffer_load_dword v123, v103, s[0:3], 0 offen offset:12
	buffer_load_dword v124, v101, s[0:3], 0 offen
	buffer_load_dword v125, v101, s[0:3], 0 offen offset:4
	buffer_load_dword v126, v101, s[0:3], 0 offen offset:8
                                        ; kill: killed $vgpr102
                                        ; kill: killed $vgpr103
                                        ; kill: killed $vgpr1
                                        ; kill: killed $vgpr100
	buffer_load_dword v127, v101, s[0:3], 0 offen offset:12
	s_waitcnt vmcnt(62)
	global_store_dwordx4 v[30:31], v[2:5], off
	global_store_dwordx4 v[32:33], v[6:9], off
	;; [unrolled: 1-line block ×3, first 2 shown]
	s_waitcnt vmcnt(62)
	global_store_dwordx4 v[36:37], v[14:17], off
	global_store_dwordx4 v[38:39], v[18:21], off
	s_waitcnt vmcnt(58)
	global_store_dwordx4 v[42:43], v[22:25], off
	s_waitcnt vmcnt(58)
	;; [unrolled: 2-line block ×15, first 2 shown]
	global_store_dwordx4 v[40:41], v[124:127], off
	s_endpgm
	.section	.rodata,"a",@progbits
	.p2align	6, 0x0
	.amdhsa_kernel _ZN9rocsolver6v33100L18getri_kernel_smallILi20E19rocblas_complex_numIdEPS3_EEvT1_iilPiilS6_bb
		.amdhsa_group_segment_fixed_size 1672
		.amdhsa_private_segment_fixed_size 336
		.amdhsa_kernarg_size 60
		.amdhsa_user_sgpr_count 10
		.amdhsa_user_sgpr_private_segment_buffer 1
		.amdhsa_user_sgpr_dispatch_ptr 1
		.amdhsa_user_sgpr_queue_ptr 0
		.amdhsa_user_sgpr_kernarg_segment_ptr 1
		.amdhsa_user_sgpr_dispatch_id 0
		.amdhsa_user_sgpr_flat_scratch_init 1
		.amdhsa_user_sgpr_kernarg_preload_length 0
		.amdhsa_user_sgpr_kernarg_preload_offset 0
		.amdhsa_user_sgpr_private_segment_size 0
		.amdhsa_uses_dynamic_stack 0
		.amdhsa_system_sgpr_private_segment_wavefront_offset 1
		.amdhsa_system_sgpr_workgroup_id_x 1
		.amdhsa_system_sgpr_workgroup_id_y 0
		.amdhsa_system_sgpr_workgroup_id_z 0
		.amdhsa_system_sgpr_workgroup_info 0
		.amdhsa_system_vgpr_workitem_id 2
		.amdhsa_next_free_vgpr 222
		.amdhsa_next_free_sgpr 29
		.amdhsa_accum_offset 224
		.amdhsa_reserve_vcc 1
		.amdhsa_reserve_flat_scratch 1
		.amdhsa_float_round_mode_32 0
		.amdhsa_float_round_mode_16_64 0
		.amdhsa_float_denorm_mode_32 3
		.amdhsa_float_denorm_mode_16_64 3
		.amdhsa_dx10_clamp 1
		.amdhsa_ieee_mode 1
		.amdhsa_fp16_overflow 0
		.amdhsa_tg_split 0
		.amdhsa_exception_fp_ieee_invalid_op 0
		.amdhsa_exception_fp_denorm_src 0
		.amdhsa_exception_fp_ieee_div_zero 0
		.amdhsa_exception_fp_ieee_overflow 0
		.amdhsa_exception_fp_ieee_underflow 0
		.amdhsa_exception_fp_ieee_inexact 0
		.amdhsa_exception_int_div_zero 0
	.end_amdhsa_kernel
	.section	.text._ZN9rocsolver6v33100L18getri_kernel_smallILi20E19rocblas_complex_numIdEPS3_EEvT1_iilPiilS6_bb,"axG",@progbits,_ZN9rocsolver6v33100L18getri_kernel_smallILi20E19rocblas_complex_numIdEPS3_EEvT1_iilPiilS6_bb,comdat
.Lfunc_end19:
	.size	_ZN9rocsolver6v33100L18getri_kernel_smallILi20E19rocblas_complex_numIdEPS3_EEvT1_iilPiilS6_bb, .Lfunc_end19-_ZN9rocsolver6v33100L18getri_kernel_smallILi20E19rocblas_complex_numIdEPS3_EEvT1_iilPiilS6_bb
                                        ; -- End function
	.section	.AMDGPU.csdata,"",@progbits
; Kernel info:
; codeLenInByte = 34200
; NumSgprs: 35
; NumVgprs: 222
; NumAgprs: 0
; TotalNumVgprs: 222
; ScratchSize: 336
; MemoryBound: 0
; FloatMode: 240
; IeeeMode: 1
; LDSByteSize: 1672 bytes/workgroup (compile time only)
; SGPRBlocks: 4
; VGPRBlocks: 27
; NumSGPRsForWavesPerEU: 35
; NumVGPRsForWavesPerEU: 222
; AccumOffset: 224
; Occupancy: 2
; WaveLimiterHint : 1
; COMPUTE_PGM_RSRC2:SCRATCH_EN: 1
; COMPUTE_PGM_RSRC2:USER_SGPR: 10
; COMPUTE_PGM_RSRC2:TRAP_HANDLER: 0
; COMPUTE_PGM_RSRC2:TGID_X_EN: 1
; COMPUTE_PGM_RSRC2:TGID_Y_EN: 0
; COMPUTE_PGM_RSRC2:TGID_Z_EN: 0
; COMPUTE_PGM_RSRC2:TIDIG_COMP_CNT: 2
; COMPUTE_PGM_RSRC3_GFX90A:ACCUM_OFFSET: 55
; COMPUTE_PGM_RSRC3_GFX90A:TG_SPLIT: 0
	.section	.text._ZN9rocsolver6v33100L18getri_kernel_smallILi21E19rocblas_complex_numIdEPS3_EEvT1_iilPiilS6_bb,"axG",@progbits,_ZN9rocsolver6v33100L18getri_kernel_smallILi21E19rocblas_complex_numIdEPS3_EEvT1_iilPiilS6_bb,comdat
	.globl	_ZN9rocsolver6v33100L18getri_kernel_smallILi21E19rocblas_complex_numIdEPS3_EEvT1_iilPiilS6_bb ; -- Begin function _ZN9rocsolver6v33100L18getri_kernel_smallILi21E19rocblas_complex_numIdEPS3_EEvT1_iilPiilS6_bb
	.p2align	8
	.type	_ZN9rocsolver6v33100L18getri_kernel_smallILi21E19rocblas_complex_numIdEPS3_EEvT1_iilPiilS6_bb,@function
_ZN9rocsolver6v33100L18getri_kernel_smallILi21E19rocblas_complex_numIdEPS3_EEvT1_iilPiilS6_bb: ; @_ZN9rocsolver6v33100L18getri_kernel_smallILi21E19rocblas_complex_numIdEPS3_EEvT1_iilPiilS6_bb
; %bb.0:
	s_add_u32 flat_scratch_lo, s8, s11
	s_addc_u32 flat_scratch_hi, s9, 0
	s_add_u32 s0, s0, s11
	v_and_b32_e32 v119, 0x3ff, v0
	s_addc_u32 s1, s1, 0
	v_cmp_gt_u32_e32 vcc, 21, v119
	s_and_saveexec_b64 s[8:9], vcc
	s_cbranch_execz .LBB20_98
; %bb.1:
	s_load_dword s8, s[6:7], 0x38
	s_load_dwordx4 s[20:23], s[6:7], 0x10
	s_load_dwordx4 s[12:15], s[6:7], 0x28
                                        ; implicit-def: $sgpr24_sgpr25
	s_waitcnt lgkmcnt(0)
	s_bitcmp1_b32 s8, 8
	s_cselect_b64 s[26:27], -1, 0
	s_ashr_i32 s11, s10, 31
	s_bfe_u32 s9, s8, 0x10008
	s_cmp_eq_u32 s9, 0
	s_cbranch_scc1 .LBB20_3
; %bb.2:
	s_load_dword s16, s[6:7], 0x20
	s_mul_i32 s9, s10, s13
	s_mul_hi_u32 s13, s10, s12
	s_mul_i32 s18, s11, s12
	s_add_i32 s9, s13, s9
	s_add_i32 s13, s9, s18
	s_mul_i32 s12, s10, s12
	s_waitcnt lgkmcnt(0)
	s_ashr_i32 s17, s16, 31
	s_lshl_b64 s[12:13], s[12:13], 2
	s_add_u32 s9, s22, s12
	s_addc_u32 s18, s23, s13
	s_lshl_b64 s[12:13], s[16:17], 2
	s_add_u32 s24, s9, s12
	s_addc_u32 s25, s18, s13
.LBB20_3:
	s_load_dwordx4 s[16:19], s[6:7], 0x0
	s_mul_i32 s6, s10, s21
	s_mul_hi_u32 s7, s10, s20
	s_add_i32 s9, s7, s6
	s_mul_i32 s12, s11, s20
	s_add_i32 s13, s9, s12
	s_mul_i32 s12, s10, s20
	s_waitcnt lgkmcnt(0)
	s_ashr_i32 s7, s18, 31
	s_lshl_b64 s[12:13], s[12:13], 4
	s_mov_b32 s6, s18
	s_add_u32 s9, s16, s12
	s_addc_u32 s12, s17, s13
	s_lshl_b64 s[6:7], s[6:7], 4
	s_add_u32 s6, s9, s6
	s_addc_u32 s7, s12, s7
	v_lshlrev_b32_e32 v76, 4, v119
	v_mov_b32_e32 v1, s7
	v_add_co_u32_e32 v34, vcc, s6, v76
	global_load_dwordx4 v[18:21], v76, s[6:7]
	s_ashr_i32 s13, s19, 31
	s_mov_b32 s12, s19
	v_addc_co_u32_e32 v35, vcc, 0, v1, vcc
	s_lshl_b64 s[12:13], s[12:13], 4
	v_mov_b32_e32 v1, s13
	v_add_co_u32_e32 v36, vcc, s12, v34
	s_add_i32 s9, s19, s19
	v_addc_co_u32_e32 v37, vcc, v35, v1, vcc
	global_load_dwordx4 v[22:25], v[36:37], off
	v_add_u32_e32 v2, s9, v119
	v_ashrrev_i32_e32 v3, 31, v2
	v_lshlrev_b64 v[4:5], 4, v[2:3]
	v_mov_b32_e32 v1, s7
	v_add_co_u32_e32 v38, vcc, s6, v4
	v_addc_co_u32_e32 v39, vcc, v1, v5, vcc
	global_load_dwordx4 v[26:29], v[38:39], off
	v_add_u32_e32 v6, s19, v2
	v_ashrrev_i32_e32 v7, 31, v6
	v_lshlrev_b64 v[2:3], 4, v[6:7]
	v_add_co_u32_e32 v40, vcc, s6, v2
	v_addc_co_u32_e32 v41, vcc, v1, v3, vcc
	global_load_dwordx4 v[2:5], v[40:41], off
	v_add_u32_e32 v6, s19, v6
	v_ashrrev_i32_e32 v7, 31, v6
	v_add_u32_e32 v8, s19, v6
	v_lshlrev_b64 v[6:7], 4, v[6:7]
	v_ashrrev_i32_e32 v9, 31, v8
	v_add_co_u32_e32 v42, vcc, s6, v6
	v_add_u32_e32 v10, s19, v8
	v_addc_co_u32_e32 v43, vcc, v1, v7, vcc
	v_lshlrev_b64 v[12:13], 4, v[8:9]
	v_mov_b32_e32 v14, s7
	v_ashrrev_i32_e32 v11, 31, v10
	v_add_co_u32_e32 v44, vcc, s6, v12
	v_add_u32_e32 v30, s19, v10
	v_addc_co_u32_e32 v45, vcc, v14, v13, vcc
	v_lshlrev_b64 v[10:11], 4, v[10:11]
	v_mov_b32_e32 v15, s7
	v_ashrrev_i32_e32 v31, 31, v30
	v_add_co_u32_e32 v46, vcc, s6, v10
	global_load_dwordx4 v[6:9], v[42:43], off
	v_addc_co_u32_e32 v47, vcc, v15, v11, vcc
	v_lshlrev_b64 v[32:33], 4, v[30:31]
	global_load_dwordx4 v[14:17], v[44:45], off
	global_load_dwordx4 v[10:13], v[46:47], off
	v_mov_b32_e32 v49, s7
	v_add_co_u32_e32 v48, vcc, s6, v32
	v_addc_co_u32_e32 v49, vcc, v49, v33, vcc
	s_bitcmp0_b32 s8, 0
	s_mov_b64 s[8:9], -1
	s_waitcnt vmcnt(6)
	buffer_store_dword v21, off, s[0:3], 0 offset:12
	buffer_store_dword v20, off, s[0:3], 0 offset:8
	;; [unrolled: 1-line block ×3, first 2 shown]
	buffer_store_dword v18, off, s[0:3], 0
	s_waitcnt vmcnt(9)
	buffer_store_dword v25, off, s[0:3], 0 offset:28
	buffer_store_dword v24, off, s[0:3], 0 offset:24
	;; [unrolled: 1-line block ×4, first 2 shown]
	s_waitcnt vmcnt(12)
	buffer_store_dword v29, off, s[0:3], 0 offset:44
	buffer_store_dword v28, off, s[0:3], 0 offset:40
	buffer_store_dword v27, off, s[0:3], 0 offset:36
	buffer_store_dword v26, off, s[0:3], 0 offset:32
	v_add_u32_e32 v26, s19, v30
	v_ashrrev_i32_e32 v27, 31, v26
	v_lshlrev_b64 v[18:19], 4, v[26:27]
	v_add_u32_e32 v26, s19, v26
	v_add_co_u32_e32 v50, vcc, s6, v18
	v_ashrrev_i32_e32 v27, 31, v26
	v_addc_co_u32_e32 v51, vcc, v1, v19, vcc
	v_lshlrev_b64 v[28:29], 4, v[26:27]
	v_add_u32_e32 v56, s19, v26
	v_add_co_u32_e32 v52, vcc, s6, v28
	v_ashrrev_i32_e32 v57, 31, v56
	v_addc_co_u32_e32 v53, vcc, v1, v29, vcc
	;; [unrolled: 5-line block ×11, first 2 shown]
	v_lshlrev_b64 v[72:73], 4, v[74:75]
	v_add_u32_e32 v74, s19, v74
	v_add_co_u32_e32 v72, vcc, s6, v72
	v_ashrrev_i32_e32 v75, 31, v74
	global_load_dwordx4 v[18:21], v[48:49], off
	global_load_dwordx4 v[22:25], v[50:51], off
	;; [unrolled: 1-line block ×4, first 2 shown]
	v_addc_co_u32_e32 v73, vcc, v1, v73, vcc
	s_waitcnt vmcnt(19)
	buffer_store_dword v5, off, s[0:3], 0 offset:60
	v_lshlrev_b64 v[74:75], 4, v[74:75]
	global_load_dwordx4 v[78:81], v[56:57], off
	global_load_dwordx4 v[82:85], v[58:59], off
	;; [unrolled: 1-line block ×6, first 2 shown]
	v_add_co_u32_e32 v74, vcc, s6, v74
	global_load_dwordx4 v[102:105], v[68:69], off
	global_load_dwordx4 v[106:109], v[70:71], off
	v_addc_co_u32_e32 v75, vcc, v1, v75, vcc
	global_load_dwordx4 v[120:123], v[72:73], off
	global_load_dwordx4 v[124:127], v[74:75], off
	s_nop 0
	buffer_store_dword v4, off, s[0:3], 0 offset:56
	buffer_store_dword v3, off, s[0:3], 0 offset:52
	buffer_store_dword v2, off, s[0:3], 0 offset:48
	s_waitcnt vmcnt(32)
	buffer_store_dword v9, off, s[0:3], 0 offset:76
	buffer_store_dword v8, off, s[0:3], 0 offset:72
	buffer_store_dword v7, off, s[0:3], 0 offset:68
	buffer_store_dword v6, off, s[0:3], 0 offset:64
	s_waitcnt vmcnt(35)
	buffer_store_dword v17, off, s[0:3], 0 offset:92
	buffer_store_dword v16, off, s[0:3], 0 offset:88
	buffer_store_dword v15, off, s[0:3], 0 offset:84
	buffer_store_dword v14, off, s[0:3], 0 offset:80
	s_waitcnt vmcnt(38)
	buffer_store_dword v13, off, s[0:3], 0 offset:108
	buffer_store_dword v12, off, s[0:3], 0 offset:104
	buffer_store_dword v11, off, s[0:3], 0 offset:100
	buffer_store_dword v10, off, s[0:3], 0 offset:96
	s_waitcnt vmcnt(29)
	buffer_store_dword v21, off, s[0:3], 0 offset:124
	buffer_store_dword v20, off, s[0:3], 0 offset:120
	buffer_store_dword v19, off, s[0:3], 0 offset:116
	buffer_store_dword v18, off, s[0:3], 0 offset:112
	s_waitcnt vmcnt(32)
	buffer_store_dword v25, off, s[0:3], 0 offset:140
	buffer_store_dword v24, off, s[0:3], 0 offset:136
	buffer_store_dword v23, off, s[0:3], 0 offset:132
	buffer_store_dword v22, off, s[0:3], 0 offset:128
	s_waitcnt vmcnt(35)
	buffer_store_dword v26, off, s[0:3], 0 offset:144
	buffer_store_dword v27, off, s[0:3], 0 offset:148
	buffer_store_dword v28, off, s[0:3], 0 offset:152
	buffer_store_dword v29, off, s[0:3], 0 offset:156
	s_waitcnt vmcnt(38)
	buffer_store_dword v30, off, s[0:3], 0 offset:160
	buffer_store_dword v31, off, s[0:3], 0 offset:164
	buffer_store_dword v32, off, s[0:3], 0 offset:168
	buffer_store_dword v33, off, s[0:3], 0 offset:172
	s_waitcnt vmcnt(40)
	buffer_store_dword v78, off, s[0:3], 0 offset:176
	buffer_store_dword v79, off, s[0:3], 0 offset:180
	buffer_store_dword v80, off, s[0:3], 0 offset:184
	buffer_store_dword v81, off, s[0:3], 0 offset:188
	s_waitcnt vmcnt(43)
	buffer_store_dword v85, off, s[0:3], 0 offset:204
	buffer_store_dword v84, off, s[0:3], 0 offset:200
	buffer_store_dword v83, off, s[0:3], 0 offset:196
	buffer_store_dword v82, off, s[0:3], 0 offset:192
	s_waitcnt vmcnt(46)
	buffer_store_dword v89, off, s[0:3], 0 offset:220
	buffer_store_dword v88, off, s[0:3], 0 offset:216
	buffer_store_dword v87, off, s[0:3], 0 offset:212
	buffer_store_dword v86, off, s[0:3], 0 offset:208
	s_waitcnt vmcnt(49)
	buffer_store_dword v93, off, s[0:3], 0 offset:236
	buffer_store_dword v92, off, s[0:3], 0 offset:232
	buffer_store_dword v91, off, s[0:3], 0 offset:228
	buffer_store_dword v90, off, s[0:3], 0 offset:224
	s_waitcnt vmcnt(52)
	buffer_store_dword v97, off, s[0:3], 0 offset:252
	buffer_store_dword v96, off, s[0:3], 0 offset:248
	buffer_store_dword v95, off, s[0:3], 0 offset:244
	buffer_store_dword v94, off, s[0:3], 0 offset:240
	s_waitcnt vmcnt(55)
	buffer_store_dword v101, off, s[0:3], 0 offset:268
	buffer_store_dword v100, off, s[0:3], 0 offset:264
	buffer_store_dword v99, off, s[0:3], 0 offset:260
	buffer_store_dword v98, off, s[0:3], 0 offset:256
	s_waitcnt vmcnt(58)
	buffer_store_dword v105, off, s[0:3], 0 offset:284
	buffer_store_dword v104, off, s[0:3], 0 offset:280
	buffer_store_dword v103, off, s[0:3], 0 offset:276
	;; [unrolled: 1-line block ×3, first 2 shown]
	v_mov_b32_e32 v2, 0
	v_add_u32_e32 v117, 16, v2
	v_add_u32_e32 v116, 32, v2
	;; [unrolled: 1-line block ×3, first 2 shown]
	s_waitcnt vmcnt(61)
	buffer_store_dword v109, off, s[0:3], 0 offset:300
	buffer_store_dword v108, off, s[0:3], 0 offset:296
	;; [unrolled: 1-line block ×4, first 2 shown]
	v_add_u32_e32 v112, 64, v2
	v_add_u32_e32 v113, 0x50, v2
	;; [unrolled: 1-line block ×17, first 2 shown]
	s_waitcnt vmcnt(62)
	buffer_store_dword v123, off, s[0:3], 0 offset:316
	buffer_store_dword v122, off, s[0:3], 0 offset:312
	;; [unrolled: 1-line block ×8, first 2 shown]
	s_cbranch_scc1 .LBB20_96
; %bb.4:
	v_cmp_eq_u32_e64 s[6:7], 0, v119
	s_and_saveexec_b64 s[8:9], s[6:7]
	s_cbranch_execz .LBB20_6
; %bb.5:
	v_mov_b32_e32 v2, 0
	ds_write_b32 v2, v2 offset:672
.LBB20_6:
	s_or_b64 exec, exec, s[8:9]
	v_mov_b32_e32 v2, 0
	v_lshl_add_u32 v12, v119, 4, v2
	s_waitcnt lgkmcnt(0)
	; wave barrier
	s_waitcnt lgkmcnt(0)
	buffer_load_dword v2, v12, s[0:3], 0 offen
	buffer_load_dword v3, v12, s[0:3], 0 offen offset:4
	buffer_load_dword v4, v12, s[0:3], 0 offen offset:8
	;; [unrolled: 1-line block ×3, first 2 shown]
	s_waitcnt vmcnt(2)
	v_cmp_eq_f64_e32 vcc, 0, v[2:3]
	s_waitcnt vmcnt(0)
	v_cmp_eq_f64_e64 s[8:9], 0, v[4:5]
	s_and_b64 s[8:9], vcc, s[8:9]
	s_and_saveexec_b64 s[12:13], s[8:9]
	s_cbranch_execz .LBB20_10
; %bb.7:
	v_mov_b32_e32 v2, 0
	ds_read_b32 v4, v2 offset:672
	v_add_u32_e32 v3, 1, v119
	s_waitcnt lgkmcnt(0)
	v_readfirstlane_b32 s8, v4
	s_cmp_eq_u32 s8, 0
	s_cselect_b64 s[16:17], -1, 0
	v_cmp_gt_i32_e32 vcc, s8, v3
	s_or_b64 s[16:17], s[16:17], vcc
	s_and_b64 exec, exec, s[16:17]
	s_cbranch_execz .LBB20_10
; %bb.8:
	s_mov_b64 s[16:17], 0
	v_mov_b32_e32 v4, s8
.LBB20_9:                               ; =>This Inner Loop Header: Depth=1
	ds_cmpst_rtn_b32 v4, v2, v4, v3 offset:672
	s_waitcnt lgkmcnt(0)
	v_cmp_ne_u32_e32 vcc, 0, v4
	v_cmp_le_i32_e64 s[8:9], v4, v3
	s_and_b64 s[8:9], vcc, s[8:9]
	s_and_b64 s[8:9], exec, s[8:9]
	s_or_b64 s[16:17], s[8:9], s[16:17]
	s_andn2_b64 exec, exec, s[16:17]
	s_cbranch_execnz .LBB20_9
.LBB20_10:
	s_or_b64 exec, exec, s[12:13]
	v_mov_b32_e32 v3, 0
	s_waitcnt lgkmcnt(0)
	; wave barrier
	ds_read_b32 v2, v3 offset:672
	s_and_saveexec_b64 s[8:9], s[6:7]
	s_cbranch_execz .LBB20_12
; %bb.11:
	s_lshl_b64 s[12:13], s[10:11], 2
	s_add_u32 s12, s14, s12
	s_addc_u32 s13, s15, s13
	s_waitcnt lgkmcnt(0)
	global_store_dword v3, v2, s[12:13]
.LBB20_12:
	s_or_b64 exec, exec, s[8:9]
	s_waitcnt lgkmcnt(0)
	v_cmp_ne_u32_e32 vcc, 0, v2
	s_mov_b64 s[8:9], 0
	s_cbranch_vccnz .LBB20_96
; %bb.13:
	buffer_load_dword v7, v12, s[0:3], 0 offen offset:4
	buffer_load_dword v6, v12, s[0:3], 0 offen
	buffer_load_dword v9, v12, s[0:3], 0 offen offset:12
	buffer_load_dword v8, v12, s[0:3], 0 offen offset:8
                                        ; implicit-def: $vgpr10_vgpr11
	s_waitcnt vmcnt(3)
	v_xor_b32_e32 v3, 0x80000000, v7
	s_waitcnt vmcnt(2)
	v_cmp_gt_f64_e32 vcc, 0, v[6:7]
	s_waitcnt vmcnt(1)
	v_xor_b32_e32 v4, 0x80000000, v9
	v_cndmask_b32_e32 v3, v7, v3, vcc
	s_waitcnt vmcnt(0)
	v_cmp_gt_f64_e32 vcc, 0, v[8:9]
	v_mov_b32_e32 v2, v6
	v_cndmask_b32_e32 v5, v9, v4, vcc
	v_mov_b32_e32 v4, v8
	v_cmp_ngt_f64_e32 vcc, v[2:3], v[4:5]
                                        ; implicit-def: $vgpr4_vgpr5
	s_and_saveexec_b64 s[8:9], vcc
	s_xor_b64 s[8:9], exec, s[8:9]
	s_cbranch_execz .LBB20_15
; %bb.14:
	v_div_scale_f64 v[2:3], s[12:13], v[8:9], v[8:9], v[6:7]
	v_rcp_f64_e32 v[4:5], v[2:3]
	v_div_scale_f64 v[10:11], vcc, v[6:7], v[8:9], v[6:7]
	v_fma_f64 v[14:15], -v[2:3], v[4:5], 1.0
	v_fmac_f64_e32 v[4:5], v[4:5], v[14:15]
	v_fma_f64 v[14:15], -v[2:3], v[4:5], 1.0
	v_fmac_f64_e32 v[4:5], v[4:5], v[14:15]
	v_mul_f64 v[14:15], v[10:11], v[4:5]
	v_fma_f64 v[2:3], -v[2:3], v[14:15], v[10:11]
	v_div_fmas_f64 v[2:3], v[2:3], v[4:5], v[14:15]
	v_div_fixup_f64 v[2:3], v[2:3], v[8:9], v[6:7]
	v_fmac_f64_e32 v[8:9], v[6:7], v[2:3]
	v_div_scale_f64 v[4:5], s[12:13], v[8:9], v[8:9], 1.0
	v_rcp_f64_e32 v[6:7], v[4:5]
	v_fma_f64 v[10:11], -v[4:5], v[6:7], 1.0
	v_fmac_f64_e32 v[6:7], v[6:7], v[10:11]
	v_fma_f64 v[10:11], -v[4:5], v[6:7], 1.0
	v_fmac_f64_e32 v[6:7], v[6:7], v[10:11]
	v_div_scale_f64 v[10:11], vcc, 1.0, v[8:9], 1.0
	v_mul_f64 v[14:15], v[10:11], v[6:7]
	v_fma_f64 v[4:5], -v[4:5], v[14:15], v[10:11]
	s_nop 1
	v_div_fmas_f64 v[4:5], v[4:5], v[6:7], v[14:15]
	v_div_fixup_f64 v[4:5], v[4:5], v[8:9], 1.0
	v_mul_f64 v[10:11], v[2:3], v[4:5]
	v_xor_b32_e32 v5, 0x80000000, v5
	v_xor_b32_e32 v3, 0x80000000, v11
	v_mov_b32_e32 v2, v10
                                        ; implicit-def: $vgpr6_vgpr7
                                        ; implicit-def: $vgpr8_vgpr9
.LBB20_15:
	s_andn2_saveexec_b64 s[8:9], s[8:9]
	s_cbranch_execz .LBB20_17
; %bb.16:
	v_div_scale_f64 v[2:3], s[12:13], v[6:7], v[6:7], v[8:9]
	v_rcp_f64_e32 v[4:5], v[2:3]
	v_div_scale_f64 v[10:11], vcc, v[8:9], v[6:7], v[8:9]
	v_fma_f64 v[14:15], -v[2:3], v[4:5], 1.0
	v_fmac_f64_e32 v[4:5], v[4:5], v[14:15]
	v_fma_f64 v[14:15], -v[2:3], v[4:5], 1.0
	v_fmac_f64_e32 v[4:5], v[4:5], v[14:15]
	v_mul_f64 v[14:15], v[10:11], v[4:5]
	v_fma_f64 v[2:3], -v[2:3], v[14:15], v[10:11]
	v_div_fmas_f64 v[2:3], v[2:3], v[4:5], v[14:15]
	v_div_fixup_f64 v[4:5], v[2:3], v[6:7], v[8:9]
	v_fmac_f64_e32 v[6:7], v[8:9], v[4:5]
	v_div_scale_f64 v[2:3], s[12:13], v[6:7], v[6:7], 1.0
	v_rcp_f64_e32 v[8:9], v[2:3]
	v_fma_f64 v[10:11], -v[2:3], v[8:9], 1.0
	v_fmac_f64_e32 v[8:9], v[8:9], v[10:11]
	v_fma_f64 v[10:11], -v[2:3], v[8:9], 1.0
	v_fmac_f64_e32 v[8:9], v[8:9], v[10:11]
	v_div_scale_f64 v[10:11], vcc, 1.0, v[6:7], 1.0
	v_mul_f64 v[14:15], v[10:11], v[8:9]
	v_fma_f64 v[2:3], -v[2:3], v[14:15], v[10:11]
	s_nop 1
	v_div_fmas_f64 v[2:3], v[2:3], v[8:9], v[14:15]
	v_div_fixup_f64 v[10:11], v[2:3], v[6:7], 1.0
	v_xor_b32_e32 v3, 0x80000000, v11
	v_mov_b32_e32 v2, v10
	v_mul_f64 v[4:5], v[4:5], -v[10:11]
.LBB20_17:
	s_or_b64 exec, exec, s[8:9]
	buffer_store_dword v11, v12, s[0:3], 0 offen offset:4
	buffer_store_dword v10, v12, s[0:3], 0 offen
	buffer_store_dword v5, v12, s[0:3], 0 offen offset:12
	buffer_store_dword v4, v12, s[0:3], 0 offen offset:8
	buffer_load_dword v11, v117, s[0:3], 0 offen offset:12
	s_nop 0
	buffer_load_dword v10, v117, s[0:3], 0 offen offset:8
	buffer_load_dword v9, v117, s[0:3], 0 offen offset:4
	buffer_load_dword v8, v117, s[0:3], 0 offen
	v_xor_b32_e32 v5, 0x80000000, v5
	v_add_u32_e32 v6, 0x150, v76
	ds_write_b128 v76, v[2:5]
	s_waitcnt vmcnt(0)
	ds_write_b128 v76, v[8:11] offset:336
	s_waitcnt lgkmcnt(0)
	; wave barrier
	s_waitcnt lgkmcnt(0)
	s_and_saveexec_b64 s[8:9], s[6:7]
	s_cbranch_execz .LBB20_19
; %bb.18:
	buffer_load_dword v14, v12, s[0:3], 0 offen offset:8
	buffer_load_dword v15, v12, s[0:3], 0 offen offset:12
	buffer_load_dword v16, v12, s[0:3], 0 offen
	buffer_load_dword v17, v12, s[0:3], 0 offen offset:4
	ds_read_b128 v[2:5], v6
	v_mov_b32_e32 v7, 0
	ds_read_b128 v[8:11], v7 offset:16
	s_waitcnt vmcnt(2) lgkmcnt(1)
	v_mul_f64 v[18:19], v[4:5], v[14:15]
	v_mul_f64 v[14:15], v[2:3], v[14:15]
	s_waitcnt vmcnt(0)
	v_fmac_f64_e32 v[14:15], v[4:5], v[16:17]
	v_fma_f64 v[2:3], v[2:3], v[16:17], -v[18:19]
	v_add_f64 v[4:5], v[14:15], 0
	v_add_f64 v[2:3], v[2:3], 0
	s_waitcnt lgkmcnt(0)
	v_mul_f64 v[14:15], v[4:5], v[10:11]
	v_mul_f64 v[10:11], v[2:3], v[10:11]
	v_fma_f64 v[2:3], v[2:3], v[8:9], -v[14:15]
	v_fmac_f64_e32 v[10:11], v[4:5], v[8:9]
	buffer_store_dword v2, off, s[0:3], 0 offset:16
	buffer_store_dword v3, off, s[0:3], 0 offset:20
	;; [unrolled: 1-line block ×4, first 2 shown]
.LBB20_19:
	s_or_b64 exec, exec, s[8:9]
	s_waitcnt lgkmcnt(0)
	; wave barrier
	buffer_load_dword v2, v116, s[0:3], 0 offen
	buffer_load_dword v3, v116, s[0:3], 0 offen offset:4
	buffer_load_dword v4, v116, s[0:3], 0 offen offset:8
	;; [unrolled: 1-line block ×3, first 2 shown]
	v_cmp_gt_u32_e32 vcc, 2, v119
	s_waitcnt vmcnt(0)
	ds_write_b128 v6, v[2:5]
	s_waitcnt lgkmcnt(0)
	; wave barrier
	s_waitcnt lgkmcnt(0)
	s_and_saveexec_b64 s[8:9], vcc
	s_cbranch_execz .LBB20_23
; %bb.20:
	buffer_load_dword v8, v12, s[0:3], 0 offen offset:8
	buffer_load_dword v9, v12, s[0:3], 0 offen offset:12
	buffer_load_dword v10, v12, s[0:3], 0 offen
	buffer_load_dword v11, v12, s[0:3], 0 offen offset:4
	ds_read_b128 v[2:5], v6
	s_waitcnt vmcnt(2) lgkmcnt(0)
	v_mul_f64 v[12:13], v[4:5], v[8:9]
	v_mul_f64 v[8:9], v[2:3], v[8:9]
	s_waitcnt vmcnt(0)
	v_fma_f64 v[2:3], v[2:3], v[10:11], -v[12:13]
	v_fmac_f64_e32 v[8:9], v[4:5], v[10:11]
	v_add_f64 v[4:5], v[2:3], 0
	v_add_f64 v[2:3], v[8:9], 0
	s_and_saveexec_b64 s[12:13], s[6:7]
	s_cbranch_execz .LBB20_22
; %bb.21:
	buffer_load_dword v12, off, s[0:3], 0 offset:24
	buffer_load_dword v13, off, s[0:3], 0 offset:28
	;; [unrolled: 1-line block ×4, first 2 shown]
	v_mov_b32_e32 v7, 0
	ds_read_b128 v[8:11], v7 offset:352
	s_waitcnt vmcnt(2) lgkmcnt(0)
	v_mul_f64 v[16:17], v[8:9], v[12:13]
	v_mul_f64 v[12:13], v[10:11], v[12:13]
	s_waitcnt vmcnt(0)
	v_fmac_f64_e32 v[16:17], v[10:11], v[14:15]
	v_fma_f64 v[8:9], v[8:9], v[14:15], -v[12:13]
	v_add_f64 v[2:3], v[2:3], v[16:17]
	v_add_f64 v[4:5], v[4:5], v[8:9]
.LBB20_22:
	s_or_b64 exec, exec, s[12:13]
	v_mov_b32_e32 v7, 0
	ds_read_b128 v[8:11], v7 offset:32
	s_waitcnt lgkmcnt(0)
	v_mul_f64 v[12:13], v[2:3], v[10:11]
	v_mul_f64 v[10:11], v[4:5], v[10:11]
	v_fma_f64 v[4:5], v[4:5], v[8:9], -v[12:13]
	v_fmac_f64_e32 v[10:11], v[2:3], v[8:9]
	buffer_store_dword v5, off, s[0:3], 0 offset:36
	buffer_store_dword v4, off, s[0:3], 0 offset:32
	;; [unrolled: 1-line block ×4, first 2 shown]
.LBB20_23:
	s_or_b64 exec, exec, s[8:9]
	s_waitcnt lgkmcnt(0)
	; wave barrier
	buffer_load_dword v2, v118, s[0:3], 0 offen
	buffer_load_dword v3, v118, s[0:3], 0 offen offset:4
	buffer_load_dword v4, v118, s[0:3], 0 offen offset:8
	;; [unrolled: 1-line block ×3, first 2 shown]
	v_cmp_gt_u32_e32 vcc, 3, v119
	v_add_u32_e32 v7, -1, v119
	s_waitcnt vmcnt(0)
	ds_write_b128 v6, v[2:5]
	s_waitcnt lgkmcnt(0)
	; wave barrier
	s_waitcnt lgkmcnt(0)
	s_and_saveexec_b64 s[6:7], vcc
	s_cbranch_execz .LBB20_27
; %bb.24:
	v_pk_mov_b32 v[2:3], 0, 0
	v_add_u32_e32 v8, -1, v119
	v_add_u32_e32 v9, 0x150, v76
	v_add_u32_e32 v10, 0, v76
	s_mov_b64 s[8:9], 0
	v_pk_mov_b32 v[4:5], v[2:3], v[2:3] op_sel:[0,1]
.LBB20_25:                              ; =>This Inner Loop Header: Depth=1
	buffer_load_dword v16, v10, s[0:3], 0 offen offset:8
	buffer_load_dword v17, v10, s[0:3], 0 offen offset:12
	buffer_load_dword v18, v10, s[0:3], 0 offen
	buffer_load_dword v19, v10, s[0:3], 0 offen offset:4
	ds_read_b128 v[12:15], v9
	v_add_u32_e32 v8, 1, v8
	v_cmp_lt_u32_e32 vcc, 1, v8
	v_add_u32_e32 v9, 16, v9
	v_add_u32_e32 v10, 16, v10
	s_or_b64 s[8:9], vcc, s[8:9]
	s_waitcnt vmcnt(2) lgkmcnt(0)
	v_mul_f64 v[20:21], v[14:15], v[16:17]
	v_mul_f64 v[16:17], v[12:13], v[16:17]
	s_waitcnt vmcnt(0)
	v_fma_f64 v[12:13], v[12:13], v[18:19], -v[20:21]
	v_fmac_f64_e32 v[16:17], v[14:15], v[18:19]
	v_add_f64 v[4:5], v[4:5], v[12:13]
	v_add_f64 v[2:3], v[2:3], v[16:17]
	s_andn2_b64 exec, exec, s[8:9]
	s_cbranch_execnz .LBB20_25
; %bb.26:
	s_or_b64 exec, exec, s[8:9]
	v_mov_b32_e32 v8, 0
	ds_read_b128 v[8:11], v8 offset:48
	s_waitcnt lgkmcnt(0)
	v_mul_f64 v[12:13], v[2:3], v[10:11]
	v_mul_f64 v[10:11], v[4:5], v[10:11]
	v_fma_f64 v[4:5], v[4:5], v[8:9], -v[12:13]
	v_fmac_f64_e32 v[10:11], v[2:3], v[8:9]
	buffer_store_dword v5, off, s[0:3], 0 offset:52
	buffer_store_dword v4, off, s[0:3], 0 offset:48
	buffer_store_dword v11, off, s[0:3], 0 offset:60
	buffer_store_dword v10, off, s[0:3], 0 offset:56
.LBB20_27:
	s_or_b64 exec, exec, s[6:7]
	s_waitcnt lgkmcnt(0)
	; wave barrier
	buffer_load_dword v2, v112, s[0:3], 0 offen
	buffer_load_dword v3, v112, s[0:3], 0 offen offset:4
	buffer_load_dword v4, v112, s[0:3], 0 offen offset:8
	buffer_load_dword v5, v112, s[0:3], 0 offen offset:12
	v_cmp_gt_u32_e32 vcc, 4, v119
	s_waitcnt vmcnt(0)
	ds_write_b128 v6, v[2:5]
	s_waitcnt lgkmcnt(0)
	; wave barrier
	s_waitcnt lgkmcnt(0)
	s_and_saveexec_b64 s[6:7], vcc
	s_cbranch_execz .LBB20_31
; %bb.28:
	v_pk_mov_b32 v[2:3], 0, 0
	v_add_u32_e32 v8, -1, v119
	v_add_u32_e32 v9, 0x150, v76
	v_add_u32_e32 v10, 0, v76
	s_mov_b64 s[8:9], 0
	v_pk_mov_b32 v[4:5], v[2:3], v[2:3] op_sel:[0,1]
.LBB20_29:                              ; =>This Inner Loop Header: Depth=1
	buffer_load_dword v16, v10, s[0:3], 0 offen offset:8
	buffer_load_dword v17, v10, s[0:3], 0 offen offset:12
	buffer_load_dword v18, v10, s[0:3], 0 offen
	buffer_load_dword v19, v10, s[0:3], 0 offen offset:4
	ds_read_b128 v[12:15], v9
	v_add_u32_e32 v8, 1, v8
	v_cmp_lt_u32_e32 vcc, 2, v8
	v_add_u32_e32 v9, 16, v9
	v_add_u32_e32 v10, 16, v10
	s_or_b64 s[8:9], vcc, s[8:9]
	s_waitcnt vmcnt(2) lgkmcnt(0)
	v_mul_f64 v[20:21], v[14:15], v[16:17]
	v_mul_f64 v[16:17], v[12:13], v[16:17]
	s_waitcnt vmcnt(0)
	v_fma_f64 v[12:13], v[12:13], v[18:19], -v[20:21]
	v_fmac_f64_e32 v[16:17], v[14:15], v[18:19]
	v_add_f64 v[4:5], v[4:5], v[12:13]
	v_add_f64 v[2:3], v[2:3], v[16:17]
	s_andn2_b64 exec, exec, s[8:9]
	s_cbranch_execnz .LBB20_29
; %bb.30:
	s_or_b64 exec, exec, s[8:9]
	v_mov_b32_e32 v8, 0
	ds_read_b128 v[8:11], v8 offset:64
	s_waitcnt lgkmcnt(0)
	v_mul_f64 v[12:13], v[2:3], v[10:11]
	v_mul_f64 v[10:11], v[4:5], v[10:11]
	v_fma_f64 v[4:5], v[4:5], v[8:9], -v[12:13]
	v_fmac_f64_e32 v[10:11], v[2:3], v[8:9]
	buffer_store_dword v5, off, s[0:3], 0 offset:68
	buffer_store_dword v4, off, s[0:3], 0 offset:64
	buffer_store_dword v11, off, s[0:3], 0 offset:76
	buffer_store_dword v10, off, s[0:3], 0 offset:72
.LBB20_31:
	s_or_b64 exec, exec, s[6:7]
	s_waitcnt lgkmcnt(0)
	; wave barrier
	buffer_load_dword v2, v113, s[0:3], 0 offen
	buffer_load_dword v3, v113, s[0:3], 0 offen offset:4
	buffer_load_dword v4, v113, s[0:3], 0 offen offset:8
	buffer_load_dword v5, v113, s[0:3], 0 offen offset:12
	v_cmp_gt_u32_e32 vcc, 5, v119
	;; [unrolled: 57-line block ×16, first 2 shown]
	s_waitcnt vmcnt(0)
	ds_write_b128 v6, v[2:5]
	s_waitcnt lgkmcnt(0)
	; wave barrier
	s_waitcnt lgkmcnt(0)
	s_and_saveexec_b64 s[6:7], vcc
	s_cbranch_execz .LBB20_91
; %bb.88:
	v_pk_mov_b32 v[2:3], 0, 0
	v_add_u32_e32 v8, -1, v119
	v_add_u32_e32 v9, 0x150, v76
	v_add_u32_e32 v10, 0, v76
	s_mov_b64 s[8:9], 0
	v_pk_mov_b32 v[4:5], v[2:3], v[2:3] op_sel:[0,1]
.LBB20_89:                              ; =>This Inner Loop Header: Depth=1
	buffer_load_dword v16, v10, s[0:3], 0 offen offset:8
	buffer_load_dword v17, v10, s[0:3], 0 offen offset:12
	buffer_load_dword v18, v10, s[0:3], 0 offen
	buffer_load_dword v19, v10, s[0:3], 0 offen offset:4
	ds_read_b128 v[12:15], v9
	v_add_u32_e32 v8, 1, v8
	v_cmp_lt_u32_e32 vcc, 17, v8
	v_add_u32_e32 v9, 16, v9
	v_add_u32_e32 v10, 16, v10
	s_or_b64 s[8:9], vcc, s[8:9]
	s_waitcnt vmcnt(2) lgkmcnt(0)
	v_mul_f64 v[20:21], v[14:15], v[16:17]
	v_mul_f64 v[16:17], v[12:13], v[16:17]
	s_waitcnt vmcnt(0)
	v_fma_f64 v[12:13], v[12:13], v[18:19], -v[20:21]
	v_fmac_f64_e32 v[16:17], v[14:15], v[18:19]
	v_add_f64 v[4:5], v[4:5], v[12:13]
	v_add_f64 v[2:3], v[2:3], v[16:17]
	s_andn2_b64 exec, exec, s[8:9]
	s_cbranch_execnz .LBB20_89
; %bb.90:
	s_or_b64 exec, exec, s[8:9]
	v_mov_b32_e32 v8, 0
	ds_read_b128 v[8:11], v8 offset:304
	s_waitcnt lgkmcnt(0)
	v_mul_f64 v[12:13], v[2:3], v[10:11]
	v_mul_f64 v[10:11], v[4:5], v[10:11]
	v_fma_f64 v[4:5], v[4:5], v[8:9], -v[12:13]
	v_fmac_f64_e32 v[10:11], v[2:3], v[8:9]
	buffer_store_dword v5, off, s[0:3], 0 offset:308
	buffer_store_dword v4, off, s[0:3], 0 offset:304
	;; [unrolled: 1-line block ×4, first 2 shown]
.LBB20_91:
	s_or_b64 exec, exec, s[6:7]
	s_waitcnt lgkmcnt(0)
	; wave barrier
	buffer_load_dword v2, v100, s[0:3], 0 offen
	buffer_load_dword v3, v100, s[0:3], 0 offen offset:4
	buffer_load_dword v4, v100, s[0:3], 0 offen offset:8
	;; [unrolled: 1-line block ×3, first 2 shown]
	v_cmp_ne_u32_e32 vcc, 20, v119
	s_waitcnt vmcnt(0)
	ds_write_b128 v6, v[2:5]
	s_waitcnt lgkmcnt(0)
	; wave barrier
	s_waitcnt lgkmcnt(0)
	s_and_saveexec_b64 s[6:7], vcc
	s_cbranch_execz .LBB20_95
; %bb.92:
	v_pk_mov_b32 v[2:3], 0, 0
	v_add_u32_e32 v6, 0x150, v76
	v_add_u32_e32 v8, 0, v76
	s_mov_b64 s[8:9], 0
	v_pk_mov_b32 v[4:5], v[2:3], v[2:3] op_sel:[0,1]
.LBB20_93:                              ; =>This Inner Loop Header: Depth=1
	buffer_load_dword v14, v8, s[0:3], 0 offen offset:8
	buffer_load_dword v15, v8, s[0:3], 0 offen offset:12
	buffer_load_dword v16, v8, s[0:3], 0 offen
	buffer_load_dword v17, v8, s[0:3], 0 offen offset:4
	ds_read_b128 v[10:13], v6
	v_add_u32_e32 v7, 1, v7
	v_cmp_lt_u32_e32 vcc, 18, v7
	v_add_u32_e32 v6, 16, v6
	v_add_u32_e32 v8, 16, v8
	s_or_b64 s[8:9], vcc, s[8:9]
	s_waitcnt vmcnt(2) lgkmcnt(0)
	v_mul_f64 v[18:19], v[12:13], v[14:15]
	v_mul_f64 v[14:15], v[10:11], v[14:15]
	s_waitcnt vmcnt(0)
	v_fma_f64 v[10:11], v[10:11], v[16:17], -v[18:19]
	v_fmac_f64_e32 v[14:15], v[12:13], v[16:17]
	v_add_f64 v[4:5], v[4:5], v[10:11]
	v_add_f64 v[2:3], v[2:3], v[14:15]
	s_andn2_b64 exec, exec, s[8:9]
	s_cbranch_execnz .LBB20_93
; %bb.94:
	s_or_b64 exec, exec, s[8:9]
	v_mov_b32_e32 v6, 0
	ds_read_b128 v[6:9], v6 offset:320
	s_waitcnt lgkmcnt(0)
	v_mul_f64 v[10:11], v[2:3], v[8:9]
	v_mul_f64 v[8:9], v[4:5], v[8:9]
	v_fma_f64 v[4:5], v[4:5], v[6:7], -v[10:11]
	v_fmac_f64_e32 v[8:9], v[2:3], v[6:7]
	buffer_store_dword v5, off, s[0:3], 0 offset:324
	buffer_store_dword v4, off, s[0:3], 0 offset:320
	;; [unrolled: 1-line block ×4, first 2 shown]
.LBB20_95:
	s_or_b64 exec, exec, s[6:7]
	s_mov_b64 s[8:9], -1
	s_waitcnt lgkmcnt(0)
	; wave barrier
.LBB20_96:
	s_and_b64 vcc, exec, s[8:9]
	s_cbranch_vccz .LBB20_98
; %bb.97:
	s_lshl_b64 s[6:7], s[10:11], 2
	s_add_u32 s6, s14, s6
	s_addc_u32 s7, s15, s7
	v_mov_b32_e32 v2, 0
	global_load_dword v2, v2, s[6:7]
	s_waitcnt vmcnt(0)
	v_cmp_ne_u32_e32 vcc, 0, v2
	s_cbranch_vccz .LBB20_99
.LBB20_98:
	s_endpgm
.LBB20_99:
	v_mov_b32_e32 v2, 0x150
	v_lshl_add_u32 v120, v119, 4, v2
	v_cmp_eq_u32_e32 vcc, 20, v119
	s_and_saveexec_b64 s[6:7], vcc
	s_cbranch_execz .LBB20_101
; %bb.100:
	buffer_load_dword v2, v1, s[0:3], 0 offen
	buffer_load_dword v3, v1, s[0:3], 0 offen offset:4
	buffer_load_dword v4, v1, s[0:3], 0 offen offset:8
	;; [unrolled: 1-line block ×3, first 2 shown]
	v_mov_b32_e32 v6, 0
	buffer_store_dword v6, off, s[0:3], 0 offset:304
	buffer_store_dword v6, off, s[0:3], 0 offset:308
	;; [unrolled: 1-line block ×4, first 2 shown]
	s_waitcnt vmcnt(4)
	ds_write_b128 v120, v[2:5]
.LBB20_101:
	s_or_b64 exec, exec, s[6:7]
	s_waitcnt lgkmcnt(0)
	; wave barrier
	s_waitcnt lgkmcnt(0)
	buffer_load_dword v8, off, s[0:3], 0 offset:328
	buffer_load_dword v9, off, s[0:3], 0 offset:332
	;; [unrolled: 1-line block ×8, first 2 shown]
	v_mov_b32_e32 v2, 0
	ds_read_b128 v[4:7], v2 offset:656
	v_cmp_lt_u32_e32 vcc, 18, v119
	s_waitcnt vmcnt(6) lgkmcnt(0)
	v_mul_f64 v[16:17], v[4:5], v[8:9]
	v_mul_f64 v[8:9], v[6:7], v[8:9]
	s_waitcnt vmcnt(4)
	v_fma_f64 v[4:5], v[4:5], v[10:11], -v[8:9]
	v_fmac_f64_e32 v[16:17], v[6:7], v[10:11]
	v_add_f64 v[4:5], v[4:5], 0
	v_add_f64 v[6:7], v[16:17], 0
	s_waitcnt vmcnt(2)
	v_add_f64 v[4:5], v[12:13], -v[4:5]
	s_waitcnt vmcnt(0)
	v_add_f64 v[6:7], v[14:15], -v[6:7]
	buffer_store_dword v4, off, s[0:3], 0 offset:304
	buffer_store_dword v5, off, s[0:3], 0 offset:308
	;; [unrolled: 1-line block ×4, first 2 shown]
	s_and_saveexec_b64 s[6:7], vcc
	s_cbranch_execz .LBB20_103
; %bb.102:
	buffer_load_dword v4, v103, s[0:3], 0 offen
	buffer_load_dword v5, v103, s[0:3], 0 offen offset:4
	buffer_load_dword v6, v103, s[0:3], 0 offen offset:8
	;; [unrolled: 1-line block ×3, first 2 shown]
	s_nop 0
	buffer_store_dword v2, off, s[0:3], 0 offset:288
	buffer_store_dword v2, off, s[0:3], 0 offset:292
	;; [unrolled: 1-line block ×4, first 2 shown]
	s_waitcnt vmcnt(4)
	ds_write_b128 v120, v[4:7]
.LBB20_103:
	s_or_b64 exec, exec, s[6:7]
	s_waitcnt lgkmcnt(0)
	; wave barrier
	s_waitcnt lgkmcnt(0)
	buffer_load_dword v12, off, s[0:3], 0 offset:312
	buffer_load_dword v13, off, s[0:3], 0 offset:316
	;; [unrolled: 1-line block ×12, first 2 shown]
	ds_read_b128 v[4:7], v2 offset:640
	ds_read_b128 v[8:11], v2 offset:656
	v_cmp_lt_u32_e32 vcc, 17, v119
	s_waitcnt vmcnt(10) lgkmcnt(1)
	v_mul_f64 v[2:3], v[4:5], v[12:13]
	v_mul_f64 v[12:13], v[6:7], v[12:13]
	s_waitcnt vmcnt(8) lgkmcnt(0)
	v_mul_f64 v[24:25], v[8:9], v[14:15]
	v_mul_f64 v[14:15], v[10:11], v[14:15]
	s_waitcnt vmcnt(6)
	v_fma_f64 v[4:5], v[4:5], v[16:17], -v[12:13]
	v_fmac_f64_e32 v[2:3], v[6:7], v[16:17]
	s_waitcnt vmcnt(4)
	v_fma_f64 v[6:7], v[8:9], v[18:19], -v[14:15]
	v_add_f64 v[4:5], v[4:5], 0
	v_fmac_f64_e32 v[24:25], v[10:11], v[18:19]
	v_add_f64 v[2:3], v[2:3], 0
	v_add_f64 v[4:5], v[4:5], v[6:7]
	;; [unrolled: 1-line block ×3, first 2 shown]
	s_waitcnt vmcnt(2)
	v_add_f64 v[4:5], v[20:21], -v[4:5]
	s_waitcnt vmcnt(0)
	v_add_f64 v[2:3], v[22:23], -v[2:3]
	buffer_store_dword v4, off, s[0:3], 0 offset:288
	buffer_store_dword v5, off, s[0:3], 0 offset:292
	;; [unrolled: 1-line block ×4, first 2 shown]
	s_and_saveexec_b64 s[6:7], vcc
	s_cbranch_execz .LBB20_105
; %bb.104:
	buffer_load_dword v2, v102, s[0:3], 0 offen
	buffer_load_dword v3, v102, s[0:3], 0 offen offset:4
	buffer_load_dword v4, v102, s[0:3], 0 offen offset:8
	;; [unrolled: 1-line block ×3, first 2 shown]
	v_mov_b32_e32 v6, 0
	buffer_store_dword v6, off, s[0:3], 0 offset:272
	buffer_store_dword v6, off, s[0:3], 0 offset:276
	;; [unrolled: 1-line block ×4, first 2 shown]
	s_waitcnt vmcnt(4)
	ds_write_b128 v120, v[2:5]
.LBB20_105:
	s_or_b64 exec, exec, s[6:7]
	s_waitcnt lgkmcnt(0)
	; wave barrier
	s_waitcnt lgkmcnt(0)
	buffer_load_dword v16, off, s[0:3], 0 offset:296
	buffer_load_dword v17, off, s[0:3], 0 offset:300
	;; [unrolled: 1-line block ×16, first 2 shown]
	v_mov_b32_e32 v2, 0
	ds_read_b128 v[4:7], v2 offset:624
	ds_read_b128 v[8:11], v2 offset:640
	;; [unrolled: 1-line block ×3, first 2 shown]
	v_cmp_lt_u32_e32 vcc, 16, v119
	s_waitcnt vmcnt(14) lgkmcnt(2)
	v_mul_f64 v[32:33], v[4:5], v[16:17]
	v_mul_f64 v[16:17], v[6:7], v[16:17]
	s_waitcnt vmcnt(12) lgkmcnt(1)
	v_mul_f64 v[76:77], v[8:9], v[18:19]
	v_mul_f64 v[18:19], v[10:11], v[18:19]
	;; [unrolled: 3-line block ×3, first 2 shown]
	s_waitcnt vmcnt(8)
	v_fma_f64 v[4:5], v[4:5], v[22:23], -v[16:17]
	v_fmac_f64_e32 v[32:33], v[6:7], v[22:23]
	s_waitcnt vmcnt(6)
	v_fma_f64 v[6:7], v[8:9], v[24:25], -v[18:19]
	v_add_f64 v[4:5], v[4:5], 0
	v_fmac_f64_e32 v[76:77], v[10:11], v[24:25]
	s_waitcnt vmcnt(4)
	v_fma_f64 v[8:9], v[12:13], v[26:27], -v[20:21]
	v_add_f64 v[10:11], v[32:33], 0
	v_add_f64 v[4:5], v[4:5], v[6:7]
	v_fmac_f64_e32 v[78:79], v[14:15], v[26:27]
	v_add_f64 v[10:11], v[10:11], v[76:77]
	v_add_f64 v[4:5], v[4:5], v[8:9]
	;; [unrolled: 1-line block ×3, first 2 shown]
	s_waitcnt vmcnt(2)
	v_add_f64 v[4:5], v[28:29], -v[4:5]
	s_waitcnt vmcnt(0)
	v_add_f64 v[6:7], v[30:31], -v[6:7]
	buffer_store_dword v4, off, s[0:3], 0 offset:272
	buffer_store_dword v5, off, s[0:3], 0 offset:276
	;; [unrolled: 1-line block ×4, first 2 shown]
	s_and_saveexec_b64 s[6:7], vcc
	s_cbranch_execz .LBB20_107
; %bb.106:
	buffer_load_dword v4, v101, s[0:3], 0 offen
	buffer_load_dword v5, v101, s[0:3], 0 offen offset:4
	buffer_load_dword v6, v101, s[0:3], 0 offen offset:8
	;; [unrolled: 1-line block ×3, first 2 shown]
	s_nop 0
	buffer_store_dword v2, off, s[0:3], 0 offset:256
	buffer_store_dword v2, off, s[0:3], 0 offset:260
	;; [unrolled: 1-line block ×4, first 2 shown]
	s_waitcnt vmcnt(4)
	ds_write_b128 v120, v[4:7]
.LBB20_107:
	s_or_b64 exec, exec, s[6:7]
	s_waitcnt lgkmcnt(0)
	; wave barrier
	s_waitcnt lgkmcnt(0)
	buffer_load_dword v20, off, s[0:3], 0 offset:280
	buffer_load_dword v21, off, s[0:3], 0 offset:284
	;; [unrolled: 1-line block ×20, first 2 shown]
	ds_read_b128 v[4:7], v2 offset:608
	ds_read_b128 v[8:11], v2 offset:624
	ds_read_b128 v[12:15], v2 offset:640
	ds_read_b128 v[16:19], v2 offset:656
	v_cmp_lt_u32_e32 vcc, 15, v119
	s_waitcnt vmcnt(18) lgkmcnt(3)
	v_mul_f64 v[2:3], v[4:5], v[20:21]
	v_mul_f64 v[20:21], v[6:7], v[20:21]
	s_waitcnt vmcnt(16) lgkmcnt(2)
	v_mul_f64 v[82:83], v[8:9], v[22:23]
	v_mul_f64 v[22:23], v[10:11], v[22:23]
	;; [unrolled: 3-line block ×4, first 2 shown]
	s_waitcnt vmcnt(10)
	v_fma_f64 v[4:5], v[4:5], v[28:29], -v[20:21]
	v_fmac_f64_e32 v[2:3], v[6:7], v[28:29]
	s_waitcnt vmcnt(8)
	v_fma_f64 v[6:7], v[8:9], v[30:31], -v[22:23]
	v_add_f64 v[4:5], v[4:5], 0
	v_fmac_f64_e32 v[82:83], v[10:11], v[30:31]
	s_waitcnt vmcnt(6)
	v_fma_f64 v[8:9], v[12:13], v[32:33], -v[24:25]
	v_add_f64 v[2:3], v[2:3], 0
	v_add_f64 v[4:5], v[4:5], v[6:7]
	v_fmac_f64_e32 v[84:85], v[14:15], v[32:33]
	s_waitcnt vmcnt(4)
	v_fma_f64 v[10:11], v[16:17], v[76:77], -v[26:27]
	v_add_f64 v[2:3], v[2:3], v[82:83]
	v_add_f64 v[4:5], v[4:5], v[8:9]
	v_fmac_f64_e32 v[86:87], v[18:19], v[76:77]
	v_add_f64 v[2:3], v[2:3], v[84:85]
	v_add_f64 v[4:5], v[4:5], v[10:11]
	;; [unrolled: 1-line block ×3, first 2 shown]
	s_waitcnt vmcnt(2)
	v_add_f64 v[4:5], v[78:79], -v[4:5]
	s_waitcnt vmcnt(0)
	v_add_f64 v[2:3], v[80:81], -v[2:3]
	buffer_store_dword v4, off, s[0:3], 0 offset:256
	buffer_store_dword v5, off, s[0:3], 0 offset:260
	;; [unrolled: 1-line block ×4, first 2 shown]
	s_and_saveexec_b64 s[6:7], vcc
	s_cbranch_execz .LBB20_109
; %bb.108:
	buffer_load_dword v2, v107, s[0:3], 0 offen
	buffer_load_dword v3, v107, s[0:3], 0 offen offset:4
	buffer_load_dword v4, v107, s[0:3], 0 offen offset:8
	buffer_load_dword v5, v107, s[0:3], 0 offen offset:12
	v_mov_b32_e32 v6, 0
	buffer_store_dword v6, off, s[0:3], 0 offset:240
	buffer_store_dword v6, off, s[0:3], 0 offset:244
	;; [unrolled: 1-line block ×4, first 2 shown]
	s_waitcnt vmcnt(4)
	ds_write_b128 v120, v[2:5]
.LBB20_109:
	s_or_b64 exec, exec, s[6:7]
	s_waitcnt lgkmcnt(0)
	; wave barrier
	s_waitcnt lgkmcnt(0)
	buffer_load_dword v24, off, s[0:3], 0 offset:264
	buffer_load_dword v25, off, s[0:3], 0 offset:268
	;; [unrolled: 1-line block ×24, first 2 shown]
	v_mov_b32_e32 v2, 0
	ds_read_b128 v[4:7], v2 offset:592
	ds_read_b128 v[8:11], v2 offset:608
	;; [unrolled: 1-line block ×5, first 2 shown]
	v_cmp_lt_u32_e32 vcc, 14, v119
	s_waitcnt vmcnt(22) lgkmcnt(4)
	v_mul_f64 v[90:91], v[4:5], v[24:25]
	v_mul_f64 v[24:25], v[6:7], v[24:25]
	s_waitcnt vmcnt(20) lgkmcnt(3)
	v_mul_f64 v[92:93], v[8:9], v[26:27]
	v_mul_f64 v[26:27], v[10:11], v[26:27]
	;; [unrolled: 3-line block ×4, first 2 shown]
	s_waitcnt vmcnt(13) lgkmcnt(0)
	v_mul_f64 v[98:99], v[20:21], v[30:31]
	s_waitcnt vmcnt(11)
	v_fma_f64 v[4:5], v[4:5], v[78:79], -v[24:25]
	v_fmac_f64_e32 v[90:91], v[6:7], v[78:79]
	s_waitcnt vmcnt(9)
	v_fma_f64 v[6:7], v[8:9], v[80:81], -v[26:27]
	v_add_f64 v[4:5], v[4:5], 0
	v_fmac_f64_e32 v[92:93], v[10:11], v[80:81]
	s_waitcnt vmcnt(7)
	v_fmac_f64_e32 v[94:95], v[14:15], v[82:83]
	v_fma_f64 v[8:9], v[12:13], v[82:83], -v[28:29]
	v_add_f64 v[14:15], v[90:91], 0
	v_add_f64 v[4:5], v[4:5], v[6:7]
	v_mul_f64 v[30:31], v[22:23], v[30:31]
	s_waitcnt vmcnt(5)
	v_fma_f64 v[10:11], v[16:17], v[84:85], -v[76:77]
	v_add_f64 v[14:15], v[14:15], v[92:93]
	v_add_f64 v[4:5], v[4:5], v[8:9]
	v_fmac_f64_e32 v[96:97], v[18:19], v[84:85]
	s_waitcnt vmcnt(4)
	v_fma_f64 v[12:13], v[20:21], v[32:33], -v[30:31]
	v_add_f64 v[6:7], v[14:15], v[94:95]
	v_add_f64 v[4:5], v[4:5], v[10:11]
	v_fmac_f64_e32 v[98:99], v[22:23], v[32:33]
	v_add_f64 v[6:7], v[6:7], v[96:97]
	v_add_f64 v[4:5], v[4:5], v[12:13]
	;; [unrolled: 1-line block ×3, first 2 shown]
	s_waitcnt vmcnt(2)
	v_add_f64 v[4:5], v[86:87], -v[4:5]
	s_waitcnt vmcnt(0)
	v_add_f64 v[6:7], v[88:89], -v[6:7]
	buffer_store_dword v5, off, s[0:3], 0 offset:244
	buffer_store_dword v4, off, s[0:3], 0 offset:240
	;; [unrolled: 1-line block ×4, first 2 shown]
	s_and_saveexec_b64 s[6:7], vcc
	s_cbranch_execz .LBB20_111
; %bb.110:
	buffer_load_dword v4, v105, s[0:3], 0 offen
	buffer_load_dword v5, v105, s[0:3], 0 offen offset:4
	buffer_load_dword v6, v105, s[0:3], 0 offen offset:8
	;; [unrolled: 1-line block ×3, first 2 shown]
	s_nop 0
	buffer_store_dword v2, off, s[0:3], 0 offset:224
	buffer_store_dword v2, off, s[0:3], 0 offset:228
	;; [unrolled: 1-line block ×4, first 2 shown]
	s_waitcnt vmcnt(4)
	ds_write_b128 v120, v[4:7]
.LBB20_111:
	s_or_b64 exec, exec, s[6:7]
	s_waitcnt lgkmcnt(0)
	; wave barrier
	s_waitcnt lgkmcnt(0)
	ds_read_b128 v[4:7], v2 offset:576
	ds_read_b128 v[8:11], v2 offset:592
	;; [unrolled: 1-line block ×4, first 2 shown]
	buffer_load_dword v28, off, s[0:3], 0 offset:224
	buffer_load_dword v29, off, s[0:3], 0 offset:228
	;; [unrolled: 1-line block ×20, first 2 shown]
	v_cmp_lt_u32_e32 vcc, 13, v119
	s_waitcnt vmcnt(12) lgkmcnt(3)
	v_mul_f64 v[20:21], v[4:5], v[76:77]
	v_fmac_f64_e32 v[20:21], v[6:7], v[32:33]
	v_add_f64 v[20:21], v[20:21], 0
	v_mul_f64 v[6:7], v[6:7], v[76:77]
	s_waitcnt vmcnt(8) lgkmcnt(2)
	v_mul_f64 v[22:23], v[8:9], v[80:81]
	v_fmac_f64_e32 v[22:23], v[10:11], v[78:79]
	v_add_f64 v[20:21], v[20:21], v[22:23]
	v_fma_f64 v[4:5], v[4:5], v[32:33], -v[6:7]
	s_waitcnt vmcnt(4) lgkmcnt(1)
	v_mul_f64 v[22:23], v[12:13], v[84:85]
	v_fmac_f64_e32 v[22:23], v[14:15], v[82:83]
	v_add_f64 v[20:21], v[20:21], v[22:23]
	s_waitcnt vmcnt(0) lgkmcnt(0)
	v_mul_f64 v[22:23], v[16:17], v[88:89]
	v_fmac_f64_e32 v[22:23], v[18:19], v[86:87]
	v_add_f64 v[24:25], v[20:21], v[22:23]
	ds_read_b128 v[20:23], v2 offset:640
	buffer_load_dword v91, off, s[0:3], 0 offset:308
	buffer_load_dword v90, off, s[0:3], 0 offset:304
	;; [unrolled: 1-line block ×4, first 2 shown]
	v_mul_f64 v[6:7], v[10:11], v[80:81]
	v_add_f64 v[4:5], v[4:5], 0
	v_fma_f64 v[6:7], v[8:9], v[78:79], -v[6:7]
	v_add_f64 v[4:5], v[4:5], v[6:7]
	v_mul_f64 v[6:7], v[14:15], v[84:85]
	v_fma_f64 v[6:7], v[12:13], v[82:83], -v[6:7]
	v_add_f64 v[4:5], v[4:5], v[6:7]
	v_mul_f64 v[6:7], v[18:19], v[88:89]
	v_fma_f64 v[6:7], v[16:17], v[86:87], -v[6:7]
	v_add_f64 v[4:5], v[4:5], v[6:7]
	s_waitcnt vmcnt(0) lgkmcnt(0)
	v_mul_f64 v[26:27], v[20:21], v[92:93]
	v_fmac_f64_e32 v[26:27], v[22:23], v[90:91]
	v_add_f64 v[94:95], v[24:25], v[26:27]
	ds_read_b128 v[24:27], v2 offset:656
	buffer_load_dword v3, off, s[0:3], 0 offset:324
	buffer_load_dword v2, off, s[0:3], 0 offset:320
	buffer_load_dword v97, off, s[0:3], 0 offset:332
	buffer_load_dword v96, off, s[0:3], 0 offset:328
	v_mul_f64 v[6:7], v[22:23], v[92:93]
	v_fma_f64 v[6:7], v[20:21], v[90:91], -v[6:7]
	v_add_f64 v[4:5], v[4:5], v[6:7]
	s_waitcnt vmcnt(0) lgkmcnt(0)
	v_mul_f64 v[98:99], v[24:25], v[96:97]
	v_mul_f64 v[6:7], v[26:27], v[96:97]
	v_fmac_f64_e32 v[98:99], v[26:27], v[2:3]
	v_fma_f64 v[2:3], v[24:25], v[2:3], -v[6:7]
	v_add_f64 v[2:3], v[4:5], v[2:3]
	v_add_f64 v[94:95], v[94:95], v[98:99]
	v_add_f64 v[2:3], v[28:29], -v[2:3]
	v_add_f64 v[4:5], v[30:31], -v[94:95]
	buffer_store_dword v3, off, s[0:3], 0 offset:228
	buffer_store_dword v2, off, s[0:3], 0 offset:224
	;; [unrolled: 1-line block ×4, first 2 shown]
	s_and_saveexec_b64 s[6:7], vcc
	s_cbranch_execz .LBB20_113
; %bb.112:
	buffer_load_dword v2, v106, s[0:3], 0 offen
	buffer_load_dword v3, v106, s[0:3], 0 offen offset:4
	buffer_load_dword v4, v106, s[0:3], 0 offen offset:8
	;; [unrolled: 1-line block ×3, first 2 shown]
	v_mov_b32_e32 v6, 0
	buffer_store_dword v6, off, s[0:3], 0 offset:208
	buffer_store_dword v6, off, s[0:3], 0 offset:212
	;; [unrolled: 1-line block ×4, first 2 shown]
	s_waitcnt vmcnt(4)
	ds_write_b128 v120, v[2:5]
.LBB20_113:
	s_or_b64 exec, exec, s[6:7]
	s_waitcnt lgkmcnt(0)
	; wave barrier
	s_waitcnt lgkmcnt(0)
	buffer_load_dword v32, off, s[0:3], 0 offset:232
	buffer_load_dword v33, off, s[0:3], 0 offset:236
	;; [unrolled: 1-line block ×32, first 2 shown]
	v_mov_b32_e32 v2, 0
	ds_read_b128 v[4:7], v2 offset:560
	ds_read_b128 v[8:11], v2 offset:576
	;; [unrolled: 1-line block ×7, first 2 shown]
	v_cmp_lt_u32_e32 vcc, 12, v119
	s_waitcnt vmcnt(30) lgkmcnt(6)
	v_mul_f64 v[128:129], v[4:5], v[32:33]
	v_mul_f64 v[32:33], v[6:7], v[32:33]
	s_waitcnt vmcnt(28) lgkmcnt(5)
	v_mul_f64 v[130:131], v[8:9], v[76:77]
	v_mul_f64 v[76:77], v[10:11], v[76:77]
	;; [unrolled: 3-line block ×4, first 2 shown]
	s_waitcnt vmcnt(21)
	v_mul_f64 v[134:135], v[16:17], v[84:85]
	v_mul_f64 v[84:85], v[18:19], v[84:85]
	s_waitcnt vmcnt(17) lgkmcnt(1)
	v_mul_f64 v[138:139], v[24:25], v[90:91]
	v_mul_f64 v[90:91], v[26:27], v[90:91]
	s_waitcnt vmcnt(16) lgkmcnt(0)
	v_mul_f64 v[140:141], v[28:29], v[86:87]
	v_mul_f64 v[86:87], v[30:31], v[86:87]
	s_waitcnt vmcnt(13)
	v_fma_f64 v[4:5], v[4:5], v[92:93], -v[32:33]
	v_fmac_f64_e32 v[128:129], v[6:7], v[92:93]
	s_waitcnt vmcnt(11)
	v_fma_f64 v[6:7], v[8:9], v[94:95], -v[76:77]
	v_add_f64 v[4:5], v[4:5], 0
	v_fmac_f64_e32 v[130:131], v[10:11], v[94:95]
	s_waitcnt vmcnt(9)
	v_fma_f64 v[8:9], v[12:13], v[96:97], -v[78:79]
	s_waitcnt vmcnt(7)
	v_fmac_f64_e32 v[134:135], v[18:19], v[98:99]
	v_add_f64 v[18:19], v[128:129], 0
	v_add_f64 v[4:5], v[4:5], v[6:7]
	v_fmac_f64_e32 v[132:133], v[14:15], v[96:97]
	v_fma_f64 v[10:11], v[16:17], v[98:99], -v[84:85]
	v_add_f64 v[18:19], v[18:19], v[130:131]
	v_add_f64 v[4:5], v[4:5], v[8:9]
	v_fma_f64 v[12:13], v[20:21], v[82:83], -v[80:81]
	v_add_f64 v[6:7], v[18:19], v[132:133]
	v_add_f64 v[4:5], v[4:5], v[10:11]
	v_fmac_f64_e32 v[136:137], v[22:23], v[82:83]
	s_waitcnt vmcnt(5)
	v_fma_f64 v[14:15], v[24:25], v[122:123], -v[90:91]
	v_add_f64 v[6:7], v[6:7], v[134:135]
	v_add_f64 v[4:5], v[4:5], v[12:13]
	v_fmac_f64_e32 v[138:139], v[26:27], v[122:123]
	s_waitcnt vmcnt(4)
	v_fma_f64 v[16:17], v[28:29], v[88:89], -v[86:87]
	v_add_f64 v[6:7], v[6:7], v[136:137]
	v_add_f64 v[4:5], v[4:5], v[14:15]
	v_fmac_f64_e32 v[140:141], v[30:31], v[88:89]
	v_add_f64 v[6:7], v[6:7], v[138:139]
	v_add_f64 v[4:5], v[4:5], v[16:17]
	;; [unrolled: 1-line block ×3, first 2 shown]
	s_waitcnt vmcnt(2)
	v_add_f64 v[4:5], v[124:125], -v[4:5]
	s_waitcnt vmcnt(0)
	v_add_f64 v[6:7], v[126:127], -v[6:7]
	buffer_store_dword v5, off, s[0:3], 0 offset:212
	buffer_store_dword v4, off, s[0:3], 0 offset:208
	;; [unrolled: 1-line block ×4, first 2 shown]
	s_and_saveexec_b64 s[6:7], vcc
	s_cbranch_execz .LBB20_115
; %bb.114:
	buffer_load_dword v4, v104, s[0:3], 0 offen
	buffer_load_dword v5, v104, s[0:3], 0 offen offset:4
	buffer_load_dword v6, v104, s[0:3], 0 offen offset:8
	;; [unrolled: 1-line block ×3, first 2 shown]
	s_nop 0
	buffer_store_dword v2, off, s[0:3], 0 offset:192
	buffer_store_dword v2, off, s[0:3], 0 offset:196
	;; [unrolled: 1-line block ×4, first 2 shown]
	s_waitcnt vmcnt(4)
	ds_write_b128 v120, v[4:7]
.LBB20_115:
	s_or_b64 exec, exec, s[6:7]
	s_waitcnt lgkmcnt(0)
	; wave barrier
	s_waitcnt lgkmcnt(0)
	buffer_load_dword v32, off, s[0:3], 0 offset:216
	buffer_load_dword v33, off, s[0:3], 0 offset:220
	;; [unrolled: 1-line block ×36, first 2 shown]
	ds_read_b128 v[4:7], v2 offset:544
	ds_read_b128 v[8:11], v2 offset:560
	;; [unrolled: 1-line block ×8, first 2 shown]
	v_cmp_lt_u32_e32 vcc, 11, v119
	s_waitcnt vmcnt(34) lgkmcnt(7)
	v_mul_f64 v[2:3], v[4:5], v[32:33]
	v_mul_f64 v[32:33], v[6:7], v[32:33]
	s_waitcnt vmcnt(32) lgkmcnt(6)
	v_mul_f64 v[136:137], v[8:9], v[80:81]
	v_mul_f64 v[80:81], v[10:11], v[80:81]
	;; [unrolled: 3-line block ×4, first 2 shown]
	s_waitcnt vmcnt(25)
	v_mul_f64 v[140:141], v[16:17], v[88:89]
	v_mul_f64 v[88:89], v[18:19], v[88:89]
	s_waitcnt vmcnt(23) lgkmcnt(1)
	v_mul_f64 v[146:147], v[28:29], v[90:91]
	v_mul_f64 v[90:91], v[30:31], v[90:91]
	s_waitcnt vmcnt(20)
	v_mul_f64 v[144:145], v[24:25], v[94:95]
	v_mul_f64 v[94:95], v[26:27], v[94:95]
	s_waitcnt vmcnt(18) lgkmcnt(0)
	v_mul_f64 v[148:149], v[76:77], v[96:97]
	s_waitcnt vmcnt(17)
	v_fmac_f64_e32 v[142:143], v[22:23], v[86:87]
	s_waitcnt vmcnt(16)
	v_fmac_f64_e32 v[146:147], v[30:31], v[92:93]
	s_waitcnt vmcnt(14)
	v_fma_f64 v[4:5], v[4:5], v[98:99], -v[32:33]
	v_fmac_f64_e32 v[2:3], v[6:7], v[98:99]
	s_waitcnt vmcnt(12)
	v_fma_f64 v[6:7], v[8:9], v[122:123], -v[80:81]
	v_add_f64 v[4:5], v[4:5], 0
	v_fmac_f64_e32 v[136:137], v[10:11], v[122:123]
	s_waitcnt vmcnt(10)
	v_fma_f64 v[8:9], v[12:13], v[124:125], -v[82:83]
	v_add_f64 v[2:3], v[2:3], 0
	v_add_f64 v[4:5], v[4:5], v[6:7]
	v_fmac_f64_e32 v[138:139], v[14:15], v[124:125]
	s_waitcnt vmcnt(8)
	v_fma_f64 v[10:11], v[16:17], v[126:127], -v[88:89]
	v_add_f64 v[2:3], v[2:3], v[136:137]
	v_add_f64 v[4:5], v[4:5], v[8:9]
	v_fmac_f64_e32 v[140:141], v[18:19], v[126:127]
	v_fma_f64 v[12:13], v[20:21], v[86:87], -v[84:85]
	v_add_f64 v[2:3], v[2:3], v[138:139]
	v_add_f64 v[4:5], v[4:5], v[10:11]
	s_waitcnt vmcnt(6)
	v_fma_f64 v[14:15], v[24:25], v[128:129], -v[94:95]
	v_add_f64 v[2:3], v[2:3], v[140:141]
	v_add_f64 v[4:5], v[4:5], v[12:13]
	v_fmac_f64_e32 v[144:145], v[26:27], v[128:129]
	v_fma_f64 v[16:17], v[28:29], v[92:93], -v[90:91]
	v_add_f64 v[2:3], v[2:3], v[142:143]
	v_add_f64 v[4:5], v[4:5], v[14:15]
	v_mul_f64 v[6:7], v[78:79], v[96:97]
	v_add_f64 v[2:3], v[2:3], v[144:145]
	v_add_f64 v[4:5], v[4:5], v[16:17]
	s_waitcnt vmcnt(4)
	v_fma_f64 v[6:7], v[76:77], v[130:131], -v[6:7]
	v_fmac_f64_e32 v[148:149], v[78:79], v[130:131]
	v_add_f64 v[2:3], v[2:3], v[146:147]
	v_add_f64 v[4:5], v[4:5], v[6:7]
	;; [unrolled: 1-line block ×3, first 2 shown]
	s_waitcnt vmcnt(2)
	v_add_f64 v[4:5], v[132:133], -v[4:5]
	s_waitcnt vmcnt(0)
	v_add_f64 v[2:3], v[134:135], -v[2:3]
	buffer_store_dword v5, off, s[0:3], 0 offset:196
	buffer_store_dword v4, off, s[0:3], 0 offset:192
	;; [unrolled: 1-line block ×4, first 2 shown]
	s_and_saveexec_b64 s[6:7], vcc
	s_cbranch_execz .LBB20_117
; %bb.116:
	buffer_load_dword v2, v111, s[0:3], 0 offen
	buffer_load_dword v3, v111, s[0:3], 0 offen offset:4
	buffer_load_dword v4, v111, s[0:3], 0 offen offset:8
	;; [unrolled: 1-line block ×3, first 2 shown]
	v_mov_b32_e32 v6, 0
	buffer_store_dword v6, off, s[0:3], 0 offset:176
	buffer_store_dword v6, off, s[0:3], 0 offset:180
	;; [unrolled: 1-line block ×4, first 2 shown]
	s_waitcnt vmcnt(4)
	ds_write_b128 v120, v[2:5]
.LBB20_117:
	s_or_b64 exec, exec, s[6:7]
	s_waitcnt lgkmcnt(0)
	; wave barrier
	s_waitcnt lgkmcnt(0)
	buffer_load_dword v80, off, s[0:3], 0 offset:200
	buffer_load_dword v81, off, s[0:3], 0 offset:204
	;; [unrolled: 1-line block ×40, first 2 shown]
	v_mov_b32_e32 v86, 0
	ds_read_b128 v[2:5], v86 offset:528
	ds_read_b128 v[6:9], v86 offset:544
	;; [unrolled: 1-line block ×9, first 2 shown]
	v_cmp_lt_u32_e32 vcc, 10, v119
	s_waitcnt vmcnt(38) lgkmcnt(8)
	v_mul_f64 v[144:145], v[2:3], v[80:81]
	v_mul_f64 v[80:81], v[4:5], v[80:81]
	s_waitcnt vmcnt(36) lgkmcnt(7)
	v_mul_f64 v[146:147], v[6:7], v[82:83]
	v_mul_f64 v[82:83], v[8:9], v[82:83]
	;; [unrolled: 3-line block ×3, first 2 shown]
	s_waitcnt vmcnt(32) lgkmcnt(4)
	v_mul_f64 v[152:153], v[18:19], v[88:89]
	s_waitcnt vmcnt(30)
	v_fmac_f64_e32 v[152:153], v[20:21], v[90:91]
	s_waitcnt vmcnt(28)
	v_mul_f64 v[150:151], v[14:15], v[92:93]
	v_mul_f64 v[92:93], v[16:17], v[92:93]
	s_waitcnt vmcnt(26) lgkmcnt(2)
	v_mul_f64 v[156:157], v[26:27], v[94:95]
	s_waitcnt vmcnt(24)
	v_fmac_f64_e32 v[156:157], v[28:29], v[96:97]
	s_waitcnt vmcnt(22)
	v_mul_f64 v[154:155], v[22:23], v[98:99]
	s_waitcnt vmcnt(18) lgkmcnt(1)
	v_mul_f64 v[158:159], v[30:31], v[126:127]
	s_waitcnt vmcnt(17) lgkmcnt(0)
	v_mul_f64 v[160:161], v[76:77], v[122:123]
	s_waitcnt vmcnt(15)
	v_fma_f64 v[2:3], v[2:3], v[128:129], -v[80:81]
	v_fmac_f64_e32 v[144:145], v[4:5], v[128:129]
	s_waitcnt vmcnt(13)
	v_fma_f64 v[4:5], v[6:7], v[130:131], -v[82:83]
	v_add_f64 v[2:3], v[2:3], 0
	s_waitcnt vmcnt(11)
	v_fma_f64 v[6:7], v[10:11], v[132:133], -v[84:85]
	v_add_f64 v[2:3], v[2:3], v[4:5]
	v_fmac_f64_e32 v[146:147], v[8:9], v[130:131]
	s_waitcnt vmcnt(9)
	v_fma_f64 v[8:9], v[14:15], v[134:135], -v[92:93]
	v_add_f64 v[2:3], v[2:3], v[6:7]
	v_mul_f64 v[6:7], v[20:21], v[88:89]
	v_add_f64 v[2:3], v[2:3], v[8:9]
	v_fma_f64 v[6:7], v[18:19], v[90:91], -v[6:7]
	v_add_f64 v[2:3], v[2:3], v[6:7]
	v_mul_f64 v[6:7], v[24:25], v[98:99]
	v_add_f64 v[10:11], v[144:145], 0
	s_waitcnt vmcnt(7)
	v_fma_f64 v[6:7], v[22:23], v[136:137], -v[6:7]
	v_fmac_f64_e32 v[148:149], v[12:13], v[132:133]
	v_add_f64 v[10:11], v[10:11], v[146:147]
	v_add_f64 v[2:3], v[2:3], v[6:7]
	v_mul_f64 v[6:7], v[28:29], v[94:95]
	v_fmac_f64_e32 v[150:151], v[16:17], v[134:135]
	v_add_f64 v[4:5], v[10:11], v[148:149]
	v_fma_f64 v[6:7], v[26:27], v[96:97], -v[6:7]
	v_add_f64 v[4:5], v[4:5], v[150:151]
	v_add_f64 v[2:3], v[2:3], v[6:7]
	v_mul_f64 v[6:7], v[32:33], v[126:127]
	v_fmac_f64_e32 v[154:155], v[24:25], v[136:137]
	v_add_f64 v[4:5], v[4:5], v[152:153]
	s_waitcnt vmcnt(5)
	v_fma_f64 v[6:7], v[30:31], v[138:139], -v[6:7]
	v_add_f64 v[4:5], v[4:5], v[154:155]
	v_add_f64 v[2:3], v[2:3], v[6:7]
	v_mul_f64 v[6:7], v[78:79], v[122:123]
	v_fmac_f64_e32 v[158:159], v[32:33], v[138:139]
	v_add_f64 v[4:5], v[4:5], v[156:157]
	s_waitcnt vmcnt(4)
	v_fma_f64 v[6:7], v[76:77], v[124:125], -v[6:7]
	v_fmac_f64_e32 v[160:161], v[78:79], v[124:125]
	v_add_f64 v[4:5], v[4:5], v[158:159]
	v_add_f64 v[2:3], v[2:3], v[6:7]
	;; [unrolled: 1-line block ×3, first 2 shown]
	s_waitcnt vmcnt(2)
	v_add_f64 v[2:3], v[140:141], -v[2:3]
	s_waitcnt vmcnt(0)
	v_add_f64 v[4:5], v[142:143], -v[4:5]
	buffer_store_dword v3, off, s[0:3], 0 offset:180
	buffer_store_dword v2, off, s[0:3], 0 offset:176
	;; [unrolled: 1-line block ×4, first 2 shown]
	s_and_saveexec_b64 s[6:7], vcc
	s_cbranch_execz .LBB20_119
; %bb.118:
	buffer_load_dword v2, v110, s[0:3], 0 offen
	buffer_load_dword v3, v110, s[0:3], 0 offen offset:4
	buffer_load_dword v4, v110, s[0:3], 0 offen offset:8
	;; [unrolled: 1-line block ×3, first 2 shown]
	s_nop 0
	buffer_store_dword v86, off, s[0:3], 0 offset:160
	buffer_store_dword v86, off, s[0:3], 0 offset:164
	;; [unrolled: 1-line block ×4, first 2 shown]
	s_waitcnt vmcnt(4)
	ds_write_b128 v120, v[2:5]
.LBB20_119:
	s_or_b64 exec, exec, s[6:7]
	s_waitcnt lgkmcnt(0)
	; wave barrier
	s_waitcnt lgkmcnt(0)
	ds_read_b128 v[14:17], v86 offset:512
	ds_read_b128 v[10:13], v86 offset:528
	;; [unrolled: 1-line block ×4, first 2 shown]
	buffer_load_dword v24, off, s[0:3], 0 offset:160
	buffer_load_dword v25, off, s[0:3], 0 offset:164
	;; [unrolled: 1-line block ×20, first 2 shown]
	v_cmp_lt_u32_e32 vcc, 9, v119
	s_waitcnt vmcnt(12) lgkmcnt(3)
	v_mul_f64 v[18:19], v[14:15], v[82:83]
	v_fmac_f64_e32 v[18:19], v[16:17], v[80:81]
	v_add_f64 v[18:19], v[18:19], 0
	v_mul_f64 v[16:17], v[16:17], v[82:83]
	s_waitcnt vmcnt(8) lgkmcnt(2)
	v_mul_f64 v[20:21], v[10:11], v[84:85]
	v_fmac_f64_e32 v[20:21], v[12:13], v[30:31]
	v_add_f64 v[18:19], v[18:19], v[20:21]
	v_fma_f64 v[14:15], v[14:15], v[80:81], -v[16:17]
	s_waitcnt vmcnt(4) lgkmcnt(1)
	v_mul_f64 v[20:21], v[6:7], v[28:29]
	v_fmac_f64_e32 v[20:21], v[8:9], v[26:27]
	v_add_f64 v[18:19], v[18:19], v[20:21]
	s_waitcnt vmcnt(0) lgkmcnt(0)
	v_mul_f64 v[20:21], v[2:3], v[76:77]
	v_fmac_f64_e32 v[20:21], v[4:5], v[32:33]
	v_add_f64 v[88:89], v[18:19], v[20:21]
	ds_read_b128 v[18:21], v86 offset:576
	buffer_load_dword v79, off, s[0:3], 0 offset:244
	buffer_load_dword v78, off, s[0:3], 0 offset:240
	;; [unrolled: 1-line block ×4, first 2 shown]
	v_mul_f64 v[12:13], v[12:13], v[84:85]
	v_add_f64 v[14:15], v[14:15], 0
	v_fma_f64 v[10:11], v[10:11], v[30:31], -v[12:13]
	v_mul_f64 v[8:9], v[8:9], v[28:29]
	v_add_f64 v[10:11], v[14:15], v[10:11]
	v_fma_f64 v[6:7], v[6:7], v[26:27], -v[8:9]
	;; [unrolled: 3-line block ×3, first 2 shown]
	v_add_f64 v[2:3], v[6:7], v[2:3]
	s_waitcnt vmcnt(0) lgkmcnt(0)
	v_mul_f64 v[90:91], v[18:19], v[130:131]
	v_fmac_f64_e32 v[90:91], v[20:21], v[78:79]
	v_add_f64 v[92:93], v[88:89], v[90:91]
	ds_read_b128 v[88:91], v86 offset:592
	buffer_load_dword v133, off, s[0:3], 0 offset:260
	buffer_load_dword v132, off, s[0:3], 0 offset:256
	buffer_load_dword v135, off, s[0:3], 0 offset:268
	buffer_load_dword v134, off, s[0:3], 0 offset:264
	v_mul_f64 v[4:5], v[20:21], v[130:131]
	v_fma_f64 v[4:5], v[18:19], v[78:79], -v[4:5]
	v_add_f64 v[2:3], v[2:3], v[4:5]
	s_waitcnt vmcnt(0) lgkmcnt(0)
	v_mul_f64 v[94:95], v[88:89], v[134:135]
	v_fmac_f64_e32 v[94:95], v[90:91], v[132:133]
	v_add_f64 v[96:97], v[92:93], v[94:95]
	ds_read_b128 v[92:95], v86 offset:608
	buffer_load_dword v137, off, s[0:3], 0 offset:276
	buffer_load_dword v136, off, s[0:3], 0 offset:272
	buffer_load_dword v139, off, s[0:3], 0 offset:284
	buffer_load_dword v138, off, s[0:3], 0 offset:280
	v_mul_f64 v[4:5], v[90:91], v[134:135]
	v_fma_f64 v[4:5], v[88:89], v[132:133], -v[4:5]
	;; [unrolled: 12-line block ×5, first 2 shown]
	v_add_f64 v[2:3], v[2:3], v[4:5]
	s_waitcnt vmcnt(0) lgkmcnt(0)
	v_mul_f64 v[4:5], v[128:129], v[150:151]
	v_mul_f64 v[152:153], v[126:127], v[150:151]
	v_fma_f64 v[4:5], v[126:127], v[86:87], -v[4:5]
	v_fmac_f64_e32 v[152:153], v[128:129], v[86:87]
	v_add_f64 v[2:3], v[2:3], v[4:5]
	v_add_f64 v[148:149], v[148:149], v[152:153]
	v_add_f64 v[2:3], v[24:25], -v[2:3]
	v_add_f64 v[4:5], v[22:23], -v[148:149]
	buffer_store_dword v3, off, s[0:3], 0 offset:164
	buffer_store_dword v2, off, s[0:3], 0 offset:160
	;; [unrolled: 1-line block ×4, first 2 shown]
	s_and_saveexec_b64 s[6:7], vcc
	s_cbranch_execz .LBB20_121
; %bb.120:
	buffer_load_dword v2, v108, s[0:3], 0 offen
	buffer_load_dword v3, v108, s[0:3], 0 offen offset:4
	buffer_load_dword v4, v108, s[0:3], 0 offen offset:8
	;; [unrolled: 1-line block ×3, first 2 shown]
	v_mov_b32_e32 v6, 0
	buffer_store_dword v6, off, s[0:3], 0 offset:144
	buffer_store_dword v6, off, s[0:3], 0 offset:148
	;; [unrolled: 1-line block ×4, first 2 shown]
	s_waitcnt vmcnt(4)
	ds_write_b128 v120, v[2:5]
.LBB20_121:
	s_or_b64 exec, exec, s[6:7]
	v_mov_b32_e32 v121, 0
	s_waitcnt lgkmcnt(0)
	; wave barrier
	s_waitcnt lgkmcnt(0)
	ds_read_b128 v[14:17], v121 offset:496
	ds_read_b128 v[10:13], v121 offset:512
	;; [unrolled: 1-line block ×4, first 2 shown]
	buffer_load_dword v32, off, s[0:3], 0 offset:144
	buffer_load_dword v33, off, s[0:3], 0 offset:148
	;; [unrolled: 1-line block ×20, first 2 shown]
	v_cmp_lt_u32_e32 vcc, 8, v119
	s_waitcnt vmcnt(12) lgkmcnt(3)
	v_mul_f64 v[18:19], v[14:15], v[82:83]
	v_fmac_f64_e32 v[18:19], v[16:17], v[76:77]
	v_add_f64 v[18:19], v[18:19], 0
	v_mul_f64 v[16:17], v[16:17], v[82:83]
	s_waitcnt vmcnt(8) lgkmcnt(2)
	v_mul_f64 v[20:21], v[10:11], v[84:85]
	v_fmac_f64_e32 v[20:21], v[12:13], v[78:79]
	v_add_f64 v[18:19], v[18:19], v[20:21]
	v_fma_f64 v[14:15], v[14:15], v[76:77], -v[16:17]
	s_waitcnt vmcnt(4) lgkmcnt(1)
	v_mul_f64 v[20:21], v[6:7], v[86:87]
	v_fmac_f64_e32 v[20:21], v[8:9], v[80:81]
	v_add_f64 v[18:19], v[18:19], v[20:21]
	s_waitcnt vmcnt(0) lgkmcnt(0)
	v_mul_f64 v[20:21], v[2:3], v[90:91]
	v_fmac_f64_e32 v[20:21], v[4:5], v[88:89]
	v_add_f64 v[22:23], v[18:19], v[20:21]
	ds_read_b128 v[18:21], v121 offset:560
	buffer_load_dword v93, off, s[0:3], 0 offset:228
	buffer_load_dword v92, off, s[0:3], 0 offset:224
	buffer_load_dword v95, off, s[0:3], 0 offset:236
	buffer_load_dword v94, off, s[0:3], 0 offset:232
	v_mul_f64 v[12:13], v[12:13], v[84:85]
	v_add_f64 v[14:15], v[14:15], 0
	v_fma_f64 v[10:11], v[10:11], v[78:79], -v[12:13]
	v_mul_f64 v[8:9], v[8:9], v[86:87]
	v_add_f64 v[10:11], v[14:15], v[10:11]
	v_fma_f64 v[6:7], v[6:7], v[80:81], -v[8:9]
	;; [unrolled: 3-line block ×3, first 2 shown]
	v_add_f64 v[2:3], v[6:7], v[2:3]
	s_waitcnt vmcnt(0) lgkmcnt(0)
	v_mul_f64 v[24:25], v[18:19], v[94:95]
	v_fmac_f64_e32 v[24:25], v[20:21], v[92:93]
	v_add_f64 v[26:27], v[22:23], v[24:25]
	ds_read_b128 v[22:25], v121 offset:576
	buffer_load_dword v97, off, s[0:3], 0 offset:244
	buffer_load_dword v96, off, s[0:3], 0 offset:240
	buffer_load_dword v99, off, s[0:3], 0 offset:252
	buffer_load_dword v98, off, s[0:3], 0 offset:248
	v_mul_f64 v[4:5], v[20:21], v[94:95]
	v_fma_f64 v[4:5], v[18:19], v[92:93], -v[4:5]
	v_add_f64 v[2:3], v[2:3], v[4:5]
	s_waitcnt vmcnt(0) lgkmcnt(0)
	v_mul_f64 v[28:29], v[22:23], v[98:99]
	v_fmac_f64_e32 v[28:29], v[24:25], v[96:97]
	v_add_f64 v[122:123], v[26:27], v[28:29]
	ds_read_b128 v[26:29], v121 offset:592
	buffer_load_dword v139, off, s[0:3], 0 offset:260
	buffer_load_dword v138, off, s[0:3], 0 offset:256
	buffer_load_dword v141, off, s[0:3], 0 offset:268
	buffer_load_dword v140, off, s[0:3], 0 offset:264
	v_mul_f64 v[4:5], v[24:25], v[98:99]
	v_fma_f64 v[4:5], v[22:23], v[96:97], -v[4:5]
	;; [unrolled: 12-line block ×6, first 2 shown]
	v_add_f64 v[2:3], v[2:3], v[4:5]
	s_waitcnt vmcnt(0) lgkmcnt(0)
	v_mul_f64 v[4:5], v[136:137], v[158:159]
	v_mul_f64 v[160:161], v[134:135], v[158:159]
	v_fma_f64 v[4:5], v[134:135], v[156:157], -v[4:5]
	v_fmac_f64_e32 v[160:161], v[136:137], v[156:157]
	v_add_f64 v[2:3], v[2:3], v[4:5]
	v_add_f64 v[154:155], v[154:155], v[160:161]
	v_add_f64 v[2:3], v[32:33], -v[2:3]
	v_add_f64 v[4:5], v[30:31], -v[154:155]
	buffer_store_dword v3, off, s[0:3], 0 offset:148
	buffer_store_dword v2, off, s[0:3], 0 offset:144
	;; [unrolled: 1-line block ×4, first 2 shown]
	s_and_saveexec_b64 s[6:7], vcc
	s_cbranch_execz .LBB20_123
; %bb.122:
	buffer_load_dword v2, v109, s[0:3], 0 offen
	buffer_load_dword v3, v109, s[0:3], 0 offen offset:4
	buffer_load_dword v4, v109, s[0:3], 0 offen offset:8
	;; [unrolled: 1-line block ×3, first 2 shown]
	s_nop 0
	buffer_store_dword v121, off, s[0:3], 0 offset:128
	buffer_store_dword v121, off, s[0:3], 0 offset:132
	;; [unrolled: 1-line block ×4, first 2 shown]
	s_waitcnt vmcnt(4)
	ds_write_b128 v120, v[2:5]
.LBB20_123:
	s_or_b64 exec, exec, s[6:7]
	s_waitcnt lgkmcnt(0)
	; wave barrier
	s_waitcnt lgkmcnt(0)
	buffer_load_dword v2, off, s[0:3], 0 offset:144
	buffer_load_dword v3, off, s[0:3], 0 offset:148
	;; [unrolled: 1-line block ×52, first 2 shown]
	ds_read_b128 v[12:15], v121 offset:480
	ds_read_b128 v[16:19], v121 offset:496
	;; [unrolled: 1-line block ×10, first 2 shown]
	v_cmp_lt_u32_e32 vcc, 7, v119
	s_waitcnt vmcnt(48) lgkmcnt(9)
	v_mul_f64 v[96:97], v[12:13], v[6:7]
	v_mul_f64 v[6:7], v[14:15], v[6:7]
	v_fmac_f64_e32 v[96:97], v[14:15], v[2:3]
	v_fma_f64 v[2:3], v[12:13], v[2:3], -v[6:7]
	s_waitcnt vmcnt(44) lgkmcnt(8)
	v_mul_f64 v[98:99], v[16:17], v[8:9]
	v_mul_f64 v[6:7], v[18:19], v[8:9]
	v_fmac_f64_e32 v[98:99], v[18:19], v[4:5]
	v_add_f64 v[2:3], v[2:3], 0
	v_fma_f64 v[4:5], v[16:17], v[4:5], -v[6:7]
	v_add_f64 v[2:3], v[2:3], v[4:5]
	s_waitcnt vmcnt(42) lgkmcnt(7)
	v_mul_f64 v[4:5], v[22:23], v[10:11]
	v_mul_f64 v[122:123], v[20:21], v[10:11]
	v_add_f64 v[96:97], v[96:97], 0
	s_waitcnt vmcnt(36) lgkmcnt(6)
	v_mul_f64 v[124:125], v[24:25], v[128:129]
	v_add_f64 v[96:97], v[96:97], v[98:99]
	s_waitcnt lgkmcnt(5)
	v_mul_f64 v[166:167], v[28:29], v[32:33]
	v_fmac_f64_e32 v[166:167], v[30:31], v[126:127]
	s_waitcnt vmcnt(34) lgkmcnt(3)
	v_mul_f64 v[170:171], v[80:81], v[130:131]
	s_waitcnt vmcnt(30)
	v_mul_f64 v[168:169], v[76:77], v[134:135]
	v_fmac_f64_e32 v[170:171], v[82:83], v[132:133]
	s_waitcnt vmcnt(26) lgkmcnt(2)
	v_mul_f64 v[172:173], v[84:85], v[140:141]
	s_waitcnt vmcnt(25) lgkmcnt(1)
	v_mul_f64 v[174:175], v[88:89], v[136:137]
	s_waitcnt vmcnt(23)
	v_fma_f64 v[4:5], v[20:21], v[142:143], -v[4:5]
	v_add_f64 v[2:3], v[2:3], v[4:5]
	v_mul_f64 v[4:5], v[26:27], v[128:129]
	s_waitcnt vmcnt(21)
	v_fma_f64 v[4:5], v[24:25], v[144:145], -v[4:5]
	v_fmac_f64_e32 v[122:123], v[22:23], v[142:143]
	v_add_f64 v[2:3], v[2:3], v[4:5]
	v_mul_f64 v[4:5], v[30:31], v[32:33]
	v_fmac_f64_e32 v[124:125], v[26:27], v[144:145]
	v_add_f64 v[96:97], v[96:97], v[122:123]
	v_fma_f64 v[4:5], v[28:29], v[126:127], -v[4:5]
	v_add_f64 v[96:97], v[96:97], v[124:125]
	v_add_f64 v[2:3], v[2:3], v[4:5]
	v_mul_f64 v[4:5], v[78:79], v[134:135]
	s_waitcnt vmcnt(19)
	v_fmac_f64_e32 v[168:169], v[78:79], v[146:147]
	v_add_f64 v[96:97], v[96:97], v[166:167]
	v_fma_f64 v[4:5], v[76:77], v[146:147], -v[4:5]
	v_add_f64 v[96:97], v[96:97], v[168:169]
	v_add_f64 v[2:3], v[2:3], v[4:5]
	v_mul_f64 v[4:5], v[82:83], v[130:131]
	s_waitcnt vmcnt(17)
	v_fmac_f64_e32 v[172:173], v[86:87], v[148:149]
	v_add_f64 v[96:97], v[96:97], v[170:171]
	v_fma_f64 v[4:5], v[80:81], v[132:133], -v[4:5]
	s_waitcnt vmcnt(16)
	v_fmac_f64_e32 v[174:175], v[90:91], v[138:139]
	v_add_f64 v[96:97], v[96:97], v[172:173]
	v_add_f64 v[2:3], v[2:3], v[4:5]
	v_mul_f64 v[4:5], v[86:87], v[140:141]
	v_add_f64 v[166:167], v[96:97], v[174:175]
	ds_read_b128 v[96:99], v121 offset:640
	ds_read_b128 v[122:125], v121 offset:656
	v_fma_f64 v[4:5], v[84:85], v[148:149], -v[4:5]
	v_add_f64 v[2:3], v[2:3], v[4:5]
	v_mul_f64 v[4:5], v[90:91], v[136:137]
	v_fma_f64 v[4:5], v[88:89], v[138:139], -v[4:5]
	v_add_f64 v[2:3], v[2:3], v[4:5]
	s_waitcnt vmcnt(13) lgkmcnt(2)
	v_mul_f64 v[4:5], v[94:95], v[152:153]
	v_mul_f64 v[168:169], v[92:93], v[152:153]
	s_waitcnt vmcnt(11)
	v_fma_f64 v[4:5], v[92:93], v[154:155], -v[4:5]
	v_fmac_f64_e32 v[168:169], v[94:95], v[154:155]
	v_add_f64 v[2:3], v[2:3], v[4:5]
	s_waitcnt vmcnt(8) lgkmcnt(1)
	v_mul_f64 v[4:5], v[98:99], v[150:151]
	v_add_f64 v[166:167], v[166:167], v[168:169]
	v_mul_f64 v[168:169], v[96:97], v[150:151]
	v_fma_f64 v[4:5], v[96:97], v[156:157], -v[4:5]
	v_fmac_f64_e32 v[168:169], v[98:99], v[156:157]
	v_add_f64 v[2:3], v[2:3], v[4:5]
	s_waitcnt vmcnt(6) lgkmcnt(0)
	v_mul_f64 v[4:5], v[124:125], v[158:159]
	v_add_f64 v[166:167], v[166:167], v[168:169]
	v_mul_f64 v[168:169], v[122:123], v[158:159]
	s_waitcnt vmcnt(4)
	v_fma_f64 v[4:5], v[122:123], v[160:161], -v[4:5]
	v_fmac_f64_e32 v[168:169], v[124:125], v[160:161]
	v_add_f64 v[2:3], v[2:3], v[4:5]
	v_add_f64 v[166:167], v[166:167], v[168:169]
	s_waitcnt vmcnt(2)
	v_add_f64 v[2:3], v[162:163], -v[2:3]
	s_waitcnt vmcnt(0)
	v_add_f64 v[4:5], v[164:165], -v[166:167]
	buffer_store_dword v3, off, s[0:3], 0 offset:132
	buffer_store_dword v2, off, s[0:3], 0 offset:128
	;; [unrolled: 1-line block ×4, first 2 shown]
	s_and_saveexec_b64 s[6:7], vcc
	s_cbranch_execz .LBB20_125
; %bb.124:
	buffer_load_dword v2, v114, s[0:3], 0 offen
	buffer_load_dword v3, v114, s[0:3], 0 offen offset:4
	buffer_load_dword v4, v114, s[0:3], 0 offen offset:8
	;; [unrolled: 1-line block ×3, first 2 shown]
	v_mov_b32_e32 v6, 0
	buffer_store_dword v6, off, s[0:3], 0 offset:112
	buffer_store_dword v6, off, s[0:3], 0 offset:116
	;; [unrolled: 1-line block ×4, first 2 shown]
	s_waitcnt vmcnt(4)
	ds_write_b128 v120, v[2:5]
.LBB20_125:
	s_or_b64 exec, exec, s[6:7]
	s_waitcnt lgkmcnt(0)
	; wave barrier
	s_waitcnt lgkmcnt(0)
	buffer_load_dword v2, off, s[0:3], 0 offset:128
	buffer_load_dword v3, off, s[0:3], 0 offset:132
	buffer_load_dword v6, off, s[0:3], 0 offset:136
	buffer_load_dword v7, off, s[0:3], 0 offset:140
	buffer_load_dword v4, off, s[0:3], 0 offset:144
	buffer_load_dword v5, off, s[0:3], 0 offset:148
	buffer_load_dword v8, off, s[0:3], 0 offset:152
	buffer_load_dword v9, off, s[0:3], 0 offset:156
	buffer_load_dword v10, off, s[0:3], 0 offset:168
	buffer_load_dword v11, off, s[0:3], 0 offset:172
	buffer_load_dword v13, off, s[0:3], 0 offset:204
	buffer_load_dword v12, off, s[0:3], 0 offset:200
	buffer_load_dword v15, off, s[0:3], 0 offset:196
	buffer_load_dword v14, off, s[0:3], 0 offset:192
	buffer_load_dword v17, off, s[0:3], 0 offset:188
	buffer_load_dword v16, off, s[0:3], 0 offset:184
	buffer_load_dword v22, off, s[0:3], 0 offset:232
	buffer_load_dword v138, off, s[0:3], 0 offset:224
	buffer_load_dword v141, off, s[0:3], 0 offset:220
	buffer_load_dword v140, off, s[0:3], 0 offset:216
	buffer_load_dword v23, off, s[0:3], 0 offset:236
	buffer_load_dword v142, off, s[0:3], 0 offset:160
	buffer_load_dword v143, off, s[0:3], 0 offset:164
	buffer_load_dword v145, off, s[0:3], 0 offset:180
	buffer_load_dword v144, off, s[0:3], 0 offset:176
	buffer_load_dword v147, off, s[0:3], 0 offset:212
	buffer_load_dword v146, off, s[0:3], 0 offset:208
	buffer_load_dword v139, off, s[0:3], 0 offset:228
	buffer_load_dword v148, off, s[0:3], 0 offset:264
	buffer_load_dword v150, off, s[0:3], 0 offset:256
	buffer_load_dword v153, off, s[0:3], 0 offset:252
	buffer_load_dword v152, off, s[0:3], 0 offset:248
	buffer_load_dword v155, off, s[0:3], 0 offset:244
	buffer_load_dword v154, off, s[0:3], 0 offset:240
	buffer_load_dword v151, off, s[0:3], 0 offset:260
	buffer_load_dword v149, off, s[0:3], 0 offset:268
	buffer_load_dword v156, off, s[0:3], 0 offset:296
	buffer_load_dword v158, off, s[0:3], 0 offset:288
	buffer_load_dword v161, off, s[0:3], 0 offset:284
	buffer_load_dword v160, off, s[0:3], 0 offset:280
	buffer_load_dword v163, off, s[0:3], 0 offset:276
	buffer_load_dword v162, off, s[0:3], 0 offset:272
	buffer_load_dword v159, off, s[0:3], 0 offset:292
	buffer_load_dword v157, off, s[0:3], 0 offset:300
	buffer_load_dword v164, off, s[0:3], 0 offset:328
	buffer_load_dword v166, off, s[0:3], 0 offset:320
	buffer_load_dword v169, off, s[0:3], 0 offset:316
	buffer_load_dword v168, off, s[0:3], 0 offset:312
	buffer_load_dword v171, off, s[0:3], 0 offset:308
	buffer_load_dword v170, off, s[0:3], 0 offset:304
	buffer_load_dword v165, off, s[0:3], 0 offset:332
	buffer_load_dword v167, off, s[0:3], 0 offset:324
	buffer_load_dword v172, off, s[0:3], 0 offset:112
	buffer_load_dword v173, off, s[0:3], 0 offset:116
	buffer_load_dword v174, off, s[0:3], 0 offset:120
	buffer_load_dword v175, off, s[0:3], 0 offset:124
	v_mov_b32_e32 v24, 0
	ds_read_b128 v[18:21], v24 offset:464
	ds_read_b128 v[26:29], v24 offset:480
	;; [unrolled: 1-line block ×9, first 2 shown]
	v_cmp_lt_u32_e32 vcc, 6, v119
	s_waitcnt vmcnt(52) lgkmcnt(8)
	v_mul_f64 v[96:97], v[18:19], v[6:7]
	v_fmac_f64_e32 v[96:97], v[20:21], v[2:3]
	v_mul_f64 v[6:7], v[20:21], v[6:7]
	v_add_f64 v[96:97], v[96:97], 0
	s_waitcnt vmcnt(48) lgkmcnt(7)
	v_mul_f64 v[98:99], v[26:27], v[8:9]
	v_fmac_f64_e32 v[98:99], v[28:29], v[4:5]
	s_waitcnt vmcnt(46) lgkmcnt(6)
	v_mul_f64 v[122:123], v[30:31], v[10:11]
	v_fma_f64 v[2:3], v[18:19], v[2:3], -v[6:7]
	v_mul_f64 v[6:7], v[28:29], v[8:9]
	v_add_f64 v[96:97], v[96:97], v[98:99]
	v_add_f64 v[2:3], v[2:3], 0
	v_fma_f64 v[4:5], v[26:27], v[4:5], -v[6:7]
	s_waitcnt vmcnt(40) lgkmcnt(5)
	v_mul_f64 v[124:125], v[76:77], v[16:17]
	s_waitcnt lgkmcnt(4)
	v_mul_f64 v[126:127], v[80:81], v[12:13]
	v_add_f64 v[2:3], v[2:3], v[4:5]
	v_mul_f64 v[4:5], v[32:33], v[10:11]
	s_waitcnt vmcnt(36) lgkmcnt(3)
	v_mul_f64 v[128:129], v[84:85], v[140:141]
	v_fmac_f64_e32 v[126:127], v[82:83], v[14:15]
	s_waitcnt vmcnt(35) lgkmcnt(2)
	v_mul_f64 v[130:131], v[88:89], v[22:23]
	s_waitcnt vmcnt(33)
	v_fmac_f64_e32 v[122:123], v[32:33], v[142:143]
	v_add_f64 v[96:97], v[96:97], v[122:123]
	s_waitcnt vmcnt(31)
	v_fmac_f64_e32 v[124:125], v[78:79], v[144:145]
	v_add_f64 v[96:97], v[96:97], v[124:125]
	v_fma_f64 v[4:5], v[30:31], v[142:143], -v[4:5]
	s_waitcnt vmcnt(29)
	v_fmac_f64_e32 v[128:129], v[86:87], v[146:147]
	v_add_f64 v[96:97], v[96:97], v[126:127]
	v_add_f64 v[2:3], v[2:3], v[4:5]
	v_mul_f64 v[4:5], v[78:79], v[16:17]
	s_waitcnt vmcnt(28)
	v_fmac_f64_e32 v[130:131], v[90:91], v[138:139]
	v_add_f64 v[96:97], v[96:97], v[128:129]
	v_fma_f64 v[4:5], v[76:77], v[144:145], -v[4:5]
	v_add_f64 v[122:123], v[96:97], v[130:131]
	ds_read_b128 v[96:99], v24 offset:592
	s_waitcnt vmcnt(24) lgkmcnt(2)
	v_mul_f64 v[124:125], v[92:93], v[152:153]
	v_add_f64 v[2:3], v[2:3], v[4:5]
	v_mul_f64 v[4:5], v[82:83], v[12:13]
	s_waitcnt vmcnt(22)
	v_fmac_f64_e32 v[124:125], v[94:95], v[154:155]
	v_fma_f64 v[4:5], v[80:81], v[14:15], -v[4:5]
	v_add_f64 v[126:127], v[122:123], v[124:125]
	ds_read_b128 v[122:125], v24 offset:608
	v_add_f64 v[2:3], v[2:3], v[4:5]
	v_mul_f64 v[4:5], v[86:87], v[140:141]
	v_fma_f64 v[4:5], v[84:85], v[146:147], -v[4:5]
	v_add_f64 v[2:3], v[2:3], v[4:5]
	v_mul_f64 v[4:5], v[90:91], v[22:23]
	s_waitcnt vmcnt(20) lgkmcnt(1)
	v_mul_f64 v[128:129], v[96:97], v[148:149]
	v_fma_f64 v[4:5], v[88:89], v[138:139], -v[4:5]
	v_fmac_f64_e32 v[128:129], v[98:99], v[150:151]
	v_add_f64 v[2:3], v[2:3], v[4:5]
	v_mul_f64 v[4:5], v[94:95], v[152:153]
	v_add_f64 v[130:131], v[126:127], v[128:129]
	ds_read_b128 v[126:129], v24 offset:624
	s_waitcnt vmcnt(16) lgkmcnt(1)
	v_mul_f64 v[132:133], v[122:123], v[160:161]
	v_fma_f64 v[4:5], v[92:93], v[154:155], -v[4:5]
	s_waitcnt vmcnt(14)
	v_fmac_f64_e32 v[132:133], v[124:125], v[162:163]
	v_add_f64 v[2:3], v[2:3], v[4:5]
	v_mul_f64 v[4:5], v[98:99], v[148:149]
	v_add_f64 v[176:177], v[130:131], v[132:133]
	ds_read_b128 v[130:133], v24 offset:640
	v_fma_f64 v[4:5], v[96:97], v[150:151], -v[4:5]
	v_add_f64 v[2:3], v[2:3], v[4:5]
	v_mul_f64 v[4:5], v[124:125], v[160:161]
	v_fma_f64 v[4:5], v[122:123], v[162:163], -v[4:5]
	v_add_f64 v[2:3], v[2:3], v[4:5]
	s_waitcnt vmcnt(12) lgkmcnt(1)
	v_mul_f64 v[4:5], v[128:129], v[156:157]
	v_mul_f64 v[178:179], v[126:127], v[156:157]
	v_fma_f64 v[4:5], v[126:127], v[158:159], -v[4:5]
	v_fmac_f64_e32 v[178:179], v[128:129], v[158:159]
	v_add_f64 v[2:3], v[2:3], v[4:5]
	s_waitcnt vmcnt(8) lgkmcnt(0)
	v_mul_f64 v[4:5], v[132:133], v[168:169]
	v_add_f64 v[176:177], v[176:177], v[178:179]
	v_mul_f64 v[178:179], v[130:131], v[168:169]
	s_waitcnt vmcnt(6)
	v_fma_f64 v[4:5], v[130:131], v[170:171], -v[4:5]
	v_fmac_f64_e32 v[178:179], v[132:133], v[170:171]
	v_add_f64 v[2:3], v[2:3], v[4:5]
	s_waitcnt vmcnt(5)
	v_mul_f64 v[4:5], v[136:137], v[164:165]
	v_add_f64 v[176:177], v[176:177], v[178:179]
	v_mul_f64 v[178:179], v[134:135], v[164:165]
	s_waitcnt vmcnt(4)
	v_fma_f64 v[4:5], v[134:135], v[166:167], -v[4:5]
	v_fmac_f64_e32 v[178:179], v[136:137], v[166:167]
	v_add_f64 v[2:3], v[2:3], v[4:5]
	v_add_f64 v[176:177], v[176:177], v[178:179]
	s_waitcnt vmcnt(2)
	v_add_f64 v[2:3], v[172:173], -v[2:3]
	s_waitcnt vmcnt(0)
	v_add_f64 v[4:5], v[174:175], -v[176:177]
	buffer_store_dword v3, off, s[0:3], 0 offset:116
	buffer_store_dword v2, off, s[0:3], 0 offset:112
	;; [unrolled: 1-line block ×4, first 2 shown]
	s_and_saveexec_b64 s[6:7], vcc
	s_cbranch_execz .LBB20_127
; %bb.126:
	buffer_load_dword v2, v115, s[0:3], 0 offen
	buffer_load_dword v3, v115, s[0:3], 0 offen offset:4
	buffer_load_dword v4, v115, s[0:3], 0 offen offset:8
	;; [unrolled: 1-line block ×3, first 2 shown]
	s_nop 0
	buffer_store_dword v24, off, s[0:3], 0 offset:96
	buffer_store_dword v24, off, s[0:3], 0 offset:100
	;; [unrolled: 1-line block ×4, first 2 shown]
	s_waitcnt vmcnt(4)
	ds_write_b128 v120, v[2:5]
.LBB20_127:
	s_or_b64 exec, exec, s[6:7]
	s_waitcnt lgkmcnt(0)
	; wave barrier
	s_waitcnt lgkmcnt(0)
	buffer_load_dword v2, off, s[0:3], 0 offset:112
	buffer_load_dword v3, off, s[0:3], 0 offset:116
	;; [unrolled: 1-line block ×60, first 2 shown]
	ds_read_b128 v[26:29], v24 offset:448
	ds_read_b128 v[30:33], v24 offset:464
	;; [unrolled: 1-line block ×8, first 2 shown]
	v_cmp_lt_u32_e32 vcc, 5, v119
	ds_read_b128 v[142:145], v24 offset:656
	s_waitcnt vmcnt(56) lgkmcnt(8)
	v_mul_f64 v[122:123], v[26:27], v[6:7]
	v_fmac_f64_e32 v[122:123], v[28:29], v[2:3]
	v_add_f64 v[122:123], v[122:123], 0
	v_mul_f64 v[6:7], v[28:29], v[6:7]
	s_waitcnt vmcnt(52) lgkmcnt(7)
	v_mul_f64 v[124:125], v[30:31], v[8:9]
	v_fmac_f64_e32 v[124:125], v[32:33], v[4:5]
	s_waitcnt vmcnt(50) lgkmcnt(6)
	v_mul_f64 v[126:127], v[76:77], v[10:11]
	v_add_f64 v[122:123], v[122:123], v[124:125]
	s_waitcnt vmcnt(48) lgkmcnt(4)
	v_mul_f64 v[130:131], v[84:85], v[12:13]
	v_fma_f64 v[2:3], v[26:27], v[2:3], -v[6:7]
	s_waitcnt vmcnt(46)
	v_fmac_f64_e32 v[130:131], v[86:87], v[14:15]
	v_mul_f64 v[6:7], v[32:33], v[8:9]
	s_waitcnt vmcnt(44)
	v_mul_f64 v[128:129], v[80:81], v[16:17]
	v_add_f64 v[2:3], v[2:3], 0
	v_fma_f64 v[4:5], v[30:31], v[4:5], -v[6:7]
	v_add_f64 v[2:3], v[2:3], v[4:5]
	s_waitcnt vmcnt(40) lgkmcnt(3)
	v_mul_f64 v[132:133], v[88:89], v[22:23]
	v_mul_f64 v[4:5], v[78:79], v[10:11]
	s_waitcnt vmcnt(38)
	v_fmac_f64_e32 v[126:127], v[78:79], v[146:147]
	v_add_f64 v[122:123], v[122:123], v[126:127]
	s_waitcnt vmcnt(36)
	v_fmac_f64_e32 v[128:129], v[82:83], v[148:149]
	v_add_f64 v[122:123], v[122:123], v[128:129]
	s_waitcnt vmcnt(34)
	v_fmac_f64_e32 v[132:133], v[90:91], v[150:151]
	v_add_f64 v[122:123], v[122:123], v[130:131]
	s_waitcnt vmcnt(32) lgkmcnt(2)
	v_mul_f64 v[124:125], v[92:93], v[18:19]
	v_add_f64 v[122:123], v[122:123], v[132:133]
	v_fmac_f64_e32 v[124:125], v[94:95], v[20:21]
	v_add_f64 v[126:127], v[122:123], v[124:125]
	ds_read_b128 v[122:125], v24 offset:576
	v_fma_f64 v[4:5], v[76:77], v[146:147], -v[4:5]
	v_add_f64 v[2:3], v[2:3], v[4:5]
	v_mul_f64 v[4:5], v[82:83], v[16:17]
	v_fma_f64 v[4:5], v[80:81], v[148:149], -v[4:5]
	s_waitcnt vmcnt(28) lgkmcnt(2)
	v_mul_f64 v[128:129], v[96:97], v[156:157]
	v_add_f64 v[2:3], v[2:3], v[4:5]
	v_mul_f64 v[4:5], v[86:87], v[12:13]
	s_waitcnt vmcnt(26)
	v_fmac_f64_e32 v[128:129], v[98:99], v[158:159]
	v_fma_f64 v[4:5], v[84:85], v[14:15], -v[4:5]
	v_add_f64 v[130:131], v[126:127], v[128:129]
	ds_read_b128 v[126:129], v24 offset:592
	s_waitcnt vmcnt(24) lgkmcnt(1)
	v_mul_f64 v[132:133], v[122:123], v[152:153]
	v_add_f64 v[2:3], v[2:3], v[4:5]
	v_mul_f64 v[4:5], v[90:91], v[22:23]
	v_fmac_f64_e32 v[132:133], v[124:125], v[154:155]
	v_fma_f64 v[4:5], v[88:89], v[150:151], -v[4:5]
	v_add_f64 v[134:135], v[130:131], v[132:133]
	ds_read_b128 v[130:133], v24 offset:608
	v_add_f64 v[2:3], v[2:3], v[4:5]
	v_mul_f64 v[4:5], v[94:95], v[18:19]
	v_fma_f64 v[4:5], v[92:93], v[20:21], -v[4:5]
	v_add_f64 v[2:3], v[2:3], v[4:5]
	v_mul_f64 v[4:5], v[98:99], v[156:157]
	s_waitcnt vmcnt(20) lgkmcnt(1)
	v_mul_f64 v[136:137], v[126:127], v[164:165]
	v_fma_f64 v[4:5], v[96:97], v[158:159], -v[4:5]
	s_waitcnt vmcnt(18)
	v_fmac_f64_e32 v[136:137], v[128:129], v[166:167]
	v_add_f64 v[2:3], v[2:3], v[4:5]
	v_mul_f64 v[4:5], v[124:125], v[152:153]
	v_add_f64 v[138:139], v[134:135], v[136:137]
	ds_read_b128 v[134:137], v24 offset:624
	s_waitcnt vmcnt(16) lgkmcnt(1)
	v_mul_f64 v[140:141], v[130:131], v[160:161]
	v_fma_f64 v[4:5], v[122:123], v[154:155], -v[4:5]
	v_fmac_f64_e32 v[140:141], v[132:133], v[162:163]
	v_add_f64 v[2:3], v[2:3], v[4:5]
	v_mul_f64 v[4:5], v[128:129], v[164:165]
	v_add_f64 v[184:185], v[138:139], v[140:141]
	ds_read_b128 v[138:141], v24 offset:640
	v_fma_f64 v[4:5], v[126:127], v[166:167], -v[4:5]
	v_add_f64 v[2:3], v[2:3], v[4:5]
	v_mul_f64 v[4:5], v[132:133], v[160:161]
	v_fma_f64 v[4:5], v[130:131], v[162:163], -v[4:5]
	v_add_f64 v[2:3], v[2:3], v[4:5]
	s_waitcnt vmcnt(12) lgkmcnt(1)
	v_mul_f64 v[4:5], v[136:137], v[172:173]
	v_mul_f64 v[186:187], v[134:135], v[172:173]
	s_waitcnt vmcnt(10)
	v_fma_f64 v[4:5], v[134:135], v[174:175], -v[4:5]
	v_fmac_f64_e32 v[186:187], v[136:137], v[174:175]
	v_add_f64 v[2:3], v[2:3], v[4:5]
	s_waitcnt vmcnt(8) lgkmcnt(0)
	v_mul_f64 v[4:5], v[140:141], v[168:169]
	v_add_f64 v[24:25], v[184:185], v[186:187]
	v_mul_f64 v[184:185], v[138:139], v[168:169]
	v_fma_f64 v[4:5], v[138:139], v[170:171], -v[4:5]
	v_fmac_f64_e32 v[184:185], v[140:141], v[170:171]
	v_add_f64 v[2:3], v[2:3], v[4:5]
	s_waitcnt vmcnt(6)
	v_mul_f64 v[4:5], v[144:145], v[176:177]
	v_add_f64 v[24:25], v[24:25], v[184:185]
	v_mul_f64 v[184:185], v[142:143], v[176:177]
	s_waitcnt vmcnt(4)
	v_fma_f64 v[4:5], v[142:143], v[178:179], -v[4:5]
	v_fmac_f64_e32 v[184:185], v[144:145], v[178:179]
	v_add_f64 v[2:3], v[2:3], v[4:5]
	v_add_f64 v[24:25], v[24:25], v[184:185]
	s_waitcnt vmcnt(2)
	v_add_f64 v[2:3], v[180:181], -v[2:3]
	s_waitcnt vmcnt(0)
	v_add_f64 v[4:5], v[182:183], -v[24:25]
	buffer_store_dword v3, off, s[0:3], 0 offset:100
	buffer_store_dword v2, off, s[0:3], 0 offset:96
	;; [unrolled: 1-line block ×4, first 2 shown]
	s_and_saveexec_b64 s[6:7], vcc
	s_cbranch_execz .LBB20_129
; %bb.128:
	buffer_load_dword v2, v113, s[0:3], 0 offen
	buffer_load_dword v3, v113, s[0:3], 0 offen offset:4
	buffer_load_dword v4, v113, s[0:3], 0 offen offset:8
	;; [unrolled: 1-line block ×3, first 2 shown]
	v_mov_b32_e32 v6, 0
	buffer_store_dword v6, off, s[0:3], 0 offset:80
	buffer_store_dword v6, off, s[0:3], 0 offset:84
	;; [unrolled: 1-line block ×4, first 2 shown]
	s_waitcnt vmcnt(4)
	ds_write_b128 v120, v[2:5]
.LBB20_129:
	s_or_b64 exec, exec, s[6:7]
	s_waitcnt lgkmcnt(0)
	; wave barrier
	s_waitcnt lgkmcnt(0)
	buffer_load_dword v2, off, s[0:3], 0 offset:96
	buffer_load_dword v3, off, s[0:3], 0 offset:100
	;; [unrolled: 1-line block ×64, first 2 shown]
	v_mov_b32_e32 v80, 0
	ds_read_b128 v[30:33], v80 offset:432
	ds_read_b128 v[76:79], v80 offset:448
	;; [unrolled: 1-line block ×7, first 2 shown]
	v_cmp_lt_u32_e32 vcc, 4, v119
	s_waitcnt vmcnt(60) lgkmcnt(6)
	v_mul_f64 v[122:123], v[30:31], v[6:7]
	v_fmac_f64_e32 v[122:123], v[32:33], v[2:3]
	v_add_f64 v[122:123], v[122:123], 0
	v_mul_f64 v[6:7], v[32:33], v[6:7]
	s_waitcnt vmcnt(56) lgkmcnt(5)
	v_mul_f64 v[124:125], v[76:77], v[8:9]
	v_fmac_f64_e32 v[124:125], v[78:79], v[4:5]
	s_waitcnt vmcnt(54) lgkmcnt(4)
	v_mul_f64 v[126:127], v[82:83], v[10:11]
	v_add_f64 v[122:123], v[122:123], v[124:125]
	v_fma_f64 v[2:3], v[30:31], v[2:3], -v[6:7]
	v_mul_f64 v[6:7], v[78:79], v[8:9]
	s_waitcnt vmcnt(50) lgkmcnt(3)
	v_mul_f64 v[128:129], v[86:87], v[16:17]
	s_waitcnt vmcnt(49) lgkmcnt(2)
	v_mul_f64 v[130:131], v[90:91], v[12:13]
	v_add_f64 v[2:3], v[2:3], 0
	s_waitcnt vmcnt(47)
	v_fmac_f64_e32 v[126:127], v[84:85], v[20:21]
	v_add_f64 v[122:123], v[122:123], v[126:127]
	s_waitcnt vmcnt(45)
	v_fmac_f64_e32 v[128:129], v[88:89], v[18:19]
	;; [unrolled: 3-line block ×3, first 2 shown]
	v_add_f64 v[126:127], v[122:123], v[130:131]
	ds_read_b128 v[122:125], v80 offset:528
	s_waitcnt vmcnt(40) lgkmcnt(2)
	v_mul_f64 v[128:129], v[94:95], v[26:27]
	v_fma_f64 v[4:5], v[76:77], v[4:5], -v[6:7]
	s_waitcnt vmcnt(38)
	v_fmac_f64_e32 v[128:129], v[96:97], v[28:29]
	v_add_f64 v[130:131], v[126:127], v[128:129]
	ds_read_b128 v[126:129], v80 offset:544
	s_waitcnt vmcnt(36) lgkmcnt(1)
	v_mul_f64 v[132:133], v[122:123], v[22:23]
	v_fmac_f64_e32 v[132:133], v[124:125], v[24:25]
	v_add_f64 v[2:3], v[2:3], v[4:5]
	v_mul_f64 v[4:5], v[84:85], v[10:11]
	v_add_f64 v[134:135], v[130:131], v[132:133]
	ds_read_b128 v[130:133], v80 offset:560
	s_waitcnt vmcnt(32) lgkmcnt(1)
	v_mul_f64 v[136:137], v[126:127], v[160:161]
	v_fma_f64 v[4:5], v[82:83], v[20:21], -v[4:5]
	s_waitcnt vmcnt(30)
	v_fmac_f64_e32 v[136:137], v[128:129], v[162:163]
	v_add_f64 v[2:3], v[2:3], v[4:5]
	v_mul_f64 v[4:5], v[88:89], v[16:17]
	v_add_f64 v[138:139], v[134:135], v[136:137]
	ds_read_b128 v[134:137], v80 offset:576
	v_fma_f64 v[4:5], v[86:87], v[18:19], -v[4:5]
	v_add_f64 v[2:3], v[2:3], v[4:5]
	v_mul_f64 v[4:5], v[92:93], v[12:13]
	v_fma_f64 v[4:5], v[90:91], v[14:15], -v[4:5]
	s_waitcnt vmcnt(28) lgkmcnt(1)
	v_mul_f64 v[140:141], v[130:131], v[98:99]
	v_add_f64 v[2:3], v[2:3], v[4:5]
	v_mul_f64 v[4:5], v[96:97], v[26:27]
	v_fmac_f64_e32 v[140:141], v[132:133], v[158:159]
	v_fma_f64 v[4:5], v[94:95], v[28:29], -v[4:5]
	v_add_f64 v[142:143], v[138:139], v[140:141]
	ds_read_b128 v[138:141], v80 offset:592
	s_waitcnt vmcnt(24) lgkmcnt(1)
	v_mul_f64 v[144:145], v[134:135], v[168:169]
	v_add_f64 v[2:3], v[2:3], v[4:5]
	v_mul_f64 v[4:5], v[124:125], v[22:23]
	s_waitcnt vmcnt(22)
	v_fmac_f64_e32 v[144:145], v[136:137], v[170:171]
	v_fma_f64 v[4:5], v[122:123], v[24:25], -v[4:5]
	v_add_f64 v[146:147], v[142:143], v[144:145]
	ds_read_b128 v[142:145], v80 offset:608
	v_add_f64 v[2:3], v[2:3], v[4:5]
	v_mul_f64 v[4:5], v[128:129], v[160:161]
	v_fma_f64 v[4:5], v[126:127], v[162:163], -v[4:5]
	v_add_f64 v[2:3], v[2:3], v[4:5]
	v_mul_f64 v[4:5], v[132:133], v[98:99]
	s_waitcnt vmcnt(20) lgkmcnt(1)
	v_mul_f64 v[148:149], v[138:139], v[164:165]
	v_fma_f64 v[4:5], v[130:131], v[158:159], -v[4:5]
	v_fmac_f64_e32 v[148:149], v[140:141], v[166:167]
	v_add_f64 v[2:3], v[2:3], v[4:5]
	v_mul_f64 v[4:5], v[136:137], v[168:169]
	v_add_f64 v[150:151], v[146:147], v[148:149]
	ds_read_b128 v[146:149], v80 offset:624
	s_waitcnt vmcnt(16) lgkmcnt(1)
	v_mul_f64 v[152:153], v[142:143], v[176:177]
	v_fma_f64 v[4:5], v[134:135], v[170:171], -v[4:5]
	s_waitcnt vmcnt(14)
	v_fmac_f64_e32 v[152:153], v[144:145], v[178:179]
	v_add_f64 v[2:3], v[2:3], v[4:5]
	v_mul_f64 v[4:5], v[140:141], v[164:165]
	v_add_f64 v[192:193], v[150:151], v[152:153]
	ds_read_b128 v[150:153], v80 offset:640
	v_fma_f64 v[4:5], v[138:139], v[166:167], -v[4:5]
	v_add_f64 v[2:3], v[2:3], v[4:5]
	v_mul_f64 v[4:5], v[144:145], v[176:177]
	v_fma_f64 v[4:5], v[142:143], v[178:179], -v[4:5]
	v_add_f64 v[2:3], v[2:3], v[4:5]
	s_waitcnt vmcnt(12) lgkmcnt(1)
	v_mul_f64 v[4:5], v[148:149], v[172:173]
	v_mul_f64 v[194:195], v[146:147], v[172:173]
	v_fma_f64 v[4:5], v[146:147], v[174:175], -v[4:5]
	v_fmac_f64_e32 v[194:195], v[148:149], v[174:175]
	v_add_f64 v[2:3], v[2:3], v[4:5]
	s_waitcnt vmcnt(8) lgkmcnt(0)
	v_mul_f64 v[4:5], v[152:153], v[184:185]
	v_add_f64 v[192:193], v[192:193], v[194:195]
	v_mul_f64 v[194:195], v[150:151], v[184:185]
	s_waitcnt vmcnt(6)
	v_fma_f64 v[4:5], v[150:151], v[186:187], -v[4:5]
	v_fmac_f64_e32 v[194:195], v[152:153], v[186:187]
	v_add_f64 v[2:3], v[2:3], v[4:5]
	s_waitcnt vmcnt(5)
	v_mul_f64 v[4:5], v[156:157], v[180:181]
	v_add_f64 v[192:193], v[192:193], v[194:195]
	v_mul_f64 v[194:195], v[154:155], v[180:181]
	s_waitcnt vmcnt(4)
	v_fma_f64 v[4:5], v[154:155], v[182:183], -v[4:5]
	v_fmac_f64_e32 v[194:195], v[156:157], v[182:183]
	v_add_f64 v[2:3], v[2:3], v[4:5]
	v_add_f64 v[192:193], v[192:193], v[194:195]
	s_waitcnt vmcnt(2)
	v_add_f64 v[2:3], v[188:189], -v[2:3]
	s_waitcnt vmcnt(0)
	v_add_f64 v[4:5], v[190:191], -v[192:193]
	buffer_store_dword v3, off, s[0:3], 0 offset:84
	buffer_store_dword v2, off, s[0:3], 0 offset:80
	;; [unrolled: 1-line block ×4, first 2 shown]
	s_and_saveexec_b64 s[6:7], vcc
	s_cbranch_execz .LBB20_131
; %bb.130:
	buffer_load_dword v2, v112, s[0:3], 0 offen
	buffer_load_dword v3, v112, s[0:3], 0 offen offset:4
	buffer_load_dword v4, v112, s[0:3], 0 offen offset:8
	;; [unrolled: 1-line block ×3, first 2 shown]
	s_nop 0
	buffer_store_dword v80, off, s[0:3], 0 offset:64
	buffer_store_dword v80, off, s[0:3], 0 offset:68
	;; [unrolled: 1-line block ×4, first 2 shown]
	s_waitcnt vmcnt(4)
	ds_write_b128 v120, v[2:5]
.LBB20_131:
	s_or_b64 exec, exec, s[6:7]
	s_waitcnt lgkmcnt(0)
	; wave barrier
	s_waitcnt lgkmcnt(0)
	buffer_load_dword v2, off, s[0:3], 0 offset:80
	buffer_load_dword v3, off, s[0:3], 0 offset:84
	;; [unrolled: 1-line block ×64, first 2 shown]
	ds_read_b128 v[82:85], v80 offset:416
	ds_read_b128 v[86:89], v80 offset:432
	;; [unrolled: 1-line block ×4, first 2 shown]
	buffer_load_dword v196, off, s[0:3], 0 offset:64
	buffer_load_dword v197, off, s[0:3], 0 offset:68
	;; [unrolled: 1-line block ×4, first 2 shown]
	v_cmp_lt_u32_e32 vcc, 3, v119
	ds_read_b128 v[166:169], v80 offset:656
	s_waitcnt vmcnt(62) lgkmcnt(4)
	v_mul_f64 v[122:123], v[82:83], v[4:5]
	v_fmac_f64_e32 v[122:123], v[84:85], v[2:3]
	s_waitcnt lgkmcnt(3)
	v_mul_f64 v[124:125], v[86:87], v[6:7]
	v_add_f64 v[122:123], v[122:123], 0
	s_waitcnt vmcnt(60) lgkmcnt(2)
	v_mul_f64 v[126:127], v[90:91], v[8:9]
	v_mul_f64 v[4:5], v[84:85], v[4:5]
	v_fma_f64 v[2:3], v[82:83], v[2:3], -v[4:5]
	v_mul_f64 v[4:5], v[88:89], v[6:7]
	s_waitcnt vmcnt(56) lgkmcnt(1)
	v_mul_f64 v[128:129], v[94:95], v[14:15]
	v_add_f64 v[2:3], v[2:3], 0
	s_waitcnt vmcnt(54)
	v_fmac_f64_e32 v[124:125], v[88:89], v[20:21]
	v_add_f64 v[130:131], v[122:123], v[124:125]
	ds_read_b128 v[122:125], v80 offset:480
	s_waitcnt vmcnt(52)
	v_fmac_f64_e32 v[126:127], v[92:93], v[18:19]
	v_add_f64 v[126:127], v[130:131], v[126:127]
	s_waitcnt vmcnt(50)
	v_fmac_f64_e32 v[128:129], v[96:97], v[16:17]
	v_add_f64 v[130:131], v[126:127], v[128:129]
	ds_read_b128 v[126:129], v80 offset:496
	s_waitcnt vmcnt(48) lgkmcnt(1)
	v_mul_f64 v[132:133], v[122:123], v[10:11]
	v_fmac_f64_e32 v[132:133], v[124:125], v[12:13]
	v_add_f64 v[134:135], v[130:131], v[132:133]
	ds_read_b128 v[130:133], v80 offset:512
	s_waitcnt vmcnt(44) lgkmcnt(1)
	v_mul_f64 v[136:137], v[126:127], v[26:27]
	s_waitcnt vmcnt(42)
	v_fmac_f64_e32 v[136:137], v[128:129], v[28:29]
	v_add_f64 v[138:139], v[134:135], v[136:137]
	ds_read_b128 v[134:137], v80 offset:528
	s_waitcnt vmcnt(40) lgkmcnt(1)
	v_mul_f64 v[140:141], v[130:131], v[22:23]
	v_fmac_f64_e32 v[140:141], v[132:133], v[24:25]
	v_add_f64 v[142:143], v[138:139], v[140:141]
	ds_read_b128 v[138:141], v80 offset:544
	v_fma_f64 v[4:5], v[86:87], v[20:21], -v[4:5]
	v_add_f64 v[2:3], v[2:3], v[4:5]
	v_mul_f64 v[4:5], v[92:93], v[8:9]
	s_waitcnt vmcnt(36) lgkmcnt(1)
	v_mul_f64 v[144:145], v[134:135], v[76:77]
	v_fma_f64 v[4:5], v[90:91], v[18:19], -v[4:5]
	s_waitcnt vmcnt(34)
	v_fmac_f64_e32 v[144:145], v[136:137], v[78:79]
	v_add_f64 v[2:3], v[2:3], v[4:5]
	v_mul_f64 v[4:5], v[96:97], v[14:15]
	v_add_f64 v[146:147], v[142:143], v[144:145]
	ds_read_b128 v[142:145], v80 offset:560
	s_waitcnt vmcnt(32) lgkmcnt(1)
	v_mul_f64 v[148:149], v[138:139], v[30:31]
	v_fma_f64 v[4:5], v[94:95], v[16:17], -v[4:5]
	v_fmac_f64_e32 v[148:149], v[140:141], v[32:33]
	v_add_f64 v[2:3], v[2:3], v[4:5]
	v_mul_f64 v[4:5], v[124:125], v[10:11]
	v_add_f64 v[150:151], v[146:147], v[148:149]
	ds_read_b128 v[146:149], v80 offset:576
	v_fma_f64 v[4:5], v[122:123], v[12:13], -v[4:5]
	v_add_f64 v[2:3], v[2:3], v[4:5]
	v_mul_f64 v[4:5], v[128:129], v[26:27]
	v_fma_f64 v[4:5], v[126:127], v[28:29], -v[4:5]
	s_waitcnt vmcnt(28) lgkmcnt(1)
	v_mul_f64 v[152:153], v[142:143], v[172:173]
	v_add_f64 v[2:3], v[2:3], v[4:5]
	v_mul_f64 v[4:5], v[132:133], v[22:23]
	s_waitcnt vmcnt(26)
	v_fmac_f64_e32 v[152:153], v[144:145], v[174:175]
	v_fma_f64 v[4:5], v[130:131], v[24:25], -v[4:5]
	v_add_f64 v[154:155], v[150:151], v[152:153]
	ds_read_b128 v[150:153], v80 offset:592
	s_waitcnt vmcnt(24) lgkmcnt(1)
	v_mul_f64 v[156:157], v[146:147], v[98:99]
	v_add_f64 v[2:3], v[2:3], v[4:5]
	v_mul_f64 v[4:5], v[136:137], v[76:77]
	v_fmac_f64_e32 v[156:157], v[148:149], v[170:171]
	v_fma_f64 v[4:5], v[134:135], v[78:79], -v[4:5]
	v_add_f64 v[158:159], v[154:155], v[156:157]
	ds_read_b128 v[154:157], v80 offset:608
	v_add_f64 v[2:3], v[2:3], v[4:5]
	v_mul_f64 v[4:5], v[140:141], v[30:31]
	v_fma_f64 v[4:5], v[138:139], v[32:33], -v[4:5]
	v_add_f64 v[2:3], v[2:3], v[4:5]
	v_mul_f64 v[4:5], v[144:145], v[172:173]
	s_waitcnt vmcnt(20) lgkmcnt(1)
	v_mul_f64 v[160:161], v[150:151], v[180:181]
	v_fma_f64 v[4:5], v[142:143], v[174:175], -v[4:5]
	s_waitcnt vmcnt(18)
	v_fmac_f64_e32 v[160:161], v[152:153], v[182:183]
	v_add_f64 v[2:3], v[2:3], v[4:5]
	v_mul_f64 v[4:5], v[148:149], v[98:99]
	v_add_f64 v[162:163], v[158:159], v[160:161]
	ds_read_b128 v[158:161], v80 offset:624
	s_waitcnt vmcnt(16) lgkmcnt(1)
	v_mul_f64 v[164:165], v[154:155], v[176:177]
	v_fma_f64 v[4:5], v[146:147], v[170:171], -v[4:5]
	v_fmac_f64_e32 v[164:165], v[156:157], v[178:179]
	v_add_f64 v[2:3], v[2:3], v[4:5]
	v_mul_f64 v[4:5], v[152:153], v[180:181]
	v_add_f64 v[200:201], v[162:163], v[164:165]
	ds_read_b128 v[162:165], v80 offset:640
	v_fma_f64 v[4:5], v[150:151], v[182:183], -v[4:5]
	v_add_f64 v[2:3], v[2:3], v[4:5]
	v_mul_f64 v[4:5], v[156:157], v[176:177]
	v_fma_f64 v[4:5], v[154:155], v[178:179], -v[4:5]
	v_add_f64 v[2:3], v[2:3], v[4:5]
	s_waitcnt vmcnt(12) lgkmcnt(1)
	v_mul_f64 v[4:5], v[160:161], v[188:189]
	v_mul_f64 v[202:203], v[158:159], v[188:189]
	s_waitcnt vmcnt(10)
	v_fma_f64 v[4:5], v[158:159], v[190:191], -v[4:5]
	v_fmac_f64_e32 v[202:203], v[160:161], v[190:191]
	v_add_f64 v[2:3], v[2:3], v[4:5]
	s_waitcnt vmcnt(8) lgkmcnt(0)
	v_mul_f64 v[4:5], v[164:165], v[184:185]
	v_add_f64 v[80:81], v[200:201], v[202:203]
	v_mul_f64 v[200:201], v[162:163], v[184:185]
	v_fma_f64 v[4:5], v[162:163], v[186:187], -v[4:5]
	v_fmac_f64_e32 v[200:201], v[164:165], v[186:187]
	v_add_f64 v[2:3], v[2:3], v[4:5]
	s_waitcnt vmcnt(6)
	v_mul_f64 v[4:5], v[168:169], v[192:193]
	v_add_f64 v[80:81], v[80:81], v[200:201]
	v_mul_f64 v[200:201], v[166:167], v[192:193]
	s_waitcnt vmcnt(4)
	v_fma_f64 v[4:5], v[166:167], v[194:195], -v[4:5]
	v_fmac_f64_e32 v[200:201], v[168:169], v[194:195]
	v_add_f64 v[2:3], v[2:3], v[4:5]
	v_add_f64 v[80:81], v[80:81], v[200:201]
	s_waitcnt vmcnt(2)
	v_add_f64 v[2:3], v[196:197], -v[2:3]
	s_waitcnt vmcnt(0)
	v_add_f64 v[4:5], v[198:199], -v[80:81]
	buffer_store_dword v3, off, s[0:3], 0 offset:68
	buffer_store_dword v2, off, s[0:3], 0 offset:64
	;; [unrolled: 1-line block ×4, first 2 shown]
	s_and_saveexec_b64 s[6:7], vcc
	s_cbranch_execz .LBB20_133
; %bb.132:
	buffer_load_dword v2, v118, s[0:3], 0 offen
	buffer_load_dword v3, v118, s[0:3], 0 offen offset:4
	buffer_load_dword v4, v118, s[0:3], 0 offen offset:8
	;; [unrolled: 1-line block ×3, first 2 shown]
	v_mov_b32_e32 v6, 0
	buffer_store_dword v6, off, s[0:3], 0 offset:48
	buffer_store_dword v6, off, s[0:3], 0 offset:52
	;; [unrolled: 1-line block ×4, first 2 shown]
	s_waitcnt vmcnt(4)
	ds_write_b128 v120, v[2:5]
.LBB20_133:
	s_or_b64 exec, exec, s[6:7]
	s_waitcnt lgkmcnt(0)
	; wave barrier
	s_waitcnt lgkmcnt(0)
	buffer_load_dword v2, off, s[0:3], 0 offset:64
	buffer_load_dword v3, off, s[0:3], 0 offset:68
	buffer_load_dword v8, off, s[0:3], 0 offset:72
	buffer_load_dword v9, off, s[0:3], 0 offset:76
	buffer_load_dword v4, off, s[0:3], 0 offset:80
	buffer_load_dword v5, off, s[0:3], 0 offset:84
	buffer_load_dword v10, off, s[0:3], 0 offset:88
	buffer_load_dword v11, off, s[0:3], 0 offset:92
	buffer_load_dword v6, off, s[0:3], 0 offset:96
	buffer_load_dword v7, off, s[0:3], 0 offset:100
	buffer_load_dword v12, off, s[0:3], 0 offset:104
	buffer_load_dword v13, off, s[0:3], 0 offset:108
	buffer_load_dword v14, off, s[0:3], 0 offset:136
	buffer_load_dword v16, off, s[0:3], 0 offset:128
	buffer_load_dword v19, off, s[0:3], 0 offset:124
	buffer_load_dword v18, off, s[0:3], 0 offset:120
	buffer_load_dword v21, off, s[0:3], 0 offset:116
	buffer_load_dword v20, off, s[0:3], 0 offset:112
	buffer_load_dword v17, off, s[0:3], 0 offset:132
	buffer_load_dword v15, off, s[0:3], 0 offset:140
	buffer_load_dword v22, off, s[0:3], 0 offset:168
	buffer_load_dword v24, off, s[0:3], 0 offset:160
	buffer_load_dword v27, off, s[0:3], 0 offset:156
	buffer_load_dword v26, off, s[0:3], 0 offset:152
	buffer_load_dword v29, off, s[0:3], 0 offset:148
	buffer_load_dword v28, off, s[0:3], 0 offset:144
	buffer_load_dword v25, off, s[0:3], 0 offset:164
	buffer_load_dword v23, off, s[0:3], 0 offset:172
	buffer_load_dword v30, off, s[0:3], 0 offset:200
	buffer_load_dword v32, off, s[0:3], 0 offset:192
	buffer_load_dword v77, off, s[0:3], 0 offset:188
	buffer_load_dword v76, off, s[0:3], 0 offset:184
	buffer_load_dword v79, off, s[0:3], 0 offset:180
	buffer_load_dword v78, off, s[0:3], 0 offset:176
	buffer_load_dword v33, off, s[0:3], 0 offset:196
	buffer_load_dword v31, off, s[0:3], 0 offset:204
	buffer_load_dword v80, off, s[0:3], 0 offset:232
	buffer_load_dword v82, off, s[0:3], 0 offset:224
	buffer_load_dword v99, off, s[0:3], 0 offset:220
	buffer_load_dword v98, off, s[0:3], 0 offset:216
	buffer_load_dword v179, off, s[0:3], 0 offset:212
	buffer_load_dword v178, off, s[0:3], 0 offset:208
	buffer_load_dword v83, off, s[0:3], 0 offset:228
	buffer_load_dword v81, off, s[0:3], 0 offset:236
	buffer_load_dword v180, off, s[0:3], 0 offset:264
	buffer_load_dword v182, off, s[0:3], 0 offset:256
	buffer_load_dword v185, off, s[0:3], 0 offset:252
	buffer_load_dword v184, off, s[0:3], 0 offset:248
	buffer_load_dword v187, off, s[0:3], 0 offset:244
	buffer_load_dword v186, off, s[0:3], 0 offset:240
	buffer_load_dword v183, off, s[0:3], 0 offset:260
	buffer_load_dword v181, off, s[0:3], 0 offset:268
	buffer_load_dword v188, off, s[0:3], 0 offset:296
	buffer_load_dword v190, off, s[0:3], 0 offset:288
	buffer_load_dword v193, off, s[0:3], 0 offset:284
	buffer_load_dword v192, off, s[0:3], 0 offset:280
	buffer_load_dword v195, off, s[0:3], 0 offset:276
	buffer_load_dword v194, off, s[0:3], 0 offset:272
	buffer_load_dword v191, off, s[0:3], 0 offset:292
	buffer_load_dword v189, off, s[0:3], 0 offset:300
	buffer_load_dword v196, off, s[0:3], 0 offset:328
	buffer_load_dword v198, off, s[0:3], 0 offset:320
	buffer_load_dword v201, off, s[0:3], 0 offset:316
	buffer_load_dword v200, off, s[0:3], 0 offset:312
	buffer_load_dword v203, off, s[0:3], 0 offset:308
	buffer_load_dword v202, off, s[0:3], 0 offset:304
	buffer_load_dword v197, off, s[0:3], 0 offset:332
	buffer_load_dword v199, off, s[0:3], 0 offset:324
	v_mov_b32_e32 v88, 0
	ds_read_b128 v[84:87], v88 offset:400
	ds_read_b128 v[90:93], v88 offset:416
	buffer_load_dword v204, off, s[0:3], 0 offset:48
	buffer_load_dword v205, off, s[0:3], 0 offset:52
	;; [unrolled: 1-line block ×4, first 2 shown]
	ds_read_b128 v[94:97], v88 offset:432
	ds_read_b128 v[122:125], v88 offset:448
	;; [unrolled: 1-line block ×3, first 2 shown]
	v_cmp_lt_u32_e32 vcc, 2, v119
	s_waitcnt vmcnt(62) lgkmcnt(4)
	v_mul_f64 v[126:127], v[84:85], v[8:9]
	v_fmac_f64_e32 v[126:127], v[86:87], v[2:3]
	v_add_f64 v[126:127], v[126:127], 0
	v_mul_f64 v[8:9], v[86:87], v[8:9]
	s_waitcnt lgkmcnt(3)
	v_mul_f64 v[128:129], v[90:91], v[10:11]
	v_fmac_f64_e32 v[128:129], v[92:93], v[4:5]
	v_add_f64 v[126:127], v[126:127], v[128:129]
	v_fma_f64 v[2:3], v[84:85], v[2:3], -v[8:9]
	s_waitcnt vmcnt(60) lgkmcnt(2)
	v_mul_f64 v[128:129], v[94:95], v[12:13]
	v_fmac_f64_e32 v[128:129], v[96:97], v[6:7]
	v_add_f64 v[130:131], v[126:127], v[128:129]
	ds_read_b128 v[126:129], v88 offset:464
	s_waitcnt vmcnt(56) lgkmcnt(2)
	v_mul_f64 v[132:133], v[122:123], v[18:19]
	v_mul_f64 v[8:9], v[92:93], v[10:11]
	s_waitcnt vmcnt(54)
	v_fmac_f64_e32 v[132:133], v[124:125], v[20:21]
	v_add_f64 v[134:135], v[130:131], v[132:133]
	ds_read_b128 v[130:133], v88 offset:480
	s_waitcnt vmcnt(52) lgkmcnt(1)
	v_mul_f64 v[136:137], v[126:127], v[14:15]
	v_fmac_f64_e32 v[136:137], v[128:129], v[16:17]
	v_add_f64 v[138:139], v[134:135], v[136:137]
	ds_read_b128 v[134:137], v88 offset:496
	s_waitcnt vmcnt(48) lgkmcnt(1)
	v_mul_f64 v[140:141], v[130:131], v[26:27]
	s_waitcnt vmcnt(46)
	v_fmac_f64_e32 v[140:141], v[132:133], v[28:29]
	v_add_f64 v[142:143], v[138:139], v[140:141]
	ds_read_b128 v[138:141], v88 offset:512
	s_waitcnt vmcnt(44) lgkmcnt(1)
	v_mul_f64 v[144:145], v[134:135], v[22:23]
	v_fmac_f64_e32 v[144:145], v[136:137], v[24:25]
	v_add_f64 v[146:147], v[142:143], v[144:145]
	ds_read_b128 v[142:145], v88 offset:528
	s_waitcnt vmcnt(40) lgkmcnt(1)
	v_mul_f64 v[148:149], v[138:139], v[76:77]
	s_waitcnt vmcnt(38)
	v_fmac_f64_e32 v[148:149], v[140:141], v[78:79]
	v_add_f64 v[2:3], v[2:3], 0
	v_fma_f64 v[4:5], v[90:91], v[4:5], -v[8:9]
	v_add_f64 v[150:151], v[146:147], v[148:149]
	ds_read_b128 v[146:149], v88 offset:544
	v_add_f64 v[2:3], v[2:3], v[4:5]
	v_mul_f64 v[4:5], v[96:97], v[12:13]
	v_fma_f64 v[4:5], v[94:95], v[6:7], -v[4:5]
	v_add_f64 v[2:3], v[2:3], v[4:5]
	v_mul_f64 v[4:5], v[124:125], v[18:19]
	s_waitcnt vmcnt(36) lgkmcnt(1)
	v_mul_f64 v[152:153], v[142:143], v[30:31]
	v_fma_f64 v[4:5], v[122:123], v[20:21], -v[4:5]
	v_fmac_f64_e32 v[152:153], v[144:145], v[32:33]
	v_add_f64 v[2:3], v[2:3], v[4:5]
	v_mul_f64 v[4:5], v[128:129], v[14:15]
	v_add_f64 v[154:155], v[150:151], v[152:153]
	ds_read_b128 v[150:153], v88 offset:560
	s_waitcnt vmcnt(32) lgkmcnt(1)
	v_mul_f64 v[156:157], v[146:147], v[98:99]
	v_fma_f64 v[4:5], v[126:127], v[16:17], -v[4:5]
	s_waitcnt vmcnt(30)
	v_fmac_f64_e32 v[156:157], v[148:149], v[178:179]
	v_add_f64 v[2:3], v[2:3], v[4:5]
	v_mul_f64 v[4:5], v[132:133], v[26:27]
	v_add_f64 v[158:159], v[154:155], v[156:157]
	ds_read_b128 v[154:157], v88 offset:576
	v_fma_f64 v[4:5], v[130:131], v[28:29], -v[4:5]
	v_add_f64 v[2:3], v[2:3], v[4:5]
	v_mul_f64 v[4:5], v[136:137], v[22:23]
	v_fma_f64 v[4:5], v[134:135], v[24:25], -v[4:5]
	s_waitcnt vmcnt(28) lgkmcnt(1)
	v_mul_f64 v[160:161], v[150:151], v[80:81]
	v_add_f64 v[2:3], v[2:3], v[4:5]
	v_mul_f64 v[4:5], v[140:141], v[76:77]
	v_fmac_f64_e32 v[160:161], v[152:153], v[82:83]
	v_fma_f64 v[4:5], v[138:139], v[78:79], -v[4:5]
	v_add_f64 v[162:163], v[158:159], v[160:161]
	ds_read_b128 v[158:161], v88 offset:592
	s_waitcnt vmcnt(24) lgkmcnt(1)
	v_mul_f64 v[164:165], v[154:155], v[184:185]
	v_add_f64 v[2:3], v[2:3], v[4:5]
	v_mul_f64 v[4:5], v[144:145], v[30:31]
	s_waitcnt vmcnt(22)
	v_fmac_f64_e32 v[164:165], v[156:157], v[186:187]
	v_fma_f64 v[4:5], v[142:143], v[32:33], -v[4:5]
	v_add_f64 v[166:167], v[162:163], v[164:165]
	ds_read_b128 v[162:165], v88 offset:608
	v_add_f64 v[2:3], v[2:3], v[4:5]
	v_mul_f64 v[4:5], v[148:149], v[98:99]
	v_fma_f64 v[4:5], v[146:147], v[178:179], -v[4:5]
	v_add_f64 v[2:3], v[2:3], v[4:5]
	v_mul_f64 v[4:5], v[152:153], v[80:81]
	s_waitcnt vmcnt(20) lgkmcnt(1)
	v_mul_f64 v[168:169], v[158:159], v[180:181]
	v_fma_f64 v[4:5], v[150:151], v[82:83], -v[4:5]
	v_fmac_f64_e32 v[168:169], v[160:161], v[182:183]
	v_add_f64 v[2:3], v[2:3], v[4:5]
	v_mul_f64 v[4:5], v[156:157], v[184:185]
	v_add_f64 v[170:171], v[166:167], v[168:169]
	ds_read_b128 v[166:169], v88 offset:624
	s_waitcnt vmcnt(16) lgkmcnt(1)
	v_mul_f64 v[172:173], v[162:163], v[192:193]
	v_fma_f64 v[4:5], v[154:155], v[186:187], -v[4:5]
	s_waitcnt vmcnt(14)
	v_fmac_f64_e32 v[172:173], v[164:165], v[194:195]
	v_add_f64 v[2:3], v[2:3], v[4:5]
	v_mul_f64 v[4:5], v[160:161], v[180:181]
	v_add_f64 v[208:209], v[170:171], v[172:173]
	ds_read_b128 v[170:173], v88 offset:640
	v_fma_f64 v[4:5], v[158:159], v[182:183], -v[4:5]
	v_add_f64 v[2:3], v[2:3], v[4:5]
	v_mul_f64 v[4:5], v[164:165], v[192:193]
	v_fma_f64 v[4:5], v[162:163], v[194:195], -v[4:5]
	v_add_f64 v[2:3], v[2:3], v[4:5]
	s_waitcnt vmcnt(12) lgkmcnt(1)
	v_mul_f64 v[4:5], v[168:169], v[188:189]
	v_mul_f64 v[210:211], v[166:167], v[188:189]
	v_fma_f64 v[4:5], v[166:167], v[190:191], -v[4:5]
	v_fmac_f64_e32 v[210:211], v[168:169], v[190:191]
	v_add_f64 v[2:3], v[2:3], v[4:5]
	s_waitcnt vmcnt(8) lgkmcnt(0)
	v_mul_f64 v[4:5], v[172:173], v[200:201]
	v_add_f64 v[208:209], v[208:209], v[210:211]
	v_mul_f64 v[210:211], v[170:171], v[200:201]
	s_waitcnt vmcnt(6)
	v_fma_f64 v[4:5], v[170:171], v[202:203], -v[4:5]
	v_fmac_f64_e32 v[210:211], v[172:173], v[202:203]
	v_add_f64 v[2:3], v[2:3], v[4:5]
	s_waitcnt vmcnt(5)
	v_mul_f64 v[4:5], v[176:177], v[196:197]
	v_add_f64 v[208:209], v[208:209], v[210:211]
	v_mul_f64 v[210:211], v[174:175], v[196:197]
	s_waitcnt vmcnt(4)
	v_fma_f64 v[4:5], v[174:175], v[198:199], -v[4:5]
	v_fmac_f64_e32 v[210:211], v[176:177], v[198:199]
	v_add_f64 v[2:3], v[2:3], v[4:5]
	v_add_f64 v[208:209], v[208:209], v[210:211]
	s_waitcnt vmcnt(2)
	v_add_f64 v[2:3], v[204:205], -v[2:3]
	s_waitcnt vmcnt(0)
	v_add_f64 v[4:5], v[206:207], -v[208:209]
	buffer_store_dword v3, off, s[0:3], 0 offset:52
	buffer_store_dword v2, off, s[0:3], 0 offset:48
	buffer_store_dword v5, off, s[0:3], 0 offset:60
	buffer_store_dword v4, off, s[0:3], 0 offset:56
	s_and_saveexec_b64 s[6:7], vcc
	s_cbranch_execz .LBB20_135
; %bb.134:
	buffer_load_dword v2, v116, s[0:3], 0 offen
	buffer_load_dword v3, v116, s[0:3], 0 offen offset:4
	buffer_load_dword v4, v116, s[0:3], 0 offen offset:8
	;; [unrolled: 1-line block ×3, first 2 shown]
	s_nop 0
	buffer_store_dword v88, off, s[0:3], 0 offset:32
	buffer_store_dword v88, off, s[0:3], 0 offset:36
	;; [unrolled: 1-line block ×4, first 2 shown]
	s_waitcnt vmcnt(4)
	ds_write_b128 v120, v[2:5]
.LBB20_135:
	s_or_b64 exec, exec, s[6:7]
	s_waitcnt lgkmcnt(0)
	; wave barrier
	s_waitcnt lgkmcnt(0)
	buffer_load_dword v2, off, s[0:3], 0 offset:48
	buffer_load_dword v3, off, s[0:3], 0 offset:52
	;; [unrolled: 1-line block ×72, first 2 shown]
	ds_read_b128 v[90:93], v88 offset:384
	buffer_load_dword v212, off, s[0:3], 0 offset:32
	buffer_load_dword v213, off, s[0:3], 0 offset:36
	;; [unrolled: 1-line block ×4, first 2 shown]
	ds_read_b128 v[94:97], v88 offset:400
	ds_read_b128 v[122:125], v88 offset:416
	;; [unrolled: 1-line block ×3, first 2 shown]
	v_cmp_lt_u32_e32 vcc, 1, v119
	ds_read_b128 v[182:185], v88 offset:656
	s_waitcnt vmcnt(62) lgkmcnt(4)
	v_mul_f64 v[130:131], v[90:91], v[8:9]
	v_fmac_f64_e32 v[130:131], v[92:93], v[2:3]
	v_add_f64 v[130:131], v[130:131], 0
	v_mul_f64 v[8:9], v[92:93], v[8:9]
	s_waitcnt lgkmcnt(3)
	v_mul_f64 v[132:133], v[94:95], v[10:11]
	v_fmac_f64_e32 v[132:133], v[96:97], v[4:5]
	v_add_f64 v[130:131], v[130:131], v[132:133]
	v_fma_f64 v[2:3], v[90:91], v[2:3], -v[8:9]
	s_waitcnt lgkmcnt(2)
	v_mul_f64 v[132:133], v[122:123], v[12:13]
	v_fmac_f64_e32 v[132:133], v[124:125], v[6:7]
	v_add_f64 v[134:135], v[130:131], v[132:133]
	ds_read_b128 v[130:133], v88 offset:448
	s_waitcnt vmcnt(60) lgkmcnt(2)
	v_mul_f64 v[136:137], v[126:127], v[18:19]
	v_mul_f64 v[8:9], v[96:97], v[10:11]
	s_waitcnt vmcnt(58)
	v_fmac_f64_e32 v[136:137], v[128:129], v[20:21]
	v_add_f64 v[138:139], v[134:135], v[136:137]
	ds_read_b128 v[134:137], v88 offset:464
	s_waitcnt vmcnt(56) lgkmcnt(1)
	v_mul_f64 v[140:141], v[130:131], v[14:15]
	v_fmac_f64_e32 v[140:141], v[132:133], v[16:17]
	v_add_f64 v[142:143], v[138:139], v[140:141]
	ds_read_b128 v[138:141], v88 offset:480
	s_waitcnt vmcnt(52) lgkmcnt(1)
	v_mul_f64 v[144:145], v[134:135], v[26:27]
	s_waitcnt vmcnt(50)
	v_fmac_f64_e32 v[144:145], v[136:137], v[28:29]
	v_add_f64 v[146:147], v[142:143], v[144:145]
	ds_read_b128 v[142:145], v88 offset:496
	s_waitcnt vmcnt(48) lgkmcnt(1)
	v_mul_f64 v[148:149], v[138:139], v[22:23]
	v_fmac_f64_e32 v[148:149], v[140:141], v[24:25]
	v_add_f64 v[150:151], v[146:147], v[148:149]
	ds_read_b128 v[146:149], v88 offset:512
	s_waitcnt vmcnt(44) lgkmcnt(1)
	v_mul_f64 v[152:153], v[142:143], v[76:77]
	s_waitcnt vmcnt(42)
	v_fmac_f64_e32 v[152:153], v[144:145], v[78:79]
	v_add_f64 v[2:3], v[2:3], 0
	v_fma_f64 v[4:5], v[94:95], v[4:5], -v[8:9]
	v_add_f64 v[154:155], v[150:151], v[152:153]
	ds_read_b128 v[150:153], v88 offset:528
	s_waitcnt vmcnt(40) lgkmcnt(1)
	v_mul_f64 v[156:157], v[146:147], v[30:31]
	v_add_f64 v[2:3], v[2:3], v[4:5]
	v_mul_f64 v[4:5], v[124:125], v[12:13]
	v_fmac_f64_e32 v[156:157], v[148:149], v[32:33]
	v_fma_f64 v[4:5], v[122:123], v[6:7], -v[4:5]
	v_add_f64 v[158:159], v[154:155], v[156:157]
	ds_read_b128 v[154:157], v88 offset:544
	v_add_f64 v[2:3], v[2:3], v[4:5]
	v_mul_f64 v[4:5], v[128:129], v[18:19]
	v_fma_f64 v[4:5], v[126:127], v[20:21], -v[4:5]
	v_add_f64 v[2:3], v[2:3], v[4:5]
	v_mul_f64 v[4:5], v[132:133], v[14:15]
	s_waitcnt vmcnt(36) lgkmcnt(1)
	v_mul_f64 v[160:161], v[150:151], v[84:85]
	v_fma_f64 v[4:5], v[130:131], v[16:17], -v[4:5]
	s_waitcnt vmcnt(34)
	v_fmac_f64_e32 v[160:161], v[152:153], v[86:87]
	v_add_f64 v[2:3], v[2:3], v[4:5]
	v_mul_f64 v[4:5], v[136:137], v[26:27]
	v_add_f64 v[162:163], v[158:159], v[160:161]
	ds_read_b128 v[158:161], v88 offset:560
	s_waitcnt vmcnt(32) lgkmcnt(1)
	v_mul_f64 v[164:165], v[154:155], v[80:81]
	v_fma_f64 v[4:5], v[134:135], v[28:29], -v[4:5]
	v_fmac_f64_e32 v[164:165], v[156:157], v[82:83]
	v_add_f64 v[2:3], v[2:3], v[4:5]
	v_mul_f64 v[4:5], v[140:141], v[22:23]
	v_add_f64 v[166:167], v[162:163], v[164:165]
	ds_read_b128 v[162:165], v88 offset:576
	v_fma_f64 v[4:5], v[138:139], v[24:25], -v[4:5]
	v_add_f64 v[2:3], v[2:3], v[4:5]
	v_mul_f64 v[4:5], v[144:145], v[76:77]
	v_fma_f64 v[4:5], v[142:143], v[78:79], -v[4:5]
	s_waitcnt vmcnt(28) lgkmcnt(1)
	v_mul_f64 v[168:169], v[158:159], v[188:189]
	v_add_f64 v[2:3], v[2:3], v[4:5]
	v_mul_f64 v[4:5], v[148:149], v[30:31]
	s_waitcnt vmcnt(26)
	v_fmac_f64_e32 v[168:169], v[160:161], v[190:191]
	v_fma_f64 v[4:5], v[146:147], v[32:33], -v[4:5]
	v_add_f64 v[170:171], v[166:167], v[168:169]
	ds_read_b128 v[166:169], v88 offset:592
	s_waitcnt vmcnt(24) lgkmcnt(1)
	v_mul_f64 v[172:173], v[162:163], v[98:99]
	v_add_f64 v[2:3], v[2:3], v[4:5]
	v_mul_f64 v[4:5], v[152:153], v[84:85]
	v_fmac_f64_e32 v[172:173], v[164:165], v[186:187]
	v_fma_f64 v[4:5], v[150:151], v[86:87], -v[4:5]
	v_add_f64 v[174:175], v[170:171], v[172:173]
	ds_read_b128 v[170:173], v88 offset:608
	v_add_f64 v[2:3], v[2:3], v[4:5]
	v_mul_f64 v[4:5], v[156:157], v[80:81]
	v_fma_f64 v[4:5], v[154:155], v[82:83], -v[4:5]
	v_add_f64 v[2:3], v[2:3], v[4:5]
	v_mul_f64 v[4:5], v[160:161], v[188:189]
	s_waitcnt vmcnt(20) lgkmcnt(1)
	v_mul_f64 v[176:177], v[166:167], v[196:197]
	v_fma_f64 v[4:5], v[158:159], v[190:191], -v[4:5]
	s_waitcnt vmcnt(18)
	v_fmac_f64_e32 v[176:177], v[168:169], v[198:199]
	v_add_f64 v[2:3], v[2:3], v[4:5]
	v_mul_f64 v[4:5], v[164:165], v[98:99]
	v_add_f64 v[178:179], v[174:175], v[176:177]
	ds_read_b128 v[174:177], v88 offset:624
	s_waitcnt vmcnt(16) lgkmcnt(1)
	v_mul_f64 v[180:181], v[170:171], v[192:193]
	v_fma_f64 v[4:5], v[162:163], v[186:187], -v[4:5]
	v_fmac_f64_e32 v[180:181], v[172:173], v[194:195]
	v_add_f64 v[2:3], v[2:3], v[4:5]
	v_mul_f64 v[4:5], v[168:169], v[196:197]
	v_add_f64 v[216:217], v[178:179], v[180:181]
	ds_read_b128 v[178:181], v88 offset:640
	v_fma_f64 v[4:5], v[166:167], v[198:199], -v[4:5]
	v_add_f64 v[2:3], v[2:3], v[4:5]
	v_mul_f64 v[4:5], v[172:173], v[192:193]
	v_fma_f64 v[4:5], v[170:171], v[194:195], -v[4:5]
	v_add_f64 v[2:3], v[2:3], v[4:5]
	s_waitcnt vmcnt(12) lgkmcnt(1)
	v_mul_f64 v[4:5], v[176:177], v[204:205]
	v_mul_f64 v[218:219], v[174:175], v[204:205]
	s_waitcnt vmcnt(10)
	v_fma_f64 v[4:5], v[174:175], v[206:207], -v[4:5]
	v_fmac_f64_e32 v[218:219], v[176:177], v[206:207]
	v_add_f64 v[2:3], v[2:3], v[4:5]
	s_waitcnt vmcnt(8) lgkmcnt(0)
	v_mul_f64 v[4:5], v[180:181], v[200:201]
	v_add_f64 v[88:89], v[216:217], v[218:219]
	v_mul_f64 v[216:217], v[178:179], v[200:201]
	v_fma_f64 v[4:5], v[178:179], v[202:203], -v[4:5]
	v_fmac_f64_e32 v[216:217], v[180:181], v[202:203]
	v_add_f64 v[2:3], v[2:3], v[4:5]
	s_waitcnt vmcnt(6)
	v_mul_f64 v[4:5], v[184:185], v[208:209]
	v_add_f64 v[88:89], v[88:89], v[216:217]
	v_mul_f64 v[216:217], v[182:183], v[208:209]
	s_waitcnt vmcnt(4)
	v_fma_f64 v[4:5], v[182:183], v[210:211], -v[4:5]
	v_fmac_f64_e32 v[216:217], v[184:185], v[210:211]
	v_add_f64 v[2:3], v[2:3], v[4:5]
	v_add_f64 v[88:89], v[88:89], v[216:217]
	s_waitcnt vmcnt(2)
	v_add_f64 v[2:3], v[212:213], -v[2:3]
	s_waitcnt vmcnt(0)
	v_add_f64 v[4:5], v[214:215], -v[88:89]
	buffer_store_dword v3, off, s[0:3], 0 offset:36
	buffer_store_dword v2, off, s[0:3], 0 offset:32
	;; [unrolled: 1-line block ×4, first 2 shown]
	s_and_saveexec_b64 s[6:7], vcc
	s_cbranch_execz .LBB20_137
; %bb.136:
	buffer_load_dword v2, v117, s[0:3], 0 offen
	buffer_load_dword v3, v117, s[0:3], 0 offen offset:4
	buffer_load_dword v4, v117, s[0:3], 0 offen offset:8
	;; [unrolled: 1-line block ×3, first 2 shown]
	v_mov_b32_e32 v6, 0
	buffer_store_dword v6, off, s[0:3], 0 offset:16
	buffer_store_dword v6, off, s[0:3], 0 offset:20
	;; [unrolled: 1-line block ×4, first 2 shown]
	s_waitcnt vmcnt(4)
	ds_write_b128 v120, v[2:5]
.LBB20_137:
	s_or_b64 exec, exec, s[6:7]
	s_waitcnt lgkmcnt(0)
	; wave barrier
	s_waitcnt lgkmcnt(0)
	buffer_load_dword v2, off, s[0:3], 0 offset:32
	buffer_load_dword v3, off, s[0:3], 0 offset:36
	;; [unrolled: 1-line block ×76, first 2 shown]
	v_mov_b32_e32 v96, 0
	ds_read_b128 v[122:125], v96 offset:368
	buffer_load_dword v220, off, s[0:3], 0 offset:16
	buffer_load_dword v221, off, s[0:3], 0 offset:20
	;; [unrolled: 1-line block ×4, first 2 shown]
	ds_read_b128 v[126:129], v96 offset:384
	ds_read_b128 v[130:133], v96 offset:400
	;; [unrolled: 1-line block ×4, first 2 shown]
	v_cmp_ne_u32_e32 vcc, 0, v119
	s_waitcnt vmcnt(62) lgkmcnt(4)
	v_mul_f64 v[138:139], v[122:123], v[8:9]
	v_fmac_f64_e32 v[138:139], v[124:125], v[2:3]
	v_add_f64 v[138:139], v[138:139], 0
	v_mul_f64 v[8:9], v[124:125], v[8:9]
	s_waitcnt lgkmcnt(3)
	v_mul_f64 v[140:141], v[126:127], v[10:11]
	v_fmac_f64_e32 v[140:141], v[128:129], v[4:5]
	v_add_f64 v[138:139], v[138:139], v[140:141]
	v_fma_f64 v[2:3], v[122:123], v[2:3], -v[8:9]
	s_waitcnt lgkmcnt(2)
	v_mul_f64 v[140:141], v[130:131], v[12:13]
	v_fmac_f64_e32 v[140:141], v[132:133], v[6:7]
	v_add_f64 v[142:143], v[138:139], v[140:141]
	ds_read_b128 v[138:141], v96 offset:432
	s_waitcnt lgkmcnt(2)
	v_mul_f64 v[144:145], v[134:135], v[18:19]
	v_mul_f64 v[8:9], v[128:129], v[10:11]
	v_fmac_f64_e32 v[144:145], v[136:137], v[20:21]
	v_add_f64 v[146:147], v[142:143], v[144:145]
	ds_read_b128 v[142:145], v96 offset:448
	s_waitcnt vmcnt(60) lgkmcnt(1)
	v_mul_f64 v[148:149], v[138:139], v[14:15]
	v_fmac_f64_e32 v[148:149], v[140:141], v[16:17]
	v_add_f64 v[150:151], v[146:147], v[148:149]
	ds_read_b128 v[146:149], v96 offset:464
	s_waitcnt vmcnt(56) lgkmcnt(1)
	v_mul_f64 v[152:153], v[142:143], v[26:27]
	s_waitcnt vmcnt(54)
	v_fmac_f64_e32 v[152:153], v[144:145], v[28:29]
	v_add_f64 v[154:155], v[150:151], v[152:153]
	ds_read_b128 v[150:153], v96 offset:480
	s_waitcnt vmcnt(52) lgkmcnt(1)
	v_mul_f64 v[156:157], v[146:147], v[22:23]
	v_fmac_f64_e32 v[156:157], v[148:149], v[24:25]
	v_add_f64 v[158:159], v[154:155], v[156:157]
	ds_read_b128 v[154:157], v96 offset:496
	s_waitcnt vmcnt(48) lgkmcnt(1)
	v_mul_f64 v[160:161], v[150:151], v[76:77]
	s_waitcnt vmcnt(46)
	v_fmac_f64_e32 v[160:161], v[152:153], v[78:79]
	v_add_f64 v[162:163], v[158:159], v[160:161]
	ds_read_b128 v[158:161], v96 offset:512
	v_add_f64 v[2:3], v[2:3], 0
	v_fma_f64 v[4:5], v[126:127], v[4:5], -v[8:9]
	s_waitcnt vmcnt(44) lgkmcnt(1)
	v_mul_f64 v[164:165], v[154:155], v[30:31]
	v_add_f64 v[2:3], v[2:3], v[4:5]
	v_mul_f64 v[4:5], v[132:133], v[12:13]
	v_fmac_f64_e32 v[164:165], v[156:157], v[32:33]
	v_fma_f64 v[4:5], v[130:131], v[6:7], -v[4:5]
	v_add_f64 v[166:167], v[162:163], v[164:165]
	ds_read_b128 v[162:165], v96 offset:528
	s_waitcnt vmcnt(40) lgkmcnt(1)
	v_mul_f64 v[168:169], v[158:159], v[84:85]
	v_add_f64 v[2:3], v[2:3], v[4:5]
	v_mul_f64 v[4:5], v[136:137], v[18:19]
	s_waitcnt vmcnt(38)
	v_fmac_f64_e32 v[168:169], v[160:161], v[86:87]
	v_fma_f64 v[4:5], v[134:135], v[20:21], -v[4:5]
	v_add_f64 v[170:171], v[166:167], v[168:169]
	ds_read_b128 v[166:169], v96 offset:544
	v_add_f64 v[2:3], v[2:3], v[4:5]
	v_mul_f64 v[4:5], v[140:141], v[14:15]
	v_fma_f64 v[4:5], v[138:139], v[16:17], -v[4:5]
	v_add_f64 v[2:3], v[2:3], v[4:5]
	v_mul_f64 v[4:5], v[144:145], v[26:27]
	s_waitcnt vmcnt(36) lgkmcnt(1)
	v_mul_f64 v[172:173], v[162:163], v[80:81]
	v_fma_f64 v[4:5], v[142:143], v[28:29], -v[4:5]
	v_fmac_f64_e32 v[172:173], v[164:165], v[82:83]
	v_add_f64 v[2:3], v[2:3], v[4:5]
	v_mul_f64 v[4:5], v[148:149], v[22:23]
	v_add_f64 v[174:175], v[170:171], v[172:173]
	ds_read_b128 v[170:173], v96 offset:560
	s_waitcnt vmcnt(32) lgkmcnt(1)
	v_mul_f64 v[176:177], v[166:167], v[92:93]
	v_fma_f64 v[4:5], v[146:147], v[24:25], -v[4:5]
	s_waitcnt vmcnt(30)
	v_fmac_f64_e32 v[176:177], v[168:169], v[94:95]
	v_add_f64 v[2:3], v[2:3], v[4:5]
	v_mul_f64 v[4:5], v[152:153], v[76:77]
	v_add_f64 v[178:179], v[174:175], v[176:177]
	ds_read_b128 v[174:177], v96 offset:576
	v_fma_f64 v[4:5], v[150:151], v[78:79], -v[4:5]
	v_add_f64 v[2:3], v[2:3], v[4:5]
	v_mul_f64 v[4:5], v[156:157], v[30:31]
	v_fma_f64 v[4:5], v[154:155], v[32:33], -v[4:5]
	s_waitcnt vmcnt(28) lgkmcnt(1)
	v_mul_f64 v[180:181], v[170:171], v[88:89]
	v_add_f64 v[2:3], v[2:3], v[4:5]
	v_mul_f64 v[4:5], v[160:161], v[84:85]
	v_fmac_f64_e32 v[180:181], v[172:173], v[90:91]
	v_fma_f64 v[4:5], v[158:159], v[86:87], -v[4:5]
	v_add_f64 v[182:183], v[178:179], v[180:181]
	ds_read_b128 v[178:181], v96 offset:592
	s_waitcnt vmcnt(24) lgkmcnt(1)
	v_mul_f64 v[184:185], v[174:175], v[200:201]
	v_add_f64 v[2:3], v[2:3], v[4:5]
	v_mul_f64 v[4:5], v[164:165], v[80:81]
	s_waitcnt vmcnt(22)
	v_fmac_f64_e32 v[184:185], v[176:177], v[202:203]
	v_fma_f64 v[4:5], v[162:163], v[82:83], -v[4:5]
	v_add_f64 v[186:187], v[182:183], v[184:185]
	ds_read_b128 v[182:185], v96 offset:608
	v_add_f64 v[2:3], v[2:3], v[4:5]
	v_mul_f64 v[4:5], v[168:169], v[92:93]
	v_fma_f64 v[4:5], v[166:167], v[94:95], -v[4:5]
	v_add_f64 v[2:3], v[2:3], v[4:5]
	v_mul_f64 v[4:5], v[172:173], v[88:89]
	s_waitcnt vmcnt(20) lgkmcnt(1)
	v_mul_f64 v[188:189], v[178:179], v[98:99]
	v_fma_f64 v[4:5], v[170:171], v[90:91], -v[4:5]
	v_fmac_f64_e32 v[188:189], v[180:181], v[198:199]
	v_add_f64 v[2:3], v[2:3], v[4:5]
	v_mul_f64 v[4:5], v[176:177], v[200:201]
	v_add_f64 v[190:191], v[186:187], v[188:189]
	ds_read_b128 v[186:189], v96 offset:624
	s_waitcnt vmcnt(16) lgkmcnt(1)
	v_mul_f64 v[192:193], v[182:183], v[208:209]
	v_fma_f64 v[4:5], v[174:175], v[202:203], -v[4:5]
	s_waitcnt vmcnt(14)
	v_fmac_f64_e32 v[192:193], v[184:185], v[210:211]
	v_add_f64 v[2:3], v[2:3], v[4:5]
	v_mul_f64 v[4:5], v[180:181], v[98:99]
	v_add_f64 v[224:225], v[190:191], v[192:193]
	ds_read_b128 v[190:193], v96 offset:640
	v_fma_f64 v[4:5], v[178:179], v[198:199], -v[4:5]
	v_add_f64 v[2:3], v[2:3], v[4:5]
	v_mul_f64 v[4:5], v[184:185], v[208:209]
	v_fma_f64 v[4:5], v[182:183], v[210:211], -v[4:5]
	v_add_f64 v[2:3], v[2:3], v[4:5]
	s_waitcnt vmcnt(12) lgkmcnt(1)
	v_mul_f64 v[4:5], v[188:189], v[204:205]
	v_mul_f64 v[226:227], v[186:187], v[204:205]
	v_fma_f64 v[4:5], v[186:187], v[206:207], -v[4:5]
	v_fmac_f64_e32 v[226:227], v[188:189], v[206:207]
	v_add_f64 v[2:3], v[2:3], v[4:5]
	s_waitcnt vmcnt(8) lgkmcnt(0)
	v_mul_f64 v[4:5], v[192:193], v[216:217]
	v_add_f64 v[224:225], v[224:225], v[226:227]
	v_mul_f64 v[226:227], v[190:191], v[216:217]
	s_waitcnt vmcnt(6)
	v_fma_f64 v[4:5], v[190:191], v[218:219], -v[4:5]
	v_fmac_f64_e32 v[226:227], v[192:193], v[218:219]
	v_add_f64 v[2:3], v[2:3], v[4:5]
	s_waitcnt vmcnt(5)
	v_mul_f64 v[4:5], v[196:197], v[212:213]
	v_add_f64 v[224:225], v[224:225], v[226:227]
	v_mul_f64 v[226:227], v[194:195], v[212:213]
	s_waitcnt vmcnt(4)
	v_fma_f64 v[4:5], v[194:195], v[214:215], -v[4:5]
	v_fmac_f64_e32 v[226:227], v[196:197], v[214:215]
	v_add_f64 v[2:3], v[2:3], v[4:5]
	v_add_f64 v[224:225], v[224:225], v[226:227]
	s_waitcnt vmcnt(2)
	v_add_f64 v[2:3], v[220:221], -v[2:3]
	s_waitcnt vmcnt(0)
	v_add_f64 v[4:5], v[222:223], -v[224:225]
	buffer_store_dword v3, off, s[0:3], 0 offset:20
	buffer_store_dword v2, off, s[0:3], 0 offset:16
	;; [unrolled: 1-line block ×4, first 2 shown]
	s_and_saveexec_b64 s[6:7], vcc
	s_cbranch_execz .LBB20_139
; %bb.138:
	buffer_load_dword v2, off, s[0:3], 0
	buffer_load_dword v3, off, s[0:3], 0 offset:4
	buffer_load_dword v4, off, s[0:3], 0 offset:8
	;; [unrolled: 1-line block ×3, first 2 shown]
	s_nop 0
	buffer_store_dword v96, off, s[0:3], 0
	buffer_store_dword v96, off, s[0:3], 0 offset:4
	buffer_store_dword v96, off, s[0:3], 0 offset:8
	;; [unrolled: 1-line block ×3, first 2 shown]
	s_waitcnt vmcnt(4)
	ds_write_b128 v120, v[2:5]
.LBB20_139:
	s_or_b64 exec, exec, s[6:7]
	s_waitcnt lgkmcnt(0)
	; wave barrier
	s_waitcnt lgkmcnt(0)
	buffer_load_dword v2, off, s[0:3], 0 offset:16
	buffer_load_dword v3, off, s[0:3], 0 offset:20
	;; [unrolled: 1-line block ×76, first 2 shown]
	ds_read_b128 v[120:123], v96 offset:352
	buffer_load_dword v221, off, s[0:3], 0 offset:332
	buffer_load_dword v220, off, s[0:3], 0 offset:328
	;; [unrolled: 1-line block ×4, first 2 shown]
	buffer_load_dword v224, off, s[0:3], 0
	buffer_load_dword v225, off, s[0:3], 0 offset:4
	buffer_load_dword v226, off, s[0:3], 0 offset:8
	;; [unrolled: 1-line block ×3, first 2 shown]
	ds_read_b128 v[124:127], v96 offset:368
	ds_read_b128 v[128:131], v96 offset:384
	;; [unrolled: 1-line block ×3, first 2 shown]
	s_and_b64 vcc, exec, s[26:27]
	s_waitcnt vmcnt(62) lgkmcnt(3)
	v_mul_f64 v[98:99], v[120:121], v[8:9]
	v_fmac_f64_e32 v[98:99], v[122:123], v[2:3]
	v_add_f64 v[98:99], v[98:99], 0
	v_mul_f64 v[8:9], v[122:123], v[8:9]
	s_waitcnt lgkmcnt(2)
	v_mul_f64 v[136:137], v[124:125], v[10:11]
	v_fmac_f64_e32 v[136:137], v[126:127], v[4:5]
	v_add_f64 v[98:99], v[98:99], v[136:137]
	v_fma_f64 v[2:3], v[120:121], v[2:3], -v[8:9]
	s_waitcnt lgkmcnt(1)
	v_mul_f64 v[136:137], v[128:129], v[12:13]
	v_fmac_f64_e32 v[136:137], v[130:131], v[6:7]
	v_add_f64 v[98:99], v[98:99], v[136:137]
	ds_read_b128 v[136:139], v96 offset:416
	v_mul_f64 v[8:9], v[126:127], v[10:11]
	v_add_f64 v[2:3], v[2:3], 0
	s_waitcnt lgkmcnt(1)
	v_mul_f64 v[140:141], v[132:133], v[18:19]
	v_fma_f64 v[4:5], v[124:125], v[4:5], -v[8:9]
	v_fmac_f64_e32 v[140:141], v[134:135], v[20:21]
	v_add_f64 v[98:99], v[98:99], v[140:141]
	ds_read_b128 v[140:143], v96 offset:432
	s_waitcnt lgkmcnt(1)
	v_mul_f64 v[144:145], v[136:137], v[14:15]
	v_fmac_f64_e32 v[144:145], v[138:139], v[16:17]
	v_add_f64 v[98:99], v[98:99], v[144:145]
	ds_read_b128 v[144:147], v96 offset:448
	s_waitcnt vmcnt(58) lgkmcnt(1)
	v_mul_f64 v[148:149], v[140:141], v[26:27]
	s_waitcnt vmcnt(56)
	v_fmac_f64_e32 v[148:149], v[142:143], v[28:29]
	v_add_f64 v[98:99], v[98:99], v[148:149]
	ds_read_b128 v[148:151], v96 offset:464
	s_waitcnt lgkmcnt(1)
	v_mul_f64 v[152:153], v[144:145], v[22:23]
	v_fmac_f64_e32 v[152:153], v[146:147], v[24:25]
	v_add_f64 v[98:99], v[98:99], v[152:153]
	ds_read_b128 v[152:155], v96 offset:480
	s_waitcnt vmcnt(50) lgkmcnt(1)
	v_mul_f64 v[156:157], v[148:149], v[76:77]
	s_waitcnt vmcnt(48)
	v_fmac_f64_e32 v[156:157], v[150:151], v[78:79]
	v_add_f64 v[98:99], v[98:99], v[156:157]
	ds_read_b128 v[156:159], v96 offset:496
	s_waitcnt lgkmcnt(1)
	v_mul_f64 v[160:161], v[152:153], v[30:31]
	v_fmac_f64_e32 v[160:161], v[154:155], v[32:33]
	v_add_f64 v[98:99], v[98:99], v[160:161]
	ds_read_b128 v[160:163], v96 offset:512
	v_add_f64 v[2:3], v[2:3], v[4:5]
	v_mul_f64 v[4:5], v[130:131], v[12:13]
	v_fma_f64 v[4:5], v[128:129], v[6:7], -v[4:5]
	s_waitcnt vmcnt(42) lgkmcnt(1)
	v_mul_f64 v[164:165], v[156:157], v[84:85]
	v_add_f64 v[2:3], v[2:3], v[4:5]
	v_mul_f64 v[4:5], v[134:135], v[18:19]
	s_waitcnt vmcnt(40)
	v_fmac_f64_e32 v[164:165], v[158:159], v[86:87]
	v_fma_f64 v[4:5], v[132:133], v[20:21], -v[4:5]
	v_add_f64 v[98:99], v[98:99], v[164:165]
	ds_read_b128 v[164:167], v96 offset:528
	s_waitcnt lgkmcnt(1)
	v_mul_f64 v[168:169], v[160:161], v[80:81]
	v_add_f64 v[2:3], v[2:3], v[4:5]
	v_mul_f64 v[4:5], v[138:139], v[14:15]
	v_fmac_f64_e32 v[168:169], v[162:163], v[82:83]
	v_fma_f64 v[4:5], v[136:137], v[16:17], -v[4:5]
	v_add_f64 v[98:99], v[98:99], v[168:169]
	ds_read_b128 v[168:171], v96 offset:544
	v_add_f64 v[2:3], v[2:3], v[4:5]
	v_mul_f64 v[4:5], v[142:143], v[26:27]
	v_fma_f64 v[4:5], v[140:141], v[28:29], -v[4:5]
	v_add_f64 v[2:3], v[2:3], v[4:5]
	v_mul_f64 v[4:5], v[146:147], v[22:23]
	s_waitcnt vmcnt(34) lgkmcnt(1)
	v_mul_f64 v[172:173], v[164:165], v[92:93]
	v_fma_f64 v[4:5], v[144:145], v[24:25], -v[4:5]
	s_waitcnt vmcnt(32)
	v_fmac_f64_e32 v[172:173], v[166:167], v[94:95]
	v_add_f64 v[2:3], v[2:3], v[4:5]
	v_mul_f64 v[4:5], v[150:151], v[76:77]
	v_add_f64 v[98:99], v[98:99], v[172:173]
	ds_read_b128 v[172:175], v96 offset:560
	s_waitcnt lgkmcnt(1)
	v_mul_f64 v[176:177], v[168:169], v[88:89]
	v_fma_f64 v[4:5], v[148:149], v[78:79], -v[4:5]
	v_fmac_f64_e32 v[176:177], v[170:171], v[90:91]
	v_add_f64 v[2:3], v[2:3], v[4:5]
	v_mul_f64 v[4:5], v[154:155], v[30:31]
	v_add_f64 v[98:99], v[98:99], v[176:177]
	ds_read_b128 v[176:179], v96 offset:576
	v_fma_f64 v[4:5], v[152:153], v[32:33], -v[4:5]
	v_add_f64 v[2:3], v[2:3], v[4:5]
	v_mul_f64 v[4:5], v[158:159], v[84:85]
	v_fma_f64 v[4:5], v[156:157], v[86:87], -v[4:5]
	s_waitcnt vmcnt(26) lgkmcnt(1)
	v_mul_f64 v[180:181], v[172:173], v[200:201]
	v_add_f64 v[2:3], v[2:3], v[4:5]
	v_mul_f64 v[4:5], v[162:163], v[80:81]
	s_waitcnt vmcnt(24)
	v_fmac_f64_e32 v[180:181], v[174:175], v[202:203]
	v_fma_f64 v[4:5], v[160:161], v[82:83], -v[4:5]
	v_add_f64 v[98:99], v[98:99], v[180:181]
	ds_read_b128 v[180:183], v96 offset:592
	s_waitcnt lgkmcnt(1)
	v_mul_f64 v[184:185], v[176:177], v[196:197]
	v_add_f64 v[2:3], v[2:3], v[4:5]
	v_mul_f64 v[4:5], v[166:167], v[92:93]
	v_fmac_f64_e32 v[184:185], v[178:179], v[198:199]
	v_fma_f64 v[4:5], v[164:165], v[94:95], -v[4:5]
	v_add_f64 v[98:99], v[98:99], v[184:185]
	ds_read_b128 v[184:187], v96 offset:608
	v_add_f64 v[2:3], v[2:3], v[4:5]
	v_mul_f64 v[4:5], v[170:171], v[88:89]
	v_fma_f64 v[4:5], v[168:169], v[90:91], -v[4:5]
	v_add_f64 v[2:3], v[2:3], v[4:5]
	v_mul_f64 v[4:5], v[174:175], v[200:201]
	s_waitcnt vmcnt(18) lgkmcnt(1)
	v_mul_f64 v[188:189], v[180:181], v[208:209]
	v_fma_f64 v[4:5], v[172:173], v[202:203], -v[4:5]
	s_waitcnt vmcnt(16)
	v_fmac_f64_e32 v[188:189], v[182:183], v[210:211]
	v_add_f64 v[2:3], v[2:3], v[4:5]
	v_mul_f64 v[4:5], v[178:179], v[196:197]
	v_add_f64 v[98:99], v[98:99], v[188:189]
	ds_read_b128 v[188:191], v96 offset:624
	s_waitcnt lgkmcnt(1)
	v_mul_f64 v[192:193], v[184:185], v[204:205]
	v_fma_f64 v[4:5], v[176:177], v[198:199], -v[4:5]
	v_fmac_f64_e32 v[192:193], v[186:187], v[206:207]
	v_add_f64 v[2:3], v[2:3], v[4:5]
	v_mul_f64 v[4:5], v[182:183], v[208:209]
	v_add_f64 v[228:229], v[98:99], v[192:193]
	ds_read_b128 v[192:195], v96 offset:640
	v_fma_f64 v[4:5], v[180:181], v[210:211], -v[4:5]
	v_add_f64 v[2:3], v[2:3], v[4:5]
	v_mul_f64 v[4:5], v[186:187], v[204:205]
	ds_read_b128 v[96:99], v96 offset:656
	v_fma_f64 v[4:5], v[184:185], v[206:207], -v[4:5]
	v_add_f64 v[2:3], v[2:3], v[4:5]
	s_waitcnt vmcnt(10) lgkmcnt(2)
	v_mul_f64 v[4:5], v[190:191], v[216:217]
	v_mul_f64 v[230:231], v[188:189], v[216:217]
	s_waitcnt vmcnt(8)
	v_fma_f64 v[4:5], v[188:189], v[218:219], -v[4:5]
	v_fmac_f64_e32 v[230:231], v[190:191], v[218:219]
	v_add_f64 v[2:3], v[2:3], v[4:5]
	s_waitcnt lgkmcnt(1)
	v_mul_f64 v[4:5], v[194:195], v[212:213]
	v_add_f64 v[228:229], v[228:229], v[230:231]
	v_mul_f64 v[230:231], v[192:193], v[212:213]
	v_fma_f64 v[4:5], v[192:193], v[214:215], -v[4:5]
	v_fmac_f64_e32 v[230:231], v[194:195], v[214:215]
	v_add_f64 v[2:3], v[2:3], v[4:5]
	s_waitcnt vmcnt(6) lgkmcnt(0)
	v_mul_f64 v[4:5], v[98:99], v[220:221]
	v_add_f64 v[228:229], v[228:229], v[230:231]
	v_mul_f64 v[230:231], v[96:97], v[220:221]
	s_waitcnt vmcnt(4)
	v_fma_f64 v[4:5], v[96:97], v[222:223], -v[4:5]
	v_fmac_f64_e32 v[230:231], v[98:99], v[222:223]
	v_add_f64 v[2:3], v[2:3], v[4:5]
	v_add_f64 v[228:229], v[228:229], v[230:231]
	s_waitcnt vmcnt(2)
	v_add_f64 v[2:3], v[224:225], -v[2:3]
	s_waitcnt vmcnt(0)
	v_add_f64 v[4:5], v[226:227], -v[228:229]
	buffer_store_dword v3, off, s[0:3], 0 offset:4
	buffer_store_dword v2, off, s[0:3], 0
	buffer_store_dword v5, off, s[0:3], 0 offset:12
	buffer_store_dword v4, off, s[0:3], 0 offset:8
	s_cbranch_vccz .LBB20_181
; %bb.140:
	v_pk_mov_b32 v[2:3], s[24:25], s[24:25] op_sel:[0,1]
	flat_load_dword v2, v[2:3] offset:76
	s_load_dwordx2 s[4:5], s[4:5], 0x4
	v_bfe_u32 v4, v0, 10, 10
	v_bfe_u32 v0, v0, 20, 10
	s_waitcnt lgkmcnt(0)
	s_lshr_b32 s4, s4, 16
	s_mul_i32 s4, s4, s5
	v_mul_u32_u24_e32 v3, s4, v119
	v_mul_u32_u24_e32 v4, s5, v4
	v_add3_u32 v0, v3, v4, v0
	v_mov_b32_e32 v3, 0x2a8
	v_lshl_add_u32 v0, v0, 4, v3
	s_waitcnt vmcnt(0)
	v_add_u32_e32 v2, -1, v2
	v_cmp_ne_u32_e32 vcc, 19, v2
	s_and_saveexec_b64 s[4:5], vcc
	s_cbranch_execz .LBB20_142
; %bb.141:
	v_mov_b32_e32 v3, 0
	v_lshl_add_u32 v6, v2, 4, v3
	buffer_load_dword v2, v1, s[0:3], 0 offen
	buffer_load_dword v3, v1, s[0:3], 0 offen offset:4
	buffer_load_dword v4, v1, s[0:3], 0 offen offset:8
	buffer_load_dword v5, v1, s[0:3], 0 offen offset:12
	buffer_load_dword v7, v6, s[0:3], 0 offen
	buffer_load_dword v8, v6, s[0:3], 0 offen offset:4
	buffer_load_dword v9, v6, s[0:3], 0 offen offset:8
	buffer_load_dword v10, v6, s[0:3], 0 offen offset:12
	s_waitcnt vmcnt(4)
	ds_write2_b64 v0, v[2:3], v[4:5] offset1:1
	s_waitcnt vmcnt(3)
	buffer_store_dword v7, v1, s[0:3], 0 offen
	s_waitcnt vmcnt(3)
	buffer_store_dword v8, v1, s[0:3], 0 offen offset:4
	s_waitcnt vmcnt(3)
	buffer_store_dword v9, v1, s[0:3], 0 offen offset:8
	s_waitcnt vmcnt(3)
	buffer_store_dword v10, v1, s[0:3], 0 offen offset:12
	buffer_store_dword v5, v6, s[0:3], 0 offen offset:12
	buffer_store_dword v4, v6, s[0:3], 0 offen offset:8
	buffer_store_dword v3, v6, s[0:3], 0 offen offset:4
	buffer_store_dword v2, v6, s[0:3], 0 offen
.LBB20_142:
	s_or_b64 exec, exec, s[4:5]
	v_pk_mov_b32 v[2:3], s[24:25], s[24:25] op_sel:[0,1]
	flat_load_dword v2, v[2:3] offset:72
	s_waitcnt vmcnt(0) lgkmcnt(0)
	v_add_u32_e32 v2, -1, v2
	v_cmp_ne_u32_e32 vcc, 18, v2
	s_and_saveexec_b64 s[4:5], vcc
	s_cbranch_execz .LBB20_144
; %bb.143:
	v_mov_b32_e32 v3, 0
	v_lshl_add_u32 v6, v2, 4, v3
	buffer_load_dword v2, v103, s[0:3], 0 offen
	buffer_load_dword v3, v103, s[0:3], 0 offen offset:4
	buffer_load_dword v4, v103, s[0:3], 0 offen offset:8
	buffer_load_dword v5, v103, s[0:3], 0 offen offset:12
	buffer_load_dword v7, v6, s[0:3], 0 offen
	buffer_load_dword v8, v6, s[0:3], 0 offen offset:4
	buffer_load_dword v9, v6, s[0:3], 0 offen offset:8
	buffer_load_dword v10, v6, s[0:3], 0 offen offset:12
	s_waitcnt vmcnt(4)
	ds_write2_b64 v0, v[2:3], v[4:5] offset1:1
	s_waitcnt vmcnt(3)
	buffer_store_dword v7, v103, s[0:3], 0 offen
	s_waitcnt vmcnt(3)
	buffer_store_dword v8, v103, s[0:3], 0 offen offset:4
	s_waitcnt vmcnt(3)
	buffer_store_dword v9, v103, s[0:3], 0 offen offset:8
	s_waitcnt vmcnt(3)
	buffer_store_dword v10, v103, s[0:3], 0 offen offset:12
	buffer_store_dword v5, v6, s[0:3], 0 offen offset:12
	buffer_store_dword v4, v6, s[0:3], 0 offen offset:8
	buffer_store_dword v3, v6, s[0:3], 0 offen offset:4
	buffer_store_dword v2, v6, s[0:3], 0 offen
.LBB20_144:
	s_or_b64 exec, exec, s[4:5]
	v_pk_mov_b32 v[2:3], s[24:25], s[24:25] op_sel:[0,1]
	flat_load_dword v2, v[2:3] offset:68
	s_waitcnt vmcnt(0) lgkmcnt(0)
	;; [unrolled: 34-line block ×18, first 2 shown]
	v_add_u32_e32 v2, -1, v2
	v_cmp_ne_u32_e32 vcc, 1, v2
	s_and_saveexec_b64 s[4:5], vcc
	s_cbranch_execz .LBB20_178
; %bb.177:
	v_mov_b32_e32 v3, 0
	v_lshl_add_u32 v6, v2, 4, v3
	buffer_load_dword v2, v117, s[0:3], 0 offen
	buffer_load_dword v3, v117, s[0:3], 0 offen offset:4
	buffer_load_dword v4, v117, s[0:3], 0 offen offset:8
	;; [unrolled: 1-line block ×3, first 2 shown]
	buffer_load_dword v7, v6, s[0:3], 0 offen
	buffer_load_dword v8, v6, s[0:3], 0 offen offset:4
	buffer_load_dword v9, v6, s[0:3], 0 offen offset:8
	;; [unrolled: 1-line block ×3, first 2 shown]
	s_waitcnt vmcnt(4)
	ds_write2_b64 v0, v[2:3], v[4:5] offset1:1
	s_waitcnt vmcnt(3)
	buffer_store_dword v7, v117, s[0:3], 0 offen
	s_waitcnt vmcnt(3)
	buffer_store_dword v8, v117, s[0:3], 0 offen offset:4
	s_waitcnt vmcnt(3)
	buffer_store_dword v9, v117, s[0:3], 0 offen offset:8
	;; [unrolled: 2-line block ×3, first 2 shown]
	buffer_store_dword v5, v6, s[0:3], 0 offen offset:12
	buffer_store_dword v4, v6, s[0:3], 0 offen offset:8
	;; [unrolled: 1-line block ×3, first 2 shown]
	buffer_store_dword v2, v6, s[0:3], 0 offen
.LBB20_178:
	s_or_b64 exec, exec, s[4:5]
	v_pk_mov_b32 v[2:3], s[24:25], s[24:25] op_sel:[0,1]
	flat_load_dword v2, v[2:3]
	s_waitcnt vmcnt(0) lgkmcnt(0)
	v_add_u32_e32 v2, -1, v2
	v_cmp_ne_u32_e32 vcc, 0, v2
	s_and_saveexec_b64 s[4:5], vcc
	s_cbranch_execz .LBB20_180
; %bb.179:
	v_mov_b32_e32 v3, 0
	v_lshl_add_u32 v6, v2, 4, v3
	buffer_load_dword v2, off, s[0:3], 0
	buffer_load_dword v3, off, s[0:3], 0 offset:4
	buffer_load_dword v4, off, s[0:3], 0 offset:8
	;; [unrolled: 1-line block ×3, first 2 shown]
	buffer_load_dword v7, v6, s[0:3], 0 offen
	buffer_load_dword v8, v6, s[0:3], 0 offen offset:4
	buffer_load_dword v9, v6, s[0:3], 0 offen offset:8
	;; [unrolled: 1-line block ×3, first 2 shown]
	s_waitcnt vmcnt(4)
	ds_write2_b64 v0, v[2:3], v[4:5] offset1:1
	s_waitcnt vmcnt(3)
	buffer_store_dword v7, off, s[0:3], 0
	s_waitcnt vmcnt(3)
	buffer_store_dword v8, off, s[0:3], 0 offset:4
	s_waitcnt vmcnt(3)
	buffer_store_dword v9, off, s[0:3], 0 offset:8
	;; [unrolled: 2-line block ×3, first 2 shown]
	buffer_store_dword v5, v6, s[0:3], 0 offen offset:12
	buffer_store_dword v4, v6, s[0:3], 0 offen offset:8
	;; [unrolled: 1-line block ×3, first 2 shown]
	buffer_store_dword v2, v6, s[0:3], 0 offen
.LBB20_180:
	s_or_b64 exec, exec, s[4:5]
.LBB20_181:
	buffer_load_dword v2, off, s[0:3], 0
	buffer_load_dword v3, off, s[0:3], 0 offset:4
	buffer_load_dword v4, off, s[0:3], 0 offset:8
	;; [unrolled: 1-line block ×3, first 2 shown]
	buffer_load_dword v6, v117, s[0:3], 0 offen
	buffer_load_dword v7, v117, s[0:3], 0 offen offset:4
	buffer_load_dword v8, v117, s[0:3], 0 offen offset:8
	;; [unrolled: 1-line block ×6, first 2 shown]
	buffer_load_dword v14, v118, s[0:3], 0 offen
	buffer_load_dword v15, v118, s[0:3], 0 offen offset:4
	buffer_load_dword v16, v118, s[0:3], 0 offen offset:8
	buffer_load_dword v10, v116, s[0:3], 0 offen
	buffer_load_dword v17, v118, s[0:3], 0 offen offset:12
	buffer_load_dword v19, v112, s[0:3], 0 offen offset:4
	;; [unrolled: 1-line block ×4, first 2 shown]
                                        ; kill: killed $vgpr117
                                        ; kill: killed $vgpr118
                                        ; kill: killed $vgpr116
	buffer_load_dword v22, v113, s[0:3], 0 offen
	buffer_load_dword v23, v113, s[0:3], 0 offen offset:4
	buffer_load_dword v24, v113, s[0:3], 0 offen offset:8
	buffer_load_dword v18, v112, s[0:3], 0 offen
	buffer_load_dword v25, v113, s[0:3], 0 offen offset:12
	buffer_load_dword v27, v115, s[0:3], 0 offen offset:4
	;; [unrolled: 1-line block ×4, first 2 shown]
	buffer_load_dword v30, v114, s[0:3], 0 offen
	buffer_load_dword v31, v114, s[0:3], 0 offen offset:4
	buffer_load_dword v32, v114, s[0:3], 0 offen offset:8
	buffer_load_dword v26, v115, s[0:3], 0 offen
	buffer_load_dword v33, v114, s[0:3], 0 offen offset:12
	buffer_load_dword v77, v109, s[0:3], 0 offen offset:4
	;; [unrolled: 1-line block ×3, first 2 shown]
                                        ; kill: killed $vgpr115
                                        ; kill: killed $vgpr113
                                        ; kill: killed $vgpr114
                                        ; kill: killed $vgpr112
	buffer_load_dword v79, v109, s[0:3], 0 offen offset:12
	buffer_load_dword v80, v108, s[0:3], 0 offen
	buffer_load_dword v81, v108, s[0:3], 0 offen offset:4
	buffer_load_dword v82, v108, s[0:3], 0 offen offset:8
	buffer_load_dword v76, v109, s[0:3], 0 offen
	buffer_load_dword v83, v108, s[0:3], 0 offen offset:12
	buffer_load_dword v85, v110, s[0:3], 0 offen offset:4
	;; [unrolled: 1-line block ×4, first 2 shown]
	buffer_load_dword v88, v111, s[0:3], 0 offen
	buffer_load_dword v89, v111, s[0:3], 0 offen offset:4
	buffer_load_dword v90, v111, s[0:3], 0 offen offset:8
	buffer_load_dword v84, v110, s[0:3], 0 offen
	buffer_load_dword v91, v111, s[0:3], 0 offen offset:12
	buffer_load_dword v93, v104, s[0:3], 0 offen offset:4
                                        ; kill: killed $vgpr111
                                        ; kill: killed $vgpr109
                                        ; kill: killed $vgpr110
                                        ; kill: killed $vgpr108
	buffer_load_dword v94, v104, s[0:3], 0 offen offset:8
	buffer_load_dword v95, v104, s[0:3], 0 offen offset:12
	buffer_load_dword v96, v106, s[0:3], 0 offen
	buffer_load_dword v97, v106, s[0:3], 0 offen offset:4
	buffer_load_dword v98, v106, s[0:3], 0 offen offset:8
	buffer_load_dword v92, v104, s[0:3], 0 offen
	buffer_load_dword v99, v106, s[0:3], 0 offen offset:12
	buffer_load_dword v109, v105, s[0:3], 0 offen offset:4
	buffer_load_dword v110, v105, s[0:3], 0 offen offset:8
	buffer_load_dword v111, v105, s[0:3], 0 offen offset:12
	buffer_load_dword v112, v107, s[0:3], 0 offen
	buffer_load_dword v113, v107, s[0:3], 0 offen offset:4
	buffer_load_dword v114, v107, s[0:3], 0 offen offset:8
	buffer_load_dword v108, v105, s[0:3], 0 offen
	buffer_load_dword v115, v107, s[0:3], 0 offen offset:12
                                        ; kill: killed $vgpr106
                                        ; kill: killed $vgpr107
                                        ; kill: killed $vgpr104
                                        ; kill: killed $vgpr105
	s_nop 0
	buffer_load_dword v105, v101, s[0:3], 0 offen offset:4
	buffer_load_dword v106, v101, s[0:3], 0 offen offset:8
	buffer_load_dword v107, v101, s[0:3], 0 offen offset:12
	buffer_load_dword v116, v102, s[0:3], 0 offen
	buffer_load_dword v117, v102, s[0:3], 0 offen offset:4
	buffer_load_dword v118, v102, s[0:3], 0 offen offset:8
	buffer_load_dword v104, v101, s[0:3], 0 offen
	buffer_load_dword v119, v102, s[0:3], 0 offen offset:12
	buffer_load_dword v121, v103, s[0:3], 0 offen offset:4
	;; [unrolled: 1-line block ×4, first 2 shown]
	buffer_load_dword v124, v1, s[0:3], 0 offen
	buffer_load_dword v125, v1, s[0:3], 0 offen offset:4
	buffer_load_dword v126, v1, s[0:3], 0 offen offset:8
	buffer_load_dword v120, v103, s[0:3], 0 offen
                                        ; kill: killed $vgpr103
                                        ; kill: killed $vgpr102
                                        ; kill: killed $vgpr101
	buffer_load_dword v127, v1, s[0:3], 0 offen offset:12
	buffer_load_dword v128, v100, s[0:3], 0 offen
	buffer_load_dword v129, v100, s[0:3], 0 offen offset:4
	buffer_load_dword v130, v100, s[0:3], 0 offen offset:8
	;; [unrolled: 1-line block ×3, first 2 shown]
	s_waitcnt vmcnt(62)
	global_store_dwordx4 v[34:35], v[2:5], off
	global_store_dwordx4 v[36:37], v[6:9], off
	;; [unrolled: 1-line block ×4, first 2 shown]
	s_waitcnt vmcnt(62)
	global_store_dwordx4 v[42:43], v[18:21], off
	global_store_dwordx4 v[44:45], v[22:25], off
	s_waitcnt vmcnt(59)
	global_store_dwordx4 v[46:47], v[26:29], off
	s_waitcnt vmcnt(59)
	;; [unrolled: 2-line block ×15, first 2 shown]
	global_store_dwordx4 v[74:75], v[128:131], off
	s_endpgm
	.section	.rodata,"a",@progbits
	.p2align	6, 0x0
	.amdhsa_kernel _ZN9rocsolver6v33100L18getri_kernel_smallILi21E19rocblas_complex_numIdEPS3_EEvT1_iilPiilS6_bb
		.amdhsa_group_segment_fixed_size 1704
		.amdhsa_private_segment_fixed_size 352
		.amdhsa_kernarg_size 60
		.amdhsa_user_sgpr_count 10
		.amdhsa_user_sgpr_private_segment_buffer 1
		.amdhsa_user_sgpr_dispatch_ptr 1
		.amdhsa_user_sgpr_queue_ptr 0
		.amdhsa_user_sgpr_kernarg_segment_ptr 1
		.amdhsa_user_sgpr_dispatch_id 0
		.amdhsa_user_sgpr_flat_scratch_init 1
		.amdhsa_user_sgpr_kernarg_preload_length 0
		.amdhsa_user_sgpr_kernarg_preload_offset 0
		.amdhsa_user_sgpr_private_segment_size 0
		.amdhsa_uses_dynamic_stack 0
		.amdhsa_system_sgpr_private_segment_wavefront_offset 1
		.amdhsa_system_sgpr_workgroup_id_x 1
		.amdhsa_system_sgpr_workgroup_id_y 0
		.amdhsa_system_sgpr_workgroup_id_z 0
		.amdhsa_system_sgpr_workgroup_info 0
		.amdhsa_system_vgpr_workitem_id 2
		.amdhsa_next_free_vgpr 232
		.amdhsa_next_free_sgpr 28
		.amdhsa_accum_offset 232
		.amdhsa_reserve_vcc 1
		.amdhsa_reserve_flat_scratch 1
		.amdhsa_float_round_mode_32 0
		.amdhsa_float_round_mode_16_64 0
		.amdhsa_float_denorm_mode_32 3
		.amdhsa_float_denorm_mode_16_64 3
		.amdhsa_dx10_clamp 1
		.amdhsa_ieee_mode 1
		.amdhsa_fp16_overflow 0
		.amdhsa_tg_split 0
		.amdhsa_exception_fp_ieee_invalid_op 0
		.amdhsa_exception_fp_denorm_src 0
		.amdhsa_exception_fp_ieee_div_zero 0
		.amdhsa_exception_fp_ieee_overflow 0
		.amdhsa_exception_fp_ieee_underflow 0
		.amdhsa_exception_fp_ieee_inexact 0
		.amdhsa_exception_int_div_zero 0
	.end_amdhsa_kernel
	.section	.text._ZN9rocsolver6v33100L18getri_kernel_smallILi21E19rocblas_complex_numIdEPS3_EEvT1_iilPiilS6_bb,"axG",@progbits,_ZN9rocsolver6v33100L18getri_kernel_smallILi21E19rocblas_complex_numIdEPS3_EEvT1_iilPiilS6_bb,comdat
.Lfunc_end20:
	.size	_ZN9rocsolver6v33100L18getri_kernel_smallILi21E19rocblas_complex_numIdEPS3_EEvT1_iilPiilS6_bb, .Lfunc_end20-_ZN9rocsolver6v33100L18getri_kernel_smallILi21E19rocblas_complex_numIdEPS3_EEvT1_iilPiilS6_bb
                                        ; -- End function
	.section	.AMDGPU.csdata,"",@progbits
; Kernel info:
; codeLenInByte = 36784
; NumSgprs: 34
; NumVgprs: 232
; NumAgprs: 0
; TotalNumVgprs: 232
; ScratchSize: 352
; MemoryBound: 0
; FloatMode: 240
; IeeeMode: 1
; LDSByteSize: 1704 bytes/workgroup (compile time only)
; SGPRBlocks: 4
; VGPRBlocks: 28
; NumSGPRsForWavesPerEU: 34
; NumVGPRsForWavesPerEU: 232
; AccumOffset: 232
; Occupancy: 2
; WaveLimiterHint : 1
; COMPUTE_PGM_RSRC2:SCRATCH_EN: 1
; COMPUTE_PGM_RSRC2:USER_SGPR: 10
; COMPUTE_PGM_RSRC2:TRAP_HANDLER: 0
; COMPUTE_PGM_RSRC2:TGID_X_EN: 1
; COMPUTE_PGM_RSRC2:TGID_Y_EN: 0
; COMPUTE_PGM_RSRC2:TGID_Z_EN: 0
; COMPUTE_PGM_RSRC2:TIDIG_COMP_CNT: 2
; COMPUTE_PGM_RSRC3_GFX90A:ACCUM_OFFSET: 57
; COMPUTE_PGM_RSRC3_GFX90A:TG_SPLIT: 0
	.section	.text._ZN9rocsolver6v33100L18getri_kernel_smallILi22E19rocblas_complex_numIdEPS3_EEvT1_iilPiilS6_bb,"axG",@progbits,_ZN9rocsolver6v33100L18getri_kernel_smallILi22E19rocblas_complex_numIdEPS3_EEvT1_iilPiilS6_bb,comdat
	.globl	_ZN9rocsolver6v33100L18getri_kernel_smallILi22E19rocblas_complex_numIdEPS3_EEvT1_iilPiilS6_bb ; -- Begin function _ZN9rocsolver6v33100L18getri_kernel_smallILi22E19rocblas_complex_numIdEPS3_EEvT1_iilPiilS6_bb
	.p2align	8
	.type	_ZN9rocsolver6v33100L18getri_kernel_smallILi22E19rocblas_complex_numIdEPS3_EEvT1_iilPiilS6_bb,@function
_ZN9rocsolver6v33100L18getri_kernel_smallILi22E19rocblas_complex_numIdEPS3_EEvT1_iilPiilS6_bb: ; @_ZN9rocsolver6v33100L18getri_kernel_smallILi22E19rocblas_complex_numIdEPS3_EEvT1_iilPiilS6_bb
; %bb.0:
	s_add_u32 flat_scratch_lo, s8, s11
	s_addc_u32 flat_scratch_hi, s9, 0
	s_add_u32 s0, s0, s11
	v_and_b32_e32 v130, 0x3ff, v0
	s_addc_u32 s1, s1, 0
	v_cmp_gt_u32_e32 vcc, 22, v130
	s_and_saveexec_b64 s[8:9], vcc
	s_cbranch_execz .LBB21_102
; %bb.1:
	s_load_dword s28, s[6:7], 0x38
	s_load_dwordx4 s[20:23], s[6:7], 0x10
	s_load_dwordx4 s[12:15], s[6:7], 0x28
                                        ; implicit-def: $sgpr24_sgpr25
	s_waitcnt lgkmcnt(0)
	s_bitcmp1_b32 s28, 8
	s_cselect_b64 s[26:27], -1, 0
	s_ashr_i32 s11, s10, 31
	s_bfe_u32 s8, s28, 0x10008
	s_cmp_eq_u32 s8, 0
	s_cbranch_scc1 .LBB21_3
; %bb.2:
	s_load_dword s8, s[6:7], 0x20
	s_mul_i32 s9, s10, s13
	s_mul_hi_u32 s13, s10, s12
	s_mul_i32 s16, s11, s12
	s_add_i32 s13, s13, s9
	s_add_i32 s13, s13, s16
	s_mul_i32 s12, s10, s12
	s_waitcnt lgkmcnt(0)
	s_ashr_i32 s9, s8, 31
	s_lshl_b64 s[12:13], s[12:13], 2
	s_add_u32 s12, s22, s12
	s_addc_u32 s13, s23, s13
	s_lshl_b64 s[8:9], s[8:9], 2
	s_add_u32 s24, s12, s8
	s_addc_u32 s25, s13, s9
.LBB21_3:
	s_load_dwordx4 s[16:19], s[6:7], 0x0
	s_mul_i32 s6, s10, s21
	s_mul_hi_u32 s7, s10, s20
	s_add_i32 s8, s7, s6
	s_mul_i32 s9, s11, s20
	s_add_i32 s9, s8, s9
	s_mul_i32 s8, s10, s20
	s_waitcnt lgkmcnt(0)
	s_ashr_i32 s7, s18, 31
	s_lshl_b64 s[8:9], s[8:9], 4
	s_mov_b32 s6, s18
	s_add_u32 s8, s16, s8
	s_addc_u32 s9, s17, s9
	s_lshl_b64 s[6:7], s[6:7], 4
	s_add_u32 s6, s8, s6
	s_addc_u32 s7, s9, s7
	v_lshlrev_b32_e32 v12, 4, v130
	global_load_dwordx4 v[2:5], v12, s[6:7]
	s_mov_b32 s8, s19
	s_ashr_i32 s9, s19, 31
	v_mov_b32_e32 v1, s7
	v_add_co_u32_e32 v30, vcc, s6, v12
	s_lshl_b64 s[8:9], s[8:9], 4
	v_addc_co_u32_e32 v31, vcc, 0, v1, vcc
	v_mov_b32_e32 v1, s9
	v_add_co_u32_e32 v32, vcc, s8, v30
	v_addc_co_u32_e32 v33, vcc, v31, v1, vcc
	global_load_dwordx4 v[6:9], v[32:33], off
	s_add_i32 s8, s19, s19
	v_add_u32_e32 v10, s8, v130
	v_add_u32_e32 v14, s19, v10
	;; [unrolled: 1-line block ×14, first 2 shown]
	v_ashrrev_i32_e32 v11, 31, v10
	v_add_u32_e32 v64, s19, v62
	v_lshlrev_b64 v[10:11], 4, v[10:11]
	v_add_u32_e32 v66, s19, v64
	v_mov_b32_e32 v1, s7
	v_ashrrev_i32_e32 v15, 31, v14
	v_add_co_u32_e32 v34, vcc, s6, v10
	v_add_u32_e32 v68, s19, v66
	v_addc_co_u32_e32 v35, vcc, v1, v11, vcc
	v_lshlrev_b64 v[10:11], 4, v[14:15]
	v_add_u32_e32 v70, s19, v68
	v_mov_b32_e32 v13, s7
	v_ashrrev_i32_e32 v17, 31, v16
	v_add_co_u32_e32 v36, vcc, s6, v10
	v_add_u32_e32 v72, s19, v70
	v_addc_co_u32_e32 v37, vcc, v13, v11, vcc
	v_lshlrev_b64 v[10:11], 4, v[16:17]
	v_add_u32_e32 v26, s19, v72
	v_mov_b32_e32 v20, s7
	v_add_co_u32_e32 v38, vcc, s6, v10
	v_ashrrev_i32_e32 v27, 31, v26
	v_addc_co_u32_e32 v39, vcc, v20, v11, vcc
	v_lshlrev_b64 v[26:27], 4, v[26:27]
	v_mov_b32_e32 v28, s7
	v_ashrrev_i32_e32 v19, 31, v18
	v_add_co_u32_e32 v40, vcc, s6, v26
	v_lshlrev_b64 v[10:11], 4, v[18:19]
	v_addc_co_u32_e32 v41, vcc, v28, v27, vcc
	v_mov_b32_e32 v43, s7
	v_add_co_u32_e32 v42, vcc, s6, v10
	v_ashrrev_i32_e32 v45, 31, v44
	global_load_dwordx4 v[14:17], v[34:35], off
	global_load_dwordx4 v[18:21], v[36:37], off
	;; [unrolled: 1-line block ×4, first 2 shown]
	v_addc_co_u32_e32 v43, vcc, v43, v11, vcc
	s_waitcnt vmcnt(5)
	buffer_store_dword v5, off, s[0:3], 0 offset:12
	buffer_store_dword v4, off, s[0:3], 0 offset:8
	;; [unrolled: 1-line block ×3, first 2 shown]
	buffer_store_dword v2, off, s[0:3], 0
	s_waitcnt vmcnt(8)
	buffer_store_dword v9, off, s[0:3], 0 offset:28
	buffer_store_dword v8, off, s[0:3], 0 offset:24
	;; [unrolled: 1-line block ×3, first 2 shown]
	v_lshlrev_b64 v[2:3], 4, v[44:45]
	v_add_co_u32_e32 v44, vcc, s6, v2
	v_ashrrev_i32_e32 v47, 31, v46
	v_addc_co_u32_e32 v45, vcc, v1, v3, vcc
	v_lshlrev_b64 v[46:47], 4, v[46:47]
	v_add_co_u32_e32 v46, vcc, s6, v46
	v_ashrrev_i32_e32 v49, 31, v48
	v_addc_co_u32_e32 v47, vcc, v1, v47, vcc
	;; [unrolled: 4-line block ×14, first 2 shown]
	v_lshlrev_b64 v[72:73], 4, v[72:73]
	v_add_co_u32_e32 v72, vcc, s6, v72
	global_load_dwordx4 v[2:5], v[42:43], off
	global_load_dwordx4 v[8:11], v[44:45], off
	;; [unrolled: 1-line block ×13, first 2 shown]
	v_addc_co_u32_e32 v73, vcc, v1, v73, vcc
	global_load_dwordx4 v[132:135], v[72:73], off
	global_load_dwordx4 v[114:117], v[66:67], off
	;; [unrolled: 1-line block ×3, first 2 shown]
	v_mov_b32_e32 v1, 0
	buffer_store_dword v6, off, s[0:3], 0 offset:16
	s_waitcnt vmcnt(27)
	buffer_store_dword v17, off, s[0:3], 0 offset:44
	buffer_store_dword v16, off, s[0:3], 0 offset:40
	buffer_store_dword v15, off, s[0:3], 0 offset:36
	buffer_store_dword v14, off, s[0:3], 0 offset:32
	s_waitcnt vmcnt(30)
	buffer_store_dword v21, off, s[0:3], 0 offset:60
	buffer_store_dword v20, off, s[0:3], 0 offset:56
	buffer_store_dword v19, off, s[0:3], 0 offset:52
	;; [unrolled: 5-line block ×17, first 2 shown]
	buffer_store_dword v118, off, s[0:3], 0 offset:288
	v_add_u32_e32 v127, 16, v1
	buffer_store_dword v125, off, s[0:3], 0 offset:316
	buffer_store_dword v124, off, s[0:3], 0 offset:312
	buffer_store_dword v123, off, s[0:3], 0 offset:308
	buffer_store_dword v122, off, s[0:3], 0 offset:304
	v_add_u32_e32 v129, 32, v1
	v_add_u32_e32 v128, 48, v1
	;; [unrolled: 1-line block ×20, first 2 shown]
	s_bitcmp0_b32 s28, 0
	s_mov_b64 s[8:9], -1
	buffer_store_dword v135, off, s[0:3], 0 offset:332
	buffer_store_dword v134, off, s[0:3], 0 offset:328
	;; [unrolled: 1-line block ×8, first 2 shown]
	s_cbranch_scc1 .LBB21_100
; %bb.4:
	v_cmp_eq_u32_e64 s[6:7], 0, v130
	s_and_saveexec_b64 s[8:9], s[6:7]
	s_cbranch_execz .LBB21_6
; %bb.5:
	v_mov_b32_e32 v2, 0
	ds_write_b32 v2, v2 offset:704
.LBB21_6:
	s_or_b64 exec, exec, s[8:9]
	v_mov_b32_e32 v2, 0
	v_lshl_add_u32 v13, v130, 4, v2
	s_waitcnt lgkmcnt(0)
	; wave barrier
	s_waitcnt lgkmcnt(0)
	buffer_load_dword v2, v13, s[0:3], 0 offen
	buffer_load_dword v3, v13, s[0:3], 0 offen offset:4
	buffer_load_dword v4, v13, s[0:3], 0 offen offset:8
	;; [unrolled: 1-line block ×3, first 2 shown]
	s_waitcnt vmcnt(2)
	v_cmp_eq_f64_e32 vcc, 0, v[2:3]
	s_waitcnt vmcnt(0)
	v_cmp_eq_f64_e64 s[8:9], 0, v[4:5]
	s_and_b64 s[8:9], vcc, s[8:9]
	s_and_saveexec_b64 s[12:13], s[8:9]
	s_cbranch_execz .LBB21_10
; %bb.7:
	v_mov_b32_e32 v2, 0
	ds_read_b32 v4, v2 offset:704
	v_add_u32_e32 v3, 1, v130
	s_waitcnt lgkmcnt(0)
	v_readfirstlane_b32 s8, v4
	s_cmp_eq_u32 s8, 0
	s_cselect_b64 s[16:17], -1, 0
	v_cmp_gt_i32_e32 vcc, s8, v3
	s_or_b64 s[16:17], s[16:17], vcc
	s_and_b64 exec, exec, s[16:17]
	s_cbranch_execz .LBB21_10
; %bb.8:
	s_mov_b64 s[16:17], 0
	v_mov_b32_e32 v4, s8
.LBB21_9:                               ; =>This Inner Loop Header: Depth=1
	ds_cmpst_rtn_b32 v4, v2, v4, v3 offset:704
	s_waitcnt lgkmcnt(0)
	v_cmp_ne_u32_e32 vcc, 0, v4
	v_cmp_le_i32_e64 s[8:9], v4, v3
	s_and_b64 s[8:9], vcc, s[8:9]
	s_and_b64 s[8:9], exec, s[8:9]
	s_or_b64 s[16:17], s[8:9], s[16:17]
	s_andn2_b64 exec, exec, s[16:17]
	s_cbranch_execnz .LBB21_9
.LBB21_10:
	s_or_b64 exec, exec, s[12:13]
	v_mov_b32_e32 v3, 0
	s_waitcnt lgkmcnt(0)
	; wave barrier
	ds_read_b32 v2, v3 offset:704
	s_and_saveexec_b64 s[8:9], s[6:7]
	s_cbranch_execz .LBB21_12
; %bb.11:
	s_lshl_b64 s[12:13], s[10:11], 2
	s_add_u32 s12, s14, s12
	s_addc_u32 s13, s15, s13
	s_waitcnt lgkmcnt(0)
	global_store_dword v3, v2, s[12:13]
.LBB21_12:
	s_or_b64 exec, exec, s[8:9]
	s_waitcnt lgkmcnt(0)
	v_cmp_ne_u32_e32 vcc, 0, v2
	s_mov_b64 s[8:9], 0
	s_cbranch_vccnz .LBB21_100
; %bb.13:
	buffer_load_dword v7, v13, s[0:3], 0 offen offset:4
	buffer_load_dword v6, v13, s[0:3], 0 offen
	buffer_load_dword v9, v13, s[0:3], 0 offen offset:12
	buffer_load_dword v8, v13, s[0:3], 0 offen offset:8
                                        ; implicit-def: $vgpr10_vgpr11
	s_waitcnt vmcnt(3)
	v_xor_b32_e32 v3, 0x80000000, v7
	s_waitcnt vmcnt(2)
	v_cmp_gt_f64_e32 vcc, 0, v[6:7]
	s_waitcnt vmcnt(1)
	v_xor_b32_e32 v4, 0x80000000, v9
	v_cndmask_b32_e32 v3, v7, v3, vcc
	s_waitcnt vmcnt(0)
	v_cmp_gt_f64_e32 vcc, 0, v[8:9]
	v_mov_b32_e32 v2, v6
	v_cndmask_b32_e32 v5, v9, v4, vcc
	v_mov_b32_e32 v4, v8
	v_cmp_ngt_f64_e32 vcc, v[2:3], v[4:5]
                                        ; implicit-def: $vgpr4_vgpr5
	s_and_saveexec_b64 s[8:9], vcc
	s_xor_b64 s[8:9], exec, s[8:9]
	s_cbranch_execz .LBB21_15
; %bb.14:
	v_div_scale_f64 v[2:3], s[12:13], v[8:9], v[8:9], v[6:7]
	v_rcp_f64_e32 v[4:5], v[2:3]
	v_div_scale_f64 v[10:11], vcc, v[6:7], v[8:9], v[6:7]
	v_fma_f64 v[14:15], -v[2:3], v[4:5], 1.0
	v_fmac_f64_e32 v[4:5], v[4:5], v[14:15]
	v_fma_f64 v[14:15], -v[2:3], v[4:5], 1.0
	v_fmac_f64_e32 v[4:5], v[4:5], v[14:15]
	v_mul_f64 v[14:15], v[10:11], v[4:5]
	v_fma_f64 v[2:3], -v[2:3], v[14:15], v[10:11]
	v_div_fmas_f64 v[2:3], v[2:3], v[4:5], v[14:15]
	v_div_fixup_f64 v[2:3], v[2:3], v[8:9], v[6:7]
	v_fmac_f64_e32 v[8:9], v[6:7], v[2:3]
	v_div_scale_f64 v[4:5], s[12:13], v[8:9], v[8:9], 1.0
	v_rcp_f64_e32 v[6:7], v[4:5]
	v_fma_f64 v[10:11], -v[4:5], v[6:7], 1.0
	v_fmac_f64_e32 v[6:7], v[6:7], v[10:11]
	v_fma_f64 v[10:11], -v[4:5], v[6:7], 1.0
	v_fmac_f64_e32 v[6:7], v[6:7], v[10:11]
	v_div_scale_f64 v[10:11], vcc, 1.0, v[8:9], 1.0
	v_mul_f64 v[14:15], v[10:11], v[6:7]
	v_fma_f64 v[4:5], -v[4:5], v[14:15], v[10:11]
	s_nop 1
	v_div_fmas_f64 v[4:5], v[4:5], v[6:7], v[14:15]
	v_div_fixup_f64 v[4:5], v[4:5], v[8:9], 1.0
	v_mul_f64 v[10:11], v[2:3], v[4:5]
	v_xor_b32_e32 v5, 0x80000000, v5
	v_xor_b32_e32 v3, 0x80000000, v11
	v_mov_b32_e32 v2, v10
                                        ; implicit-def: $vgpr6_vgpr7
                                        ; implicit-def: $vgpr8_vgpr9
.LBB21_15:
	s_andn2_saveexec_b64 s[8:9], s[8:9]
	s_cbranch_execz .LBB21_17
; %bb.16:
	v_div_scale_f64 v[2:3], s[12:13], v[6:7], v[6:7], v[8:9]
	v_rcp_f64_e32 v[4:5], v[2:3]
	v_div_scale_f64 v[10:11], vcc, v[8:9], v[6:7], v[8:9]
	v_fma_f64 v[14:15], -v[2:3], v[4:5], 1.0
	v_fmac_f64_e32 v[4:5], v[4:5], v[14:15]
	v_fma_f64 v[14:15], -v[2:3], v[4:5], 1.0
	v_fmac_f64_e32 v[4:5], v[4:5], v[14:15]
	v_mul_f64 v[14:15], v[10:11], v[4:5]
	v_fma_f64 v[2:3], -v[2:3], v[14:15], v[10:11]
	v_div_fmas_f64 v[2:3], v[2:3], v[4:5], v[14:15]
	v_div_fixup_f64 v[4:5], v[2:3], v[6:7], v[8:9]
	v_fmac_f64_e32 v[6:7], v[8:9], v[4:5]
	v_div_scale_f64 v[2:3], s[12:13], v[6:7], v[6:7], 1.0
	v_rcp_f64_e32 v[8:9], v[2:3]
	v_fma_f64 v[10:11], -v[2:3], v[8:9], 1.0
	v_fmac_f64_e32 v[8:9], v[8:9], v[10:11]
	v_fma_f64 v[10:11], -v[2:3], v[8:9], 1.0
	v_fmac_f64_e32 v[8:9], v[8:9], v[10:11]
	v_div_scale_f64 v[10:11], vcc, 1.0, v[6:7], 1.0
	v_mul_f64 v[14:15], v[10:11], v[8:9]
	v_fma_f64 v[2:3], -v[2:3], v[14:15], v[10:11]
	s_nop 1
	v_div_fmas_f64 v[2:3], v[2:3], v[8:9], v[14:15]
	v_div_fixup_f64 v[10:11], v[2:3], v[6:7], 1.0
	v_xor_b32_e32 v3, 0x80000000, v11
	v_mov_b32_e32 v2, v10
	v_mul_f64 v[4:5], v[4:5], -v[10:11]
.LBB21_17:
	s_or_b64 exec, exec, s[8:9]
	buffer_store_dword v11, v13, s[0:3], 0 offen offset:4
	buffer_store_dword v10, v13, s[0:3], 0 offen
	buffer_store_dword v5, v13, s[0:3], 0 offen offset:12
	buffer_store_dword v4, v13, s[0:3], 0 offen offset:8
	buffer_load_dword v11, v127, s[0:3], 0 offen offset:12
	s_nop 0
	buffer_load_dword v10, v127, s[0:3], 0 offen offset:8
	buffer_load_dword v9, v127, s[0:3], 0 offen offset:4
	buffer_load_dword v8, v127, s[0:3], 0 offen
	v_xor_b32_e32 v5, 0x80000000, v5
	v_add_u32_e32 v6, 0x160, v12
	ds_write_b128 v12, v[2:5]
	s_waitcnt vmcnt(0)
	ds_write_b128 v12, v[8:11] offset:352
	s_waitcnt lgkmcnt(0)
	; wave barrier
	s_waitcnt lgkmcnt(0)
	s_and_saveexec_b64 s[8:9], s[6:7]
	s_cbranch_execz .LBB21_19
; %bb.18:
	buffer_load_dword v14, v13, s[0:3], 0 offen offset:8
	buffer_load_dword v15, v13, s[0:3], 0 offen offset:12
	buffer_load_dword v16, v13, s[0:3], 0 offen
	buffer_load_dword v17, v13, s[0:3], 0 offen offset:4
	ds_read_b128 v[2:5], v6
	v_mov_b32_e32 v7, 0
	ds_read_b128 v[8:11], v7 offset:16
	s_waitcnt vmcnt(2) lgkmcnt(1)
	v_mul_f64 v[18:19], v[4:5], v[14:15]
	v_mul_f64 v[14:15], v[2:3], v[14:15]
	s_waitcnt vmcnt(0)
	v_fmac_f64_e32 v[14:15], v[4:5], v[16:17]
	v_fma_f64 v[2:3], v[2:3], v[16:17], -v[18:19]
	v_add_f64 v[4:5], v[14:15], 0
	v_add_f64 v[2:3], v[2:3], 0
	s_waitcnt lgkmcnt(0)
	v_mul_f64 v[14:15], v[4:5], v[10:11]
	v_mul_f64 v[10:11], v[2:3], v[10:11]
	v_fma_f64 v[2:3], v[2:3], v[8:9], -v[14:15]
	v_fmac_f64_e32 v[10:11], v[4:5], v[8:9]
	buffer_store_dword v2, off, s[0:3], 0 offset:16
	buffer_store_dword v3, off, s[0:3], 0 offset:20
	buffer_store_dword v10, off, s[0:3], 0 offset:24
	buffer_store_dword v11, off, s[0:3], 0 offset:28
.LBB21_19:
	s_or_b64 exec, exec, s[8:9]
	s_waitcnt lgkmcnt(0)
	; wave barrier
	buffer_load_dword v2, v129, s[0:3], 0 offen
	buffer_load_dword v3, v129, s[0:3], 0 offen offset:4
	buffer_load_dword v4, v129, s[0:3], 0 offen offset:8
	;; [unrolled: 1-line block ×3, first 2 shown]
	v_cmp_gt_u32_e32 vcc, 2, v130
	s_waitcnt vmcnt(0)
	ds_write_b128 v6, v[2:5]
	s_waitcnt lgkmcnt(0)
	; wave barrier
	s_waitcnt lgkmcnt(0)
	s_and_saveexec_b64 s[8:9], vcc
	s_cbranch_execz .LBB21_23
; %bb.20:
	buffer_load_dword v8, v13, s[0:3], 0 offen offset:8
	buffer_load_dword v9, v13, s[0:3], 0 offen offset:12
	buffer_load_dword v10, v13, s[0:3], 0 offen
	buffer_load_dword v11, v13, s[0:3], 0 offen offset:4
	ds_read_b128 v[2:5], v6
	s_waitcnt vmcnt(2) lgkmcnt(0)
	v_mul_f64 v[14:15], v[4:5], v[8:9]
	v_mul_f64 v[8:9], v[2:3], v[8:9]
	s_waitcnt vmcnt(0)
	v_fma_f64 v[2:3], v[2:3], v[10:11], -v[14:15]
	v_fmac_f64_e32 v[8:9], v[4:5], v[10:11]
	v_add_f64 v[4:5], v[2:3], 0
	v_add_f64 v[2:3], v[8:9], 0
	s_and_saveexec_b64 s[12:13], s[6:7]
	s_cbranch_execz .LBB21_22
; %bb.21:
	buffer_load_dword v14, off, s[0:3], 0 offset:24
	buffer_load_dword v15, off, s[0:3], 0 offset:28
	;; [unrolled: 1-line block ×4, first 2 shown]
	v_mov_b32_e32 v7, 0
	ds_read_b128 v[8:11], v7 offset:368
	s_waitcnt vmcnt(2) lgkmcnt(0)
	v_mul_f64 v[18:19], v[8:9], v[14:15]
	v_mul_f64 v[14:15], v[10:11], v[14:15]
	s_waitcnt vmcnt(0)
	v_fmac_f64_e32 v[18:19], v[10:11], v[16:17]
	v_fma_f64 v[8:9], v[8:9], v[16:17], -v[14:15]
	v_add_f64 v[2:3], v[2:3], v[18:19]
	v_add_f64 v[4:5], v[4:5], v[8:9]
.LBB21_22:
	s_or_b64 exec, exec, s[12:13]
	v_mov_b32_e32 v7, 0
	ds_read_b128 v[8:11], v7 offset:32
	s_waitcnt lgkmcnt(0)
	v_mul_f64 v[14:15], v[2:3], v[10:11]
	v_mul_f64 v[10:11], v[4:5], v[10:11]
	v_fma_f64 v[4:5], v[4:5], v[8:9], -v[14:15]
	v_fmac_f64_e32 v[10:11], v[2:3], v[8:9]
	buffer_store_dword v5, off, s[0:3], 0 offset:36
	buffer_store_dword v4, off, s[0:3], 0 offset:32
	;; [unrolled: 1-line block ×4, first 2 shown]
.LBB21_23:
	s_or_b64 exec, exec, s[8:9]
	s_waitcnt lgkmcnt(0)
	; wave barrier
	buffer_load_dword v2, v128, s[0:3], 0 offen
	buffer_load_dword v3, v128, s[0:3], 0 offen offset:4
	buffer_load_dword v4, v128, s[0:3], 0 offen offset:8
	;; [unrolled: 1-line block ×3, first 2 shown]
	v_cmp_gt_u32_e32 vcc, 3, v130
	v_add_u32_e32 v7, -1, v130
	s_waitcnt vmcnt(0)
	ds_write_b128 v6, v[2:5]
	s_waitcnt lgkmcnt(0)
	; wave barrier
	s_waitcnt lgkmcnt(0)
	s_and_saveexec_b64 s[6:7], vcc
	s_cbranch_execz .LBB21_27
; %bb.24:
	v_pk_mov_b32 v[2:3], 0, 0
	v_add_u32_e32 v8, -1, v130
	v_add_u32_e32 v9, 0x160, v12
	v_add_u32_e32 v10, 0, v12
	s_mov_b64 s[8:9], 0
	v_pk_mov_b32 v[4:5], v[2:3], v[2:3] op_sel:[0,1]
.LBB21_25:                              ; =>This Inner Loop Header: Depth=1
	buffer_load_dword v18, v10, s[0:3], 0 offen offset:8
	buffer_load_dword v19, v10, s[0:3], 0 offen offset:12
	buffer_load_dword v20, v10, s[0:3], 0 offen
	buffer_load_dword v21, v10, s[0:3], 0 offen offset:4
	ds_read_b128 v[14:17], v9
	v_add_u32_e32 v8, 1, v8
	v_cmp_lt_u32_e32 vcc, 1, v8
	v_add_u32_e32 v9, 16, v9
	v_add_u32_e32 v10, 16, v10
	s_or_b64 s[8:9], vcc, s[8:9]
	s_waitcnt vmcnt(2) lgkmcnt(0)
	v_mul_f64 v[22:23], v[16:17], v[18:19]
	v_mul_f64 v[18:19], v[14:15], v[18:19]
	s_waitcnt vmcnt(0)
	v_fma_f64 v[14:15], v[14:15], v[20:21], -v[22:23]
	v_fmac_f64_e32 v[18:19], v[16:17], v[20:21]
	v_add_f64 v[4:5], v[4:5], v[14:15]
	v_add_f64 v[2:3], v[2:3], v[18:19]
	s_andn2_b64 exec, exec, s[8:9]
	s_cbranch_execnz .LBB21_25
; %bb.26:
	s_or_b64 exec, exec, s[8:9]
	v_mov_b32_e32 v8, 0
	ds_read_b128 v[8:11], v8 offset:48
	s_waitcnt lgkmcnt(0)
	v_mul_f64 v[14:15], v[2:3], v[10:11]
	v_mul_f64 v[10:11], v[4:5], v[10:11]
	v_fma_f64 v[4:5], v[4:5], v[8:9], -v[14:15]
	v_fmac_f64_e32 v[10:11], v[2:3], v[8:9]
	buffer_store_dword v5, off, s[0:3], 0 offset:52
	buffer_store_dword v4, off, s[0:3], 0 offset:48
	buffer_store_dword v11, off, s[0:3], 0 offset:60
	buffer_store_dword v10, off, s[0:3], 0 offset:56
.LBB21_27:
	s_or_b64 exec, exec, s[6:7]
	s_waitcnt lgkmcnt(0)
	; wave barrier
	buffer_load_dword v2, v124, s[0:3], 0 offen
	buffer_load_dword v3, v124, s[0:3], 0 offen offset:4
	buffer_load_dword v4, v124, s[0:3], 0 offen offset:8
	buffer_load_dword v5, v124, s[0:3], 0 offen offset:12
	v_cmp_gt_u32_e32 vcc, 4, v130
	s_waitcnt vmcnt(0)
	ds_write_b128 v6, v[2:5]
	s_waitcnt lgkmcnt(0)
	; wave barrier
	s_waitcnt lgkmcnt(0)
	s_and_saveexec_b64 s[6:7], vcc
	s_cbranch_execz .LBB21_31
; %bb.28:
	v_pk_mov_b32 v[2:3], 0, 0
	v_add_u32_e32 v8, -1, v130
	v_add_u32_e32 v9, 0x160, v12
	v_add_u32_e32 v10, 0, v12
	s_mov_b64 s[8:9], 0
	v_pk_mov_b32 v[4:5], v[2:3], v[2:3] op_sel:[0,1]
.LBB21_29:                              ; =>This Inner Loop Header: Depth=1
	buffer_load_dword v18, v10, s[0:3], 0 offen offset:8
	buffer_load_dword v19, v10, s[0:3], 0 offen offset:12
	buffer_load_dword v20, v10, s[0:3], 0 offen
	buffer_load_dword v21, v10, s[0:3], 0 offen offset:4
	ds_read_b128 v[14:17], v9
	v_add_u32_e32 v8, 1, v8
	v_cmp_lt_u32_e32 vcc, 2, v8
	v_add_u32_e32 v9, 16, v9
	v_add_u32_e32 v10, 16, v10
	s_or_b64 s[8:9], vcc, s[8:9]
	s_waitcnt vmcnt(2) lgkmcnt(0)
	v_mul_f64 v[22:23], v[16:17], v[18:19]
	v_mul_f64 v[18:19], v[14:15], v[18:19]
	s_waitcnt vmcnt(0)
	v_fma_f64 v[14:15], v[14:15], v[20:21], -v[22:23]
	v_fmac_f64_e32 v[18:19], v[16:17], v[20:21]
	v_add_f64 v[4:5], v[4:5], v[14:15]
	v_add_f64 v[2:3], v[2:3], v[18:19]
	s_andn2_b64 exec, exec, s[8:9]
	s_cbranch_execnz .LBB21_29
; %bb.30:
	s_or_b64 exec, exec, s[8:9]
	v_mov_b32_e32 v8, 0
	ds_read_b128 v[8:11], v8 offset:64
	s_waitcnt lgkmcnt(0)
	v_mul_f64 v[14:15], v[2:3], v[10:11]
	v_mul_f64 v[10:11], v[4:5], v[10:11]
	v_fma_f64 v[4:5], v[4:5], v[8:9], -v[14:15]
	v_fmac_f64_e32 v[10:11], v[2:3], v[8:9]
	buffer_store_dword v5, off, s[0:3], 0 offset:68
	buffer_store_dword v4, off, s[0:3], 0 offset:64
	buffer_store_dword v11, off, s[0:3], 0 offset:76
	buffer_store_dword v10, off, s[0:3], 0 offset:72
.LBB21_31:
	s_or_b64 exec, exec, s[6:7]
	s_waitcnt lgkmcnt(0)
	; wave barrier
	buffer_load_dword v2, v125, s[0:3], 0 offen
	buffer_load_dword v3, v125, s[0:3], 0 offen offset:4
	buffer_load_dword v4, v125, s[0:3], 0 offen offset:8
	buffer_load_dword v5, v125, s[0:3], 0 offen offset:12
	v_cmp_gt_u32_e32 vcc, 5, v130
	;; [unrolled: 57-line block ×17, first 2 shown]
	s_waitcnt vmcnt(0)
	ds_write_b128 v6, v[2:5]
	s_waitcnt lgkmcnt(0)
	; wave barrier
	s_waitcnt lgkmcnt(0)
	s_and_saveexec_b64 s[6:7], vcc
	s_cbranch_execz .LBB21_95
; %bb.92:
	v_pk_mov_b32 v[2:3], 0, 0
	v_add_u32_e32 v8, -1, v130
	v_add_u32_e32 v9, 0x160, v12
	v_add_u32_e32 v10, 0, v12
	s_mov_b64 s[8:9], 0
	v_pk_mov_b32 v[4:5], v[2:3], v[2:3] op_sel:[0,1]
.LBB21_93:                              ; =>This Inner Loop Header: Depth=1
	buffer_load_dword v18, v10, s[0:3], 0 offen offset:8
	buffer_load_dword v19, v10, s[0:3], 0 offen offset:12
	buffer_load_dword v20, v10, s[0:3], 0 offen
	buffer_load_dword v21, v10, s[0:3], 0 offen offset:4
	ds_read_b128 v[14:17], v9
	v_add_u32_e32 v8, 1, v8
	v_cmp_lt_u32_e32 vcc, 18, v8
	v_add_u32_e32 v9, 16, v9
	v_add_u32_e32 v10, 16, v10
	s_or_b64 s[8:9], vcc, s[8:9]
	s_waitcnt vmcnt(2) lgkmcnt(0)
	v_mul_f64 v[22:23], v[16:17], v[18:19]
	v_mul_f64 v[18:19], v[14:15], v[18:19]
	s_waitcnt vmcnt(0)
	v_fma_f64 v[14:15], v[14:15], v[20:21], -v[22:23]
	v_fmac_f64_e32 v[18:19], v[16:17], v[20:21]
	v_add_f64 v[4:5], v[4:5], v[14:15]
	v_add_f64 v[2:3], v[2:3], v[18:19]
	s_andn2_b64 exec, exec, s[8:9]
	s_cbranch_execnz .LBB21_93
; %bb.94:
	s_or_b64 exec, exec, s[8:9]
	v_mov_b32_e32 v8, 0
	ds_read_b128 v[8:11], v8 offset:320
	s_waitcnt lgkmcnt(0)
	v_mul_f64 v[14:15], v[2:3], v[10:11]
	v_mul_f64 v[10:11], v[4:5], v[10:11]
	v_fma_f64 v[4:5], v[4:5], v[8:9], -v[14:15]
	v_fmac_f64_e32 v[10:11], v[2:3], v[8:9]
	buffer_store_dword v5, off, s[0:3], 0 offset:324
	buffer_store_dword v4, off, s[0:3], 0 offset:320
	;; [unrolled: 1-line block ×4, first 2 shown]
.LBB21_95:
	s_or_b64 exec, exec, s[6:7]
	s_waitcnt lgkmcnt(0)
	; wave barrier
	buffer_load_dword v2, v1, s[0:3], 0 offen
	buffer_load_dword v3, v1, s[0:3], 0 offen offset:4
	buffer_load_dword v4, v1, s[0:3], 0 offen offset:8
	;; [unrolled: 1-line block ×3, first 2 shown]
	v_cmp_ne_u32_e32 vcc, 21, v130
	s_waitcnt vmcnt(0)
	ds_write_b128 v6, v[2:5]
	s_waitcnt lgkmcnt(0)
	; wave barrier
	s_waitcnt lgkmcnt(0)
	s_and_saveexec_b64 s[6:7], vcc
	s_cbranch_execz .LBB21_99
; %bb.96:
	v_pk_mov_b32 v[2:3], 0, 0
	v_add_u32_e32 v6, 0x160, v12
	v_add_u32_e32 v8, 0, v12
	s_mov_b64 s[8:9], 0
	v_pk_mov_b32 v[4:5], v[2:3], v[2:3] op_sel:[0,1]
.LBB21_97:                              ; =>This Inner Loop Header: Depth=1
	buffer_load_dword v14, v8, s[0:3], 0 offen offset:8
	buffer_load_dword v15, v8, s[0:3], 0 offen offset:12
	buffer_load_dword v16, v8, s[0:3], 0 offen
	buffer_load_dword v17, v8, s[0:3], 0 offen offset:4
	ds_read_b128 v[10:13], v6
	v_add_u32_e32 v7, 1, v7
	v_cmp_lt_u32_e32 vcc, 19, v7
	v_add_u32_e32 v6, 16, v6
	v_add_u32_e32 v8, 16, v8
	s_or_b64 s[8:9], vcc, s[8:9]
	s_waitcnt vmcnt(2) lgkmcnt(0)
	v_mul_f64 v[18:19], v[12:13], v[14:15]
	v_mul_f64 v[14:15], v[10:11], v[14:15]
	s_waitcnt vmcnt(0)
	v_fma_f64 v[10:11], v[10:11], v[16:17], -v[18:19]
	v_fmac_f64_e32 v[14:15], v[12:13], v[16:17]
	v_add_f64 v[4:5], v[4:5], v[10:11]
	v_add_f64 v[2:3], v[2:3], v[14:15]
	s_andn2_b64 exec, exec, s[8:9]
	s_cbranch_execnz .LBB21_97
; %bb.98:
	s_or_b64 exec, exec, s[8:9]
	v_mov_b32_e32 v6, 0
	ds_read_b128 v[6:9], v6 offset:336
	s_waitcnt lgkmcnt(0)
	v_mul_f64 v[10:11], v[2:3], v[8:9]
	v_mul_f64 v[8:9], v[4:5], v[8:9]
	v_fma_f64 v[4:5], v[4:5], v[6:7], -v[10:11]
	v_fmac_f64_e32 v[8:9], v[2:3], v[6:7]
	buffer_store_dword v5, off, s[0:3], 0 offset:340
	buffer_store_dword v4, off, s[0:3], 0 offset:336
	;; [unrolled: 1-line block ×4, first 2 shown]
.LBB21_99:
	s_or_b64 exec, exec, s[6:7]
	s_mov_b64 s[8:9], -1
	s_waitcnt lgkmcnt(0)
	; wave barrier
.LBB21_100:
	s_and_b64 vcc, exec, s[8:9]
	s_cbranch_vccz .LBB21_102
; %bb.101:
	s_lshl_b64 s[6:7], s[10:11], 2
	s_add_u32 s6, s14, s6
	s_addc_u32 s7, s15, s7
	v_mov_b32_e32 v2, 0
	global_load_dword v2, v2, s[6:7]
	s_waitcnt vmcnt(0)
	v_cmp_ne_u32_e32 vcc, 0, v2
	s_cbranch_vccz .LBB21_103
.LBB21_102:
	s_endpgm
.LBB21_103:
	v_mov_b32_e32 v2, 0x160
	v_lshl_add_u32 v102, v130, 4, v2
	v_cmp_eq_u32_e32 vcc, 21, v130
	s_and_saveexec_b64 s[6:7], vcc
	s_cbranch_execz .LBB21_105
; %bb.104:
	buffer_load_dword v2, v110, s[0:3], 0 offen
	buffer_load_dword v3, v110, s[0:3], 0 offen offset:4
	buffer_load_dword v4, v110, s[0:3], 0 offen offset:8
	buffer_load_dword v5, v110, s[0:3], 0 offen offset:12
	v_mov_b32_e32 v6, 0
	buffer_store_dword v6, off, s[0:3], 0 offset:320
	buffer_store_dword v6, off, s[0:3], 0 offset:324
	;; [unrolled: 1-line block ×4, first 2 shown]
	s_waitcnt vmcnt(4)
	ds_write_b128 v102, v[2:5]
.LBB21_105:
	s_or_b64 exec, exec, s[6:7]
	s_waitcnt lgkmcnt(0)
	; wave barrier
	s_waitcnt lgkmcnt(0)
	buffer_load_dword v8, off, s[0:3], 0 offset:344
	buffer_load_dword v9, off, s[0:3], 0 offset:348
	;; [unrolled: 1-line block ×8, first 2 shown]
	v_mov_b32_e32 v2, 0
	ds_read_b128 v[4:7], v2 offset:688
	v_cmp_lt_u32_e32 vcc, 19, v130
	s_waitcnt vmcnt(6) lgkmcnt(0)
	v_mul_f64 v[16:17], v[4:5], v[8:9]
	v_mul_f64 v[8:9], v[6:7], v[8:9]
	s_waitcnt vmcnt(4)
	v_fma_f64 v[4:5], v[4:5], v[10:11], -v[8:9]
	v_fmac_f64_e32 v[16:17], v[6:7], v[10:11]
	v_add_f64 v[4:5], v[4:5], 0
	v_add_f64 v[6:7], v[16:17], 0
	s_waitcnt vmcnt(2)
	v_add_f64 v[4:5], v[12:13], -v[4:5]
	s_waitcnt vmcnt(0)
	v_add_f64 v[6:7], v[14:15], -v[6:7]
	buffer_store_dword v4, off, s[0:3], 0 offset:320
	buffer_store_dword v5, off, s[0:3], 0 offset:324
	;; [unrolled: 1-line block ×4, first 2 shown]
	s_and_saveexec_b64 s[6:7], vcc
	s_cbranch_execz .LBB21_107
; %bb.106:
	buffer_load_dword v4, v111, s[0:3], 0 offen
	buffer_load_dword v5, v111, s[0:3], 0 offen offset:4
	buffer_load_dword v6, v111, s[0:3], 0 offen offset:8
	;; [unrolled: 1-line block ×3, first 2 shown]
	s_nop 0
	buffer_store_dword v2, off, s[0:3], 0 offset:304
	buffer_store_dword v2, off, s[0:3], 0 offset:308
	;; [unrolled: 1-line block ×4, first 2 shown]
	s_waitcnt vmcnt(4)
	ds_write_b128 v102, v[4:7]
.LBB21_107:
	s_or_b64 exec, exec, s[6:7]
	s_waitcnt lgkmcnt(0)
	; wave barrier
	s_waitcnt lgkmcnt(0)
	buffer_load_dword v12, off, s[0:3], 0 offset:328
	buffer_load_dword v13, off, s[0:3], 0 offset:332
	;; [unrolled: 1-line block ×12, first 2 shown]
	ds_read_b128 v[4:7], v2 offset:672
	ds_read_b128 v[8:11], v2 offset:688
	v_cmp_lt_u32_e32 vcc, 18, v130
	s_waitcnt vmcnt(10) lgkmcnt(1)
	v_mul_f64 v[2:3], v[4:5], v[12:13]
	v_mul_f64 v[12:13], v[6:7], v[12:13]
	s_waitcnt vmcnt(8) lgkmcnt(0)
	v_mul_f64 v[24:25], v[8:9], v[14:15]
	v_mul_f64 v[14:15], v[10:11], v[14:15]
	s_waitcnt vmcnt(6)
	v_fma_f64 v[4:5], v[4:5], v[16:17], -v[12:13]
	v_fmac_f64_e32 v[2:3], v[6:7], v[16:17]
	s_waitcnt vmcnt(4)
	v_fma_f64 v[6:7], v[8:9], v[18:19], -v[14:15]
	v_add_f64 v[4:5], v[4:5], 0
	v_fmac_f64_e32 v[24:25], v[10:11], v[18:19]
	v_add_f64 v[2:3], v[2:3], 0
	v_add_f64 v[4:5], v[4:5], v[6:7]
	;; [unrolled: 1-line block ×3, first 2 shown]
	s_waitcnt vmcnt(2)
	v_add_f64 v[4:5], v[20:21], -v[4:5]
	s_waitcnt vmcnt(0)
	v_add_f64 v[2:3], v[22:23], -v[2:3]
	buffer_store_dword v4, off, s[0:3], 0 offset:304
	buffer_store_dword v5, off, s[0:3], 0 offset:308
	;; [unrolled: 1-line block ×4, first 2 shown]
	s_and_saveexec_b64 s[6:7], vcc
	s_cbranch_execz .LBB21_109
; %bb.108:
	buffer_load_dword v2, v114, s[0:3], 0 offen
	buffer_load_dword v3, v114, s[0:3], 0 offen offset:4
	buffer_load_dword v4, v114, s[0:3], 0 offen offset:8
	;; [unrolled: 1-line block ×3, first 2 shown]
	v_mov_b32_e32 v6, 0
	buffer_store_dword v6, off, s[0:3], 0 offset:288
	buffer_store_dword v6, off, s[0:3], 0 offset:292
	;; [unrolled: 1-line block ×4, first 2 shown]
	s_waitcnt vmcnt(4)
	ds_write_b128 v102, v[2:5]
.LBB21_109:
	s_or_b64 exec, exec, s[6:7]
	s_waitcnt lgkmcnt(0)
	; wave barrier
	s_waitcnt lgkmcnt(0)
	buffer_load_dword v16, off, s[0:3], 0 offset:312
	buffer_load_dword v17, off, s[0:3], 0 offset:316
	;; [unrolled: 1-line block ×16, first 2 shown]
	v_mov_b32_e32 v2, 0
	ds_read_b128 v[4:7], v2 offset:656
	ds_read_b128 v[8:11], v2 offset:672
	;; [unrolled: 1-line block ×3, first 2 shown]
	v_cmp_lt_u32_e32 vcc, 17, v130
	s_waitcnt vmcnt(14) lgkmcnt(2)
	v_mul_f64 v[76:77], v[4:5], v[16:17]
	v_mul_f64 v[16:17], v[6:7], v[16:17]
	s_waitcnt vmcnt(12) lgkmcnt(1)
	v_mul_f64 v[78:79], v[8:9], v[18:19]
	v_mul_f64 v[18:19], v[10:11], v[18:19]
	;; [unrolled: 3-line block ×3, first 2 shown]
	s_waitcnt vmcnt(8)
	v_fma_f64 v[4:5], v[4:5], v[22:23], -v[16:17]
	v_fmac_f64_e32 v[76:77], v[6:7], v[22:23]
	s_waitcnt vmcnt(6)
	v_fma_f64 v[6:7], v[8:9], v[24:25], -v[18:19]
	v_add_f64 v[4:5], v[4:5], 0
	v_fmac_f64_e32 v[78:79], v[10:11], v[24:25]
	s_waitcnt vmcnt(4)
	v_fma_f64 v[8:9], v[12:13], v[26:27], -v[20:21]
	v_add_f64 v[10:11], v[76:77], 0
	v_add_f64 v[4:5], v[4:5], v[6:7]
	v_fmac_f64_e32 v[80:81], v[14:15], v[26:27]
	v_add_f64 v[10:11], v[10:11], v[78:79]
	v_add_f64 v[4:5], v[4:5], v[8:9]
	;; [unrolled: 1-line block ×3, first 2 shown]
	s_waitcnt vmcnt(2)
	v_add_f64 v[4:5], v[28:29], -v[4:5]
	s_waitcnt vmcnt(0)
	v_add_f64 v[6:7], v[74:75], -v[6:7]
	buffer_store_dword v4, off, s[0:3], 0 offset:288
	buffer_store_dword v5, off, s[0:3], 0 offset:292
	;; [unrolled: 1-line block ×4, first 2 shown]
	s_and_saveexec_b64 s[6:7], vcc
	s_cbranch_execz .LBB21_111
; %bb.110:
	buffer_load_dword v4, v115, s[0:3], 0 offen
	buffer_load_dword v5, v115, s[0:3], 0 offen offset:4
	buffer_load_dword v6, v115, s[0:3], 0 offen offset:8
	;; [unrolled: 1-line block ×3, first 2 shown]
	s_nop 0
	buffer_store_dword v2, off, s[0:3], 0 offset:272
	buffer_store_dword v2, off, s[0:3], 0 offset:276
	;; [unrolled: 1-line block ×4, first 2 shown]
	s_waitcnt vmcnt(4)
	ds_write_b128 v102, v[4:7]
.LBB21_111:
	s_or_b64 exec, exec, s[6:7]
	s_waitcnt lgkmcnt(0)
	; wave barrier
	s_waitcnt lgkmcnt(0)
	buffer_load_dword v20, off, s[0:3], 0 offset:296
	buffer_load_dword v21, off, s[0:3], 0 offset:300
	;; [unrolled: 1-line block ×20, first 2 shown]
	ds_read_b128 v[4:7], v2 offset:640
	ds_read_b128 v[8:11], v2 offset:656
	;; [unrolled: 1-line block ×4, first 2 shown]
	v_cmp_lt_u32_e32 vcc, 16, v130
	s_waitcnt vmcnt(18) lgkmcnt(3)
	v_mul_f64 v[2:3], v[4:5], v[20:21]
	v_mul_f64 v[20:21], v[6:7], v[20:21]
	s_waitcnt vmcnt(16) lgkmcnt(2)
	v_mul_f64 v[84:85], v[8:9], v[22:23]
	v_mul_f64 v[22:23], v[10:11], v[22:23]
	;; [unrolled: 3-line block ×4, first 2 shown]
	s_waitcnt vmcnt(10)
	v_fma_f64 v[4:5], v[4:5], v[28:29], -v[20:21]
	v_fmac_f64_e32 v[2:3], v[6:7], v[28:29]
	s_waitcnt vmcnt(8)
	v_fma_f64 v[6:7], v[8:9], v[74:75], -v[22:23]
	v_add_f64 v[4:5], v[4:5], 0
	v_fmac_f64_e32 v[84:85], v[10:11], v[74:75]
	s_waitcnt vmcnt(6)
	v_fma_f64 v[8:9], v[12:13], v[76:77], -v[24:25]
	v_add_f64 v[2:3], v[2:3], 0
	v_add_f64 v[4:5], v[4:5], v[6:7]
	v_fmac_f64_e32 v[86:87], v[14:15], v[76:77]
	s_waitcnt vmcnt(4)
	v_fma_f64 v[10:11], v[16:17], v[78:79], -v[26:27]
	v_add_f64 v[2:3], v[2:3], v[84:85]
	v_add_f64 v[4:5], v[4:5], v[8:9]
	v_fmac_f64_e32 v[88:89], v[18:19], v[78:79]
	v_add_f64 v[2:3], v[2:3], v[86:87]
	v_add_f64 v[4:5], v[4:5], v[10:11]
	;; [unrolled: 1-line block ×3, first 2 shown]
	s_waitcnt vmcnt(2)
	v_add_f64 v[4:5], v[80:81], -v[4:5]
	s_waitcnt vmcnt(0)
	v_add_f64 v[2:3], v[82:83], -v[2:3]
	buffer_store_dword v4, off, s[0:3], 0 offset:272
	buffer_store_dword v5, off, s[0:3], 0 offset:276
	;; [unrolled: 1-line block ×4, first 2 shown]
	s_and_saveexec_b64 s[6:7], vcc
	s_cbranch_execz .LBB21_113
; %bb.112:
	buffer_load_dword v2, v113, s[0:3], 0 offen
	buffer_load_dword v3, v113, s[0:3], 0 offen offset:4
	buffer_load_dword v4, v113, s[0:3], 0 offen offset:8
	;; [unrolled: 1-line block ×3, first 2 shown]
	v_mov_b32_e32 v6, 0
	buffer_store_dword v6, off, s[0:3], 0 offset:256
	buffer_store_dword v6, off, s[0:3], 0 offset:260
	;; [unrolled: 1-line block ×4, first 2 shown]
	s_waitcnt vmcnt(4)
	ds_write_b128 v102, v[2:5]
.LBB21_113:
	s_or_b64 exec, exec, s[6:7]
	s_waitcnt lgkmcnt(0)
	; wave barrier
	s_waitcnt lgkmcnt(0)
	buffer_load_dword v24, off, s[0:3], 0 offset:280
	buffer_load_dword v25, off, s[0:3], 0 offset:284
	;; [unrolled: 1-line block ×24, first 2 shown]
	v_mov_b32_e32 v2, 0
	ds_read_b128 v[4:7], v2 offset:624
	ds_read_b128 v[8:11], v2 offset:640
	ds_read_b128 v[12:15], v2 offset:656
	ds_read_b128 v[16:19], v2 offset:672
	ds_read_b128 v[20:23], v2 offset:688
	v_cmp_lt_u32_e32 vcc, 15, v130
	s_waitcnt vmcnt(22) lgkmcnt(4)
	v_mul_f64 v[92:93], v[4:5], v[24:25]
	v_mul_f64 v[24:25], v[6:7], v[24:25]
	s_waitcnt vmcnt(20) lgkmcnt(3)
	v_mul_f64 v[94:95], v[8:9], v[26:27]
	v_mul_f64 v[26:27], v[10:11], v[26:27]
	;; [unrolled: 3-line block ×4, first 2 shown]
	s_waitcnt vmcnt(13) lgkmcnt(0)
	v_mul_f64 v[100:101], v[20:21], v[74:75]
	s_waitcnt vmcnt(11)
	v_fma_f64 v[4:5], v[4:5], v[80:81], -v[24:25]
	v_fmac_f64_e32 v[92:93], v[6:7], v[80:81]
	s_waitcnt vmcnt(9)
	v_fma_f64 v[6:7], v[8:9], v[82:83], -v[26:27]
	v_add_f64 v[4:5], v[4:5], 0
	v_fmac_f64_e32 v[94:95], v[10:11], v[82:83]
	s_waitcnt vmcnt(7)
	v_fmac_f64_e32 v[96:97], v[14:15], v[84:85]
	v_fma_f64 v[8:9], v[12:13], v[84:85], -v[28:29]
	v_add_f64 v[14:15], v[92:93], 0
	v_add_f64 v[4:5], v[4:5], v[6:7]
	v_mul_f64 v[74:75], v[22:23], v[74:75]
	s_waitcnt vmcnt(5)
	v_fma_f64 v[10:11], v[16:17], v[86:87], -v[78:79]
	v_add_f64 v[14:15], v[14:15], v[94:95]
	v_add_f64 v[4:5], v[4:5], v[8:9]
	v_fmac_f64_e32 v[98:99], v[18:19], v[86:87]
	s_waitcnt vmcnt(4)
	v_fma_f64 v[12:13], v[20:21], v[76:77], -v[74:75]
	v_add_f64 v[6:7], v[14:15], v[96:97]
	v_add_f64 v[4:5], v[4:5], v[10:11]
	v_fmac_f64_e32 v[100:101], v[22:23], v[76:77]
	v_add_f64 v[6:7], v[6:7], v[98:99]
	v_add_f64 v[4:5], v[4:5], v[12:13]
	v_add_f64 v[6:7], v[6:7], v[100:101]
	s_waitcnt vmcnt(2)
	v_add_f64 v[4:5], v[88:89], -v[4:5]
	s_waitcnt vmcnt(0)
	v_add_f64 v[6:7], v[90:91], -v[6:7]
	buffer_store_dword v5, off, s[0:3], 0 offset:260
	buffer_store_dword v4, off, s[0:3], 0 offset:256
	;; [unrolled: 1-line block ×4, first 2 shown]
	s_and_saveexec_b64 s[6:7], vcc
	s_cbranch_execz .LBB21_115
; %bb.114:
	buffer_load_dword v4, v112, s[0:3], 0 offen
	buffer_load_dword v5, v112, s[0:3], 0 offen offset:4
	buffer_load_dword v6, v112, s[0:3], 0 offen offset:8
	;; [unrolled: 1-line block ×3, first 2 shown]
	s_nop 0
	buffer_store_dword v2, off, s[0:3], 0 offset:240
	buffer_store_dword v2, off, s[0:3], 0 offset:244
	buffer_store_dword v2, off, s[0:3], 0 offset:248
	buffer_store_dword v2, off, s[0:3], 0 offset:252
	s_waitcnt vmcnt(4)
	ds_write_b128 v102, v[4:7]
.LBB21_115:
	s_or_b64 exec, exec, s[6:7]
	s_waitcnt lgkmcnt(0)
	; wave barrier
	s_waitcnt lgkmcnt(0)
	ds_read_b128 v[4:7], v2 offset:608
	ds_read_b128 v[8:11], v2 offset:624
	;; [unrolled: 1-line block ×4, first 2 shown]
	buffer_load_dword v28, off, s[0:3], 0 offset:240
	buffer_load_dword v29, off, s[0:3], 0 offset:244
	;; [unrolled: 1-line block ×20, first 2 shown]
	v_cmp_lt_u32_e32 vcc, 14, v130
	s_waitcnt vmcnt(12) lgkmcnt(3)
	v_mul_f64 v[20:21], v[4:5], v[78:79]
	v_fmac_f64_e32 v[20:21], v[6:7], v[76:77]
	v_add_f64 v[20:21], v[20:21], 0
	v_mul_f64 v[6:7], v[6:7], v[78:79]
	s_waitcnt vmcnt(8) lgkmcnt(2)
	v_mul_f64 v[22:23], v[8:9], v[82:83]
	v_fmac_f64_e32 v[22:23], v[10:11], v[80:81]
	v_add_f64 v[20:21], v[20:21], v[22:23]
	v_fma_f64 v[4:5], v[4:5], v[76:77], -v[6:7]
	s_waitcnt vmcnt(4) lgkmcnt(1)
	v_mul_f64 v[22:23], v[12:13], v[86:87]
	v_fmac_f64_e32 v[22:23], v[14:15], v[84:85]
	v_add_f64 v[20:21], v[20:21], v[22:23]
	s_waitcnt vmcnt(0) lgkmcnt(0)
	v_mul_f64 v[22:23], v[16:17], v[90:91]
	v_fmac_f64_e32 v[22:23], v[18:19], v[88:89]
	v_add_f64 v[24:25], v[20:21], v[22:23]
	ds_read_b128 v[20:23], v2 offset:672
	buffer_load_dword v93, off, s[0:3], 0 offset:324
	buffer_load_dword v92, off, s[0:3], 0 offset:320
	;; [unrolled: 1-line block ×4, first 2 shown]
	v_mul_f64 v[6:7], v[10:11], v[82:83]
	v_add_f64 v[4:5], v[4:5], 0
	v_fma_f64 v[6:7], v[8:9], v[80:81], -v[6:7]
	v_add_f64 v[4:5], v[4:5], v[6:7]
	v_mul_f64 v[6:7], v[14:15], v[86:87]
	v_fma_f64 v[6:7], v[12:13], v[84:85], -v[6:7]
	v_add_f64 v[4:5], v[4:5], v[6:7]
	v_mul_f64 v[6:7], v[18:19], v[90:91]
	v_fma_f64 v[6:7], v[16:17], v[88:89], -v[6:7]
	v_add_f64 v[4:5], v[4:5], v[6:7]
	s_waitcnt vmcnt(0) lgkmcnt(0)
	v_mul_f64 v[26:27], v[20:21], v[94:95]
	v_fmac_f64_e32 v[26:27], v[22:23], v[92:93]
	v_add_f64 v[96:97], v[24:25], v[26:27]
	ds_read_b128 v[24:27], v2 offset:688
	buffer_load_dword v3, off, s[0:3], 0 offset:340
	buffer_load_dword v2, off, s[0:3], 0 offset:336
	;; [unrolled: 1-line block ×4, first 2 shown]
	v_mul_f64 v[6:7], v[22:23], v[94:95]
	v_fma_f64 v[6:7], v[20:21], v[92:93], -v[6:7]
	v_add_f64 v[4:5], v[4:5], v[6:7]
	s_waitcnt vmcnt(0) lgkmcnt(0)
	v_mul_f64 v[100:101], v[24:25], v[98:99]
	v_mul_f64 v[6:7], v[26:27], v[98:99]
	v_fmac_f64_e32 v[100:101], v[26:27], v[2:3]
	v_fma_f64 v[2:3], v[24:25], v[2:3], -v[6:7]
	v_add_f64 v[2:3], v[4:5], v[2:3]
	v_add_f64 v[96:97], v[96:97], v[100:101]
	v_add_f64 v[2:3], v[28:29], -v[2:3]
	v_add_f64 v[4:5], v[74:75], -v[96:97]
	buffer_store_dword v3, off, s[0:3], 0 offset:244
	buffer_store_dword v2, off, s[0:3], 0 offset:240
	buffer_store_dword v5, off, s[0:3], 0 offset:252
	buffer_store_dword v4, off, s[0:3], 0 offset:248
	s_and_saveexec_b64 s[6:7], vcc
	s_cbranch_execz .LBB21_117
; %bb.116:
	buffer_load_dword v2, v119, s[0:3], 0 offen
	buffer_load_dword v3, v119, s[0:3], 0 offen offset:4
	buffer_load_dword v4, v119, s[0:3], 0 offen offset:8
	;; [unrolled: 1-line block ×3, first 2 shown]
	v_mov_b32_e32 v6, 0
	buffer_store_dword v6, off, s[0:3], 0 offset:224
	buffer_store_dword v6, off, s[0:3], 0 offset:228
	;; [unrolled: 1-line block ×4, first 2 shown]
	s_waitcnt vmcnt(4)
	ds_write_b128 v102, v[2:5]
.LBB21_117:
	s_or_b64 exec, exec, s[6:7]
	s_waitcnt lgkmcnt(0)
	; wave barrier
	s_waitcnt lgkmcnt(0)
	buffer_load_dword v28, off, s[0:3], 0 offset:248
	buffer_load_dword v29, off, s[0:3], 0 offset:252
	;; [unrolled: 1-line block ×32, first 2 shown]
	v_mov_b32_e32 v2, 0
	ds_read_b128 v[4:7], v2 offset:592
	ds_read_b128 v[8:11], v2 offset:608
	;; [unrolled: 1-line block ×7, first 2 shown]
	v_cmp_lt_u32_e32 vcc, 13, v130
	s_waitcnt vmcnt(30) lgkmcnt(6)
	v_mul_f64 v[132:133], v[4:5], v[28:29]
	v_mul_f64 v[28:29], v[6:7], v[28:29]
	s_waitcnt vmcnt(28) lgkmcnt(5)
	v_mul_f64 v[134:135], v[8:9], v[78:79]
	v_mul_f64 v[78:79], v[10:11], v[78:79]
	;; [unrolled: 3-line block ×4, first 2 shown]
	s_waitcnt vmcnt(21)
	v_mul_f64 v[138:139], v[16:17], v[86:87]
	v_mul_f64 v[86:87], v[18:19], v[86:87]
	s_waitcnt vmcnt(17) lgkmcnt(1)
	v_mul_f64 v[142:143], v[24:25], v[92:93]
	v_mul_f64 v[92:93], v[26:27], v[92:93]
	s_waitcnt vmcnt(16) lgkmcnt(0)
	v_mul_f64 v[144:145], v[74:75], v[88:89]
	v_mul_f64 v[88:89], v[76:77], v[88:89]
	s_waitcnt vmcnt(13)
	v_fma_f64 v[4:5], v[4:5], v[94:95], -v[28:29]
	v_fmac_f64_e32 v[132:133], v[6:7], v[94:95]
	s_waitcnt vmcnt(11)
	v_fma_f64 v[6:7], v[8:9], v[96:97], -v[78:79]
	v_add_f64 v[4:5], v[4:5], 0
	v_fmac_f64_e32 v[134:135], v[10:11], v[96:97]
	s_waitcnt vmcnt(9)
	v_fma_f64 v[8:9], v[12:13], v[98:99], -v[80:81]
	s_waitcnt vmcnt(7)
	v_fmac_f64_e32 v[138:139], v[18:19], v[100:101]
	v_add_f64 v[18:19], v[132:133], 0
	v_add_f64 v[4:5], v[4:5], v[6:7]
	v_fmac_f64_e32 v[136:137], v[14:15], v[98:99]
	v_fma_f64 v[10:11], v[16:17], v[100:101], -v[86:87]
	v_add_f64 v[18:19], v[18:19], v[134:135]
	v_add_f64 v[4:5], v[4:5], v[8:9]
	v_fma_f64 v[12:13], v[20:21], v[84:85], -v[82:83]
	v_add_f64 v[6:7], v[18:19], v[136:137]
	v_add_f64 v[4:5], v[4:5], v[10:11]
	v_fmac_f64_e32 v[140:141], v[22:23], v[84:85]
	s_waitcnt vmcnt(5)
	v_fma_f64 v[14:15], v[24:25], v[104:105], -v[92:93]
	v_add_f64 v[6:7], v[6:7], v[138:139]
	v_add_f64 v[4:5], v[4:5], v[12:13]
	v_fmac_f64_e32 v[142:143], v[26:27], v[104:105]
	s_waitcnt vmcnt(4)
	v_fma_f64 v[16:17], v[74:75], v[90:91], -v[88:89]
	v_add_f64 v[6:7], v[6:7], v[140:141]
	v_add_f64 v[4:5], v[4:5], v[14:15]
	v_fmac_f64_e32 v[144:145], v[76:77], v[90:91]
	v_add_f64 v[6:7], v[6:7], v[142:143]
	v_add_f64 v[4:5], v[4:5], v[16:17]
	;; [unrolled: 1-line block ×3, first 2 shown]
	s_waitcnt vmcnt(2)
	v_add_f64 v[4:5], v[106:107], -v[4:5]
	s_waitcnt vmcnt(0)
	v_add_f64 v[6:7], v[108:109], -v[6:7]
	buffer_store_dword v5, off, s[0:3], 0 offset:228
	buffer_store_dword v4, off, s[0:3], 0 offset:224
	;; [unrolled: 1-line block ×4, first 2 shown]
	s_and_saveexec_b64 s[6:7], vcc
	s_cbranch_execz .LBB21_119
; %bb.118:
	buffer_load_dword v4, v117, s[0:3], 0 offen
	buffer_load_dword v5, v117, s[0:3], 0 offen offset:4
	buffer_load_dword v6, v117, s[0:3], 0 offen offset:8
	;; [unrolled: 1-line block ×3, first 2 shown]
	s_nop 0
	buffer_store_dword v2, off, s[0:3], 0 offset:208
	buffer_store_dword v2, off, s[0:3], 0 offset:212
	;; [unrolled: 1-line block ×4, first 2 shown]
	s_waitcnt vmcnt(4)
	ds_write_b128 v102, v[4:7]
.LBB21_119:
	s_or_b64 exec, exec, s[6:7]
	s_waitcnt lgkmcnt(0)
	; wave barrier
	s_waitcnt lgkmcnt(0)
	buffer_load_dword v28, off, s[0:3], 0 offset:232
	buffer_load_dword v29, off, s[0:3], 0 offset:236
	;; [unrolled: 1-line block ×36, first 2 shown]
	ds_read_b128 v[4:7], v2 offset:576
	ds_read_b128 v[8:11], v2 offset:592
	;; [unrolled: 1-line block ×8, first 2 shown]
	v_cmp_lt_u32_e32 vcc, 12, v130
	s_waitcnt vmcnt(34) lgkmcnt(7)
	v_mul_f64 v[2:3], v[4:5], v[28:29]
	v_mul_f64 v[28:29], v[6:7], v[28:29]
	s_waitcnt vmcnt(32) lgkmcnt(6)
	v_mul_f64 v[140:141], v[8:9], v[82:83]
	v_mul_f64 v[82:83], v[10:11], v[82:83]
	;; [unrolled: 3-line block ×4, first 2 shown]
	s_waitcnt vmcnt(25)
	v_mul_f64 v[144:145], v[16:17], v[90:91]
	v_mul_f64 v[90:91], v[18:19], v[90:91]
	s_waitcnt vmcnt(23) lgkmcnt(1)
	v_mul_f64 v[150:151], v[74:75], v[92:93]
	v_mul_f64 v[92:93], v[76:77], v[92:93]
	s_waitcnt vmcnt(20)
	v_mul_f64 v[148:149], v[24:25], v[96:97]
	v_mul_f64 v[96:97], v[26:27], v[96:97]
	s_waitcnt vmcnt(18) lgkmcnt(0)
	v_mul_f64 v[152:153], v[78:79], v[98:99]
	s_waitcnt vmcnt(17)
	v_fmac_f64_e32 v[146:147], v[22:23], v[88:89]
	s_waitcnt vmcnt(16)
	v_fmac_f64_e32 v[150:151], v[76:77], v[94:95]
	s_waitcnt vmcnt(14)
	v_fma_f64 v[4:5], v[4:5], v[100:101], -v[28:29]
	v_fmac_f64_e32 v[2:3], v[6:7], v[100:101]
	s_waitcnt vmcnt(12)
	v_fma_f64 v[6:7], v[8:9], v[104:105], -v[82:83]
	v_add_f64 v[4:5], v[4:5], 0
	v_fmac_f64_e32 v[140:141], v[10:11], v[104:105]
	s_waitcnt vmcnt(10)
	v_fma_f64 v[8:9], v[12:13], v[106:107], -v[84:85]
	v_add_f64 v[2:3], v[2:3], 0
	v_add_f64 v[4:5], v[4:5], v[6:7]
	v_fmac_f64_e32 v[142:143], v[14:15], v[106:107]
	s_waitcnt vmcnt(8)
	v_fma_f64 v[10:11], v[16:17], v[108:109], -v[90:91]
	v_add_f64 v[2:3], v[2:3], v[140:141]
	v_add_f64 v[4:5], v[4:5], v[8:9]
	v_fmac_f64_e32 v[144:145], v[18:19], v[108:109]
	v_fma_f64 v[12:13], v[20:21], v[88:89], -v[86:87]
	v_add_f64 v[2:3], v[2:3], v[142:143]
	v_add_f64 v[4:5], v[4:5], v[10:11]
	s_waitcnt vmcnt(6)
	v_fma_f64 v[14:15], v[24:25], v[132:133], -v[96:97]
	v_add_f64 v[2:3], v[2:3], v[144:145]
	v_add_f64 v[4:5], v[4:5], v[12:13]
	v_fmac_f64_e32 v[148:149], v[26:27], v[132:133]
	v_fma_f64 v[16:17], v[74:75], v[94:95], -v[92:93]
	v_add_f64 v[2:3], v[2:3], v[146:147]
	v_add_f64 v[4:5], v[4:5], v[14:15]
	v_mul_f64 v[6:7], v[80:81], v[98:99]
	v_add_f64 v[2:3], v[2:3], v[148:149]
	v_add_f64 v[4:5], v[4:5], v[16:17]
	s_waitcnt vmcnt(4)
	v_fma_f64 v[6:7], v[78:79], v[134:135], -v[6:7]
	v_fmac_f64_e32 v[152:153], v[80:81], v[134:135]
	v_add_f64 v[2:3], v[2:3], v[150:151]
	v_add_f64 v[4:5], v[4:5], v[6:7]
	v_add_f64 v[2:3], v[2:3], v[152:153]
	s_waitcnt vmcnt(2)
	v_add_f64 v[4:5], v[136:137], -v[4:5]
	s_waitcnt vmcnt(0)
	v_add_f64 v[2:3], v[138:139], -v[2:3]
	buffer_store_dword v5, off, s[0:3], 0 offset:212
	buffer_store_dword v4, off, s[0:3], 0 offset:208
	;; [unrolled: 1-line block ×4, first 2 shown]
	s_and_saveexec_b64 s[6:7], vcc
	s_cbranch_execz .LBB21_121
; %bb.120:
	buffer_load_dword v2, v118, s[0:3], 0 offen
	buffer_load_dword v3, v118, s[0:3], 0 offen offset:4
	buffer_load_dword v4, v118, s[0:3], 0 offen offset:8
	;; [unrolled: 1-line block ×3, first 2 shown]
	v_mov_b32_e32 v6, 0
	buffer_store_dword v6, off, s[0:3], 0 offset:192
	buffer_store_dword v6, off, s[0:3], 0 offset:196
	;; [unrolled: 1-line block ×4, first 2 shown]
	s_waitcnt vmcnt(4)
	ds_write_b128 v102, v[2:5]
.LBB21_121:
	s_or_b64 exec, exec, s[6:7]
	s_waitcnt lgkmcnt(0)
	; wave barrier
	s_waitcnt lgkmcnt(0)
	buffer_load_dword v82, off, s[0:3], 0 offset:216
	buffer_load_dword v83, off, s[0:3], 0 offset:220
	;; [unrolled: 1-line block ×40, first 2 shown]
	v_mov_b32_e32 v88, 0
	ds_read_b128 v[2:5], v88 offset:560
	ds_read_b128 v[6:9], v88 offset:576
	;; [unrolled: 1-line block ×9, first 2 shown]
	v_cmp_lt_u32_e32 vcc, 11, v130
	s_waitcnt vmcnt(38) lgkmcnt(8)
	v_mul_f64 v[148:149], v[2:3], v[82:83]
	v_mul_f64 v[82:83], v[4:5], v[82:83]
	s_waitcnt vmcnt(36) lgkmcnt(7)
	v_mul_f64 v[150:151], v[6:7], v[84:85]
	v_mul_f64 v[84:85], v[8:9], v[84:85]
	;; [unrolled: 3-line block ×3, first 2 shown]
	s_waitcnt vmcnt(32) lgkmcnt(4)
	v_mul_f64 v[156:157], v[18:19], v[90:91]
	s_waitcnt vmcnt(30)
	v_fmac_f64_e32 v[156:157], v[20:21], v[92:93]
	s_waitcnt vmcnt(28)
	v_mul_f64 v[154:155], v[14:15], v[94:95]
	v_mul_f64 v[94:95], v[16:17], v[94:95]
	s_waitcnt vmcnt(26) lgkmcnt(2)
	v_mul_f64 v[160:161], v[26:27], v[96:97]
	s_waitcnt vmcnt(24)
	v_fmac_f64_e32 v[160:161], v[28:29], v[98:99]
	s_waitcnt vmcnt(22)
	v_mul_f64 v[158:159], v[22:23], v[100:101]
	s_waitcnt vmcnt(18) lgkmcnt(1)
	v_mul_f64 v[162:163], v[74:75], v[108:109]
	s_waitcnt vmcnt(17) lgkmcnt(0)
	v_mul_f64 v[164:165], v[78:79], v[104:105]
	s_waitcnt vmcnt(15)
	v_fma_f64 v[2:3], v[2:3], v[132:133], -v[82:83]
	v_fmac_f64_e32 v[148:149], v[4:5], v[132:133]
	s_waitcnt vmcnt(13)
	v_fma_f64 v[4:5], v[6:7], v[134:135], -v[84:85]
	v_add_f64 v[2:3], v[2:3], 0
	s_waitcnt vmcnt(11)
	v_fma_f64 v[6:7], v[10:11], v[136:137], -v[86:87]
	v_add_f64 v[2:3], v[2:3], v[4:5]
	v_fmac_f64_e32 v[150:151], v[8:9], v[134:135]
	s_waitcnt vmcnt(9)
	v_fma_f64 v[8:9], v[14:15], v[138:139], -v[94:95]
	v_add_f64 v[2:3], v[2:3], v[6:7]
	v_mul_f64 v[6:7], v[20:21], v[90:91]
	v_add_f64 v[2:3], v[2:3], v[8:9]
	v_fma_f64 v[6:7], v[18:19], v[92:93], -v[6:7]
	v_add_f64 v[2:3], v[2:3], v[6:7]
	v_mul_f64 v[6:7], v[24:25], v[100:101]
	v_add_f64 v[10:11], v[148:149], 0
	s_waitcnt vmcnt(7)
	v_fma_f64 v[6:7], v[22:23], v[140:141], -v[6:7]
	v_fmac_f64_e32 v[152:153], v[12:13], v[136:137]
	v_add_f64 v[10:11], v[10:11], v[150:151]
	v_add_f64 v[2:3], v[2:3], v[6:7]
	v_mul_f64 v[6:7], v[28:29], v[96:97]
	v_fmac_f64_e32 v[154:155], v[16:17], v[138:139]
	v_add_f64 v[4:5], v[10:11], v[152:153]
	v_fma_f64 v[6:7], v[26:27], v[98:99], -v[6:7]
	v_add_f64 v[4:5], v[4:5], v[154:155]
	v_add_f64 v[2:3], v[2:3], v[6:7]
	v_mul_f64 v[6:7], v[76:77], v[108:109]
	v_fmac_f64_e32 v[158:159], v[24:25], v[140:141]
	v_add_f64 v[4:5], v[4:5], v[156:157]
	s_waitcnt vmcnt(5)
	v_fma_f64 v[6:7], v[74:75], v[142:143], -v[6:7]
	v_add_f64 v[4:5], v[4:5], v[158:159]
	v_add_f64 v[2:3], v[2:3], v[6:7]
	v_mul_f64 v[6:7], v[80:81], v[104:105]
	v_fmac_f64_e32 v[162:163], v[76:77], v[142:143]
	v_add_f64 v[4:5], v[4:5], v[160:161]
	s_waitcnt vmcnt(4)
	v_fma_f64 v[6:7], v[78:79], v[106:107], -v[6:7]
	v_fmac_f64_e32 v[164:165], v[80:81], v[106:107]
	v_add_f64 v[4:5], v[4:5], v[162:163]
	v_add_f64 v[2:3], v[2:3], v[6:7]
	;; [unrolled: 1-line block ×3, first 2 shown]
	s_waitcnt vmcnt(2)
	v_add_f64 v[2:3], v[144:145], -v[2:3]
	s_waitcnt vmcnt(0)
	v_add_f64 v[4:5], v[146:147], -v[4:5]
	buffer_store_dword v3, off, s[0:3], 0 offset:196
	buffer_store_dword v2, off, s[0:3], 0 offset:192
	;; [unrolled: 1-line block ×4, first 2 shown]
	s_and_saveexec_b64 s[6:7], vcc
	s_cbranch_execz .LBB21_123
; %bb.122:
	buffer_load_dword v2, v116, s[0:3], 0 offen
	buffer_load_dword v3, v116, s[0:3], 0 offen offset:4
	buffer_load_dword v4, v116, s[0:3], 0 offen offset:8
	;; [unrolled: 1-line block ×3, first 2 shown]
	s_nop 0
	buffer_store_dword v88, off, s[0:3], 0 offset:176
	buffer_store_dword v88, off, s[0:3], 0 offset:180
	;; [unrolled: 1-line block ×4, first 2 shown]
	s_waitcnt vmcnt(4)
	ds_write_b128 v102, v[2:5]
.LBB21_123:
	s_or_b64 exec, exec, s[6:7]
	s_waitcnt lgkmcnt(0)
	; wave barrier
	s_waitcnt lgkmcnt(0)
	ds_read_b128 v[14:17], v88 offset:544
	ds_read_b128 v[10:13], v88 offset:560
	;; [unrolled: 1-line block ×4, first 2 shown]
	buffer_load_dword v24, off, s[0:3], 0 offset:176
	buffer_load_dword v25, off, s[0:3], 0 offset:180
	;; [unrolled: 1-line block ×20, first 2 shown]
	v_cmp_lt_u32_e32 vcc, 10, v130
	s_waitcnt vmcnt(12) lgkmcnt(3)
	v_mul_f64 v[18:19], v[14:15], v[84:85]
	v_fmac_f64_e32 v[18:19], v[16:17], v[82:83]
	v_add_f64 v[18:19], v[18:19], 0
	v_mul_f64 v[16:17], v[16:17], v[84:85]
	s_waitcnt vmcnt(8) lgkmcnt(2)
	v_mul_f64 v[20:21], v[10:11], v[86:87]
	v_fmac_f64_e32 v[20:21], v[12:13], v[74:75]
	v_add_f64 v[18:19], v[18:19], v[20:21]
	v_fma_f64 v[14:15], v[14:15], v[82:83], -v[16:17]
	s_waitcnt vmcnt(4) lgkmcnt(1)
	v_mul_f64 v[20:21], v[6:7], v[28:29]
	v_fmac_f64_e32 v[20:21], v[8:9], v[26:27]
	v_add_f64 v[18:19], v[18:19], v[20:21]
	s_waitcnt vmcnt(0) lgkmcnt(0)
	v_mul_f64 v[20:21], v[2:3], v[78:79]
	v_fmac_f64_e32 v[20:21], v[4:5], v[76:77]
	v_add_f64 v[90:91], v[18:19], v[20:21]
	ds_read_b128 v[18:21], v88 offset:608
	buffer_load_dword v81, off, s[0:3], 0 offset:260
	buffer_load_dword v80, off, s[0:3], 0 offset:256
	;; [unrolled: 1-line block ×4, first 2 shown]
	v_mul_f64 v[12:13], v[12:13], v[86:87]
	v_add_f64 v[14:15], v[14:15], 0
	v_fma_f64 v[10:11], v[10:11], v[74:75], -v[12:13]
	v_mul_f64 v[8:9], v[8:9], v[28:29]
	v_add_f64 v[10:11], v[14:15], v[10:11]
	v_fma_f64 v[6:7], v[6:7], v[26:27], -v[8:9]
	;; [unrolled: 3-line block ×3, first 2 shown]
	v_add_f64 v[2:3], v[6:7], v[2:3]
	s_waitcnt vmcnt(0) lgkmcnt(0)
	v_mul_f64 v[92:93], v[18:19], v[108:109]
	v_fmac_f64_e32 v[92:93], v[20:21], v[80:81]
	v_add_f64 v[94:95], v[90:91], v[92:93]
	ds_read_b128 v[90:93], v88 offset:624
	buffer_load_dword v137, off, s[0:3], 0 offset:276
	buffer_load_dword v136, off, s[0:3], 0 offset:272
	buffer_load_dword v139, off, s[0:3], 0 offset:284
	buffer_load_dword v138, off, s[0:3], 0 offset:280
	v_mul_f64 v[4:5], v[20:21], v[108:109]
	v_fma_f64 v[4:5], v[18:19], v[80:81], -v[4:5]
	v_add_f64 v[2:3], v[2:3], v[4:5]
	s_waitcnt vmcnt(0) lgkmcnt(0)
	v_mul_f64 v[96:97], v[90:91], v[138:139]
	v_fmac_f64_e32 v[96:97], v[92:93], v[136:137]
	v_add_f64 v[98:99], v[94:95], v[96:97]
	ds_read_b128 v[94:97], v88 offset:640
	buffer_load_dword v141, off, s[0:3], 0 offset:292
	buffer_load_dword v140, off, s[0:3], 0 offset:288
	buffer_load_dword v143, off, s[0:3], 0 offset:300
	buffer_load_dword v142, off, s[0:3], 0 offset:296
	v_mul_f64 v[4:5], v[92:93], v[138:139]
	v_fma_f64 v[4:5], v[90:91], v[136:137], -v[4:5]
	;; [unrolled: 12-line block ×5, first 2 shown]
	v_add_f64 v[2:3], v[2:3], v[4:5]
	s_waitcnt vmcnt(0) lgkmcnt(0)
	v_mul_f64 v[4:5], v[134:135], v[154:155]
	v_mul_f64 v[156:157], v[132:133], v[154:155]
	v_fma_f64 v[4:5], v[132:133], v[88:89], -v[4:5]
	v_fmac_f64_e32 v[156:157], v[134:135], v[88:89]
	v_add_f64 v[2:3], v[2:3], v[4:5]
	v_add_f64 v[152:153], v[152:153], v[156:157]
	v_add_f64 v[2:3], v[24:25], -v[2:3]
	v_add_f64 v[4:5], v[22:23], -v[152:153]
	buffer_store_dword v3, off, s[0:3], 0 offset:180
	buffer_store_dword v2, off, s[0:3], 0 offset:176
	;; [unrolled: 1-line block ×4, first 2 shown]
	s_and_saveexec_b64 s[6:7], vcc
	s_cbranch_execz .LBB21_125
; %bb.124:
	buffer_load_dword v2, v123, s[0:3], 0 offen
	buffer_load_dword v3, v123, s[0:3], 0 offen offset:4
	buffer_load_dword v4, v123, s[0:3], 0 offen offset:8
	;; [unrolled: 1-line block ×3, first 2 shown]
	v_mov_b32_e32 v6, 0
	buffer_store_dword v6, off, s[0:3], 0 offset:160
	buffer_store_dword v6, off, s[0:3], 0 offset:164
	;; [unrolled: 1-line block ×4, first 2 shown]
	s_waitcnt vmcnt(4)
	ds_write_b128 v102, v[2:5]
.LBB21_125:
	s_or_b64 exec, exec, s[6:7]
	v_mov_b32_e32 v103, 0
	s_waitcnt lgkmcnt(0)
	; wave barrier
	s_waitcnt lgkmcnt(0)
	ds_read_b128 v[14:17], v103 offset:528
	ds_read_b128 v[10:13], v103 offset:544
	;; [unrolled: 1-line block ×4, first 2 shown]
	buffer_load_dword v76, off, s[0:3], 0 offset:160
	buffer_load_dword v77, off, s[0:3], 0 offset:164
	;; [unrolled: 1-line block ×20, first 2 shown]
	v_cmp_lt_u32_e32 vcc, 9, v130
	s_waitcnt vmcnt(12) lgkmcnt(3)
	v_mul_f64 v[18:19], v[14:15], v[84:85]
	v_fmac_f64_e32 v[18:19], v[16:17], v[78:79]
	v_add_f64 v[18:19], v[18:19], 0
	v_mul_f64 v[16:17], v[16:17], v[84:85]
	s_waitcnt vmcnt(8) lgkmcnt(2)
	v_mul_f64 v[20:21], v[10:11], v[86:87]
	v_fmac_f64_e32 v[20:21], v[12:13], v[80:81]
	v_add_f64 v[18:19], v[18:19], v[20:21]
	v_fma_f64 v[14:15], v[14:15], v[78:79], -v[16:17]
	s_waitcnt vmcnt(4) lgkmcnt(1)
	v_mul_f64 v[20:21], v[6:7], v[88:89]
	v_fmac_f64_e32 v[20:21], v[8:9], v[82:83]
	v_add_f64 v[18:19], v[18:19], v[20:21]
	s_waitcnt vmcnt(0) lgkmcnt(0)
	v_mul_f64 v[20:21], v[2:3], v[92:93]
	v_fmac_f64_e32 v[20:21], v[4:5], v[90:91]
	v_add_f64 v[22:23], v[18:19], v[20:21]
	ds_read_b128 v[18:21], v103 offset:592
	buffer_load_dword v95, off, s[0:3], 0 offset:244
	buffer_load_dword v94, off, s[0:3], 0 offset:240
	;; [unrolled: 1-line block ×4, first 2 shown]
	v_mul_f64 v[12:13], v[12:13], v[86:87]
	v_add_f64 v[14:15], v[14:15], 0
	v_fma_f64 v[10:11], v[10:11], v[80:81], -v[12:13]
	v_mul_f64 v[8:9], v[8:9], v[88:89]
	v_add_f64 v[10:11], v[14:15], v[10:11]
	v_fma_f64 v[6:7], v[6:7], v[82:83], -v[8:9]
	;; [unrolled: 3-line block ×3, first 2 shown]
	v_add_f64 v[2:3], v[6:7], v[2:3]
	s_waitcnt vmcnt(0) lgkmcnt(0)
	v_mul_f64 v[24:25], v[18:19], v[96:97]
	v_fmac_f64_e32 v[24:25], v[20:21], v[94:95]
	v_add_f64 v[26:27], v[22:23], v[24:25]
	ds_read_b128 v[22:25], v103 offset:608
	buffer_load_dword v99, off, s[0:3], 0 offset:260
	buffer_load_dword v98, off, s[0:3], 0 offset:256
	buffer_load_dword v101, off, s[0:3], 0 offset:268
	buffer_load_dword v100, off, s[0:3], 0 offset:264
	v_mul_f64 v[4:5], v[20:21], v[96:97]
	v_fma_f64 v[4:5], v[18:19], v[94:95], -v[4:5]
	v_add_f64 v[2:3], v[2:3], v[4:5]
	s_waitcnt vmcnt(0) lgkmcnt(0)
	v_mul_f64 v[28:29], v[22:23], v[100:101]
	v_fmac_f64_e32 v[28:29], v[24:25], v[98:99]
	v_add_f64 v[104:105], v[26:27], v[28:29]
	ds_read_b128 v[26:29], v103 offset:624
	buffer_load_dword v109, off, s[0:3], 0 offset:276
	buffer_load_dword v108, off, s[0:3], 0 offset:272
	buffer_load_dword v145, off, s[0:3], 0 offset:284
	buffer_load_dword v144, off, s[0:3], 0 offset:280
	v_mul_f64 v[4:5], v[24:25], v[100:101]
	v_fma_f64 v[4:5], v[22:23], v[98:99], -v[4:5]
	;; [unrolled: 12-line block ×6, first 2 shown]
	v_add_f64 v[2:3], v[2:3], v[4:5]
	s_waitcnt vmcnt(0) lgkmcnt(0)
	v_mul_f64 v[4:5], v[142:143], v[162:163]
	v_mul_f64 v[164:165], v[140:141], v[162:163]
	v_fma_f64 v[4:5], v[140:141], v[160:161], -v[4:5]
	v_fmac_f64_e32 v[164:165], v[142:143], v[160:161]
	v_add_f64 v[2:3], v[2:3], v[4:5]
	v_add_f64 v[158:159], v[158:159], v[164:165]
	v_add_f64 v[2:3], v[76:77], -v[2:3]
	v_add_f64 v[4:5], v[74:75], -v[158:159]
	buffer_store_dword v3, off, s[0:3], 0 offset:164
	buffer_store_dword v2, off, s[0:3], 0 offset:160
	;; [unrolled: 1-line block ×4, first 2 shown]
	s_and_saveexec_b64 s[6:7], vcc
	s_cbranch_execz .LBB21_127
; %bb.126:
	buffer_load_dword v2, v122, s[0:3], 0 offen
	buffer_load_dword v3, v122, s[0:3], 0 offen offset:4
	buffer_load_dword v4, v122, s[0:3], 0 offen offset:8
	;; [unrolled: 1-line block ×3, first 2 shown]
	s_nop 0
	buffer_store_dword v103, off, s[0:3], 0 offset:144
	buffer_store_dword v103, off, s[0:3], 0 offset:148
	;; [unrolled: 1-line block ×4, first 2 shown]
	s_waitcnt vmcnt(4)
	ds_write_b128 v102, v[2:5]
.LBB21_127:
	s_or_b64 exec, exec, s[6:7]
	s_waitcnt lgkmcnt(0)
	; wave barrier
	s_waitcnt lgkmcnt(0)
	buffer_load_dword v2, off, s[0:3], 0 offset:160
	buffer_load_dword v3, off, s[0:3], 0 offset:164
	;; [unrolled: 1-line block ×52, first 2 shown]
	ds_read_b128 v[12:15], v103 offset:512
	ds_read_b128 v[16:19], v103 offset:528
	;; [unrolled: 1-line block ×10, first 2 shown]
	v_cmp_lt_u32_e32 vcc, 8, v130
	s_waitcnt vmcnt(48) lgkmcnt(9)
	v_mul_f64 v[98:99], v[12:13], v[6:7]
	v_mul_f64 v[6:7], v[14:15], v[6:7]
	v_fmac_f64_e32 v[98:99], v[14:15], v[2:3]
	v_fma_f64 v[2:3], v[12:13], v[2:3], -v[6:7]
	s_waitcnt vmcnt(44) lgkmcnt(8)
	v_mul_f64 v[100:101], v[16:17], v[8:9]
	v_mul_f64 v[6:7], v[18:19], v[8:9]
	v_fmac_f64_e32 v[100:101], v[18:19], v[4:5]
	v_add_f64 v[2:3], v[2:3], 0
	v_fma_f64 v[4:5], v[16:17], v[4:5], -v[6:7]
	v_add_f64 v[2:3], v[2:3], v[4:5]
	s_waitcnt vmcnt(42) lgkmcnt(7)
	v_mul_f64 v[4:5], v[22:23], v[10:11]
	v_mul_f64 v[104:105], v[20:21], v[10:11]
	v_add_f64 v[98:99], v[98:99], 0
	s_waitcnt vmcnt(36) lgkmcnt(6)
	v_mul_f64 v[106:107], v[24:25], v[132:133]
	v_add_f64 v[98:99], v[98:99], v[100:101]
	s_waitcnt lgkmcnt(5)
	v_mul_f64 v[170:171], v[74:75], v[28:29]
	v_fmac_f64_e32 v[170:171], v[76:77], v[108:109]
	s_waitcnt vmcnt(34) lgkmcnt(3)
	v_mul_f64 v[174:175], v[82:83], v[134:135]
	s_waitcnt vmcnt(30)
	v_mul_f64 v[172:173], v[78:79], v[138:139]
	v_fmac_f64_e32 v[174:175], v[84:85], v[136:137]
	s_waitcnt vmcnt(26) lgkmcnt(2)
	v_mul_f64 v[176:177], v[86:87], v[144:145]
	s_waitcnt vmcnt(25) lgkmcnt(1)
	v_mul_f64 v[178:179], v[90:91], v[140:141]
	s_waitcnt vmcnt(23)
	v_fma_f64 v[4:5], v[20:21], v[146:147], -v[4:5]
	v_add_f64 v[2:3], v[2:3], v[4:5]
	v_mul_f64 v[4:5], v[26:27], v[132:133]
	s_waitcnt vmcnt(21)
	v_fma_f64 v[4:5], v[24:25], v[148:149], -v[4:5]
	v_fmac_f64_e32 v[104:105], v[22:23], v[146:147]
	v_add_f64 v[2:3], v[2:3], v[4:5]
	v_mul_f64 v[4:5], v[76:77], v[28:29]
	v_fmac_f64_e32 v[106:107], v[26:27], v[148:149]
	v_add_f64 v[98:99], v[98:99], v[104:105]
	v_fma_f64 v[4:5], v[74:75], v[108:109], -v[4:5]
	v_add_f64 v[98:99], v[98:99], v[106:107]
	v_add_f64 v[2:3], v[2:3], v[4:5]
	v_mul_f64 v[4:5], v[80:81], v[138:139]
	s_waitcnt vmcnt(19)
	v_fmac_f64_e32 v[172:173], v[80:81], v[150:151]
	v_add_f64 v[98:99], v[98:99], v[170:171]
	v_fma_f64 v[4:5], v[78:79], v[150:151], -v[4:5]
	v_add_f64 v[98:99], v[98:99], v[172:173]
	v_add_f64 v[2:3], v[2:3], v[4:5]
	v_mul_f64 v[4:5], v[84:85], v[134:135]
	s_waitcnt vmcnt(17)
	v_fmac_f64_e32 v[176:177], v[88:89], v[152:153]
	v_add_f64 v[98:99], v[98:99], v[174:175]
	v_fma_f64 v[4:5], v[82:83], v[136:137], -v[4:5]
	s_waitcnt vmcnt(16)
	v_fmac_f64_e32 v[178:179], v[92:93], v[142:143]
	v_add_f64 v[98:99], v[98:99], v[176:177]
	v_add_f64 v[2:3], v[2:3], v[4:5]
	v_mul_f64 v[4:5], v[88:89], v[144:145]
	v_add_f64 v[170:171], v[98:99], v[178:179]
	ds_read_b128 v[98:101], v103 offset:672
	ds_read_b128 v[104:107], v103 offset:688
	v_fma_f64 v[4:5], v[86:87], v[152:153], -v[4:5]
	v_add_f64 v[2:3], v[2:3], v[4:5]
	v_mul_f64 v[4:5], v[92:93], v[140:141]
	v_fma_f64 v[4:5], v[90:91], v[142:143], -v[4:5]
	v_add_f64 v[2:3], v[2:3], v[4:5]
	s_waitcnt vmcnt(13) lgkmcnt(2)
	v_mul_f64 v[4:5], v[96:97], v[156:157]
	v_mul_f64 v[172:173], v[94:95], v[156:157]
	s_waitcnt vmcnt(11)
	v_fma_f64 v[4:5], v[94:95], v[158:159], -v[4:5]
	v_fmac_f64_e32 v[172:173], v[96:97], v[158:159]
	v_add_f64 v[2:3], v[2:3], v[4:5]
	s_waitcnt vmcnt(8) lgkmcnt(1)
	v_mul_f64 v[4:5], v[100:101], v[154:155]
	v_add_f64 v[170:171], v[170:171], v[172:173]
	v_mul_f64 v[172:173], v[98:99], v[154:155]
	v_fma_f64 v[4:5], v[98:99], v[160:161], -v[4:5]
	v_fmac_f64_e32 v[172:173], v[100:101], v[160:161]
	v_add_f64 v[2:3], v[2:3], v[4:5]
	s_waitcnt vmcnt(6) lgkmcnt(0)
	v_mul_f64 v[4:5], v[106:107], v[162:163]
	v_add_f64 v[170:171], v[170:171], v[172:173]
	v_mul_f64 v[172:173], v[104:105], v[162:163]
	s_waitcnt vmcnt(4)
	v_fma_f64 v[4:5], v[104:105], v[164:165], -v[4:5]
	v_fmac_f64_e32 v[172:173], v[106:107], v[164:165]
	v_add_f64 v[2:3], v[2:3], v[4:5]
	v_add_f64 v[170:171], v[170:171], v[172:173]
	s_waitcnt vmcnt(2)
	v_add_f64 v[2:3], v[166:167], -v[2:3]
	s_waitcnt vmcnt(0)
	v_add_f64 v[4:5], v[168:169], -v[170:171]
	buffer_store_dword v3, off, s[0:3], 0 offset:148
	buffer_store_dword v2, off, s[0:3], 0 offset:144
	;; [unrolled: 1-line block ×4, first 2 shown]
	s_and_saveexec_b64 s[6:7], vcc
	s_cbranch_execz .LBB21_129
; %bb.128:
	buffer_load_dword v2, v120, s[0:3], 0 offen
	buffer_load_dword v3, v120, s[0:3], 0 offen offset:4
	buffer_load_dword v4, v120, s[0:3], 0 offen offset:8
	;; [unrolled: 1-line block ×3, first 2 shown]
	v_mov_b32_e32 v6, 0
	buffer_store_dword v6, off, s[0:3], 0 offset:128
	buffer_store_dword v6, off, s[0:3], 0 offset:132
	;; [unrolled: 1-line block ×4, first 2 shown]
	s_waitcnt vmcnt(4)
	ds_write_b128 v102, v[2:5]
.LBB21_129:
	s_or_b64 exec, exec, s[6:7]
	s_waitcnt lgkmcnt(0)
	; wave barrier
	s_waitcnt lgkmcnt(0)
	buffer_load_dword v2, off, s[0:3], 0 offset:144
	buffer_load_dword v3, off, s[0:3], 0 offset:148
	buffer_load_dword v6, off, s[0:3], 0 offset:152
	buffer_load_dword v7, off, s[0:3], 0 offset:156
	buffer_load_dword v4, off, s[0:3], 0 offset:160
	buffer_load_dword v5, off, s[0:3], 0 offset:164
	buffer_load_dword v8, off, s[0:3], 0 offset:168
	buffer_load_dword v9, off, s[0:3], 0 offset:172
	buffer_load_dword v10, off, s[0:3], 0 offset:184
	buffer_load_dword v11, off, s[0:3], 0 offset:188
	buffer_load_dword v13, off, s[0:3], 0 offset:220
	buffer_load_dword v12, off, s[0:3], 0 offset:216
	buffer_load_dword v15, off, s[0:3], 0 offset:212
	buffer_load_dword v14, off, s[0:3], 0 offset:208
	buffer_load_dword v17, off, s[0:3], 0 offset:204
	buffer_load_dword v16, off, s[0:3], 0 offset:200
	buffer_load_dword v22, off, s[0:3], 0 offset:248
	buffer_load_dword v108, off, s[0:3], 0 offset:240
	buffer_load_dword v145, off, s[0:3], 0 offset:236
	buffer_load_dword v144, off, s[0:3], 0 offset:232
	buffer_load_dword v23, off, s[0:3], 0 offset:252
	buffer_load_dword v146, off, s[0:3], 0 offset:176
	buffer_load_dword v147, off, s[0:3], 0 offset:180
	buffer_load_dword v149, off, s[0:3], 0 offset:196
	buffer_load_dword v148, off, s[0:3], 0 offset:192
	buffer_load_dword v151, off, s[0:3], 0 offset:228
	buffer_load_dword v150, off, s[0:3], 0 offset:224
	buffer_load_dword v109, off, s[0:3], 0 offset:244
	buffer_load_dword v152, off, s[0:3], 0 offset:280
	buffer_load_dword v154, off, s[0:3], 0 offset:272
	buffer_load_dword v157, off, s[0:3], 0 offset:268
	buffer_load_dword v156, off, s[0:3], 0 offset:264
	buffer_load_dword v159, off, s[0:3], 0 offset:260
	buffer_load_dword v158, off, s[0:3], 0 offset:256
	buffer_load_dword v155, off, s[0:3], 0 offset:276
	buffer_load_dword v153, off, s[0:3], 0 offset:284
	buffer_load_dword v160, off, s[0:3], 0 offset:312
	buffer_load_dword v162, off, s[0:3], 0 offset:304
	buffer_load_dword v165, off, s[0:3], 0 offset:300
	buffer_load_dword v164, off, s[0:3], 0 offset:296
	buffer_load_dword v167, off, s[0:3], 0 offset:292
	buffer_load_dword v166, off, s[0:3], 0 offset:288
	buffer_load_dword v163, off, s[0:3], 0 offset:308
	buffer_load_dword v161, off, s[0:3], 0 offset:316
	buffer_load_dword v168, off, s[0:3], 0 offset:344
	buffer_load_dword v170, off, s[0:3], 0 offset:336
	buffer_load_dword v173, off, s[0:3], 0 offset:332
	buffer_load_dword v172, off, s[0:3], 0 offset:328
	buffer_load_dword v175, off, s[0:3], 0 offset:324
	buffer_load_dword v174, off, s[0:3], 0 offset:320
	buffer_load_dword v169, off, s[0:3], 0 offset:348
	buffer_load_dword v171, off, s[0:3], 0 offset:340
	buffer_load_dword v176, off, s[0:3], 0 offset:128
	buffer_load_dword v177, off, s[0:3], 0 offset:132
	buffer_load_dword v178, off, s[0:3], 0 offset:136
	buffer_load_dword v179, off, s[0:3], 0 offset:140
	v_mov_b32_e32 v24, 0
	ds_read_b128 v[18:21], v24 offset:496
	ds_read_b128 v[26:29], v24 offset:512
	;; [unrolled: 1-line block ×9, first 2 shown]
	v_cmp_lt_u32_e32 vcc, 7, v130
	s_waitcnt vmcnt(52) lgkmcnt(8)
	v_mul_f64 v[98:99], v[18:19], v[6:7]
	v_fmac_f64_e32 v[98:99], v[20:21], v[2:3]
	v_mul_f64 v[6:7], v[20:21], v[6:7]
	v_add_f64 v[98:99], v[98:99], 0
	s_waitcnt vmcnt(48) lgkmcnt(7)
	v_mul_f64 v[100:101], v[26:27], v[8:9]
	v_fmac_f64_e32 v[100:101], v[28:29], v[4:5]
	s_waitcnt vmcnt(46) lgkmcnt(6)
	v_mul_f64 v[104:105], v[74:75], v[10:11]
	v_fma_f64 v[2:3], v[18:19], v[2:3], -v[6:7]
	v_mul_f64 v[6:7], v[28:29], v[8:9]
	v_add_f64 v[98:99], v[98:99], v[100:101]
	v_add_f64 v[2:3], v[2:3], 0
	v_fma_f64 v[4:5], v[26:27], v[4:5], -v[6:7]
	s_waitcnt vmcnt(40) lgkmcnt(5)
	v_mul_f64 v[106:107], v[78:79], v[16:17]
	s_waitcnt lgkmcnt(4)
	v_mul_f64 v[132:133], v[82:83], v[12:13]
	v_add_f64 v[2:3], v[2:3], v[4:5]
	v_mul_f64 v[4:5], v[76:77], v[10:11]
	s_waitcnt vmcnt(36) lgkmcnt(3)
	v_mul_f64 v[134:135], v[86:87], v[144:145]
	v_fmac_f64_e32 v[132:133], v[84:85], v[14:15]
	s_waitcnt vmcnt(35) lgkmcnt(2)
	v_mul_f64 v[136:137], v[90:91], v[22:23]
	s_waitcnt vmcnt(33)
	v_fmac_f64_e32 v[104:105], v[76:77], v[146:147]
	v_add_f64 v[98:99], v[98:99], v[104:105]
	s_waitcnt vmcnt(31)
	v_fmac_f64_e32 v[106:107], v[80:81], v[148:149]
	v_add_f64 v[98:99], v[98:99], v[106:107]
	v_fma_f64 v[4:5], v[74:75], v[146:147], -v[4:5]
	s_waitcnt vmcnt(29)
	v_fmac_f64_e32 v[134:135], v[88:89], v[150:151]
	v_add_f64 v[98:99], v[98:99], v[132:133]
	v_add_f64 v[2:3], v[2:3], v[4:5]
	v_mul_f64 v[4:5], v[80:81], v[16:17]
	s_waitcnt vmcnt(28)
	v_fmac_f64_e32 v[136:137], v[92:93], v[108:109]
	v_add_f64 v[98:99], v[98:99], v[134:135]
	v_fma_f64 v[4:5], v[78:79], v[148:149], -v[4:5]
	v_add_f64 v[104:105], v[98:99], v[136:137]
	ds_read_b128 v[98:101], v24 offset:624
	s_waitcnt vmcnt(24) lgkmcnt(2)
	v_mul_f64 v[106:107], v[94:95], v[156:157]
	v_add_f64 v[2:3], v[2:3], v[4:5]
	v_mul_f64 v[4:5], v[84:85], v[12:13]
	s_waitcnt vmcnt(22)
	v_fmac_f64_e32 v[106:107], v[96:97], v[158:159]
	v_fma_f64 v[4:5], v[82:83], v[14:15], -v[4:5]
	v_add_f64 v[132:133], v[104:105], v[106:107]
	ds_read_b128 v[104:107], v24 offset:640
	v_add_f64 v[2:3], v[2:3], v[4:5]
	v_mul_f64 v[4:5], v[88:89], v[144:145]
	v_fma_f64 v[4:5], v[86:87], v[150:151], -v[4:5]
	v_add_f64 v[2:3], v[2:3], v[4:5]
	v_mul_f64 v[4:5], v[92:93], v[22:23]
	s_waitcnt vmcnt(20) lgkmcnt(1)
	v_mul_f64 v[134:135], v[98:99], v[152:153]
	v_fma_f64 v[4:5], v[90:91], v[108:109], -v[4:5]
	v_fmac_f64_e32 v[134:135], v[100:101], v[154:155]
	v_add_f64 v[2:3], v[2:3], v[4:5]
	v_mul_f64 v[4:5], v[96:97], v[156:157]
	v_add_f64 v[136:137], v[132:133], v[134:135]
	ds_read_b128 v[132:135], v24 offset:656
	s_waitcnt vmcnt(16) lgkmcnt(1)
	v_mul_f64 v[138:139], v[104:105], v[164:165]
	v_fma_f64 v[4:5], v[94:95], v[158:159], -v[4:5]
	s_waitcnt vmcnt(14)
	v_fmac_f64_e32 v[138:139], v[106:107], v[166:167]
	v_add_f64 v[2:3], v[2:3], v[4:5]
	v_mul_f64 v[4:5], v[100:101], v[152:153]
	v_add_f64 v[180:181], v[136:137], v[138:139]
	ds_read_b128 v[136:139], v24 offset:672
	v_fma_f64 v[4:5], v[98:99], v[154:155], -v[4:5]
	v_add_f64 v[2:3], v[2:3], v[4:5]
	v_mul_f64 v[4:5], v[106:107], v[164:165]
	v_fma_f64 v[4:5], v[104:105], v[166:167], -v[4:5]
	v_add_f64 v[2:3], v[2:3], v[4:5]
	s_waitcnt vmcnt(12) lgkmcnt(1)
	v_mul_f64 v[4:5], v[134:135], v[160:161]
	v_mul_f64 v[182:183], v[132:133], v[160:161]
	v_fma_f64 v[4:5], v[132:133], v[162:163], -v[4:5]
	v_fmac_f64_e32 v[182:183], v[134:135], v[162:163]
	v_add_f64 v[2:3], v[2:3], v[4:5]
	s_waitcnt vmcnt(8) lgkmcnt(0)
	v_mul_f64 v[4:5], v[138:139], v[172:173]
	v_add_f64 v[180:181], v[180:181], v[182:183]
	v_mul_f64 v[182:183], v[136:137], v[172:173]
	s_waitcnt vmcnt(6)
	v_fma_f64 v[4:5], v[136:137], v[174:175], -v[4:5]
	v_fmac_f64_e32 v[182:183], v[138:139], v[174:175]
	v_add_f64 v[2:3], v[2:3], v[4:5]
	s_waitcnt vmcnt(5)
	v_mul_f64 v[4:5], v[142:143], v[168:169]
	v_add_f64 v[180:181], v[180:181], v[182:183]
	v_mul_f64 v[182:183], v[140:141], v[168:169]
	s_waitcnt vmcnt(4)
	v_fma_f64 v[4:5], v[140:141], v[170:171], -v[4:5]
	v_fmac_f64_e32 v[182:183], v[142:143], v[170:171]
	v_add_f64 v[2:3], v[2:3], v[4:5]
	v_add_f64 v[180:181], v[180:181], v[182:183]
	s_waitcnt vmcnt(2)
	v_add_f64 v[2:3], v[176:177], -v[2:3]
	s_waitcnt vmcnt(0)
	v_add_f64 v[4:5], v[178:179], -v[180:181]
	buffer_store_dword v3, off, s[0:3], 0 offset:132
	buffer_store_dword v2, off, s[0:3], 0 offset:128
	;; [unrolled: 1-line block ×4, first 2 shown]
	s_and_saveexec_b64 s[6:7], vcc
	s_cbranch_execz .LBB21_131
; %bb.130:
	buffer_load_dword v2, v121, s[0:3], 0 offen
	buffer_load_dword v3, v121, s[0:3], 0 offen offset:4
	buffer_load_dword v4, v121, s[0:3], 0 offen offset:8
	;; [unrolled: 1-line block ×3, first 2 shown]
	s_nop 0
	buffer_store_dword v24, off, s[0:3], 0 offset:112
	buffer_store_dword v24, off, s[0:3], 0 offset:116
	;; [unrolled: 1-line block ×4, first 2 shown]
	s_waitcnt vmcnt(4)
	ds_write_b128 v102, v[2:5]
.LBB21_131:
	s_or_b64 exec, exec, s[6:7]
	s_waitcnt lgkmcnt(0)
	; wave barrier
	s_waitcnt lgkmcnt(0)
	buffer_load_dword v2, off, s[0:3], 0 offset:128
	buffer_load_dword v3, off, s[0:3], 0 offset:132
	;; [unrolled: 1-line block ×60, first 2 shown]
	ds_read_b128 v[26:29], v24 offset:480
	ds_read_b128 v[74:77], v24 offset:496
	;; [unrolled: 1-line block ×8, first 2 shown]
	v_cmp_lt_u32_e32 vcc, 6, v130
	ds_read_b128 v[148:151], v24 offset:688
	s_waitcnt vmcnt(56) lgkmcnt(8)
	v_mul_f64 v[104:105], v[26:27], v[6:7]
	v_fmac_f64_e32 v[104:105], v[28:29], v[2:3]
	v_add_f64 v[104:105], v[104:105], 0
	v_mul_f64 v[6:7], v[28:29], v[6:7]
	s_waitcnt vmcnt(52) lgkmcnt(7)
	v_mul_f64 v[106:107], v[74:75], v[8:9]
	v_fmac_f64_e32 v[106:107], v[76:77], v[4:5]
	s_waitcnt vmcnt(50) lgkmcnt(6)
	v_mul_f64 v[132:133], v[78:79], v[10:11]
	v_add_f64 v[104:105], v[104:105], v[106:107]
	s_waitcnt vmcnt(48) lgkmcnt(4)
	v_mul_f64 v[136:137], v[86:87], v[12:13]
	v_fma_f64 v[2:3], v[26:27], v[2:3], -v[6:7]
	s_waitcnt vmcnt(46)
	v_fmac_f64_e32 v[136:137], v[88:89], v[14:15]
	v_mul_f64 v[6:7], v[76:77], v[8:9]
	s_waitcnt vmcnt(44)
	v_mul_f64 v[134:135], v[82:83], v[16:17]
	v_add_f64 v[2:3], v[2:3], 0
	v_fma_f64 v[4:5], v[74:75], v[4:5], -v[6:7]
	v_add_f64 v[2:3], v[2:3], v[4:5]
	s_waitcnt vmcnt(40) lgkmcnt(3)
	v_mul_f64 v[138:139], v[90:91], v[22:23]
	v_mul_f64 v[4:5], v[80:81], v[10:11]
	s_waitcnt vmcnt(38)
	v_fmac_f64_e32 v[132:133], v[80:81], v[108:109]
	v_add_f64 v[104:105], v[104:105], v[132:133]
	s_waitcnt vmcnt(36)
	v_fmac_f64_e32 v[134:135], v[84:85], v[152:153]
	v_add_f64 v[104:105], v[104:105], v[134:135]
	;; [unrolled: 3-line block ×3, first 2 shown]
	s_waitcnt vmcnt(32) lgkmcnt(2)
	v_mul_f64 v[106:107], v[94:95], v[18:19]
	v_add_f64 v[104:105], v[104:105], v[138:139]
	v_fmac_f64_e32 v[106:107], v[96:97], v[20:21]
	v_add_f64 v[132:133], v[104:105], v[106:107]
	ds_read_b128 v[104:107], v24 offset:608
	v_fma_f64 v[4:5], v[78:79], v[108:109], -v[4:5]
	v_add_f64 v[2:3], v[2:3], v[4:5]
	v_mul_f64 v[4:5], v[84:85], v[16:17]
	v_fma_f64 v[4:5], v[82:83], v[152:153], -v[4:5]
	s_waitcnt vmcnt(28) lgkmcnt(2)
	v_mul_f64 v[134:135], v[98:99], v[160:161]
	v_add_f64 v[2:3], v[2:3], v[4:5]
	v_mul_f64 v[4:5], v[88:89], v[12:13]
	s_waitcnt vmcnt(26)
	v_fmac_f64_e32 v[134:135], v[100:101], v[162:163]
	v_fma_f64 v[4:5], v[86:87], v[14:15], -v[4:5]
	v_add_f64 v[136:137], v[132:133], v[134:135]
	ds_read_b128 v[132:135], v24 offset:624
	s_waitcnt vmcnt(24) lgkmcnt(1)
	v_mul_f64 v[138:139], v[104:105], v[156:157]
	v_add_f64 v[2:3], v[2:3], v[4:5]
	v_mul_f64 v[4:5], v[92:93], v[22:23]
	v_fmac_f64_e32 v[138:139], v[106:107], v[158:159]
	v_fma_f64 v[4:5], v[90:91], v[154:155], -v[4:5]
	v_add_f64 v[140:141], v[136:137], v[138:139]
	ds_read_b128 v[136:139], v24 offset:640
	v_add_f64 v[2:3], v[2:3], v[4:5]
	v_mul_f64 v[4:5], v[96:97], v[18:19]
	v_fma_f64 v[4:5], v[94:95], v[20:21], -v[4:5]
	v_add_f64 v[2:3], v[2:3], v[4:5]
	v_mul_f64 v[4:5], v[100:101], v[160:161]
	s_waitcnt vmcnt(20) lgkmcnt(1)
	v_mul_f64 v[142:143], v[132:133], v[168:169]
	v_fma_f64 v[4:5], v[98:99], v[162:163], -v[4:5]
	s_waitcnt vmcnt(18)
	v_fmac_f64_e32 v[142:143], v[134:135], v[170:171]
	v_add_f64 v[2:3], v[2:3], v[4:5]
	v_mul_f64 v[4:5], v[106:107], v[156:157]
	v_add_f64 v[144:145], v[140:141], v[142:143]
	ds_read_b128 v[140:143], v24 offset:656
	s_waitcnt vmcnt(16) lgkmcnt(1)
	v_mul_f64 v[146:147], v[136:137], v[164:165]
	v_fma_f64 v[4:5], v[104:105], v[158:159], -v[4:5]
	v_fmac_f64_e32 v[146:147], v[138:139], v[166:167]
	v_add_f64 v[2:3], v[2:3], v[4:5]
	v_mul_f64 v[4:5], v[134:135], v[168:169]
	v_add_f64 v[188:189], v[144:145], v[146:147]
	ds_read_b128 v[144:147], v24 offset:672
	v_fma_f64 v[4:5], v[132:133], v[170:171], -v[4:5]
	v_add_f64 v[2:3], v[2:3], v[4:5]
	v_mul_f64 v[4:5], v[138:139], v[164:165]
	v_fma_f64 v[4:5], v[136:137], v[166:167], -v[4:5]
	v_add_f64 v[2:3], v[2:3], v[4:5]
	s_waitcnt vmcnt(12) lgkmcnt(1)
	v_mul_f64 v[4:5], v[142:143], v[176:177]
	v_mul_f64 v[190:191], v[140:141], v[176:177]
	s_waitcnt vmcnt(10)
	v_fma_f64 v[4:5], v[140:141], v[178:179], -v[4:5]
	v_fmac_f64_e32 v[190:191], v[142:143], v[178:179]
	v_add_f64 v[2:3], v[2:3], v[4:5]
	s_waitcnt vmcnt(8) lgkmcnt(0)
	v_mul_f64 v[4:5], v[146:147], v[172:173]
	v_add_f64 v[24:25], v[188:189], v[190:191]
	v_mul_f64 v[188:189], v[144:145], v[172:173]
	v_fma_f64 v[4:5], v[144:145], v[174:175], -v[4:5]
	v_fmac_f64_e32 v[188:189], v[146:147], v[174:175]
	v_add_f64 v[2:3], v[2:3], v[4:5]
	s_waitcnt vmcnt(6)
	v_mul_f64 v[4:5], v[150:151], v[180:181]
	v_add_f64 v[24:25], v[24:25], v[188:189]
	v_mul_f64 v[188:189], v[148:149], v[180:181]
	s_waitcnt vmcnt(4)
	v_fma_f64 v[4:5], v[148:149], v[182:183], -v[4:5]
	v_fmac_f64_e32 v[188:189], v[150:151], v[182:183]
	v_add_f64 v[2:3], v[2:3], v[4:5]
	v_add_f64 v[24:25], v[24:25], v[188:189]
	s_waitcnt vmcnt(2)
	v_add_f64 v[2:3], v[184:185], -v[2:3]
	s_waitcnt vmcnt(0)
	v_add_f64 v[4:5], v[186:187], -v[24:25]
	buffer_store_dword v3, off, s[0:3], 0 offset:116
	buffer_store_dword v2, off, s[0:3], 0 offset:112
	;; [unrolled: 1-line block ×4, first 2 shown]
	s_and_saveexec_b64 s[6:7], vcc
	s_cbranch_execz .LBB21_133
; %bb.132:
	buffer_load_dword v2, v126, s[0:3], 0 offen
	buffer_load_dword v3, v126, s[0:3], 0 offen offset:4
	buffer_load_dword v4, v126, s[0:3], 0 offen offset:8
	;; [unrolled: 1-line block ×3, first 2 shown]
	v_mov_b32_e32 v6, 0
	buffer_store_dword v6, off, s[0:3], 0 offset:96
	buffer_store_dword v6, off, s[0:3], 0 offset:100
	;; [unrolled: 1-line block ×4, first 2 shown]
	s_waitcnt vmcnt(4)
	ds_write_b128 v102, v[2:5]
.LBB21_133:
	s_or_b64 exec, exec, s[6:7]
	s_waitcnt lgkmcnt(0)
	; wave barrier
	s_waitcnt lgkmcnt(0)
	buffer_load_dword v2, off, s[0:3], 0 offset:112
	buffer_load_dword v3, off, s[0:3], 0 offset:116
	;; [unrolled: 1-line block ×64, first 2 shown]
	v_mov_b32_e32 v82, 0
	ds_read_b128 v[74:77], v82 offset:464
	ds_read_b128 v[78:81], v82 offset:480
	ds_read_b128 v[84:87], v82 offset:496
	ds_read_b128 v[88:91], v82 offset:512
	ds_read_b128 v[92:95], v82 offset:528
	ds_read_b128 v[96:99], v82 offset:544
	ds_read_b128 v[160:163], v82 offset:688
	v_cmp_lt_u32_e32 vcc, 5, v130
	s_waitcnt vmcnt(60) lgkmcnt(6)
	v_mul_f64 v[104:105], v[74:75], v[6:7]
	v_fmac_f64_e32 v[104:105], v[76:77], v[2:3]
	v_add_f64 v[104:105], v[104:105], 0
	v_mul_f64 v[6:7], v[76:77], v[6:7]
	s_waitcnt vmcnt(56) lgkmcnt(5)
	v_mul_f64 v[106:107], v[78:79], v[8:9]
	v_fmac_f64_e32 v[106:107], v[80:81], v[4:5]
	s_waitcnt vmcnt(54) lgkmcnt(4)
	v_mul_f64 v[132:133], v[84:85], v[10:11]
	v_add_f64 v[104:105], v[104:105], v[106:107]
	v_fma_f64 v[2:3], v[74:75], v[2:3], -v[6:7]
	v_mul_f64 v[6:7], v[80:81], v[8:9]
	s_waitcnt vmcnt(50) lgkmcnt(3)
	v_mul_f64 v[134:135], v[88:89], v[16:17]
	s_waitcnt vmcnt(49) lgkmcnt(2)
	v_mul_f64 v[136:137], v[92:93], v[12:13]
	v_add_f64 v[2:3], v[2:3], 0
	s_waitcnt vmcnt(47)
	v_fmac_f64_e32 v[132:133], v[86:87], v[20:21]
	v_add_f64 v[104:105], v[104:105], v[132:133]
	s_waitcnt vmcnt(45)
	v_fmac_f64_e32 v[134:135], v[90:91], v[18:19]
	;; [unrolled: 3-line block ×3, first 2 shown]
	v_add_f64 v[132:133], v[104:105], v[136:137]
	ds_read_b128 v[104:107], v82 offset:560
	s_waitcnt vmcnt(40) lgkmcnt(2)
	v_mul_f64 v[134:135], v[96:97], v[26:27]
	v_fma_f64 v[4:5], v[78:79], v[4:5], -v[6:7]
	s_waitcnt vmcnt(38)
	v_fmac_f64_e32 v[134:135], v[98:99], v[28:29]
	v_add_f64 v[136:137], v[132:133], v[134:135]
	ds_read_b128 v[132:135], v82 offset:576
	s_waitcnt vmcnt(36) lgkmcnt(1)
	v_mul_f64 v[138:139], v[104:105], v[22:23]
	v_fmac_f64_e32 v[138:139], v[106:107], v[24:25]
	v_add_f64 v[2:3], v[2:3], v[4:5]
	v_mul_f64 v[4:5], v[86:87], v[10:11]
	v_add_f64 v[140:141], v[136:137], v[138:139]
	ds_read_b128 v[136:139], v82 offset:592
	s_waitcnt vmcnt(32) lgkmcnt(1)
	v_mul_f64 v[142:143], v[132:133], v[164:165]
	v_fma_f64 v[4:5], v[84:85], v[20:21], -v[4:5]
	s_waitcnt vmcnt(30)
	v_fmac_f64_e32 v[142:143], v[134:135], v[166:167]
	v_add_f64 v[2:3], v[2:3], v[4:5]
	v_mul_f64 v[4:5], v[90:91], v[16:17]
	v_add_f64 v[144:145], v[140:141], v[142:143]
	ds_read_b128 v[140:143], v82 offset:608
	v_fma_f64 v[4:5], v[88:89], v[18:19], -v[4:5]
	v_add_f64 v[2:3], v[2:3], v[4:5]
	v_mul_f64 v[4:5], v[94:95], v[12:13]
	v_fma_f64 v[4:5], v[92:93], v[14:15], -v[4:5]
	s_waitcnt vmcnt(28) lgkmcnt(1)
	v_mul_f64 v[146:147], v[136:137], v[100:101]
	v_add_f64 v[2:3], v[2:3], v[4:5]
	v_mul_f64 v[4:5], v[98:99], v[26:27]
	v_fmac_f64_e32 v[146:147], v[138:139], v[108:109]
	v_fma_f64 v[4:5], v[96:97], v[28:29], -v[4:5]
	v_add_f64 v[148:149], v[144:145], v[146:147]
	ds_read_b128 v[144:147], v82 offset:624
	s_waitcnt vmcnt(24) lgkmcnt(1)
	v_mul_f64 v[150:151], v[140:141], v[172:173]
	v_add_f64 v[2:3], v[2:3], v[4:5]
	v_mul_f64 v[4:5], v[106:107], v[22:23]
	s_waitcnt vmcnt(22)
	v_fmac_f64_e32 v[150:151], v[142:143], v[174:175]
	v_fma_f64 v[4:5], v[104:105], v[24:25], -v[4:5]
	v_add_f64 v[152:153], v[148:149], v[150:151]
	ds_read_b128 v[148:151], v82 offset:640
	v_add_f64 v[2:3], v[2:3], v[4:5]
	v_mul_f64 v[4:5], v[134:135], v[164:165]
	v_fma_f64 v[4:5], v[132:133], v[166:167], -v[4:5]
	v_add_f64 v[2:3], v[2:3], v[4:5]
	v_mul_f64 v[4:5], v[138:139], v[100:101]
	s_waitcnt vmcnt(20) lgkmcnt(1)
	v_mul_f64 v[154:155], v[144:145], v[168:169]
	v_fma_f64 v[4:5], v[136:137], v[108:109], -v[4:5]
	v_fmac_f64_e32 v[154:155], v[146:147], v[170:171]
	v_add_f64 v[2:3], v[2:3], v[4:5]
	v_mul_f64 v[4:5], v[142:143], v[172:173]
	v_add_f64 v[156:157], v[152:153], v[154:155]
	ds_read_b128 v[152:155], v82 offset:656
	s_waitcnt vmcnt(16) lgkmcnt(1)
	v_mul_f64 v[158:159], v[148:149], v[180:181]
	v_fma_f64 v[4:5], v[140:141], v[174:175], -v[4:5]
	s_waitcnt vmcnt(14)
	v_fmac_f64_e32 v[158:159], v[150:151], v[182:183]
	v_add_f64 v[2:3], v[2:3], v[4:5]
	v_mul_f64 v[4:5], v[146:147], v[168:169]
	v_add_f64 v[196:197], v[156:157], v[158:159]
	ds_read_b128 v[156:159], v82 offset:672
	v_fma_f64 v[4:5], v[144:145], v[170:171], -v[4:5]
	v_add_f64 v[2:3], v[2:3], v[4:5]
	v_mul_f64 v[4:5], v[150:151], v[180:181]
	v_fma_f64 v[4:5], v[148:149], v[182:183], -v[4:5]
	v_add_f64 v[2:3], v[2:3], v[4:5]
	s_waitcnt vmcnt(12) lgkmcnt(1)
	v_mul_f64 v[4:5], v[154:155], v[176:177]
	v_mul_f64 v[198:199], v[152:153], v[176:177]
	v_fma_f64 v[4:5], v[152:153], v[178:179], -v[4:5]
	v_fmac_f64_e32 v[198:199], v[154:155], v[178:179]
	v_add_f64 v[2:3], v[2:3], v[4:5]
	s_waitcnt vmcnt(8) lgkmcnt(0)
	v_mul_f64 v[4:5], v[158:159], v[188:189]
	v_add_f64 v[196:197], v[196:197], v[198:199]
	v_mul_f64 v[198:199], v[156:157], v[188:189]
	s_waitcnt vmcnt(6)
	v_fma_f64 v[4:5], v[156:157], v[190:191], -v[4:5]
	v_fmac_f64_e32 v[198:199], v[158:159], v[190:191]
	v_add_f64 v[2:3], v[2:3], v[4:5]
	s_waitcnt vmcnt(5)
	v_mul_f64 v[4:5], v[162:163], v[184:185]
	v_add_f64 v[196:197], v[196:197], v[198:199]
	v_mul_f64 v[198:199], v[160:161], v[184:185]
	s_waitcnt vmcnt(4)
	v_fma_f64 v[4:5], v[160:161], v[186:187], -v[4:5]
	v_fmac_f64_e32 v[198:199], v[162:163], v[186:187]
	v_add_f64 v[2:3], v[2:3], v[4:5]
	v_add_f64 v[196:197], v[196:197], v[198:199]
	s_waitcnt vmcnt(2)
	v_add_f64 v[2:3], v[192:193], -v[2:3]
	s_waitcnt vmcnt(0)
	v_add_f64 v[4:5], v[194:195], -v[196:197]
	buffer_store_dword v3, off, s[0:3], 0 offset:100
	buffer_store_dword v2, off, s[0:3], 0 offset:96
	;; [unrolled: 1-line block ×4, first 2 shown]
	s_and_saveexec_b64 s[6:7], vcc
	s_cbranch_execz .LBB21_135
; %bb.134:
	buffer_load_dword v2, v125, s[0:3], 0 offen
	buffer_load_dword v3, v125, s[0:3], 0 offen offset:4
	buffer_load_dword v4, v125, s[0:3], 0 offen offset:8
	;; [unrolled: 1-line block ×3, first 2 shown]
	s_nop 0
	buffer_store_dword v82, off, s[0:3], 0 offset:80
	buffer_store_dword v82, off, s[0:3], 0 offset:84
	;; [unrolled: 1-line block ×4, first 2 shown]
	s_waitcnt vmcnt(4)
	ds_write_b128 v102, v[2:5]
.LBB21_135:
	s_or_b64 exec, exec, s[6:7]
	s_waitcnt lgkmcnt(0)
	; wave barrier
	s_waitcnt lgkmcnt(0)
	buffer_load_dword v2, off, s[0:3], 0 offset:96
	buffer_load_dword v3, off, s[0:3], 0 offset:100
	;; [unrolled: 1-line block ×64, first 2 shown]
	ds_read_b128 v[84:87], v82 offset:448
	ds_read_b128 v[88:91], v82 offset:464
	;; [unrolled: 1-line block ×4, first 2 shown]
	buffer_load_dword v200, off, s[0:3], 0 offset:80
	buffer_load_dword v201, off, s[0:3], 0 offset:84
	;; [unrolled: 1-line block ×4, first 2 shown]
	v_cmp_lt_u32_e32 vcc, 4, v130
	ds_read_b128 v[172:175], v82 offset:688
	s_waitcnt vmcnt(62) lgkmcnt(4)
	v_mul_f64 v[104:105], v[84:85], v[4:5]
	v_fmac_f64_e32 v[104:105], v[86:87], v[2:3]
	s_waitcnt lgkmcnt(3)
	v_mul_f64 v[106:107], v[88:89], v[6:7]
	v_add_f64 v[104:105], v[104:105], 0
	s_waitcnt vmcnt(60) lgkmcnt(2)
	v_mul_f64 v[132:133], v[92:93], v[8:9]
	v_mul_f64 v[4:5], v[86:87], v[4:5]
	v_fma_f64 v[2:3], v[84:85], v[2:3], -v[4:5]
	v_mul_f64 v[4:5], v[90:91], v[6:7]
	s_waitcnt vmcnt(56) lgkmcnt(1)
	v_mul_f64 v[134:135], v[96:97], v[14:15]
	v_add_f64 v[2:3], v[2:3], 0
	s_waitcnt vmcnt(54)
	v_fmac_f64_e32 v[106:107], v[90:91], v[20:21]
	v_add_f64 v[136:137], v[104:105], v[106:107]
	ds_read_b128 v[104:107], v82 offset:512
	s_waitcnt vmcnt(52)
	v_fmac_f64_e32 v[132:133], v[94:95], v[18:19]
	v_add_f64 v[132:133], v[136:137], v[132:133]
	s_waitcnt vmcnt(50)
	v_fmac_f64_e32 v[134:135], v[98:99], v[16:17]
	v_add_f64 v[136:137], v[132:133], v[134:135]
	ds_read_b128 v[132:135], v82 offset:528
	s_waitcnt vmcnt(48) lgkmcnt(1)
	v_mul_f64 v[138:139], v[104:105], v[10:11]
	v_fmac_f64_e32 v[138:139], v[106:107], v[12:13]
	v_add_f64 v[140:141], v[136:137], v[138:139]
	ds_read_b128 v[136:139], v82 offset:544
	s_waitcnt vmcnt(44) lgkmcnt(1)
	v_mul_f64 v[142:143], v[132:133], v[26:27]
	s_waitcnt vmcnt(42)
	v_fmac_f64_e32 v[142:143], v[134:135], v[28:29]
	v_add_f64 v[144:145], v[140:141], v[142:143]
	ds_read_b128 v[140:143], v82 offset:560
	s_waitcnt vmcnt(40) lgkmcnt(1)
	v_mul_f64 v[146:147], v[136:137], v[22:23]
	v_fmac_f64_e32 v[146:147], v[138:139], v[24:25]
	v_add_f64 v[148:149], v[144:145], v[146:147]
	ds_read_b128 v[144:147], v82 offset:576
	v_fma_f64 v[4:5], v[88:89], v[20:21], -v[4:5]
	v_add_f64 v[2:3], v[2:3], v[4:5]
	v_mul_f64 v[4:5], v[94:95], v[8:9]
	s_waitcnt vmcnt(36) lgkmcnt(1)
	v_mul_f64 v[150:151], v[140:141], v[78:79]
	v_fma_f64 v[4:5], v[92:93], v[18:19], -v[4:5]
	s_waitcnt vmcnt(34)
	v_fmac_f64_e32 v[150:151], v[142:143], v[80:81]
	v_add_f64 v[2:3], v[2:3], v[4:5]
	v_mul_f64 v[4:5], v[98:99], v[14:15]
	v_add_f64 v[152:153], v[148:149], v[150:151]
	ds_read_b128 v[148:151], v82 offset:592
	s_waitcnt vmcnt(32) lgkmcnt(1)
	v_mul_f64 v[154:155], v[144:145], v[74:75]
	v_fma_f64 v[4:5], v[96:97], v[16:17], -v[4:5]
	v_fmac_f64_e32 v[154:155], v[146:147], v[76:77]
	v_add_f64 v[2:3], v[2:3], v[4:5]
	v_mul_f64 v[4:5], v[106:107], v[10:11]
	v_add_f64 v[156:157], v[152:153], v[154:155]
	ds_read_b128 v[152:155], v82 offset:608
	v_fma_f64 v[4:5], v[104:105], v[12:13], -v[4:5]
	v_add_f64 v[2:3], v[2:3], v[4:5]
	v_mul_f64 v[4:5], v[134:135], v[26:27]
	v_fma_f64 v[4:5], v[132:133], v[28:29], -v[4:5]
	s_waitcnt vmcnt(28) lgkmcnt(1)
	v_mul_f64 v[158:159], v[148:149], v[176:177]
	v_add_f64 v[2:3], v[2:3], v[4:5]
	v_mul_f64 v[4:5], v[138:139], v[22:23]
	s_waitcnt vmcnt(26)
	v_fmac_f64_e32 v[158:159], v[150:151], v[178:179]
	v_fma_f64 v[4:5], v[136:137], v[24:25], -v[4:5]
	v_add_f64 v[160:161], v[156:157], v[158:159]
	ds_read_b128 v[156:159], v82 offset:624
	s_waitcnt vmcnt(24) lgkmcnt(1)
	v_mul_f64 v[162:163], v[152:153], v[100:101]
	v_add_f64 v[2:3], v[2:3], v[4:5]
	v_mul_f64 v[4:5], v[142:143], v[78:79]
	v_fmac_f64_e32 v[162:163], v[154:155], v[108:109]
	v_fma_f64 v[4:5], v[140:141], v[80:81], -v[4:5]
	v_add_f64 v[164:165], v[160:161], v[162:163]
	ds_read_b128 v[160:163], v82 offset:640
	v_add_f64 v[2:3], v[2:3], v[4:5]
	v_mul_f64 v[4:5], v[146:147], v[74:75]
	v_fma_f64 v[4:5], v[144:145], v[76:77], -v[4:5]
	v_add_f64 v[2:3], v[2:3], v[4:5]
	v_mul_f64 v[4:5], v[150:151], v[176:177]
	s_waitcnt vmcnt(20) lgkmcnt(1)
	v_mul_f64 v[166:167], v[156:157], v[184:185]
	v_fma_f64 v[4:5], v[148:149], v[178:179], -v[4:5]
	s_waitcnt vmcnt(18)
	v_fmac_f64_e32 v[166:167], v[158:159], v[186:187]
	v_add_f64 v[2:3], v[2:3], v[4:5]
	v_mul_f64 v[4:5], v[154:155], v[100:101]
	v_add_f64 v[168:169], v[164:165], v[166:167]
	ds_read_b128 v[164:167], v82 offset:656
	s_waitcnt vmcnt(16) lgkmcnt(1)
	v_mul_f64 v[170:171], v[160:161], v[180:181]
	v_fma_f64 v[4:5], v[152:153], v[108:109], -v[4:5]
	v_fmac_f64_e32 v[170:171], v[162:163], v[182:183]
	v_add_f64 v[2:3], v[2:3], v[4:5]
	v_mul_f64 v[4:5], v[158:159], v[184:185]
	v_add_f64 v[204:205], v[168:169], v[170:171]
	ds_read_b128 v[168:171], v82 offset:672
	v_fma_f64 v[4:5], v[156:157], v[186:187], -v[4:5]
	v_add_f64 v[2:3], v[2:3], v[4:5]
	v_mul_f64 v[4:5], v[162:163], v[180:181]
	v_fma_f64 v[4:5], v[160:161], v[182:183], -v[4:5]
	v_add_f64 v[2:3], v[2:3], v[4:5]
	s_waitcnt vmcnt(12) lgkmcnt(1)
	v_mul_f64 v[4:5], v[166:167], v[192:193]
	v_mul_f64 v[206:207], v[164:165], v[192:193]
	s_waitcnt vmcnt(10)
	v_fma_f64 v[4:5], v[164:165], v[194:195], -v[4:5]
	v_fmac_f64_e32 v[206:207], v[166:167], v[194:195]
	v_add_f64 v[2:3], v[2:3], v[4:5]
	s_waitcnt vmcnt(8) lgkmcnt(0)
	v_mul_f64 v[4:5], v[170:171], v[188:189]
	v_add_f64 v[82:83], v[204:205], v[206:207]
	v_mul_f64 v[204:205], v[168:169], v[188:189]
	v_fma_f64 v[4:5], v[168:169], v[190:191], -v[4:5]
	v_fmac_f64_e32 v[204:205], v[170:171], v[190:191]
	v_add_f64 v[2:3], v[2:3], v[4:5]
	s_waitcnt vmcnt(6)
	v_mul_f64 v[4:5], v[174:175], v[196:197]
	v_add_f64 v[82:83], v[82:83], v[204:205]
	v_mul_f64 v[204:205], v[172:173], v[196:197]
	s_waitcnt vmcnt(4)
	v_fma_f64 v[4:5], v[172:173], v[198:199], -v[4:5]
	v_fmac_f64_e32 v[204:205], v[174:175], v[198:199]
	v_add_f64 v[2:3], v[2:3], v[4:5]
	v_add_f64 v[82:83], v[82:83], v[204:205]
	s_waitcnt vmcnt(2)
	v_add_f64 v[2:3], v[200:201], -v[2:3]
	s_waitcnt vmcnt(0)
	v_add_f64 v[4:5], v[202:203], -v[82:83]
	buffer_store_dword v3, off, s[0:3], 0 offset:84
	buffer_store_dword v2, off, s[0:3], 0 offset:80
	;; [unrolled: 1-line block ×4, first 2 shown]
	s_and_saveexec_b64 s[6:7], vcc
	s_cbranch_execz .LBB21_137
; %bb.136:
	buffer_load_dword v2, v124, s[0:3], 0 offen
	buffer_load_dword v3, v124, s[0:3], 0 offen offset:4
	buffer_load_dword v4, v124, s[0:3], 0 offen offset:8
	;; [unrolled: 1-line block ×3, first 2 shown]
	v_mov_b32_e32 v6, 0
	buffer_store_dword v6, off, s[0:3], 0 offset:64
	buffer_store_dword v6, off, s[0:3], 0 offset:68
	;; [unrolled: 1-line block ×4, first 2 shown]
	s_waitcnt vmcnt(4)
	ds_write_b128 v102, v[2:5]
.LBB21_137:
	s_or_b64 exec, exec, s[6:7]
	s_waitcnt lgkmcnt(0)
	; wave barrier
	s_waitcnt lgkmcnt(0)
	buffer_load_dword v2, off, s[0:3], 0 offset:80
	buffer_load_dword v3, off, s[0:3], 0 offset:84
	;; [unrolled: 1-line block ×68, first 2 shown]
	v_mov_b32_e32 v90, 0
	ds_read_b128 v[86:89], v90 offset:432
	ds_read_b128 v[92:95], v90 offset:448
	buffer_load_dword v208, off, s[0:3], 0 offset:64
	buffer_load_dword v209, off, s[0:3], 0 offset:68
	;; [unrolled: 1-line block ×4, first 2 shown]
	ds_read_b128 v[96:99], v90 offset:464
	ds_read_b128 v[104:107], v90 offset:480
	;; [unrolled: 1-line block ×3, first 2 shown]
	v_cmp_lt_u32_e32 vcc, 3, v130
	s_waitcnt vmcnt(62) lgkmcnt(4)
	v_mul_f64 v[132:133], v[86:87], v[8:9]
	v_fmac_f64_e32 v[132:133], v[88:89], v[2:3]
	v_add_f64 v[132:133], v[132:133], 0
	v_mul_f64 v[8:9], v[88:89], v[8:9]
	s_waitcnt lgkmcnt(3)
	v_mul_f64 v[134:135], v[92:93], v[10:11]
	v_fmac_f64_e32 v[134:135], v[94:95], v[4:5]
	v_add_f64 v[132:133], v[132:133], v[134:135]
	v_fma_f64 v[2:3], v[86:87], v[2:3], -v[8:9]
	s_waitcnt vmcnt(60) lgkmcnt(2)
	v_mul_f64 v[134:135], v[96:97], v[12:13]
	v_fmac_f64_e32 v[134:135], v[98:99], v[6:7]
	v_add_f64 v[136:137], v[132:133], v[134:135]
	ds_read_b128 v[132:135], v90 offset:496
	s_waitcnt vmcnt(56) lgkmcnt(2)
	v_mul_f64 v[138:139], v[104:105], v[18:19]
	v_mul_f64 v[8:9], v[94:95], v[10:11]
	s_waitcnt vmcnt(54)
	v_fmac_f64_e32 v[138:139], v[106:107], v[20:21]
	v_add_f64 v[140:141], v[136:137], v[138:139]
	ds_read_b128 v[136:139], v90 offset:512
	s_waitcnt vmcnt(52) lgkmcnt(1)
	v_mul_f64 v[142:143], v[132:133], v[14:15]
	v_fmac_f64_e32 v[142:143], v[134:135], v[16:17]
	v_add_f64 v[144:145], v[140:141], v[142:143]
	ds_read_b128 v[140:143], v90 offset:528
	s_waitcnt vmcnt(48) lgkmcnt(1)
	v_mul_f64 v[146:147], v[136:137], v[26:27]
	s_waitcnt vmcnt(46)
	v_fmac_f64_e32 v[146:147], v[138:139], v[28:29]
	v_add_f64 v[148:149], v[144:145], v[146:147]
	ds_read_b128 v[144:147], v90 offset:544
	s_waitcnt vmcnt(44) lgkmcnt(1)
	v_mul_f64 v[150:151], v[140:141], v[22:23]
	v_fmac_f64_e32 v[150:151], v[142:143], v[24:25]
	v_add_f64 v[152:153], v[148:149], v[150:151]
	ds_read_b128 v[148:151], v90 offset:560
	s_waitcnt vmcnt(40) lgkmcnt(1)
	v_mul_f64 v[154:155], v[144:145], v[78:79]
	s_waitcnt vmcnt(38)
	v_fmac_f64_e32 v[154:155], v[146:147], v[80:81]
	v_add_f64 v[2:3], v[2:3], 0
	v_fma_f64 v[4:5], v[92:93], v[4:5], -v[8:9]
	v_add_f64 v[156:157], v[152:153], v[154:155]
	ds_read_b128 v[152:155], v90 offset:576
	v_add_f64 v[2:3], v[2:3], v[4:5]
	v_mul_f64 v[4:5], v[98:99], v[12:13]
	v_fma_f64 v[4:5], v[96:97], v[6:7], -v[4:5]
	v_add_f64 v[2:3], v[2:3], v[4:5]
	v_mul_f64 v[4:5], v[106:107], v[18:19]
	s_waitcnt vmcnt(36) lgkmcnt(1)
	v_mul_f64 v[158:159], v[148:149], v[74:75]
	v_fma_f64 v[4:5], v[104:105], v[20:21], -v[4:5]
	v_fmac_f64_e32 v[158:159], v[150:151], v[76:77]
	v_add_f64 v[2:3], v[2:3], v[4:5]
	v_mul_f64 v[4:5], v[134:135], v[14:15]
	v_add_f64 v[160:161], v[156:157], v[158:159]
	ds_read_b128 v[156:159], v90 offset:592
	s_waitcnt vmcnt(32) lgkmcnt(1)
	v_mul_f64 v[162:163], v[152:153], v[100:101]
	v_fma_f64 v[4:5], v[132:133], v[16:17], -v[4:5]
	s_waitcnt vmcnt(30)
	v_fmac_f64_e32 v[162:163], v[154:155], v[108:109]
	v_add_f64 v[2:3], v[2:3], v[4:5]
	v_mul_f64 v[4:5], v[138:139], v[26:27]
	v_add_f64 v[164:165], v[160:161], v[162:163]
	ds_read_b128 v[160:163], v90 offset:608
	v_fma_f64 v[4:5], v[136:137], v[28:29], -v[4:5]
	v_add_f64 v[2:3], v[2:3], v[4:5]
	v_mul_f64 v[4:5], v[142:143], v[22:23]
	v_fma_f64 v[4:5], v[140:141], v[24:25], -v[4:5]
	s_waitcnt vmcnt(28) lgkmcnt(1)
	v_mul_f64 v[166:167], v[156:157], v[82:83]
	v_add_f64 v[2:3], v[2:3], v[4:5]
	v_mul_f64 v[4:5], v[146:147], v[78:79]
	v_fmac_f64_e32 v[166:167], v[158:159], v[84:85]
	v_fma_f64 v[4:5], v[144:145], v[80:81], -v[4:5]
	v_add_f64 v[168:169], v[164:165], v[166:167]
	ds_read_b128 v[164:167], v90 offset:624
	s_waitcnt vmcnt(24) lgkmcnt(1)
	v_mul_f64 v[170:171], v[160:161], v[188:189]
	v_add_f64 v[2:3], v[2:3], v[4:5]
	v_mul_f64 v[4:5], v[150:151], v[74:75]
	s_waitcnt vmcnt(22)
	v_fmac_f64_e32 v[170:171], v[162:163], v[190:191]
	v_fma_f64 v[4:5], v[148:149], v[76:77], -v[4:5]
	v_add_f64 v[172:173], v[168:169], v[170:171]
	ds_read_b128 v[168:171], v90 offset:640
	v_add_f64 v[2:3], v[2:3], v[4:5]
	v_mul_f64 v[4:5], v[154:155], v[100:101]
	v_fma_f64 v[4:5], v[152:153], v[108:109], -v[4:5]
	v_add_f64 v[2:3], v[2:3], v[4:5]
	v_mul_f64 v[4:5], v[158:159], v[82:83]
	s_waitcnt vmcnt(20) lgkmcnt(1)
	v_mul_f64 v[174:175], v[164:165], v[184:185]
	v_fma_f64 v[4:5], v[156:157], v[84:85], -v[4:5]
	v_fmac_f64_e32 v[174:175], v[166:167], v[186:187]
	v_add_f64 v[2:3], v[2:3], v[4:5]
	v_mul_f64 v[4:5], v[162:163], v[188:189]
	v_add_f64 v[176:177], v[172:173], v[174:175]
	ds_read_b128 v[172:175], v90 offset:656
	s_waitcnt vmcnt(16) lgkmcnt(1)
	v_mul_f64 v[178:179], v[168:169], v[196:197]
	v_fma_f64 v[4:5], v[160:161], v[190:191], -v[4:5]
	s_waitcnt vmcnt(14)
	v_fmac_f64_e32 v[178:179], v[170:171], v[198:199]
	v_add_f64 v[2:3], v[2:3], v[4:5]
	v_mul_f64 v[4:5], v[166:167], v[184:185]
	v_add_f64 v[212:213], v[176:177], v[178:179]
	ds_read_b128 v[176:179], v90 offset:672
	v_fma_f64 v[4:5], v[164:165], v[186:187], -v[4:5]
	v_add_f64 v[2:3], v[2:3], v[4:5]
	v_mul_f64 v[4:5], v[170:171], v[196:197]
	v_fma_f64 v[4:5], v[168:169], v[198:199], -v[4:5]
	v_add_f64 v[2:3], v[2:3], v[4:5]
	s_waitcnt vmcnt(12) lgkmcnt(1)
	v_mul_f64 v[4:5], v[174:175], v[192:193]
	v_mul_f64 v[214:215], v[172:173], v[192:193]
	v_fma_f64 v[4:5], v[172:173], v[194:195], -v[4:5]
	v_fmac_f64_e32 v[214:215], v[174:175], v[194:195]
	v_add_f64 v[2:3], v[2:3], v[4:5]
	s_waitcnt vmcnt(8) lgkmcnt(0)
	v_mul_f64 v[4:5], v[178:179], v[204:205]
	v_add_f64 v[212:213], v[212:213], v[214:215]
	v_mul_f64 v[214:215], v[176:177], v[204:205]
	s_waitcnt vmcnt(6)
	v_fma_f64 v[4:5], v[176:177], v[206:207], -v[4:5]
	v_fmac_f64_e32 v[214:215], v[178:179], v[206:207]
	v_add_f64 v[2:3], v[2:3], v[4:5]
	s_waitcnt vmcnt(5)
	v_mul_f64 v[4:5], v[182:183], v[200:201]
	v_add_f64 v[212:213], v[212:213], v[214:215]
	v_mul_f64 v[214:215], v[180:181], v[200:201]
	s_waitcnt vmcnt(4)
	v_fma_f64 v[4:5], v[180:181], v[202:203], -v[4:5]
	v_fmac_f64_e32 v[214:215], v[182:183], v[202:203]
	v_add_f64 v[2:3], v[2:3], v[4:5]
	v_add_f64 v[212:213], v[212:213], v[214:215]
	s_waitcnt vmcnt(2)
	v_add_f64 v[2:3], v[208:209], -v[2:3]
	s_waitcnt vmcnt(0)
	v_add_f64 v[4:5], v[210:211], -v[212:213]
	buffer_store_dword v3, off, s[0:3], 0 offset:68
	buffer_store_dword v2, off, s[0:3], 0 offset:64
	buffer_store_dword v5, off, s[0:3], 0 offset:76
	buffer_store_dword v4, off, s[0:3], 0 offset:72
	s_and_saveexec_b64 s[6:7], vcc
	s_cbranch_execz .LBB21_139
; %bb.138:
	buffer_load_dword v2, v128, s[0:3], 0 offen
	buffer_load_dword v3, v128, s[0:3], 0 offen offset:4
	buffer_load_dword v4, v128, s[0:3], 0 offen offset:8
	;; [unrolled: 1-line block ×3, first 2 shown]
	s_nop 0
	buffer_store_dword v90, off, s[0:3], 0 offset:48
	buffer_store_dword v90, off, s[0:3], 0 offset:52
	buffer_store_dword v90, off, s[0:3], 0 offset:56
	buffer_store_dword v90, off, s[0:3], 0 offset:60
	s_waitcnt vmcnt(4)
	ds_write_b128 v102, v[2:5]
.LBB21_139:
	s_or_b64 exec, exec, s[6:7]
	s_waitcnt lgkmcnt(0)
	; wave barrier
	s_waitcnt lgkmcnt(0)
	buffer_load_dword v2, off, s[0:3], 0 offset:64
	buffer_load_dword v3, off, s[0:3], 0 offset:68
	;; [unrolled: 1-line block ×72, first 2 shown]
	ds_read_b128 v[92:95], v90 offset:416
	buffer_load_dword v216, off, s[0:3], 0 offset:48
	buffer_load_dword v217, off, s[0:3], 0 offset:52
	;; [unrolled: 1-line block ×4, first 2 shown]
	ds_read_b128 v[96:99], v90 offset:432
	ds_read_b128 v[104:107], v90 offset:448
	;; [unrolled: 1-line block ×3, first 2 shown]
	v_cmp_lt_u32_e32 vcc, 2, v130
	ds_read_b128 v[188:191], v90 offset:688
	s_waitcnt vmcnt(62) lgkmcnt(4)
	v_mul_f64 v[136:137], v[92:93], v[8:9]
	v_fmac_f64_e32 v[136:137], v[94:95], v[2:3]
	v_add_f64 v[136:137], v[136:137], 0
	v_mul_f64 v[8:9], v[94:95], v[8:9]
	s_waitcnt lgkmcnt(3)
	v_mul_f64 v[138:139], v[96:97], v[10:11]
	v_fmac_f64_e32 v[138:139], v[98:99], v[4:5]
	v_add_f64 v[136:137], v[136:137], v[138:139]
	v_fma_f64 v[2:3], v[92:93], v[2:3], -v[8:9]
	s_waitcnt lgkmcnt(2)
	v_mul_f64 v[138:139], v[104:105], v[12:13]
	v_fmac_f64_e32 v[138:139], v[106:107], v[6:7]
	v_add_f64 v[140:141], v[136:137], v[138:139]
	ds_read_b128 v[136:139], v90 offset:480
	s_waitcnt vmcnt(60) lgkmcnt(2)
	v_mul_f64 v[142:143], v[132:133], v[18:19]
	v_mul_f64 v[8:9], v[98:99], v[10:11]
	s_waitcnt vmcnt(58)
	v_fmac_f64_e32 v[142:143], v[134:135], v[20:21]
	v_add_f64 v[144:145], v[140:141], v[142:143]
	ds_read_b128 v[140:143], v90 offset:496
	s_waitcnt vmcnt(56) lgkmcnt(1)
	v_mul_f64 v[146:147], v[136:137], v[14:15]
	v_fmac_f64_e32 v[146:147], v[138:139], v[16:17]
	v_add_f64 v[148:149], v[144:145], v[146:147]
	ds_read_b128 v[144:147], v90 offset:512
	s_waitcnt vmcnt(52) lgkmcnt(1)
	v_mul_f64 v[150:151], v[140:141], v[26:27]
	s_waitcnt vmcnt(50)
	v_fmac_f64_e32 v[150:151], v[142:143], v[28:29]
	v_add_f64 v[152:153], v[148:149], v[150:151]
	ds_read_b128 v[148:151], v90 offset:528
	s_waitcnt vmcnt(48) lgkmcnt(1)
	v_mul_f64 v[154:155], v[144:145], v[22:23]
	v_fmac_f64_e32 v[154:155], v[146:147], v[24:25]
	v_add_f64 v[156:157], v[152:153], v[154:155]
	ds_read_b128 v[152:155], v90 offset:544
	s_waitcnt vmcnt(44) lgkmcnt(1)
	v_mul_f64 v[158:159], v[148:149], v[78:79]
	s_waitcnt vmcnt(42)
	v_fmac_f64_e32 v[158:159], v[150:151], v[80:81]
	v_add_f64 v[2:3], v[2:3], 0
	v_fma_f64 v[4:5], v[96:97], v[4:5], -v[8:9]
	v_add_f64 v[160:161], v[156:157], v[158:159]
	ds_read_b128 v[156:159], v90 offset:560
	s_waitcnt vmcnt(40) lgkmcnt(1)
	v_mul_f64 v[162:163], v[152:153], v[74:75]
	v_add_f64 v[2:3], v[2:3], v[4:5]
	v_mul_f64 v[4:5], v[106:107], v[12:13]
	v_fmac_f64_e32 v[162:163], v[154:155], v[76:77]
	v_fma_f64 v[4:5], v[104:105], v[6:7], -v[4:5]
	v_add_f64 v[164:165], v[160:161], v[162:163]
	ds_read_b128 v[160:163], v90 offset:576
	v_add_f64 v[2:3], v[2:3], v[4:5]
	v_mul_f64 v[4:5], v[134:135], v[18:19]
	v_fma_f64 v[4:5], v[132:133], v[20:21], -v[4:5]
	v_add_f64 v[2:3], v[2:3], v[4:5]
	v_mul_f64 v[4:5], v[138:139], v[14:15]
	s_waitcnt vmcnt(36) lgkmcnt(1)
	v_mul_f64 v[166:167], v[156:157], v[86:87]
	v_fma_f64 v[4:5], v[136:137], v[16:17], -v[4:5]
	s_waitcnt vmcnt(34)
	v_fmac_f64_e32 v[166:167], v[158:159], v[88:89]
	v_add_f64 v[2:3], v[2:3], v[4:5]
	v_mul_f64 v[4:5], v[142:143], v[26:27]
	v_add_f64 v[168:169], v[164:165], v[166:167]
	ds_read_b128 v[164:167], v90 offset:592
	s_waitcnt vmcnt(32) lgkmcnt(1)
	v_mul_f64 v[170:171], v[160:161], v[82:83]
	v_fma_f64 v[4:5], v[140:141], v[28:29], -v[4:5]
	v_fmac_f64_e32 v[170:171], v[162:163], v[84:85]
	v_add_f64 v[2:3], v[2:3], v[4:5]
	v_mul_f64 v[4:5], v[146:147], v[22:23]
	v_add_f64 v[172:173], v[168:169], v[170:171]
	ds_read_b128 v[168:171], v90 offset:608
	v_fma_f64 v[4:5], v[144:145], v[24:25], -v[4:5]
	v_add_f64 v[2:3], v[2:3], v[4:5]
	v_mul_f64 v[4:5], v[150:151], v[78:79]
	v_fma_f64 v[4:5], v[148:149], v[80:81], -v[4:5]
	s_waitcnt vmcnt(28) lgkmcnt(1)
	v_mul_f64 v[174:175], v[164:165], v[192:193]
	v_add_f64 v[2:3], v[2:3], v[4:5]
	v_mul_f64 v[4:5], v[154:155], v[74:75]
	s_waitcnt vmcnt(26)
	v_fmac_f64_e32 v[174:175], v[166:167], v[194:195]
	v_fma_f64 v[4:5], v[152:153], v[76:77], -v[4:5]
	v_add_f64 v[176:177], v[172:173], v[174:175]
	ds_read_b128 v[172:175], v90 offset:624
	s_waitcnt vmcnt(24) lgkmcnt(1)
	v_mul_f64 v[178:179], v[168:169], v[100:101]
	v_add_f64 v[2:3], v[2:3], v[4:5]
	v_mul_f64 v[4:5], v[158:159], v[86:87]
	v_fmac_f64_e32 v[178:179], v[170:171], v[108:109]
	v_fma_f64 v[4:5], v[156:157], v[88:89], -v[4:5]
	v_add_f64 v[180:181], v[176:177], v[178:179]
	ds_read_b128 v[176:179], v90 offset:640
	v_add_f64 v[2:3], v[2:3], v[4:5]
	v_mul_f64 v[4:5], v[162:163], v[82:83]
	v_fma_f64 v[4:5], v[160:161], v[84:85], -v[4:5]
	v_add_f64 v[2:3], v[2:3], v[4:5]
	v_mul_f64 v[4:5], v[166:167], v[192:193]
	s_waitcnt vmcnt(20) lgkmcnt(1)
	v_mul_f64 v[182:183], v[172:173], v[200:201]
	v_fma_f64 v[4:5], v[164:165], v[194:195], -v[4:5]
	s_waitcnt vmcnt(18)
	v_fmac_f64_e32 v[182:183], v[174:175], v[202:203]
	v_add_f64 v[2:3], v[2:3], v[4:5]
	v_mul_f64 v[4:5], v[170:171], v[100:101]
	v_add_f64 v[184:185], v[180:181], v[182:183]
	ds_read_b128 v[180:183], v90 offset:656
	s_waitcnt vmcnt(16) lgkmcnt(1)
	v_mul_f64 v[186:187], v[176:177], v[196:197]
	v_fma_f64 v[4:5], v[168:169], v[108:109], -v[4:5]
	v_fmac_f64_e32 v[186:187], v[178:179], v[198:199]
	v_add_f64 v[2:3], v[2:3], v[4:5]
	v_mul_f64 v[4:5], v[174:175], v[200:201]
	v_add_f64 v[220:221], v[184:185], v[186:187]
	ds_read_b128 v[184:187], v90 offset:672
	v_fma_f64 v[4:5], v[172:173], v[202:203], -v[4:5]
	v_add_f64 v[2:3], v[2:3], v[4:5]
	v_mul_f64 v[4:5], v[178:179], v[196:197]
	v_fma_f64 v[4:5], v[176:177], v[198:199], -v[4:5]
	v_add_f64 v[2:3], v[2:3], v[4:5]
	s_waitcnt vmcnt(12) lgkmcnt(1)
	v_mul_f64 v[4:5], v[182:183], v[208:209]
	v_mul_f64 v[222:223], v[180:181], v[208:209]
	s_waitcnt vmcnt(10)
	v_fma_f64 v[4:5], v[180:181], v[210:211], -v[4:5]
	v_fmac_f64_e32 v[222:223], v[182:183], v[210:211]
	v_add_f64 v[2:3], v[2:3], v[4:5]
	s_waitcnt vmcnt(8) lgkmcnt(0)
	v_mul_f64 v[4:5], v[186:187], v[204:205]
	v_add_f64 v[90:91], v[220:221], v[222:223]
	v_mul_f64 v[220:221], v[184:185], v[204:205]
	v_fma_f64 v[4:5], v[184:185], v[206:207], -v[4:5]
	v_fmac_f64_e32 v[220:221], v[186:187], v[206:207]
	v_add_f64 v[2:3], v[2:3], v[4:5]
	s_waitcnt vmcnt(6)
	v_mul_f64 v[4:5], v[190:191], v[212:213]
	v_add_f64 v[90:91], v[90:91], v[220:221]
	v_mul_f64 v[220:221], v[188:189], v[212:213]
	s_waitcnt vmcnt(4)
	v_fma_f64 v[4:5], v[188:189], v[214:215], -v[4:5]
	v_fmac_f64_e32 v[220:221], v[190:191], v[214:215]
	v_add_f64 v[2:3], v[2:3], v[4:5]
	v_add_f64 v[90:91], v[90:91], v[220:221]
	s_waitcnt vmcnt(2)
	v_add_f64 v[2:3], v[216:217], -v[2:3]
	s_waitcnt vmcnt(0)
	v_add_f64 v[4:5], v[218:219], -v[90:91]
	buffer_store_dword v3, off, s[0:3], 0 offset:52
	buffer_store_dword v2, off, s[0:3], 0 offset:48
	;; [unrolled: 1-line block ×4, first 2 shown]
	s_and_saveexec_b64 s[6:7], vcc
	s_cbranch_execz .LBB21_141
; %bb.140:
	buffer_load_dword v2, v129, s[0:3], 0 offen
	buffer_load_dword v3, v129, s[0:3], 0 offen offset:4
	buffer_load_dword v4, v129, s[0:3], 0 offen offset:8
	;; [unrolled: 1-line block ×3, first 2 shown]
	v_mov_b32_e32 v6, 0
	buffer_store_dword v6, off, s[0:3], 0 offset:32
	buffer_store_dword v6, off, s[0:3], 0 offset:36
	;; [unrolled: 1-line block ×4, first 2 shown]
	s_waitcnt vmcnt(4)
	ds_write_b128 v102, v[2:5]
.LBB21_141:
	s_or_b64 exec, exec, s[6:7]
	s_waitcnt lgkmcnt(0)
	; wave barrier
	s_waitcnt lgkmcnt(0)
	buffer_load_dword v2, off, s[0:3], 0 offset:48
	buffer_load_dword v3, off, s[0:3], 0 offset:52
	;; [unrolled: 1-line block ×76, first 2 shown]
	v_mov_b32_e32 v98, 0
	ds_read_b128 v[104:107], v98 offset:400
	buffer_load_dword v224, off, s[0:3], 0 offset:32
	buffer_load_dword v225, off, s[0:3], 0 offset:36
	;; [unrolled: 1-line block ×4, first 2 shown]
	ds_read_b128 v[132:135], v98 offset:416
	ds_read_b128 v[136:139], v98 offset:432
	;; [unrolled: 1-line block ×4, first 2 shown]
	v_cmp_lt_u32_e32 vcc, 1, v130
	s_waitcnt vmcnt(62) lgkmcnt(4)
	v_mul_f64 v[144:145], v[104:105], v[8:9]
	v_fmac_f64_e32 v[144:145], v[106:107], v[2:3]
	v_add_f64 v[144:145], v[144:145], 0
	v_mul_f64 v[8:9], v[106:107], v[8:9]
	s_waitcnt lgkmcnt(3)
	v_mul_f64 v[146:147], v[132:133], v[10:11]
	v_fmac_f64_e32 v[146:147], v[134:135], v[4:5]
	v_add_f64 v[144:145], v[144:145], v[146:147]
	v_fma_f64 v[2:3], v[104:105], v[2:3], -v[8:9]
	s_waitcnt lgkmcnt(2)
	v_mul_f64 v[146:147], v[136:137], v[12:13]
	v_fmac_f64_e32 v[146:147], v[138:139], v[6:7]
	v_add_f64 v[148:149], v[144:145], v[146:147]
	ds_read_b128 v[144:147], v98 offset:464
	s_waitcnt lgkmcnt(2)
	v_mul_f64 v[150:151], v[140:141], v[18:19]
	v_mul_f64 v[8:9], v[134:135], v[10:11]
	v_fmac_f64_e32 v[150:151], v[142:143], v[20:21]
	v_add_f64 v[152:153], v[148:149], v[150:151]
	ds_read_b128 v[148:151], v98 offset:480
	s_waitcnt vmcnt(60) lgkmcnt(1)
	v_mul_f64 v[154:155], v[144:145], v[14:15]
	v_fmac_f64_e32 v[154:155], v[146:147], v[16:17]
	v_add_f64 v[156:157], v[152:153], v[154:155]
	ds_read_b128 v[152:155], v98 offset:496
	s_waitcnt vmcnt(56) lgkmcnt(1)
	v_mul_f64 v[158:159], v[148:149], v[26:27]
	s_waitcnt vmcnt(54)
	v_fmac_f64_e32 v[158:159], v[150:151], v[28:29]
	v_add_f64 v[160:161], v[156:157], v[158:159]
	ds_read_b128 v[156:159], v98 offset:512
	s_waitcnt vmcnt(52) lgkmcnt(1)
	v_mul_f64 v[162:163], v[152:153], v[22:23]
	v_fmac_f64_e32 v[162:163], v[154:155], v[24:25]
	v_add_f64 v[164:165], v[160:161], v[162:163]
	ds_read_b128 v[160:163], v98 offset:528
	s_waitcnt vmcnt(48) lgkmcnt(1)
	v_mul_f64 v[166:167], v[156:157], v[78:79]
	s_waitcnt vmcnt(46)
	v_fmac_f64_e32 v[166:167], v[158:159], v[80:81]
	v_add_f64 v[168:169], v[164:165], v[166:167]
	ds_read_b128 v[164:167], v98 offset:544
	v_add_f64 v[2:3], v[2:3], 0
	v_fma_f64 v[4:5], v[132:133], v[4:5], -v[8:9]
	s_waitcnt vmcnt(44) lgkmcnt(1)
	v_mul_f64 v[170:171], v[160:161], v[74:75]
	v_add_f64 v[2:3], v[2:3], v[4:5]
	v_mul_f64 v[4:5], v[138:139], v[12:13]
	v_fmac_f64_e32 v[170:171], v[162:163], v[76:77]
	v_fma_f64 v[4:5], v[136:137], v[6:7], -v[4:5]
	v_add_f64 v[172:173], v[168:169], v[170:171]
	ds_read_b128 v[168:171], v98 offset:560
	s_waitcnt vmcnt(40) lgkmcnt(1)
	v_mul_f64 v[174:175], v[164:165], v[86:87]
	v_add_f64 v[2:3], v[2:3], v[4:5]
	v_mul_f64 v[4:5], v[142:143], v[18:19]
	s_waitcnt vmcnt(38)
	v_fmac_f64_e32 v[174:175], v[166:167], v[88:89]
	v_fma_f64 v[4:5], v[140:141], v[20:21], -v[4:5]
	v_add_f64 v[176:177], v[172:173], v[174:175]
	ds_read_b128 v[172:175], v98 offset:576
	v_add_f64 v[2:3], v[2:3], v[4:5]
	v_mul_f64 v[4:5], v[146:147], v[14:15]
	v_fma_f64 v[4:5], v[144:145], v[16:17], -v[4:5]
	v_add_f64 v[2:3], v[2:3], v[4:5]
	v_mul_f64 v[4:5], v[150:151], v[26:27]
	s_waitcnt vmcnt(36) lgkmcnt(1)
	v_mul_f64 v[178:179], v[168:169], v[82:83]
	v_fma_f64 v[4:5], v[148:149], v[28:29], -v[4:5]
	v_fmac_f64_e32 v[178:179], v[170:171], v[84:85]
	v_add_f64 v[2:3], v[2:3], v[4:5]
	v_mul_f64 v[4:5], v[154:155], v[22:23]
	v_add_f64 v[180:181], v[176:177], v[178:179]
	ds_read_b128 v[176:179], v98 offset:592
	s_waitcnt vmcnt(32) lgkmcnt(1)
	v_mul_f64 v[182:183], v[172:173], v[94:95]
	v_fma_f64 v[4:5], v[152:153], v[24:25], -v[4:5]
	s_waitcnt vmcnt(30)
	v_fmac_f64_e32 v[182:183], v[174:175], v[96:97]
	v_add_f64 v[2:3], v[2:3], v[4:5]
	v_mul_f64 v[4:5], v[158:159], v[78:79]
	v_add_f64 v[184:185], v[180:181], v[182:183]
	ds_read_b128 v[180:183], v98 offset:608
	v_fma_f64 v[4:5], v[156:157], v[80:81], -v[4:5]
	v_add_f64 v[2:3], v[2:3], v[4:5]
	v_mul_f64 v[4:5], v[162:163], v[74:75]
	v_fma_f64 v[4:5], v[160:161], v[76:77], -v[4:5]
	s_waitcnt vmcnt(28) lgkmcnt(1)
	v_mul_f64 v[186:187], v[176:177], v[90:91]
	v_add_f64 v[2:3], v[2:3], v[4:5]
	v_mul_f64 v[4:5], v[166:167], v[86:87]
	v_fmac_f64_e32 v[186:187], v[178:179], v[92:93]
	v_fma_f64 v[4:5], v[164:165], v[88:89], -v[4:5]
	v_add_f64 v[188:189], v[184:185], v[186:187]
	ds_read_b128 v[184:187], v98 offset:624
	s_waitcnt vmcnt(24) lgkmcnt(1)
	v_mul_f64 v[190:191], v[180:181], v[204:205]
	v_add_f64 v[2:3], v[2:3], v[4:5]
	v_mul_f64 v[4:5], v[170:171], v[82:83]
	s_waitcnt vmcnt(22)
	v_fmac_f64_e32 v[190:191], v[182:183], v[206:207]
	v_fma_f64 v[4:5], v[168:169], v[84:85], -v[4:5]
	v_add_f64 v[192:193], v[188:189], v[190:191]
	ds_read_b128 v[188:191], v98 offset:640
	v_add_f64 v[2:3], v[2:3], v[4:5]
	v_mul_f64 v[4:5], v[174:175], v[94:95]
	v_fma_f64 v[4:5], v[172:173], v[96:97], -v[4:5]
	v_add_f64 v[2:3], v[2:3], v[4:5]
	v_mul_f64 v[4:5], v[178:179], v[90:91]
	s_waitcnt vmcnt(20) lgkmcnt(1)
	v_mul_f64 v[194:195], v[184:185], v[100:101]
	v_fma_f64 v[4:5], v[176:177], v[92:93], -v[4:5]
	v_fmac_f64_e32 v[194:195], v[186:187], v[108:109]
	v_add_f64 v[2:3], v[2:3], v[4:5]
	v_mul_f64 v[4:5], v[182:183], v[204:205]
	v_add_f64 v[196:197], v[192:193], v[194:195]
	ds_read_b128 v[192:195], v98 offset:656
	s_waitcnt vmcnt(16) lgkmcnt(1)
	v_mul_f64 v[198:199], v[188:189], v[212:213]
	v_fma_f64 v[4:5], v[180:181], v[206:207], -v[4:5]
	s_waitcnt vmcnt(14)
	v_fmac_f64_e32 v[198:199], v[190:191], v[214:215]
	v_add_f64 v[2:3], v[2:3], v[4:5]
	v_mul_f64 v[4:5], v[186:187], v[100:101]
	v_add_f64 v[228:229], v[196:197], v[198:199]
	ds_read_b128 v[196:199], v98 offset:672
	v_fma_f64 v[4:5], v[184:185], v[108:109], -v[4:5]
	v_add_f64 v[2:3], v[2:3], v[4:5]
	v_mul_f64 v[4:5], v[190:191], v[212:213]
	v_fma_f64 v[4:5], v[188:189], v[214:215], -v[4:5]
	v_add_f64 v[2:3], v[2:3], v[4:5]
	s_waitcnt vmcnt(12) lgkmcnt(1)
	v_mul_f64 v[4:5], v[194:195], v[208:209]
	v_mul_f64 v[230:231], v[192:193], v[208:209]
	v_fma_f64 v[4:5], v[192:193], v[210:211], -v[4:5]
	v_fmac_f64_e32 v[230:231], v[194:195], v[210:211]
	v_add_f64 v[2:3], v[2:3], v[4:5]
	s_waitcnt vmcnt(8) lgkmcnt(0)
	v_mul_f64 v[4:5], v[198:199], v[220:221]
	v_add_f64 v[228:229], v[228:229], v[230:231]
	v_mul_f64 v[230:231], v[196:197], v[220:221]
	s_waitcnt vmcnt(6)
	v_fma_f64 v[4:5], v[196:197], v[222:223], -v[4:5]
	v_fmac_f64_e32 v[230:231], v[198:199], v[222:223]
	v_add_f64 v[2:3], v[2:3], v[4:5]
	s_waitcnt vmcnt(5)
	v_mul_f64 v[4:5], v[202:203], v[216:217]
	v_add_f64 v[228:229], v[228:229], v[230:231]
	v_mul_f64 v[230:231], v[200:201], v[216:217]
	s_waitcnt vmcnt(4)
	v_fma_f64 v[4:5], v[200:201], v[218:219], -v[4:5]
	v_fmac_f64_e32 v[230:231], v[202:203], v[218:219]
	v_add_f64 v[2:3], v[2:3], v[4:5]
	v_add_f64 v[228:229], v[228:229], v[230:231]
	s_waitcnt vmcnt(2)
	v_add_f64 v[2:3], v[224:225], -v[2:3]
	s_waitcnt vmcnt(0)
	v_add_f64 v[4:5], v[226:227], -v[228:229]
	buffer_store_dword v3, off, s[0:3], 0 offset:36
	buffer_store_dword v2, off, s[0:3], 0 offset:32
	buffer_store_dword v5, off, s[0:3], 0 offset:44
	buffer_store_dword v4, off, s[0:3], 0 offset:40
	s_and_saveexec_b64 s[6:7], vcc
	s_cbranch_execz .LBB21_143
; %bb.142:
	buffer_load_dword v2, v127, s[0:3], 0 offen
	buffer_load_dword v3, v127, s[0:3], 0 offen offset:4
	buffer_load_dword v4, v127, s[0:3], 0 offen offset:8
	buffer_load_dword v5, v127, s[0:3], 0 offen offset:12
	s_nop 0
	buffer_store_dword v98, off, s[0:3], 0 offset:16
	buffer_store_dword v98, off, s[0:3], 0 offset:20
	;; [unrolled: 1-line block ×4, first 2 shown]
	s_waitcnt vmcnt(4)
	ds_write_b128 v102, v[2:5]
.LBB21_143:
	s_or_b64 exec, exec, s[6:7]
	s_waitcnt lgkmcnt(0)
	; wave barrier
	s_waitcnt lgkmcnt(0)
	buffer_load_dword v2, off, s[0:3], 0 offset:32
	buffer_load_dword v3, off, s[0:3], 0 offset:36
	;; [unrolled: 1-line block ×76, first 2 shown]
	ds_read_b128 v[104:107], v98 offset:384
	buffer_load_dword v227, off, s[0:3], 0 offset:348
	buffer_load_dword v226, off, s[0:3], 0 offset:344
	;; [unrolled: 1-line block ×8, first 2 shown]
	ds_read_b128 v[132:135], v98 offset:400
	ds_read_b128 v[136:139], v98 offset:416
	;; [unrolled: 1-line block ×3, first 2 shown]
	v_cmp_ne_u32_e32 vcc, 0, v130
	s_waitcnt vmcnt(62) lgkmcnt(3)
	v_mul_f64 v[100:101], v[104:105], v[8:9]
	v_fmac_f64_e32 v[100:101], v[106:107], v[2:3]
	v_add_f64 v[100:101], v[100:101], 0
	v_mul_f64 v[8:9], v[106:107], v[8:9]
	s_waitcnt lgkmcnt(2)
	v_mul_f64 v[144:145], v[132:133], v[10:11]
	v_fmac_f64_e32 v[144:145], v[134:135], v[4:5]
	v_add_f64 v[100:101], v[100:101], v[144:145]
	v_fma_f64 v[2:3], v[104:105], v[2:3], -v[8:9]
	s_waitcnt lgkmcnt(1)
	v_mul_f64 v[144:145], v[136:137], v[12:13]
	v_fmac_f64_e32 v[144:145], v[138:139], v[6:7]
	v_add_f64 v[100:101], v[100:101], v[144:145]
	ds_read_b128 v[144:147], v98 offset:448
	v_mul_f64 v[8:9], v[134:135], v[10:11]
	v_add_f64 v[2:3], v[2:3], 0
	s_waitcnt lgkmcnt(1)
	v_mul_f64 v[148:149], v[140:141], v[18:19]
	v_fma_f64 v[4:5], v[132:133], v[4:5], -v[8:9]
	v_fmac_f64_e32 v[148:149], v[142:143], v[20:21]
	v_add_f64 v[100:101], v[100:101], v[148:149]
	ds_read_b128 v[148:151], v98 offset:464
	s_waitcnt lgkmcnt(1)
	v_mul_f64 v[152:153], v[144:145], v[14:15]
	v_fmac_f64_e32 v[152:153], v[146:147], v[16:17]
	v_add_f64 v[100:101], v[100:101], v[152:153]
	ds_read_b128 v[152:155], v98 offset:480
	s_waitcnt vmcnt(58) lgkmcnt(1)
	v_mul_f64 v[156:157], v[148:149], v[26:27]
	s_waitcnt vmcnt(56)
	v_fmac_f64_e32 v[156:157], v[150:151], v[28:29]
	v_add_f64 v[100:101], v[100:101], v[156:157]
	ds_read_b128 v[156:159], v98 offset:496
	s_waitcnt lgkmcnt(1)
	v_mul_f64 v[160:161], v[152:153], v[22:23]
	v_fmac_f64_e32 v[160:161], v[154:155], v[24:25]
	v_add_f64 v[100:101], v[100:101], v[160:161]
	ds_read_b128 v[160:163], v98 offset:512
	s_waitcnt vmcnt(50) lgkmcnt(1)
	v_mul_f64 v[164:165], v[156:157], v[78:79]
	s_waitcnt vmcnt(48)
	v_fmac_f64_e32 v[164:165], v[158:159], v[80:81]
	v_add_f64 v[100:101], v[100:101], v[164:165]
	ds_read_b128 v[164:167], v98 offset:528
	s_waitcnt lgkmcnt(1)
	v_mul_f64 v[168:169], v[160:161], v[74:75]
	v_fmac_f64_e32 v[168:169], v[162:163], v[76:77]
	v_add_f64 v[100:101], v[100:101], v[168:169]
	ds_read_b128 v[168:171], v98 offset:544
	v_add_f64 v[2:3], v[2:3], v[4:5]
	v_mul_f64 v[4:5], v[138:139], v[12:13]
	v_fma_f64 v[4:5], v[136:137], v[6:7], -v[4:5]
	s_waitcnt vmcnt(42) lgkmcnt(1)
	v_mul_f64 v[172:173], v[164:165], v[86:87]
	v_add_f64 v[2:3], v[2:3], v[4:5]
	v_mul_f64 v[4:5], v[142:143], v[18:19]
	s_waitcnt vmcnt(40)
	v_fmac_f64_e32 v[172:173], v[166:167], v[88:89]
	v_fma_f64 v[4:5], v[140:141], v[20:21], -v[4:5]
	v_add_f64 v[100:101], v[100:101], v[172:173]
	ds_read_b128 v[172:175], v98 offset:560
	s_waitcnt lgkmcnt(1)
	v_mul_f64 v[176:177], v[168:169], v[82:83]
	v_add_f64 v[2:3], v[2:3], v[4:5]
	v_mul_f64 v[4:5], v[146:147], v[14:15]
	v_fmac_f64_e32 v[176:177], v[170:171], v[84:85]
	v_fma_f64 v[4:5], v[144:145], v[16:17], -v[4:5]
	v_add_f64 v[100:101], v[100:101], v[176:177]
	ds_read_b128 v[176:179], v98 offset:576
	v_add_f64 v[2:3], v[2:3], v[4:5]
	v_mul_f64 v[4:5], v[150:151], v[26:27]
	v_fma_f64 v[4:5], v[148:149], v[28:29], -v[4:5]
	v_add_f64 v[2:3], v[2:3], v[4:5]
	v_mul_f64 v[4:5], v[154:155], v[22:23]
	s_waitcnt vmcnt(34) lgkmcnt(1)
	v_mul_f64 v[180:181], v[172:173], v[94:95]
	v_fma_f64 v[4:5], v[152:153], v[24:25], -v[4:5]
	s_waitcnt vmcnt(32)
	v_fmac_f64_e32 v[180:181], v[174:175], v[96:97]
	v_add_f64 v[2:3], v[2:3], v[4:5]
	v_mul_f64 v[4:5], v[158:159], v[78:79]
	v_add_f64 v[100:101], v[100:101], v[180:181]
	ds_read_b128 v[180:183], v98 offset:592
	s_waitcnt lgkmcnt(1)
	v_mul_f64 v[184:185], v[176:177], v[90:91]
	v_fma_f64 v[4:5], v[156:157], v[80:81], -v[4:5]
	v_fmac_f64_e32 v[184:185], v[178:179], v[92:93]
	v_add_f64 v[2:3], v[2:3], v[4:5]
	v_mul_f64 v[4:5], v[162:163], v[74:75]
	v_add_f64 v[100:101], v[100:101], v[184:185]
	ds_read_b128 v[184:187], v98 offset:608
	v_fma_f64 v[4:5], v[160:161], v[76:77], -v[4:5]
	v_add_f64 v[2:3], v[2:3], v[4:5]
	v_mul_f64 v[4:5], v[166:167], v[86:87]
	v_fma_f64 v[4:5], v[164:165], v[88:89], -v[4:5]
	s_waitcnt vmcnt(26) lgkmcnt(1)
	v_mul_f64 v[188:189], v[180:181], v[206:207]
	v_add_f64 v[2:3], v[2:3], v[4:5]
	v_mul_f64 v[4:5], v[170:171], v[82:83]
	s_waitcnt vmcnt(24)
	v_fmac_f64_e32 v[188:189], v[182:183], v[208:209]
	v_fma_f64 v[4:5], v[168:169], v[84:85], -v[4:5]
	v_add_f64 v[100:101], v[100:101], v[188:189]
	ds_read_b128 v[188:191], v98 offset:624
	s_waitcnt lgkmcnt(1)
	v_mul_f64 v[192:193], v[184:185], v[108:109]
	v_add_f64 v[2:3], v[2:3], v[4:5]
	v_mul_f64 v[4:5], v[174:175], v[94:95]
	v_fmac_f64_e32 v[192:193], v[186:187], v[204:205]
	v_fma_f64 v[4:5], v[172:173], v[96:97], -v[4:5]
	v_add_f64 v[100:101], v[100:101], v[192:193]
	ds_read_b128 v[192:195], v98 offset:640
	v_add_f64 v[2:3], v[2:3], v[4:5]
	v_mul_f64 v[4:5], v[178:179], v[90:91]
	v_fma_f64 v[4:5], v[176:177], v[92:93], -v[4:5]
	v_add_f64 v[2:3], v[2:3], v[4:5]
	v_mul_f64 v[4:5], v[182:183], v[206:207]
	s_waitcnt vmcnt(18) lgkmcnt(1)
	v_mul_f64 v[196:197], v[188:189], v[214:215]
	v_fma_f64 v[4:5], v[180:181], v[208:209], -v[4:5]
	s_waitcnt vmcnt(16)
	v_fmac_f64_e32 v[196:197], v[190:191], v[216:217]
	v_add_f64 v[2:3], v[2:3], v[4:5]
	v_mul_f64 v[4:5], v[186:187], v[108:109]
	v_add_f64 v[100:101], v[100:101], v[196:197]
	ds_read_b128 v[196:199], v98 offset:656
	s_waitcnt lgkmcnt(1)
	v_mul_f64 v[200:201], v[192:193], v[210:211]
	v_fma_f64 v[4:5], v[184:185], v[204:205], -v[4:5]
	v_fmac_f64_e32 v[200:201], v[194:195], v[212:213]
	v_add_f64 v[2:3], v[2:3], v[4:5]
	v_mul_f64 v[4:5], v[190:191], v[214:215]
	v_add_f64 v[234:235], v[100:101], v[200:201]
	ds_read_b128 v[200:203], v98 offset:672
	v_fma_f64 v[4:5], v[188:189], v[216:217], -v[4:5]
	v_add_f64 v[2:3], v[2:3], v[4:5]
	v_mul_f64 v[4:5], v[194:195], v[210:211]
	ds_read_b128 v[98:101], v98 offset:688
	v_fma_f64 v[4:5], v[192:193], v[212:213], -v[4:5]
	v_add_f64 v[2:3], v[2:3], v[4:5]
	s_waitcnt vmcnt(10) lgkmcnt(2)
	v_mul_f64 v[4:5], v[198:199], v[222:223]
	v_mul_f64 v[236:237], v[196:197], v[222:223]
	s_waitcnt vmcnt(8)
	v_fma_f64 v[4:5], v[196:197], v[224:225], -v[4:5]
	v_fmac_f64_e32 v[236:237], v[198:199], v[224:225]
	v_add_f64 v[2:3], v[2:3], v[4:5]
	s_waitcnt lgkmcnt(1)
	v_mul_f64 v[4:5], v[202:203], v[218:219]
	v_add_f64 v[234:235], v[234:235], v[236:237]
	v_mul_f64 v[236:237], v[200:201], v[218:219]
	v_fma_f64 v[4:5], v[200:201], v[220:221], -v[4:5]
	v_fmac_f64_e32 v[236:237], v[202:203], v[220:221]
	v_add_f64 v[2:3], v[2:3], v[4:5]
	s_waitcnt vmcnt(6) lgkmcnt(0)
	v_mul_f64 v[4:5], v[100:101], v[226:227]
	v_add_f64 v[234:235], v[234:235], v[236:237]
	v_mul_f64 v[236:237], v[98:99], v[226:227]
	s_waitcnt vmcnt(4)
	v_fma_f64 v[4:5], v[98:99], v[228:229], -v[4:5]
	v_fmac_f64_e32 v[236:237], v[100:101], v[228:229]
	v_add_f64 v[2:3], v[2:3], v[4:5]
	v_add_f64 v[234:235], v[234:235], v[236:237]
	s_waitcnt vmcnt(2)
	v_add_f64 v[2:3], v[230:231], -v[2:3]
	s_waitcnt vmcnt(0)
	v_add_f64 v[4:5], v[232:233], -v[234:235]
	buffer_store_dword v3, off, s[0:3], 0 offset:20
	buffer_store_dword v2, off, s[0:3], 0 offset:16
	;; [unrolled: 1-line block ×4, first 2 shown]
	s_and_saveexec_b64 s[6:7], vcc
	s_cbranch_execz .LBB21_145
; %bb.144:
	buffer_load_dword v2, off, s[0:3], 0
	buffer_load_dword v3, off, s[0:3], 0 offset:4
	buffer_load_dword v4, off, s[0:3], 0 offset:8
	;; [unrolled: 1-line block ×3, first 2 shown]
	v_mov_b32_e32 v6, 0
	buffer_store_dword v6, off, s[0:3], 0
	buffer_store_dword v6, off, s[0:3], 0 offset:4
	buffer_store_dword v6, off, s[0:3], 0 offset:8
	buffer_store_dword v6, off, s[0:3], 0 offset:12
	s_waitcnt vmcnt(4)
	ds_write_b128 v102, v[2:5]
.LBB21_145:
	s_or_b64 exec, exec, s[6:7]
	s_waitcnt lgkmcnt(0)
	; wave barrier
	s_waitcnt lgkmcnt(0)
	buffer_load_dword v4, off, s[0:3], 0
	buffer_load_dword v5, off, s[0:3], 0 offset:4
	buffer_load_dword v2, off, s[0:3], 0 offset:8
	;; [unrolled: 1-line block ×87, first 2 shown]
	v_mov_b32_e32 v131, 0
	ds_read_b128 v[132:135], v131 offset:368
	ds_read_b128 v[136:139], v131 offset:384
	;; [unrolled: 1-line block ×5, first 2 shown]
	s_and_b64 vcc, exec, s[26:27]
	s_waitcnt vmcnt(62) lgkmcnt(3)
	v_mul_f64 v[150:151], v[136:137], v[14:15]
	v_mul_f64 v[148:149], v[132:133], v[12:13]
	v_fmac_f64_e32 v[148:149], v[134:135], v[6:7]
	v_add_f64 v[148:149], v[148:149], 0
	v_fmac_f64_e32 v[150:151], v[138:139], v[8:9]
	v_add_f64 v[148:149], v[148:149], v[150:151]
	s_waitcnt lgkmcnt(2)
	v_mul_f64 v[150:151], v[140:141], v[16:17]
	v_fmac_f64_e32 v[150:151], v[142:143], v[10:11]
	v_add_f64 v[152:153], v[148:149], v[150:151]
	ds_read_b128 v[148:151], v131 offset:432
	s_waitcnt lgkmcnt(2)
	v_mul_f64 v[154:155], v[144:145], v[22:23]
	v_fmac_f64_e32 v[154:155], v[146:147], v[24:25]
	v_add_f64 v[156:157], v[152:153], v[154:155]
	ds_read_b128 v[152:155], v131 offset:448
	;; [unrolled: 5-line block ×3, first 2 shown]
	s_waitcnt vmcnt(58) lgkmcnt(1)
	v_mul_f64 v[162:163], v[152:153], v[74:75]
	s_waitcnt vmcnt(56)
	v_fmac_f64_e32 v[162:163], v[154:155], v[76:77]
	v_add_f64 v[164:165], v[160:161], v[162:163]
	ds_read_b128 v[160:163], v131 offset:480
	s_waitcnt lgkmcnt(1)
	v_mul_f64 v[166:167], v[156:157], v[26:27]
	v_fmac_f64_e32 v[166:167], v[158:159], v[28:29]
	v_add_f64 v[168:169], v[164:165], v[166:167]
	ds_read_b128 v[164:167], v131 offset:496
	s_waitcnt vmcnt(50) lgkmcnt(1)
	v_mul_f64 v[170:171], v[160:161], v[82:83]
	s_waitcnt vmcnt(48)
	v_fmac_f64_e32 v[170:171], v[162:163], v[84:85]
	v_add_f64 v[172:173], v[168:169], v[170:171]
	ds_read_b128 v[168:171], v131 offset:512
	s_waitcnt lgkmcnt(1)
	v_mul_f64 v[174:175], v[164:165], v[78:79]
	v_mul_f64 v[12:13], v[134:135], v[12:13]
	v_fmac_f64_e32 v[174:175], v[166:167], v[80:81]
	v_fma_f64 v[6:7], v[132:133], v[6:7], -v[12:13]
	v_mul_f64 v[12:13], v[138:139], v[14:15]
	v_add_f64 v[176:177], v[172:173], v[174:175]
	ds_read_b128 v[172:175], v131 offset:528
	s_waitcnt vmcnt(42) lgkmcnt(1)
	v_mul_f64 v[178:179], v[168:169], v[90:91]
	v_add_f64 v[6:7], v[6:7], 0
	v_fma_f64 v[8:9], v[136:137], v[8:9], -v[12:13]
	s_waitcnt vmcnt(40)
	v_fmac_f64_e32 v[178:179], v[170:171], v[92:93]
	v_add_f64 v[6:7], v[6:7], v[8:9]
	v_mul_f64 v[8:9], v[142:143], v[16:17]
	v_add_f64 v[180:181], v[176:177], v[178:179]
	ds_read_b128 v[176:179], v131 offset:544
	v_fma_f64 v[8:9], v[140:141], v[10:11], -v[8:9]
	v_add_f64 v[6:7], v[6:7], v[8:9]
	v_mul_f64 v[8:9], v[146:147], v[22:23]
	v_fma_f64 v[8:9], v[144:145], v[24:25], -v[8:9]
	s_waitcnt lgkmcnt(1)
	v_mul_f64 v[182:183], v[172:173], v[86:87]
	v_add_f64 v[6:7], v[6:7], v[8:9]
	v_mul_f64 v[8:9], v[150:151], v[18:19]
	v_fmac_f64_e32 v[182:183], v[174:175], v[88:89]
	v_fma_f64 v[8:9], v[148:149], v[20:21], -v[8:9]
	v_add_f64 v[184:185], v[180:181], v[182:183]
	ds_read_b128 v[180:183], v131 offset:560
	s_waitcnt vmcnt(34) lgkmcnt(1)
	v_mul_f64 v[186:187], v[176:177], v[98:99]
	v_add_f64 v[6:7], v[6:7], v[8:9]
	v_mul_f64 v[8:9], v[154:155], v[74:75]
	s_waitcnt vmcnt(32)
	v_fmac_f64_e32 v[186:187], v[178:179], v[100:101]
	v_fma_f64 v[8:9], v[152:153], v[76:77], -v[8:9]
	v_add_f64 v[188:189], v[184:185], v[186:187]
	ds_read_b128 v[184:187], v131 offset:576
	v_add_f64 v[6:7], v[6:7], v[8:9]
	v_mul_f64 v[8:9], v[158:159], v[26:27]
	v_fma_f64 v[8:9], v[156:157], v[28:29], -v[8:9]
	v_add_f64 v[6:7], v[6:7], v[8:9]
	v_mul_f64 v[8:9], v[162:163], v[82:83]
	s_waitcnt lgkmcnt(1)
	v_mul_f64 v[190:191], v[180:181], v[94:95]
	v_fma_f64 v[8:9], v[160:161], v[84:85], -v[8:9]
	v_fmac_f64_e32 v[190:191], v[182:183], v[96:97]
	v_add_f64 v[6:7], v[6:7], v[8:9]
	v_mul_f64 v[8:9], v[166:167], v[78:79]
	v_add_f64 v[192:193], v[188:189], v[190:191]
	ds_read_b128 v[188:191], v131 offset:592
	s_waitcnt vmcnt(26) lgkmcnt(1)
	v_mul_f64 v[194:195], v[184:185], v[106:107]
	v_fma_f64 v[8:9], v[164:165], v[80:81], -v[8:9]
	s_waitcnt vmcnt(24)
	v_fmac_f64_e32 v[194:195], v[186:187], v[108:109]
	v_add_f64 v[6:7], v[6:7], v[8:9]
	v_mul_f64 v[8:9], v[170:171], v[90:91]
	v_add_f64 v[196:197], v[192:193], v[194:195]
	ds_read_b128 v[192:195], v131 offset:608
	v_fma_f64 v[8:9], v[168:169], v[92:93], -v[8:9]
	v_add_f64 v[6:7], v[6:7], v[8:9]
	v_mul_f64 v[8:9], v[174:175], v[86:87]
	v_fma_f64 v[8:9], v[172:173], v[88:89], -v[8:9]
	s_waitcnt lgkmcnt(1)
	v_mul_f64 v[198:199], v[188:189], v[102:103]
	v_add_f64 v[6:7], v[6:7], v[8:9]
	v_mul_f64 v[8:9], v[178:179], v[98:99]
	v_fmac_f64_e32 v[198:199], v[190:191], v[104:105]
	v_fma_f64 v[8:9], v[176:177], v[100:101], -v[8:9]
	v_add_f64 v[200:201], v[196:197], v[198:199]
	ds_read_b128 v[196:199], v131 offset:624
	s_waitcnt vmcnt(18) lgkmcnt(1)
	v_mul_f64 v[202:203], v[192:193], v[220:221]
	v_add_f64 v[6:7], v[6:7], v[8:9]
	v_mul_f64 v[8:9], v[182:183], v[94:95]
	s_waitcnt vmcnt(16)
	v_fmac_f64_e32 v[202:203], v[194:195], v[222:223]
	v_fma_f64 v[8:9], v[180:181], v[96:97], -v[8:9]
	v_add_f64 v[204:205], v[200:201], v[202:203]
	ds_read_b128 v[200:203], v131 offset:640
	v_add_f64 v[6:7], v[6:7], v[8:9]
	v_mul_f64 v[8:9], v[186:187], v[106:107]
	v_fma_f64 v[8:9], v[184:185], v[108:109], -v[8:9]
	v_add_f64 v[6:7], v[6:7], v[8:9]
	v_mul_f64 v[8:9], v[190:191], v[102:103]
	s_waitcnt lgkmcnt(1)
	v_mul_f64 v[206:207], v[196:197], v[216:217]
	v_fma_f64 v[8:9], v[188:189], v[104:105], -v[8:9]
	v_fmac_f64_e32 v[206:207], v[198:199], v[218:219]
	v_add_f64 v[6:7], v[6:7], v[8:9]
	v_mul_f64 v[8:9], v[194:195], v[220:221]
	v_add_f64 v[208:209], v[204:205], v[206:207]
	ds_read_b128 v[204:207], v131 offset:656
	s_waitcnt vmcnt(10) lgkmcnt(1)
	v_mul_f64 v[210:211], v[200:201], v[228:229]
	v_fma_f64 v[8:9], v[192:193], v[222:223], -v[8:9]
	s_waitcnt vmcnt(8)
	v_fmac_f64_e32 v[210:211], v[202:203], v[230:231]
	v_add_f64 v[6:7], v[6:7], v[8:9]
	v_mul_f64 v[8:9], v[198:199], v[216:217]
	v_add_f64 v[240:241], v[208:209], v[210:211]
	ds_read_b128 v[208:211], v131 offset:672
	v_fma_f64 v[8:9], v[196:197], v[218:219], -v[8:9]
	v_add_f64 v[6:7], v[6:7], v[8:9]
	v_mul_f64 v[8:9], v[202:203], v[228:229]
	v_fma_f64 v[8:9], v[200:201], v[230:231], -v[8:9]
	v_add_f64 v[6:7], v[6:7], v[8:9]
	s_waitcnt lgkmcnt(1)
	v_mul_f64 v[8:9], v[206:207], v[224:225]
	v_mul_f64 v[242:243], v[204:205], v[224:225]
	v_fma_f64 v[8:9], v[204:205], v[226:227], -v[8:9]
	v_fmac_f64_e32 v[242:243], v[206:207], v[226:227]
	v_add_f64 v[6:7], v[6:7], v[8:9]
	s_waitcnt vmcnt(3) lgkmcnt(0)
	v_mul_f64 v[8:9], v[210:211], v[236:237]
	v_add_f64 v[240:241], v[240:241], v[242:243]
	v_mul_f64 v[242:243], v[208:209], v[236:237]
	s_waitcnt vmcnt(1)
	v_fma_f64 v[8:9], v[208:209], v[238:239], -v[8:9]
	v_fmac_f64_e32 v[242:243], v[210:211], v[238:239]
	v_add_f64 v[6:7], v[6:7], v[8:9]
	s_waitcnt vmcnt(0)
	v_mul_f64 v[8:9], v[214:215], v[232:233]
	v_add_f64 v[240:241], v[240:241], v[242:243]
	v_mul_f64 v[242:243], v[212:213], v[232:233]
	v_fma_f64 v[8:9], v[212:213], v[234:235], -v[8:9]
	v_fmac_f64_e32 v[242:243], v[214:215], v[234:235]
	v_add_f64 v[6:7], v[6:7], v[8:9]
	v_add_f64 v[240:241], v[240:241], v[242:243]
	v_add_f64 v[4:5], v[4:5], -v[6:7]
	v_add_f64 v[2:3], v[2:3], -v[240:241]
	buffer_store_dword v5, off, s[0:3], 0 offset:4
	buffer_store_dword v4, off, s[0:3], 0
	buffer_store_dword v3, off, s[0:3], 0 offset:12
	buffer_store_dword v2, off, s[0:3], 0 offset:8
	s_cbranch_vccz .LBB21_189
; %bb.146:
	v_pk_mov_b32 v[2:3], s[24:25], s[24:25] op_sel:[0,1]
	flat_load_dword v2, v[2:3] offset:80
	s_load_dwordx2 s[4:5], s[4:5], 0x4
	v_bfe_u32 v4, v0, 10, 10
	v_bfe_u32 v0, v0, 20, 10
	s_waitcnt lgkmcnt(0)
	s_lshr_b32 s4, s4, 16
	s_mul_i32 s4, s4, s5
	v_mul_u32_u24_e32 v3, s4, v130
	v_mul_u32_u24_e32 v4, s5, v4
	v_add3_u32 v0, v3, v4, v0
	v_mov_b32_e32 v3, 0x2c8
	v_lshl_add_u32 v0, v0, 4, v3
	s_waitcnt vmcnt(0)
	v_add_u32_e32 v2, -1, v2
	v_cmp_ne_u32_e32 vcc, 20, v2
	s_and_saveexec_b64 s[4:5], vcc
	s_cbranch_execz .LBB21_148
; %bb.147:
	v_mov_b32_e32 v3, 0
	v_lshl_add_u32 v6, v2, 4, v3
	buffer_load_dword v2, v110, s[0:3], 0 offen
	buffer_load_dword v3, v110, s[0:3], 0 offen offset:4
	buffer_load_dword v4, v110, s[0:3], 0 offen offset:8
	buffer_load_dword v5, v110, s[0:3], 0 offen offset:12
	buffer_load_dword v7, v6, s[0:3], 0 offen
	buffer_load_dword v8, v6, s[0:3], 0 offen offset:4
	buffer_load_dword v9, v6, s[0:3], 0 offen offset:8
	buffer_load_dword v10, v6, s[0:3], 0 offen offset:12
	s_waitcnt vmcnt(4)
	ds_write2_b64 v0, v[2:3], v[4:5] offset1:1
	s_waitcnt vmcnt(3)
	buffer_store_dword v7, v110, s[0:3], 0 offen
	s_waitcnt vmcnt(3)
	buffer_store_dword v8, v110, s[0:3], 0 offen offset:4
	s_waitcnt vmcnt(3)
	buffer_store_dword v9, v110, s[0:3], 0 offen offset:8
	s_waitcnt vmcnt(3)
	buffer_store_dword v10, v110, s[0:3], 0 offen offset:12
	buffer_store_dword v5, v6, s[0:3], 0 offen offset:12
	buffer_store_dword v4, v6, s[0:3], 0 offen offset:8
	buffer_store_dword v3, v6, s[0:3], 0 offen offset:4
	buffer_store_dword v2, v6, s[0:3], 0 offen
.LBB21_148:
	s_or_b64 exec, exec, s[4:5]
	v_pk_mov_b32 v[2:3], s[24:25], s[24:25] op_sel:[0,1]
	flat_load_dword v2, v[2:3] offset:76
	s_waitcnt vmcnt(0) lgkmcnt(0)
	v_add_u32_e32 v2, -1, v2
	v_cmp_ne_u32_e32 vcc, 19, v2
	s_and_saveexec_b64 s[4:5], vcc
	s_cbranch_execz .LBB21_150
; %bb.149:
	v_mov_b32_e32 v3, 0
	v_lshl_add_u32 v6, v2, 4, v3
	buffer_load_dword v2, v111, s[0:3], 0 offen
	buffer_load_dword v3, v111, s[0:3], 0 offen offset:4
	buffer_load_dword v4, v111, s[0:3], 0 offen offset:8
	buffer_load_dword v5, v111, s[0:3], 0 offen offset:12
	buffer_load_dword v7, v6, s[0:3], 0 offen
	buffer_load_dword v8, v6, s[0:3], 0 offen offset:4
	buffer_load_dword v9, v6, s[0:3], 0 offen offset:8
	buffer_load_dword v10, v6, s[0:3], 0 offen offset:12
	s_waitcnt vmcnt(4)
	ds_write2_b64 v0, v[2:3], v[4:5] offset1:1
	s_waitcnt vmcnt(3)
	buffer_store_dword v7, v111, s[0:3], 0 offen
	s_waitcnt vmcnt(3)
	buffer_store_dword v8, v111, s[0:3], 0 offen offset:4
	s_waitcnt vmcnt(3)
	buffer_store_dword v9, v111, s[0:3], 0 offen offset:8
	s_waitcnt vmcnt(3)
	buffer_store_dword v10, v111, s[0:3], 0 offen offset:12
	buffer_store_dword v5, v6, s[0:3], 0 offen offset:12
	buffer_store_dword v4, v6, s[0:3], 0 offen offset:8
	buffer_store_dword v3, v6, s[0:3], 0 offen offset:4
	buffer_store_dword v2, v6, s[0:3], 0 offen
.LBB21_150:
	s_or_b64 exec, exec, s[4:5]
	v_pk_mov_b32 v[2:3], s[24:25], s[24:25] op_sel:[0,1]
	flat_load_dword v2, v[2:3] offset:72
	s_waitcnt vmcnt(0) lgkmcnt(0)
	;; [unrolled: 34-line block ×19, first 2 shown]
	v_add_u32_e32 v2, -1, v2
	v_cmp_ne_u32_e32 vcc, 1, v2
	s_and_saveexec_b64 s[4:5], vcc
	s_cbranch_execz .LBB21_186
; %bb.185:
	v_mov_b32_e32 v3, 0
	v_lshl_add_u32 v6, v2, 4, v3
	buffer_load_dword v2, v127, s[0:3], 0 offen
	buffer_load_dword v3, v127, s[0:3], 0 offen offset:4
	buffer_load_dword v4, v127, s[0:3], 0 offen offset:8
	;; [unrolled: 1-line block ×3, first 2 shown]
	buffer_load_dword v7, v6, s[0:3], 0 offen
	buffer_load_dword v8, v6, s[0:3], 0 offen offset:4
	buffer_load_dword v9, v6, s[0:3], 0 offen offset:8
	;; [unrolled: 1-line block ×3, first 2 shown]
	s_waitcnt vmcnt(4)
	ds_write2_b64 v0, v[2:3], v[4:5] offset1:1
	s_waitcnt vmcnt(3)
	buffer_store_dword v7, v127, s[0:3], 0 offen
	s_waitcnt vmcnt(3)
	buffer_store_dword v8, v127, s[0:3], 0 offen offset:4
	s_waitcnt vmcnt(3)
	buffer_store_dword v9, v127, s[0:3], 0 offen offset:8
	;; [unrolled: 2-line block ×3, first 2 shown]
	buffer_store_dword v5, v6, s[0:3], 0 offen offset:12
	buffer_store_dword v4, v6, s[0:3], 0 offen offset:8
	buffer_store_dword v3, v6, s[0:3], 0 offen offset:4
	buffer_store_dword v2, v6, s[0:3], 0 offen
.LBB21_186:
	s_or_b64 exec, exec, s[4:5]
	v_pk_mov_b32 v[2:3], s[24:25], s[24:25] op_sel:[0,1]
	flat_load_dword v2, v[2:3]
	s_waitcnt vmcnt(0) lgkmcnt(0)
	v_add_u32_e32 v2, -1, v2
	v_cmp_ne_u32_e32 vcc, 0, v2
	s_and_saveexec_b64 s[4:5], vcc
	s_cbranch_execz .LBB21_188
; %bb.187:
	v_mov_b32_e32 v3, 0
	v_lshl_add_u32 v6, v2, 4, v3
	buffer_load_dword v2, off, s[0:3], 0
	buffer_load_dword v3, off, s[0:3], 0 offset:4
	buffer_load_dword v4, off, s[0:3], 0 offset:8
	;; [unrolled: 1-line block ×3, first 2 shown]
	buffer_load_dword v7, v6, s[0:3], 0 offen
	buffer_load_dword v8, v6, s[0:3], 0 offen offset:4
	buffer_load_dword v9, v6, s[0:3], 0 offen offset:8
	;; [unrolled: 1-line block ×3, first 2 shown]
	s_waitcnt vmcnt(4)
	ds_write2_b64 v0, v[2:3], v[4:5] offset1:1
	s_waitcnt vmcnt(3)
	buffer_store_dword v7, off, s[0:3], 0
	s_waitcnt vmcnt(3)
	buffer_store_dword v8, off, s[0:3], 0 offset:4
	s_waitcnt vmcnt(3)
	buffer_store_dword v9, off, s[0:3], 0 offset:8
	;; [unrolled: 2-line block ×3, first 2 shown]
	buffer_store_dword v5, v6, s[0:3], 0 offen offset:12
	buffer_store_dword v4, v6, s[0:3], 0 offen offset:8
	;; [unrolled: 1-line block ×3, first 2 shown]
	buffer_store_dword v2, v6, s[0:3], 0 offen
.LBB21_188:
	s_or_b64 exec, exec, s[4:5]
.LBB21_189:
	buffer_load_dword v2, off, s[0:3], 0
	buffer_load_dword v3, off, s[0:3], 0 offset:4
	buffer_load_dword v4, off, s[0:3], 0 offset:8
	;; [unrolled: 1-line block ×3, first 2 shown]
	buffer_load_dword v7, v127, s[0:3], 0 offen offset:4
	buffer_load_dword v8, v127, s[0:3], 0 offen offset:8
	;; [unrolled: 1-line block ×3, first 2 shown]
	buffer_load_dword v10, v129, s[0:3], 0 offen
	buffer_load_dword v11, v129, s[0:3], 0 offen offset:4
	buffer_load_dword v12, v129, s[0:3], 0 offen offset:8
	buffer_load_dword v6, v127, s[0:3], 0 offen
	buffer_load_dword v13, v129, s[0:3], 0 offen offset:12
	buffer_load_dword v15, v128, s[0:3], 0 offen offset:4
	;; [unrolled: 1-line block ×4, first 2 shown]
	buffer_load_dword v18, v124, s[0:3], 0 offen
	buffer_load_dword v19, v124, s[0:3], 0 offen offset:4
	buffer_load_dword v20, v124, s[0:3], 0 offen offset:8
	buffer_load_dword v14, v128, s[0:3], 0 offen
                                        ; kill: killed $vgpr129
                                        ; kill: killed $vgpr127
                                        ; kill: killed $vgpr128
	buffer_load_dword v21, v124, s[0:3], 0 offen offset:12
	buffer_load_dword v23, v125, s[0:3], 0 offen offset:4
	;; [unrolled: 1-line block ×4, first 2 shown]
	buffer_load_dword v26, v126, s[0:3], 0 offen
	buffer_load_dword v27, v126, s[0:3], 0 offen offset:4
	buffer_load_dword v28, v126, s[0:3], 0 offen offset:8
	buffer_load_dword v22, v125, s[0:3], 0 offen
	buffer_load_dword v29, v126, s[0:3], 0 offen offset:12
	buffer_load_dword v75, v121, s[0:3], 0 offen offset:4
	;; [unrolled: 1-line block ×4, first 2 shown]
	buffer_load_dword v78, v120, s[0:3], 0 offen
	buffer_load_dword v79, v120, s[0:3], 0 offen offset:4
	buffer_load_dword v80, v120, s[0:3], 0 offen offset:8
                                        ; kill: killed $vgpr125
                                        ; kill: killed $vgpr124
                                        ; kill: killed $vgpr126
	buffer_load_dword v74, v121, s[0:3], 0 offen
	buffer_load_dword v81, v120, s[0:3], 0 offen offset:12
	buffer_load_dword v83, v122, s[0:3], 0 offen offset:4
	;; [unrolled: 1-line block ×4, first 2 shown]
	buffer_load_dword v86, v123, s[0:3], 0 offen
	buffer_load_dword v87, v123, s[0:3], 0 offen offset:4
	buffer_load_dword v88, v123, s[0:3], 0 offen offset:8
	buffer_load_dword v82, v122, s[0:3], 0 offen
	buffer_load_dword v89, v123, s[0:3], 0 offen offset:12
	buffer_load_dword v91, v116, s[0:3], 0 offen offset:4
	;; [unrolled: 1-line block ×4, first 2 shown]
	buffer_load_dword v94, v118, s[0:3], 0 offen
	buffer_load_dword v95, v118, s[0:3], 0 offen offset:4
                                        ; kill: killed $vgpr123
                                        ; kill: killed $vgpr121
                                        ; kill: killed $vgpr122
                                        ; kill: killed $vgpr120
	buffer_load_dword v96, v118, s[0:3], 0 offen offset:8
	buffer_load_dword v90, v116, s[0:3], 0 offen
	buffer_load_dword v97, v118, s[0:3], 0 offen offset:12
	buffer_load_dword v99, v117, s[0:3], 0 offen offset:4
	;; [unrolled: 1-line block ×4, first 2 shown]
	buffer_load_dword v102, v119, s[0:3], 0 offen
	buffer_load_dword v103, v119, s[0:3], 0 offen offset:4
	buffer_load_dword v104, v119, s[0:3], 0 offen offset:8
	buffer_load_dword v98, v117, s[0:3], 0 offen
	buffer_load_dword v105, v119, s[0:3], 0 offen offset:12
	buffer_load_dword v107, v112, s[0:3], 0 offen offset:4
	;; [unrolled: 1-line block ×4, first 2 shown]
	buffer_load_dword v120, v113, s[0:3], 0 offen
                                        ; kill: killed $vgpr118
                                        ; kill: killed $vgpr119
                                        ; kill: killed $vgpr116
                                        ; kill: killed $vgpr117
	buffer_load_dword v121, v113, s[0:3], 0 offen offset:4
	buffer_load_dword v122, v113, s[0:3], 0 offen offset:8
	buffer_load_dword v106, v112, s[0:3], 0 offen
	buffer_load_dword v123, v113, s[0:3], 0 offen offset:12
	buffer_load_dword v117, v115, s[0:3], 0 offen offset:4
	;; [unrolled: 1-line block ×4, first 2 shown]
	buffer_load_dword v124, v114, s[0:3], 0 offen
	buffer_load_dword v125, v114, s[0:3], 0 offen offset:4
	buffer_load_dword v126, v114, s[0:3], 0 offen offset:8
	buffer_load_dword v116, v115, s[0:3], 0 offen
	buffer_load_dword v127, v114, s[0:3], 0 offen offset:12
	buffer_load_dword v129, v111, s[0:3], 0 offen offset:4
                                        ; kill: killed $vgpr115
                                        ; kill: killed $vgpr113
                                        ; kill: killed $vgpr114
                                        ; kill: killed $vgpr112
	buffer_load_dword v130, v111, s[0:3], 0 offen offset:8
	buffer_load_dword v131, v111, s[0:3], 0 offen offset:12
	buffer_load_dword v112, v110, s[0:3], 0 offen
	buffer_load_dword v113, v110, s[0:3], 0 offen offset:4
	buffer_load_dword v114, v110, s[0:3], 0 offen offset:8
	buffer_load_dword v128, v111, s[0:3], 0 offen
	buffer_load_dword v115, v110, s[0:3], 0 offen offset:12
	buffer_load_dword v132, v1, s[0:3], 0 offen
	buffer_load_dword v133, v1, s[0:3], 0 offen offset:4
	buffer_load_dword v134, v1, s[0:3], 0 offen offset:8
	;; [unrolled: 1-line block ×3, first 2 shown]
	s_waitcnt vmcnt(62)
	global_store_dwordx4 v[30:31], v[2:5], off
	global_store_dwordx4 v[32:33], v[6:9], off
	;; [unrolled: 1-line block ×5, first 2 shown]
	s_waitcnt vmcnt(62)
	global_store_dwordx4 v[42:43], v[22:25], off
	global_store_dwordx4 v[44:45], v[26:29], off
	s_waitcnt vmcnt(60)
	global_store_dwordx4 v[46:47], v[74:77], off
	s_waitcnt vmcnt(60)
	;; [unrolled: 2-line block ×15, first 2 shown]
	global_store_dwordx4 v[40:41], v[132:135], off
	s_endpgm
	.section	.rodata,"a",@progbits
	.p2align	6, 0x0
	.amdhsa_kernel _ZN9rocsolver6v33100L18getri_kernel_smallILi22E19rocblas_complex_numIdEPS3_EEvT1_iilPiilS6_bb
		.amdhsa_group_segment_fixed_size 1736
		.amdhsa_private_segment_fixed_size 368
		.amdhsa_kernarg_size 60
		.amdhsa_user_sgpr_count 10
		.amdhsa_user_sgpr_private_segment_buffer 1
		.amdhsa_user_sgpr_dispatch_ptr 1
		.amdhsa_user_sgpr_queue_ptr 0
		.amdhsa_user_sgpr_kernarg_segment_ptr 1
		.amdhsa_user_sgpr_dispatch_id 0
		.amdhsa_user_sgpr_flat_scratch_init 1
		.amdhsa_user_sgpr_kernarg_preload_length 0
		.amdhsa_user_sgpr_kernarg_preload_offset 0
		.amdhsa_user_sgpr_private_segment_size 0
		.amdhsa_uses_dynamic_stack 0
		.amdhsa_system_sgpr_private_segment_wavefront_offset 1
		.amdhsa_system_sgpr_workgroup_id_x 1
		.amdhsa_system_sgpr_workgroup_id_y 0
		.amdhsa_system_sgpr_workgroup_id_z 0
		.amdhsa_system_sgpr_workgroup_info 0
		.amdhsa_system_vgpr_workitem_id 2
		.amdhsa_next_free_vgpr 244
		.amdhsa_next_free_sgpr 29
		.amdhsa_accum_offset 244
		.amdhsa_reserve_vcc 1
		.amdhsa_reserve_flat_scratch 1
		.amdhsa_float_round_mode_32 0
		.amdhsa_float_round_mode_16_64 0
		.amdhsa_float_denorm_mode_32 3
		.amdhsa_float_denorm_mode_16_64 3
		.amdhsa_dx10_clamp 1
		.amdhsa_ieee_mode 1
		.amdhsa_fp16_overflow 0
		.amdhsa_tg_split 0
		.amdhsa_exception_fp_ieee_invalid_op 0
		.amdhsa_exception_fp_denorm_src 0
		.amdhsa_exception_fp_ieee_div_zero 0
		.amdhsa_exception_fp_ieee_overflow 0
		.amdhsa_exception_fp_ieee_underflow 0
		.amdhsa_exception_fp_ieee_inexact 0
		.amdhsa_exception_int_div_zero 0
	.end_amdhsa_kernel
	.section	.text._ZN9rocsolver6v33100L18getri_kernel_smallILi22E19rocblas_complex_numIdEPS3_EEvT1_iilPiilS6_bb,"axG",@progbits,_ZN9rocsolver6v33100L18getri_kernel_smallILi22E19rocblas_complex_numIdEPS3_EEvT1_iilPiilS6_bb,comdat
.Lfunc_end21:
	.size	_ZN9rocsolver6v33100L18getri_kernel_smallILi22E19rocblas_complex_numIdEPS3_EEvT1_iilPiilS6_bb, .Lfunc_end21-_ZN9rocsolver6v33100L18getri_kernel_smallILi22E19rocblas_complex_numIdEPS3_EEvT1_iilPiilS6_bb
                                        ; -- End function
	.section	.AMDGPU.csdata,"",@progbits
; Kernel info:
; codeLenInByte = 39468
; NumSgprs: 35
; NumVgprs: 244
; NumAgprs: 0
; TotalNumVgprs: 244
; ScratchSize: 368
; MemoryBound: 0
; FloatMode: 240
; IeeeMode: 1
; LDSByteSize: 1736 bytes/workgroup (compile time only)
; SGPRBlocks: 4
; VGPRBlocks: 30
; NumSGPRsForWavesPerEU: 35
; NumVGPRsForWavesPerEU: 244
; AccumOffset: 244
; Occupancy: 2
; WaveLimiterHint : 1
; COMPUTE_PGM_RSRC2:SCRATCH_EN: 1
; COMPUTE_PGM_RSRC2:USER_SGPR: 10
; COMPUTE_PGM_RSRC2:TRAP_HANDLER: 0
; COMPUTE_PGM_RSRC2:TGID_X_EN: 1
; COMPUTE_PGM_RSRC2:TGID_Y_EN: 0
; COMPUTE_PGM_RSRC2:TGID_Z_EN: 0
; COMPUTE_PGM_RSRC2:TIDIG_COMP_CNT: 2
; COMPUTE_PGM_RSRC3_GFX90A:ACCUM_OFFSET: 60
; COMPUTE_PGM_RSRC3_GFX90A:TG_SPLIT: 0
	.section	.text._ZN9rocsolver6v33100L18getri_kernel_smallILi23E19rocblas_complex_numIdEPS3_EEvT1_iilPiilS6_bb,"axG",@progbits,_ZN9rocsolver6v33100L18getri_kernel_smallILi23E19rocblas_complex_numIdEPS3_EEvT1_iilPiilS6_bb,comdat
	.globl	_ZN9rocsolver6v33100L18getri_kernel_smallILi23E19rocblas_complex_numIdEPS3_EEvT1_iilPiilS6_bb ; -- Begin function _ZN9rocsolver6v33100L18getri_kernel_smallILi23E19rocblas_complex_numIdEPS3_EEvT1_iilPiilS6_bb
	.p2align	8
	.type	_ZN9rocsolver6v33100L18getri_kernel_smallILi23E19rocblas_complex_numIdEPS3_EEvT1_iilPiilS6_bb,@function
_ZN9rocsolver6v33100L18getri_kernel_smallILi23E19rocblas_complex_numIdEPS3_EEvT1_iilPiilS6_bb: ; @_ZN9rocsolver6v33100L18getri_kernel_smallILi23E19rocblas_complex_numIdEPS3_EEvT1_iilPiilS6_bb
; %bb.0:
	s_add_u32 flat_scratch_lo, s8, s11
	s_addc_u32 flat_scratch_hi, s9, 0
	s_add_u32 s0, s0, s11
	v_and_b32_e32 v153, 0x3ff, v0
	s_addc_u32 s1, s1, 0
	v_cmp_gt_u32_e32 vcc, 23, v153
	s_and_saveexec_b64 s[8:9], vcc
	s_cbranch_execz .LBB22_106
; %bb.1:
	s_load_dword s8, s[6:7], 0x38
	s_load_dwordx4 s[20:23], s[6:7], 0x10
	s_load_dwordx4 s[12:15], s[6:7], 0x28
                                        ; implicit-def: $sgpr24_sgpr25
	s_waitcnt lgkmcnt(0)
	s_bitcmp1_b32 s8, 8
	s_cselect_b64 s[26:27], -1, 0
	s_ashr_i32 s11, s10, 31
	s_bfe_u32 s9, s8, 0x10008
	s_cmp_eq_u32 s9, 0
	s_cbranch_scc1 .LBB22_3
; %bb.2:
	s_load_dword s16, s[6:7], 0x20
	s_mul_i32 s9, s10, s13
	s_mul_hi_u32 s13, s10, s12
	s_mul_i32 s18, s11, s12
	s_add_i32 s9, s13, s9
	s_add_i32 s13, s9, s18
	s_mul_i32 s12, s10, s12
	s_waitcnt lgkmcnt(0)
	s_ashr_i32 s17, s16, 31
	s_lshl_b64 s[12:13], s[12:13], 2
	s_add_u32 s9, s22, s12
	s_addc_u32 s18, s23, s13
	s_lshl_b64 s[12:13], s[16:17], 2
	s_add_u32 s24, s9, s12
	s_addc_u32 s25, s18, s13
.LBB22_3:
	s_load_dwordx4 s[16:19], s[6:7], 0x0
	s_mul_i32 s6, s10, s21
	s_mul_hi_u32 s7, s10, s20
	s_add_i32 s9, s7, s6
	s_mul_i32 s12, s11, s20
	s_add_i32 s13, s9, s12
	s_mul_i32 s12, s10, s20
	s_waitcnt lgkmcnt(0)
	s_ashr_i32 s7, s18, 31
	s_lshl_b64 s[12:13], s[12:13], 4
	s_mov_b32 s6, s18
	s_add_u32 s9, s16, s12
	s_addc_u32 s12, s17, s13
	s_lshl_b64 s[6:7], s[6:7], 4
	s_add_u32 s6, s9, s6
	s_addc_u32 s7, s12, s7
	v_lshlrev_b32_e32 v76, 4, v153
	v_mov_b32_e32 v1, s7
	v_add_co_u32_e32 v30, vcc, s6, v76
	s_ashr_i32 s13, s19, 31
	s_mov_b32 s12, s19
	s_add_i32 s9, s19, s19
	v_addc_co_u32_e32 v31, vcc, 0, v1, vcc
	s_lshl_b64 s[12:13], s[12:13], 4
	v_add_u32_e32 v2, s9, v153
	v_mov_b32_e32 v1, s13
	v_add_co_u32_e32 v32, vcc, s12, v30
	v_ashrrev_i32_e32 v3, 31, v2
	v_addc_co_u32_e32 v33, vcc, v31, v1, vcc
	v_lshlrev_b64 v[4:5], 4, v[2:3]
	v_mov_b32_e32 v1, s7
	v_add_co_u32_e32 v34, vcc, s6, v4
	global_load_dwordx4 v[22:25], v76, s[6:7]
	v_addc_co_u32_e32 v35, vcc, v1, v5, vcc
	global_load_dwordx4 v[26:29], v[32:33], off
	global_load_dwordx4 v[48:51], v[34:35], off
	v_add_u32_e32 v2, s19, v2
	v_ashrrev_i32_e32 v3, 31, v2
	v_lshlrev_b64 v[4:5], 4, v[2:3]
	v_add_co_u32_e32 v36, vcc, s6, v4
	v_addc_co_u32_e32 v37, vcc, v1, v5, vcc
	v_add_u32_e32 v6, s19, v2
	v_ashrrev_i32_e32 v7, 31, v6
	global_load_dwordx4 v[52:55], v[36:37], off
	v_lshlrev_b64 v[2:3], 4, v[6:7]
	v_add_co_u32_e32 v38, vcc, s6, v2
	v_addc_co_u32_e32 v39, vcc, v1, v3, vcc
	global_load_dwordx4 v[2:5], v[38:39], off
	v_add_u32_e32 v6, s19, v6
	v_ashrrev_i32_e32 v7, 31, v6
	v_lshlrev_b64 v[8:9], 4, v[6:7]
	v_add_u32_e32 v14, s19, v6
	v_add_co_u32_e32 v40, vcc, s6, v8
	v_ashrrev_i32_e32 v15, 31, v14
	v_addc_co_u32_e32 v41, vcc, v1, v9, vcc
	v_lshlrev_b64 v[6:7], 4, v[14:15]
	v_add_u32_e32 v14, s19, v14
	v_add_co_u32_e32 v42, vcc, s6, v6
	v_ashrrev_i32_e32 v15, 31, v14
	v_addc_co_u32_e32 v43, vcc, v1, v7, vcc
	;; [unrolled: 5-line block ×3, first 2 shown]
	v_lshlrev_b64 v[14:15], 4, v[56:57]
	v_add_co_u32_e32 v46, vcc, s6, v14
	global_load_dwordx4 v[6:9], v[40:41], off
	global_load_dwordx4 v[10:13], v[42:43], off
	v_addc_co_u32_e32 v47, vcc, v1, v15, vcc
	global_load_dwordx4 v[14:17], v[44:45], off
	global_load_dwordx4 v[18:21], v[46:47], off
	s_bitcmp0_b32 s8, 0
	s_mov_b64 s[8:9], -1
	s_waitcnt vmcnt(8)
	buffer_store_dword v25, off, s[0:3], 0 offset:12
	buffer_store_dword v24, off, s[0:3], 0 offset:8
	buffer_store_dword v23, off, s[0:3], 0 offset:4
	buffer_store_dword v22, off, s[0:3], 0
	s_waitcnt vmcnt(11)
	buffer_store_dword v29, off, s[0:3], 0 offset:28
	buffer_store_dword v28, off, s[0:3], 0 offset:24
	buffer_store_dword v27, off, s[0:3], 0 offset:20
	buffer_store_dword v26, off, s[0:3], 0 offset:16
	s_waitcnt vmcnt(14)
	buffer_store_dword v51, off, s[0:3], 0 offset:44
	buffer_store_dword v50, off, s[0:3], 0 offset:40
	buffer_store_dword v49, off, s[0:3], 0 offset:36
	buffer_store_dword v48, off, s[0:3], 0 offset:32
	;; [unrolled: 5-line block ×3, first 2 shown]
	s_waitcnt vmcnt(20)
	buffer_store_dword v5, off, s[0:3], 0 offset:76
	v_add_u32_e32 v22, s19, v56
	v_ashrrev_i32_e32 v23, 31, v22
	v_lshlrev_b64 v[24:25], 4, v[22:23]
	v_add_u32_e32 v52, s19, v22
	v_add_co_u32_e32 v48, vcc, s6, v24
	v_ashrrev_i32_e32 v53, 31, v52
	v_addc_co_u32_e32 v49, vcc, v1, v25, vcc
	v_lshlrev_b64 v[22:23], 4, v[52:53]
	v_add_u32_e32 v54, s19, v52
	v_add_co_u32_e32 v50, vcc, s6, v22
	v_ashrrev_i32_e32 v55, 31, v54
	v_addc_co_u32_e32 v51, vcc, v1, v23, vcc
	;; [unrolled: 5-line block ×13, first 2 shown]
	v_lshlrev_b64 v[74:75], 4, v[74:75]
	v_add_co_u32_e32 v74, vcc, s6, v74
	v_addc_co_u32_e32 v75, vcc, v1, v75, vcc
	global_load_dwordx4 v[22:25], v[48:49], off
	global_load_dwordx4 v[26:29], v[50:51], off
	;; [unrolled: 1-line block ×14, first 2 shown]
	v_mov_b32_e32 v1, 0
	v_add_u32_e32 v151, 16, v1
	v_add_u32_e32 v150, 32, v1
	;; [unrolled: 1-line block ×22, first 2 shown]
	buffer_store_dword v4, off, s[0:3], 0 offset:72
	buffer_store_dword v3, off, s[0:3], 0 offset:68
	buffer_store_dword v2, off, s[0:3], 0 offset:64
	s_waitcnt vmcnt(37)
	buffer_store_dword v9, off, s[0:3], 0 offset:92
	buffer_store_dword v8, off, s[0:3], 0 offset:88
	buffer_store_dword v7, off, s[0:3], 0 offset:84
	buffer_store_dword v6, off, s[0:3], 0 offset:80
	s_waitcnt vmcnt(40)
	buffer_store_dword v13, off, s[0:3], 0 offset:108
	;; [unrolled: 5-line block ×16, first 2 shown]
	buffer_store_dword v116, off, s[0:3], 0 offset:328
	buffer_store_dword v115, off, s[0:3], 0 offset:324
	;; [unrolled: 1-line block ×11, first 2 shown]
	s_cbranch_scc1 .LBB22_104
; %bb.4:
	v_cmp_eq_u32_e64 s[6:7], 0, v153
	s_and_saveexec_b64 s[8:9], s[6:7]
	s_cbranch_execz .LBB22_6
; %bb.5:
	v_mov_b32_e32 v2, 0
	ds_write_b32 v2, v2 offset:736
.LBB22_6:
	s_or_b64 exec, exec, s[8:9]
	v_mov_b32_e32 v2, 0
	v_lshl_add_u32 v12, v153, 4, v2
	s_waitcnt lgkmcnt(0)
	; wave barrier
	s_waitcnt lgkmcnt(0)
	buffer_load_dword v2, v12, s[0:3], 0 offen
	buffer_load_dword v3, v12, s[0:3], 0 offen offset:4
	buffer_load_dword v4, v12, s[0:3], 0 offen offset:8
	;; [unrolled: 1-line block ×3, first 2 shown]
	s_waitcnt vmcnt(2)
	v_cmp_eq_f64_e32 vcc, 0, v[2:3]
	s_waitcnt vmcnt(0)
	v_cmp_eq_f64_e64 s[8:9], 0, v[4:5]
	s_and_b64 s[8:9], vcc, s[8:9]
	s_and_saveexec_b64 s[12:13], s[8:9]
	s_cbranch_execz .LBB22_10
; %bb.7:
	v_mov_b32_e32 v2, 0
	ds_read_b32 v4, v2 offset:736
	v_add_u32_e32 v3, 1, v153
	s_waitcnt lgkmcnt(0)
	v_readfirstlane_b32 s8, v4
	s_cmp_eq_u32 s8, 0
	s_cselect_b64 s[16:17], -1, 0
	v_cmp_gt_i32_e32 vcc, s8, v3
	s_or_b64 s[16:17], s[16:17], vcc
	s_and_b64 exec, exec, s[16:17]
	s_cbranch_execz .LBB22_10
; %bb.8:
	s_mov_b64 s[16:17], 0
	v_mov_b32_e32 v4, s8
.LBB22_9:                               ; =>This Inner Loop Header: Depth=1
	ds_cmpst_rtn_b32 v4, v2, v4, v3 offset:736
	s_waitcnt lgkmcnt(0)
	v_cmp_ne_u32_e32 vcc, 0, v4
	v_cmp_le_i32_e64 s[8:9], v4, v3
	s_and_b64 s[8:9], vcc, s[8:9]
	s_and_b64 s[8:9], exec, s[8:9]
	s_or_b64 s[16:17], s[8:9], s[16:17]
	s_andn2_b64 exec, exec, s[16:17]
	s_cbranch_execnz .LBB22_9
.LBB22_10:
	s_or_b64 exec, exec, s[12:13]
	v_mov_b32_e32 v3, 0
	s_waitcnt lgkmcnt(0)
	; wave barrier
	ds_read_b32 v2, v3 offset:736
	s_and_saveexec_b64 s[8:9], s[6:7]
	s_cbranch_execz .LBB22_12
; %bb.11:
	s_lshl_b64 s[12:13], s[10:11], 2
	s_add_u32 s12, s14, s12
	s_addc_u32 s13, s15, s13
	s_waitcnt lgkmcnt(0)
	global_store_dword v3, v2, s[12:13]
.LBB22_12:
	s_or_b64 exec, exec, s[8:9]
	s_waitcnt lgkmcnt(0)
	v_cmp_ne_u32_e32 vcc, 0, v2
	s_mov_b64 s[8:9], 0
	s_cbranch_vccnz .LBB22_104
; %bb.13:
	buffer_load_dword v7, v12, s[0:3], 0 offen offset:4
	buffer_load_dword v6, v12, s[0:3], 0 offen
	buffer_load_dword v9, v12, s[0:3], 0 offen offset:12
	buffer_load_dword v8, v12, s[0:3], 0 offen offset:8
                                        ; implicit-def: $vgpr10_vgpr11
	s_waitcnt vmcnt(3)
	v_xor_b32_e32 v3, 0x80000000, v7
	s_waitcnt vmcnt(2)
	v_cmp_gt_f64_e32 vcc, 0, v[6:7]
	s_waitcnt vmcnt(1)
	v_xor_b32_e32 v4, 0x80000000, v9
	v_cndmask_b32_e32 v3, v7, v3, vcc
	s_waitcnt vmcnt(0)
	v_cmp_gt_f64_e32 vcc, 0, v[8:9]
	v_mov_b32_e32 v2, v6
	v_cndmask_b32_e32 v5, v9, v4, vcc
	v_mov_b32_e32 v4, v8
	v_cmp_ngt_f64_e32 vcc, v[2:3], v[4:5]
                                        ; implicit-def: $vgpr4_vgpr5
	s_and_saveexec_b64 s[8:9], vcc
	s_xor_b64 s[8:9], exec, s[8:9]
	s_cbranch_execz .LBB22_15
; %bb.14:
	v_div_scale_f64 v[2:3], s[12:13], v[8:9], v[8:9], v[6:7]
	v_rcp_f64_e32 v[4:5], v[2:3]
	v_div_scale_f64 v[10:11], vcc, v[6:7], v[8:9], v[6:7]
	v_fma_f64 v[14:15], -v[2:3], v[4:5], 1.0
	v_fmac_f64_e32 v[4:5], v[4:5], v[14:15]
	v_fma_f64 v[14:15], -v[2:3], v[4:5], 1.0
	v_fmac_f64_e32 v[4:5], v[4:5], v[14:15]
	v_mul_f64 v[14:15], v[10:11], v[4:5]
	v_fma_f64 v[2:3], -v[2:3], v[14:15], v[10:11]
	v_div_fmas_f64 v[2:3], v[2:3], v[4:5], v[14:15]
	v_div_fixup_f64 v[2:3], v[2:3], v[8:9], v[6:7]
	v_fmac_f64_e32 v[8:9], v[6:7], v[2:3]
	v_div_scale_f64 v[4:5], s[12:13], v[8:9], v[8:9], 1.0
	v_rcp_f64_e32 v[6:7], v[4:5]
	v_fma_f64 v[10:11], -v[4:5], v[6:7], 1.0
	v_fmac_f64_e32 v[6:7], v[6:7], v[10:11]
	v_fma_f64 v[10:11], -v[4:5], v[6:7], 1.0
	v_fmac_f64_e32 v[6:7], v[6:7], v[10:11]
	v_div_scale_f64 v[10:11], vcc, 1.0, v[8:9], 1.0
	v_mul_f64 v[14:15], v[10:11], v[6:7]
	v_fma_f64 v[4:5], -v[4:5], v[14:15], v[10:11]
	s_nop 1
	v_div_fmas_f64 v[4:5], v[4:5], v[6:7], v[14:15]
	v_div_fixup_f64 v[4:5], v[4:5], v[8:9], 1.0
	v_mul_f64 v[10:11], v[2:3], v[4:5]
	v_xor_b32_e32 v5, 0x80000000, v5
	v_xor_b32_e32 v3, 0x80000000, v11
	v_mov_b32_e32 v2, v10
                                        ; implicit-def: $vgpr6_vgpr7
                                        ; implicit-def: $vgpr8_vgpr9
.LBB22_15:
	s_andn2_saveexec_b64 s[8:9], s[8:9]
	s_cbranch_execz .LBB22_17
; %bb.16:
	v_div_scale_f64 v[2:3], s[12:13], v[6:7], v[6:7], v[8:9]
	v_rcp_f64_e32 v[4:5], v[2:3]
	v_div_scale_f64 v[10:11], vcc, v[8:9], v[6:7], v[8:9]
	v_fma_f64 v[14:15], -v[2:3], v[4:5], 1.0
	v_fmac_f64_e32 v[4:5], v[4:5], v[14:15]
	v_fma_f64 v[14:15], -v[2:3], v[4:5], 1.0
	v_fmac_f64_e32 v[4:5], v[4:5], v[14:15]
	v_mul_f64 v[14:15], v[10:11], v[4:5]
	v_fma_f64 v[2:3], -v[2:3], v[14:15], v[10:11]
	v_div_fmas_f64 v[2:3], v[2:3], v[4:5], v[14:15]
	v_div_fixup_f64 v[4:5], v[2:3], v[6:7], v[8:9]
	v_fmac_f64_e32 v[6:7], v[8:9], v[4:5]
	v_div_scale_f64 v[2:3], s[12:13], v[6:7], v[6:7], 1.0
	v_rcp_f64_e32 v[8:9], v[2:3]
	v_fma_f64 v[10:11], -v[2:3], v[8:9], 1.0
	v_fmac_f64_e32 v[8:9], v[8:9], v[10:11]
	v_fma_f64 v[10:11], -v[2:3], v[8:9], 1.0
	v_fmac_f64_e32 v[8:9], v[8:9], v[10:11]
	v_div_scale_f64 v[10:11], vcc, 1.0, v[6:7], 1.0
	v_mul_f64 v[14:15], v[10:11], v[8:9]
	v_fma_f64 v[2:3], -v[2:3], v[14:15], v[10:11]
	s_nop 1
	v_div_fmas_f64 v[2:3], v[2:3], v[8:9], v[14:15]
	v_div_fixup_f64 v[10:11], v[2:3], v[6:7], 1.0
	v_xor_b32_e32 v3, 0x80000000, v11
	v_mov_b32_e32 v2, v10
	v_mul_f64 v[4:5], v[4:5], -v[10:11]
.LBB22_17:
	s_or_b64 exec, exec, s[8:9]
	buffer_store_dword v11, v12, s[0:3], 0 offen offset:4
	buffer_store_dword v10, v12, s[0:3], 0 offen
	buffer_store_dword v5, v12, s[0:3], 0 offen offset:12
	buffer_store_dword v4, v12, s[0:3], 0 offen offset:8
	buffer_load_dword v11, v151, s[0:3], 0 offen offset:12
	s_nop 0
	buffer_load_dword v10, v151, s[0:3], 0 offen offset:8
	buffer_load_dword v9, v151, s[0:3], 0 offen offset:4
	buffer_load_dword v8, v151, s[0:3], 0 offen
	v_xor_b32_e32 v5, 0x80000000, v5
	v_add_u32_e32 v6, 0x170, v76
	ds_write_b128 v76, v[2:5]
	s_waitcnt vmcnt(0)
	ds_write_b128 v76, v[8:11] offset:368
	s_waitcnt lgkmcnt(0)
	; wave barrier
	s_waitcnt lgkmcnt(0)
	s_and_saveexec_b64 s[8:9], s[6:7]
	s_cbranch_execz .LBB22_19
; %bb.18:
	buffer_load_dword v14, v12, s[0:3], 0 offen offset:8
	buffer_load_dword v15, v12, s[0:3], 0 offen offset:12
	buffer_load_dword v16, v12, s[0:3], 0 offen
	buffer_load_dword v17, v12, s[0:3], 0 offen offset:4
	ds_read_b128 v[2:5], v6
	v_mov_b32_e32 v7, 0
	ds_read_b128 v[8:11], v7 offset:16
	s_waitcnt vmcnt(2) lgkmcnt(1)
	v_mul_f64 v[18:19], v[4:5], v[14:15]
	v_mul_f64 v[14:15], v[2:3], v[14:15]
	s_waitcnt vmcnt(0)
	v_fmac_f64_e32 v[14:15], v[4:5], v[16:17]
	v_fma_f64 v[2:3], v[2:3], v[16:17], -v[18:19]
	v_add_f64 v[4:5], v[14:15], 0
	v_add_f64 v[2:3], v[2:3], 0
	s_waitcnt lgkmcnt(0)
	v_mul_f64 v[14:15], v[4:5], v[10:11]
	v_mul_f64 v[10:11], v[2:3], v[10:11]
	v_fma_f64 v[2:3], v[2:3], v[8:9], -v[14:15]
	v_fmac_f64_e32 v[10:11], v[4:5], v[8:9]
	buffer_store_dword v2, off, s[0:3], 0 offset:16
	buffer_store_dword v3, off, s[0:3], 0 offset:20
	;; [unrolled: 1-line block ×4, first 2 shown]
.LBB22_19:
	s_or_b64 exec, exec, s[8:9]
	s_waitcnt lgkmcnt(0)
	; wave barrier
	buffer_load_dword v2, v150, s[0:3], 0 offen
	buffer_load_dword v3, v150, s[0:3], 0 offen offset:4
	buffer_load_dword v4, v150, s[0:3], 0 offen offset:8
	;; [unrolled: 1-line block ×3, first 2 shown]
	v_cmp_gt_u32_e32 vcc, 2, v153
	s_waitcnt vmcnt(0)
	ds_write_b128 v6, v[2:5]
	s_waitcnt lgkmcnt(0)
	; wave barrier
	s_waitcnt lgkmcnt(0)
	s_and_saveexec_b64 s[8:9], vcc
	s_cbranch_execz .LBB22_23
; %bb.20:
	buffer_load_dword v8, v12, s[0:3], 0 offen offset:8
	buffer_load_dword v9, v12, s[0:3], 0 offen offset:12
	buffer_load_dword v10, v12, s[0:3], 0 offen
	buffer_load_dword v11, v12, s[0:3], 0 offen offset:4
	ds_read_b128 v[2:5], v6
	s_waitcnt vmcnt(2) lgkmcnt(0)
	v_mul_f64 v[12:13], v[4:5], v[8:9]
	v_mul_f64 v[8:9], v[2:3], v[8:9]
	s_waitcnt vmcnt(0)
	v_fma_f64 v[2:3], v[2:3], v[10:11], -v[12:13]
	v_fmac_f64_e32 v[8:9], v[4:5], v[10:11]
	v_add_f64 v[4:5], v[2:3], 0
	v_add_f64 v[2:3], v[8:9], 0
	s_and_saveexec_b64 s[12:13], s[6:7]
	s_cbranch_execz .LBB22_22
; %bb.21:
	buffer_load_dword v12, off, s[0:3], 0 offset:24
	buffer_load_dword v13, off, s[0:3], 0 offset:28
	buffer_load_dword v14, off, s[0:3], 0 offset:16
	buffer_load_dword v15, off, s[0:3], 0 offset:20
	v_mov_b32_e32 v7, 0
	ds_read_b128 v[8:11], v7 offset:384
	s_waitcnt vmcnt(2) lgkmcnt(0)
	v_mul_f64 v[16:17], v[8:9], v[12:13]
	v_mul_f64 v[12:13], v[10:11], v[12:13]
	s_waitcnt vmcnt(0)
	v_fmac_f64_e32 v[16:17], v[10:11], v[14:15]
	v_fma_f64 v[8:9], v[8:9], v[14:15], -v[12:13]
	v_add_f64 v[2:3], v[2:3], v[16:17]
	v_add_f64 v[4:5], v[4:5], v[8:9]
.LBB22_22:
	s_or_b64 exec, exec, s[12:13]
	v_mov_b32_e32 v7, 0
	ds_read_b128 v[8:11], v7 offset:32
	s_waitcnt lgkmcnt(0)
	v_mul_f64 v[12:13], v[2:3], v[10:11]
	v_mul_f64 v[10:11], v[4:5], v[10:11]
	v_fma_f64 v[4:5], v[4:5], v[8:9], -v[12:13]
	v_fmac_f64_e32 v[10:11], v[2:3], v[8:9]
	buffer_store_dword v5, off, s[0:3], 0 offset:36
	buffer_store_dword v4, off, s[0:3], 0 offset:32
	;; [unrolled: 1-line block ×4, first 2 shown]
.LBB22_23:
	s_or_b64 exec, exec, s[8:9]
	s_waitcnt lgkmcnt(0)
	; wave barrier
	buffer_load_dword v2, v152, s[0:3], 0 offen
	buffer_load_dword v3, v152, s[0:3], 0 offen offset:4
	buffer_load_dword v4, v152, s[0:3], 0 offen offset:8
	;; [unrolled: 1-line block ×3, first 2 shown]
	v_cmp_gt_u32_e32 vcc, 3, v153
	v_add_u32_e32 v7, -1, v153
	s_waitcnt vmcnt(0)
	ds_write_b128 v6, v[2:5]
	s_waitcnt lgkmcnt(0)
	; wave barrier
	s_waitcnt lgkmcnt(0)
	s_and_saveexec_b64 s[6:7], vcc
	s_cbranch_execz .LBB22_27
; %bb.24:
	v_pk_mov_b32 v[2:3], 0, 0
	v_add_u32_e32 v8, -1, v153
	v_add_u32_e32 v9, 0x170, v76
	v_add_u32_e32 v10, 0, v76
	s_mov_b64 s[8:9], 0
	v_pk_mov_b32 v[4:5], v[2:3], v[2:3] op_sel:[0,1]
.LBB22_25:                              ; =>This Inner Loop Header: Depth=1
	buffer_load_dword v16, v10, s[0:3], 0 offen offset:8
	buffer_load_dword v17, v10, s[0:3], 0 offen offset:12
	buffer_load_dword v18, v10, s[0:3], 0 offen
	buffer_load_dword v19, v10, s[0:3], 0 offen offset:4
	ds_read_b128 v[12:15], v9
	v_add_u32_e32 v8, 1, v8
	v_cmp_lt_u32_e32 vcc, 1, v8
	v_add_u32_e32 v9, 16, v9
	v_add_u32_e32 v10, 16, v10
	s_or_b64 s[8:9], vcc, s[8:9]
	s_waitcnt vmcnt(2) lgkmcnt(0)
	v_mul_f64 v[20:21], v[14:15], v[16:17]
	v_mul_f64 v[16:17], v[12:13], v[16:17]
	s_waitcnt vmcnt(0)
	v_fma_f64 v[12:13], v[12:13], v[18:19], -v[20:21]
	v_fmac_f64_e32 v[16:17], v[14:15], v[18:19]
	v_add_f64 v[4:5], v[4:5], v[12:13]
	v_add_f64 v[2:3], v[2:3], v[16:17]
	s_andn2_b64 exec, exec, s[8:9]
	s_cbranch_execnz .LBB22_25
; %bb.26:
	s_or_b64 exec, exec, s[8:9]
	v_mov_b32_e32 v8, 0
	ds_read_b128 v[8:11], v8 offset:48
	s_waitcnt lgkmcnt(0)
	v_mul_f64 v[12:13], v[2:3], v[10:11]
	v_mul_f64 v[10:11], v[4:5], v[10:11]
	v_fma_f64 v[4:5], v[4:5], v[8:9], -v[12:13]
	v_fmac_f64_e32 v[10:11], v[2:3], v[8:9]
	buffer_store_dword v5, off, s[0:3], 0 offset:52
	buffer_store_dword v4, off, s[0:3], 0 offset:48
	buffer_store_dword v11, off, s[0:3], 0 offset:60
	buffer_store_dword v10, off, s[0:3], 0 offset:56
.LBB22_27:
	s_or_b64 exec, exec, s[6:7]
	s_waitcnt lgkmcnt(0)
	; wave barrier
	buffer_load_dword v2, v146, s[0:3], 0 offen
	buffer_load_dword v3, v146, s[0:3], 0 offen offset:4
	buffer_load_dword v4, v146, s[0:3], 0 offen offset:8
	buffer_load_dword v5, v146, s[0:3], 0 offen offset:12
	v_cmp_gt_u32_e32 vcc, 4, v153
	s_waitcnt vmcnt(0)
	ds_write_b128 v6, v[2:5]
	s_waitcnt lgkmcnt(0)
	; wave barrier
	s_waitcnt lgkmcnt(0)
	s_and_saveexec_b64 s[6:7], vcc
	s_cbranch_execz .LBB22_31
; %bb.28:
	v_pk_mov_b32 v[2:3], 0, 0
	v_add_u32_e32 v8, -1, v153
	v_add_u32_e32 v9, 0x170, v76
	v_add_u32_e32 v10, 0, v76
	s_mov_b64 s[8:9], 0
	v_pk_mov_b32 v[4:5], v[2:3], v[2:3] op_sel:[0,1]
.LBB22_29:                              ; =>This Inner Loop Header: Depth=1
	buffer_load_dword v16, v10, s[0:3], 0 offen offset:8
	buffer_load_dword v17, v10, s[0:3], 0 offen offset:12
	buffer_load_dword v18, v10, s[0:3], 0 offen
	buffer_load_dword v19, v10, s[0:3], 0 offen offset:4
	ds_read_b128 v[12:15], v9
	v_add_u32_e32 v8, 1, v8
	v_cmp_lt_u32_e32 vcc, 2, v8
	v_add_u32_e32 v9, 16, v9
	v_add_u32_e32 v10, 16, v10
	s_or_b64 s[8:9], vcc, s[8:9]
	s_waitcnt vmcnt(2) lgkmcnt(0)
	v_mul_f64 v[20:21], v[14:15], v[16:17]
	v_mul_f64 v[16:17], v[12:13], v[16:17]
	s_waitcnt vmcnt(0)
	v_fma_f64 v[12:13], v[12:13], v[18:19], -v[20:21]
	v_fmac_f64_e32 v[16:17], v[14:15], v[18:19]
	v_add_f64 v[4:5], v[4:5], v[12:13]
	v_add_f64 v[2:3], v[2:3], v[16:17]
	s_andn2_b64 exec, exec, s[8:9]
	s_cbranch_execnz .LBB22_29
; %bb.30:
	s_or_b64 exec, exec, s[8:9]
	v_mov_b32_e32 v8, 0
	ds_read_b128 v[8:11], v8 offset:64
	s_waitcnt lgkmcnt(0)
	v_mul_f64 v[12:13], v[2:3], v[10:11]
	v_mul_f64 v[10:11], v[4:5], v[10:11]
	v_fma_f64 v[4:5], v[4:5], v[8:9], -v[12:13]
	v_fmac_f64_e32 v[10:11], v[2:3], v[8:9]
	buffer_store_dword v5, off, s[0:3], 0 offset:68
	buffer_store_dword v4, off, s[0:3], 0 offset:64
	buffer_store_dword v11, off, s[0:3], 0 offset:76
	buffer_store_dword v10, off, s[0:3], 0 offset:72
.LBB22_31:
	s_or_b64 exec, exec, s[6:7]
	s_waitcnt lgkmcnt(0)
	; wave barrier
	buffer_load_dword v2, v147, s[0:3], 0 offen
	buffer_load_dword v3, v147, s[0:3], 0 offen offset:4
	buffer_load_dword v4, v147, s[0:3], 0 offen offset:8
	buffer_load_dword v5, v147, s[0:3], 0 offen offset:12
	v_cmp_gt_u32_e32 vcc, 5, v153
	;; [unrolled: 57-line block ×18, first 2 shown]
	s_waitcnt vmcnt(0)
	ds_write_b128 v6, v[2:5]
	s_waitcnt lgkmcnt(0)
	; wave barrier
	s_waitcnt lgkmcnt(0)
	s_and_saveexec_b64 s[6:7], vcc
	s_cbranch_execz .LBB22_99
; %bb.96:
	v_pk_mov_b32 v[2:3], 0, 0
	v_add_u32_e32 v8, -1, v153
	v_add_u32_e32 v9, 0x170, v76
	v_add_u32_e32 v10, 0, v76
	s_mov_b64 s[8:9], 0
	v_pk_mov_b32 v[4:5], v[2:3], v[2:3] op_sel:[0,1]
.LBB22_97:                              ; =>This Inner Loop Header: Depth=1
	buffer_load_dword v16, v10, s[0:3], 0 offen offset:8
	buffer_load_dword v17, v10, s[0:3], 0 offen offset:12
	buffer_load_dword v18, v10, s[0:3], 0 offen
	buffer_load_dword v19, v10, s[0:3], 0 offen offset:4
	ds_read_b128 v[12:15], v9
	v_add_u32_e32 v8, 1, v8
	v_cmp_lt_u32_e32 vcc, 19, v8
	v_add_u32_e32 v9, 16, v9
	v_add_u32_e32 v10, 16, v10
	s_or_b64 s[8:9], vcc, s[8:9]
	s_waitcnt vmcnt(2) lgkmcnt(0)
	v_mul_f64 v[20:21], v[14:15], v[16:17]
	v_mul_f64 v[16:17], v[12:13], v[16:17]
	s_waitcnt vmcnt(0)
	v_fma_f64 v[12:13], v[12:13], v[18:19], -v[20:21]
	v_fmac_f64_e32 v[16:17], v[14:15], v[18:19]
	v_add_f64 v[4:5], v[4:5], v[12:13]
	v_add_f64 v[2:3], v[2:3], v[16:17]
	s_andn2_b64 exec, exec, s[8:9]
	s_cbranch_execnz .LBB22_97
; %bb.98:
	s_or_b64 exec, exec, s[8:9]
	v_mov_b32_e32 v8, 0
	ds_read_b128 v[8:11], v8 offset:336
	s_waitcnt lgkmcnt(0)
	v_mul_f64 v[12:13], v[2:3], v[10:11]
	v_mul_f64 v[10:11], v[4:5], v[10:11]
	v_fma_f64 v[4:5], v[4:5], v[8:9], -v[12:13]
	v_fmac_f64_e32 v[10:11], v[2:3], v[8:9]
	buffer_store_dword v5, off, s[0:3], 0 offset:340
	buffer_store_dword v4, off, s[0:3], 0 offset:336
	;; [unrolled: 1-line block ×4, first 2 shown]
.LBB22_99:
	s_or_b64 exec, exec, s[6:7]
	s_waitcnt lgkmcnt(0)
	; wave barrier
	buffer_load_dword v2, v1, s[0:3], 0 offen
	buffer_load_dword v3, v1, s[0:3], 0 offen offset:4
	buffer_load_dword v4, v1, s[0:3], 0 offen offset:8
	;; [unrolled: 1-line block ×3, first 2 shown]
	v_cmp_ne_u32_e32 vcc, 22, v153
	s_waitcnt vmcnt(0)
	ds_write_b128 v6, v[2:5]
	s_waitcnt lgkmcnt(0)
	; wave barrier
	s_waitcnt lgkmcnt(0)
	s_and_saveexec_b64 s[6:7], vcc
	s_cbranch_execz .LBB22_103
; %bb.100:
	v_pk_mov_b32 v[2:3], 0, 0
	v_add_u32_e32 v6, 0x170, v76
	v_add_u32_e32 v8, 0, v76
	s_mov_b64 s[8:9], 0
	v_pk_mov_b32 v[4:5], v[2:3], v[2:3] op_sel:[0,1]
.LBB22_101:                             ; =>This Inner Loop Header: Depth=1
	buffer_load_dword v14, v8, s[0:3], 0 offen offset:8
	buffer_load_dword v15, v8, s[0:3], 0 offen offset:12
	buffer_load_dword v16, v8, s[0:3], 0 offen
	buffer_load_dword v17, v8, s[0:3], 0 offen offset:4
	ds_read_b128 v[10:13], v6
	v_add_u32_e32 v7, 1, v7
	v_cmp_lt_u32_e32 vcc, 20, v7
	v_add_u32_e32 v6, 16, v6
	v_add_u32_e32 v8, 16, v8
	s_or_b64 s[8:9], vcc, s[8:9]
	s_waitcnt vmcnt(2) lgkmcnt(0)
	v_mul_f64 v[18:19], v[12:13], v[14:15]
	v_mul_f64 v[14:15], v[10:11], v[14:15]
	s_waitcnt vmcnt(0)
	v_fma_f64 v[10:11], v[10:11], v[16:17], -v[18:19]
	v_fmac_f64_e32 v[14:15], v[12:13], v[16:17]
	v_add_f64 v[4:5], v[4:5], v[10:11]
	v_add_f64 v[2:3], v[2:3], v[14:15]
	s_andn2_b64 exec, exec, s[8:9]
	s_cbranch_execnz .LBB22_101
; %bb.102:
	s_or_b64 exec, exec, s[8:9]
	v_mov_b32_e32 v6, 0
	ds_read_b128 v[6:9], v6 offset:352
	s_waitcnt lgkmcnt(0)
	v_mul_f64 v[10:11], v[2:3], v[8:9]
	v_mul_f64 v[8:9], v[4:5], v[8:9]
	v_fma_f64 v[4:5], v[4:5], v[6:7], -v[10:11]
	v_fmac_f64_e32 v[8:9], v[2:3], v[6:7]
	buffer_store_dword v5, off, s[0:3], 0 offset:356
	buffer_store_dword v4, off, s[0:3], 0 offset:352
	;; [unrolled: 1-line block ×4, first 2 shown]
.LBB22_103:
	s_or_b64 exec, exec, s[6:7]
	s_mov_b64 s[8:9], -1
	s_waitcnt lgkmcnt(0)
	; wave barrier
.LBB22_104:
	s_and_b64 vcc, exec, s[8:9]
	s_cbranch_vccz .LBB22_106
; %bb.105:
	s_lshl_b64 s[6:7], s[10:11], 2
	s_add_u32 s6, s14, s6
	s_addc_u32 s7, s15, s7
	v_mov_b32_e32 v2, 0
	global_load_dword v2, v2, s[6:7]
	s_waitcnt vmcnt(0)
	v_cmp_ne_u32_e32 vcc, 0, v2
	s_cbranch_vccz .LBB22_107
.LBB22_106:
	s_endpgm
.LBB22_107:
	v_mov_b32_e32 v2, 0x170
	v_lshl_add_u32 v112, v153, 4, v2
	v_cmp_eq_u32_e32 vcc, 22, v153
	s_and_saveexec_b64 s[6:7], vcc
	s_cbranch_execz .LBB22_109
; %bb.108:
	buffer_load_dword v2, v132, s[0:3], 0 offen
	buffer_load_dword v3, v132, s[0:3], 0 offen offset:4
	buffer_load_dword v4, v132, s[0:3], 0 offen offset:8
	;; [unrolled: 1-line block ×3, first 2 shown]
	v_mov_b32_e32 v6, 0
	buffer_store_dword v6, off, s[0:3], 0 offset:336
	buffer_store_dword v6, off, s[0:3], 0 offset:340
	;; [unrolled: 1-line block ×4, first 2 shown]
	s_waitcnt vmcnt(4)
	ds_write_b128 v112, v[2:5]
.LBB22_109:
	s_or_b64 exec, exec, s[6:7]
	s_waitcnt lgkmcnt(0)
	; wave barrier
	s_waitcnt lgkmcnt(0)
	buffer_load_dword v8, off, s[0:3], 0 offset:360
	buffer_load_dword v9, off, s[0:3], 0 offset:364
	;; [unrolled: 1-line block ×8, first 2 shown]
	v_mov_b32_e32 v2, 0
	ds_read_b128 v[4:7], v2 offset:720
	v_cmp_lt_u32_e32 vcc, 20, v153
	s_waitcnt vmcnt(6) lgkmcnt(0)
	v_mul_f64 v[16:17], v[4:5], v[8:9]
	v_mul_f64 v[8:9], v[6:7], v[8:9]
	s_waitcnt vmcnt(4)
	v_fma_f64 v[4:5], v[4:5], v[10:11], -v[8:9]
	v_fmac_f64_e32 v[16:17], v[6:7], v[10:11]
	v_add_f64 v[4:5], v[4:5], 0
	v_add_f64 v[6:7], v[16:17], 0
	s_waitcnt vmcnt(2)
	v_add_f64 v[4:5], v[12:13], -v[4:5]
	s_waitcnt vmcnt(0)
	v_add_f64 v[6:7], v[14:15], -v[6:7]
	buffer_store_dword v4, off, s[0:3], 0 offset:336
	buffer_store_dword v5, off, s[0:3], 0 offset:340
	;; [unrolled: 1-line block ×4, first 2 shown]
	s_and_saveexec_b64 s[6:7], vcc
	s_cbranch_execz .LBB22_111
; %bb.110:
	buffer_load_dword v4, v133, s[0:3], 0 offen
	buffer_load_dword v5, v133, s[0:3], 0 offen offset:4
	buffer_load_dword v6, v133, s[0:3], 0 offen offset:8
	;; [unrolled: 1-line block ×3, first 2 shown]
	s_nop 0
	buffer_store_dword v2, off, s[0:3], 0 offset:320
	buffer_store_dword v2, off, s[0:3], 0 offset:324
	;; [unrolled: 1-line block ×4, first 2 shown]
	s_waitcnt vmcnt(4)
	ds_write_b128 v112, v[4:7]
.LBB22_111:
	s_or_b64 exec, exec, s[6:7]
	s_waitcnt lgkmcnt(0)
	; wave barrier
	s_waitcnt lgkmcnt(0)
	buffer_load_dword v12, off, s[0:3], 0 offset:344
	buffer_load_dword v13, off, s[0:3], 0 offset:348
	;; [unrolled: 1-line block ×12, first 2 shown]
	ds_read_b128 v[4:7], v2 offset:704
	ds_read_b128 v[8:11], v2 offset:720
	v_cmp_lt_u32_e32 vcc, 19, v153
	s_waitcnt vmcnt(10) lgkmcnt(1)
	v_mul_f64 v[2:3], v[4:5], v[12:13]
	v_mul_f64 v[12:13], v[6:7], v[12:13]
	s_waitcnt vmcnt(8) lgkmcnt(0)
	v_mul_f64 v[24:25], v[8:9], v[14:15]
	v_mul_f64 v[14:15], v[10:11], v[14:15]
	s_waitcnt vmcnt(6)
	v_fma_f64 v[4:5], v[4:5], v[16:17], -v[12:13]
	v_fmac_f64_e32 v[2:3], v[6:7], v[16:17]
	s_waitcnt vmcnt(4)
	v_fma_f64 v[6:7], v[8:9], v[18:19], -v[14:15]
	v_add_f64 v[4:5], v[4:5], 0
	v_fmac_f64_e32 v[24:25], v[10:11], v[18:19]
	v_add_f64 v[2:3], v[2:3], 0
	v_add_f64 v[4:5], v[4:5], v[6:7]
	;; [unrolled: 1-line block ×3, first 2 shown]
	s_waitcnt vmcnt(2)
	v_add_f64 v[4:5], v[20:21], -v[4:5]
	s_waitcnt vmcnt(0)
	v_add_f64 v[2:3], v[22:23], -v[2:3]
	buffer_store_dword v4, off, s[0:3], 0 offset:320
	buffer_store_dword v5, off, s[0:3], 0 offset:324
	;; [unrolled: 1-line block ×4, first 2 shown]
	s_and_saveexec_b64 s[6:7], vcc
	s_cbranch_execz .LBB22_113
; %bb.112:
	buffer_load_dword v2, v134, s[0:3], 0 offen
	buffer_load_dword v3, v134, s[0:3], 0 offen offset:4
	buffer_load_dword v4, v134, s[0:3], 0 offen offset:8
	;; [unrolled: 1-line block ×3, first 2 shown]
	v_mov_b32_e32 v6, 0
	buffer_store_dword v6, off, s[0:3], 0 offset:304
	buffer_store_dword v6, off, s[0:3], 0 offset:308
	;; [unrolled: 1-line block ×4, first 2 shown]
	s_waitcnt vmcnt(4)
	ds_write_b128 v112, v[2:5]
.LBB22_113:
	s_or_b64 exec, exec, s[6:7]
	s_waitcnt lgkmcnt(0)
	; wave barrier
	s_waitcnt lgkmcnt(0)
	buffer_load_dword v16, off, s[0:3], 0 offset:328
	buffer_load_dword v17, off, s[0:3], 0 offset:332
	;; [unrolled: 1-line block ×16, first 2 shown]
	v_mov_b32_e32 v2, 0
	ds_read_b128 v[4:7], v2 offset:688
	ds_read_b128 v[8:11], v2 offset:704
	;; [unrolled: 1-line block ×3, first 2 shown]
	v_cmp_lt_u32_e32 vcc, 18, v153
	s_waitcnt vmcnt(14) lgkmcnt(2)
	v_mul_f64 v[78:79], v[4:5], v[16:17]
	v_mul_f64 v[16:17], v[6:7], v[16:17]
	s_waitcnt vmcnt(12) lgkmcnt(1)
	v_mul_f64 v[80:81], v[8:9], v[18:19]
	v_mul_f64 v[18:19], v[10:11], v[18:19]
	;; [unrolled: 3-line block ×3, first 2 shown]
	s_waitcnt vmcnt(8)
	v_fma_f64 v[4:5], v[4:5], v[22:23], -v[16:17]
	v_fmac_f64_e32 v[78:79], v[6:7], v[22:23]
	s_waitcnt vmcnt(6)
	v_fma_f64 v[6:7], v[8:9], v[24:25], -v[18:19]
	v_add_f64 v[4:5], v[4:5], 0
	v_fmac_f64_e32 v[80:81], v[10:11], v[24:25]
	s_waitcnt vmcnt(4)
	v_fma_f64 v[8:9], v[12:13], v[26:27], -v[20:21]
	v_add_f64 v[10:11], v[78:79], 0
	v_add_f64 v[4:5], v[4:5], v[6:7]
	v_fmac_f64_e32 v[82:83], v[14:15], v[26:27]
	v_add_f64 v[10:11], v[10:11], v[80:81]
	v_add_f64 v[4:5], v[4:5], v[8:9]
	;; [unrolled: 1-line block ×3, first 2 shown]
	s_waitcnt vmcnt(2)
	v_add_f64 v[4:5], v[28:29], -v[4:5]
	s_waitcnt vmcnt(0)
	v_add_f64 v[6:7], v[76:77], -v[6:7]
	buffer_store_dword v4, off, s[0:3], 0 offset:304
	buffer_store_dword v5, off, s[0:3], 0 offset:308
	;; [unrolled: 1-line block ×4, first 2 shown]
	s_and_saveexec_b64 s[6:7], vcc
	s_cbranch_execz .LBB22_115
; %bb.114:
	buffer_load_dword v4, v135, s[0:3], 0 offen
	buffer_load_dword v5, v135, s[0:3], 0 offen offset:4
	buffer_load_dword v6, v135, s[0:3], 0 offen offset:8
	;; [unrolled: 1-line block ×3, first 2 shown]
	s_nop 0
	buffer_store_dword v2, off, s[0:3], 0 offset:288
	buffer_store_dword v2, off, s[0:3], 0 offset:292
	;; [unrolled: 1-line block ×4, first 2 shown]
	s_waitcnt vmcnt(4)
	ds_write_b128 v112, v[4:7]
.LBB22_115:
	s_or_b64 exec, exec, s[6:7]
	s_waitcnt lgkmcnt(0)
	; wave barrier
	s_waitcnt lgkmcnt(0)
	buffer_load_dword v20, off, s[0:3], 0 offset:312
	buffer_load_dword v21, off, s[0:3], 0 offset:316
	buffer_load_dword v22, off, s[0:3], 0 offset:328
	buffer_load_dword v23, off, s[0:3], 0 offset:332
	buffer_load_dword v24, off, s[0:3], 0 offset:344
	buffer_load_dword v25, off, s[0:3], 0 offset:348
	buffer_load_dword v27, off, s[0:3], 0 offset:364
	buffer_load_dword v26, off, s[0:3], 0 offset:360
	buffer_load_dword v28, off, s[0:3], 0 offset:304
	buffer_load_dword v29, off, s[0:3], 0 offset:308
	buffer_load_dword v76, off, s[0:3], 0 offset:320
	buffer_load_dword v77, off, s[0:3], 0 offset:324
	buffer_load_dword v78, off, s[0:3], 0 offset:336
	buffer_load_dword v79, off, s[0:3], 0 offset:340
	buffer_load_dword v81, off, s[0:3], 0 offset:356
	buffer_load_dword v80, off, s[0:3], 0 offset:352
	buffer_load_dword v82, off, s[0:3], 0 offset:288
	buffer_load_dword v83, off, s[0:3], 0 offset:292
	buffer_load_dword v84, off, s[0:3], 0 offset:296
	buffer_load_dword v85, off, s[0:3], 0 offset:300
	ds_read_b128 v[4:7], v2 offset:672
	ds_read_b128 v[8:11], v2 offset:688
	;; [unrolled: 1-line block ×4, first 2 shown]
	v_cmp_lt_u32_e32 vcc, 17, v153
	s_waitcnt vmcnt(18) lgkmcnt(3)
	v_mul_f64 v[2:3], v[4:5], v[20:21]
	v_mul_f64 v[20:21], v[6:7], v[20:21]
	s_waitcnt vmcnt(16) lgkmcnt(2)
	v_mul_f64 v[86:87], v[8:9], v[22:23]
	v_mul_f64 v[22:23], v[10:11], v[22:23]
	;; [unrolled: 3-line block ×4, first 2 shown]
	s_waitcnt vmcnt(10)
	v_fma_f64 v[4:5], v[4:5], v[28:29], -v[20:21]
	v_fmac_f64_e32 v[2:3], v[6:7], v[28:29]
	s_waitcnt vmcnt(8)
	v_fma_f64 v[6:7], v[8:9], v[76:77], -v[22:23]
	v_add_f64 v[4:5], v[4:5], 0
	v_fmac_f64_e32 v[86:87], v[10:11], v[76:77]
	s_waitcnt vmcnt(6)
	v_fma_f64 v[8:9], v[12:13], v[78:79], -v[24:25]
	v_add_f64 v[2:3], v[2:3], 0
	v_add_f64 v[4:5], v[4:5], v[6:7]
	v_fmac_f64_e32 v[88:89], v[14:15], v[78:79]
	s_waitcnt vmcnt(4)
	v_fma_f64 v[10:11], v[16:17], v[80:81], -v[26:27]
	v_add_f64 v[2:3], v[2:3], v[86:87]
	v_add_f64 v[4:5], v[4:5], v[8:9]
	v_fmac_f64_e32 v[90:91], v[18:19], v[80:81]
	v_add_f64 v[2:3], v[2:3], v[88:89]
	v_add_f64 v[4:5], v[4:5], v[10:11]
	;; [unrolled: 1-line block ×3, first 2 shown]
	s_waitcnt vmcnt(2)
	v_add_f64 v[4:5], v[82:83], -v[4:5]
	s_waitcnt vmcnt(0)
	v_add_f64 v[2:3], v[84:85], -v[2:3]
	buffer_store_dword v4, off, s[0:3], 0 offset:288
	buffer_store_dword v5, off, s[0:3], 0 offset:292
	;; [unrolled: 1-line block ×4, first 2 shown]
	s_and_saveexec_b64 s[6:7], vcc
	s_cbranch_execz .LBB22_117
; %bb.116:
	buffer_load_dword v2, v137, s[0:3], 0 offen
	buffer_load_dword v3, v137, s[0:3], 0 offen offset:4
	buffer_load_dword v4, v137, s[0:3], 0 offen offset:8
	;; [unrolled: 1-line block ×3, first 2 shown]
	v_mov_b32_e32 v6, 0
	buffer_store_dword v6, off, s[0:3], 0 offset:272
	buffer_store_dword v6, off, s[0:3], 0 offset:276
	;; [unrolled: 1-line block ×4, first 2 shown]
	s_waitcnt vmcnt(4)
	ds_write_b128 v112, v[2:5]
.LBB22_117:
	s_or_b64 exec, exec, s[6:7]
	s_waitcnt lgkmcnt(0)
	; wave barrier
	s_waitcnt lgkmcnt(0)
	buffer_load_dword v24, off, s[0:3], 0 offset:296
	buffer_load_dword v25, off, s[0:3], 0 offset:300
	;; [unrolled: 1-line block ×24, first 2 shown]
	v_mov_b32_e32 v2, 0
	ds_read_b128 v[4:7], v2 offset:656
	ds_read_b128 v[8:11], v2 offset:672
	;; [unrolled: 1-line block ×5, first 2 shown]
	v_cmp_lt_u32_e32 vcc, 16, v153
	s_waitcnt vmcnt(22) lgkmcnt(4)
	v_mul_f64 v[94:95], v[4:5], v[24:25]
	v_mul_f64 v[24:25], v[6:7], v[24:25]
	s_waitcnt vmcnt(20) lgkmcnt(3)
	v_mul_f64 v[96:97], v[8:9], v[26:27]
	v_mul_f64 v[26:27], v[10:11], v[26:27]
	;; [unrolled: 3-line block ×4, first 2 shown]
	s_waitcnt vmcnt(13) lgkmcnt(0)
	v_mul_f64 v[102:103], v[20:21], v[76:77]
	s_waitcnt vmcnt(11)
	v_fma_f64 v[4:5], v[4:5], v[82:83], -v[24:25]
	v_fmac_f64_e32 v[94:95], v[6:7], v[82:83]
	s_waitcnt vmcnt(9)
	v_fma_f64 v[6:7], v[8:9], v[84:85], -v[26:27]
	v_add_f64 v[4:5], v[4:5], 0
	v_fmac_f64_e32 v[96:97], v[10:11], v[84:85]
	s_waitcnt vmcnt(7)
	v_fmac_f64_e32 v[98:99], v[14:15], v[86:87]
	v_fma_f64 v[8:9], v[12:13], v[86:87], -v[28:29]
	v_add_f64 v[14:15], v[94:95], 0
	v_add_f64 v[4:5], v[4:5], v[6:7]
	v_mul_f64 v[76:77], v[22:23], v[76:77]
	s_waitcnt vmcnt(5)
	v_fma_f64 v[10:11], v[16:17], v[88:89], -v[80:81]
	v_add_f64 v[14:15], v[14:15], v[96:97]
	v_add_f64 v[4:5], v[4:5], v[8:9]
	v_fmac_f64_e32 v[100:101], v[18:19], v[88:89]
	s_waitcnt vmcnt(4)
	v_fma_f64 v[12:13], v[20:21], v[78:79], -v[76:77]
	v_add_f64 v[6:7], v[14:15], v[98:99]
	v_add_f64 v[4:5], v[4:5], v[10:11]
	v_fmac_f64_e32 v[102:103], v[22:23], v[78:79]
	v_add_f64 v[6:7], v[6:7], v[100:101]
	v_add_f64 v[4:5], v[4:5], v[12:13]
	;; [unrolled: 1-line block ×3, first 2 shown]
	s_waitcnt vmcnt(2)
	v_add_f64 v[4:5], v[90:91], -v[4:5]
	s_waitcnt vmcnt(0)
	v_add_f64 v[6:7], v[92:93], -v[6:7]
	buffer_store_dword v5, off, s[0:3], 0 offset:276
	buffer_store_dword v4, off, s[0:3], 0 offset:272
	;; [unrolled: 1-line block ×4, first 2 shown]
	s_and_saveexec_b64 s[6:7], vcc
	s_cbranch_execz .LBB22_119
; %bb.118:
	buffer_load_dword v4, v136, s[0:3], 0 offen
	buffer_load_dword v5, v136, s[0:3], 0 offen offset:4
	buffer_load_dword v6, v136, s[0:3], 0 offen offset:8
	;; [unrolled: 1-line block ×3, first 2 shown]
	s_nop 0
	buffer_store_dword v2, off, s[0:3], 0 offset:256
	buffer_store_dword v2, off, s[0:3], 0 offset:260
	;; [unrolled: 1-line block ×4, first 2 shown]
	s_waitcnt vmcnt(4)
	ds_write_b128 v112, v[4:7]
.LBB22_119:
	s_or_b64 exec, exec, s[6:7]
	s_waitcnt lgkmcnt(0)
	; wave barrier
	s_waitcnt lgkmcnt(0)
	buffer_load_dword v28, off, s[0:3], 0 offset:280
	buffer_load_dword v29, off, s[0:3], 0 offset:284
	;; [unrolled: 1-line block ×28, first 2 shown]
	ds_read_b128 v[4:7], v2 offset:640
	ds_read_b128 v[8:11], v2 offset:656
	;; [unrolled: 1-line block ×6, first 2 shown]
	v_cmp_lt_u32_e32 vcc, 15, v153
	s_waitcnt vmcnt(26) lgkmcnt(5)
	v_mul_f64 v[2:3], v[4:5], v[28:29]
	v_mul_f64 v[28:29], v[6:7], v[28:29]
	s_waitcnt vmcnt(24) lgkmcnt(4)
	v_mul_f64 v[102:103], v[8:9], v[76:77]
	v_mul_f64 v[76:77], v[10:11], v[76:77]
	;; [unrolled: 3-line block ×4, first 2 shown]
	s_waitcnt vmcnt(17)
	v_mul_f64 v[106:107], v[16:17], v[84:85]
	v_mul_f64 v[84:85], v[18:19], v[84:85]
	s_waitcnt vmcnt(15) lgkmcnt(0)
	v_mul_f64 v[110:111], v[24:25], v[86:87]
	v_mul_f64 v[86:87], v[26:27], v[86:87]
	s_waitcnt vmcnt(14)
	v_fmac_f64_e32 v[108:109], v[22:23], v[82:83]
	s_waitcnt vmcnt(12)
	v_fma_f64 v[4:5], v[4:5], v[88:89], -v[28:29]
	v_fmac_f64_e32 v[2:3], v[6:7], v[88:89]
	s_waitcnt vmcnt(10)
	v_fma_f64 v[6:7], v[8:9], v[90:91], -v[76:77]
	v_add_f64 v[4:5], v[4:5], 0
	v_fmac_f64_e32 v[102:103], v[10:11], v[90:91]
	s_waitcnt vmcnt(8)
	v_fma_f64 v[8:9], v[12:13], v[92:93], -v[78:79]
	v_add_f64 v[2:3], v[2:3], 0
	v_add_f64 v[4:5], v[4:5], v[6:7]
	v_fmac_f64_e32 v[104:105], v[14:15], v[92:93]
	s_waitcnt vmcnt(6)
	v_fma_f64 v[10:11], v[16:17], v[94:95], -v[84:85]
	v_add_f64 v[2:3], v[2:3], v[102:103]
	v_add_f64 v[4:5], v[4:5], v[8:9]
	v_fmac_f64_e32 v[106:107], v[18:19], v[94:95]
	v_fma_f64 v[12:13], v[20:21], v[82:83], -v[80:81]
	v_add_f64 v[2:3], v[2:3], v[104:105]
	v_add_f64 v[4:5], v[4:5], v[10:11]
	s_waitcnt vmcnt(4)
	v_fma_f64 v[14:15], v[24:25], v[96:97], -v[86:87]
	v_add_f64 v[2:3], v[2:3], v[106:107]
	v_add_f64 v[4:5], v[4:5], v[12:13]
	v_fmac_f64_e32 v[110:111], v[26:27], v[96:97]
	v_add_f64 v[2:3], v[2:3], v[108:109]
	v_add_f64 v[4:5], v[4:5], v[14:15]
	;; [unrolled: 1-line block ×3, first 2 shown]
	s_waitcnt vmcnt(2)
	v_add_f64 v[4:5], v[98:99], -v[4:5]
	s_waitcnt vmcnt(0)
	v_add_f64 v[2:3], v[100:101], -v[2:3]
	buffer_store_dword v5, off, s[0:3], 0 offset:260
	buffer_store_dword v4, off, s[0:3], 0 offset:256
	;; [unrolled: 1-line block ×4, first 2 shown]
	s_and_saveexec_b64 s[6:7], vcc
	s_cbranch_execz .LBB22_121
; %bb.120:
	buffer_load_dword v2, v141, s[0:3], 0 offen
	buffer_load_dword v3, v141, s[0:3], 0 offen offset:4
	buffer_load_dword v4, v141, s[0:3], 0 offen offset:8
	;; [unrolled: 1-line block ×3, first 2 shown]
	v_mov_b32_e32 v6, 0
	buffer_store_dword v6, off, s[0:3], 0 offset:240
	buffer_store_dword v6, off, s[0:3], 0 offset:244
	;; [unrolled: 1-line block ×4, first 2 shown]
	s_waitcnt vmcnt(4)
	ds_write_b128 v112, v[2:5]
.LBB22_121:
	s_or_b64 exec, exec, s[6:7]
	s_waitcnt lgkmcnt(0)
	; wave barrier
	s_waitcnt lgkmcnt(0)
	buffer_load_dword v28, off, s[0:3], 0 offset:264
	buffer_load_dword v29, off, s[0:3], 0 offset:268
	;; [unrolled: 1-line block ×32, first 2 shown]
	v_mov_b32_e32 v2, 0
	ds_read_b128 v[4:7], v2 offset:624
	ds_read_b128 v[8:11], v2 offset:640
	;; [unrolled: 1-line block ×7, first 2 shown]
	v_cmp_lt_u32_e32 vcc, 14, v153
	s_waitcnt vmcnt(30) lgkmcnt(6)
	v_mul_f64 v[110:111], v[4:5], v[28:29]
	v_mul_f64 v[28:29], v[6:7], v[28:29]
	s_waitcnt vmcnt(28) lgkmcnt(5)
	v_mul_f64 v[114:115], v[8:9], v[80:81]
	v_mul_f64 v[80:81], v[10:11], v[80:81]
	s_waitcnt vmcnt(26) lgkmcnt(4)
	v_mul_f64 v[116:117], v[12:13], v[82:83]
	v_mul_f64 v[82:83], v[14:15], v[82:83]
	s_waitcnt vmcnt(24) lgkmcnt(2)
	v_mul_f64 v[120:121], v[20:21], v[84:85]
	v_mul_f64 v[84:85], v[22:23], v[84:85]
	s_waitcnt vmcnt(21)
	v_mul_f64 v[118:119], v[16:17], v[88:89]
	v_mul_f64 v[88:89], v[18:19], v[88:89]
	s_waitcnt vmcnt(17) lgkmcnt(1)
	v_mul_f64 v[122:123], v[24:25], v[94:95]
	v_mul_f64 v[94:95], v[26:27], v[94:95]
	s_waitcnt vmcnt(16) lgkmcnt(0)
	v_mul_f64 v[124:125], v[76:77], v[90:91]
	v_mul_f64 v[90:91], v[78:79], v[90:91]
	s_waitcnt vmcnt(13)
	v_fma_f64 v[4:5], v[4:5], v[96:97], -v[28:29]
	v_fmac_f64_e32 v[110:111], v[6:7], v[96:97]
	s_waitcnt vmcnt(11)
	v_fma_f64 v[6:7], v[8:9], v[98:99], -v[80:81]
	v_add_f64 v[4:5], v[4:5], 0
	v_fmac_f64_e32 v[114:115], v[10:11], v[98:99]
	s_waitcnt vmcnt(9)
	v_fma_f64 v[8:9], v[12:13], v[100:101], -v[82:83]
	s_waitcnt vmcnt(7)
	v_fmac_f64_e32 v[118:119], v[18:19], v[102:103]
	v_add_f64 v[18:19], v[110:111], 0
	v_add_f64 v[4:5], v[4:5], v[6:7]
	v_fmac_f64_e32 v[116:117], v[14:15], v[100:101]
	v_fma_f64 v[10:11], v[16:17], v[102:103], -v[88:89]
	v_add_f64 v[18:19], v[18:19], v[114:115]
	v_add_f64 v[4:5], v[4:5], v[8:9]
	v_fma_f64 v[12:13], v[20:21], v[86:87], -v[84:85]
	v_add_f64 v[6:7], v[18:19], v[116:117]
	v_add_f64 v[4:5], v[4:5], v[10:11]
	v_fmac_f64_e32 v[120:121], v[22:23], v[86:87]
	s_waitcnt vmcnt(5)
	v_fma_f64 v[14:15], v[24:25], v[104:105], -v[94:95]
	v_add_f64 v[6:7], v[6:7], v[118:119]
	v_add_f64 v[4:5], v[4:5], v[12:13]
	v_fmac_f64_e32 v[122:123], v[26:27], v[104:105]
	s_waitcnt vmcnt(4)
	v_fma_f64 v[16:17], v[76:77], v[92:93], -v[90:91]
	v_add_f64 v[6:7], v[6:7], v[120:121]
	v_add_f64 v[4:5], v[4:5], v[14:15]
	v_fmac_f64_e32 v[124:125], v[78:79], v[92:93]
	v_add_f64 v[6:7], v[6:7], v[122:123]
	v_add_f64 v[4:5], v[4:5], v[16:17]
	;; [unrolled: 1-line block ×3, first 2 shown]
	s_waitcnt vmcnt(2)
	v_add_f64 v[4:5], v[106:107], -v[4:5]
	s_waitcnt vmcnt(0)
	v_add_f64 v[6:7], v[108:109], -v[6:7]
	buffer_store_dword v5, off, s[0:3], 0 offset:244
	buffer_store_dword v4, off, s[0:3], 0 offset:240
	;; [unrolled: 1-line block ×4, first 2 shown]
	s_and_saveexec_b64 s[6:7], vcc
	s_cbranch_execz .LBB22_123
; %bb.122:
	buffer_load_dword v4, v139, s[0:3], 0 offen
	buffer_load_dword v5, v139, s[0:3], 0 offen offset:4
	buffer_load_dword v6, v139, s[0:3], 0 offen offset:8
	;; [unrolled: 1-line block ×3, first 2 shown]
	s_nop 0
	buffer_store_dword v2, off, s[0:3], 0 offset:224
	buffer_store_dword v2, off, s[0:3], 0 offset:228
	;; [unrolled: 1-line block ×4, first 2 shown]
	s_waitcnt vmcnt(4)
	ds_write_b128 v112, v[4:7]
.LBB22_123:
	s_or_b64 exec, exec, s[6:7]
	s_waitcnt lgkmcnt(0)
	; wave barrier
	s_waitcnt lgkmcnt(0)
	buffer_load_dword v28, off, s[0:3], 0 offset:248
	buffer_load_dword v29, off, s[0:3], 0 offset:252
	;; [unrolled: 1-line block ×36, first 2 shown]
	ds_read_b128 v[4:7], v2 offset:608
	ds_read_b128 v[8:11], v2 offset:624
	ds_read_b128 v[12:15], v2 offset:640
	ds_read_b128 v[16:19], v2 offset:656
	ds_read_b128 v[20:23], v2 offset:672
	ds_read_b128 v[24:27], v2 offset:688
	ds_read_b128 v[76:79], v2 offset:704
	ds_read_b128 v[80:83], v2 offset:720
	v_cmp_lt_u32_e32 vcc, 13, v153
	s_waitcnt vmcnt(34) lgkmcnt(7)
	v_mul_f64 v[2:3], v[4:5], v[28:29]
	v_mul_f64 v[28:29], v[6:7], v[28:29]
	s_waitcnt vmcnt(32) lgkmcnt(6)
	v_mul_f64 v[120:121], v[8:9], v[84:85]
	v_mul_f64 v[84:85], v[10:11], v[84:85]
	;; [unrolled: 3-line block ×4, first 2 shown]
	s_waitcnt vmcnt(25)
	v_mul_f64 v[124:125], v[16:17], v[92:93]
	v_mul_f64 v[92:93], v[18:19], v[92:93]
	s_waitcnt vmcnt(23) lgkmcnt(1)
	v_mul_f64 v[130:131], v[76:77], v[94:95]
	v_mul_f64 v[94:95], v[78:79], v[94:95]
	s_waitcnt vmcnt(20)
	v_mul_f64 v[128:129], v[24:25], v[98:99]
	v_mul_f64 v[98:99], v[26:27], v[98:99]
	s_waitcnt vmcnt(18) lgkmcnt(0)
	v_mul_f64 v[154:155], v[80:81], v[100:101]
	s_waitcnt vmcnt(17)
	v_fmac_f64_e32 v[126:127], v[22:23], v[90:91]
	s_waitcnt vmcnt(16)
	v_fmac_f64_e32 v[130:131], v[78:79], v[96:97]
	s_waitcnt vmcnt(14)
	v_fma_f64 v[4:5], v[4:5], v[102:103], -v[28:29]
	v_fmac_f64_e32 v[2:3], v[6:7], v[102:103]
	s_waitcnt vmcnt(12)
	v_fma_f64 v[6:7], v[8:9], v[104:105], -v[84:85]
	v_add_f64 v[4:5], v[4:5], 0
	v_fmac_f64_e32 v[120:121], v[10:11], v[104:105]
	s_waitcnt vmcnt(10)
	v_fma_f64 v[8:9], v[12:13], v[106:107], -v[86:87]
	v_add_f64 v[2:3], v[2:3], 0
	v_add_f64 v[4:5], v[4:5], v[6:7]
	v_fmac_f64_e32 v[122:123], v[14:15], v[106:107]
	s_waitcnt vmcnt(8)
	v_fma_f64 v[10:11], v[16:17], v[108:109], -v[92:93]
	v_add_f64 v[2:3], v[2:3], v[120:121]
	v_add_f64 v[4:5], v[4:5], v[8:9]
	v_fmac_f64_e32 v[124:125], v[18:19], v[108:109]
	v_fma_f64 v[12:13], v[20:21], v[90:91], -v[88:89]
	v_add_f64 v[2:3], v[2:3], v[122:123]
	v_add_f64 v[4:5], v[4:5], v[10:11]
	s_waitcnt vmcnt(6)
	v_fma_f64 v[14:15], v[24:25], v[110:111], -v[98:99]
	v_add_f64 v[2:3], v[2:3], v[124:125]
	v_add_f64 v[4:5], v[4:5], v[12:13]
	v_fmac_f64_e32 v[128:129], v[26:27], v[110:111]
	v_fma_f64 v[16:17], v[76:77], v[96:97], -v[94:95]
	v_add_f64 v[2:3], v[2:3], v[126:127]
	v_add_f64 v[4:5], v[4:5], v[14:15]
	v_mul_f64 v[6:7], v[82:83], v[100:101]
	v_add_f64 v[2:3], v[2:3], v[128:129]
	v_add_f64 v[4:5], v[4:5], v[16:17]
	s_waitcnt vmcnt(4)
	v_fma_f64 v[6:7], v[80:81], v[114:115], -v[6:7]
	v_fmac_f64_e32 v[154:155], v[82:83], v[114:115]
	v_add_f64 v[2:3], v[2:3], v[130:131]
	v_add_f64 v[4:5], v[4:5], v[6:7]
	;; [unrolled: 1-line block ×3, first 2 shown]
	s_waitcnt vmcnt(2)
	v_add_f64 v[4:5], v[116:117], -v[4:5]
	s_waitcnt vmcnt(0)
	v_add_f64 v[2:3], v[118:119], -v[2:3]
	buffer_store_dword v5, off, s[0:3], 0 offset:228
	buffer_store_dword v4, off, s[0:3], 0 offset:224
	;; [unrolled: 1-line block ×4, first 2 shown]
	s_and_saveexec_b64 s[6:7], vcc
	s_cbranch_execz .LBB22_125
; %bb.124:
	buffer_load_dword v2, v140, s[0:3], 0 offen
	buffer_load_dword v3, v140, s[0:3], 0 offen offset:4
	buffer_load_dword v4, v140, s[0:3], 0 offen offset:8
	;; [unrolled: 1-line block ×3, first 2 shown]
	v_mov_b32_e32 v6, 0
	buffer_store_dword v6, off, s[0:3], 0 offset:208
	buffer_store_dword v6, off, s[0:3], 0 offset:212
	;; [unrolled: 1-line block ×4, first 2 shown]
	s_waitcnt vmcnt(4)
	ds_write_b128 v112, v[2:5]
.LBB22_125:
	s_or_b64 exec, exec, s[6:7]
	s_waitcnt lgkmcnt(0)
	; wave barrier
	s_waitcnt lgkmcnt(0)
	buffer_load_dword v84, off, s[0:3], 0 offset:232
	buffer_load_dword v85, off, s[0:3], 0 offset:236
	;; [unrolled: 1-line block ×40, first 2 shown]
	v_mov_b32_e32 v90, 0
	ds_read_b128 v[2:5], v90 offset:592
	ds_read_b128 v[6:9], v90 offset:608
	;; [unrolled: 1-line block ×9, first 2 shown]
	v_cmp_lt_u32_e32 vcc, 12, v153
	s_waitcnt vmcnt(38) lgkmcnt(8)
	v_mul_f64 v[128:129], v[2:3], v[84:85]
	v_mul_f64 v[84:85], v[4:5], v[84:85]
	s_waitcnt vmcnt(36) lgkmcnt(7)
	v_mul_f64 v[130:131], v[6:7], v[86:87]
	v_mul_f64 v[86:87], v[8:9], v[86:87]
	;; [unrolled: 3-line block ×3, first 2 shown]
	s_waitcnt vmcnt(32) lgkmcnt(4)
	v_mul_f64 v[158:159], v[18:19], v[92:93]
	s_waitcnt vmcnt(30)
	v_fmac_f64_e32 v[158:159], v[20:21], v[94:95]
	s_waitcnt vmcnt(28)
	v_mul_f64 v[156:157], v[14:15], v[96:97]
	v_mul_f64 v[96:97], v[16:17], v[96:97]
	s_waitcnt vmcnt(26) lgkmcnt(2)
	v_mul_f64 v[162:163], v[26:27], v[98:99]
	s_waitcnt vmcnt(24)
	v_fmac_f64_e32 v[162:163], v[28:29], v[100:101]
	s_waitcnt vmcnt(22)
	v_mul_f64 v[160:161], v[22:23], v[102:103]
	s_waitcnt vmcnt(18) lgkmcnt(1)
	v_mul_f64 v[164:165], v[76:77], v[108:109]
	s_waitcnt vmcnt(17) lgkmcnt(0)
	v_mul_f64 v[166:167], v[80:81], v[104:105]
	s_waitcnt vmcnt(15)
	v_fma_f64 v[2:3], v[2:3], v[110:111], -v[84:85]
	v_fmac_f64_e32 v[128:129], v[4:5], v[110:111]
	s_waitcnt vmcnt(13)
	v_fma_f64 v[4:5], v[6:7], v[114:115], -v[86:87]
	v_add_f64 v[2:3], v[2:3], 0
	s_waitcnt vmcnt(11)
	v_fma_f64 v[6:7], v[10:11], v[116:117], -v[88:89]
	v_add_f64 v[2:3], v[2:3], v[4:5]
	v_fmac_f64_e32 v[130:131], v[8:9], v[114:115]
	s_waitcnt vmcnt(9)
	v_fma_f64 v[8:9], v[14:15], v[118:119], -v[96:97]
	v_add_f64 v[2:3], v[2:3], v[6:7]
	v_mul_f64 v[6:7], v[20:21], v[92:93]
	v_add_f64 v[2:3], v[2:3], v[8:9]
	v_fma_f64 v[6:7], v[18:19], v[94:95], -v[6:7]
	v_add_f64 v[2:3], v[2:3], v[6:7]
	v_mul_f64 v[6:7], v[24:25], v[102:103]
	v_add_f64 v[10:11], v[128:129], 0
	s_waitcnt vmcnt(7)
	v_fma_f64 v[6:7], v[22:23], v[120:121], -v[6:7]
	v_fmac_f64_e32 v[154:155], v[12:13], v[116:117]
	v_add_f64 v[10:11], v[10:11], v[130:131]
	v_add_f64 v[2:3], v[2:3], v[6:7]
	v_mul_f64 v[6:7], v[28:29], v[98:99]
	v_fmac_f64_e32 v[156:157], v[16:17], v[118:119]
	v_add_f64 v[4:5], v[10:11], v[154:155]
	v_fma_f64 v[6:7], v[26:27], v[100:101], -v[6:7]
	v_add_f64 v[4:5], v[4:5], v[156:157]
	v_add_f64 v[2:3], v[2:3], v[6:7]
	v_mul_f64 v[6:7], v[78:79], v[108:109]
	v_fmac_f64_e32 v[160:161], v[24:25], v[120:121]
	v_add_f64 v[4:5], v[4:5], v[158:159]
	s_waitcnt vmcnt(5)
	v_fma_f64 v[6:7], v[76:77], v[122:123], -v[6:7]
	v_add_f64 v[4:5], v[4:5], v[160:161]
	v_add_f64 v[2:3], v[2:3], v[6:7]
	v_mul_f64 v[6:7], v[82:83], v[104:105]
	v_fmac_f64_e32 v[164:165], v[78:79], v[122:123]
	v_add_f64 v[4:5], v[4:5], v[162:163]
	s_waitcnt vmcnt(4)
	v_fma_f64 v[6:7], v[80:81], v[106:107], -v[6:7]
	v_fmac_f64_e32 v[166:167], v[82:83], v[106:107]
	v_add_f64 v[4:5], v[4:5], v[164:165]
	v_add_f64 v[2:3], v[2:3], v[6:7]
	v_add_f64 v[4:5], v[4:5], v[166:167]
	s_waitcnt vmcnt(2)
	v_add_f64 v[2:3], v[124:125], -v[2:3]
	s_waitcnt vmcnt(0)
	v_add_f64 v[4:5], v[126:127], -v[4:5]
	buffer_store_dword v3, off, s[0:3], 0 offset:212
	buffer_store_dword v2, off, s[0:3], 0 offset:208
	;; [unrolled: 1-line block ×4, first 2 shown]
	s_and_saveexec_b64 s[6:7], vcc
	s_cbranch_execz .LBB22_127
; %bb.126:
	buffer_load_dword v2, v138, s[0:3], 0 offen
	buffer_load_dword v3, v138, s[0:3], 0 offen offset:4
	buffer_load_dword v4, v138, s[0:3], 0 offen offset:8
	;; [unrolled: 1-line block ×3, first 2 shown]
	s_nop 0
	buffer_store_dword v90, off, s[0:3], 0 offset:192
	buffer_store_dword v90, off, s[0:3], 0 offset:196
	;; [unrolled: 1-line block ×4, first 2 shown]
	s_waitcnt vmcnt(4)
	ds_write_b128 v112, v[2:5]
.LBB22_127:
	s_or_b64 exec, exec, s[6:7]
	s_waitcnt lgkmcnt(0)
	; wave barrier
	s_waitcnt lgkmcnt(0)
	ds_read_b128 v[14:17], v90 offset:576
	ds_read_b128 v[10:13], v90 offset:592
	;; [unrolled: 1-line block ×4, first 2 shown]
	buffer_load_dword v24, off, s[0:3], 0 offset:192
	buffer_load_dword v25, off, s[0:3], 0 offset:196
	;; [unrolled: 1-line block ×20, first 2 shown]
	v_cmp_lt_u32_e32 vcc, 11, v153
	s_waitcnt vmcnt(12) lgkmcnt(3)
	v_mul_f64 v[18:19], v[14:15], v[86:87]
	v_fmac_f64_e32 v[18:19], v[16:17], v[84:85]
	v_add_f64 v[18:19], v[18:19], 0
	v_mul_f64 v[16:17], v[16:17], v[86:87]
	s_waitcnt vmcnt(8) lgkmcnt(2)
	v_mul_f64 v[20:21], v[10:11], v[88:89]
	v_fmac_f64_e32 v[20:21], v[12:13], v[76:77]
	v_add_f64 v[18:19], v[18:19], v[20:21]
	v_fma_f64 v[14:15], v[14:15], v[84:85], -v[16:17]
	s_waitcnt vmcnt(4) lgkmcnt(1)
	v_mul_f64 v[20:21], v[6:7], v[28:29]
	v_fmac_f64_e32 v[20:21], v[8:9], v[26:27]
	v_add_f64 v[18:19], v[18:19], v[20:21]
	s_waitcnt vmcnt(0) lgkmcnt(0)
	v_mul_f64 v[20:21], v[2:3], v[80:81]
	v_fmac_f64_e32 v[20:21], v[4:5], v[78:79]
	v_add_f64 v[92:93], v[18:19], v[20:21]
	ds_read_b128 v[18:21], v90 offset:640
	buffer_load_dword v83, off, s[0:3], 0 offset:276
	buffer_load_dword v82, off, s[0:3], 0 offset:272
	;; [unrolled: 1-line block ×4, first 2 shown]
	v_mul_f64 v[12:13], v[12:13], v[88:89]
	v_add_f64 v[14:15], v[14:15], 0
	v_fma_f64 v[10:11], v[10:11], v[76:77], -v[12:13]
	v_mul_f64 v[8:9], v[8:9], v[28:29]
	v_add_f64 v[10:11], v[14:15], v[10:11]
	v_fma_f64 v[6:7], v[6:7], v[26:27], -v[8:9]
	;; [unrolled: 3-line block ×3, first 2 shown]
	v_add_f64 v[2:3], v[6:7], v[2:3]
	s_waitcnt vmcnt(0) lgkmcnt(0)
	v_mul_f64 v[94:95], v[18:19], v[114:115]
	v_fmac_f64_e32 v[94:95], v[20:21], v[82:83]
	v_add_f64 v[96:97], v[92:93], v[94:95]
	ds_read_b128 v[92:95], v90 offset:656
	buffer_load_dword v117, off, s[0:3], 0 offset:292
	buffer_load_dword v116, off, s[0:3], 0 offset:288
	buffer_load_dword v119, off, s[0:3], 0 offset:300
	buffer_load_dword v118, off, s[0:3], 0 offset:296
	v_mul_f64 v[4:5], v[20:21], v[114:115]
	v_fma_f64 v[4:5], v[18:19], v[82:83], -v[4:5]
	v_add_f64 v[2:3], v[2:3], v[4:5]
	s_waitcnt vmcnt(0) lgkmcnt(0)
	v_mul_f64 v[98:99], v[92:93], v[118:119]
	v_fmac_f64_e32 v[98:99], v[94:95], v[116:117]
	v_add_f64 v[100:101], v[96:97], v[98:99]
	ds_read_b128 v[96:99], v90 offset:672
	buffer_load_dword v121, off, s[0:3], 0 offset:308
	buffer_load_dword v120, off, s[0:3], 0 offset:304
	buffer_load_dword v123, off, s[0:3], 0 offset:316
	buffer_load_dword v122, off, s[0:3], 0 offset:312
	v_mul_f64 v[4:5], v[94:95], v[118:119]
	v_fma_f64 v[4:5], v[92:93], v[116:117], -v[4:5]
	;; [unrolled: 12-line block ×5, first 2 shown]
	v_add_f64 v[2:3], v[2:3], v[4:5]
	s_waitcnt vmcnt(0) lgkmcnt(0)
	v_mul_f64 v[4:5], v[110:111], v[156:157]
	v_mul_f64 v[158:159], v[108:109], v[156:157]
	v_fma_f64 v[4:5], v[108:109], v[90:91], -v[4:5]
	v_fmac_f64_e32 v[158:159], v[110:111], v[90:91]
	v_add_f64 v[2:3], v[2:3], v[4:5]
	v_add_f64 v[154:155], v[154:155], v[158:159]
	v_add_f64 v[2:3], v[24:25], -v[2:3]
	v_add_f64 v[4:5], v[22:23], -v[154:155]
	buffer_store_dword v3, off, s[0:3], 0 offset:196
	buffer_store_dword v2, off, s[0:3], 0 offset:192
	;; [unrolled: 1-line block ×4, first 2 shown]
	s_and_saveexec_b64 s[6:7], vcc
	s_cbranch_execz .LBB22_129
; %bb.128:
	buffer_load_dword v2, v143, s[0:3], 0 offen
	buffer_load_dword v3, v143, s[0:3], 0 offen offset:4
	buffer_load_dword v4, v143, s[0:3], 0 offen offset:8
	buffer_load_dword v5, v143, s[0:3], 0 offen offset:12
	v_mov_b32_e32 v6, 0
	buffer_store_dword v6, off, s[0:3], 0 offset:176
	buffer_store_dword v6, off, s[0:3], 0 offset:180
	;; [unrolled: 1-line block ×4, first 2 shown]
	s_waitcnt vmcnt(4)
	ds_write_b128 v112, v[2:5]
.LBB22_129:
	s_or_b64 exec, exec, s[6:7]
	s_waitcnt lgkmcnt(0)
	; wave barrier
	s_waitcnt lgkmcnt(0)
	buffer_load_dword v2, off, s[0:3], 0 offset:192
	buffer_load_dword v3, off, s[0:3], 0 offset:196
	;; [unrolled: 1-line block ×48, first 2 shown]
	v_mov_b32_e32 v12, 0
	ds_read_b128 v[14:17], v12 offset:560
	ds_read_b128 v[18:21], v12 offset:576
	;; [unrolled: 1-line block ×11, first 2 shown]
	v_cmp_lt_u32_e32 vcc, 10, v153
	s_waitcnt vmcnt(44) lgkmcnt(10)
	v_mul_f64 v[166:167], v[14:15], v[6:7]
	v_mul_f64 v[6:7], v[16:17], v[6:7]
	v_fmac_f64_e32 v[166:167], v[16:17], v[2:3]
	v_fma_f64 v[2:3], v[14:15], v[2:3], -v[6:7]
	s_waitcnt vmcnt(40) lgkmcnt(9)
	v_mul_f64 v[168:169], v[18:19], v[8:9]
	v_mul_f64 v[6:7], v[20:21], v[8:9]
	v_fmac_f64_e32 v[168:169], v[20:21], v[4:5]
	v_add_f64 v[2:3], v[2:3], 0
	v_fma_f64 v[4:5], v[18:19], v[4:5], -v[6:7]
	v_add_f64 v[2:3], v[2:3], v[4:5]
	s_waitcnt vmcnt(38) lgkmcnt(8)
	v_mul_f64 v[4:5], v[24:25], v[10:11]
	v_mul_f64 v[170:171], v[22:23], v[10:11]
	v_add_f64 v[166:167], v[166:167], 0
	s_waitcnt vmcnt(32) lgkmcnt(7)
	v_mul_f64 v[172:173], v[26:27], v[108:109]
	v_add_f64 v[166:167], v[166:167], v[168:169]
	s_waitcnt lgkmcnt(6)
	v_mul_f64 v[174:175], v[76:77], v[104:105]
	v_fmac_f64_e32 v[174:175], v[78:79], v[106:107]
	s_waitcnt vmcnt(30) lgkmcnt(4)
	v_mul_f64 v[178:179], v[84:85], v[110:111]
	s_waitcnt vmcnt(26)
	v_mul_f64 v[176:177], v[80:81], v[116:117]
	v_fmac_f64_e32 v[178:179], v[86:87], v[114:115]
	s_waitcnt vmcnt(24) lgkmcnt(2)
	v_mul_f64 v[182:183], v[92:93], v[118:119]
	s_waitcnt vmcnt(22)
	v_fmac_f64_e32 v[182:183], v[94:95], v[120:121]
	s_waitcnt vmcnt(20)
	v_mul_f64 v[180:181], v[88:89], v[122:123]
	s_waitcnt vmcnt(18) lgkmcnt(1)
	v_mul_f64 v[184:185], v[96:97], v[124:125]
	s_waitcnt vmcnt(16)
	v_fma_f64 v[4:5], v[22:23], v[126:127], -v[4:5]
	v_add_f64 v[2:3], v[2:3], v[4:5]
	v_mul_f64 v[4:5], v[28:29], v[108:109]
	s_waitcnt vmcnt(14)
	v_fma_f64 v[4:5], v[26:27], v[128:129], -v[4:5]
	v_add_f64 v[2:3], v[2:3], v[4:5]
	v_mul_f64 v[4:5], v[78:79], v[104:105]
	v_fma_f64 v[4:5], v[76:77], v[106:107], -v[4:5]
	v_add_f64 v[2:3], v[2:3], v[4:5]
	v_mul_f64 v[4:5], v[82:83], v[116:117]
	s_waitcnt vmcnt(12)
	v_fma_f64 v[4:5], v[80:81], v[130:131], -v[4:5]
	v_add_f64 v[2:3], v[2:3], v[4:5]
	v_mul_f64 v[4:5], v[86:87], v[110:111]
	v_fma_f64 v[4:5], v[84:85], v[114:115], -v[4:5]
	v_fmac_f64_e32 v[170:171], v[24:25], v[126:127]
	v_add_f64 v[2:3], v[2:3], v[4:5]
	v_mul_f64 v[4:5], v[90:91], v[122:123]
	v_fmac_f64_e32 v[172:173], v[28:29], v[128:129]
	v_add_f64 v[166:167], v[166:167], v[170:171]
	s_waitcnt vmcnt(10)
	v_fma_f64 v[4:5], v[88:89], v[154:155], -v[4:5]
	v_add_f64 v[166:167], v[166:167], v[172:173]
	v_add_f64 v[2:3], v[2:3], v[4:5]
	v_mul_f64 v[4:5], v[94:95], v[118:119]
	v_fmac_f64_e32 v[176:177], v[82:83], v[130:131]
	v_add_f64 v[166:167], v[166:167], v[174:175]
	v_fma_f64 v[4:5], v[92:93], v[120:121], -v[4:5]
	v_add_f64 v[166:167], v[166:167], v[176:177]
	v_add_f64 v[2:3], v[2:3], v[4:5]
	v_mul_f64 v[4:5], v[98:99], v[124:125]
	v_fmac_f64_e32 v[180:181], v[90:91], v[154:155]
	v_add_f64 v[166:167], v[166:167], v[178:179]
	s_waitcnt vmcnt(8)
	v_fma_f64 v[4:5], v[96:97], v[156:157], -v[4:5]
	v_add_f64 v[166:167], v[166:167], v[180:181]
	v_add_f64 v[2:3], v[2:3], v[4:5]
	s_waitcnt vmcnt(5) lgkmcnt(0)
	v_mul_f64 v[4:5], v[102:103], v[158:159]
	v_fmac_f64_e32 v[184:185], v[98:99], v[156:157]
	v_add_f64 v[166:167], v[166:167], v[182:183]
	v_mul_f64 v[168:169], v[100:101], v[158:159]
	s_waitcnt vmcnt(4)
	v_fma_f64 v[4:5], v[100:101], v[160:161], -v[4:5]
	v_add_f64 v[166:167], v[166:167], v[184:185]
	v_fmac_f64_e32 v[168:169], v[102:103], v[160:161]
	v_add_f64 v[2:3], v[2:3], v[4:5]
	v_add_f64 v[166:167], v[166:167], v[168:169]
	s_waitcnt vmcnt(2)
	v_add_f64 v[2:3], v[162:163], -v[2:3]
	s_waitcnt vmcnt(0)
	v_add_f64 v[4:5], v[164:165], -v[166:167]
	buffer_store_dword v3, off, s[0:3], 0 offset:180
	buffer_store_dword v2, off, s[0:3], 0 offset:176
	;; [unrolled: 1-line block ×4, first 2 shown]
	s_and_saveexec_b64 s[6:7], vcc
	s_cbranch_execz .LBB22_131
; %bb.130:
	buffer_load_dword v2, v145, s[0:3], 0 offen
	buffer_load_dword v3, v145, s[0:3], 0 offen offset:4
	buffer_load_dword v4, v145, s[0:3], 0 offen offset:8
	;; [unrolled: 1-line block ×3, first 2 shown]
	s_nop 0
	buffer_store_dword v12, off, s[0:3], 0 offset:160
	buffer_store_dword v12, off, s[0:3], 0 offset:164
	;; [unrolled: 1-line block ×4, first 2 shown]
	s_waitcnt vmcnt(4)
	ds_write_b128 v112, v[2:5]
.LBB22_131:
	s_or_b64 exec, exec, s[6:7]
	s_waitcnt lgkmcnt(0)
	; wave barrier
	s_waitcnt lgkmcnt(0)
	buffer_load_dword v2, off, s[0:3], 0 offset:176
	buffer_load_dword v3, off, s[0:3], 0 offset:180
	;; [unrolled: 1-line block ×52, first 2 shown]
	ds_read_b128 v[14:17], v12 offset:544
	ds_read_b128 v[18:21], v12 offset:560
	;; [unrolled: 1-line block ×10, first 2 shown]
	v_cmp_lt_u32_e32 vcc, 9, v153
	s_waitcnt vmcnt(48) lgkmcnt(9)
	v_mul_f64 v[100:101], v[14:15], v[6:7]
	v_mul_f64 v[6:7], v[16:17], v[6:7]
	v_fmac_f64_e32 v[100:101], v[16:17], v[2:3]
	v_fma_f64 v[2:3], v[14:15], v[2:3], -v[6:7]
	s_waitcnt vmcnt(44) lgkmcnt(8)
	v_mul_f64 v[102:103], v[18:19], v[8:9]
	v_mul_f64 v[6:7], v[20:21], v[8:9]
	v_fmac_f64_e32 v[102:103], v[20:21], v[4:5]
	v_add_f64 v[2:3], v[2:3], 0
	v_fma_f64 v[4:5], v[18:19], v[4:5], -v[6:7]
	v_add_f64 v[2:3], v[2:3], v[4:5]
	s_waitcnt vmcnt(42) lgkmcnt(7)
	v_mul_f64 v[4:5], v[24:25], v[10:11]
	v_mul_f64 v[104:105], v[22:23], v[10:11]
	v_add_f64 v[100:101], v[100:101], 0
	s_waitcnt vmcnt(36) lgkmcnt(6)
	v_mul_f64 v[106:107], v[26:27], v[114:115]
	v_add_f64 v[100:101], v[100:101], v[102:103]
	s_waitcnt lgkmcnt(5)
	v_mul_f64 v[174:175], v[76:77], v[108:109]
	v_fmac_f64_e32 v[174:175], v[78:79], v[110:111]
	s_waitcnt vmcnt(34) lgkmcnt(3)
	v_mul_f64 v[178:179], v[84:85], v[116:117]
	s_waitcnt vmcnt(30)
	v_mul_f64 v[176:177], v[80:81], v[120:121]
	v_fmac_f64_e32 v[178:179], v[86:87], v[118:119]
	s_waitcnt vmcnt(26) lgkmcnt(2)
	v_mul_f64 v[180:181], v[88:89], v[126:127]
	s_waitcnt vmcnt(25) lgkmcnt(1)
	v_mul_f64 v[182:183], v[92:93], v[122:123]
	s_waitcnt vmcnt(23)
	v_fma_f64 v[4:5], v[22:23], v[128:129], -v[4:5]
	v_add_f64 v[2:3], v[2:3], v[4:5]
	v_mul_f64 v[4:5], v[28:29], v[114:115]
	s_waitcnt vmcnt(21)
	v_fma_f64 v[4:5], v[26:27], v[130:131], -v[4:5]
	v_fmac_f64_e32 v[104:105], v[24:25], v[128:129]
	v_add_f64 v[2:3], v[2:3], v[4:5]
	v_mul_f64 v[4:5], v[78:79], v[108:109]
	v_fmac_f64_e32 v[106:107], v[28:29], v[130:131]
	v_add_f64 v[100:101], v[100:101], v[104:105]
	v_fma_f64 v[4:5], v[76:77], v[110:111], -v[4:5]
	v_add_f64 v[100:101], v[100:101], v[106:107]
	v_add_f64 v[2:3], v[2:3], v[4:5]
	v_mul_f64 v[4:5], v[82:83], v[120:121]
	s_waitcnt vmcnt(19)
	v_fmac_f64_e32 v[176:177], v[82:83], v[154:155]
	v_add_f64 v[100:101], v[100:101], v[174:175]
	v_fma_f64 v[4:5], v[80:81], v[154:155], -v[4:5]
	v_add_f64 v[100:101], v[100:101], v[176:177]
	v_add_f64 v[2:3], v[2:3], v[4:5]
	v_mul_f64 v[4:5], v[86:87], v[116:117]
	s_waitcnt vmcnt(17)
	v_fmac_f64_e32 v[180:181], v[90:91], v[156:157]
	v_add_f64 v[100:101], v[100:101], v[178:179]
	v_fma_f64 v[4:5], v[84:85], v[118:119], -v[4:5]
	s_waitcnt vmcnt(16)
	v_fmac_f64_e32 v[182:183], v[94:95], v[124:125]
	v_add_f64 v[100:101], v[100:101], v[180:181]
	v_add_f64 v[2:3], v[2:3], v[4:5]
	v_mul_f64 v[4:5], v[90:91], v[126:127]
	v_add_f64 v[174:175], v[100:101], v[182:183]
	ds_read_b128 v[100:103], v12 offset:704
	ds_read_b128 v[104:107], v12 offset:720
	v_fma_f64 v[4:5], v[88:89], v[156:157], -v[4:5]
	v_add_f64 v[2:3], v[2:3], v[4:5]
	v_mul_f64 v[4:5], v[94:95], v[122:123]
	v_fma_f64 v[4:5], v[92:93], v[124:125], -v[4:5]
	v_add_f64 v[2:3], v[2:3], v[4:5]
	s_waitcnt vmcnt(12) lgkmcnt(2)
	v_mul_f64 v[4:5], v[98:99], v[162:163]
	v_mul_f64 v[176:177], v[96:97], v[162:163]
	s_waitcnt vmcnt(10)
	v_fma_f64 v[4:5], v[96:97], v[164:165], -v[4:5]
	v_fmac_f64_e32 v[176:177], v[98:99], v[164:165]
	v_add_f64 v[2:3], v[2:3], v[4:5]
	s_waitcnt vmcnt(8) lgkmcnt(1)
	v_mul_f64 v[4:5], v[102:103], v[158:159]
	v_add_f64 v[12:13], v[174:175], v[176:177]
	v_mul_f64 v[174:175], v[100:101], v[158:159]
	v_fma_f64 v[4:5], v[100:101], v[160:161], -v[4:5]
	v_fmac_f64_e32 v[174:175], v[102:103], v[160:161]
	v_add_f64 v[2:3], v[2:3], v[4:5]
	s_waitcnt vmcnt(6) lgkmcnt(0)
	v_mul_f64 v[4:5], v[106:107], v[166:167]
	v_add_f64 v[12:13], v[12:13], v[174:175]
	v_mul_f64 v[174:175], v[104:105], v[166:167]
	s_waitcnt vmcnt(4)
	v_fma_f64 v[4:5], v[104:105], v[168:169], -v[4:5]
	v_fmac_f64_e32 v[174:175], v[106:107], v[168:169]
	v_add_f64 v[2:3], v[2:3], v[4:5]
	v_add_f64 v[12:13], v[12:13], v[174:175]
	s_waitcnt vmcnt(2)
	v_add_f64 v[2:3], v[170:171], -v[2:3]
	s_waitcnt vmcnt(0)
	v_add_f64 v[4:5], v[172:173], -v[12:13]
	buffer_store_dword v3, off, s[0:3], 0 offset:164
	buffer_store_dword v2, off, s[0:3], 0 offset:160
	buffer_store_dword v5, off, s[0:3], 0 offset:172
	buffer_store_dword v4, off, s[0:3], 0 offset:168
	s_and_saveexec_b64 s[6:7], vcc
	s_cbranch_execz .LBB22_133
; %bb.132:
	buffer_load_dword v2, v142, s[0:3], 0 offen
	buffer_load_dword v3, v142, s[0:3], 0 offen offset:4
	buffer_load_dword v4, v142, s[0:3], 0 offen offset:8
	;; [unrolled: 1-line block ×3, first 2 shown]
	v_mov_b32_e32 v6, 0
	buffer_store_dword v6, off, s[0:3], 0 offset:144
	buffer_store_dword v6, off, s[0:3], 0 offset:148
	;; [unrolled: 1-line block ×4, first 2 shown]
	s_waitcnt vmcnt(4)
	ds_write_b128 v112, v[2:5]
.LBB22_133:
	s_or_b64 exec, exec, s[6:7]
	s_waitcnt lgkmcnt(0)
	; wave barrier
	s_waitcnt lgkmcnt(0)
	buffer_load_dword v2, off, s[0:3], 0 offset:160
	buffer_load_dword v3, off, s[0:3], 0 offset:164
	;; [unrolled: 1-line block ×56, first 2 shown]
	v_mov_b32_e32 v24, 0
	ds_read_b128 v[18:21], v24 offset:528
	ds_read_b128 v[26:29], v24 offset:544
	;; [unrolled: 1-line block ×9, first 2 shown]
	v_cmp_lt_u32_e32 vcc, 8, v153
	s_waitcnt vmcnt(52) lgkmcnt(8)
	v_mul_f64 v[100:101], v[18:19], v[6:7]
	v_fmac_f64_e32 v[100:101], v[20:21], v[2:3]
	v_mul_f64 v[6:7], v[20:21], v[6:7]
	v_add_f64 v[100:101], v[100:101], 0
	s_waitcnt vmcnt(48) lgkmcnt(7)
	v_mul_f64 v[102:103], v[26:27], v[8:9]
	v_fmac_f64_e32 v[102:103], v[28:29], v[4:5]
	s_waitcnt vmcnt(46) lgkmcnt(6)
	v_mul_f64 v[104:105], v[76:77], v[10:11]
	v_fma_f64 v[2:3], v[18:19], v[2:3], -v[6:7]
	v_mul_f64 v[6:7], v[28:29], v[8:9]
	v_add_f64 v[100:101], v[100:101], v[102:103]
	v_add_f64 v[2:3], v[2:3], 0
	v_fma_f64 v[4:5], v[26:27], v[4:5], -v[6:7]
	s_waitcnt vmcnt(40) lgkmcnt(5)
	v_mul_f64 v[106:107], v[80:81], v[16:17]
	s_waitcnt lgkmcnt(4)
	v_mul_f64 v[108:109], v[84:85], v[12:13]
	v_add_f64 v[2:3], v[2:3], v[4:5]
	v_mul_f64 v[4:5], v[78:79], v[10:11]
	s_waitcnt vmcnt(36) lgkmcnt(3)
	v_mul_f64 v[110:111], v[88:89], v[124:125]
	v_fmac_f64_e32 v[108:109], v[86:87], v[14:15]
	s_waitcnt vmcnt(35) lgkmcnt(2)
	v_mul_f64 v[114:115], v[92:93], v[22:23]
	s_waitcnt vmcnt(33)
	v_fmac_f64_e32 v[104:105], v[78:79], v[126:127]
	v_add_f64 v[100:101], v[100:101], v[104:105]
	s_waitcnt vmcnt(31)
	v_fmac_f64_e32 v[106:107], v[82:83], v[128:129]
	v_add_f64 v[100:101], v[100:101], v[106:107]
	v_fma_f64 v[4:5], v[76:77], v[126:127], -v[4:5]
	s_waitcnt vmcnt(29)
	v_fmac_f64_e32 v[110:111], v[90:91], v[130:131]
	v_add_f64 v[100:101], v[100:101], v[108:109]
	v_add_f64 v[2:3], v[2:3], v[4:5]
	v_mul_f64 v[4:5], v[82:83], v[16:17]
	s_waitcnt vmcnt(28)
	v_fmac_f64_e32 v[114:115], v[94:95], v[122:123]
	v_add_f64 v[100:101], v[100:101], v[110:111]
	v_fma_f64 v[4:5], v[80:81], v[128:129], -v[4:5]
	v_add_f64 v[104:105], v[100:101], v[114:115]
	ds_read_b128 v[100:103], v24 offset:656
	s_waitcnt vmcnt(24) lgkmcnt(2)
	v_mul_f64 v[106:107], v[96:97], v[158:159]
	v_add_f64 v[2:3], v[2:3], v[4:5]
	v_mul_f64 v[4:5], v[86:87], v[12:13]
	s_waitcnt vmcnt(22)
	v_fmac_f64_e32 v[106:107], v[98:99], v[160:161]
	v_fma_f64 v[4:5], v[84:85], v[14:15], -v[4:5]
	v_add_f64 v[108:109], v[104:105], v[106:107]
	ds_read_b128 v[104:107], v24 offset:672
	v_add_f64 v[2:3], v[2:3], v[4:5]
	v_mul_f64 v[4:5], v[90:91], v[124:125]
	v_fma_f64 v[4:5], v[88:89], v[130:131], -v[4:5]
	v_add_f64 v[2:3], v[2:3], v[4:5]
	v_mul_f64 v[4:5], v[94:95], v[22:23]
	s_waitcnt vmcnt(20) lgkmcnt(1)
	v_mul_f64 v[110:111], v[100:101], v[154:155]
	v_fma_f64 v[4:5], v[92:93], v[122:123], -v[4:5]
	v_fmac_f64_e32 v[110:111], v[102:103], v[156:157]
	v_add_f64 v[2:3], v[2:3], v[4:5]
	v_mul_f64 v[4:5], v[98:99], v[158:159]
	v_add_f64 v[114:115], v[108:109], v[110:111]
	ds_read_b128 v[108:111], v24 offset:688
	s_waitcnt vmcnt(16) lgkmcnt(1)
	v_mul_f64 v[116:117], v[104:105], v[166:167]
	v_fma_f64 v[4:5], v[96:97], v[160:161], -v[4:5]
	s_waitcnt vmcnt(14)
	v_fmac_f64_e32 v[116:117], v[106:107], v[168:169]
	v_add_f64 v[2:3], v[2:3], v[4:5]
	v_mul_f64 v[4:5], v[102:103], v[154:155]
	v_add_f64 v[182:183], v[114:115], v[116:117]
	ds_read_b128 v[114:117], v24 offset:704
	v_fma_f64 v[4:5], v[100:101], v[156:157], -v[4:5]
	v_add_f64 v[2:3], v[2:3], v[4:5]
	v_mul_f64 v[4:5], v[106:107], v[166:167]
	v_fma_f64 v[4:5], v[104:105], v[168:169], -v[4:5]
	v_add_f64 v[2:3], v[2:3], v[4:5]
	s_waitcnt vmcnt(12) lgkmcnt(1)
	v_mul_f64 v[4:5], v[110:111], v[162:163]
	v_mul_f64 v[184:185], v[108:109], v[162:163]
	v_fma_f64 v[4:5], v[108:109], v[164:165], -v[4:5]
	v_fmac_f64_e32 v[184:185], v[110:111], v[164:165]
	v_add_f64 v[2:3], v[2:3], v[4:5]
	s_waitcnt vmcnt(8) lgkmcnt(0)
	v_mul_f64 v[4:5], v[116:117], v[174:175]
	v_add_f64 v[182:183], v[182:183], v[184:185]
	v_mul_f64 v[184:185], v[114:115], v[174:175]
	s_waitcnt vmcnt(6)
	v_fma_f64 v[4:5], v[114:115], v[176:177], -v[4:5]
	v_fmac_f64_e32 v[184:185], v[116:117], v[176:177]
	v_add_f64 v[2:3], v[2:3], v[4:5]
	s_waitcnt vmcnt(5)
	v_mul_f64 v[4:5], v[120:121], v[170:171]
	v_add_f64 v[182:183], v[182:183], v[184:185]
	v_mul_f64 v[184:185], v[118:119], v[170:171]
	s_waitcnt vmcnt(4)
	v_fma_f64 v[4:5], v[118:119], v[172:173], -v[4:5]
	v_fmac_f64_e32 v[184:185], v[120:121], v[172:173]
	v_add_f64 v[2:3], v[2:3], v[4:5]
	v_add_f64 v[182:183], v[182:183], v[184:185]
	s_waitcnt vmcnt(2)
	v_add_f64 v[2:3], v[178:179], -v[2:3]
	s_waitcnt vmcnt(0)
	v_add_f64 v[4:5], v[180:181], -v[182:183]
	buffer_store_dword v3, off, s[0:3], 0 offset:148
	buffer_store_dword v2, off, s[0:3], 0 offset:144
	;; [unrolled: 1-line block ×4, first 2 shown]
	s_and_saveexec_b64 s[6:7], vcc
	s_cbranch_execz .LBB22_135
; %bb.134:
	buffer_load_dword v2, v144, s[0:3], 0 offen
	buffer_load_dword v3, v144, s[0:3], 0 offen offset:4
	buffer_load_dword v4, v144, s[0:3], 0 offen offset:8
	;; [unrolled: 1-line block ×3, first 2 shown]
	s_nop 0
	buffer_store_dword v24, off, s[0:3], 0 offset:128
	buffer_store_dword v24, off, s[0:3], 0 offset:132
	;; [unrolled: 1-line block ×4, first 2 shown]
	s_waitcnt vmcnt(4)
	ds_write_b128 v112, v[2:5]
.LBB22_135:
	s_or_b64 exec, exec, s[6:7]
	s_waitcnt lgkmcnt(0)
	; wave barrier
	s_waitcnt lgkmcnt(0)
	buffer_load_dword v2, off, s[0:3], 0 offset:144
	buffer_load_dword v3, off, s[0:3], 0 offset:148
	;; [unrolled: 1-line block ×60, first 2 shown]
	ds_read_b128 v[26:29], v24 offset:512
	ds_read_b128 v[76:79], v24 offset:528
	;; [unrolled: 1-line block ×8, first 2 shown]
	v_cmp_lt_u32_e32 vcc, 7, v153
	ds_read_b128 v[126:129], v24 offset:720
	s_waitcnt vmcnt(56) lgkmcnt(8)
	v_mul_f64 v[104:105], v[26:27], v[6:7]
	v_fmac_f64_e32 v[104:105], v[28:29], v[2:3]
	v_add_f64 v[104:105], v[104:105], 0
	v_mul_f64 v[6:7], v[28:29], v[6:7]
	s_waitcnt vmcnt(52) lgkmcnt(7)
	v_mul_f64 v[106:107], v[76:77], v[8:9]
	v_fmac_f64_e32 v[106:107], v[78:79], v[4:5]
	s_waitcnt vmcnt(50) lgkmcnt(6)
	v_mul_f64 v[108:109], v[80:81], v[10:11]
	v_add_f64 v[104:105], v[104:105], v[106:107]
	s_waitcnt vmcnt(48) lgkmcnt(4)
	v_mul_f64 v[114:115], v[88:89], v[12:13]
	v_fma_f64 v[2:3], v[26:27], v[2:3], -v[6:7]
	s_waitcnt vmcnt(46)
	v_fmac_f64_e32 v[114:115], v[90:91], v[14:15]
	v_mul_f64 v[6:7], v[78:79], v[8:9]
	s_waitcnt vmcnt(44)
	v_mul_f64 v[110:111], v[84:85], v[16:17]
	v_add_f64 v[2:3], v[2:3], 0
	v_fma_f64 v[4:5], v[76:77], v[4:5], -v[6:7]
	v_add_f64 v[2:3], v[2:3], v[4:5]
	s_waitcnt vmcnt(40) lgkmcnt(3)
	v_mul_f64 v[116:117], v[92:93], v[22:23]
	v_mul_f64 v[4:5], v[82:83], v[10:11]
	s_waitcnt vmcnt(38)
	v_fmac_f64_e32 v[108:109], v[82:83], v[130:131]
	v_add_f64 v[104:105], v[104:105], v[108:109]
	s_waitcnt vmcnt(36)
	v_fmac_f64_e32 v[110:111], v[86:87], v[154:155]
	v_add_f64 v[104:105], v[104:105], v[110:111]
	;; [unrolled: 3-line block ×3, first 2 shown]
	s_waitcnt vmcnt(32) lgkmcnt(2)
	v_mul_f64 v[106:107], v[96:97], v[18:19]
	v_add_f64 v[104:105], v[104:105], v[116:117]
	v_fmac_f64_e32 v[106:107], v[98:99], v[20:21]
	v_add_f64 v[108:109], v[104:105], v[106:107]
	ds_read_b128 v[104:107], v24 offset:640
	v_fma_f64 v[4:5], v[80:81], v[130:131], -v[4:5]
	v_add_f64 v[2:3], v[2:3], v[4:5]
	v_mul_f64 v[4:5], v[86:87], v[16:17]
	v_fma_f64 v[4:5], v[84:85], v[154:155], -v[4:5]
	s_waitcnt vmcnt(28) lgkmcnt(2)
	v_mul_f64 v[110:111], v[100:101], v[162:163]
	v_add_f64 v[2:3], v[2:3], v[4:5]
	v_mul_f64 v[4:5], v[90:91], v[12:13]
	s_waitcnt vmcnt(26)
	v_fmac_f64_e32 v[110:111], v[102:103], v[164:165]
	v_fma_f64 v[4:5], v[88:89], v[14:15], -v[4:5]
	v_add_f64 v[114:115], v[108:109], v[110:111]
	ds_read_b128 v[108:111], v24 offset:656
	s_waitcnt vmcnt(24) lgkmcnt(1)
	v_mul_f64 v[116:117], v[104:105], v[158:159]
	v_add_f64 v[2:3], v[2:3], v[4:5]
	v_mul_f64 v[4:5], v[94:95], v[22:23]
	v_fmac_f64_e32 v[116:117], v[106:107], v[160:161]
	v_fma_f64 v[4:5], v[92:93], v[156:157], -v[4:5]
	v_add_f64 v[118:119], v[114:115], v[116:117]
	ds_read_b128 v[114:117], v24 offset:672
	v_add_f64 v[2:3], v[2:3], v[4:5]
	v_mul_f64 v[4:5], v[98:99], v[18:19]
	v_fma_f64 v[4:5], v[96:97], v[20:21], -v[4:5]
	v_add_f64 v[2:3], v[2:3], v[4:5]
	v_mul_f64 v[4:5], v[102:103], v[162:163]
	s_waitcnt vmcnt(20) lgkmcnt(1)
	v_mul_f64 v[120:121], v[108:109], v[170:171]
	v_fma_f64 v[4:5], v[100:101], v[164:165], -v[4:5]
	s_waitcnt vmcnt(18)
	v_fmac_f64_e32 v[120:121], v[110:111], v[172:173]
	v_add_f64 v[2:3], v[2:3], v[4:5]
	v_mul_f64 v[4:5], v[106:107], v[158:159]
	v_add_f64 v[122:123], v[118:119], v[120:121]
	ds_read_b128 v[118:121], v24 offset:688
	s_waitcnt vmcnt(16) lgkmcnt(1)
	v_mul_f64 v[124:125], v[114:115], v[166:167]
	v_fma_f64 v[4:5], v[104:105], v[160:161], -v[4:5]
	v_fmac_f64_e32 v[124:125], v[116:117], v[168:169]
	v_add_f64 v[2:3], v[2:3], v[4:5]
	v_mul_f64 v[4:5], v[110:111], v[170:171]
	v_add_f64 v[190:191], v[122:123], v[124:125]
	ds_read_b128 v[122:125], v24 offset:704
	v_fma_f64 v[4:5], v[108:109], v[172:173], -v[4:5]
	v_add_f64 v[2:3], v[2:3], v[4:5]
	v_mul_f64 v[4:5], v[116:117], v[166:167]
	v_fma_f64 v[4:5], v[114:115], v[168:169], -v[4:5]
	v_add_f64 v[2:3], v[2:3], v[4:5]
	s_waitcnt vmcnt(12) lgkmcnt(1)
	v_mul_f64 v[4:5], v[120:121], v[178:179]
	v_mul_f64 v[192:193], v[118:119], v[178:179]
	s_waitcnt vmcnt(10)
	v_fma_f64 v[4:5], v[118:119], v[180:181], -v[4:5]
	v_fmac_f64_e32 v[192:193], v[120:121], v[180:181]
	v_add_f64 v[2:3], v[2:3], v[4:5]
	s_waitcnt vmcnt(8) lgkmcnt(0)
	v_mul_f64 v[4:5], v[124:125], v[174:175]
	v_add_f64 v[24:25], v[190:191], v[192:193]
	v_mul_f64 v[190:191], v[122:123], v[174:175]
	v_fma_f64 v[4:5], v[122:123], v[176:177], -v[4:5]
	v_fmac_f64_e32 v[190:191], v[124:125], v[176:177]
	v_add_f64 v[2:3], v[2:3], v[4:5]
	s_waitcnt vmcnt(6)
	v_mul_f64 v[4:5], v[128:129], v[182:183]
	v_add_f64 v[24:25], v[24:25], v[190:191]
	v_mul_f64 v[190:191], v[126:127], v[182:183]
	s_waitcnt vmcnt(4)
	v_fma_f64 v[4:5], v[126:127], v[184:185], -v[4:5]
	v_fmac_f64_e32 v[190:191], v[128:129], v[184:185]
	v_add_f64 v[2:3], v[2:3], v[4:5]
	v_add_f64 v[24:25], v[24:25], v[190:191]
	s_waitcnt vmcnt(2)
	v_add_f64 v[2:3], v[186:187], -v[2:3]
	s_waitcnt vmcnt(0)
	v_add_f64 v[4:5], v[188:189], -v[24:25]
	buffer_store_dword v3, off, s[0:3], 0 offset:132
	buffer_store_dword v2, off, s[0:3], 0 offset:128
	;; [unrolled: 1-line block ×4, first 2 shown]
	s_and_saveexec_b64 s[6:7], vcc
	s_cbranch_execz .LBB22_137
; %bb.136:
	buffer_load_dword v2, v148, s[0:3], 0 offen
	buffer_load_dword v3, v148, s[0:3], 0 offen offset:4
	buffer_load_dword v4, v148, s[0:3], 0 offen offset:8
	;; [unrolled: 1-line block ×3, first 2 shown]
	v_mov_b32_e32 v6, 0
	buffer_store_dword v6, off, s[0:3], 0 offset:112
	buffer_store_dword v6, off, s[0:3], 0 offset:116
	;; [unrolled: 1-line block ×4, first 2 shown]
	s_waitcnt vmcnt(4)
	ds_write_b128 v112, v[2:5]
.LBB22_137:
	s_or_b64 exec, exec, s[6:7]
	s_waitcnt lgkmcnt(0)
	; wave barrier
	s_waitcnt lgkmcnt(0)
	buffer_load_dword v2, off, s[0:3], 0 offset:128
	buffer_load_dword v3, off, s[0:3], 0 offset:132
	;; [unrolled: 1-line block ×64, first 2 shown]
	v_mov_b32_e32 v84, 0
	ds_read_b128 v[76:79], v84 offset:496
	ds_read_b128 v[80:83], v84 offset:512
	;; [unrolled: 1-line block ×7, first 2 shown]
	v_cmp_lt_u32_e32 vcc, 6, v153
	s_waitcnt vmcnt(60) lgkmcnt(6)
	v_mul_f64 v[102:103], v[76:77], v[6:7]
	v_fmac_f64_e32 v[102:103], v[78:79], v[2:3]
	v_add_f64 v[102:103], v[102:103], 0
	v_mul_f64 v[6:7], v[78:79], v[6:7]
	s_waitcnt vmcnt(56) lgkmcnt(5)
	v_mul_f64 v[104:105], v[80:81], v[8:9]
	v_fmac_f64_e32 v[104:105], v[82:83], v[4:5]
	s_waitcnt vmcnt(54) lgkmcnt(4)
	v_mul_f64 v[106:107], v[86:87], v[10:11]
	v_add_f64 v[102:103], v[102:103], v[104:105]
	v_fma_f64 v[2:3], v[76:77], v[2:3], -v[6:7]
	v_mul_f64 v[6:7], v[82:83], v[8:9]
	s_waitcnt vmcnt(50) lgkmcnt(3)
	v_mul_f64 v[108:109], v[90:91], v[16:17]
	s_waitcnt vmcnt(49) lgkmcnt(2)
	v_mul_f64 v[114:115], v[94:95], v[12:13]
	v_add_f64 v[2:3], v[2:3], 0
	s_waitcnt vmcnt(47)
	v_fmac_f64_e32 v[106:107], v[88:89], v[20:21]
	v_add_f64 v[102:103], v[102:103], v[106:107]
	s_waitcnt vmcnt(45)
	v_fmac_f64_e32 v[108:109], v[92:93], v[18:19]
	;; [unrolled: 3-line block ×3, first 2 shown]
	v_add_f64 v[106:107], v[102:103], v[114:115]
	ds_read_b128 v[102:105], v84 offset:592
	s_waitcnt vmcnt(40) lgkmcnt(2)
	v_mul_f64 v[108:109], v[98:99], v[26:27]
	v_fma_f64 v[4:5], v[80:81], v[4:5], -v[6:7]
	s_waitcnt vmcnt(38)
	v_fmac_f64_e32 v[108:109], v[100:101], v[28:29]
	v_add_f64 v[114:115], v[106:107], v[108:109]
	ds_read_b128 v[106:109], v84 offset:608
	s_waitcnt vmcnt(36) lgkmcnt(1)
	v_mul_f64 v[116:117], v[102:103], v[22:23]
	v_fmac_f64_e32 v[116:117], v[104:105], v[24:25]
	v_add_f64 v[2:3], v[2:3], v[4:5]
	v_mul_f64 v[4:5], v[88:89], v[10:11]
	v_add_f64 v[118:119], v[114:115], v[116:117]
	ds_read_b128 v[114:117], v84 offset:624
	s_waitcnt vmcnt(32) lgkmcnt(1)
	v_mul_f64 v[120:121], v[106:107], v[166:167]
	v_fma_f64 v[4:5], v[86:87], v[20:21], -v[4:5]
	s_waitcnt vmcnt(30)
	v_fmac_f64_e32 v[120:121], v[108:109], v[168:169]
	v_add_f64 v[2:3], v[2:3], v[4:5]
	v_mul_f64 v[4:5], v[92:93], v[16:17]
	v_add_f64 v[122:123], v[118:119], v[120:121]
	ds_read_b128 v[118:121], v84 offset:640
	v_fma_f64 v[4:5], v[90:91], v[18:19], -v[4:5]
	v_add_f64 v[2:3], v[2:3], v[4:5]
	v_mul_f64 v[4:5], v[96:97], v[12:13]
	v_fma_f64 v[4:5], v[94:95], v[14:15], -v[4:5]
	s_waitcnt vmcnt(28) lgkmcnt(1)
	v_mul_f64 v[124:125], v[114:115], v[110:111]
	v_add_f64 v[2:3], v[2:3], v[4:5]
	v_mul_f64 v[4:5], v[100:101], v[26:27]
	v_fmac_f64_e32 v[124:125], v[116:117], v[130:131]
	v_fma_f64 v[4:5], v[98:99], v[28:29], -v[4:5]
	v_add_f64 v[126:127], v[122:123], v[124:125]
	ds_read_b128 v[122:125], v84 offset:656
	s_waitcnt vmcnt(24) lgkmcnt(1)
	v_mul_f64 v[128:129], v[118:119], v[174:175]
	v_add_f64 v[2:3], v[2:3], v[4:5]
	v_mul_f64 v[4:5], v[104:105], v[22:23]
	s_waitcnt vmcnt(22)
	v_fmac_f64_e32 v[128:129], v[120:121], v[176:177]
	v_fma_f64 v[4:5], v[102:103], v[24:25], -v[4:5]
	v_add_f64 v[154:155], v[126:127], v[128:129]
	ds_read_b128 v[126:129], v84 offset:672
	v_add_f64 v[2:3], v[2:3], v[4:5]
	v_mul_f64 v[4:5], v[108:109], v[166:167]
	v_fma_f64 v[4:5], v[106:107], v[168:169], -v[4:5]
	v_add_f64 v[2:3], v[2:3], v[4:5]
	v_mul_f64 v[4:5], v[116:117], v[110:111]
	s_waitcnt vmcnt(20) lgkmcnt(1)
	v_mul_f64 v[156:157], v[122:123], v[170:171]
	v_fma_f64 v[4:5], v[114:115], v[130:131], -v[4:5]
	v_fmac_f64_e32 v[156:157], v[124:125], v[172:173]
	v_add_f64 v[2:3], v[2:3], v[4:5]
	v_mul_f64 v[4:5], v[120:121], v[174:175]
	v_add_f64 v[158:159], v[154:155], v[156:157]
	ds_read_b128 v[154:157], v84 offset:688
	s_waitcnt vmcnt(16) lgkmcnt(1)
	v_mul_f64 v[160:161], v[126:127], v[182:183]
	v_fma_f64 v[4:5], v[118:119], v[176:177], -v[4:5]
	s_waitcnt vmcnt(14)
	v_fmac_f64_e32 v[160:161], v[128:129], v[184:185]
	v_add_f64 v[2:3], v[2:3], v[4:5]
	v_mul_f64 v[4:5], v[124:125], v[170:171]
	v_add_f64 v[198:199], v[158:159], v[160:161]
	ds_read_b128 v[158:161], v84 offset:704
	v_fma_f64 v[4:5], v[122:123], v[172:173], -v[4:5]
	v_add_f64 v[2:3], v[2:3], v[4:5]
	v_mul_f64 v[4:5], v[128:129], v[182:183]
	v_fma_f64 v[4:5], v[126:127], v[184:185], -v[4:5]
	v_add_f64 v[2:3], v[2:3], v[4:5]
	s_waitcnt vmcnt(12) lgkmcnt(1)
	v_mul_f64 v[4:5], v[156:157], v[178:179]
	v_mul_f64 v[200:201], v[154:155], v[178:179]
	v_fma_f64 v[4:5], v[154:155], v[180:181], -v[4:5]
	v_fmac_f64_e32 v[200:201], v[156:157], v[180:181]
	v_add_f64 v[2:3], v[2:3], v[4:5]
	s_waitcnt vmcnt(8) lgkmcnt(0)
	v_mul_f64 v[4:5], v[160:161], v[190:191]
	v_add_f64 v[198:199], v[198:199], v[200:201]
	v_mul_f64 v[200:201], v[158:159], v[190:191]
	s_waitcnt vmcnt(6)
	v_fma_f64 v[4:5], v[158:159], v[192:193], -v[4:5]
	v_fmac_f64_e32 v[200:201], v[160:161], v[192:193]
	v_add_f64 v[2:3], v[2:3], v[4:5]
	s_waitcnt vmcnt(5)
	v_mul_f64 v[4:5], v[164:165], v[186:187]
	v_add_f64 v[198:199], v[198:199], v[200:201]
	v_mul_f64 v[200:201], v[162:163], v[186:187]
	s_waitcnt vmcnt(4)
	v_fma_f64 v[4:5], v[162:163], v[188:189], -v[4:5]
	v_fmac_f64_e32 v[200:201], v[164:165], v[188:189]
	v_add_f64 v[2:3], v[2:3], v[4:5]
	v_add_f64 v[198:199], v[198:199], v[200:201]
	s_waitcnt vmcnt(2)
	v_add_f64 v[2:3], v[194:195], -v[2:3]
	s_waitcnt vmcnt(0)
	v_add_f64 v[4:5], v[196:197], -v[198:199]
	buffer_store_dword v3, off, s[0:3], 0 offset:116
	buffer_store_dword v2, off, s[0:3], 0 offset:112
	;; [unrolled: 1-line block ×4, first 2 shown]
	s_and_saveexec_b64 s[6:7], vcc
	s_cbranch_execz .LBB22_139
; %bb.138:
	buffer_load_dword v2, v149, s[0:3], 0 offen
	buffer_load_dword v3, v149, s[0:3], 0 offen offset:4
	buffer_load_dword v4, v149, s[0:3], 0 offen offset:8
	buffer_load_dword v5, v149, s[0:3], 0 offen offset:12
	s_nop 0
	buffer_store_dword v84, off, s[0:3], 0 offset:96
	buffer_store_dword v84, off, s[0:3], 0 offset:100
	;; [unrolled: 1-line block ×4, first 2 shown]
	s_waitcnt vmcnt(4)
	ds_write_b128 v112, v[2:5]
.LBB22_139:
	s_or_b64 exec, exec, s[6:7]
	s_waitcnt lgkmcnt(0)
	; wave barrier
	s_waitcnt lgkmcnt(0)
	buffer_load_dword v2, off, s[0:3], 0 offset:112
	buffer_load_dword v3, off, s[0:3], 0 offset:116
	;; [unrolled: 1-line block ×64, first 2 shown]
	ds_read_b128 v[86:89], v84 offset:480
	ds_read_b128 v[90:93], v84 offset:496
	;; [unrolled: 1-line block ×4, first 2 shown]
	buffer_load_dword v202, off, s[0:3], 0 offset:96
	buffer_load_dword v203, off, s[0:3], 0 offset:100
	;; [unrolled: 1-line block ×4, first 2 shown]
	v_cmp_lt_u32_e32 vcc, 5, v153
	ds_read_b128 v[174:177], v84 offset:720
	s_waitcnt vmcnt(62) lgkmcnt(4)
	v_mul_f64 v[102:103], v[86:87], v[4:5]
	v_fmac_f64_e32 v[102:103], v[88:89], v[2:3]
	s_waitcnt lgkmcnt(3)
	v_mul_f64 v[104:105], v[90:91], v[6:7]
	v_add_f64 v[102:103], v[102:103], 0
	s_waitcnt vmcnt(60) lgkmcnt(2)
	v_mul_f64 v[106:107], v[94:95], v[8:9]
	v_mul_f64 v[4:5], v[88:89], v[4:5]
	v_fma_f64 v[2:3], v[86:87], v[2:3], -v[4:5]
	v_mul_f64 v[4:5], v[92:93], v[6:7]
	s_waitcnt vmcnt(56) lgkmcnt(1)
	v_mul_f64 v[108:109], v[98:99], v[14:15]
	v_add_f64 v[2:3], v[2:3], 0
	s_waitcnt vmcnt(54)
	v_fmac_f64_e32 v[104:105], v[92:93], v[20:21]
	v_add_f64 v[114:115], v[102:103], v[104:105]
	ds_read_b128 v[102:105], v84 offset:544
	s_waitcnt vmcnt(52)
	v_fmac_f64_e32 v[106:107], v[96:97], v[18:19]
	v_add_f64 v[106:107], v[114:115], v[106:107]
	s_waitcnt vmcnt(50)
	v_fmac_f64_e32 v[108:109], v[100:101], v[16:17]
	v_add_f64 v[114:115], v[106:107], v[108:109]
	ds_read_b128 v[106:109], v84 offset:560
	s_waitcnt vmcnt(48) lgkmcnt(1)
	v_mul_f64 v[116:117], v[102:103], v[10:11]
	v_fmac_f64_e32 v[116:117], v[104:105], v[12:13]
	v_add_f64 v[118:119], v[114:115], v[116:117]
	ds_read_b128 v[114:117], v84 offset:576
	s_waitcnt vmcnt(44) lgkmcnt(1)
	v_mul_f64 v[120:121], v[106:107], v[26:27]
	s_waitcnt vmcnt(42)
	v_fmac_f64_e32 v[120:121], v[108:109], v[28:29]
	v_add_f64 v[122:123], v[118:119], v[120:121]
	ds_read_b128 v[118:121], v84 offset:592
	s_waitcnt vmcnt(40) lgkmcnt(1)
	v_mul_f64 v[124:125], v[114:115], v[22:23]
	v_fmac_f64_e32 v[124:125], v[116:117], v[24:25]
	v_add_f64 v[126:127], v[122:123], v[124:125]
	ds_read_b128 v[122:125], v84 offset:608
	v_fma_f64 v[4:5], v[90:91], v[20:21], -v[4:5]
	v_add_f64 v[2:3], v[2:3], v[4:5]
	v_mul_f64 v[4:5], v[96:97], v[8:9]
	s_waitcnt vmcnt(36) lgkmcnt(1)
	v_mul_f64 v[128:129], v[118:119], v[80:81]
	v_fma_f64 v[4:5], v[94:95], v[18:19], -v[4:5]
	s_waitcnt vmcnt(34)
	v_fmac_f64_e32 v[128:129], v[120:121], v[82:83]
	v_add_f64 v[2:3], v[2:3], v[4:5]
	v_mul_f64 v[4:5], v[100:101], v[14:15]
	v_add_f64 v[154:155], v[126:127], v[128:129]
	ds_read_b128 v[126:129], v84 offset:624
	s_waitcnt vmcnt(32) lgkmcnt(1)
	v_mul_f64 v[156:157], v[122:123], v[76:77]
	v_fma_f64 v[4:5], v[98:99], v[16:17], -v[4:5]
	v_fmac_f64_e32 v[156:157], v[124:125], v[78:79]
	v_add_f64 v[2:3], v[2:3], v[4:5]
	v_mul_f64 v[4:5], v[104:105], v[10:11]
	v_add_f64 v[158:159], v[154:155], v[156:157]
	ds_read_b128 v[154:157], v84 offset:640
	v_fma_f64 v[4:5], v[102:103], v[12:13], -v[4:5]
	v_add_f64 v[2:3], v[2:3], v[4:5]
	v_mul_f64 v[4:5], v[108:109], v[26:27]
	v_fma_f64 v[4:5], v[106:107], v[28:29], -v[4:5]
	s_waitcnt vmcnt(28) lgkmcnt(1)
	v_mul_f64 v[160:161], v[126:127], v[178:179]
	v_add_f64 v[2:3], v[2:3], v[4:5]
	v_mul_f64 v[4:5], v[116:117], v[22:23]
	s_waitcnt vmcnt(26)
	v_fmac_f64_e32 v[160:161], v[128:129], v[180:181]
	v_fma_f64 v[4:5], v[114:115], v[24:25], -v[4:5]
	v_add_f64 v[162:163], v[158:159], v[160:161]
	ds_read_b128 v[158:161], v84 offset:656
	s_waitcnt vmcnt(24) lgkmcnt(1)
	v_mul_f64 v[164:165], v[154:155], v[110:111]
	v_add_f64 v[2:3], v[2:3], v[4:5]
	v_mul_f64 v[4:5], v[120:121], v[80:81]
	v_fmac_f64_e32 v[164:165], v[156:157], v[130:131]
	v_fma_f64 v[4:5], v[118:119], v[82:83], -v[4:5]
	v_add_f64 v[166:167], v[162:163], v[164:165]
	ds_read_b128 v[162:165], v84 offset:672
	v_add_f64 v[2:3], v[2:3], v[4:5]
	v_mul_f64 v[4:5], v[124:125], v[76:77]
	v_fma_f64 v[4:5], v[122:123], v[78:79], -v[4:5]
	v_add_f64 v[2:3], v[2:3], v[4:5]
	v_mul_f64 v[4:5], v[128:129], v[178:179]
	s_waitcnt vmcnt(20) lgkmcnt(1)
	v_mul_f64 v[168:169], v[158:159], v[186:187]
	v_fma_f64 v[4:5], v[126:127], v[180:181], -v[4:5]
	s_waitcnt vmcnt(18)
	v_fmac_f64_e32 v[168:169], v[160:161], v[188:189]
	v_add_f64 v[2:3], v[2:3], v[4:5]
	v_mul_f64 v[4:5], v[156:157], v[110:111]
	v_add_f64 v[170:171], v[166:167], v[168:169]
	ds_read_b128 v[166:169], v84 offset:688
	s_waitcnt vmcnt(16) lgkmcnt(1)
	v_mul_f64 v[172:173], v[162:163], v[182:183]
	v_fma_f64 v[4:5], v[154:155], v[130:131], -v[4:5]
	v_fmac_f64_e32 v[172:173], v[164:165], v[184:185]
	v_add_f64 v[2:3], v[2:3], v[4:5]
	v_mul_f64 v[4:5], v[160:161], v[186:187]
	v_add_f64 v[206:207], v[170:171], v[172:173]
	ds_read_b128 v[170:173], v84 offset:704
	v_fma_f64 v[4:5], v[158:159], v[188:189], -v[4:5]
	v_add_f64 v[2:3], v[2:3], v[4:5]
	v_mul_f64 v[4:5], v[164:165], v[182:183]
	v_fma_f64 v[4:5], v[162:163], v[184:185], -v[4:5]
	v_add_f64 v[2:3], v[2:3], v[4:5]
	s_waitcnt vmcnt(12) lgkmcnt(1)
	v_mul_f64 v[4:5], v[168:169], v[194:195]
	v_mul_f64 v[208:209], v[166:167], v[194:195]
	s_waitcnt vmcnt(10)
	v_fma_f64 v[4:5], v[166:167], v[196:197], -v[4:5]
	v_fmac_f64_e32 v[208:209], v[168:169], v[196:197]
	v_add_f64 v[2:3], v[2:3], v[4:5]
	s_waitcnt vmcnt(8) lgkmcnt(0)
	v_mul_f64 v[4:5], v[172:173], v[190:191]
	v_add_f64 v[84:85], v[206:207], v[208:209]
	v_mul_f64 v[206:207], v[170:171], v[190:191]
	v_fma_f64 v[4:5], v[170:171], v[192:193], -v[4:5]
	v_fmac_f64_e32 v[206:207], v[172:173], v[192:193]
	v_add_f64 v[2:3], v[2:3], v[4:5]
	s_waitcnt vmcnt(6)
	v_mul_f64 v[4:5], v[176:177], v[198:199]
	v_add_f64 v[84:85], v[84:85], v[206:207]
	v_mul_f64 v[206:207], v[174:175], v[198:199]
	s_waitcnt vmcnt(4)
	v_fma_f64 v[4:5], v[174:175], v[200:201], -v[4:5]
	v_fmac_f64_e32 v[206:207], v[176:177], v[200:201]
	v_add_f64 v[2:3], v[2:3], v[4:5]
	v_add_f64 v[84:85], v[84:85], v[206:207]
	s_waitcnt vmcnt(2)
	v_add_f64 v[2:3], v[202:203], -v[2:3]
	s_waitcnt vmcnt(0)
	v_add_f64 v[4:5], v[204:205], -v[84:85]
	buffer_store_dword v3, off, s[0:3], 0 offset:100
	buffer_store_dword v2, off, s[0:3], 0 offset:96
	;; [unrolled: 1-line block ×4, first 2 shown]
	s_and_saveexec_b64 s[6:7], vcc
	s_cbranch_execz .LBB22_141
; %bb.140:
	buffer_load_dword v2, v147, s[0:3], 0 offen
	buffer_load_dword v3, v147, s[0:3], 0 offen offset:4
	buffer_load_dword v4, v147, s[0:3], 0 offen offset:8
	buffer_load_dword v5, v147, s[0:3], 0 offen offset:12
	v_mov_b32_e32 v6, 0
	buffer_store_dword v6, off, s[0:3], 0 offset:80
	buffer_store_dword v6, off, s[0:3], 0 offset:84
	;; [unrolled: 1-line block ×4, first 2 shown]
	s_waitcnt vmcnt(4)
	ds_write_b128 v112, v[2:5]
.LBB22_141:
	s_or_b64 exec, exec, s[6:7]
	s_waitcnt lgkmcnt(0)
	; wave barrier
	s_waitcnt lgkmcnt(0)
	buffer_load_dword v2, off, s[0:3], 0 offset:96
	buffer_load_dword v3, off, s[0:3], 0 offset:100
	;; [unrolled: 1-line block ×68, first 2 shown]
	v_mov_b32_e32 v92, 0
	ds_read_b128 v[88:91], v92 offset:464
	ds_read_b128 v[94:97], v92 offset:480
	buffer_load_dword v210, off, s[0:3], 0 offset:80
	buffer_load_dword v211, off, s[0:3], 0 offset:84
	;; [unrolled: 1-line block ×4, first 2 shown]
	ds_read_b128 v[98:101], v92 offset:496
	ds_read_b128 v[102:105], v92 offset:512
	ds_read_b128 v[182:185], v92 offset:720
	v_cmp_lt_u32_e32 vcc, 4, v153
	s_waitcnt vmcnt(62) lgkmcnt(4)
	v_mul_f64 v[106:107], v[88:89], v[8:9]
	v_fmac_f64_e32 v[106:107], v[90:91], v[2:3]
	v_add_f64 v[106:107], v[106:107], 0
	v_mul_f64 v[8:9], v[90:91], v[8:9]
	s_waitcnt lgkmcnt(3)
	v_mul_f64 v[108:109], v[94:95], v[10:11]
	v_fmac_f64_e32 v[108:109], v[96:97], v[4:5]
	v_add_f64 v[106:107], v[106:107], v[108:109]
	v_fma_f64 v[2:3], v[88:89], v[2:3], -v[8:9]
	s_waitcnt vmcnt(60) lgkmcnt(2)
	v_mul_f64 v[108:109], v[98:99], v[12:13]
	v_fmac_f64_e32 v[108:109], v[100:101], v[6:7]
	v_add_f64 v[114:115], v[106:107], v[108:109]
	ds_read_b128 v[106:109], v92 offset:528
	s_waitcnt vmcnt(56) lgkmcnt(2)
	v_mul_f64 v[116:117], v[102:103], v[18:19]
	v_mul_f64 v[8:9], v[96:97], v[10:11]
	s_waitcnt vmcnt(54)
	v_fmac_f64_e32 v[116:117], v[104:105], v[20:21]
	v_add_f64 v[118:119], v[114:115], v[116:117]
	ds_read_b128 v[114:117], v92 offset:544
	s_waitcnt vmcnt(52) lgkmcnt(1)
	v_mul_f64 v[120:121], v[106:107], v[14:15]
	v_fmac_f64_e32 v[120:121], v[108:109], v[16:17]
	v_add_f64 v[122:123], v[118:119], v[120:121]
	ds_read_b128 v[118:121], v92 offset:560
	s_waitcnt vmcnt(48) lgkmcnt(1)
	v_mul_f64 v[124:125], v[114:115], v[26:27]
	s_waitcnt vmcnt(46)
	v_fmac_f64_e32 v[124:125], v[116:117], v[28:29]
	v_add_f64 v[126:127], v[122:123], v[124:125]
	ds_read_b128 v[122:125], v92 offset:576
	s_waitcnt vmcnt(44) lgkmcnt(1)
	v_mul_f64 v[128:129], v[118:119], v[22:23]
	v_fmac_f64_e32 v[128:129], v[120:121], v[24:25]
	v_add_f64 v[154:155], v[126:127], v[128:129]
	ds_read_b128 v[126:129], v92 offset:592
	s_waitcnt vmcnt(40) lgkmcnt(1)
	v_mul_f64 v[156:157], v[122:123], v[80:81]
	s_waitcnt vmcnt(38)
	v_fmac_f64_e32 v[156:157], v[124:125], v[82:83]
	v_add_f64 v[2:3], v[2:3], 0
	v_fma_f64 v[4:5], v[94:95], v[4:5], -v[8:9]
	v_add_f64 v[158:159], v[154:155], v[156:157]
	ds_read_b128 v[154:157], v92 offset:608
	v_add_f64 v[2:3], v[2:3], v[4:5]
	v_mul_f64 v[4:5], v[100:101], v[12:13]
	v_fma_f64 v[4:5], v[98:99], v[6:7], -v[4:5]
	v_add_f64 v[2:3], v[2:3], v[4:5]
	v_mul_f64 v[4:5], v[104:105], v[18:19]
	s_waitcnt vmcnt(36) lgkmcnt(1)
	v_mul_f64 v[160:161], v[126:127], v[76:77]
	v_fma_f64 v[4:5], v[102:103], v[20:21], -v[4:5]
	v_fmac_f64_e32 v[160:161], v[128:129], v[78:79]
	v_add_f64 v[2:3], v[2:3], v[4:5]
	v_mul_f64 v[4:5], v[108:109], v[14:15]
	v_add_f64 v[162:163], v[158:159], v[160:161]
	ds_read_b128 v[158:161], v92 offset:624
	s_waitcnt vmcnt(32) lgkmcnt(1)
	v_mul_f64 v[164:165], v[154:155], v[110:111]
	v_fma_f64 v[4:5], v[106:107], v[16:17], -v[4:5]
	s_waitcnt vmcnt(30)
	v_fmac_f64_e32 v[164:165], v[156:157], v[130:131]
	v_add_f64 v[2:3], v[2:3], v[4:5]
	v_mul_f64 v[4:5], v[116:117], v[26:27]
	v_add_f64 v[166:167], v[162:163], v[164:165]
	ds_read_b128 v[162:165], v92 offset:640
	v_fma_f64 v[4:5], v[114:115], v[28:29], -v[4:5]
	v_add_f64 v[2:3], v[2:3], v[4:5]
	v_mul_f64 v[4:5], v[120:121], v[22:23]
	v_fma_f64 v[4:5], v[118:119], v[24:25], -v[4:5]
	s_waitcnt vmcnt(28) lgkmcnt(1)
	v_mul_f64 v[168:169], v[158:159], v[84:85]
	v_add_f64 v[2:3], v[2:3], v[4:5]
	v_mul_f64 v[4:5], v[124:125], v[80:81]
	v_fmac_f64_e32 v[168:169], v[160:161], v[86:87]
	v_fma_f64 v[4:5], v[122:123], v[82:83], -v[4:5]
	v_add_f64 v[170:171], v[166:167], v[168:169]
	ds_read_b128 v[166:169], v92 offset:656
	s_waitcnt vmcnt(24) lgkmcnt(1)
	v_mul_f64 v[172:173], v[162:163], v[190:191]
	v_add_f64 v[2:3], v[2:3], v[4:5]
	v_mul_f64 v[4:5], v[128:129], v[76:77]
	s_waitcnt vmcnt(22)
	v_fmac_f64_e32 v[172:173], v[164:165], v[192:193]
	v_fma_f64 v[4:5], v[126:127], v[78:79], -v[4:5]
	v_add_f64 v[174:175], v[170:171], v[172:173]
	ds_read_b128 v[170:173], v92 offset:672
	v_add_f64 v[2:3], v[2:3], v[4:5]
	v_mul_f64 v[4:5], v[156:157], v[110:111]
	v_fma_f64 v[4:5], v[154:155], v[130:131], -v[4:5]
	v_add_f64 v[2:3], v[2:3], v[4:5]
	v_mul_f64 v[4:5], v[160:161], v[84:85]
	s_waitcnt vmcnt(20) lgkmcnt(1)
	v_mul_f64 v[176:177], v[166:167], v[186:187]
	v_fma_f64 v[4:5], v[158:159], v[86:87], -v[4:5]
	v_fmac_f64_e32 v[176:177], v[168:169], v[188:189]
	v_add_f64 v[2:3], v[2:3], v[4:5]
	v_mul_f64 v[4:5], v[164:165], v[190:191]
	v_add_f64 v[178:179], v[174:175], v[176:177]
	ds_read_b128 v[174:177], v92 offset:688
	s_waitcnt vmcnt(16) lgkmcnt(1)
	v_mul_f64 v[180:181], v[170:171], v[198:199]
	v_fma_f64 v[4:5], v[162:163], v[192:193], -v[4:5]
	s_waitcnt vmcnt(14)
	v_fmac_f64_e32 v[180:181], v[172:173], v[200:201]
	v_add_f64 v[2:3], v[2:3], v[4:5]
	v_mul_f64 v[4:5], v[168:169], v[186:187]
	v_add_f64 v[214:215], v[178:179], v[180:181]
	ds_read_b128 v[178:181], v92 offset:704
	v_fma_f64 v[4:5], v[166:167], v[188:189], -v[4:5]
	v_add_f64 v[2:3], v[2:3], v[4:5]
	v_mul_f64 v[4:5], v[172:173], v[198:199]
	v_fma_f64 v[4:5], v[170:171], v[200:201], -v[4:5]
	v_add_f64 v[2:3], v[2:3], v[4:5]
	s_waitcnt vmcnt(12) lgkmcnt(1)
	v_mul_f64 v[4:5], v[176:177], v[194:195]
	v_mul_f64 v[216:217], v[174:175], v[194:195]
	v_fma_f64 v[4:5], v[174:175], v[196:197], -v[4:5]
	v_fmac_f64_e32 v[216:217], v[176:177], v[196:197]
	v_add_f64 v[2:3], v[2:3], v[4:5]
	s_waitcnt vmcnt(8) lgkmcnt(0)
	v_mul_f64 v[4:5], v[180:181], v[206:207]
	v_add_f64 v[214:215], v[214:215], v[216:217]
	v_mul_f64 v[216:217], v[178:179], v[206:207]
	s_waitcnt vmcnt(6)
	v_fma_f64 v[4:5], v[178:179], v[208:209], -v[4:5]
	v_fmac_f64_e32 v[216:217], v[180:181], v[208:209]
	v_add_f64 v[2:3], v[2:3], v[4:5]
	s_waitcnt vmcnt(5)
	v_mul_f64 v[4:5], v[184:185], v[202:203]
	v_add_f64 v[214:215], v[214:215], v[216:217]
	v_mul_f64 v[216:217], v[182:183], v[202:203]
	s_waitcnt vmcnt(4)
	v_fma_f64 v[4:5], v[182:183], v[204:205], -v[4:5]
	v_fmac_f64_e32 v[216:217], v[184:185], v[204:205]
	v_add_f64 v[2:3], v[2:3], v[4:5]
	v_add_f64 v[214:215], v[214:215], v[216:217]
	s_waitcnt vmcnt(2)
	v_add_f64 v[2:3], v[210:211], -v[2:3]
	s_waitcnt vmcnt(0)
	v_add_f64 v[4:5], v[212:213], -v[214:215]
	buffer_store_dword v3, off, s[0:3], 0 offset:84
	buffer_store_dword v2, off, s[0:3], 0 offset:80
	;; [unrolled: 1-line block ×4, first 2 shown]
	s_and_saveexec_b64 s[6:7], vcc
	s_cbranch_execz .LBB22_143
; %bb.142:
	buffer_load_dword v2, v146, s[0:3], 0 offen
	buffer_load_dword v3, v146, s[0:3], 0 offen offset:4
	buffer_load_dword v4, v146, s[0:3], 0 offen offset:8
	;; [unrolled: 1-line block ×3, first 2 shown]
	s_nop 0
	buffer_store_dword v92, off, s[0:3], 0 offset:64
	buffer_store_dword v92, off, s[0:3], 0 offset:68
	;; [unrolled: 1-line block ×4, first 2 shown]
	s_waitcnt vmcnt(4)
	ds_write_b128 v112, v[2:5]
.LBB22_143:
	s_or_b64 exec, exec, s[6:7]
	s_waitcnt lgkmcnt(0)
	; wave barrier
	s_waitcnt lgkmcnt(0)
	buffer_load_dword v2, off, s[0:3], 0 offset:80
	buffer_load_dword v3, off, s[0:3], 0 offset:84
	;; [unrolled: 1-line block ×72, first 2 shown]
	ds_read_b128 v[94:97], v92 offset:448
	buffer_load_dword v218, off, s[0:3], 0 offset:64
	buffer_load_dword v219, off, s[0:3], 0 offset:68
	;; [unrolled: 1-line block ×4, first 2 shown]
	ds_read_b128 v[98:101], v92 offset:464
	ds_read_b128 v[102:105], v92 offset:480
	;; [unrolled: 1-line block ×3, first 2 shown]
	v_cmp_lt_u32_e32 vcc, 3, v153
	ds_read_b128 v[190:193], v92 offset:720
	s_waitcnt vmcnt(62) lgkmcnt(4)
	v_mul_f64 v[114:115], v[94:95], v[8:9]
	v_fmac_f64_e32 v[114:115], v[96:97], v[2:3]
	v_add_f64 v[114:115], v[114:115], 0
	v_mul_f64 v[8:9], v[96:97], v[8:9]
	s_waitcnt lgkmcnt(3)
	v_mul_f64 v[116:117], v[98:99], v[10:11]
	v_fmac_f64_e32 v[116:117], v[100:101], v[4:5]
	v_add_f64 v[114:115], v[114:115], v[116:117]
	v_fma_f64 v[2:3], v[94:95], v[2:3], -v[8:9]
	s_waitcnt lgkmcnt(2)
	v_mul_f64 v[116:117], v[102:103], v[12:13]
	v_fmac_f64_e32 v[116:117], v[104:105], v[6:7]
	v_add_f64 v[118:119], v[114:115], v[116:117]
	ds_read_b128 v[114:117], v92 offset:512
	s_waitcnt vmcnt(60) lgkmcnt(2)
	v_mul_f64 v[120:121], v[106:107], v[18:19]
	v_mul_f64 v[8:9], v[100:101], v[10:11]
	s_waitcnt vmcnt(58)
	v_fmac_f64_e32 v[120:121], v[108:109], v[20:21]
	v_add_f64 v[122:123], v[118:119], v[120:121]
	ds_read_b128 v[118:121], v92 offset:528
	s_waitcnt vmcnt(56) lgkmcnt(1)
	v_mul_f64 v[124:125], v[114:115], v[14:15]
	v_fmac_f64_e32 v[124:125], v[116:117], v[16:17]
	v_add_f64 v[126:127], v[122:123], v[124:125]
	ds_read_b128 v[122:125], v92 offset:544
	s_waitcnt vmcnt(52) lgkmcnt(1)
	v_mul_f64 v[128:129], v[118:119], v[26:27]
	s_waitcnt vmcnt(50)
	v_fmac_f64_e32 v[128:129], v[120:121], v[28:29]
	v_add_f64 v[154:155], v[126:127], v[128:129]
	ds_read_b128 v[126:129], v92 offset:560
	s_waitcnt vmcnt(48) lgkmcnt(1)
	v_mul_f64 v[156:157], v[122:123], v[22:23]
	v_fmac_f64_e32 v[156:157], v[124:125], v[24:25]
	v_add_f64 v[158:159], v[154:155], v[156:157]
	ds_read_b128 v[154:157], v92 offset:576
	s_waitcnt vmcnt(44) lgkmcnt(1)
	v_mul_f64 v[160:161], v[126:127], v[80:81]
	s_waitcnt vmcnt(42)
	v_fmac_f64_e32 v[160:161], v[128:129], v[82:83]
	v_add_f64 v[2:3], v[2:3], 0
	v_fma_f64 v[4:5], v[98:99], v[4:5], -v[8:9]
	v_add_f64 v[162:163], v[158:159], v[160:161]
	ds_read_b128 v[158:161], v92 offset:592
	s_waitcnt vmcnt(40) lgkmcnt(1)
	v_mul_f64 v[164:165], v[154:155], v[76:77]
	v_add_f64 v[2:3], v[2:3], v[4:5]
	v_mul_f64 v[4:5], v[104:105], v[12:13]
	v_fmac_f64_e32 v[164:165], v[156:157], v[78:79]
	v_fma_f64 v[4:5], v[102:103], v[6:7], -v[4:5]
	v_add_f64 v[166:167], v[162:163], v[164:165]
	ds_read_b128 v[162:165], v92 offset:608
	v_add_f64 v[2:3], v[2:3], v[4:5]
	v_mul_f64 v[4:5], v[108:109], v[18:19]
	v_fma_f64 v[4:5], v[106:107], v[20:21], -v[4:5]
	v_add_f64 v[2:3], v[2:3], v[4:5]
	v_mul_f64 v[4:5], v[116:117], v[14:15]
	s_waitcnt vmcnt(36) lgkmcnt(1)
	v_mul_f64 v[168:169], v[158:159], v[88:89]
	v_fma_f64 v[4:5], v[114:115], v[16:17], -v[4:5]
	s_waitcnt vmcnt(34)
	v_fmac_f64_e32 v[168:169], v[160:161], v[90:91]
	v_add_f64 v[2:3], v[2:3], v[4:5]
	v_mul_f64 v[4:5], v[120:121], v[26:27]
	v_add_f64 v[170:171], v[166:167], v[168:169]
	ds_read_b128 v[166:169], v92 offset:624
	s_waitcnt vmcnt(32) lgkmcnt(1)
	v_mul_f64 v[172:173], v[162:163], v[84:85]
	v_fma_f64 v[4:5], v[118:119], v[28:29], -v[4:5]
	v_fmac_f64_e32 v[172:173], v[164:165], v[86:87]
	v_add_f64 v[2:3], v[2:3], v[4:5]
	v_mul_f64 v[4:5], v[124:125], v[22:23]
	v_add_f64 v[174:175], v[170:171], v[172:173]
	ds_read_b128 v[170:173], v92 offset:640
	v_fma_f64 v[4:5], v[122:123], v[24:25], -v[4:5]
	v_add_f64 v[2:3], v[2:3], v[4:5]
	v_mul_f64 v[4:5], v[128:129], v[80:81]
	v_fma_f64 v[4:5], v[126:127], v[82:83], -v[4:5]
	s_waitcnt vmcnt(28) lgkmcnt(1)
	v_mul_f64 v[176:177], v[166:167], v[194:195]
	v_add_f64 v[2:3], v[2:3], v[4:5]
	v_mul_f64 v[4:5], v[156:157], v[76:77]
	s_waitcnt vmcnt(26)
	v_fmac_f64_e32 v[176:177], v[168:169], v[196:197]
	v_fma_f64 v[4:5], v[154:155], v[78:79], -v[4:5]
	v_add_f64 v[178:179], v[174:175], v[176:177]
	ds_read_b128 v[174:177], v92 offset:656
	s_waitcnt vmcnt(24) lgkmcnt(1)
	v_mul_f64 v[180:181], v[170:171], v[110:111]
	v_add_f64 v[2:3], v[2:3], v[4:5]
	v_mul_f64 v[4:5], v[160:161], v[88:89]
	v_fmac_f64_e32 v[180:181], v[172:173], v[130:131]
	v_fma_f64 v[4:5], v[158:159], v[90:91], -v[4:5]
	v_add_f64 v[182:183], v[178:179], v[180:181]
	ds_read_b128 v[178:181], v92 offset:672
	v_add_f64 v[2:3], v[2:3], v[4:5]
	v_mul_f64 v[4:5], v[164:165], v[84:85]
	v_fma_f64 v[4:5], v[162:163], v[86:87], -v[4:5]
	v_add_f64 v[2:3], v[2:3], v[4:5]
	v_mul_f64 v[4:5], v[168:169], v[194:195]
	s_waitcnt vmcnt(20) lgkmcnt(1)
	v_mul_f64 v[184:185], v[174:175], v[202:203]
	v_fma_f64 v[4:5], v[166:167], v[196:197], -v[4:5]
	s_waitcnt vmcnt(18)
	v_fmac_f64_e32 v[184:185], v[176:177], v[204:205]
	v_add_f64 v[2:3], v[2:3], v[4:5]
	v_mul_f64 v[4:5], v[172:173], v[110:111]
	v_add_f64 v[186:187], v[182:183], v[184:185]
	ds_read_b128 v[182:185], v92 offset:688
	s_waitcnt vmcnt(16) lgkmcnt(1)
	v_mul_f64 v[188:189], v[178:179], v[198:199]
	v_fma_f64 v[4:5], v[170:171], v[130:131], -v[4:5]
	v_fmac_f64_e32 v[188:189], v[180:181], v[200:201]
	v_add_f64 v[2:3], v[2:3], v[4:5]
	v_mul_f64 v[4:5], v[176:177], v[202:203]
	v_add_f64 v[222:223], v[186:187], v[188:189]
	ds_read_b128 v[186:189], v92 offset:704
	v_fma_f64 v[4:5], v[174:175], v[204:205], -v[4:5]
	v_add_f64 v[2:3], v[2:3], v[4:5]
	v_mul_f64 v[4:5], v[180:181], v[198:199]
	v_fma_f64 v[4:5], v[178:179], v[200:201], -v[4:5]
	v_add_f64 v[2:3], v[2:3], v[4:5]
	s_waitcnt vmcnt(12) lgkmcnt(1)
	v_mul_f64 v[4:5], v[184:185], v[210:211]
	v_mul_f64 v[224:225], v[182:183], v[210:211]
	s_waitcnt vmcnt(10)
	v_fma_f64 v[4:5], v[182:183], v[212:213], -v[4:5]
	v_fmac_f64_e32 v[224:225], v[184:185], v[212:213]
	v_add_f64 v[2:3], v[2:3], v[4:5]
	s_waitcnt vmcnt(8) lgkmcnt(0)
	v_mul_f64 v[4:5], v[188:189], v[206:207]
	v_add_f64 v[92:93], v[222:223], v[224:225]
	v_mul_f64 v[222:223], v[186:187], v[206:207]
	v_fma_f64 v[4:5], v[186:187], v[208:209], -v[4:5]
	v_fmac_f64_e32 v[222:223], v[188:189], v[208:209]
	v_add_f64 v[2:3], v[2:3], v[4:5]
	s_waitcnt vmcnt(6)
	v_mul_f64 v[4:5], v[192:193], v[214:215]
	v_add_f64 v[92:93], v[92:93], v[222:223]
	v_mul_f64 v[222:223], v[190:191], v[214:215]
	s_waitcnt vmcnt(4)
	v_fma_f64 v[4:5], v[190:191], v[216:217], -v[4:5]
	v_fmac_f64_e32 v[222:223], v[192:193], v[216:217]
	v_add_f64 v[2:3], v[2:3], v[4:5]
	v_add_f64 v[92:93], v[92:93], v[222:223]
	s_waitcnt vmcnt(2)
	v_add_f64 v[2:3], v[218:219], -v[2:3]
	s_waitcnt vmcnt(0)
	v_add_f64 v[4:5], v[220:221], -v[92:93]
	buffer_store_dword v3, off, s[0:3], 0 offset:68
	buffer_store_dword v2, off, s[0:3], 0 offset:64
	;; [unrolled: 1-line block ×4, first 2 shown]
	s_and_saveexec_b64 s[6:7], vcc
	s_cbranch_execz .LBB22_145
; %bb.144:
	buffer_load_dword v2, v152, s[0:3], 0 offen
	buffer_load_dword v3, v152, s[0:3], 0 offen offset:4
	buffer_load_dword v4, v152, s[0:3], 0 offen offset:8
	;; [unrolled: 1-line block ×3, first 2 shown]
	v_mov_b32_e32 v6, 0
	buffer_store_dword v6, off, s[0:3], 0 offset:48
	buffer_store_dword v6, off, s[0:3], 0 offset:52
	;; [unrolled: 1-line block ×4, first 2 shown]
	s_waitcnt vmcnt(4)
	ds_write_b128 v112, v[2:5]
.LBB22_145:
	s_or_b64 exec, exec, s[6:7]
	s_waitcnt lgkmcnt(0)
	; wave barrier
	s_waitcnt lgkmcnt(0)
	buffer_load_dword v2, off, s[0:3], 0 offset:64
	buffer_load_dword v3, off, s[0:3], 0 offset:68
	buffer_load_dword v8, off, s[0:3], 0 offset:72
	buffer_load_dword v9, off, s[0:3], 0 offset:76
	buffer_load_dword v4, off, s[0:3], 0 offset:80
	buffer_load_dword v5, off, s[0:3], 0 offset:84
	buffer_load_dword v10, off, s[0:3], 0 offset:88
	buffer_load_dword v11, off, s[0:3], 0 offset:92
	buffer_load_dword v6, off, s[0:3], 0 offset:96
	buffer_load_dword v7, off, s[0:3], 0 offset:100
	buffer_load_dword v12, off, s[0:3], 0 offset:104
	buffer_load_dword v13, off, s[0:3], 0 offset:108
	buffer_load_dword v14, off, s[0:3], 0 offset:136
	buffer_load_dword v16, off, s[0:3], 0 offset:128
	buffer_load_dword v19, off, s[0:3], 0 offset:124
	buffer_load_dword v18, off, s[0:3], 0 offset:120
	buffer_load_dword v21, off, s[0:3], 0 offset:116
	buffer_load_dword v20, off, s[0:3], 0 offset:112
	buffer_load_dword v17, off, s[0:3], 0 offset:132
	buffer_load_dword v15, off, s[0:3], 0 offset:140
	buffer_load_dword v22, off, s[0:3], 0 offset:168
	buffer_load_dword v24, off, s[0:3], 0 offset:160
	buffer_load_dword v27, off, s[0:3], 0 offset:156
	buffer_load_dword v26, off, s[0:3], 0 offset:152
	buffer_load_dword v29, off, s[0:3], 0 offset:148
	buffer_load_dword v28, off, s[0:3], 0 offset:144
	buffer_load_dword v25, off, s[0:3], 0 offset:164
	buffer_load_dword v23, off, s[0:3], 0 offset:172
	buffer_load_dword v76, off, s[0:3], 0 offset:200
	buffer_load_dword v78, off, s[0:3], 0 offset:192
	buffer_load_dword v81, off, s[0:3], 0 offset:188
	buffer_load_dword v80, off, s[0:3], 0 offset:184
	buffer_load_dword v83, off, s[0:3], 0 offset:180
	buffer_load_dword v82, off, s[0:3], 0 offset:176
	buffer_load_dword v79, off, s[0:3], 0 offset:196
	buffer_load_dword v77, off, s[0:3], 0 offset:204
	buffer_load_dword v84, off, s[0:3], 0 offset:232
	buffer_load_dword v86, off, s[0:3], 0 offset:224
	buffer_load_dword v89, off, s[0:3], 0 offset:220
	buffer_load_dword v88, off, s[0:3], 0 offset:216
	buffer_load_dword v91, off, s[0:3], 0 offset:212
	buffer_load_dword v90, off, s[0:3], 0 offset:208
	buffer_load_dword v87, off, s[0:3], 0 offset:228
	buffer_load_dword v85, off, s[0:3], 0 offset:236
	buffer_load_dword v92, off, s[0:3], 0 offset:264
	buffer_load_dword v94, off, s[0:3], 0 offset:256
	buffer_load_dword v97, off, s[0:3], 0 offset:252
	buffer_load_dword v96, off, s[0:3], 0 offset:248
	buffer_load_dword v99, off, s[0:3], 0 offset:244
	buffer_load_dword v98, off, s[0:3], 0 offset:240
	buffer_load_dword v95, off, s[0:3], 0 offset:260
	buffer_load_dword v93, off, s[0:3], 0 offset:268
	buffer_load_dword v110, off, s[0:3], 0 offset:296
	buffer_load_dword v130, off, s[0:3], 0 offset:288
	buffer_load_dword v207, off, s[0:3], 0 offset:284
	buffer_load_dword v206, off, s[0:3], 0 offset:280
	buffer_load_dword v209, off, s[0:3], 0 offset:276
	buffer_load_dword v208, off, s[0:3], 0 offset:272
	buffer_load_dword v131, off, s[0:3], 0 offset:292
	buffer_load_dword v111, off, s[0:3], 0 offset:300
	buffer_load_dword v210, off, s[0:3], 0 offset:328
	buffer_load_dword v212, off, s[0:3], 0 offset:320
	buffer_load_dword v215, off, s[0:3], 0 offset:316
	buffer_load_dword v214, off, s[0:3], 0 offset:312
	buffer_load_dword v217, off, s[0:3], 0 offset:308
	buffer_load_dword v216, off, s[0:3], 0 offset:304
	buffer_load_dword v213, off, s[0:3], 0 offset:324
	buffer_load_dword v211, off, s[0:3], 0 offset:332
	buffer_load_dword v218, off, s[0:3], 0 offset:360
	buffer_load_dword v220, off, s[0:3], 0 offset:352
	buffer_load_dword v223, off, s[0:3], 0 offset:348
	buffer_load_dword v222, off, s[0:3], 0 offset:344
	buffer_load_dword v225, off, s[0:3], 0 offset:340
	buffer_load_dword v224, off, s[0:3], 0 offset:336
	buffer_load_dword v219, off, s[0:3], 0 offset:364
	buffer_load_dword v221, off, s[0:3], 0 offset:356
	v_mov_b32_e32 v100, 0
	ds_read_b128 v[102:105], v100 offset:432
	buffer_load_dword v226, off, s[0:3], 0 offset:48
	buffer_load_dword v227, off, s[0:3], 0 offset:52
	;; [unrolled: 1-line block ×4, first 2 shown]
	ds_read_b128 v[106:109], v100 offset:448
	ds_read_b128 v[114:117], v100 offset:464
	ds_read_b128 v[118:121], v100 offset:480
	ds_read_b128 v[202:205], v100 offset:720
	v_cmp_lt_u32_e32 vcc, 2, v153
	s_waitcnt vmcnt(62) lgkmcnt(4)
	v_mul_f64 v[122:123], v[102:103], v[8:9]
	v_fmac_f64_e32 v[122:123], v[104:105], v[2:3]
	v_add_f64 v[122:123], v[122:123], 0
	v_mul_f64 v[8:9], v[104:105], v[8:9]
	s_waitcnt lgkmcnt(3)
	v_mul_f64 v[124:125], v[106:107], v[10:11]
	v_fmac_f64_e32 v[124:125], v[108:109], v[4:5]
	v_add_f64 v[122:123], v[122:123], v[124:125]
	v_fma_f64 v[2:3], v[102:103], v[2:3], -v[8:9]
	s_waitcnt lgkmcnt(2)
	v_mul_f64 v[124:125], v[114:115], v[12:13]
	v_fmac_f64_e32 v[124:125], v[116:117], v[6:7]
	v_add_f64 v[126:127], v[122:123], v[124:125]
	ds_read_b128 v[122:125], v100 offset:496
	s_waitcnt lgkmcnt(2)
	v_mul_f64 v[128:129], v[118:119], v[18:19]
	v_mul_f64 v[8:9], v[108:109], v[10:11]
	v_fmac_f64_e32 v[128:129], v[120:121], v[20:21]
	v_add_f64 v[154:155], v[126:127], v[128:129]
	ds_read_b128 v[126:129], v100 offset:512
	s_waitcnt vmcnt(60) lgkmcnt(1)
	v_mul_f64 v[156:157], v[122:123], v[14:15]
	v_fmac_f64_e32 v[156:157], v[124:125], v[16:17]
	v_add_f64 v[158:159], v[154:155], v[156:157]
	ds_read_b128 v[154:157], v100 offset:528
	s_waitcnt vmcnt(56) lgkmcnt(1)
	v_mul_f64 v[160:161], v[126:127], v[26:27]
	s_waitcnt vmcnt(54)
	v_fmac_f64_e32 v[160:161], v[128:129], v[28:29]
	v_add_f64 v[162:163], v[158:159], v[160:161]
	ds_read_b128 v[158:161], v100 offset:544
	s_waitcnt vmcnt(52) lgkmcnt(1)
	v_mul_f64 v[164:165], v[154:155], v[22:23]
	v_fmac_f64_e32 v[164:165], v[156:157], v[24:25]
	v_add_f64 v[166:167], v[162:163], v[164:165]
	ds_read_b128 v[162:165], v100 offset:560
	s_waitcnt vmcnt(48) lgkmcnt(1)
	v_mul_f64 v[168:169], v[158:159], v[80:81]
	s_waitcnt vmcnt(46)
	v_fmac_f64_e32 v[168:169], v[160:161], v[82:83]
	v_add_f64 v[170:171], v[166:167], v[168:169]
	ds_read_b128 v[166:169], v100 offset:576
	v_add_f64 v[2:3], v[2:3], 0
	v_fma_f64 v[4:5], v[106:107], v[4:5], -v[8:9]
	s_waitcnt vmcnt(44) lgkmcnt(1)
	v_mul_f64 v[172:173], v[162:163], v[76:77]
	v_add_f64 v[2:3], v[2:3], v[4:5]
	v_mul_f64 v[4:5], v[116:117], v[12:13]
	v_fmac_f64_e32 v[172:173], v[164:165], v[78:79]
	v_fma_f64 v[4:5], v[114:115], v[6:7], -v[4:5]
	v_add_f64 v[174:175], v[170:171], v[172:173]
	ds_read_b128 v[170:173], v100 offset:592
	s_waitcnt vmcnt(40) lgkmcnt(1)
	v_mul_f64 v[176:177], v[166:167], v[88:89]
	v_add_f64 v[2:3], v[2:3], v[4:5]
	v_mul_f64 v[4:5], v[120:121], v[18:19]
	s_waitcnt vmcnt(38)
	v_fmac_f64_e32 v[176:177], v[168:169], v[90:91]
	v_fma_f64 v[4:5], v[118:119], v[20:21], -v[4:5]
	v_add_f64 v[178:179], v[174:175], v[176:177]
	ds_read_b128 v[174:177], v100 offset:608
	v_add_f64 v[2:3], v[2:3], v[4:5]
	v_mul_f64 v[4:5], v[124:125], v[14:15]
	v_fma_f64 v[4:5], v[122:123], v[16:17], -v[4:5]
	v_add_f64 v[2:3], v[2:3], v[4:5]
	v_mul_f64 v[4:5], v[128:129], v[26:27]
	s_waitcnt vmcnt(36) lgkmcnt(1)
	v_mul_f64 v[180:181], v[170:171], v[84:85]
	v_fma_f64 v[4:5], v[126:127], v[28:29], -v[4:5]
	v_fmac_f64_e32 v[180:181], v[172:173], v[86:87]
	v_add_f64 v[2:3], v[2:3], v[4:5]
	v_mul_f64 v[4:5], v[156:157], v[22:23]
	v_add_f64 v[182:183], v[178:179], v[180:181]
	ds_read_b128 v[178:181], v100 offset:624
	s_waitcnt vmcnt(32) lgkmcnt(1)
	v_mul_f64 v[184:185], v[174:175], v[96:97]
	v_fma_f64 v[4:5], v[154:155], v[24:25], -v[4:5]
	s_waitcnt vmcnt(30)
	v_fmac_f64_e32 v[184:185], v[176:177], v[98:99]
	v_add_f64 v[2:3], v[2:3], v[4:5]
	v_mul_f64 v[4:5], v[160:161], v[80:81]
	v_add_f64 v[186:187], v[182:183], v[184:185]
	ds_read_b128 v[182:185], v100 offset:640
	v_fma_f64 v[4:5], v[158:159], v[82:83], -v[4:5]
	v_add_f64 v[2:3], v[2:3], v[4:5]
	v_mul_f64 v[4:5], v[164:165], v[76:77]
	v_fma_f64 v[4:5], v[162:163], v[78:79], -v[4:5]
	s_waitcnt vmcnt(28) lgkmcnt(1)
	v_mul_f64 v[188:189], v[178:179], v[92:93]
	v_add_f64 v[2:3], v[2:3], v[4:5]
	v_mul_f64 v[4:5], v[168:169], v[88:89]
	v_fmac_f64_e32 v[188:189], v[180:181], v[94:95]
	v_fma_f64 v[4:5], v[166:167], v[90:91], -v[4:5]
	v_add_f64 v[190:191], v[186:187], v[188:189]
	ds_read_b128 v[186:189], v100 offset:656
	s_waitcnt vmcnt(24) lgkmcnt(1)
	v_mul_f64 v[192:193], v[182:183], v[206:207]
	v_add_f64 v[2:3], v[2:3], v[4:5]
	v_mul_f64 v[4:5], v[172:173], v[84:85]
	s_waitcnt vmcnt(22)
	v_fmac_f64_e32 v[192:193], v[184:185], v[208:209]
	v_fma_f64 v[4:5], v[170:171], v[86:87], -v[4:5]
	v_add_f64 v[194:195], v[190:191], v[192:193]
	ds_read_b128 v[190:193], v100 offset:672
	v_add_f64 v[2:3], v[2:3], v[4:5]
	v_mul_f64 v[4:5], v[176:177], v[96:97]
	v_fma_f64 v[4:5], v[174:175], v[98:99], -v[4:5]
	v_add_f64 v[2:3], v[2:3], v[4:5]
	v_mul_f64 v[4:5], v[180:181], v[92:93]
	s_waitcnt vmcnt(20) lgkmcnt(1)
	v_mul_f64 v[196:197], v[186:187], v[110:111]
	v_fma_f64 v[4:5], v[178:179], v[94:95], -v[4:5]
	v_fmac_f64_e32 v[196:197], v[188:189], v[130:131]
	v_add_f64 v[2:3], v[2:3], v[4:5]
	v_mul_f64 v[4:5], v[184:185], v[206:207]
	v_add_f64 v[198:199], v[194:195], v[196:197]
	ds_read_b128 v[194:197], v100 offset:688
	s_waitcnt vmcnt(16) lgkmcnt(1)
	v_mul_f64 v[200:201], v[190:191], v[214:215]
	v_fma_f64 v[4:5], v[182:183], v[208:209], -v[4:5]
	s_waitcnt vmcnt(14)
	v_fmac_f64_e32 v[200:201], v[192:193], v[216:217]
	v_add_f64 v[2:3], v[2:3], v[4:5]
	v_mul_f64 v[4:5], v[188:189], v[110:111]
	v_add_f64 v[230:231], v[198:199], v[200:201]
	ds_read_b128 v[198:201], v100 offset:704
	v_fma_f64 v[4:5], v[186:187], v[130:131], -v[4:5]
	v_add_f64 v[2:3], v[2:3], v[4:5]
	v_mul_f64 v[4:5], v[192:193], v[214:215]
	v_fma_f64 v[4:5], v[190:191], v[216:217], -v[4:5]
	v_add_f64 v[2:3], v[2:3], v[4:5]
	s_waitcnt vmcnt(12) lgkmcnt(1)
	v_mul_f64 v[4:5], v[196:197], v[210:211]
	v_mul_f64 v[232:233], v[194:195], v[210:211]
	v_fma_f64 v[4:5], v[194:195], v[212:213], -v[4:5]
	v_fmac_f64_e32 v[232:233], v[196:197], v[212:213]
	v_add_f64 v[2:3], v[2:3], v[4:5]
	s_waitcnt vmcnt(8) lgkmcnt(0)
	v_mul_f64 v[4:5], v[200:201], v[222:223]
	v_add_f64 v[230:231], v[230:231], v[232:233]
	v_mul_f64 v[232:233], v[198:199], v[222:223]
	s_waitcnt vmcnt(6)
	v_fma_f64 v[4:5], v[198:199], v[224:225], -v[4:5]
	v_fmac_f64_e32 v[232:233], v[200:201], v[224:225]
	v_add_f64 v[2:3], v[2:3], v[4:5]
	s_waitcnt vmcnt(5)
	v_mul_f64 v[4:5], v[204:205], v[218:219]
	v_add_f64 v[230:231], v[230:231], v[232:233]
	v_mul_f64 v[232:233], v[202:203], v[218:219]
	s_waitcnt vmcnt(4)
	v_fma_f64 v[4:5], v[202:203], v[220:221], -v[4:5]
	v_fmac_f64_e32 v[232:233], v[204:205], v[220:221]
	v_add_f64 v[2:3], v[2:3], v[4:5]
	v_add_f64 v[230:231], v[230:231], v[232:233]
	s_waitcnt vmcnt(2)
	v_add_f64 v[2:3], v[226:227], -v[2:3]
	s_waitcnt vmcnt(0)
	v_add_f64 v[4:5], v[228:229], -v[230:231]
	buffer_store_dword v3, off, s[0:3], 0 offset:52
	buffer_store_dword v2, off, s[0:3], 0 offset:48
	;; [unrolled: 1-line block ×4, first 2 shown]
	s_and_saveexec_b64 s[6:7], vcc
	s_cbranch_execz .LBB22_147
; %bb.146:
	buffer_load_dword v2, v150, s[0:3], 0 offen
	buffer_load_dword v3, v150, s[0:3], 0 offen offset:4
	buffer_load_dword v4, v150, s[0:3], 0 offen offset:8
	;; [unrolled: 1-line block ×3, first 2 shown]
	s_nop 0
	buffer_store_dword v100, off, s[0:3], 0 offset:32
	buffer_store_dword v100, off, s[0:3], 0 offset:36
	;; [unrolled: 1-line block ×4, first 2 shown]
	s_waitcnt vmcnt(4)
	ds_write_b128 v112, v[2:5]
.LBB22_147:
	s_or_b64 exec, exec, s[6:7]
	s_waitcnt lgkmcnt(0)
	; wave barrier
	s_waitcnt lgkmcnt(0)
	buffer_load_dword v2, off, s[0:3], 0 offset:48
	buffer_load_dword v3, off, s[0:3], 0 offset:52
	;; [unrolled: 1-line block ×76, first 2 shown]
	ds_read_b128 v[102:105], v100 offset:416
	buffer_load_dword v231, off, s[0:3], 0 offset:364
	buffer_load_dword v230, off, s[0:3], 0 offset:360
	;; [unrolled: 1-line block ×8, first 2 shown]
	ds_read_b128 v[106:109], v100 offset:432
	ds_read_b128 v[114:117], v100 offset:448
	;; [unrolled: 1-line block ×3, first 2 shown]
	v_cmp_lt_u32_e32 vcc, 1, v153
	ds_read_b128 v[206:209], v100 offset:720
	s_waitcnt vmcnt(62) lgkmcnt(4)
	v_mul_f64 v[122:123], v[102:103], v[8:9]
	v_fmac_f64_e32 v[122:123], v[104:105], v[2:3]
	v_add_f64 v[122:123], v[122:123], 0
	v_mul_f64 v[8:9], v[104:105], v[8:9]
	s_waitcnt lgkmcnt(3)
	v_mul_f64 v[124:125], v[106:107], v[10:11]
	v_fmac_f64_e32 v[124:125], v[108:109], v[4:5]
	v_add_f64 v[122:123], v[122:123], v[124:125]
	v_fma_f64 v[2:3], v[102:103], v[2:3], -v[8:9]
	s_waitcnt lgkmcnt(2)
	v_mul_f64 v[124:125], v[114:115], v[12:13]
	v_fmac_f64_e32 v[124:125], v[116:117], v[6:7]
	v_add_f64 v[126:127], v[122:123], v[124:125]
	ds_read_b128 v[122:125], v100 offset:480
	v_mul_f64 v[8:9], v[108:109], v[10:11]
	v_add_f64 v[2:3], v[2:3], 0
	s_waitcnt lgkmcnt(2)
	v_mul_f64 v[128:129], v[118:119], v[18:19]
	v_fma_f64 v[4:5], v[106:107], v[4:5], -v[8:9]
	v_fmac_f64_e32 v[128:129], v[120:121], v[20:21]
	v_add_f64 v[154:155], v[126:127], v[128:129]
	ds_read_b128 v[126:129], v100 offset:496
	s_waitcnt lgkmcnt(1)
	v_mul_f64 v[156:157], v[122:123], v[14:15]
	v_fmac_f64_e32 v[156:157], v[124:125], v[16:17]
	v_add_f64 v[158:159], v[154:155], v[156:157]
	ds_read_b128 v[154:157], v100 offset:512
	s_waitcnt vmcnt(58) lgkmcnt(1)
	v_mul_f64 v[160:161], v[126:127], v[26:27]
	s_waitcnt vmcnt(56)
	v_fmac_f64_e32 v[160:161], v[128:129], v[28:29]
	v_add_f64 v[162:163], v[158:159], v[160:161]
	ds_read_b128 v[158:161], v100 offset:528
	s_waitcnt lgkmcnt(1)
	v_mul_f64 v[164:165], v[154:155], v[22:23]
	v_fmac_f64_e32 v[164:165], v[156:157], v[24:25]
	v_add_f64 v[166:167], v[162:163], v[164:165]
	ds_read_b128 v[162:165], v100 offset:544
	s_waitcnt vmcnt(50) lgkmcnt(1)
	v_mul_f64 v[168:169], v[158:159], v[80:81]
	s_waitcnt vmcnt(48)
	v_fmac_f64_e32 v[168:169], v[160:161], v[82:83]
	v_add_f64 v[170:171], v[166:167], v[168:169]
	ds_read_b128 v[166:169], v100 offset:560
	s_waitcnt lgkmcnt(1)
	v_mul_f64 v[172:173], v[162:163], v[76:77]
	v_fmac_f64_e32 v[172:173], v[164:165], v[78:79]
	v_add_f64 v[174:175], v[170:171], v[172:173]
	ds_read_b128 v[170:173], v100 offset:576
	v_add_f64 v[2:3], v[2:3], v[4:5]
	v_mul_f64 v[4:5], v[116:117], v[12:13]
	v_fma_f64 v[4:5], v[114:115], v[6:7], -v[4:5]
	s_waitcnt vmcnt(42) lgkmcnt(1)
	v_mul_f64 v[176:177], v[166:167], v[88:89]
	v_add_f64 v[2:3], v[2:3], v[4:5]
	v_mul_f64 v[4:5], v[120:121], v[18:19]
	s_waitcnt vmcnt(40)
	v_fmac_f64_e32 v[176:177], v[168:169], v[90:91]
	v_fma_f64 v[4:5], v[118:119], v[20:21], -v[4:5]
	v_add_f64 v[178:179], v[174:175], v[176:177]
	ds_read_b128 v[174:177], v100 offset:592
	s_waitcnt lgkmcnt(1)
	v_mul_f64 v[180:181], v[170:171], v[84:85]
	v_add_f64 v[2:3], v[2:3], v[4:5]
	v_mul_f64 v[4:5], v[124:125], v[14:15]
	v_fmac_f64_e32 v[180:181], v[172:173], v[86:87]
	v_fma_f64 v[4:5], v[122:123], v[16:17], -v[4:5]
	v_add_f64 v[182:183], v[178:179], v[180:181]
	ds_read_b128 v[178:181], v100 offset:608
	v_add_f64 v[2:3], v[2:3], v[4:5]
	v_mul_f64 v[4:5], v[128:129], v[26:27]
	v_fma_f64 v[4:5], v[126:127], v[28:29], -v[4:5]
	v_add_f64 v[2:3], v[2:3], v[4:5]
	v_mul_f64 v[4:5], v[156:157], v[22:23]
	s_waitcnt vmcnt(34) lgkmcnt(1)
	v_mul_f64 v[184:185], v[174:175], v[96:97]
	v_fma_f64 v[4:5], v[154:155], v[24:25], -v[4:5]
	s_waitcnt vmcnt(32)
	v_fmac_f64_e32 v[184:185], v[176:177], v[98:99]
	v_add_f64 v[2:3], v[2:3], v[4:5]
	v_mul_f64 v[4:5], v[160:161], v[80:81]
	v_add_f64 v[186:187], v[182:183], v[184:185]
	ds_read_b128 v[182:185], v100 offset:624
	s_waitcnt lgkmcnt(1)
	v_mul_f64 v[188:189], v[178:179], v[92:93]
	v_fma_f64 v[4:5], v[158:159], v[82:83], -v[4:5]
	v_fmac_f64_e32 v[188:189], v[180:181], v[94:95]
	v_add_f64 v[2:3], v[2:3], v[4:5]
	v_mul_f64 v[4:5], v[164:165], v[76:77]
	v_add_f64 v[190:191], v[186:187], v[188:189]
	ds_read_b128 v[186:189], v100 offset:640
	v_fma_f64 v[4:5], v[162:163], v[78:79], -v[4:5]
	v_add_f64 v[2:3], v[2:3], v[4:5]
	v_mul_f64 v[4:5], v[168:169], v[88:89]
	v_fma_f64 v[4:5], v[166:167], v[90:91], -v[4:5]
	s_waitcnt vmcnt(26) lgkmcnt(1)
	v_mul_f64 v[192:193], v[182:183], v[210:211]
	v_add_f64 v[2:3], v[2:3], v[4:5]
	v_mul_f64 v[4:5], v[172:173], v[84:85]
	s_waitcnt vmcnt(24)
	v_fmac_f64_e32 v[192:193], v[184:185], v[212:213]
	v_fma_f64 v[4:5], v[170:171], v[86:87], -v[4:5]
	v_add_f64 v[194:195], v[190:191], v[192:193]
	ds_read_b128 v[190:193], v100 offset:656
	s_waitcnt lgkmcnt(1)
	v_mul_f64 v[196:197], v[186:187], v[110:111]
	v_add_f64 v[2:3], v[2:3], v[4:5]
	v_mul_f64 v[4:5], v[176:177], v[96:97]
	v_fmac_f64_e32 v[196:197], v[188:189], v[130:131]
	v_fma_f64 v[4:5], v[174:175], v[98:99], -v[4:5]
	v_add_f64 v[198:199], v[194:195], v[196:197]
	ds_read_b128 v[194:197], v100 offset:672
	v_add_f64 v[2:3], v[2:3], v[4:5]
	v_mul_f64 v[4:5], v[180:181], v[92:93]
	v_fma_f64 v[4:5], v[178:179], v[94:95], -v[4:5]
	v_add_f64 v[2:3], v[2:3], v[4:5]
	v_mul_f64 v[4:5], v[184:185], v[210:211]
	s_waitcnt vmcnt(18) lgkmcnt(1)
	v_mul_f64 v[200:201], v[190:191], v[218:219]
	v_fma_f64 v[4:5], v[182:183], v[212:213], -v[4:5]
	s_waitcnt vmcnt(16)
	v_fmac_f64_e32 v[200:201], v[192:193], v[220:221]
	v_add_f64 v[2:3], v[2:3], v[4:5]
	v_mul_f64 v[4:5], v[188:189], v[110:111]
	v_add_f64 v[202:203], v[198:199], v[200:201]
	ds_read_b128 v[198:201], v100 offset:688
	s_waitcnt lgkmcnt(1)
	v_mul_f64 v[204:205], v[194:195], v[214:215]
	v_fma_f64 v[4:5], v[186:187], v[130:131], -v[4:5]
	v_fmac_f64_e32 v[204:205], v[196:197], v[216:217]
	v_add_f64 v[2:3], v[2:3], v[4:5]
	v_mul_f64 v[4:5], v[192:193], v[218:219]
	v_add_f64 v[238:239], v[202:203], v[204:205]
	ds_read_b128 v[202:205], v100 offset:704
	v_fma_f64 v[4:5], v[190:191], v[220:221], -v[4:5]
	v_add_f64 v[2:3], v[2:3], v[4:5]
	v_mul_f64 v[4:5], v[196:197], v[214:215]
	v_fma_f64 v[4:5], v[194:195], v[216:217], -v[4:5]
	v_add_f64 v[2:3], v[2:3], v[4:5]
	s_waitcnt vmcnt(10) lgkmcnt(1)
	v_mul_f64 v[4:5], v[200:201], v[226:227]
	v_mul_f64 v[240:241], v[198:199], v[226:227]
	s_waitcnt vmcnt(8)
	v_fma_f64 v[4:5], v[198:199], v[228:229], -v[4:5]
	v_fmac_f64_e32 v[240:241], v[200:201], v[228:229]
	v_add_f64 v[2:3], v[2:3], v[4:5]
	s_waitcnt lgkmcnt(0)
	v_mul_f64 v[4:5], v[204:205], v[222:223]
	v_add_f64 v[100:101], v[238:239], v[240:241]
	v_mul_f64 v[238:239], v[202:203], v[222:223]
	v_fma_f64 v[4:5], v[202:203], v[224:225], -v[4:5]
	v_fmac_f64_e32 v[238:239], v[204:205], v[224:225]
	v_add_f64 v[2:3], v[2:3], v[4:5]
	s_waitcnt vmcnt(6)
	v_mul_f64 v[4:5], v[208:209], v[230:231]
	v_add_f64 v[100:101], v[100:101], v[238:239]
	v_mul_f64 v[238:239], v[206:207], v[230:231]
	s_waitcnt vmcnt(4)
	v_fma_f64 v[4:5], v[206:207], v[232:233], -v[4:5]
	v_fmac_f64_e32 v[238:239], v[208:209], v[232:233]
	v_add_f64 v[2:3], v[2:3], v[4:5]
	v_add_f64 v[100:101], v[100:101], v[238:239]
	s_waitcnt vmcnt(2)
	v_add_f64 v[2:3], v[234:235], -v[2:3]
	s_waitcnt vmcnt(0)
	v_add_f64 v[4:5], v[236:237], -v[100:101]
	buffer_store_dword v3, off, s[0:3], 0 offset:36
	buffer_store_dword v2, off, s[0:3], 0 offset:32
	;; [unrolled: 1-line block ×4, first 2 shown]
	s_and_saveexec_b64 s[6:7], vcc
	s_cbranch_execz .LBB22_149
; %bb.148:
	buffer_load_dword v2, v151, s[0:3], 0 offen
	buffer_load_dword v3, v151, s[0:3], 0 offen offset:4
	buffer_load_dword v4, v151, s[0:3], 0 offen offset:8
	;; [unrolled: 1-line block ×3, first 2 shown]
	v_mov_b32_e32 v6, 0
	buffer_store_dword v6, off, s[0:3], 0 offset:16
	buffer_store_dword v6, off, s[0:3], 0 offset:20
	;; [unrolled: 1-line block ×4, first 2 shown]
	s_waitcnt vmcnt(4)
	ds_write_b128 v112, v[2:5]
.LBB22_149:
	s_or_b64 exec, exec, s[6:7]
	s_waitcnt lgkmcnt(0)
	; wave barrier
	s_waitcnt lgkmcnt(0)
	buffer_load_dword v4, off, s[0:3], 0 offset:16
	buffer_load_dword v5, off, s[0:3], 0 offset:20
	;; [unrolled: 1-line block ×88, first 2 shown]
	v_mov_b32_e32 v154, 0
	ds_read_b128 v[114:117], v154 offset:400
	ds_read_b128 v[118:121], v154 offset:416
	;; [unrolled: 1-line block ×5, first 2 shown]
	v_cmp_ne_u32_e32 vcc, 0, v153
	s_waitcnt vmcnt(62) lgkmcnt(3)
	v_mul_f64 v[158:159], v[118:119], v[14:15]
	v_mul_f64 v[156:157], v[114:115], v[12:13]
	v_fmac_f64_e32 v[156:157], v[116:117], v[6:7]
	v_add_f64 v[156:157], v[156:157], 0
	v_fmac_f64_e32 v[158:159], v[120:121], v[8:9]
	v_add_f64 v[156:157], v[156:157], v[158:159]
	s_waitcnt lgkmcnt(2)
	v_mul_f64 v[158:159], v[122:123], v[16:17]
	v_fmac_f64_e32 v[158:159], v[124:125], v[10:11]
	v_add_f64 v[160:161], v[156:157], v[158:159]
	ds_read_b128 v[156:159], v154 offset:464
	s_waitcnt lgkmcnt(2)
	v_mul_f64 v[162:163], v[126:127], v[22:23]
	v_fmac_f64_e32 v[162:163], v[128:129], v[24:25]
	v_add_f64 v[164:165], v[160:161], v[162:163]
	ds_read_b128 v[160:163], v154 offset:480
	;; [unrolled: 5-line block ×3, first 2 shown]
	s_waitcnt vmcnt(58) lgkmcnt(1)
	v_mul_f64 v[170:171], v[160:161], v[76:77]
	s_waitcnt vmcnt(56)
	v_fmac_f64_e32 v[170:171], v[162:163], v[78:79]
	v_add_f64 v[172:173], v[168:169], v[170:171]
	ds_read_b128 v[168:171], v154 offset:512
	s_waitcnt lgkmcnt(1)
	v_mul_f64 v[174:175], v[164:165], v[26:27]
	v_fmac_f64_e32 v[174:175], v[166:167], v[28:29]
	v_add_f64 v[176:177], v[172:173], v[174:175]
	ds_read_b128 v[172:175], v154 offset:528
	s_waitcnt vmcnt(50) lgkmcnt(1)
	v_mul_f64 v[178:179], v[168:169], v[84:85]
	s_waitcnt vmcnt(48)
	v_fmac_f64_e32 v[178:179], v[170:171], v[86:87]
	v_add_f64 v[180:181], v[176:177], v[178:179]
	ds_read_b128 v[176:179], v154 offset:544
	s_waitcnt lgkmcnt(1)
	v_mul_f64 v[182:183], v[172:173], v[80:81]
	v_mul_f64 v[12:13], v[116:117], v[12:13]
	v_fmac_f64_e32 v[182:183], v[174:175], v[82:83]
	v_fma_f64 v[6:7], v[114:115], v[6:7], -v[12:13]
	v_mul_f64 v[12:13], v[120:121], v[14:15]
	v_add_f64 v[184:185], v[180:181], v[182:183]
	ds_read_b128 v[180:183], v154 offset:560
	s_waitcnt vmcnt(42) lgkmcnt(1)
	v_mul_f64 v[186:187], v[176:177], v[92:93]
	v_add_f64 v[6:7], v[6:7], 0
	v_fma_f64 v[8:9], v[118:119], v[8:9], -v[12:13]
	s_waitcnt vmcnt(40)
	v_fmac_f64_e32 v[186:187], v[178:179], v[94:95]
	v_add_f64 v[6:7], v[6:7], v[8:9]
	v_mul_f64 v[8:9], v[124:125], v[16:17]
	v_add_f64 v[188:189], v[184:185], v[186:187]
	ds_read_b128 v[184:187], v154 offset:576
	v_fma_f64 v[8:9], v[122:123], v[10:11], -v[8:9]
	v_add_f64 v[6:7], v[6:7], v[8:9]
	v_mul_f64 v[8:9], v[128:129], v[22:23]
	v_fma_f64 v[8:9], v[126:127], v[24:25], -v[8:9]
	s_waitcnt lgkmcnt(1)
	v_mul_f64 v[190:191], v[180:181], v[88:89]
	v_add_f64 v[6:7], v[6:7], v[8:9]
	v_mul_f64 v[8:9], v[158:159], v[18:19]
	v_fmac_f64_e32 v[190:191], v[182:183], v[90:91]
	v_fma_f64 v[8:9], v[156:157], v[20:21], -v[8:9]
	v_add_f64 v[192:193], v[188:189], v[190:191]
	ds_read_b128 v[188:191], v154 offset:592
	s_waitcnt vmcnt(34) lgkmcnt(1)
	v_mul_f64 v[194:195], v[184:185], v[100:101]
	v_add_f64 v[6:7], v[6:7], v[8:9]
	v_mul_f64 v[8:9], v[162:163], v[76:77]
	s_waitcnt vmcnt(32)
	v_fmac_f64_e32 v[194:195], v[186:187], v[102:103]
	v_fma_f64 v[8:9], v[160:161], v[78:79], -v[8:9]
	v_add_f64 v[196:197], v[192:193], v[194:195]
	ds_read_b128 v[192:195], v154 offset:608
	v_add_f64 v[6:7], v[6:7], v[8:9]
	v_mul_f64 v[8:9], v[166:167], v[26:27]
	v_fma_f64 v[8:9], v[164:165], v[28:29], -v[8:9]
	v_add_f64 v[6:7], v[6:7], v[8:9]
	v_mul_f64 v[8:9], v[170:171], v[84:85]
	s_waitcnt lgkmcnt(1)
	v_mul_f64 v[198:199], v[188:189], v[96:97]
	v_fma_f64 v[8:9], v[168:169], v[86:87], -v[8:9]
	v_fmac_f64_e32 v[198:199], v[190:191], v[98:99]
	v_add_f64 v[6:7], v[6:7], v[8:9]
	v_mul_f64 v[8:9], v[174:175], v[80:81]
	v_add_f64 v[200:201], v[196:197], v[198:199]
	ds_read_b128 v[196:199], v154 offset:624
	s_waitcnt vmcnt(26) lgkmcnt(1)
	v_mul_f64 v[202:203], v[192:193], v[108:109]
	v_fma_f64 v[8:9], v[172:173], v[82:83], -v[8:9]
	s_waitcnt vmcnt(24)
	v_fmac_f64_e32 v[202:203], v[194:195], v[110:111]
	v_add_f64 v[6:7], v[6:7], v[8:9]
	v_mul_f64 v[8:9], v[178:179], v[92:93]
	v_add_f64 v[204:205], v[200:201], v[202:203]
	ds_read_b128 v[200:203], v154 offset:640
	v_fma_f64 v[8:9], v[176:177], v[94:95], -v[8:9]
	v_add_f64 v[6:7], v[6:7], v[8:9]
	v_mul_f64 v[8:9], v[182:183], v[88:89]
	v_fma_f64 v[8:9], v[180:181], v[90:91], -v[8:9]
	s_waitcnt lgkmcnt(1)
	v_mul_f64 v[206:207], v[196:197], v[104:105]
	v_add_f64 v[6:7], v[6:7], v[8:9]
	v_mul_f64 v[8:9], v[186:187], v[100:101]
	v_fmac_f64_e32 v[206:207], v[198:199], v[106:107]
	v_fma_f64 v[8:9], v[184:185], v[102:103], -v[8:9]
	v_add_f64 v[208:209], v[204:205], v[206:207]
	ds_read_b128 v[204:207], v154 offset:656
	s_waitcnt vmcnt(18) lgkmcnt(1)
	v_mul_f64 v[210:211], v[200:201], v[226:227]
	v_add_f64 v[6:7], v[6:7], v[8:9]
	v_mul_f64 v[8:9], v[190:191], v[96:97]
	s_waitcnt vmcnt(16)
	v_fmac_f64_e32 v[210:211], v[202:203], v[228:229]
	v_fma_f64 v[8:9], v[188:189], v[98:99], -v[8:9]
	v_add_f64 v[212:213], v[208:209], v[210:211]
	ds_read_b128 v[208:211], v154 offset:672
	v_add_f64 v[6:7], v[6:7], v[8:9]
	v_mul_f64 v[8:9], v[194:195], v[108:109]
	v_fma_f64 v[8:9], v[192:193], v[110:111], -v[8:9]
	v_add_f64 v[6:7], v[6:7], v[8:9]
	v_mul_f64 v[8:9], v[198:199], v[104:105]
	s_waitcnt lgkmcnt(1)
	v_mul_f64 v[214:215], v[204:205], v[130:131]
	v_fma_f64 v[8:9], v[196:197], v[106:107], -v[8:9]
	v_fmac_f64_e32 v[214:215], v[206:207], v[224:225]
	v_add_f64 v[6:7], v[6:7], v[8:9]
	v_mul_f64 v[8:9], v[202:203], v[226:227]
	v_add_f64 v[216:217], v[212:213], v[214:215]
	ds_read_b128 v[212:215], v154 offset:688
	s_waitcnt vmcnt(10) lgkmcnt(1)
	v_mul_f64 v[218:219], v[208:209], v[234:235]
	v_fma_f64 v[8:9], v[200:201], v[228:229], -v[8:9]
	s_waitcnt vmcnt(8)
	v_fmac_f64_e32 v[218:219], v[210:211], v[236:237]
	v_add_f64 v[6:7], v[6:7], v[8:9]
	v_mul_f64 v[8:9], v[206:207], v[130:131]
	v_add_f64 v[246:247], v[216:217], v[218:219]
	ds_read_b128 v[216:219], v154 offset:704
	v_fma_f64 v[8:9], v[204:205], v[224:225], -v[8:9]
	v_add_f64 v[6:7], v[6:7], v[8:9]
	v_mul_f64 v[8:9], v[210:211], v[234:235]
	v_fma_f64 v[8:9], v[208:209], v[236:237], -v[8:9]
	v_add_f64 v[6:7], v[6:7], v[8:9]
	s_waitcnt lgkmcnt(1)
	v_mul_f64 v[8:9], v[214:215], v[230:231]
	v_mul_f64 v[248:249], v[212:213], v[230:231]
	v_fma_f64 v[8:9], v[212:213], v[232:233], -v[8:9]
	v_fmac_f64_e32 v[248:249], v[214:215], v[232:233]
	v_add_f64 v[6:7], v[6:7], v[8:9]
	s_waitcnt vmcnt(3) lgkmcnt(0)
	v_mul_f64 v[8:9], v[218:219], v[242:243]
	v_add_f64 v[246:247], v[246:247], v[248:249]
	v_mul_f64 v[248:249], v[216:217], v[242:243]
	s_waitcnt vmcnt(1)
	v_fma_f64 v[8:9], v[216:217], v[244:245], -v[8:9]
	v_fmac_f64_e32 v[248:249], v[218:219], v[244:245]
	v_add_f64 v[6:7], v[6:7], v[8:9]
	s_waitcnt vmcnt(0)
	v_mul_f64 v[8:9], v[222:223], v[238:239]
	v_add_f64 v[246:247], v[246:247], v[248:249]
	v_mul_f64 v[248:249], v[220:221], v[238:239]
	v_fma_f64 v[8:9], v[220:221], v[240:241], -v[8:9]
	v_fmac_f64_e32 v[248:249], v[222:223], v[240:241]
	v_add_f64 v[6:7], v[6:7], v[8:9]
	v_add_f64 v[246:247], v[246:247], v[248:249]
	v_add_f64 v[4:5], v[4:5], -v[6:7]
	v_add_f64 v[2:3], v[2:3], -v[246:247]
	buffer_store_dword v5, off, s[0:3], 0 offset:20
	buffer_store_dword v4, off, s[0:3], 0 offset:16
	;; [unrolled: 1-line block ×4, first 2 shown]
	s_and_saveexec_b64 s[6:7], vcc
	s_cbranch_execz .LBB22_151
; %bb.150:
	buffer_load_dword v2, off, s[0:3], 0
	buffer_load_dword v3, off, s[0:3], 0 offset:4
	buffer_load_dword v4, off, s[0:3], 0 offset:8
	;; [unrolled: 1-line block ×3, first 2 shown]
	s_nop 0
	buffer_store_dword v154, off, s[0:3], 0
	buffer_store_dword v154, off, s[0:3], 0 offset:4
	buffer_store_dword v154, off, s[0:3], 0 offset:8
	;; [unrolled: 1-line block ×3, first 2 shown]
	s_waitcnt vmcnt(4)
	ds_write_b128 v112, v[2:5]
.LBB22_151:
	s_or_b64 exec, exec, s[6:7]
	s_waitcnt lgkmcnt(0)
	; wave barrier
	s_waitcnt lgkmcnt(0)
	ds_read_b128 v[14:17], v154 offset:384
	ds_read_b128 v[10:13], v154 offset:400
	;; [unrolled: 1-line block ×4, first 2 shown]
	buffer_load_dword v20, off, s[0:3], 0
	buffer_load_dword v21, off, s[0:3], 0 offset:4
	buffer_load_dword v18, off, s[0:3], 0 offset:8
	;; [unrolled: 1-line block ×91, first 2 shown]
	s_waitcnt vmcnt(62) lgkmcnt(3)
	v_mul_f64 v[156:157], v[14:15], v[28:29]
	v_fmac_f64_e32 v[156:157], v[16:17], v[22:23]
	s_waitcnt lgkmcnt(2)
	v_mul_f64 v[158:159], v[10:11], v[76:77]
	v_add_f64 v[156:157], v[156:157], 0
	v_fmac_f64_e32 v[158:159], v[12:13], v[24:25]
	v_add_f64 v[156:157], v[156:157], v[158:159]
	s_waitcnt lgkmcnt(1)
	v_mul_f64 v[158:159], v[6:7], v[78:79]
	v_fmac_f64_e32 v[158:159], v[8:9], v[26:27]
	v_add_f64 v[160:161], v[156:157], v[158:159]
	ds_read_b128 v[156:159], v154 offset:448
	v_mul_f64 v[16:17], v[16:17], v[28:29]
	v_fma_f64 v[14:15], v[14:15], v[22:23], -v[16:17]
	s_waitcnt lgkmcnt(1)
	v_mul_f64 v[162:163], v[2:3], v[84:85]
	v_mul_f64 v[12:13], v[12:13], v[76:77]
	v_fmac_f64_e32 v[162:163], v[4:5], v[86:87]
	v_add_f64 v[164:165], v[160:161], v[162:163]
	ds_read_b128 v[160:163], v154 offset:464
	s_waitcnt lgkmcnt(1)
	v_mul_f64 v[166:167], v[156:157], v[80:81]
	v_fmac_f64_e32 v[166:167], v[158:159], v[82:83]
	v_add_f64 v[168:169], v[164:165], v[166:167]
	ds_read_b128 v[164:167], v154 offset:480
	s_waitcnt lgkmcnt(1)
	v_mul_f64 v[170:171], v[160:161], v[92:93]
	s_waitcnt vmcnt(60)
	v_fmac_f64_e32 v[170:171], v[162:163], v[94:95]
	v_add_f64 v[172:173], v[168:169], v[170:171]
	ds_read_b128 v[168:171], v154 offset:496
	s_waitcnt lgkmcnt(1)
	v_mul_f64 v[174:175], v[164:165], v[88:89]
	v_fmac_f64_e32 v[174:175], v[166:167], v[90:91]
	v_add_f64 v[176:177], v[172:173], v[174:175]
	ds_read_b128 v[172:175], v154 offset:512
	s_waitcnt vmcnt(54) lgkmcnt(1)
	v_mul_f64 v[178:179], v[168:169], v[100:101]
	s_waitcnt vmcnt(52)
	v_fmac_f64_e32 v[178:179], v[170:171], v[102:103]
	v_add_f64 v[180:181], v[176:177], v[178:179]
	ds_read_b128 v[176:179], v154 offset:528
	s_waitcnt lgkmcnt(1)
	v_mul_f64 v[182:183], v[172:173], v[96:97]
	v_fmac_f64_e32 v[182:183], v[174:175], v[98:99]
	v_add_f64 v[184:185], v[180:181], v[182:183]
	ds_read_b128 v[180:183], v154 offset:544
	s_waitcnt vmcnt(46) lgkmcnt(1)
	v_mul_f64 v[186:187], v[176:177], v[108:109]
	s_waitcnt vmcnt(44)
	v_fmac_f64_e32 v[186:187], v[178:179], v[110:111]
	v_add_f64 v[188:189], v[184:185], v[186:187]
	ds_read_b128 v[184:187], v154 offset:560
	s_waitcnt lgkmcnt(1)
	v_mul_f64 v[190:191], v[180:181], v[104:105]
	v_fmac_f64_e32 v[190:191], v[182:183], v[106:107]
	v_add_f64 v[14:15], v[14:15], 0
	v_fma_f64 v[10:11], v[10:11], v[24:25], -v[12:13]
	v_mul_f64 v[8:9], v[8:9], v[78:79]
	v_add_f64 v[192:193], v[188:189], v[190:191]
	ds_read_b128 v[188:191], v154 offset:576
	v_add_f64 v[10:11], v[14:15], v[10:11]
	v_fma_f64 v[6:7], v[6:7], v[26:27], -v[8:9]
	v_mul_f64 v[4:5], v[4:5], v[84:85]
	v_add_f64 v[6:7], v[10:11], v[6:7]
	v_fma_f64 v[2:3], v[2:3], v[86:87], -v[4:5]
	v_mul_f64 v[4:5], v[158:159], v[80:81]
	v_add_f64 v[2:3], v[6:7], v[2:3]
	v_fma_f64 v[4:5], v[156:157], v[82:83], -v[4:5]
	s_waitcnt vmcnt(38) lgkmcnt(1)
	v_mul_f64 v[194:195], v[184:185], v[116:117]
	v_add_f64 v[2:3], v[2:3], v[4:5]
	v_mul_f64 v[4:5], v[162:163], v[92:93]
	s_waitcnt vmcnt(36)
	v_fmac_f64_e32 v[194:195], v[186:187], v[118:119]
	v_fma_f64 v[4:5], v[160:161], v[94:95], -v[4:5]
	v_add_f64 v[196:197], v[192:193], v[194:195]
	ds_read_b128 v[192:195], v154 offset:592
	s_waitcnt lgkmcnt(1)
	v_mul_f64 v[198:199], v[188:189], v[112:113]
	v_add_f64 v[2:3], v[2:3], v[4:5]
	v_mul_f64 v[4:5], v[166:167], v[88:89]
	v_fmac_f64_e32 v[198:199], v[190:191], v[114:115]
	v_fma_f64 v[4:5], v[164:165], v[90:91], -v[4:5]
	v_add_f64 v[200:201], v[196:197], v[198:199]
	ds_read_b128 v[196:199], v154 offset:608
	v_add_f64 v[2:3], v[2:3], v[4:5]
	v_mul_f64 v[4:5], v[170:171], v[100:101]
	v_fma_f64 v[4:5], v[168:169], v[102:103], -v[4:5]
	v_add_f64 v[2:3], v[2:3], v[4:5]
	v_mul_f64 v[4:5], v[174:175], v[96:97]
	s_waitcnt vmcnt(30) lgkmcnt(1)
	v_mul_f64 v[202:203], v[192:193], v[124:125]
	v_fma_f64 v[4:5], v[172:173], v[98:99], -v[4:5]
	s_waitcnt vmcnt(28)
	v_fmac_f64_e32 v[202:203], v[194:195], v[126:127]
	v_add_f64 v[2:3], v[2:3], v[4:5]
	v_mul_f64 v[4:5], v[178:179], v[108:109]
	v_add_f64 v[204:205], v[200:201], v[202:203]
	ds_read_b128 v[200:203], v154 offset:624
	s_waitcnt lgkmcnt(1)
	v_mul_f64 v[206:207], v[196:197], v[120:121]
	v_fma_f64 v[4:5], v[176:177], v[110:111], -v[4:5]
	v_fmac_f64_e32 v[206:207], v[198:199], v[122:123]
	v_add_f64 v[2:3], v[2:3], v[4:5]
	v_mul_f64 v[4:5], v[182:183], v[104:105]
	v_add_f64 v[208:209], v[204:205], v[206:207]
	ds_read_b128 v[204:207], v154 offset:640
	v_fma_f64 v[4:5], v[180:181], v[106:107], -v[4:5]
	v_add_f64 v[2:3], v[2:3], v[4:5]
	v_mul_f64 v[4:5], v[186:187], v[116:117]
	v_fma_f64 v[4:5], v[184:185], v[118:119], -v[4:5]
	s_waitcnt vmcnt(22) lgkmcnt(1)
	v_mul_f64 v[210:211], v[200:201], v[228:229]
	v_add_f64 v[2:3], v[2:3], v[4:5]
	v_mul_f64 v[4:5], v[190:191], v[112:113]
	s_waitcnt vmcnt(20)
	v_fmac_f64_e32 v[210:211], v[202:203], v[230:231]
	v_fma_f64 v[4:5], v[188:189], v[114:115], -v[4:5]
	v_add_f64 v[212:213], v[208:209], v[210:211]
	ds_read_b128 v[208:211], v154 offset:656
	s_waitcnt lgkmcnt(1)
	v_mul_f64 v[214:215], v[204:205], v[128:129]
	v_add_f64 v[2:3], v[2:3], v[4:5]
	v_mul_f64 v[4:5], v[194:195], v[124:125]
	v_fmac_f64_e32 v[214:215], v[206:207], v[130:131]
	v_fma_f64 v[4:5], v[192:193], v[126:127], -v[4:5]
	v_add_f64 v[216:217], v[212:213], v[214:215]
	ds_read_b128 v[212:215], v154 offset:672
	v_add_f64 v[2:3], v[2:3], v[4:5]
	v_mul_f64 v[4:5], v[198:199], v[120:121]
	v_fma_f64 v[4:5], v[196:197], v[122:123], -v[4:5]
	v_add_f64 v[2:3], v[2:3], v[4:5]
	v_mul_f64 v[4:5], v[202:203], v[228:229]
	s_waitcnt vmcnt(14) lgkmcnt(1)
	v_mul_f64 v[218:219], v[208:209], v[236:237]
	v_fma_f64 v[4:5], v[200:201], v[230:231], -v[4:5]
	s_waitcnt vmcnt(12)
	v_fmac_f64_e32 v[218:219], v[210:211], v[238:239]
	v_add_f64 v[2:3], v[2:3], v[4:5]
	v_mul_f64 v[4:5], v[206:207], v[128:129]
	v_add_f64 v[220:221], v[216:217], v[218:219]
	ds_read_b128 v[216:219], v154 offset:688
	s_waitcnt lgkmcnt(1)
	v_mul_f64 v[222:223], v[212:213], v[232:233]
	v_fma_f64 v[4:5], v[204:205], v[130:131], -v[4:5]
	v_fmac_f64_e32 v[222:223], v[214:215], v[234:235]
	v_add_f64 v[2:3], v[2:3], v[4:5]
	v_mul_f64 v[4:5], v[210:211], v[236:237]
	v_add_f64 v[252:253], v[220:221], v[222:223]
	ds_read_b128 v[220:223], v154 offset:704
	ds_read_b128 v[224:227], v154 offset:720
	v_fma_f64 v[4:5], v[208:209], v[238:239], -v[4:5]
	v_add_f64 v[2:3], v[2:3], v[4:5]
	v_mul_f64 v[4:5], v[214:215], v[232:233]
	v_fma_f64 v[4:5], v[212:213], v[234:235], -v[4:5]
	v_add_f64 v[2:3], v[2:3], v[4:5]
	s_waitcnt vmcnt(6) lgkmcnt(2)
	v_mul_f64 v[4:5], v[218:219], v[244:245]
	v_mul_f64 v[254:255], v[216:217], v[244:245]
	s_waitcnt vmcnt(4)
	v_fma_f64 v[4:5], v[216:217], v[246:247], -v[4:5]
	v_fmac_f64_e32 v[254:255], v[218:219], v[246:247]
	v_add_f64 v[2:3], v[2:3], v[4:5]
	s_waitcnt lgkmcnt(1)
	v_mul_f64 v[4:5], v[222:223], v[240:241]
	v_add_f64 v[154:155], v[252:253], v[254:255]
	v_mul_f64 v[252:253], v[220:221], v[240:241]
	v_fma_f64 v[4:5], v[220:221], v[242:243], -v[4:5]
	v_fmac_f64_e32 v[252:253], v[222:223], v[242:243]
	v_add_f64 v[2:3], v[2:3], v[4:5]
	s_waitcnt vmcnt(2) lgkmcnt(0)
	v_mul_f64 v[4:5], v[226:227], v[248:249]
	v_add_f64 v[154:155], v[154:155], v[252:253]
	v_mul_f64 v[252:253], v[224:225], v[248:249]
	s_waitcnt vmcnt(0)
	v_fma_f64 v[4:5], v[224:225], v[250:251], -v[4:5]
	v_fmac_f64_e32 v[252:253], v[226:227], v[250:251]
	v_add_f64 v[2:3], v[2:3], v[4:5]
	v_add_f64 v[154:155], v[154:155], v[252:253]
	v_add_f64 v[2:3], v[20:21], -v[2:3]
	s_and_b64 vcc, exec, s[26:27]
	v_add_f64 v[4:5], v[18:19], -v[154:155]
	buffer_store_dword v3, off, s[0:3], 0 offset:4
	buffer_store_dword v2, off, s[0:3], 0
	buffer_store_dword v5, off, s[0:3], 0 offset:12
	buffer_store_dword v4, off, s[0:3], 0 offset:8
	s_cbranch_vccz .LBB22_197
; %bb.152:
	v_pk_mov_b32 v[2:3], s[24:25], s[24:25] op_sel:[0,1]
	flat_load_dword v2, v[2:3] offset:84
	s_load_dwordx2 s[4:5], s[4:5], 0x4
	v_bfe_u32 v4, v0, 10, 10
	v_bfe_u32 v0, v0, 20, 10
	s_waitcnt lgkmcnt(0)
	s_lshr_b32 s4, s4, 16
	s_mul_i32 s4, s4, s5
	v_mul_u32_u24_e32 v3, s4, v153
	v_mul_u32_u24_e32 v4, s5, v4
	v_add3_u32 v0, v3, v4, v0
	v_mov_b32_e32 v3, 0x2e8
	v_lshl_add_u32 v0, v0, 4, v3
	s_waitcnt vmcnt(0)
	v_add_u32_e32 v2, -1, v2
	v_cmp_ne_u32_e32 vcc, 21, v2
	s_and_saveexec_b64 s[4:5], vcc
	s_cbranch_execz .LBB22_154
; %bb.153:
	v_mov_b32_e32 v3, 0
	v_lshl_add_u32 v6, v2, 4, v3
	buffer_load_dword v2, v132, s[0:3], 0 offen
	buffer_load_dword v3, v132, s[0:3], 0 offen offset:4
	buffer_load_dword v4, v132, s[0:3], 0 offen offset:8
	buffer_load_dword v5, v132, s[0:3], 0 offen offset:12
	buffer_load_dword v7, v6, s[0:3], 0 offen
	buffer_load_dword v8, v6, s[0:3], 0 offen offset:4
	buffer_load_dword v9, v6, s[0:3], 0 offen offset:8
	buffer_load_dword v10, v6, s[0:3], 0 offen offset:12
	s_waitcnt vmcnt(4)
	ds_write2_b64 v0, v[2:3], v[4:5] offset1:1
	s_waitcnt vmcnt(3)
	buffer_store_dword v7, v132, s[0:3], 0 offen
	s_waitcnt vmcnt(3)
	buffer_store_dword v8, v132, s[0:3], 0 offen offset:4
	s_waitcnt vmcnt(3)
	buffer_store_dword v9, v132, s[0:3], 0 offen offset:8
	s_waitcnt vmcnt(3)
	buffer_store_dword v10, v132, s[0:3], 0 offen offset:12
	buffer_store_dword v5, v6, s[0:3], 0 offen offset:12
	buffer_store_dword v4, v6, s[0:3], 0 offen offset:8
	buffer_store_dword v3, v6, s[0:3], 0 offen offset:4
	buffer_store_dword v2, v6, s[0:3], 0 offen
.LBB22_154:
	s_or_b64 exec, exec, s[4:5]
	v_pk_mov_b32 v[2:3], s[24:25], s[24:25] op_sel:[0,1]
	flat_load_dword v2, v[2:3] offset:80
	s_waitcnt vmcnt(0) lgkmcnt(0)
	v_add_u32_e32 v2, -1, v2
	v_cmp_ne_u32_e32 vcc, 20, v2
	s_and_saveexec_b64 s[4:5], vcc
	s_cbranch_execz .LBB22_156
; %bb.155:
	v_mov_b32_e32 v3, 0
	v_lshl_add_u32 v6, v2, 4, v3
	buffer_load_dword v2, v133, s[0:3], 0 offen
	buffer_load_dword v3, v133, s[0:3], 0 offen offset:4
	buffer_load_dword v4, v133, s[0:3], 0 offen offset:8
	buffer_load_dword v5, v133, s[0:3], 0 offen offset:12
	buffer_load_dword v7, v6, s[0:3], 0 offen
	buffer_load_dword v8, v6, s[0:3], 0 offen offset:4
	buffer_load_dword v9, v6, s[0:3], 0 offen offset:8
	buffer_load_dword v10, v6, s[0:3], 0 offen offset:12
	s_waitcnt vmcnt(4)
	ds_write2_b64 v0, v[2:3], v[4:5] offset1:1
	s_waitcnt vmcnt(3)
	buffer_store_dword v7, v133, s[0:3], 0 offen
	s_waitcnt vmcnt(3)
	buffer_store_dword v8, v133, s[0:3], 0 offen offset:4
	s_waitcnt vmcnt(3)
	buffer_store_dword v9, v133, s[0:3], 0 offen offset:8
	s_waitcnt vmcnt(3)
	buffer_store_dword v10, v133, s[0:3], 0 offen offset:12
	buffer_store_dword v5, v6, s[0:3], 0 offen offset:12
	buffer_store_dword v4, v6, s[0:3], 0 offen offset:8
	buffer_store_dword v3, v6, s[0:3], 0 offen offset:4
	buffer_store_dword v2, v6, s[0:3], 0 offen
.LBB22_156:
	s_or_b64 exec, exec, s[4:5]
	v_pk_mov_b32 v[2:3], s[24:25], s[24:25] op_sel:[0,1]
	flat_load_dword v2, v[2:3] offset:76
	s_waitcnt vmcnt(0) lgkmcnt(0)
	;; [unrolled: 34-line block ×20, first 2 shown]
	v_add_u32_e32 v2, -1, v2
	v_cmp_ne_u32_e32 vcc, 1, v2
	s_and_saveexec_b64 s[4:5], vcc
	s_cbranch_execz .LBB22_194
; %bb.193:
	v_mov_b32_e32 v3, 0
	v_lshl_add_u32 v6, v2, 4, v3
	buffer_load_dword v2, v151, s[0:3], 0 offen
	buffer_load_dword v3, v151, s[0:3], 0 offen offset:4
	buffer_load_dword v4, v151, s[0:3], 0 offen offset:8
	;; [unrolled: 1-line block ×3, first 2 shown]
	buffer_load_dword v7, v6, s[0:3], 0 offen
	buffer_load_dword v8, v6, s[0:3], 0 offen offset:4
	buffer_load_dword v9, v6, s[0:3], 0 offen offset:8
	;; [unrolled: 1-line block ×3, first 2 shown]
	s_waitcnt vmcnt(4)
	ds_write2_b64 v0, v[2:3], v[4:5] offset1:1
	s_waitcnt vmcnt(3)
	buffer_store_dword v7, v151, s[0:3], 0 offen
	s_waitcnt vmcnt(3)
	buffer_store_dword v8, v151, s[0:3], 0 offen offset:4
	s_waitcnt vmcnt(3)
	buffer_store_dword v9, v151, s[0:3], 0 offen offset:8
	;; [unrolled: 2-line block ×3, first 2 shown]
	buffer_store_dword v5, v6, s[0:3], 0 offen offset:12
	buffer_store_dword v4, v6, s[0:3], 0 offen offset:8
	;; [unrolled: 1-line block ×3, first 2 shown]
	buffer_store_dword v2, v6, s[0:3], 0 offen
.LBB22_194:
	s_or_b64 exec, exec, s[4:5]
	v_pk_mov_b32 v[2:3], s[24:25], s[24:25] op_sel:[0,1]
	flat_load_dword v2, v[2:3]
	s_waitcnt vmcnt(0) lgkmcnt(0)
	v_add_u32_e32 v2, -1, v2
	v_cmp_ne_u32_e32 vcc, 0, v2
	s_and_saveexec_b64 s[4:5], vcc
	s_cbranch_execz .LBB22_196
; %bb.195:
	v_mov_b32_e32 v3, 0
	v_lshl_add_u32 v6, v2, 4, v3
	buffer_load_dword v2, off, s[0:3], 0
	buffer_load_dword v3, off, s[0:3], 0 offset:4
	buffer_load_dword v4, off, s[0:3], 0 offset:8
	;; [unrolled: 1-line block ×3, first 2 shown]
	buffer_load_dword v7, v6, s[0:3], 0 offen
	buffer_load_dword v8, v6, s[0:3], 0 offen offset:4
	buffer_load_dword v9, v6, s[0:3], 0 offen offset:8
	;; [unrolled: 1-line block ×3, first 2 shown]
	s_waitcnt vmcnt(4)
	ds_write2_b64 v0, v[2:3], v[4:5] offset1:1
	s_waitcnt vmcnt(3)
	buffer_store_dword v7, off, s[0:3], 0
	s_waitcnt vmcnt(3)
	buffer_store_dword v8, off, s[0:3], 0 offset:4
	s_waitcnt vmcnt(3)
	buffer_store_dword v9, off, s[0:3], 0 offset:8
	;; [unrolled: 2-line block ×3, first 2 shown]
	buffer_store_dword v5, v6, s[0:3], 0 offen offset:12
	buffer_store_dword v4, v6, s[0:3], 0 offen offset:8
	;; [unrolled: 1-line block ×3, first 2 shown]
	buffer_store_dword v2, v6, s[0:3], 0 offen
.LBB22_196:
	s_or_b64 exec, exec, s[4:5]
.LBB22_197:
	buffer_load_dword v2, off, s[0:3], 0
	buffer_load_dword v3, off, s[0:3], 0 offset:4
	buffer_load_dword v4, off, s[0:3], 0 offset:8
	;; [unrolled: 1-line block ×3, first 2 shown]
	buffer_load_dword v6, v151, s[0:3], 0 offen
	buffer_load_dword v7, v151, s[0:3], 0 offen offset:4
	buffer_load_dword v8, v151, s[0:3], 0 offen offset:8
	;; [unrolled: 1-line block ×6, first 2 shown]
	buffer_load_dword v14, v152, s[0:3], 0 offen
	buffer_load_dword v15, v152, s[0:3], 0 offen offset:4
	buffer_load_dword v16, v152, s[0:3], 0 offen offset:8
	buffer_load_dword v10, v150, s[0:3], 0 offen
	buffer_load_dword v17, v152, s[0:3], 0 offen offset:12
	buffer_load_dword v19, v146, s[0:3], 0 offen offset:4
	;; [unrolled: 1-line block ×4, first 2 shown]
                                        ; kill: killed $vgpr151
                                        ; kill: killed $vgpr152
                                        ; kill: killed $vgpr150
	buffer_load_dword v22, v147, s[0:3], 0 offen
	buffer_load_dword v23, v147, s[0:3], 0 offen offset:4
	buffer_load_dword v24, v147, s[0:3], 0 offen offset:8
	buffer_load_dword v18, v146, s[0:3], 0 offen
	buffer_load_dword v25, v147, s[0:3], 0 offen offset:12
	buffer_load_dword v27, v149, s[0:3], 0 offen offset:4
	;; [unrolled: 1-line block ×4, first 2 shown]
	buffer_load_dword v76, v148, s[0:3], 0 offen
	buffer_load_dword v77, v148, s[0:3], 0 offen offset:4
	buffer_load_dword v78, v148, s[0:3], 0 offen offset:8
	buffer_load_dword v26, v149, s[0:3], 0 offen
	buffer_load_dword v79, v148, s[0:3], 0 offen offset:12
	buffer_load_dword v81, v144, s[0:3], 0 offen offset:4
	;; [unrolled: 1-line block ×3, first 2 shown]
                                        ; kill: killed $vgpr149
                                        ; kill: killed $vgpr147
                                        ; kill: killed $vgpr148
                                        ; kill: killed $vgpr146
	buffer_load_dword v83, v144, s[0:3], 0 offen offset:12
	buffer_load_dword v84, v142, s[0:3], 0 offen
	buffer_load_dword v85, v142, s[0:3], 0 offen offset:4
	buffer_load_dword v86, v142, s[0:3], 0 offen offset:8
	buffer_load_dword v80, v144, s[0:3], 0 offen
	buffer_load_dword v87, v142, s[0:3], 0 offen offset:12
	buffer_load_dword v89, v145, s[0:3], 0 offen offset:4
	;; [unrolled: 1-line block ×4, first 2 shown]
	buffer_load_dword v92, v143, s[0:3], 0 offen
	buffer_load_dword v93, v143, s[0:3], 0 offen offset:4
	buffer_load_dword v94, v143, s[0:3], 0 offen offset:8
	buffer_load_dword v88, v145, s[0:3], 0 offen
	buffer_load_dword v95, v143, s[0:3], 0 offen offset:12
	buffer_load_dword v97, v138, s[0:3], 0 offen offset:4
                                        ; kill: killed $vgpr144
                                        ; kill: killed $vgpr145
                                        ; kill: killed $vgpr142
                                        ; kill: killed $vgpr143
	buffer_load_dword v98, v138, s[0:3], 0 offen offset:8
	buffer_load_dword v99, v138, s[0:3], 0 offen offset:12
	buffer_load_dword v100, v140, s[0:3], 0 offen
	buffer_load_dword v101, v140, s[0:3], 0 offen offset:4
	buffer_load_dword v102, v140, s[0:3], 0 offen offset:8
	buffer_load_dword v96, v138, s[0:3], 0 offen
	buffer_load_dword v103, v140, s[0:3], 0 offen offset:12
	buffer_load_dword v105, v139, s[0:3], 0 offen offset:4
	;; [unrolled: 1-line block ×4, first 2 shown]
	buffer_load_dword v108, v141, s[0:3], 0 offen
	buffer_load_dword v109, v141, s[0:3], 0 offen offset:4
	buffer_load_dword v110, v141, s[0:3], 0 offen offset:8
	buffer_load_dword v104, v139, s[0:3], 0 offen
	buffer_load_dword v111, v141, s[0:3], 0 offen offset:12
                                        ; kill: killed $vgpr140
                                        ; kill: killed $vgpr141
                                        ; kill: killed $vgpr138
                                        ; kill: killed $vgpr139
	buffer_load_dword v113, v136, s[0:3], 0 offen offset:4
	buffer_load_dword v114, v136, s[0:3], 0 offen offset:8
	;; [unrolled: 1-line block ×3, first 2 shown]
	buffer_load_dword v116, v137, s[0:3], 0 offen
	buffer_load_dword v117, v137, s[0:3], 0 offen offset:4
	buffer_load_dword v118, v137, s[0:3], 0 offen offset:8
	buffer_load_dword v112, v136, s[0:3], 0 offen
	buffer_load_dword v119, v137, s[0:3], 0 offen offset:12
	buffer_load_dword v121, v135, s[0:3], 0 offen offset:4
	;; [unrolled: 1-line block ×4, first 2 shown]
                                        ; kill: killed $vgpr137
                                        ; kill: killed $vgpr136
	buffer_load_dword v124, v134, s[0:3], 0 offen
	buffer_load_dword v125, v134, s[0:3], 0 offen offset:4
	buffer_load_dword v126, v134, s[0:3], 0 offen offset:8
	buffer_load_dword v120, v135, s[0:3], 0 offen
	buffer_load_dword v127, v134, s[0:3], 0 offen offset:12
	buffer_load_dword v129, v133, s[0:3], 0 offen offset:4
	;; [unrolled: 1-line block ×4, first 2 shown]
	s_nop 0
	buffer_load_dword v134, v132, s[0:3], 0 offen
	buffer_load_dword v135, v132, s[0:3], 0 offen offset:4
	buffer_load_dword v136, v132, s[0:3], 0 offen offset:8
	buffer_load_dword v128, v133, s[0:3], 0 offen
	buffer_load_dword v137, v132, s[0:3], 0 offen offset:12
	buffer_load_dword v138, v1, s[0:3], 0 offen
	buffer_load_dword v139, v1, s[0:3], 0 offen offset:4
	buffer_load_dword v140, v1, s[0:3], 0 offen offset:8
	;; [unrolled: 1-line block ×3, first 2 shown]
	s_waitcnt vmcnt(62)
	global_store_dwordx4 v[30:31], v[2:5], off
	global_store_dwordx4 v[32:33], v[6:9], off
	;; [unrolled: 1-line block ×6, first 2 shown]
	s_waitcnt vmcnt(62)
	global_store_dwordx4 v[42:43], v[26:29], off
	global_store_dwordx4 v[44:45], v[76:79], off
	s_waitcnt vmcnt(61)
	global_store_dwordx4 v[46:47], v[80:83], off
	s_waitcnt vmcnt(61)
	;; [unrolled: 2-line block ×15, first 2 shown]
	global_store_dwordx4 v[74:75], v[138:141], off
	s_endpgm
	.section	.rodata,"a",@progbits
	.p2align	6, 0x0
	.amdhsa_kernel _ZN9rocsolver6v33100L18getri_kernel_smallILi23E19rocblas_complex_numIdEPS3_EEvT1_iilPiilS6_bb
		.amdhsa_group_segment_fixed_size 1768
		.amdhsa_private_segment_fixed_size 384
		.amdhsa_kernarg_size 60
		.amdhsa_user_sgpr_count 10
		.amdhsa_user_sgpr_private_segment_buffer 1
		.amdhsa_user_sgpr_dispatch_ptr 1
		.amdhsa_user_sgpr_queue_ptr 0
		.amdhsa_user_sgpr_kernarg_segment_ptr 1
		.amdhsa_user_sgpr_dispatch_id 0
		.amdhsa_user_sgpr_flat_scratch_init 1
		.amdhsa_user_sgpr_kernarg_preload_length 0
		.amdhsa_user_sgpr_kernarg_preload_offset 0
		.amdhsa_user_sgpr_private_segment_size 0
		.amdhsa_uses_dynamic_stack 0
		.amdhsa_system_sgpr_private_segment_wavefront_offset 1
		.amdhsa_system_sgpr_workgroup_id_x 1
		.amdhsa_system_sgpr_workgroup_id_y 0
		.amdhsa_system_sgpr_workgroup_id_z 0
		.amdhsa_system_sgpr_workgroup_info 0
		.amdhsa_system_vgpr_workitem_id 2
		.amdhsa_next_free_vgpr 256
		.amdhsa_next_free_sgpr 28
		.amdhsa_accum_offset 256
		.amdhsa_reserve_vcc 1
		.amdhsa_reserve_flat_scratch 1
		.amdhsa_float_round_mode_32 0
		.amdhsa_float_round_mode_16_64 0
		.amdhsa_float_denorm_mode_32 3
		.amdhsa_float_denorm_mode_16_64 3
		.amdhsa_dx10_clamp 1
		.amdhsa_ieee_mode 1
		.amdhsa_fp16_overflow 0
		.amdhsa_tg_split 0
		.amdhsa_exception_fp_ieee_invalid_op 0
		.amdhsa_exception_fp_denorm_src 0
		.amdhsa_exception_fp_ieee_div_zero 0
		.amdhsa_exception_fp_ieee_overflow 0
		.amdhsa_exception_fp_ieee_underflow 0
		.amdhsa_exception_fp_ieee_inexact 0
		.amdhsa_exception_int_div_zero 0
	.end_amdhsa_kernel
	.section	.text._ZN9rocsolver6v33100L18getri_kernel_smallILi23E19rocblas_complex_numIdEPS3_EEvT1_iilPiilS6_bb,"axG",@progbits,_ZN9rocsolver6v33100L18getri_kernel_smallILi23E19rocblas_complex_numIdEPS3_EEvT1_iilPiilS6_bb,comdat
.Lfunc_end22:
	.size	_ZN9rocsolver6v33100L18getri_kernel_smallILi23E19rocblas_complex_numIdEPS3_EEvT1_iilPiilS6_bb, .Lfunc_end22-_ZN9rocsolver6v33100L18getri_kernel_smallILi23E19rocblas_complex_numIdEPS3_EEvT1_iilPiilS6_bb
                                        ; -- End function
	.section	.AMDGPU.csdata,"",@progbits
; Kernel info:
; codeLenInByte = 42316
; NumSgprs: 34
; NumVgprs: 256
; NumAgprs: 0
; TotalNumVgprs: 256
; ScratchSize: 384
; MemoryBound: 0
; FloatMode: 240
; IeeeMode: 1
; LDSByteSize: 1768 bytes/workgroup (compile time only)
; SGPRBlocks: 4
; VGPRBlocks: 31
; NumSGPRsForWavesPerEU: 34
; NumVGPRsForWavesPerEU: 256
; AccumOffset: 256
; Occupancy: 2
; WaveLimiterHint : 1
; COMPUTE_PGM_RSRC2:SCRATCH_EN: 1
; COMPUTE_PGM_RSRC2:USER_SGPR: 10
; COMPUTE_PGM_RSRC2:TRAP_HANDLER: 0
; COMPUTE_PGM_RSRC2:TGID_X_EN: 1
; COMPUTE_PGM_RSRC2:TGID_Y_EN: 0
; COMPUTE_PGM_RSRC2:TGID_Z_EN: 0
; COMPUTE_PGM_RSRC2:TIDIG_COMP_CNT: 2
; COMPUTE_PGM_RSRC3_GFX90A:ACCUM_OFFSET: 63
; COMPUTE_PGM_RSRC3_GFX90A:TG_SPLIT: 0
	.section	.text._ZN9rocsolver6v33100L18getri_kernel_smallILi24E19rocblas_complex_numIdEPS3_EEvT1_iilPiilS6_bb,"axG",@progbits,_ZN9rocsolver6v33100L18getri_kernel_smallILi24E19rocblas_complex_numIdEPS3_EEvT1_iilPiilS6_bb,comdat
	.globl	_ZN9rocsolver6v33100L18getri_kernel_smallILi24E19rocblas_complex_numIdEPS3_EEvT1_iilPiilS6_bb ; -- Begin function _ZN9rocsolver6v33100L18getri_kernel_smallILi24E19rocblas_complex_numIdEPS3_EEvT1_iilPiilS6_bb
	.p2align	8
	.type	_ZN9rocsolver6v33100L18getri_kernel_smallILi24E19rocblas_complex_numIdEPS3_EEvT1_iilPiilS6_bb,@function
_ZN9rocsolver6v33100L18getri_kernel_smallILi24E19rocblas_complex_numIdEPS3_EEvT1_iilPiilS6_bb: ; @_ZN9rocsolver6v33100L18getri_kernel_smallILi24E19rocblas_complex_numIdEPS3_EEvT1_iilPiilS6_bb
; %bb.0:
	s_add_u32 flat_scratch_lo, s8, s11
	s_addc_u32 flat_scratch_hi, s9, 0
	s_add_u32 s0, s0, s11
	v_and_b32_e32 v156, 0x3ff, v0
	s_addc_u32 s1, s1, 0
	v_cmp_gt_u32_e32 vcc, 24, v156
	s_and_saveexec_b64 s[8:9], vcc
	s_cbranch_execz .LBB23_110
; %bb.1:
	s_load_dword s28, s[6:7], 0x38
	s_load_dwordx4 s[20:23], s[6:7], 0x10
	s_load_dwordx4 s[12:15], s[6:7], 0x28
                                        ; implicit-def: $sgpr24_sgpr25
	s_waitcnt lgkmcnt(0)
	s_bitcmp1_b32 s28, 8
	s_cselect_b64 s[26:27], -1, 0
	s_ashr_i32 s11, s10, 31
	s_bfe_u32 s8, s28, 0x10008
	s_cmp_eq_u32 s8, 0
	s_cbranch_scc1 .LBB23_3
; %bb.2:
	s_load_dword s8, s[6:7], 0x20
	s_mul_i32 s9, s10, s13
	s_mul_hi_u32 s13, s10, s12
	s_mul_i32 s16, s11, s12
	s_add_i32 s13, s13, s9
	s_add_i32 s13, s13, s16
	s_mul_i32 s12, s10, s12
	s_waitcnt lgkmcnt(0)
	s_ashr_i32 s9, s8, 31
	s_lshl_b64 s[12:13], s[12:13], 2
	s_add_u32 s12, s22, s12
	s_addc_u32 s13, s23, s13
	s_lshl_b64 s[8:9], s[8:9], 2
	s_add_u32 s24, s12, s8
	s_addc_u32 s25, s13, s9
.LBB23_3:
	s_load_dwordx4 s[16:19], s[6:7], 0x0
	s_mul_i32 s6, s10, s21
	s_mul_hi_u32 s7, s10, s20
	s_add_i32 s8, s7, s6
	s_mul_i32 s9, s11, s20
	s_add_i32 s9, s8, s9
	s_mul_i32 s8, s10, s20
	s_waitcnt lgkmcnt(0)
	s_ashr_i32 s7, s18, 31
	s_lshl_b64 s[8:9], s[8:9], 4
	s_mov_b32 s6, s18
	s_add_u32 s8, s16, s8
	s_addc_u32 s9, s17, s9
	s_lshl_b64 s[6:7], s[6:7], 4
	s_add_u32 s6, s8, s6
	s_addc_u32 s7, s9, s7
	v_lshlrev_b32_e32 v12, 4, v156
	global_load_dwordx4 v[2:5], v12, s[6:7]
	s_mov_b32 s8, s19
	s_ashr_i32 s9, s19, 31
	v_mov_b32_e32 v1, s7
	v_add_co_u32_e32 v22, vcc, s6, v12
	s_lshl_b64 s[8:9], s[8:9], 4
	v_addc_co_u32_e32 v23, vcc, 0, v1, vcc
	s_add_i32 s12, s19, s19
	v_mov_b32_e32 v1, s9
	v_add_co_u32_e32 v24, vcc, s8, v22
	v_add_u32_e32 v6, s12, v156
	v_addc_co_u32_e32 v25, vcc, v23, v1, vcc
	global_load_dwordx4 v[14:17], v[24:25], off
	v_ashrrev_i32_e32 v7, 31, v6
	v_lshlrev_b64 v[8:9], 4, v[6:7]
	v_mov_b32_e32 v10, s7
	v_add_co_u32_e32 v26, vcc, s6, v8
	v_addc_co_u32_e32 v27, vcc, v10, v9, vcc
	global_load_dwordx4 v[18:21], v[26:27], off
	v_add_u32_e32 v6, s19, v6
	v_add_u32_e32 v8, s19, v6
	v_add_u32_e32 v10, s19, v8
	v_add_u32_e32 v36, s19, v10
	v_add_u32_e32 v38, s19, v36
	v_add_u32_e32 v40, s19, v38
	v_add_u32_e32 v42, s19, v40
	v_add_u32_e32 v44, s19, v42
	v_add_u32_e32 v46, s19, v44
	v_add_u32_e32 v48, s19, v46
	v_add_u32_e32 v50, s19, v48
	v_add_u32_e32 v52, s19, v50
	v_add_u32_e32 v54, s19, v52
	v_add_u32_e32 v56, s19, v54
	v_add_u32_e32 v58, s19, v56
	v_add_u32_e32 v60, s19, v58
	v_ashrrev_i32_e32 v7, 31, v6
	v_add_u32_e32 v62, s19, v60
	v_lshlrev_b64 v[6:7], 4, v[6:7]
	v_add_u32_e32 v64, s19, v62
	v_mov_b32_e32 v11, s7
	v_ashrrev_i32_e32 v9, 31, v8
	v_add_co_u32_e32 v28, vcc, s6, v6
	v_add_u32_e32 v66, s19, v64
	v_addc_co_u32_e32 v29, vcc, v11, v7, vcc
	v_lshlrev_b64 v[6:7], 4, v[8:9]
	v_add_u32_e32 v68, s19, v66
	v_mov_b32_e32 v13, s7
	v_add_co_u32_e32 v32, vcc, s6, v6
	v_add_u32_e32 v6, s19, v68
	v_addc_co_u32_e32 v33, vcc, v13, v7, vcc
	v_ashrrev_i32_e32 v7, 31, v6
	v_lshlrev_b64 v[6:7], 4, v[6:7]
	v_mov_b32_e32 v1, s7
	v_add_co_u32_e32 v30, vcc, s6, v6
	v_ashrrev_i32_e32 v11, 31, v10
	v_addc_co_u32_e32 v31, vcc, v1, v7, vcc
	global_load_dwordx4 v[6:9], v[30:31], off
	v_lshlrev_b64 v[10:11], 4, v[10:11]
	v_add_co_u32_e32 v34, vcc, s6, v10
	v_ashrrev_i32_e32 v37, 31, v36
	v_addc_co_u32_e32 v35, vcc, v1, v11, vcc
	v_lshlrev_b64 v[10:11], 4, v[36:37]
	v_add_co_u32_e32 v36, vcc, s6, v10
	v_ashrrev_i32_e32 v39, 31, v38
	v_addc_co_u32_e32 v37, vcc, v1, v11, vcc
	;; [unrolled: 4-line block ×15, first 2 shown]
	v_lshlrev_b64 v[10:11], 4, v[64:65]
	s_waitcnt vmcnt(3)
	buffer_store_dword v5, off, s[0:3], 0 offset:12
	buffer_store_dword v4, off, s[0:3], 0 offset:8
	;; [unrolled: 1-line block ×3, first 2 shown]
	buffer_store_dword v2, off, s[0:3], 0
	s_waitcnt vmcnt(6)
	buffer_store_dword v17, off, s[0:3], 0 offset:28
	buffer_store_dword v16, off, s[0:3], 0 offset:24
	;; [unrolled: 1-line block ×4, first 2 shown]
	s_waitcnt vmcnt(9)
	buffer_store_dword v21, off, s[0:3], 0 offset:44
	buffer_store_dword v20, off, s[0:3], 0 offset:40
	;; [unrolled: 1-line block ×3, first 2 shown]
	v_add_co_u32_e32 v64, vcc, s6, v10
	global_load_dwordx4 v[2:5], v[28:29], off
	global_load_dwordx4 v[14:17], v[32:33], off
	;; [unrolled: 1-line block ×16, first 2 shown]
	v_addc_co_u32_e32 v65, vcc, v1, v11, vcc
	global_load_dwordx4 v[126:129], v[62:63], off
	global_load_dwordx4 v[130:133], v[64:65], off
	v_ashrrev_i32_e32 v67, 31, v66
	v_lshlrev_b64 v[10:11], 4, v[66:67]
	v_add_co_u32_e32 v66, vcc, s6, v10
	v_ashrrev_i32_e32 v69, 31, v68
	v_addc_co_u32_e32 v67, vcc, v1, v11, vcc
	v_lshlrev_b64 v[10:11], 4, v[68:69]
	v_add_co_u32_e32 v68, vcc, s6, v10
	v_addc_co_u32_e32 v69, vcc, v1, v11, vcc
	global_load_dwordx4 v[134:137], v[66:67], off
	global_load_dwordx4 v[138:141], v[68:69], off
	s_nop 0
	buffer_store_dword v18, off, s[0:3], 0 offset:32
	s_waitcnt vmcnt(20)
	buffer_store_dword v5, off, s[0:3], 0 offset:60
	buffer_store_dword v4, off, s[0:3], 0 offset:56
	buffer_store_dword v3, off, s[0:3], 0 offset:52
	buffer_store_dword v2, off, s[0:3], 0 offset:48
	s_waitcnt vmcnt(23)
	buffer_store_dword v17, off, s[0:3], 0 offset:76
	buffer_store_dword v16, off, s[0:3], 0 offset:72
	buffer_store_dword v15, off, s[0:3], 0 offset:68
	;; [unrolled: 5-line block ×16, first 2 shown]
	buffer_store_dword v122, off, s[0:3], 0 offset:288
	buffer_store_dword v129, off, s[0:3], 0 offset:316
	;; [unrolled: 1-line block ×13, first 2 shown]
	v_mov_b32_e32 v2, 0
	v_add_u32_e32 v3, 0xc0, v2
	v_accvgpr_write_b32 a9, v3
	v_add_u32_e32 v3, 0xd0, v2
	v_accvgpr_write_b32 a11, v3
	;; [unrolled: 2-line block ×9, first 2 shown]
	v_add_u32_e32 v3, 0x150, v2
	v_add_u32_e32 v153, 16, v2
	;; [unrolled: 1-line block ×12, first 2 shown]
	v_accvgpr_write_b32 a2, v3
	v_add_u32_e32 v3, 0x160, v2
	v_add_u32_e32 v2, 0x170, v2
	v_accvgpr_write_b32 a1, v3
	v_accvgpr_write_b32 a0, v2
	s_bitcmp0_b32 s28, 0
	s_mov_b64 s[8:9], -1
	s_waitcnt vmcnt(62)
	buffer_store_dword v141, off, s[0:3], 0 offset:364
	buffer_store_dword v140, off, s[0:3], 0 offset:360
	;; [unrolled: 1-line block ×8, first 2 shown]
	s_cbranch_scc1 .LBB23_108
; %bb.4:
	v_cmp_eq_u32_e64 s[6:7], 0, v156
	s_and_saveexec_b64 s[8:9], s[6:7]
	s_cbranch_execz .LBB23_6
; %bb.5:
	v_mov_b32_e32 v2, 0
	ds_write_b32 v2, v2 offset:768
.LBB23_6:
	s_or_b64 exec, exec, s[8:9]
	v_mov_b32_e32 v2, 0
	v_lshl_add_u32 v13, v156, 4, v2
	s_waitcnt lgkmcnt(0)
	; wave barrier
	s_waitcnt lgkmcnt(0)
	buffer_load_dword v2, v13, s[0:3], 0 offen
	buffer_load_dword v3, v13, s[0:3], 0 offen offset:4
	buffer_load_dword v4, v13, s[0:3], 0 offen offset:8
	;; [unrolled: 1-line block ×3, first 2 shown]
	s_waitcnt vmcnt(2)
	v_cmp_eq_f64_e32 vcc, 0, v[2:3]
	s_waitcnt vmcnt(0)
	v_cmp_eq_f64_e64 s[8:9], 0, v[4:5]
	s_and_b64 s[8:9], vcc, s[8:9]
	s_and_saveexec_b64 s[12:13], s[8:9]
	s_cbranch_execz .LBB23_10
; %bb.7:
	v_mov_b32_e32 v2, 0
	ds_read_b32 v4, v2 offset:768
	v_add_u32_e32 v3, 1, v156
	s_waitcnt lgkmcnt(0)
	v_readfirstlane_b32 s8, v4
	s_cmp_eq_u32 s8, 0
	s_cselect_b64 s[16:17], -1, 0
	v_cmp_gt_i32_e32 vcc, s8, v3
	s_or_b64 s[16:17], s[16:17], vcc
	s_and_b64 exec, exec, s[16:17]
	s_cbranch_execz .LBB23_10
; %bb.8:
	s_mov_b64 s[16:17], 0
	v_mov_b32_e32 v4, s8
.LBB23_9:                               ; =>This Inner Loop Header: Depth=1
	ds_cmpst_rtn_b32 v4, v2, v4, v3 offset:768
	s_waitcnt lgkmcnt(0)
	v_cmp_ne_u32_e32 vcc, 0, v4
	v_cmp_le_i32_e64 s[8:9], v4, v3
	s_and_b64 s[8:9], vcc, s[8:9]
	s_and_b64 s[8:9], exec, s[8:9]
	s_or_b64 s[16:17], s[8:9], s[16:17]
	s_andn2_b64 exec, exec, s[16:17]
	s_cbranch_execnz .LBB23_9
.LBB23_10:
	s_or_b64 exec, exec, s[12:13]
	v_mov_b32_e32 v3, 0
	s_waitcnt lgkmcnt(0)
	; wave barrier
	ds_read_b32 v2, v3 offset:768
	s_and_saveexec_b64 s[8:9], s[6:7]
	s_cbranch_execz .LBB23_12
; %bb.11:
	s_lshl_b64 s[12:13], s[10:11], 2
	s_add_u32 s12, s14, s12
	s_addc_u32 s13, s15, s13
	s_waitcnt lgkmcnt(0)
	global_store_dword v3, v2, s[12:13]
.LBB23_12:
	s_or_b64 exec, exec, s[8:9]
	s_waitcnt lgkmcnt(0)
	v_cmp_ne_u32_e32 vcc, 0, v2
	s_mov_b64 s[8:9], 0
	s_cbranch_vccnz .LBB23_108
; %bb.13:
	buffer_load_dword v7, v13, s[0:3], 0 offen offset:4
	buffer_load_dword v6, v13, s[0:3], 0 offen
	buffer_load_dword v9, v13, s[0:3], 0 offen offset:12
	buffer_load_dword v8, v13, s[0:3], 0 offen offset:8
                                        ; implicit-def: $vgpr10_vgpr11
	s_waitcnt vmcnt(3)
	v_xor_b32_e32 v3, 0x80000000, v7
	s_waitcnt vmcnt(2)
	v_cmp_gt_f64_e32 vcc, 0, v[6:7]
	s_waitcnt vmcnt(1)
	v_xor_b32_e32 v4, 0x80000000, v9
	v_cndmask_b32_e32 v3, v7, v3, vcc
	s_waitcnt vmcnt(0)
	v_cmp_gt_f64_e32 vcc, 0, v[8:9]
	v_mov_b32_e32 v2, v6
	v_cndmask_b32_e32 v5, v9, v4, vcc
	v_mov_b32_e32 v4, v8
	v_cmp_ngt_f64_e32 vcc, v[2:3], v[4:5]
                                        ; implicit-def: $vgpr4_vgpr5
	s_and_saveexec_b64 s[8:9], vcc
	s_xor_b64 s[8:9], exec, s[8:9]
	s_cbranch_execz .LBB23_15
; %bb.14:
	v_div_scale_f64 v[2:3], s[12:13], v[8:9], v[8:9], v[6:7]
	v_rcp_f64_e32 v[4:5], v[2:3]
	v_div_scale_f64 v[10:11], vcc, v[6:7], v[8:9], v[6:7]
	v_fma_f64 v[14:15], -v[2:3], v[4:5], 1.0
	v_fmac_f64_e32 v[4:5], v[4:5], v[14:15]
	v_fma_f64 v[14:15], -v[2:3], v[4:5], 1.0
	v_fmac_f64_e32 v[4:5], v[4:5], v[14:15]
	v_mul_f64 v[14:15], v[10:11], v[4:5]
	v_fma_f64 v[2:3], -v[2:3], v[14:15], v[10:11]
	v_div_fmas_f64 v[2:3], v[2:3], v[4:5], v[14:15]
	v_div_fixup_f64 v[2:3], v[2:3], v[8:9], v[6:7]
	v_fmac_f64_e32 v[8:9], v[6:7], v[2:3]
	v_div_scale_f64 v[4:5], s[12:13], v[8:9], v[8:9], 1.0
	v_rcp_f64_e32 v[6:7], v[4:5]
	v_fma_f64 v[10:11], -v[4:5], v[6:7], 1.0
	v_fmac_f64_e32 v[6:7], v[6:7], v[10:11]
	v_fma_f64 v[10:11], -v[4:5], v[6:7], 1.0
	v_fmac_f64_e32 v[6:7], v[6:7], v[10:11]
	v_div_scale_f64 v[10:11], vcc, 1.0, v[8:9], 1.0
	v_mul_f64 v[14:15], v[10:11], v[6:7]
	v_fma_f64 v[4:5], -v[4:5], v[14:15], v[10:11]
	s_nop 1
	v_div_fmas_f64 v[4:5], v[4:5], v[6:7], v[14:15]
	v_div_fixup_f64 v[4:5], v[4:5], v[8:9], 1.0
	v_mul_f64 v[10:11], v[2:3], v[4:5]
	v_xor_b32_e32 v5, 0x80000000, v5
	v_xor_b32_e32 v3, 0x80000000, v11
	v_mov_b32_e32 v2, v10
                                        ; implicit-def: $vgpr6_vgpr7
                                        ; implicit-def: $vgpr8_vgpr9
.LBB23_15:
	s_andn2_saveexec_b64 s[8:9], s[8:9]
	s_cbranch_execz .LBB23_17
; %bb.16:
	v_div_scale_f64 v[2:3], s[12:13], v[6:7], v[6:7], v[8:9]
	v_rcp_f64_e32 v[4:5], v[2:3]
	v_div_scale_f64 v[10:11], vcc, v[8:9], v[6:7], v[8:9]
	v_fma_f64 v[14:15], -v[2:3], v[4:5], 1.0
	v_fmac_f64_e32 v[4:5], v[4:5], v[14:15]
	v_fma_f64 v[14:15], -v[2:3], v[4:5], 1.0
	v_fmac_f64_e32 v[4:5], v[4:5], v[14:15]
	v_mul_f64 v[14:15], v[10:11], v[4:5]
	v_fma_f64 v[2:3], -v[2:3], v[14:15], v[10:11]
	v_div_fmas_f64 v[2:3], v[2:3], v[4:5], v[14:15]
	v_div_fixup_f64 v[4:5], v[2:3], v[6:7], v[8:9]
	v_fmac_f64_e32 v[6:7], v[8:9], v[4:5]
	v_div_scale_f64 v[2:3], s[12:13], v[6:7], v[6:7], 1.0
	v_rcp_f64_e32 v[8:9], v[2:3]
	v_fma_f64 v[10:11], -v[2:3], v[8:9], 1.0
	v_fmac_f64_e32 v[8:9], v[8:9], v[10:11]
	v_fma_f64 v[10:11], -v[2:3], v[8:9], 1.0
	v_fmac_f64_e32 v[8:9], v[8:9], v[10:11]
	v_div_scale_f64 v[10:11], vcc, 1.0, v[6:7], 1.0
	v_mul_f64 v[14:15], v[10:11], v[8:9]
	v_fma_f64 v[2:3], -v[2:3], v[14:15], v[10:11]
	s_nop 1
	v_div_fmas_f64 v[2:3], v[2:3], v[8:9], v[14:15]
	v_div_fixup_f64 v[10:11], v[2:3], v[6:7], 1.0
	v_xor_b32_e32 v3, 0x80000000, v11
	v_mov_b32_e32 v2, v10
	v_mul_f64 v[4:5], v[4:5], -v[10:11]
.LBB23_17:
	s_or_b64 exec, exec, s[8:9]
	buffer_store_dword v11, v13, s[0:3], 0 offen offset:4
	buffer_store_dword v10, v13, s[0:3], 0 offen
	buffer_store_dword v5, v13, s[0:3], 0 offen offset:12
	buffer_store_dword v4, v13, s[0:3], 0 offen offset:8
	buffer_load_dword v11, v153, s[0:3], 0 offen offset:12
	s_nop 0
	buffer_load_dword v10, v153, s[0:3], 0 offen offset:8
	buffer_load_dword v9, v153, s[0:3], 0 offen offset:4
	buffer_load_dword v8, v153, s[0:3], 0 offen
	v_xor_b32_e32 v5, 0x80000000, v5
	v_add_u32_e32 v6, 0x180, v12
	ds_write_b128 v12, v[2:5]
	s_waitcnt vmcnt(0)
	ds_write_b128 v12, v[8:11] offset:384
	s_waitcnt lgkmcnt(0)
	; wave barrier
	s_waitcnt lgkmcnt(0)
	s_and_saveexec_b64 s[8:9], s[6:7]
	s_cbranch_execz .LBB23_19
; %bb.18:
	buffer_load_dword v14, v13, s[0:3], 0 offen offset:8
	buffer_load_dword v15, v13, s[0:3], 0 offen offset:12
	buffer_load_dword v16, v13, s[0:3], 0 offen
	buffer_load_dword v17, v13, s[0:3], 0 offen offset:4
	ds_read_b128 v[2:5], v6
	v_mov_b32_e32 v7, 0
	ds_read_b128 v[8:11], v7 offset:16
	s_waitcnt vmcnt(2) lgkmcnt(1)
	v_mul_f64 v[18:19], v[4:5], v[14:15]
	v_mul_f64 v[14:15], v[2:3], v[14:15]
	s_waitcnt vmcnt(0)
	v_fmac_f64_e32 v[14:15], v[4:5], v[16:17]
	v_fma_f64 v[2:3], v[2:3], v[16:17], -v[18:19]
	v_add_f64 v[4:5], v[14:15], 0
	v_add_f64 v[2:3], v[2:3], 0
	s_waitcnt lgkmcnt(0)
	v_mul_f64 v[14:15], v[4:5], v[10:11]
	v_mul_f64 v[10:11], v[2:3], v[10:11]
	v_fma_f64 v[2:3], v[2:3], v[8:9], -v[14:15]
	v_fmac_f64_e32 v[10:11], v[4:5], v[8:9]
	buffer_store_dword v2, off, s[0:3], 0 offset:16
	buffer_store_dword v3, off, s[0:3], 0 offset:20
	;; [unrolled: 1-line block ×4, first 2 shown]
.LBB23_19:
	s_or_b64 exec, exec, s[8:9]
	s_waitcnt lgkmcnt(0)
	; wave barrier
	buffer_load_dword v2, v154, s[0:3], 0 offen
	buffer_load_dword v3, v154, s[0:3], 0 offen offset:4
	buffer_load_dword v4, v154, s[0:3], 0 offen offset:8
	;; [unrolled: 1-line block ×3, first 2 shown]
	v_cmp_gt_u32_e32 vcc, 2, v156
	s_waitcnt vmcnt(0)
	ds_write_b128 v6, v[2:5]
	s_waitcnt lgkmcnt(0)
	; wave barrier
	s_waitcnt lgkmcnt(0)
	s_and_saveexec_b64 s[8:9], vcc
	s_cbranch_execz .LBB23_23
; %bb.20:
	buffer_load_dword v8, v13, s[0:3], 0 offen offset:8
	buffer_load_dword v9, v13, s[0:3], 0 offen offset:12
	buffer_load_dword v10, v13, s[0:3], 0 offen
	buffer_load_dword v11, v13, s[0:3], 0 offen offset:4
	ds_read_b128 v[2:5], v6
	s_waitcnt vmcnt(2) lgkmcnt(0)
	v_mul_f64 v[14:15], v[4:5], v[8:9]
	v_mul_f64 v[8:9], v[2:3], v[8:9]
	s_waitcnt vmcnt(0)
	v_fma_f64 v[2:3], v[2:3], v[10:11], -v[14:15]
	v_fmac_f64_e32 v[8:9], v[4:5], v[10:11]
	v_add_f64 v[4:5], v[2:3], 0
	v_add_f64 v[2:3], v[8:9], 0
	s_and_saveexec_b64 s[12:13], s[6:7]
	s_cbranch_execz .LBB23_22
; %bb.21:
	buffer_load_dword v14, off, s[0:3], 0 offset:24
	buffer_load_dword v15, off, s[0:3], 0 offset:28
	;; [unrolled: 1-line block ×4, first 2 shown]
	v_mov_b32_e32 v7, 0
	ds_read_b128 v[8:11], v7 offset:400
	s_waitcnt vmcnt(2) lgkmcnt(0)
	v_mul_f64 v[18:19], v[8:9], v[14:15]
	v_mul_f64 v[14:15], v[10:11], v[14:15]
	s_waitcnt vmcnt(0)
	v_fmac_f64_e32 v[18:19], v[10:11], v[16:17]
	v_fma_f64 v[8:9], v[8:9], v[16:17], -v[14:15]
	v_add_f64 v[2:3], v[2:3], v[18:19]
	v_add_f64 v[4:5], v[4:5], v[8:9]
.LBB23_22:
	s_or_b64 exec, exec, s[12:13]
	v_mov_b32_e32 v7, 0
	ds_read_b128 v[8:11], v7 offset:32
	s_waitcnt lgkmcnt(0)
	v_mul_f64 v[14:15], v[2:3], v[10:11]
	v_mul_f64 v[10:11], v[4:5], v[10:11]
	v_fma_f64 v[4:5], v[4:5], v[8:9], -v[14:15]
	v_fmac_f64_e32 v[10:11], v[2:3], v[8:9]
	buffer_store_dword v5, off, s[0:3], 0 offset:36
	buffer_store_dword v4, off, s[0:3], 0 offset:32
	;; [unrolled: 1-line block ×4, first 2 shown]
.LBB23_23:
	s_or_b64 exec, exec, s[8:9]
	s_waitcnt lgkmcnt(0)
	; wave barrier
	buffer_load_dword v2, v155, s[0:3], 0 offen
	buffer_load_dword v3, v155, s[0:3], 0 offen offset:4
	buffer_load_dword v4, v155, s[0:3], 0 offen offset:8
	buffer_load_dword v5, v155, s[0:3], 0 offen offset:12
	v_cmp_gt_u32_e32 vcc, 3, v156
	v_add_u32_e32 v7, -1, v156
	s_waitcnt vmcnt(0)
	ds_write_b128 v6, v[2:5]
	s_waitcnt lgkmcnt(0)
	; wave barrier
	s_waitcnt lgkmcnt(0)
	s_and_saveexec_b64 s[6:7], vcc
	s_cbranch_execz .LBB23_27
; %bb.24:
	v_pk_mov_b32 v[2:3], 0, 0
	v_add_u32_e32 v8, -1, v156
	v_add_u32_e32 v9, 0x180, v12
	v_add_u32_e32 v10, 0, v12
	s_mov_b64 s[8:9], 0
	v_pk_mov_b32 v[4:5], v[2:3], v[2:3] op_sel:[0,1]
.LBB23_25:                              ; =>This Inner Loop Header: Depth=1
	buffer_load_dword v18, v10, s[0:3], 0 offen offset:8
	buffer_load_dword v19, v10, s[0:3], 0 offen offset:12
	buffer_load_dword v20, v10, s[0:3], 0 offen
	buffer_load_dword v21, v10, s[0:3], 0 offen offset:4
	ds_read_b128 v[14:17], v9
	v_add_u32_e32 v8, 1, v8
	v_cmp_lt_u32_e32 vcc, 1, v8
	v_add_u32_e32 v9, 16, v9
	v_add_u32_e32 v10, 16, v10
	s_or_b64 s[8:9], vcc, s[8:9]
	s_waitcnt vmcnt(2) lgkmcnt(0)
	v_mul_f64 v[70:71], v[16:17], v[18:19]
	v_mul_f64 v[18:19], v[14:15], v[18:19]
	s_waitcnt vmcnt(0)
	v_fma_f64 v[14:15], v[14:15], v[20:21], -v[70:71]
	v_fmac_f64_e32 v[18:19], v[16:17], v[20:21]
	v_add_f64 v[4:5], v[4:5], v[14:15]
	v_add_f64 v[2:3], v[2:3], v[18:19]
	s_andn2_b64 exec, exec, s[8:9]
	s_cbranch_execnz .LBB23_25
; %bb.26:
	s_or_b64 exec, exec, s[8:9]
	v_mov_b32_e32 v8, 0
	ds_read_b128 v[8:11], v8 offset:48
	s_waitcnt lgkmcnt(0)
	v_mul_f64 v[14:15], v[2:3], v[10:11]
	v_mul_f64 v[10:11], v[4:5], v[10:11]
	v_fma_f64 v[4:5], v[4:5], v[8:9], -v[14:15]
	v_fmac_f64_e32 v[10:11], v[2:3], v[8:9]
	buffer_store_dword v5, off, s[0:3], 0 offset:52
	buffer_store_dword v4, off, s[0:3], 0 offset:48
	buffer_store_dword v11, off, s[0:3], 0 offset:60
	buffer_store_dword v10, off, s[0:3], 0 offset:56
.LBB23_27:
	s_or_b64 exec, exec, s[6:7]
	s_waitcnt lgkmcnt(0)
	; wave barrier
	buffer_load_dword v2, v150, s[0:3], 0 offen
	buffer_load_dword v3, v150, s[0:3], 0 offen offset:4
	buffer_load_dword v4, v150, s[0:3], 0 offen offset:8
	buffer_load_dword v5, v150, s[0:3], 0 offen offset:12
	v_cmp_gt_u32_e32 vcc, 4, v156
	s_waitcnt vmcnt(0)
	ds_write_b128 v6, v[2:5]
	s_waitcnt lgkmcnt(0)
	; wave barrier
	s_waitcnt lgkmcnt(0)
	s_and_saveexec_b64 s[6:7], vcc
	s_cbranch_execz .LBB23_31
; %bb.28:
	v_pk_mov_b32 v[2:3], 0, 0
	v_add_u32_e32 v8, -1, v156
	v_add_u32_e32 v9, 0x180, v12
	v_add_u32_e32 v10, 0, v12
	s_mov_b64 s[8:9], 0
	v_pk_mov_b32 v[4:5], v[2:3], v[2:3] op_sel:[0,1]
.LBB23_29:                              ; =>This Inner Loop Header: Depth=1
	buffer_load_dword v18, v10, s[0:3], 0 offen offset:8
	buffer_load_dword v19, v10, s[0:3], 0 offen offset:12
	buffer_load_dword v20, v10, s[0:3], 0 offen
	buffer_load_dword v21, v10, s[0:3], 0 offen offset:4
	ds_read_b128 v[14:17], v9
	v_add_u32_e32 v8, 1, v8
	v_cmp_lt_u32_e32 vcc, 2, v8
	v_add_u32_e32 v9, 16, v9
	v_add_u32_e32 v10, 16, v10
	s_or_b64 s[8:9], vcc, s[8:9]
	s_waitcnt vmcnt(2) lgkmcnt(0)
	v_mul_f64 v[70:71], v[16:17], v[18:19]
	v_mul_f64 v[18:19], v[14:15], v[18:19]
	s_waitcnt vmcnt(0)
	v_fma_f64 v[14:15], v[14:15], v[20:21], -v[70:71]
	v_fmac_f64_e32 v[18:19], v[16:17], v[20:21]
	v_add_f64 v[4:5], v[4:5], v[14:15]
	v_add_f64 v[2:3], v[2:3], v[18:19]
	s_andn2_b64 exec, exec, s[8:9]
	s_cbranch_execnz .LBB23_29
; %bb.30:
	s_or_b64 exec, exec, s[8:9]
	v_mov_b32_e32 v8, 0
	ds_read_b128 v[8:11], v8 offset:64
	s_waitcnt lgkmcnt(0)
	v_mul_f64 v[14:15], v[2:3], v[10:11]
	v_mul_f64 v[10:11], v[4:5], v[10:11]
	v_fma_f64 v[4:5], v[4:5], v[8:9], -v[14:15]
	v_fmac_f64_e32 v[10:11], v[2:3], v[8:9]
	buffer_store_dword v5, off, s[0:3], 0 offset:68
	buffer_store_dword v4, off, s[0:3], 0 offset:64
	buffer_store_dword v11, off, s[0:3], 0 offset:76
	buffer_store_dword v10, off, s[0:3], 0 offset:72
.LBB23_31:
	s_or_b64 exec, exec, s[6:7]
	s_waitcnt lgkmcnt(0)
	; wave barrier
	buffer_load_dword v2, v151, s[0:3], 0 offen
	buffer_load_dword v3, v151, s[0:3], 0 offen offset:4
	buffer_load_dword v4, v151, s[0:3], 0 offen offset:8
	buffer_load_dword v5, v151, s[0:3], 0 offen offset:12
	v_cmp_gt_u32_e32 vcc, 5, v156
	;; [unrolled: 57-line block ×8, first 2 shown]
	s_waitcnt vmcnt(0)
	ds_write_b128 v6, v[2:5]
	s_waitcnt lgkmcnt(0)
	; wave barrier
	s_waitcnt lgkmcnt(0)
	s_and_saveexec_b64 s[6:7], vcc
	s_cbranch_execz .LBB23_59
; %bb.56:
	v_pk_mov_b32 v[2:3], 0, 0
	v_add_u32_e32 v8, -1, v156
	v_add_u32_e32 v9, 0x180, v12
	v_add_u32_e32 v10, 0, v12
	s_mov_b64 s[8:9], 0
	v_pk_mov_b32 v[4:5], v[2:3], v[2:3] op_sel:[0,1]
.LBB23_57:                              ; =>This Inner Loop Header: Depth=1
	buffer_load_dword v18, v10, s[0:3], 0 offen offset:8
	buffer_load_dword v19, v10, s[0:3], 0 offen offset:12
	buffer_load_dword v20, v10, s[0:3], 0 offen
	buffer_load_dword v21, v10, s[0:3], 0 offen offset:4
	ds_read_b128 v[14:17], v9
	v_add_u32_e32 v8, 1, v8
	v_cmp_lt_u32_e32 vcc, 9, v8
	v_add_u32_e32 v9, 16, v9
	v_add_u32_e32 v10, 16, v10
	s_or_b64 s[8:9], vcc, s[8:9]
	s_waitcnt vmcnt(2) lgkmcnt(0)
	v_mul_f64 v[70:71], v[16:17], v[18:19]
	v_mul_f64 v[18:19], v[14:15], v[18:19]
	s_waitcnt vmcnt(0)
	v_fma_f64 v[14:15], v[14:15], v[20:21], -v[70:71]
	v_fmac_f64_e32 v[18:19], v[16:17], v[20:21]
	v_add_f64 v[4:5], v[4:5], v[14:15]
	v_add_f64 v[2:3], v[2:3], v[18:19]
	s_andn2_b64 exec, exec, s[8:9]
	s_cbranch_execnz .LBB23_57
; %bb.58:
	s_or_b64 exec, exec, s[8:9]
	v_mov_b32_e32 v8, 0
	ds_read_b128 v[8:11], v8 offset:176
	s_waitcnt lgkmcnt(0)
	v_mul_f64 v[14:15], v[2:3], v[10:11]
	v_mul_f64 v[10:11], v[4:5], v[10:11]
	v_fma_f64 v[4:5], v[4:5], v[8:9], -v[14:15]
	v_fmac_f64_e32 v[10:11], v[2:3], v[8:9]
	buffer_store_dword v5, off, s[0:3], 0 offset:180
	buffer_store_dword v4, off, s[0:3], 0 offset:176
	buffer_store_dword v11, off, s[0:3], 0 offset:188
	buffer_store_dword v10, off, s[0:3], 0 offset:184
.LBB23_59:
	s_or_b64 exec, exec, s[6:7]
	v_accvgpr_read_b32 v5, a9
	s_waitcnt lgkmcnt(0)
	; wave barrier
	buffer_load_dword v2, v5, s[0:3], 0 offen
	buffer_load_dword v3, v5, s[0:3], 0 offen offset:4
	buffer_load_dword v4, v5, s[0:3], 0 offen offset:8
	s_nop 0
	buffer_load_dword v5, v5, s[0:3], 0 offen offset:12
	v_cmp_gt_u32_e32 vcc, 12, v156
	s_waitcnt vmcnt(0)
	ds_write_b128 v6, v[2:5]
	s_waitcnt lgkmcnt(0)
	; wave barrier
	s_waitcnt lgkmcnt(0)
	s_and_saveexec_b64 s[6:7], vcc
	s_cbranch_execz .LBB23_63
; %bb.60:
	v_pk_mov_b32 v[2:3], 0, 0
	v_add_u32_e32 v8, -1, v156
	v_add_u32_e32 v9, 0x180, v12
	v_add_u32_e32 v10, 0, v12
	s_mov_b64 s[8:9], 0
	v_pk_mov_b32 v[4:5], v[2:3], v[2:3] op_sel:[0,1]
.LBB23_61:                              ; =>This Inner Loop Header: Depth=1
	buffer_load_dword v18, v10, s[0:3], 0 offen offset:8
	buffer_load_dword v19, v10, s[0:3], 0 offen offset:12
	buffer_load_dword v20, v10, s[0:3], 0 offen
	buffer_load_dword v21, v10, s[0:3], 0 offen offset:4
	ds_read_b128 v[14:17], v9
	v_add_u32_e32 v8, 1, v8
	v_cmp_lt_u32_e32 vcc, 10, v8
	v_add_u32_e32 v9, 16, v9
	v_add_u32_e32 v10, 16, v10
	s_or_b64 s[8:9], vcc, s[8:9]
	s_waitcnt vmcnt(2) lgkmcnt(0)
	v_mul_f64 v[70:71], v[16:17], v[18:19]
	v_mul_f64 v[18:19], v[14:15], v[18:19]
	s_waitcnt vmcnt(0)
	v_fma_f64 v[14:15], v[14:15], v[20:21], -v[70:71]
	v_fmac_f64_e32 v[18:19], v[16:17], v[20:21]
	v_add_f64 v[4:5], v[4:5], v[14:15]
	v_add_f64 v[2:3], v[2:3], v[18:19]
	s_andn2_b64 exec, exec, s[8:9]
	s_cbranch_execnz .LBB23_61
; %bb.62:
	s_or_b64 exec, exec, s[8:9]
	v_mov_b32_e32 v8, 0
	ds_read_b128 v[8:11], v8 offset:192
	s_waitcnt lgkmcnt(0)
	v_mul_f64 v[14:15], v[2:3], v[10:11]
	v_mul_f64 v[10:11], v[4:5], v[10:11]
	v_fma_f64 v[4:5], v[4:5], v[8:9], -v[14:15]
	v_fmac_f64_e32 v[10:11], v[2:3], v[8:9]
	buffer_store_dword v5, off, s[0:3], 0 offset:196
	buffer_store_dword v4, off, s[0:3], 0 offset:192
	buffer_store_dword v11, off, s[0:3], 0 offset:204
	buffer_store_dword v10, off, s[0:3], 0 offset:200
.LBB23_63:
	s_or_b64 exec, exec, s[6:7]
	v_accvgpr_read_b32 v5, a11
	s_waitcnt lgkmcnt(0)
	; wave barrier
	buffer_load_dword v2, v5, s[0:3], 0 offen
	buffer_load_dword v3, v5, s[0:3], 0 offen offset:4
	buffer_load_dword v4, v5, s[0:3], 0 offen offset:8
	s_nop 0
	buffer_load_dword v5, v5, s[0:3], 0 offen offset:12
	v_cmp_gt_u32_e32 vcc, 13, v156
	;; [unrolled: 59-line block ×11, first 2 shown]
	s_waitcnt vmcnt(0)
	ds_write_b128 v6, v[2:5]
	s_waitcnt lgkmcnt(0)
	; wave barrier
	s_waitcnt lgkmcnt(0)
	s_and_saveexec_b64 s[6:7], vcc
	s_cbranch_execz .LBB23_103
; %bb.100:
	v_pk_mov_b32 v[2:3], 0, 0
	v_add_u32_e32 v8, -1, v156
	v_add_u32_e32 v9, 0x180, v12
	v_add_u32_e32 v10, 0, v12
	s_mov_b64 s[8:9], 0
	v_pk_mov_b32 v[4:5], v[2:3], v[2:3] op_sel:[0,1]
.LBB23_101:                             ; =>This Inner Loop Header: Depth=1
	buffer_load_dword v18, v10, s[0:3], 0 offen offset:8
	buffer_load_dword v19, v10, s[0:3], 0 offen offset:12
	buffer_load_dword v20, v10, s[0:3], 0 offen
	buffer_load_dword v21, v10, s[0:3], 0 offen offset:4
	ds_read_b128 v[14:17], v9
	v_add_u32_e32 v8, 1, v8
	v_cmp_lt_u32_e32 vcc, 20, v8
	v_add_u32_e32 v9, 16, v9
	v_add_u32_e32 v10, 16, v10
	s_or_b64 s[8:9], vcc, s[8:9]
	s_waitcnt vmcnt(2) lgkmcnt(0)
	v_mul_f64 v[70:71], v[16:17], v[18:19]
	v_mul_f64 v[18:19], v[14:15], v[18:19]
	s_waitcnt vmcnt(0)
	v_fma_f64 v[14:15], v[14:15], v[20:21], -v[70:71]
	v_fmac_f64_e32 v[18:19], v[16:17], v[20:21]
	v_add_f64 v[4:5], v[4:5], v[14:15]
	v_add_f64 v[2:3], v[2:3], v[18:19]
	s_andn2_b64 exec, exec, s[8:9]
	s_cbranch_execnz .LBB23_101
; %bb.102:
	s_or_b64 exec, exec, s[8:9]
	v_mov_b32_e32 v8, 0
	ds_read_b128 v[8:11], v8 offset:352
	s_waitcnt lgkmcnt(0)
	v_mul_f64 v[14:15], v[2:3], v[10:11]
	v_mul_f64 v[10:11], v[4:5], v[10:11]
	v_fma_f64 v[4:5], v[4:5], v[8:9], -v[14:15]
	v_fmac_f64_e32 v[10:11], v[2:3], v[8:9]
	buffer_store_dword v5, off, s[0:3], 0 offset:356
	buffer_store_dword v4, off, s[0:3], 0 offset:352
	;; [unrolled: 1-line block ×4, first 2 shown]
.LBB23_103:
	s_or_b64 exec, exec, s[6:7]
	v_accvgpr_read_b32 v5, a0
	s_waitcnt lgkmcnt(0)
	; wave barrier
	buffer_load_dword v2, v5, s[0:3], 0 offen
	buffer_load_dword v3, v5, s[0:3], 0 offen offset:4
	buffer_load_dword v4, v5, s[0:3], 0 offen offset:8
	s_nop 0
	buffer_load_dword v5, v5, s[0:3], 0 offen offset:12
	v_cmp_ne_u32_e32 vcc, 23, v156
	s_waitcnt vmcnt(0)
	ds_write_b128 v6, v[2:5]
	s_waitcnt lgkmcnt(0)
	; wave barrier
	s_waitcnt lgkmcnt(0)
	s_and_saveexec_b64 s[6:7], vcc
	s_cbranch_execz .LBB23_107
; %bb.104:
	v_pk_mov_b32 v[2:3], 0, 0
	v_add_u32_e32 v6, 0x180, v12
	v_add_u32_e32 v8, 0, v12
	s_mov_b64 s[8:9], 0
	v_pk_mov_b32 v[4:5], v[2:3], v[2:3] op_sel:[0,1]
.LBB23_105:                             ; =>This Inner Loop Header: Depth=1
	buffer_load_dword v14, v8, s[0:3], 0 offen offset:8
	buffer_load_dword v15, v8, s[0:3], 0 offen offset:12
	buffer_load_dword v16, v8, s[0:3], 0 offen
	buffer_load_dword v17, v8, s[0:3], 0 offen offset:4
	ds_read_b128 v[10:13], v6
	v_add_u32_e32 v7, 1, v7
	v_cmp_lt_u32_e32 vcc, 21, v7
	v_add_u32_e32 v6, 16, v6
	v_add_u32_e32 v8, 16, v8
	s_or_b64 s[8:9], vcc, s[8:9]
	s_waitcnt vmcnt(2) lgkmcnt(0)
	v_mul_f64 v[18:19], v[12:13], v[14:15]
	v_mul_f64 v[14:15], v[10:11], v[14:15]
	s_waitcnt vmcnt(0)
	v_fma_f64 v[10:11], v[10:11], v[16:17], -v[18:19]
	v_fmac_f64_e32 v[14:15], v[12:13], v[16:17]
	v_add_f64 v[4:5], v[4:5], v[10:11]
	v_add_f64 v[2:3], v[2:3], v[14:15]
	s_andn2_b64 exec, exec, s[8:9]
	s_cbranch_execnz .LBB23_105
; %bb.106:
	s_or_b64 exec, exec, s[8:9]
	v_mov_b32_e32 v6, 0
	ds_read_b128 v[6:9], v6 offset:368
	s_waitcnt lgkmcnt(0)
	v_mul_f64 v[10:11], v[2:3], v[8:9]
	v_mul_f64 v[8:9], v[4:5], v[8:9]
	v_fma_f64 v[4:5], v[4:5], v[6:7], -v[10:11]
	v_fmac_f64_e32 v[8:9], v[2:3], v[6:7]
	buffer_store_dword v5, off, s[0:3], 0 offset:372
	buffer_store_dword v4, off, s[0:3], 0 offset:368
	;; [unrolled: 1-line block ×4, first 2 shown]
.LBB23_107:
	s_or_b64 exec, exec, s[6:7]
	s_mov_b64 s[8:9], -1
	s_waitcnt lgkmcnt(0)
	; wave barrier
.LBB23_108:
	s_and_b64 vcc, exec, s[8:9]
	s_cbranch_vccz .LBB23_110
; %bb.109:
	s_lshl_b64 s[6:7], s[10:11], 2
	s_add_u32 s6, s14, s6
	s_addc_u32 s7, s15, s7
	v_mov_b32_e32 v2, 0
	global_load_dword v2, v2, s[6:7]
	s_waitcnt vmcnt(0)
	v_cmp_ne_u32_e32 vcc, 0, v2
	s_cbranch_vccz .LBB23_111
.LBB23_110:
	s_endpgm
.LBB23_111:
	v_mov_b32_e32 v2, 0x180
	v_lshl_add_u32 v157, v156, 4, v2
	v_cmp_eq_u32_e32 vcc, 23, v156
	s_and_saveexec_b64 s[6:7], vcc
	s_cbranch_execz .LBB23_113
; %bb.112:
	v_accvgpr_read_b32 v5, a1
	buffer_load_dword v2, v5, s[0:3], 0 offen
	buffer_load_dword v3, v5, s[0:3], 0 offen offset:4
	buffer_load_dword v4, v5, s[0:3], 0 offen offset:8
	s_nop 0
	buffer_load_dword v5, v5, s[0:3], 0 offen offset:12
	v_mov_b32_e32 v6, 0
	buffer_store_dword v6, off, s[0:3], 0 offset:352
	buffer_store_dword v6, off, s[0:3], 0 offset:356
	;; [unrolled: 1-line block ×4, first 2 shown]
	s_waitcnt vmcnt(4)
	ds_write_b128 v157, v[2:5]
.LBB23_113:
	s_or_b64 exec, exec, s[6:7]
	s_waitcnt lgkmcnt(0)
	; wave barrier
	s_waitcnt lgkmcnt(0)
	buffer_load_dword v8, off, s[0:3], 0 offset:376
	buffer_load_dword v9, off, s[0:3], 0 offset:380
	buffer_load_dword v10, off, s[0:3], 0 offset:368
	buffer_load_dword v11, off, s[0:3], 0 offset:372
	buffer_load_dword v12, off, s[0:3], 0 offset:352
	buffer_load_dword v13, off, s[0:3], 0 offset:356
	buffer_load_dword v14, off, s[0:3], 0 offset:360
	buffer_load_dword v15, off, s[0:3], 0 offset:364
	v_mov_b32_e32 v2, 0
	ds_read_b128 v[4:7], v2 offset:752
	v_cmp_lt_u32_e32 vcc, 21, v156
	s_waitcnt vmcnt(6) lgkmcnt(0)
	v_mul_f64 v[16:17], v[4:5], v[8:9]
	v_mul_f64 v[8:9], v[6:7], v[8:9]
	s_waitcnt vmcnt(4)
	v_fma_f64 v[4:5], v[4:5], v[10:11], -v[8:9]
	v_fmac_f64_e32 v[16:17], v[6:7], v[10:11]
	v_add_f64 v[4:5], v[4:5], 0
	v_add_f64 v[6:7], v[16:17], 0
	s_waitcnt vmcnt(2)
	v_add_f64 v[4:5], v[12:13], -v[4:5]
	s_waitcnt vmcnt(0)
	v_add_f64 v[6:7], v[14:15], -v[6:7]
	buffer_store_dword v4, off, s[0:3], 0 offset:352
	buffer_store_dword v5, off, s[0:3], 0 offset:356
	;; [unrolled: 1-line block ×4, first 2 shown]
	s_and_saveexec_b64 s[6:7], vcc
	s_cbranch_execz .LBB23_115
; %bb.114:
	v_accvgpr_read_b32 v3, a2
	buffer_load_dword v4, v3, s[0:3], 0 offen
	buffer_load_dword v5, v3, s[0:3], 0 offen offset:4
	buffer_load_dword v6, v3, s[0:3], 0 offen offset:8
	;; [unrolled: 1-line block ×3, first 2 shown]
	s_nop 0
	buffer_store_dword v2, off, s[0:3], 0 offset:336
	buffer_store_dword v2, off, s[0:3], 0 offset:340
	;; [unrolled: 1-line block ×4, first 2 shown]
	s_waitcnt vmcnt(4)
	ds_write_b128 v157, v[4:7]
.LBB23_115:
	s_or_b64 exec, exec, s[6:7]
	s_waitcnt lgkmcnt(0)
	; wave barrier
	s_waitcnt lgkmcnt(0)
	buffer_load_dword v12, off, s[0:3], 0 offset:360
	buffer_load_dword v13, off, s[0:3], 0 offset:364
	;; [unrolled: 1-line block ×12, first 2 shown]
	ds_read_b128 v[4:7], v2 offset:736
	ds_read_b128 v[8:11], v2 offset:752
	v_cmp_lt_u32_e32 vcc, 20, v156
	s_waitcnt vmcnt(10) lgkmcnt(1)
	v_mul_f64 v[2:3], v[4:5], v[12:13]
	v_mul_f64 v[12:13], v[6:7], v[12:13]
	s_waitcnt vmcnt(8) lgkmcnt(0)
	v_mul_f64 v[72:73], v[8:9], v[14:15]
	v_mul_f64 v[14:15], v[10:11], v[14:15]
	s_waitcnt vmcnt(6)
	v_fma_f64 v[4:5], v[4:5], v[16:17], -v[12:13]
	v_fmac_f64_e32 v[2:3], v[6:7], v[16:17]
	s_waitcnt vmcnt(4)
	v_fma_f64 v[6:7], v[8:9], v[18:19], -v[14:15]
	v_add_f64 v[4:5], v[4:5], 0
	v_fmac_f64_e32 v[72:73], v[10:11], v[18:19]
	v_add_f64 v[2:3], v[2:3], 0
	v_add_f64 v[4:5], v[4:5], v[6:7]
	;; [unrolled: 1-line block ×3, first 2 shown]
	s_waitcnt vmcnt(2)
	v_add_f64 v[4:5], v[20:21], -v[4:5]
	s_waitcnt vmcnt(0)
	v_add_f64 v[2:3], v[70:71], -v[2:3]
	buffer_store_dword v4, off, s[0:3], 0 offset:336
	buffer_store_dword v5, off, s[0:3], 0 offset:340
	;; [unrolled: 1-line block ×4, first 2 shown]
	s_and_saveexec_b64 s[6:7], vcc
	s_cbranch_execz .LBB23_117
; %bb.116:
	v_accvgpr_read_b32 v5, a3
	buffer_load_dword v2, v5, s[0:3], 0 offen
	buffer_load_dword v3, v5, s[0:3], 0 offen offset:4
	buffer_load_dword v4, v5, s[0:3], 0 offen offset:8
	s_nop 0
	buffer_load_dword v5, v5, s[0:3], 0 offen offset:12
	v_mov_b32_e32 v6, 0
	buffer_store_dword v6, off, s[0:3], 0 offset:320
	buffer_store_dword v6, off, s[0:3], 0 offset:324
	;; [unrolled: 1-line block ×4, first 2 shown]
	s_waitcnt vmcnt(4)
	ds_write_b128 v157, v[2:5]
.LBB23_117:
	s_or_b64 exec, exec, s[6:7]
	s_waitcnt lgkmcnt(0)
	; wave barrier
	s_waitcnt lgkmcnt(0)
	buffer_load_dword v16, off, s[0:3], 0 offset:344
	buffer_load_dword v17, off, s[0:3], 0 offset:348
	;; [unrolled: 1-line block ×16, first 2 shown]
	v_mov_b32_e32 v2, 0
	ds_read_b128 v[4:7], v2 offset:720
	ds_read_b128 v[8:11], v2 offset:736
	ds_read_b128 v[12:15], v2 offset:752
	v_cmp_lt_u32_e32 vcc, 19, v156
	s_waitcnt vmcnt(14) lgkmcnt(2)
	v_mul_f64 v[80:81], v[4:5], v[16:17]
	v_mul_f64 v[16:17], v[6:7], v[16:17]
	s_waitcnt vmcnt(12) lgkmcnt(1)
	v_mul_f64 v[82:83], v[8:9], v[18:19]
	v_mul_f64 v[18:19], v[10:11], v[18:19]
	;; [unrolled: 3-line block ×3, first 2 shown]
	s_waitcnt vmcnt(8)
	v_fma_f64 v[4:5], v[4:5], v[70:71], -v[16:17]
	v_fmac_f64_e32 v[80:81], v[6:7], v[70:71]
	s_waitcnt vmcnt(6)
	v_fma_f64 v[6:7], v[8:9], v[72:73], -v[18:19]
	v_add_f64 v[4:5], v[4:5], 0
	v_fmac_f64_e32 v[82:83], v[10:11], v[72:73]
	s_waitcnt vmcnt(4)
	v_fma_f64 v[8:9], v[12:13], v[74:75], -v[20:21]
	v_add_f64 v[10:11], v[80:81], 0
	v_add_f64 v[4:5], v[4:5], v[6:7]
	v_fmac_f64_e32 v[84:85], v[14:15], v[74:75]
	v_add_f64 v[10:11], v[10:11], v[82:83]
	v_add_f64 v[4:5], v[4:5], v[8:9]
	;; [unrolled: 1-line block ×3, first 2 shown]
	s_waitcnt vmcnt(2)
	v_add_f64 v[4:5], v[76:77], -v[4:5]
	s_waitcnt vmcnt(0)
	v_add_f64 v[6:7], v[78:79], -v[6:7]
	buffer_store_dword v4, off, s[0:3], 0 offset:320
	buffer_store_dword v5, off, s[0:3], 0 offset:324
	;; [unrolled: 1-line block ×4, first 2 shown]
	s_and_saveexec_b64 s[6:7], vcc
	s_cbranch_execz .LBB23_119
; %bb.118:
	v_accvgpr_read_b32 v3, a4
	buffer_load_dword v4, v3, s[0:3], 0 offen
	buffer_load_dword v5, v3, s[0:3], 0 offen offset:4
	buffer_load_dword v6, v3, s[0:3], 0 offen offset:8
	;; [unrolled: 1-line block ×3, first 2 shown]
	s_nop 0
	buffer_store_dword v2, off, s[0:3], 0 offset:304
	buffer_store_dword v2, off, s[0:3], 0 offset:308
	;; [unrolled: 1-line block ×4, first 2 shown]
	s_waitcnt vmcnt(4)
	ds_write_b128 v157, v[4:7]
.LBB23_119:
	s_or_b64 exec, exec, s[6:7]
	s_waitcnt lgkmcnt(0)
	; wave barrier
	s_waitcnt lgkmcnt(0)
	buffer_load_dword v20, off, s[0:3], 0 offset:328
	buffer_load_dword v21, off, s[0:3], 0 offset:332
	;; [unrolled: 1-line block ×20, first 2 shown]
	ds_read_b128 v[4:7], v2 offset:704
	ds_read_b128 v[8:11], v2 offset:720
	;; [unrolled: 1-line block ×4, first 2 shown]
	v_cmp_lt_u32_e32 vcc, 18, v156
	s_waitcnt vmcnt(18) lgkmcnt(3)
	v_mul_f64 v[2:3], v[4:5], v[20:21]
	v_mul_f64 v[20:21], v[6:7], v[20:21]
	s_waitcnt vmcnt(16) lgkmcnt(2)
	v_mul_f64 v[88:89], v[8:9], v[70:71]
	v_mul_f64 v[70:71], v[10:11], v[70:71]
	;; [unrolled: 3-line block ×4, first 2 shown]
	s_waitcnt vmcnt(10)
	v_fma_f64 v[4:5], v[4:5], v[76:77], -v[20:21]
	v_fmac_f64_e32 v[2:3], v[6:7], v[76:77]
	s_waitcnt vmcnt(8)
	v_fma_f64 v[6:7], v[8:9], v[78:79], -v[70:71]
	v_add_f64 v[4:5], v[4:5], 0
	v_fmac_f64_e32 v[88:89], v[10:11], v[78:79]
	s_waitcnt vmcnt(6)
	v_fma_f64 v[8:9], v[12:13], v[80:81], -v[72:73]
	v_add_f64 v[2:3], v[2:3], 0
	v_add_f64 v[4:5], v[4:5], v[6:7]
	v_fmac_f64_e32 v[90:91], v[14:15], v[80:81]
	s_waitcnt vmcnt(4)
	v_fma_f64 v[10:11], v[16:17], v[82:83], -v[74:75]
	v_add_f64 v[2:3], v[2:3], v[88:89]
	v_add_f64 v[4:5], v[4:5], v[8:9]
	v_fmac_f64_e32 v[92:93], v[18:19], v[82:83]
	v_add_f64 v[2:3], v[2:3], v[90:91]
	v_add_f64 v[4:5], v[4:5], v[10:11]
	;; [unrolled: 1-line block ×3, first 2 shown]
	s_waitcnt vmcnt(2)
	v_add_f64 v[4:5], v[84:85], -v[4:5]
	s_waitcnt vmcnt(0)
	v_add_f64 v[2:3], v[86:87], -v[2:3]
	buffer_store_dword v4, off, s[0:3], 0 offset:304
	buffer_store_dword v5, off, s[0:3], 0 offset:308
	;; [unrolled: 1-line block ×4, first 2 shown]
	s_and_saveexec_b64 s[6:7], vcc
	s_cbranch_execz .LBB23_121
; %bb.120:
	v_accvgpr_read_b32 v5, a5
	buffer_load_dword v2, v5, s[0:3], 0 offen
	buffer_load_dword v3, v5, s[0:3], 0 offen offset:4
	buffer_load_dword v4, v5, s[0:3], 0 offen offset:8
	s_nop 0
	buffer_load_dword v5, v5, s[0:3], 0 offen offset:12
	v_mov_b32_e32 v6, 0
	buffer_store_dword v6, off, s[0:3], 0 offset:288
	buffer_store_dword v6, off, s[0:3], 0 offset:292
	;; [unrolled: 1-line block ×4, first 2 shown]
	s_waitcnt vmcnt(4)
	ds_write_b128 v157, v[2:5]
.LBB23_121:
	s_or_b64 exec, exec, s[6:7]
	v_mov_b32_e32 v2, 0
	s_waitcnt lgkmcnt(0)
	; wave barrier
	s_waitcnt lgkmcnt(0)
	ds_read_b128 v[4:7], v2 offset:688
	ds_read_b128 v[8:11], v2 offset:704
	;; [unrolled: 1-line block ×4, first 2 shown]
	buffer_load_dword v20, off, s[0:3], 0 offset:288
	buffer_load_dword v21, off, s[0:3], 0 offset:292
	;; [unrolled: 1-line block ×20, first 2 shown]
	v_cmp_lt_u32_e32 vcc, 17, v156
	s_waitcnt vmcnt(12) lgkmcnt(3)
	v_mul_f64 v[70:71], v[4:5], v[78:79]
	v_fmac_f64_e32 v[70:71], v[6:7], v[76:77]
	v_add_f64 v[70:71], v[70:71], 0
	v_mul_f64 v[6:7], v[6:7], v[78:79]
	s_waitcnt vmcnt(8) lgkmcnt(2)
	v_mul_f64 v[72:73], v[8:9], v[82:83]
	v_fmac_f64_e32 v[72:73], v[10:11], v[80:81]
	v_add_f64 v[70:71], v[70:71], v[72:73]
	v_fma_f64 v[4:5], v[4:5], v[76:77], -v[6:7]
	s_waitcnt vmcnt(4) lgkmcnt(1)
	v_mul_f64 v[72:73], v[12:13], v[86:87]
	v_fmac_f64_e32 v[72:73], v[14:15], v[84:85]
	v_add_f64 v[70:71], v[70:71], v[72:73]
	s_waitcnt vmcnt(0) lgkmcnt(0)
	v_mul_f64 v[72:73], v[16:17], v[90:91]
	v_fmac_f64_e32 v[72:73], v[18:19], v[88:89]
	v_add_f64 v[92:93], v[70:71], v[72:73]
	ds_read_b128 v[70:73], v2 offset:752
	buffer_load_dword v95, off, s[0:3], 0 offset:372
	buffer_load_dword v94, off, s[0:3], 0 offset:368
	buffer_load_dword v97, off, s[0:3], 0 offset:380
	buffer_load_dword v96, off, s[0:3], 0 offset:376
	v_mul_f64 v[6:7], v[10:11], v[82:83]
	v_add_f64 v[4:5], v[4:5], 0
	v_fma_f64 v[6:7], v[8:9], v[80:81], -v[6:7]
	v_add_f64 v[4:5], v[4:5], v[6:7]
	v_mul_f64 v[6:7], v[14:15], v[86:87]
	v_fma_f64 v[6:7], v[12:13], v[84:85], -v[6:7]
	v_add_f64 v[4:5], v[4:5], v[6:7]
	v_mul_f64 v[6:7], v[18:19], v[90:91]
	v_fma_f64 v[6:7], v[16:17], v[88:89], -v[6:7]
	v_add_f64 v[4:5], v[4:5], v[6:7]
	s_waitcnt vmcnt(0) lgkmcnt(0)
	v_mul_f64 v[6:7], v[72:73], v[96:97]
	v_mul_f64 v[98:99], v[70:71], v[96:97]
	v_fma_f64 v[6:7], v[70:71], v[94:95], -v[6:7]
	v_fmac_f64_e32 v[98:99], v[72:73], v[94:95]
	v_add_f64 v[4:5], v[4:5], v[6:7]
	v_add_f64 v[92:93], v[92:93], v[98:99]
	v_add_f64 v[4:5], v[20:21], -v[4:5]
	v_add_f64 v[6:7], v[74:75], -v[92:93]
	buffer_store_dword v5, off, s[0:3], 0 offset:292
	buffer_store_dword v4, off, s[0:3], 0 offset:288
	;; [unrolled: 1-line block ×4, first 2 shown]
	s_and_saveexec_b64 s[6:7], vcc
	s_cbranch_execz .LBB23_123
; %bb.122:
	v_accvgpr_read_b32 v3, a6
	buffer_load_dword v4, v3, s[0:3], 0 offen
	buffer_load_dword v5, v3, s[0:3], 0 offen offset:4
	buffer_load_dword v6, v3, s[0:3], 0 offen offset:8
	;; [unrolled: 1-line block ×3, first 2 shown]
	s_nop 0
	buffer_store_dword v2, off, s[0:3], 0 offset:272
	buffer_store_dword v2, off, s[0:3], 0 offset:276
	;; [unrolled: 1-line block ×4, first 2 shown]
	s_waitcnt vmcnt(4)
	ds_write_b128 v157, v[4:7]
.LBB23_123:
	s_or_b64 exec, exec, s[6:7]
	s_waitcnt lgkmcnt(0)
	; wave barrier
	s_waitcnt lgkmcnt(0)
	buffer_load_dword v20, off, s[0:3], 0 offset:296
	buffer_load_dword v21, off, s[0:3], 0 offset:300
	;; [unrolled: 1-line block ×28, first 2 shown]
	ds_read_b128 v[4:7], v2 offset:672
	ds_read_b128 v[8:11], v2 offset:688
	;; [unrolled: 1-line block ×6, first 2 shown]
	v_cmp_lt_u32_e32 vcc, 16, v156
	s_waitcnt vmcnt(26) lgkmcnt(5)
	v_mul_f64 v[2:3], v[4:5], v[20:21]
	v_mul_f64 v[20:21], v[6:7], v[20:21]
	s_waitcnt vmcnt(24) lgkmcnt(4)
	v_mul_f64 v[104:105], v[8:9], v[78:79]
	v_mul_f64 v[78:79], v[10:11], v[78:79]
	;; [unrolled: 3-line block ×4, first 2 shown]
	s_waitcnt vmcnt(17)
	v_mul_f64 v[108:109], v[16:17], v[86:87]
	v_mul_f64 v[86:87], v[18:19], v[86:87]
	s_waitcnt vmcnt(15) lgkmcnt(0)
	v_mul_f64 v[112:113], v[74:75], v[88:89]
	v_mul_f64 v[88:89], v[76:77], v[88:89]
	s_waitcnt vmcnt(14)
	v_fmac_f64_e32 v[110:111], v[72:73], v[84:85]
	s_waitcnt vmcnt(12)
	v_fma_f64 v[4:5], v[4:5], v[90:91], -v[20:21]
	v_fmac_f64_e32 v[2:3], v[6:7], v[90:91]
	s_waitcnt vmcnt(10)
	v_fma_f64 v[6:7], v[8:9], v[92:93], -v[78:79]
	v_add_f64 v[4:5], v[4:5], 0
	v_fmac_f64_e32 v[104:105], v[10:11], v[92:93]
	s_waitcnt vmcnt(8)
	v_fma_f64 v[8:9], v[12:13], v[94:95], -v[80:81]
	v_add_f64 v[2:3], v[2:3], 0
	v_add_f64 v[4:5], v[4:5], v[6:7]
	v_fmac_f64_e32 v[106:107], v[14:15], v[94:95]
	s_waitcnt vmcnt(6)
	v_fma_f64 v[10:11], v[16:17], v[96:97], -v[86:87]
	v_add_f64 v[2:3], v[2:3], v[104:105]
	v_add_f64 v[4:5], v[4:5], v[8:9]
	v_fmac_f64_e32 v[108:109], v[18:19], v[96:97]
	v_fma_f64 v[12:13], v[70:71], v[84:85], -v[82:83]
	v_add_f64 v[2:3], v[2:3], v[106:107]
	v_add_f64 v[4:5], v[4:5], v[10:11]
	s_waitcnt vmcnt(4)
	v_fma_f64 v[14:15], v[74:75], v[98:99], -v[88:89]
	v_add_f64 v[2:3], v[2:3], v[108:109]
	v_add_f64 v[4:5], v[4:5], v[12:13]
	v_fmac_f64_e32 v[112:113], v[76:77], v[98:99]
	v_add_f64 v[2:3], v[2:3], v[110:111]
	v_add_f64 v[4:5], v[4:5], v[14:15]
	;; [unrolled: 1-line block ×3, first 2 shown]
	s_waitcnt vmcnt(2)
	v_add_f64 v[4:5], v[100:101], -v[4:5]
	s_waitcnt vmcnt(0)
	v_add_f64 v[2:3], v[102:103], -v[2:3]
	buffer_store_dword v5, off, s[0:3], 0 offset:276
	buffer_store_dword v4, off, s[0:3], 0 offset:272
	;; [unrolled: 1-line block ×4, first 2 shown]
	s_and_saveexec_b64 s[6:7], vcc
	s_cbranch_execz .LBB23_125
; %bb.124:
	v_accvgpr_read_b32 v5, a7
	buffer_load_dword v2, v5, s[0:3], 0 offen
	buffer_load_dword v3, v5, s[0:3], 0 offen offset:4
	buffer_load_dword v4, v5, s[0:3], 0 offen offset:8
	s_nop 0
	buffer_load_dword v5, v5, s[0:3], 0 offen offset:12
	v_mov_b32_e32 v6, 0
	buffer_store_dword v6, off, s[0:3], 0 offset:256
	buffer_store_dword v6, off, s[0:3], 0 offset:260
	;; [unrolled: 1-line block ×4, first 2 shown]
	s_waitcnt vmcnt(4)
	ds_write_b128 v157, v[2:5]
.LBB23_125:
	s_or_b64 exec, exec, s[6:7]
	s_waitcnt lgkmcnt(0)
	; wave barrier
	s_waitcnt lgkmcnt(0)
	buffer_load_dword v20, off, s[0:3], 0 offset:280
	buffer_load_dword v21, off, s[0:3], 0 offset:284
	;; [unrolled: 1-line block ×32, first 2 shown]
	v_mov_b32_e32 v2, 0
	ds_read_b128 v[4:7], v2 offset:656
	ds_read_b128 v[8:11], v2 offset:672
	;; [unrolled: 1-line block ×7, first 2 shown]
	v_cmp_lt_u32_e32 vcc, 15, v156
	s_waitcnt vmcnt(30) lgkmcnt(6)
	v_mul_f64 v[112:113], v[4:5], v[20:21]
	v_mul_f64 v[20:21], v[6:7], v[20:21]
	s_waitcnt vmcnt(28) lgkmcnt(5)
	v_mul_f64 v[114:115], v[8:9], v[82:83]
	v_mul_f64 v[82:83], v[10:11], v[82:83]
	;; [unrolled: 3-line block ×4, first 2 shown]
	s_waitcnt vmcnt(21)
	v_mul_f64 v[118:119], v[16:17], v[90:91]
	v_mul_f64 v[90:91], v[18:19], v[90:91]
	s_waitcnt vmcnt(17) lgkmcnt(1)
	v_mul_f64 v[122:123], v[74:75], v[96:97]
	v_mul_f64 v[96:97], v[76:77], v[96:97]
	s_waitcnt vmcnt(16) lgkmcnt(0)
	v_mul_f64 v[124:125], v[78:79], v[92:93]
	v_mul_f64 v[92:93], v[80:81], v[92:93]
	s_waitcnt vmcnt(13)
	v_fma_f64 v[4:5], v[4:5], v[98:99], -v[20:21]
	v_fmac_f64_e32 v[112:113], v[6:7], v[98:99]
	s_waitcnt vmcnt(11)
	v_fma_f64 v[6:7], v[8:9], v[100:101], -v[82:83]
	v_add_f64 v[4:5], v[4:5], 0
	v_fmac_f64_e32 v[114:115], v[10:11], v[100:101]
	s_waitcnt vmcnt(9)
	v_fma_f64 v[8:9], v[12:13], v[102:103], -v[84:85]
	s_waitcnt vmcnt(7)
	v_fmac_f64_e32 v[118:119], v[18:19], v[104:105]
	v_add_f64 v[18:19], v[112:113], 0
	v_add_f64 v[4:5], v[4:5], v[6:7]
	v_fmac_f64_e32 v[116:117], v[14:15], v[102:103]
	v_fma_f64 v[10:11], v[16:17], v[104:105], -v[90:91]
	v_add_f64 v[18:19], v[18:19], v[114:115]
	v_add_f64 v[4:5], v[4:5], v[8:9]
	v_fma_f64 v[12:13], v[70:71], v[88:89], -v[86:87]
	v_add_f64 v[6:7], v[18:19], v[116:117]
	v_add_f64 v[4:5], v[4:5], v[10:11]
	v_fmac_f64_e32 v[120:121], v[72:73], v[88:89]
	s_waitcnt vmcnt(5)
	v_fma_f64 v[14:15], v[74:75], v[106:107], -v[96:97]
	v_add_f64 v[6:7], v[6:7], v[118:119]
	v_add_f64 v[4:5], v[4:5], v[12:13]
	v_fmac_f64_e32 v[122:123], v[76:77], v[106:107]
	s_waitcnt vmcnt(4)
	v_fma_f64 v[16:17], v[78:79], v[94:95], -v[92:93]
	v_add_f64 v[6:7], v[6:7], v[120:121]
	v_add_f64 v[4:5], v[4:5], v[14:15]
	v_fmac_f64_e32 v[124:125], v[80:81], v[94:95]
	v_add_f64 v[6:7], v[6:7], v[122:123]
	v_add_f64 v[4:5], v[4:5], v[16:17]
	;; [unrolled: 1-line block ×3, first 2 shown]
	s_waitcnt vmcnt(2)
	v_add_f64 v[4:5], v[108:109], -v[4:5]
	s_waitcnt vmcnt(0)
	v_add_f64 v[6:7], v[110:111], -v[6:7]
	buffer_store_dword v5, off, s[0:3], 0 offset:260
	buffer_store_dword v4, off, s[0:3], 0 offset:256
	;; [unrolled: 1-line block ×4, first 2 shown]
	s_and_saveexec_b64 s[6:7], vcc
	s_cbranch_execz .LBB23_127
; %bb.126:
	v_accvgpr_read_b32 v3, a8
	buffer_load_dword v4, v3, s[0:3], 0 offen
	buffer_load_dword v5, v3, s[0:3], 0 offen offset:4
	buffer_load_dword v6, v3, s[0:3], 0 offen offset:8
	;; [unrolled: 1-line block ×3, first 2 shown]
	s_nop 0
	buffer_store_dword v2, off, s[0:3], 0 offset:240
	buffer_store_dword v2, off, s[0:3], 0 offset:244
	;; [unrolled: 1-line block ×4, first 2 shown]
	s_waitcnt vmcnt(4)
	ds_write_b128 v157, v[4:7]
.LBB23_127:
	s_or_b64 exec, exec, s[6:7]
	s_waitcnt lgkmcnt(0)
	; wave barrier
	s_waitcnt lgkmcnt(0)
	buffer_load_dword v20, off, s[0:3], 0 offset:264
	buffer_load_dword v21, off, s[0:3], 0 offset:268
	;; [unrolled: 1-line block ×36, first 2 shown]
	ds_read_b128 v[4:7], v2 offset:640
	ds_read_b128 v[8:11], v2 offset:656
	ds_read_b128 v[12:15], v2 offset:672
	ds_read_b128 v[16:19], v2 offset:688
	ds_read_b128 v[70:73], v2 offset:704
	ds_read_b128 v[74:77], v2 offset:720
	ds_read_b128 v[78:81], v2 offset:736
	ds_read_b128 v[82:85], v2 offset:752
	v_cmp_lt_u32_e32 vcc, 14, v156
	s_waitcnt vmcnt(34) lgkmcnt(7)
	v_mul_f64 v[2:3], v[4:5], v[20:21]
	v_mul_f64 v[20:21], v[6:7], v[20:21]
	s_waitcnt vmcnt(32) lgkmcnt(6)
	v_mul_f64 v[120:121], v[8:9], v[86:87]
	v_mul_f64 v[86:87], v[10:11], v[86:87]
	;; [unrolled: 3-line block ×4, first 2 shown]
	s_waitcnt vmcnt(25)
	v_mul_f64 v[124:125], v[16:17], v[94:95]
	v_mul_f64 v[94:95], v[18:19], v[94:95]
	s_waitcnt vmcnt(23) lgkmcnt(1)
	v_mul_f64 v[130:131], v[78:79], v[96:97]
	v_mul_f64 v[96:97], v[80:81], v[96:97]
	s_waitcnt vmcnt(20)
	v_mul_f64 v[128:129], v[74:75], v[100:101]
	v_mul_f64 v[100:101], v[76:77], v[100:101]
	s_waitcnt vmcnt(18) lgkmcnt(0)
	v_mul_f64 v[132:133], v[82:83], v[102:103]
	s_waitcnt vmcnt(17)
	v_fmac_f64_e32 v[126:127], v[72:73], v[92:93]
	s_waitcnt vmcnt(16)
	v_fmac_f64_e32 v[130:131], v[80:81], v[98:99]
	s_waitcnt vmcnt(14)
	v_fma_f64 v[4:5], v[4:5], v[104:105], -v[20:21]
	v_fmac_f64_e32 v[2:3], v[6:7], v[104:105]
	s_waitcnt vmcnt(12)
	v_fma_f64 v[6:7], v[8:9], v[106:107], -v[86:87]
	v_add_f64 v[4:5], v[4:5], 0
	v_fmac_f64_e32 v[120:121], v[10:11], v[106:107]
	s_waitcnt vmcnt(10)
	v_fma_f64 v[8:9], v[12:13], v[108:109], -v[88:89]
	v_add_f64 v[2:3], v[2:3], 0
	v_add_f64 v[4:5], v[4:5], v[6:7]
	v_fmac_f64_e32 v[122:123], v[14:15], v[108:109]
	s_waitcnt vmcnt(8)
	v_fma_f64 v[10:11], v[16:17], v[110:111], -v[94:95]
	v_add_f64 v[2:3], v[2:3], v[120:121]
	v_add_f64 v[4:5], v[4:5], v[8:9]
	v_fmac_f64_e32 v[124:125], v[18:19], v[110:111]
	v_fma_f64 v[12:13], v[70:71], v[92:93], -v[90:91]
	v_add_f64 v[2:3], v[2:3], v[122:123]
	v_add_f64 v[4:5], v[4:5], v[10:11]
	s_waitcnt vmcnt(6)
	v_fma_f64 v[14:15], v[74:75], v[112:113], -v[100:101]
	v_add_f64 v[2:3], v[2:3], v[124:125]
	v_add_f64 v[4:5], v[4:5], v[12:13]
	v_fmac_f64_e32 v[128:129], v[76:77], v[112:113]
	v_fma_f64 v[16:17], v[78:79], v[98:99], -v[96:97]
	v_add_f64 v[2:3], v[2:3], v[126:127]
	v_add_f64 v[4:5], v[4:5], v[14:15]
	v_mul_f64 v[6:7], v[84:85], v[102:103]
	v_add_f64 v[2:3], v[2:3], v[128:129]
	v_add_f64 v[4:5], v[4:5], v[16:17]
	s_waitcnt vmcnt(4)
	v_fma_f64 v[6:7], v[82:83], v[114:115], -v[6:7]
	v_fmac_f64_e32 v[132:133], v[84:85], v[114:115]
	v_add_f64 v[2:3], v[2:3], v[130:131]
	v_add_f64 v[4:5], v[4:5], v[6:7]
	;; [unrolled: 1-line block ×3, first 2 shown]
	s_waitcnt vmcnt(2)
	v_add_f64 v[4:5], v[116:117], -v[4:5]
	s_waitcnt vmcnt(0)
	v_add_f64 v[2:3], v[118:119], -v[2:3]
	buffer_store_dword v5, off, s[0:3], 0 offset:244
	buffer_store_dword v4, off, s[0:3], 0 offset:240
	;; [unrolled: 1-line block ×4, first 2 shown]
	s_and_saveexec_b64 s[6:7], vcc
	s_cbranch_execz .LBB23_129
; %bb.128:
	v_accvgpr_read_b32 v5, a10
	buffer_load_dword v2, v5, s[0:3], 0 offen
	buffer_load_dword v3, v5, s[0:3], 0 offen offset:4
	buffer_load_dword v4, v5, s[0:3], 0 offen offset:8
	s_nop 0
	buffer_load_dword v5, v5, s[0:3], 0 offen offset:12
	v_mov_b32_e32 v6, 0
	buffer_store_dword v6, off, s[0:3], 0 offset:224
	buffer_store_dword v6, off, s[0:3], 0 offset:228
	;; [unrolled: 1-line block ×4, first 2 shown]
	s_waitcnt vmcnt(4)
	ds_write_b128 v157, v[2:5]
.LBB23_129:
	s_or_b64 exec, exec, s[6:7]
	v_mov_b32_e32 v92, 0
	s_waitcnt lgkmcnt(0)
	; wave barrier
	s_waitcnt lgkmcnt(0)
	ds_read_b128 v[14:17], v92 offset:624
	ds_read_b128 v[10:13], v92 offset:640
	;; [unrolled: 1-line block ×4, first 2 shown]
	buffer_load_dword v72, off, s[0:3], 0 offset:224
	buffer_load_dword v73, off, s[0:3], 0 offset:228
	;; [unrolled: 1-line block ×20, first 2 shown]
	v_cmp_lt_u32_e32 vcc, 13, v156
	s_waitcnt vmcnt(12) lgkmcnt(3)
	v_mul_f64 v[18:19], v[14:15], v[84:85]
	v_fmac_f64_e32 v[18:19], v[16:17], v[74:75]
	v_add_f64 v[18:19], v[18:19], 0
	v_mul_f64 v[16:17], v[16:17], v[84:85]
	s_waitcnt vmcnt(8) lgkmcnt(2)
	v_mul_f64 v[20:21], v[10:11], v[86:87]
	v_fmac_f64_e32 v[20:21], v[12:13], v[80:81]
	v_add_f64 v[18:19], v[18:19], v[20:21]
	v_fma_f64 v[14:15], v[14:15], v[74:75], -v[16:17]
	s_waitcnt vmcnt(4) lgkmcnt(1)
	v_mul_f64 v[20:21], v[6:7], v[88:89]
	v_fmac_f64_e32 v[20:21], v[8:9], v[82:83]
	v_add_f64 v[18:19], v[18:19], v[20:21]
	s_waitcnt vmcnt(0) lgkmcnt(0)
	v_mul_f64 v[20:21], v[2:3], v[90:91]
	v_fmac_f64_e32 v[20:21], v[4:5], v[78:79]
	v_add_f64 v[94:95], v[18:19], v[20:21]
	ds_read_b128 v[18:21], v92 offset:688
	buffer_load_dword v77, off, s[0:3], 0 offset:308
	buffer_load_dword v76, off, s[0:3], 0 offset:304
	;; [unrolled: 1-line block ×4, first 2 shown]
	v_mul_f64 v[12:13], v[12:13], v[86:87]
	v_add_f64 v[14:15], v[14:15], 0
	v_fma_f64 v[10:11], v[10:11], v[80:81], -v[12:13]
	v_mul_f64 v[8:9], v[8:9], v[88:89]
	v_add_f64 v[10:11], v[14:15], v[10:11]
	v_fma_f64 v[6:7], v[6:7], v[82:83], -v[8:9]
	;; [unrolled: 3-line block ×3, first 2 shown]
	v_add_f64 v[2:3], v[6:7], v[2:3]
	s_waitcnt vmcnt(0) lgkmcnt(0)
	v_mul_f64 v[96:97], v[18:19], v[110:111]
	v_fmac_f64_e32 v[96:97], v[20:21], v[76:77]
	v_add_f64 v[98:99], v[94:95], v[96:97]
	ds_read_b128 v[94:97], v92 offset:704
	buffer_load_dword v113, off, s[0:3], 0 offset:324
	buffer_load_dword v112, off, s[0:3], 0 offset:320
	buffer_load_dword v115, off, s[0:3], 0 offset:332
	buffer_load_dword v114, off, s[0:3], 0 offset:328
	v_mul_f64 v[4:5], v[20:21], v[110:111]
	v_fma_f64 v[4:5], v[18:19], v[76:77], -v[4:5]
	v_add_f64 v[2:3], v[2:3], v[4:5]
	s_waitcnt vmcnt(0) lgkmcnt(0)
	v_mul_f64 v[100:101], v[94:95], v[114:115]
	v_fmac_f64_e32 v[100:101], v[96:97], v[112:113]
	v_add_f64 v[102:103], v[98:99], v[100:101]
	ds_read_b128 v[98:101], v92 offset:720
	buffer_load_dword v117, off, s[0:3], 0 offset:340
	buffer_load_dword v116, off, s[0:3], 0 offset:336
	buffer_load_dword v119, off, s[0:3], 0 offset:348
	buffer_load_dword v118, off, s[0:3], 0 offset:344
	v_mul_f64 v[4:5], v[96:97], v[114:115]
	v_fma_f64 v[4:5], v[94:95], v[112:113], -v[4:5]
	;; [unrolled: 12-line block ×4, first 2 shown]
	v_add_f64 v[2:3], v[2:3], v[4:5]
	s_waitcnt vmcnt(0) lgkmcnt(0)
	v_mul_f64 v[4:5], v[108:109], v[128:129]
	v_mul_f64 v[130:131], v[106:107], v[128:129]
	v_fma_f64 v[4:5], v[106:107], v[126:127], -v[4:5]
	v_fmac_f64_e32 v[130:131], v[108:109], v[126:127]
	v_add_f64 v[2:3], v[2:3], v[4:5]
	v_add_f64 v[124:125], v[124:125], v[130:131]
	v_add_f64 v[2:3], v[72:73], -v[2:3]
	v_add_f64 v[4:5], v[70:71], -v[124:125]
	buffer_store_dword v3, off, s[0:3], 0 offset:228
	buffer_store_dword v2, off, s[0:3], 0 offset:224
	;; [unrolled: 1-line block ×4, first 2 shown]
	s_and_saveexec_b64 s[6:7], vcc
	s_cbranch_execz .LBB23_131
; %bb.130:
	v_accvgpr_read_b32 v5, a11
	buffer_load_dword v2, v5, s[0:3], 0 offen
	buffer_load_dword v3, v5, s[0:3], 0 offen offset:4
	buffer_load_dword v4, v5, s[0:3], 0 offen offset:8
	s_nop 0
	buffer_load_dword v5, v5, s[0:3], 0 offen offset:12
	s_nop 0
	buffer_store_dword v92, off, s[0:3], 0 offset:208
	buffer_store_dword v92, off, s[0:3], 0 offset:212
	;; [unrolled: 1-line block ×4, first 2 shown]
	s_waitcnt vmcnt(4)
	ds_write_b128 v157, v[2:5]
.LBB23_131:
	s_or_b64 exec, exec, s[6:7]
	s_waitcnt lgkmcnt(0)
	; wave barrier
	s_waitcnt lgkmcnt(0)
	ds_read_b128 v[14:17], v92 offset:608
	ds_read_b128 v[10:13], v92 offset:624
	;; [unrolled: 1-line block ×4, first 2 shown]
	buffer_load_dword v72, off, s[0:3], 0 offset:208
	buffer_load_dword v73, off, s[0:3], 0 offset:212
	;; [unrolled: 1-line block ×20, first 2 shown]
	v_cmp_lt_u32_e32 vcc, 12, v156
	s_waitcnt vmcnt(12) lgkmcnt(3)
	v_mul_f64 v[18:19], v[14:15], v[88:89]
	v_fmac_f64_e32 v[18:19], v[16:17], v[86:87]
	v_add_f64 v[18:19], v[18:19], 0
	v_mul_f64 v[16:17], v[16:17], v[88:89]
	s_waitcnt vmcnt(8) lgkmcnt(2)
	v_mul_f64 v[20:21], v[10:11], v[90:91]
	v_fmac_f64_e32 v[20:21], v[12:13], v[78:79]
	v_add_f64 v[18:19], v[18:19], v[20:21]
	v_fma_f64 v[14:15], v[14:15], v[86:87], -v[16:17]
	s_waitcnt vmcnt(4) lgkmcnt(1)
	v_mul_f64 v[20:21], v[6:7], v[76:77]
	v_fmac_f64_e32 v[20:21], v[8:9], v[74:75]
	v_add_f64 v[18:19], v[18:19], v[20:21]
	s_waitcnt vmcnt(0) lgkmcnt(0)
	v_mul_f64 v[20:21], v[2:3], v[82:83]
	v_fmac_f64_e32 v[20:21], v[4:5], v[80:81]
	v_add_f64 v[94:95], v[18:19], v[20:21]
	ds_read_b128 v[18:21], v92 offset:672
	buffer_load_dword v85, off, s[0:3], 0 offset:292
	buffer_load_dword v84, off, s[0:3], 0 offset:288
	;; [unrolled: 1-line block ×4, first 2 shown]
	v_mul_f64 v[12:13], v[12:13], v[90:91]
	v_add_f64 v[14:15], v[14:15], 0
	v_fma_f64 v[10:11], v[10:11], v[78:79], -v[12:13]
	v_mul_f64 v[8:9], v[8:9], v[76:77]
	v_add_f64 v[10:11], v[14:15], v[10:11]
	v_fma_f64 v[6:7], v[6:7], v[74:75], -v[8:9]
	;; [unrolled: 3-line block ×3, first 2 shown]
	v_add_f64 v[2:3], v[6:7], v[2:3]
	s_waitcnt vmcnt(0) lgkmcnt(0)
	v_mul_f64 v[96:97], v[18:19], v[114:115]
	v_fmac_f64_e32 v[96:97], v[20:21], v[84:85]
	v_add_f64 v[98:99], v[94:95], v[96:97]
	ds_read_b128 v[94:97], v92 offset:688
	buffer_load_dword v117, off, s[0:3], 0 offset:308
	buffer_load_dword v116, off, s[0:3], 0 offset:304
	buffer_load_dword v119, off, s[0:3], 0 offset:316
	buffer_load_dword v118, off, s[0:3], 0 offset:312
	v_mul_f64 v[4:5], v[20:21], v[114:115]
	v_fma_f64 v[4:5], v[18:19], v[84:85], -v[4:5]
	v_add_f64 v[2:3], v[2:3], v[4:5]
	s_waitcnt vmcnt(0) lgkmcnt(0)
	v_mul_f64 v[100:101], v[94:95], v[118:119]
	v_fmac_f64_e32 v[100:101], v[96:97], v[116:117]
	v_add_f64 v[102:103], v[98:99], v[100:101]
	ds_read_b128 v[98:101], v92 offset:704
	buffer_load_dword v121, off, s[0:3], 0 offset:324
	buffer_load_dword v120, off, s[0:3], 0 offset:320
	buffer_load_dword v123, off, s[0:3], 0 offset:332
	buffer_load_dword v122, off, s[0:3], 0 offset:328
	v_mul_f64 v[4:5], v[96:97], v[118:119]
	v_fma_f64 v[4:5], v[94:95], v[116:117], -v[4:5]
	;; [unrolled: 12-line block ×5, first 2 shown]
	v_add_f64 v[2:3], v[2:3], v[4:5]
	s_waitcnt vmcnt(0) lgkmcnt(0)
	v_mul_f64 v[4:5], v[112:113], v[158:159]
	v_mul_f64 v[160:161], v[110:111], v[158:159]
	v_fma_f64 v[4:5], v[110:111], v[92:93], -v[4:5]
	v_fmac_f64_e32 v[160:161], v[112:113], v[92:93]
	v_add_f64 v[2:3], v[2:3], v[4:5]
	v_add_f64 v[132:133], v[132:133], v[160:161]
	v_add_f64 v[2:3], v[72:73], -v[2:3]
	v_add_f64 v[4:5], v[70:71], -v[132:133]
	buffer_store_dword v3, off, s[0:3], 0 offset:212
	buffer_store_dword v2, off, s[0:3], 0 offset:208
	;; [unrolled: 1-line block ×4, first 2 shown]
	s_and_saveexec_b64 s[6:7], vcc
	s_cbranch_execz .LBB23_133
; %bb.132:
	v_accvgpr_read_b32 v5, a9
	buffer_load_dword v2, v5, s[0:3], 0 offen
	buffer_load_dword v3, v5, s[0:3], 0 offen offset:4
	buffer_load_dword v4, v5, s[0:3], 0 offen offset:8
	s_nop 0
	buffer_load_dword v5, v5, s[0:3], 0 offen offset:12
	v_mov_b32_e32 v6, 0
	buffer_store_dword v6, off, s[0:3], 0 offset:192
	buffer_store_dword v6, off, s[0:3], 0 offset:196
	;; [unrolled: 1-line block ×4, first 2 shown]
	s_waitcnt vmcnt(4)
	ds_write_b128 v157, v[2:5]
.LBB23_133:
	s_or_b64 exec, exec, s[6:7]
	s_waitcnt lgkmcnt(0)
	; wave barrier
	s_waitcnt lgkmcnt(0)
	buffer_load_dword v2, off, s[0:3], 0 offset:208
	buffer_load_dword v3, off, s[0:3], 0 offset:212
	;; [unrolled: 1-line block ×48, first 2 shown]
	v_mov_b32_e32 v12, 0
	ds_read_b128 v[14:17], v12 offset:592
	ds_read_b128 v[18:21], v12 offset:608
	;; [unrolled: 1-line block ×11, first 2 shown]
	v_cmp_lt_u32_e32 vcc, 11, v156
	s_waitcnt vmcnt(44) lgkmcnt(10)
	v_mul_f64 v[168:169], v[14:15], v[6:7]
	v_mul_f64 v[6:7], v[16:17], v[6:7]
	v_fmac_f64_e32 v[168:169], v[16:17], v[2:3]
	v_fma_f64 v[2:3], v[14:15], v[2:3], -v[6:7]
	s_waitcnt vmcnt(40) lgkmcnt(9)
	v_mul_f64 v[170:171], v[18:19], v[8:9]
	v_mul_f64 v[6:7], v[20:21], v[8:9]
	v_fmac_f64_e32 v[170:171], v[20:21], v[4:5]
	v_add_f64 v[2:3], v[2:3], 0
	v_fma_f64 v[4:5], v[18:19], v[4:5], -v[6:7]
	v_add_f64 v[2:3], v[2:3], v[4:5]
	s_waitcnt vmcnt(38) lgkmcnt(8)
	v_mul_f64 v[4:5], v[72:73], v[10:11]
	v_mul_f64 v[172:173], v[70:71], v[10:11]
	v_add_f64 v[168:169], v[168:169], 0
	s_waitcnt vmcnt(32) lgkmcnt(7)
	v_mul_f64 v[174:175], v[74:75], v[110:111]
	v_add_f64 v[168:169], v[168:169], v[170:171]
	s_waitcnt lgkmcnt(6)
	v_mul_f64 v[176:177], v[78:79], v[106:107]
	v_fmac_f64_e32 v[176:177], v[80:81], v[108:109]
	s_waitcnt vmcnt(30) lgkmcnt(4)
	v_mul_f64 v[180:181], v[86:87], v[112:113]
	s_waitcnt vmcnt(26)
	v_mul_f64 v[178:179], v[82:83], v[116:117]
	v_fmac_f64_e32 v[180:181], v[88:89], v[114:115]
	s_waitcnt vmcnt(24) lgkmcnt(2)
	v_mul_f64 v[184:185], v[94:95], v[118:119]
	s_waitcnt vmcnt(22)
	v_fmac_f64_e32 v[184:185], v[96:97], v[120:121]
	s_waitcnt vmcnt(20)
	v_mul_f64 v[182:183], v[90:91], v[122:123]
	s_waitcnt vmcnt(16) lgkmcnt(1)
	v_mul_f64 v[186:187], v[98:99], v[128:129]
	s_waitcnt vmcnt(14)
	v_fma_f64 v[4:5], v[70:71], v[130:131], -v[4:5]
	v_add_f64 v[2:3], v[2:3], v[4:5]
	v_mul_f64 v[4:5], v[76:77], v[110:111]
	s_waitcnt vmcnt(12)
	v_fma_f64 v[4:5], v[74:75], v[132:133], -v[4:5]
	v_add_f64 v[2:3], v[2:3], v[4:5]
	v_mul_f64 v[4:5], v[80:81], v[106:107]
	v_fma_f64 v[4:5], v[78:79], v[108:109], -v[4:5]
	v_add_f64 v[2:3], v[2:3], v[4:5]
	v_mul_f64 v[4:5], v[84:85], v[116:117]
	s_waitcnt vmcnt(10)
	v_fma_f64 v[4:5], v[82:83], v[158:159], -v[4:5]
	v_add_f64 v[2:3], v[2:3], v[4:5]
	v_mul_f64 v[4:5], v[88:89], v[112:113]
	v_fma_f64 v[4:5], v[86:87], v[114:115], -v[4:5]
	v_fmac_f64_e32 v[172:173], v[72:73], v[130:131]
	v_add_f64 v[2:3], v[2:3], v[4:5]
	v_mul_f64 v[4:5], v[92:93], v[122:123]
	v_fmac_f64_e32 v[174:175], v[76:77], v[132:133]
	v_add_f64 v[168:169], v[168:169], v[172:173]
	s_waitcnt vmcnt(8)
	v_fma_f64 v[4:5], v[90:91], v[160:161], -v[4:5]
	v_add_f64 v[168:169], v[168:169], v[174:175]
	v_add_f64 v[2:3], v[2:3], v[4:5]
	v_mul_f64 v[4:5], v[96:97], v[118:119]
	v_fmac_f64_e32 v[178:179], v[84:85], v[158:159]
	v_add_f64 v[168:169], v[168:169], v[176:177]
	v_fma_f64 v[4:5], v[94:95], v[120:121], -v[4:5]
	v_add_f64 v[168:169], v[168:169], v[178:179]
	v_add_f64 v[2:3], v[2:3], v[4:5]
	v_mul_f64 v[4:5], v[100:101], v[128:129]
	v_fmac_f64_e32 v[182:183], v[92:93], v[160:161]
	v_add_f64 v[168:169], v[168:169], v[180:181]
	s_waitcnt vmcnt(6)
	v_fma_f64 v[4:5], v[98:99], v[162:163], -v[4:5]
	v_add_f64 v[168:169], v[168:169], v[182:183]
	v_add_f64 v[2:3], v[2:3], v[4:5]
	s_waitcnt vmcnt(5) lgkmcnt(0)
	v_mul_f64 v[4:5], v[104:105], v[124:125]
	v_fmac_f64_e32 v[186:187], v[100:101], v[162:163]
	v_add_f64 v[168:169], v[168:169], v[184:185]
	v_mul_f64 v[170:171], v[102:103], v[124:125]
	s_waitcnt vmcnt(4)
	v_fma_f64 v[4:5], v[102:103], v[126:127], -v[4:5]
	v_add_f64 v[168:169], v[168:169], v[186:187]
	v_fmac_f64_e32 v[170:171], v[104:105], v[126:127]
	v_add_f64 v[2:3], v[2:3], v[4:5]
	v_add_f64 v[168:169], v[168:169], v[170:171]
	s_waitcnt vmcnt(2)
	v_add_f64 v[2:3], v[164:165], -v[2:3]
	s_waitcnt vmcnt(0)
	v_add_f64 v[4:5], v[166:167], -v[168:169]
	buffer_store_dword v3, off, s[0:3], 0 offset:196
	buffer_store_dword v2, off, s[0:3], 0 offset:192
	;; [unrolled: 1-line block ×4, first 2 shown]
	s_and_saveexec_b64 s[6:7], vcc
	s_cbranch_execz .LBB23_135
; %bb.134:
	buffer_load_dword v2, v1, s[0:3], 0 offen
	buffer_load_dword v3, v1, s[0:3], 0 offen offset:4
	buffer_load_dword v4, v1, s[0:3], 0 offen offset:8
	;; [unrolled: 1-line block ×3, first 2 shown]
	s_nop 0
	buffer_store_dword v12, off, s[0:3], 0 offset:176
	buffer_store_dword v12, off, s[0:3], 0 offset:180
	;; [unrolled: 1-line block ×4, first 2 shown]
	s_waitcnt vmcnt(4)
	ds_write_b128 v157, v[2:5]
.LBB23_135:
	s_or_b64 exec, exec, s[6:7]
	s_waitcnt lgkmcnt(0)
	; wave barrier
	s_waitcnt lgkmcnt(0)
	buffer_load_dword v2, off, s[0:3], 0 offset:192
	buffer_load_dword v3, off, s[0:3], 0 offset:196
	;; [unrolled: 1-line block ×52, first 2 shown]
	ds_read_b128 v[14:17], v12 offset:576
	ds_read_b128 v[18:21], v12 offset:592
	;; [unrolled: 1-line block ×10, first 2 shown]
	v_cmp_lt_u32_e32 vcc, 10, v156
	s_waitcnt vmcnt(48) lgkmcnt(9)
	v_mul_f64 v[102:103], v[14:15], v[6:7]
	v_mul_f64 v[6:7], v[16:17], v[6:7]
	v_fmac_f64_e32 v[102:103], v[16:17], v[2:3]
	v_fma_f64 v[2:3], v[14:15], v[2:3], -v[6:7]
	s_waitcnt vmcnt(44) lgkmcnt(8)
	v_mul_f64 v[104:105], v[18:19], v[8:9]
	v_mul_f64 v[6:7], v[20:21], v[8:9]
	v_fmac_f64_e32 v[104:105], v[20:21], v[4:5]
	v_add_f64 v[2:3], v[2:3], 0
	v_fma_f64 v[4:5], v[18:19], v[4:5], -v[6:7]
	v_add_f64 v[2:3], v[2:3], v[4:5]
	s_waitcnt vmcnt(42) lgkmcnt(7)
	v_mul_f64 v[4:5], v[72:73], v[10:11]
	v_mul_f64 v[106:107], v[70:71], v[10:11]
	v_add_f64 v[102:103], v[102:103], 0
	s_waitcnt vmcnt(36) lgkmcnt(6)
	v_mul_f64 v[108:109], v[74:75], v[114:115]
	v_add_f64 v[102:103], v[102:103], v[104:105]
	s_waitcnt lgkmcnt(5)
	v_mul_f64 v[176:177], v[78:79], v[110:111]
	v_fmac_f64_e32 v[176:177], v[80:81], v[112:113]
	s_waitcnt vmcnt(34) lgkmcnt(3)
	v_mul_f64 v[180:181], v[86:87], v[116:117]
	s_waitcnt vmcnt(30)
	v_mul_f64 v[178:179], v[82:83], v[120:121]
	v_fmac_f64_e32 v[180:181], v[88:89], v[118:119]
	s_waitcnt vmcnt(26) lgkmcnt(2)
	v_mul_f64 v[182:183], v[90:91], v[126:127]
	s_waitcnt vmcnt(25) lgkmcnt(1)
	v_mul_f64 v[184:185], v[94:95], v[122:123]
	s_waitcnt vmcnt(23)
	v_fma_f64 v[4:5], v[70:71], v[128:129], -v[4:5]
	v_add_f64 v[2:3], v[2:3], v[4:5]
	v_mul_f64 v[4:5], v[76:77], v[114:115]
	s_waitcnt vmcnt(21)
	v_fma_f64 v[4:5], v[74:75], v[130:131], -v[4:5]
	v_fmac_f64_e32 v[106:107], v[72:73], v[128:129]
	v_add_f64 v[2:3], v[2:3], v[4:5]
	v_mul_f64 v[4:5], v[80:81], v[110:111]
	v_fmac_f64_e32 v[108:109], v[76:77], v[130:131]
	v_add_f64 v[102:103], v[102:103], v[106:107]
	v_fma_f64 v[4:5], v[78:79], v[112:113], -v[4:5]
	v_add_f64 v[102:103], v[102:103], v[108:109]
	v_add_f64 v[2:3], v[2:3], v[4:5]
	v_mul_f64 v[4:5], v[84:85], v[120:121]
	s_waitcnt vmcnt(19)
	v_fmac_f64_e32 v[178:179], v[84:85], v[132:133]
	v_add_f64 v[102:103], v[102:103], v[176:177]
	v_fma_f64 v[4:5], v[82:83], v[132:133], -v[4:5]
	v_add_f64 v[102:103], v[102:103], v[178:179]
	v_add_f64 v[2:3], v[2:3], v[4:5]
	v_mul_f64 v[4:5], v[88:89], v[116:117]
	s_waitcnt vmcnt(17)
	v_fmac_f64_e32 v[182:183], v[92:93], v[158:159]
	v_add_f64 v[102:103], v[102:103], v[180:181]
	v_fma_f64 v[4:5], v[86:87], v[118:119], -v[4:5]
	s_waitcnt vmcnt(16)
	v_fmac_f64_e32 v[184:185], v[96:97], v[124:125]
	v_add_f64 v[102:103], v[102:103], v[182:183]
	v_add_f64 v[2:3], v[2:3], v[4:5]
	v_mul_f64 v[4:5], v[92:93], v[126:127]
	v_add_f64 v[176:177], v[102:103], v[184:185]
	ds_read_b128 v[102:105], v12 offset:736
	ds_read_b128 v[106:109], v12 offset:752
	v_fma_f64 v[4:5], v[90:91], v[158:159], -v[4:5]
	v_add_f64 v[2:3], v[2:3], v[4:5]
	v_mul_f64 v[4:5], v[96:97], v[122:123]
	v_fma_f64 v[4:5], v[94:95], v[124:125], -v[4:5]
	v_add_f64 v[2:3], v[2:3], v[4:5]
	s_waitcnt vmcnt(12) lgkmcnt(2)
	v_mul_f64 v[4:5], v[100:101], v[164:165]
	v_mul_f64 v[178:179], v[98:99], v[164:165]
	s_waitcnt vmcnt(10)
	v_fma_f64 v[4:5], v[98:99], v[166:167], -v[4:5]
	v_fmac_f64_e32 v[178:179], v[100:101], v[166:167]
	v_add_f64 v[2:3], v[2:3], v[4:5]
	s_waitcnt vmcnt(8) lgkmcnt(1)
	v_mul_f64 v[4:5], v[104:105], v[160:161]
	v_add_f64 v[12:13], v[176:177], v[178:179]
	v_mul_f64 v[176:177], v[102:103], v[160:161]
	v_fma_f64 v[4:5], v[102:103], v[162:163], -v[4:5]
	v_fmac_f64_e32 v[176:177], v[104:105], v[162:163]
	v_add_f64 v[2:3], v[2:3], v[4:5]
	s_waitcnt vmcnt(6) lgkmcnt(0)
	v_mul_f64 v[4:5], v[108:109], v[168:169]
	v_add_f64 v[12:13], v[12:13], v[176:177]
	v_mul_f64 v[176:177], v[106:107], v[168:169]
	s_waitcnt vmcnt(4)
	v_fma_f64 v[4:5], v[106:107], v[170:171], -v[4:5]
	v_fmac_f64_e32 v[176:177], v[108:109], v[170:171]
	v_add_f64 v[2:3], v[2:3], v[4:5]
	v_add_f64 v[12:13], v[12:13], v[176:177]
	s_waitcnt vmcnt(2)
	v_add_f64 v[2:3], v[172:173], -v[2:3]
	s_waitcnt vmcnt(0)
	v_add_f64 v[4:5], v[174:175], -v[12:13]
	buffer_store_dword v3, off, s[0:3], 0 offset:180
	buffer_store_dword v2, off, s[0:3], 0 offset:176
	buffer_store_dword v5, off, s[0:3], 0 offset:188
	buffer_store_dword v4, off, s[0:3], 0 offset:184
	s_and_saveexec_b64 s[6:7], vcc
	s_cbranch_execz .LBB23_137
; %bb.136:
	buffer_load_dword v2, v149, s[0:3], 0 offen
	buffer_load_dword v3, v149, s[0:3], 0 offen offset:4
	buffer_load_dword v4, v149, s[0:3], 0 offen offset:8
	;; [unrolled: 1-line block ×3, first 2 shown]
	v_mov_b32_e32 v6, 0
	buffer_store_dword v6, off, s[0:3], 0 offset:160
	buffer_store_dword v6, off, s[0:3], 0 offset:164
	;; [unrolled: 1-line block ×4, first 2 shown]
	s_waitcnt vmcnt(4)
	ds_write_b128 v157, v[2:5]
.LBB23_137:
	s_or_b64 exec, exec, s[6:7]
	s_waitcnt lgkmcnt(0)
	; wave barrier
	s_waitcnt lgkmcnt(0)
	buffer_load_dword v2, off, s[0:3], 0 offset:176
	buffer_load_dword v3, off, s[0:3], 0 offset:180
	;; [unrolled: 1-line block ×56, first 2 shown]
	v_mov_b32_e32 v72, 0
	ds_read_b128 v[18:21], v72 offset:560
	ds_read_b128 v[74:77], v72 offset:576
	;; [unrolled: 1-line block ×9, first 2 shown]
	v_cmp_lt_u32_e32 vcc, 9, v156
	s_waitcnt vmcnt(52) lgkmcnt(8)
	v_mul_f64 v[102:103], v[18:19], v[6:7]
	v_fmac_f64_e32 v[102:103], v[20:21], v[2:3]
	v_mul_f64 v[6:7], v[20:21], v[6:7]
	v_add_f64 v[102:103], v[102:103], 0
	s_waitcnt vmcnt(48) lgkmcnt(7)
	v_mul_f64 v[104:105], v[74:75], v[8:9]
	v_fmac_f64_e32 v[104:105], v[76:77], v[4:5]
	s_waitcnt vmcnt(46) lgkmcnt(6)
	v_mul_f64 v[106:107], v[78:79], v[10:11]
	v_fma_f64 v[2:3], v[18:19], v[2:3], -v[6:7]
	v_mul_f64 v[6:7], v[76:77], v[8:9]
	v_add_f64 v[102:103], v[102:103], v[104:105]
	v_add_f64 v[2:3], v[2:3], 0
	v_fma_f64 v[4:5], v[74:75], v[4:5], -v[6:7]
	s_waitcnt vmcnt(40) lgkmcnt(5)
	v_mul_f64 v[108:109], v[82:83], v[16:17]
	s_waitcnt lgkmcnt(4)
	v_mul_f64 v[110:111], v[86:87], v[12:13]
	v_add_f64 v[2:3], v[2:3], v[4:5]
	v_mul_f64 v[4:5], v[80:81], v[10:11]
	s_waitcnt vmcnt(36) lgkmcnt(3)
	v_mul_f64 v[112:113], v[90:91], v[124:125]
	v_fmac_f64_e32 v[110:111], v[88:89], v[14:15]
	s_waitcnt vmcnt(35) lgkmcnt(2)
	v_mul_f64 v[114:115], v[94:95], v[70:71]
	s_waitcnt vmcnt(33)
	v_fmac_f64_e32 v[106:107], v[80:81], v[126:127]
	v_add_f64 v[102:103], v[102:103], v[106:107]
	s_waitcnt vmcnt(31)
	v_fmac_f64_e32 v[108:109], v[84:85], v[128:129]
	v_add_f64 v[102:103], v[102:103], v[108:109]
	v_fma_f64 v[4:5], v[78:79], v[126:127], -v[4:5]
	s_waitcnt vmcnt(29)
	v_fmac_f64_e32 v[112:113], v[92:93], v[130:131]
	v_add_f64 v[102:103], v[102:103], v[110:111]
	v_add_f64 v[2:3], v[2:3], v[4:5]
	v_mul_f64 v[4:5], v[84:85], v[16:17]
	s_waitcnt vmcnt(28)
	v_fmac_f64_e32 v[114:115], v[96:97], v[122:123]
	v_add_f64 v[102:103], v[102:103], v[112:113]
	v_fma_f64 v[4:5], v[82:83], v[128:129], -v[4:5]
	v_add_f64 v[106:107], v[102:103], v[114:115]
	ds_read_b128 v[102:105], v72 offset:688
	s_waitcnt vmcnt(24) lgkmcnt(2)
	v_mul_f64 v[108:109], v[98:99], v[160:161]
	v_add_f64 v[2:3], v[2:3], v[4:5]
	v_mul_f64 v[4:5], v[88:89], v[12:13]
	s_waitcnt vmcnt(22)
	v_fmac_f64_e32 v[108:109], v[100:101], v[162:163]
	v_fma_f64 v[4:5], v[86:87], v[14:15], -v[4:5]
	v_add_f64 v[110:111], v[106:107], v[108:109]
	ds_read_b128 v[106:109], v72 offset:704
	v_add_f64 v[2:3], v[2:3], v[4:5]
	v_mul_f64 v[4:5], v[92:93], v[124:125]
	v_fma_f64 v[4:5], v[90:91], v[130:131], -v[4:5]
	v_add_f64 v[2:3], v[2:3], v[4:5]
	v_mul_f64 v[4:5], v[96:97], v[70:71]
	s_waitcnt vmcnt(20) lgkmcnt(1)
	v_mul_f64 v[112:113], v[102:103], v[132:133]
	v_fma_f64 v[4:5], v[94:95], v[122:123], -v[4:5]
	v_fmac_f64_e32 v[112:113], v[104:105], v[158:159]
	v_add_f64 v[2:3], v[2:3], v[4:5]
	v_mul_f64 v[4:5], v[100:101], v[160:161]
	v_add_f64 v[114:115], v[110:111], v[112:113]
	ds_read_b128 v[110:113], v72 offset:720
	s_waitcnt vmcnt(16) lgkmcnt(1)
	v_mul_f64 v[116:117], v[106:107], v[168:169]
	v_fma_f64 v[4:5], v[98:99], v[162:163], -v[4:5]
	s_waitcnt vmcnt(14)
	v_fmac_f64_e32 v[116:117], v[108:109], v[170:171]
	v_add_f64 v[2:3], v[2:3], v[4:5]
	v_mul_f64 v[4:5], v[104:105], v[132:133]
	v_add_f64 v[184:185], v[114:115], v[116:117]
	ds_read_b128 v[114:117], v72 offset:736
	v_fma_f64 v[4:5], v[102:103], v[158:159], -v[4:5]
	v_add_f64 v[2:3], v[2:3], v[4:5]
	v_mul_f64 v[4:5], v[108:109], v[168:169]
	v_fma_f64 v[4:5], v[106:107], v[170:171], -v[4:5]
	v_add_f64 v[2:3], v[2:3], v[4:5]
	s_waitcnt vmcnt(12) lgkmcnt(1)
	v_mul_f64 v[4:5], v[112:113], v[164:165]
	v_mul_f64 v[186:187], v[110:111], v[164:165]
	v_fma_f64 v[4:5], v[110:111], v[166:167], -v[4:5]
	v_fmac_f64_e32 v[186:187], v[112:113], v[166:167]
	v_add_f64 v[2:3], v[2:3], v[4:5]
	s_waitcnt vmcnt(8) lgkmcnt(0)
	v_mul_f64 v[4:5], v[116:117], v[176:177]
	v_add_f64 v[184:185], v[184:185], v[186:187]
	v_mul_f64 v[186:187], v[114:115], v[176:177]
	s_waitcnt vmcnt(6)
	v_fma_f64 v[4:5], v[114:115], v[178:179], -v[4:5]
	v_fmac_f64_e32 v[186:187], v[116:117], v[178:179]
	v_add_f64 v[2:3], v[2:3], v[4:5]
	s_waitcnt vmcnt(5)
	v_mul_f64 v[4:5], v[120:121], v[172:173]
	v_add_f64 v[184:185], v[184:185], v[186:187]
	v_mul_f64 v[186:187], v[118:119], v[172:173]
	s_waitcnt vmcnt(4)
	v_fma_f64 v[4:5], v[118:119], v[174:175], -v[4:5]
	v_fmac_f64_e32 v[186:187], v[120:121], v[174:175]
	v_add_f64 v[2:3], v[2:3], v[4:5]
	v_add_f64 v[184:185], v[184:185], v[186:187]
	s_waitcnt vmcnt(2)
	v_add_f64 v[2:3], v[180:181], -v[2:3]
	s_waitcnt vmcnt(0)
	v_add_f64 v[4:5], v[182:183], -v[184:185]
	buffer_store_dword v3, off, s[0:3], 0 offset:164
	buffer_store_dword v2, off, s[0:3], 0 offset:160
	;; [unrolled: 1-line block ×4, first 2 shown]
	s_and_saveexec_b64 s[6:7], vcc
	s_cbranch_execz .LBB23_139
; %bb.138:
	buffer_load_dword v2, v147, s[0:3], 0 offen
	buffer_load_dword v3, v147, s[0:3], 0 offen offset:4
	buffer_load_dword v4, v147, s[0:3], 0 offen offset:8
	;; [unrolled: 1-line block ×3, first 2 shown]
	s_nop 0
	buffer_store_dword v72, off, s[0:3], 0 offset:144
	buffer_store_dword v72, off, s[0:3], 0 offset:148
	;; [unrolled: 1-line block ×4, first 2 shown]
	s_waitcnt vmcnt(4)
	ds_write_b128 v157, v[2:5]
.LBB23_139:
	s_or_b64 exec, exec, s[6:7]
	s_waitcnt lgkmcnt(0)
	; wave barrier
	s_waitcnt lgkmcnt(0)
	buffer_load_dword v2, off, s[0:3], 0 offset:160
	buffer_load_dword v3, off, s[0:3], 0 offset:164
	;; [unrolled: 1-line block ×60, first 2 shown]
	ds_read_b128 v[74:77], v72 offset:544
	ds_read_b128 v[78:81], v72 offset:560
	;; [unrolled: 1-line block ×8, first 2 shown]
	v_cmp_lt_u32_e32 vcc, 8, v156
	ds_read_b128 v[126:129], v72 offset:752
	s_waitcnt vmcnt(56) lgkmcnt(8)
	v_mul_f64 v[106:107], v[74:75], v[6:7]
	v_fmac_f64_e32 v[106:107], v[76:77], v[2:3]
	v_add_f64 v[106:107], v[106:107], 0
	v_mul_f64 v[6:7], v[76:77], v[6:7]
	s_waitcnt vmcnt(52) lgkmcnt(7)
	v_mul_f64 v[108:109], v[78:79], v[8:9]
	v_fmac_f64_e32 v[108:109], v[80:81], v[4:5]
	s_waitcnt vmcnt(50) lgkmcnt(6)
	v_mul_f64 v[110:111], v[82:83], v[10:11]
	v_add_f64 v[106:107], v[106:107], v[108:109]
	s_waitcnt vmcnt(48) lgkmcnt(4)
	v_mul_f64 v[114:115], v[90:91], v[12:13]
	v_fma_f64 v[2:3], v[74:75], v[2:3], -v[6:7]
	s_waitcnt vmcnt(46)
	v_fmac_f64_e32 v[114:115], v[92:93], v[14:15]
	v_mul_f64 v[6:7], v[80:81], v[8:9]
	s_waitcnt vmcnt(44)
	v_mul_f64 v[112:113], v[86:87], v[16:17]
	v_add_f64 v[2:3], v[2:3], 0
	v_fma_f64 v[4:5], v[78:79], v[4:5], -v[6:7]
	v_add_f64 v[2:3], v[2:3], v[4:5]
	s_waitcnt vmcnt(40) lgkmcnt(3)
	v_mul_f64 v[116:117], v[94:95], v[70:71]
	v_mul_f64 v[4:5], v[84:85], v[10:11]
	s_waitcnt vmcnt(38)
	v_fmac_f64_e32 v[110:111], v[84:85], v[130:131]
	v_add_f64 v[106:107], v[106:107], v[110:111]
	s_waitcnt vmcnt(36)
	v_fmac_f64_e32 v[112:113], v[88:89], v[132:133]
	v_add_f64 v[106:107], v[106:107], v[112:113]
	;; [unrolled: 3-line block ×3, first 2 shown]
	s_waitcnt vmcnt(32) lgkmcnt(2)
	v_mul_f64 v[108:109], v[98:99], v[18:19]
	v_add_f64 v[106:107], v[106:107], v[116:117]
	v_fmac_f64_e32 v[108:109], v[100:101], v[20:21]
	v_add_f64 v[110:111], v[106:107], v[108:109]
	ds_read_b128 v[106:109], v72 offset:672
	v_fma_f64 v[4:5], v[82:83], v[130:131], -v[4:5]
	v_add_f64 v[2:3], v[2:3], v[4:5]
	v_mul_f64 v[4:5], v[88:89], v[16:17]
	v_fma_f64 v[4:5], v[86:87], v[132:133], -v[4:5]
	s_waitcnt vmcnt(28) lgkmcnt(2)
	v_mul_f64 v[112:113], v[102:103], v[164:165]
	v_add_f64 v[2:3], v[2:3], v[4:5]
	v_mul_f64 v[4:5], v[92:93], v[12:13]
	s_waitcnt vmcnt(26)
	v_fmac_f64_e32 v[112:113], v[104:105], v[166:167]
	v_fma_f64 v[4:5], v[90:91], v[14:15], -v[4:5]
	v_add_f64 v[114:115], v[110:111], v[112:113]
	ds_read_b128 v[110:113], v72 offset:688
	s_waitcnt vmcnt(24) lgkmcnt(1)
	v_mul_f64 v[116:117], v[106:107], v[160:161]
	v_add_f64 v[2:3], v[2:3], v[4:5]
	v_mul_f64 v[4:5], v[96:97], v[70:71]
	v_fmac_f64_e32 v[116:117], v[108:109], v[162:163]
	v_fma_f64 v[4:5], v[94:95], v[158:159], -v[4:5]
	v_add_f64 v[118:119], v[114:115], v[116:117]
	ds_read_b128 v[114:117], v72 offset:704
	v_add_f64 v[2:3], v[2:3], v[4:5]
	v_mul_f64 v[4:5], v[100:101], v[18:19]
	v_fma_f64 v[4:5], v[98:99], v[20:21], -v[4:5]
	v_add_f64 v[2:3], v[2:3], v[4:5]
	v_mul_f64 v[4:5], v[104:105], v[164:165]
	s_waitcnt vmcnt(20) lgkmcnt(1)
	v_mul_f64 v[120:121], v[110:111], v[172:173]
	v_fma_f64 v[4:5], v[102:103], v[166:167], -v[4:5]
	s_waitcnt vmcnt(18)
	v_fmac_f64_e32 v[120:121], v[112:113], v[174:175]
	v_add_f64 v[2:3], v[2:3], v[4:5]
	v_mul_f64 v[4:5], v[108:109], v[160:161]
	v_add_f64 v[122:123], v[118:119], v[120:121]
	ds_read_b128 v[118:121], v72 offset:720
	s_waitcnt vmcnt(16) lgkmcnt(1)
	v_mul_f64 v[124:125], v[114:115], v[168:169]
	v_fma_f64 v[4:5], v[106:107], v[162:163], -v[4:5]
	v_fmac_f64_e32 v[124:125], v[116:117], v[170:171]
	v_add_f64 v[2:3], v[2:3], v[4:5]
	v_mul_f64 v[4:5], v[112:113], v[172:173]
	v_add_f64 v[192:193], v[122:123], v[124:125]
	ds_read_b128 v[122:125], v72 offset:736
	v_fma_f64 v[4:5], v[110:111], v[174:175], -v[4:5]
	v_add_f64 v[2:3], v[2:3], v[4:5]
	v_mul_f64 v[4:5], v[116:117], v[168:169]
	v_fma_f64 v[4:5], v[114:115], v[170:171], -v[4:5]
	v_add_f64 v[2:3], v[2:3], v[4:5]
	s_waitcnt vmcnt(12) lgkmcnt(1)
	v_mul_f64 v[4:5], v[120:121], v[180:181]
	v_mul_f64 v[194:195], v[118:119], v[180:181]
	s_waitcnt vmcnt(10)
	v_fma_f64 v[4:5], v[118:119], v[182:183], -v[4:5]
	v_fmac_f64_e32 v[194:195], v[120:121], v[182:183]
	v_add_f64 v[2:3], v[2:3], v[4:5]
	s_waitcnt vmcnt(8) lgkmcnt(0)
	v_mul_f64 v[4:5], v[124:125], v[176:177]
	v_add_f64 v[72:73], v[192:193], v[194:195]
	v_mul_f64 v[192:193], v[122:123], v[176:177]
	v_fma_f64 v[4:5], v[122:123], v[178:179], -v[4:5]
	v_fmac_f64_e32 v[192:193], v[124:125], v[178:179]
	v_add_f64 v[2:3], v[2:3], v[4:5]
	s_waitcnt vmcnt(6)
	v_mul_f64 v[4:5], v[128:129], v[184:185]
	v_add_f64 v[72:73], v[72:73], v[192:193]
	v_mul_f64 v[192:193], v[126:127], v[184:185]
	s_waitcnt vmcnt(4)
	v_fma_f64 v[4:5], v[126:127], v[186:187], -v[4:5]
	v_fmac_f64_e32 v[192:193], v[128:129], v[186:187]
	v_add_f64 v[2:3], v[2:3], v[4:5]
	v_add_f64 v[72:73], v[72:73], v[192:193]
	s_waitcnt vmcnt(2)
	v_add_f64 v[2:3], v[188:189], -v[2:3]
	s_waitcnt vmcnt(0)
	v_add_f64 v[4:5], v[190:191], -v[72:73]
	buffer_store_dword v3, off, s[0:3], 0 offset:148
	buffer_store_dword v2, off, s[0:3], 0 offset:144
	;; [unrolled: 1-line block ×4, first 2 shown]
	s_and_saveexec_b64 s[6:7], vcc
	s_cbranch_execz .LBB23_141
; %bb.140:
	buffer_load_dword v2, v148, s[0:3], 0 offen
	buffer_load_dword v3, v148, s[0:3], 0 offen offset:4
	buffer_load_dword v4, v148, s[0:3], 0 offen offset:8
	buffer_load_dword v5, v148, s[0:3], 0 offen offset:12
	v_mov_b32_e32 v6, 0
	buffer_store_dword v6, off, s[0:3], 0 offset:128
	buffer_store_dword v6, off, s[0:3], 0 offset:132
	;; [unrolled: 1-line block ×4, first 2 shown]
	s_waitcnt vmcnt(4)
	ds_write_b128 v157, v[2:5]
.LBB23_141:
	s_or_b64 exec, exec, s[6:7]
	s_waitcnt lgkmcnt(0)
	; wave barrier
	s_waitcnt lgkmcnt(0)
	buffer_load_dword v2, off, s[0:3], 0 offset:144
	buffer_load_dword v3, off, s[0:3], 0 offset:148
	;; [unrolled: 1-line block ×64, first 2 shown]
	v_mov_b32_e32 v86, 0
	ds_read_b128 v[78:81], v86 offset:528
	ds_read_b128 v[82:85], v86 offset:544
	;; [unrolled: 1-line block ×7, first 2 shown]
	v_cmp_lt_u32_e32 vcc, 7, v156
	s_waitcnt vmcnt(60) lgkmcnt(6)
	v_mul_f64 v[104:105], v[78:79], v[6:7]
	v_fmac_f64_e32 v[104:105], v[80:81], v[2:3]
	v_add_f64 v[104:105], v[104:105], 0
	v_mul_f64 v[6:7], v[80:81], v[6:7]
	s_waitcnt vmcnt(56) lgkmcnt(5)
	v_mul_f64 v[106:107], v[82:83], v[8:9]
	v_fmac_f64_e32 v[106:107], v[84:85], v[4:5]
	s_waitcnt vmcnt(54) lgkmcnt(4)
	v_mul_f64 v[108:109], v[88:89], v[10:11]
	v_add_f64 v[104:105], v[104:105], v[106:107]
	v_fma_f64 v[2:3], v[78:79], v[2:3], -v[6:7]
	v_mul_f64 v[6:7], v[84:85], v[8:9]
	s_waitcnt vmcnt(50) lgkmcnt(3)
	v_mul_f64 v[110:111], v[92:93], v[16:17]
	s_waitcnt vmcnt(49) lgkmcnt(2)
	v_mul_f64 v[112:113], v[96:97], v[12:13]
	v_add_f64 v[2:3], v[2:3], 0
	s_waitcnt vmcnt(47)
	v_fmac_f64_e32 v[108:109], v[90:91], v[20:21]
	v_add_f64 v[104:105], v[104:105], v[108:109]
	s_waitcnt vmcnt(45)
	v_fmac_f64_e32 v[110:111], v[94:95], v[18:19]
	;; [unrolled: 3-line block ×3, first 2 shown]
	v_add_f64 v[108:109], v[104:105], v[112:113]
	ds_read_b128 v[104:107], v86 offset:624
	s_waitcnt vmcnt(40) lgkmcnt(2)
	v_mul_f64 v[110:111], v[100:101], v[74:75]
	v_fma_f64 v[4:5], v[82:83], v[4:5], -v[6:7]
	s_waitcnt vmcnt(38)
	v_fmac_f64_e32 v[110:111], v[102:103], v[76:77]
	v_add_f64 v[112:113], v[108:109], v[110:111]
	ds_read_b128 v[108:111], v86 offset:640
	s_waitcnt vmcnt(36) lgkmcnt(1)
	v_mul_f64 v[114:115], v[104:105], v[70:71]
	v_fmac_f64_e32 v[114:115], v[106:107], v[72:73]
	v_add_f64 v[2:3], v[2:3], v[4:5]
	v_mul_f64 v[4:5], v[90:91], v[10:11]
	v_add_f64 v[116:117], v[112:113], v[114:115]
	ds_read_b128 v[112:115], v86 offset:656
	s_waitcnt vmcnt(32) lgkmcnt(1)
	v_mul_f64 v[118:119], v[108:109], v[168:169]
	v_fma_f64 v[4:5], v[88:89], v[20:21], -v[4:5]
	s_waitcnt vmcnt(30)
	v_fmac_f64_e32 v[118:119], v[110:111], v[170:171]
	v_add_f64 v[2:3], v[2:3], v[4:5]
	v_mul_f64 v[4:5], v[94:95], v[16:17]
	v_add_f64 v[120:121], v[116:117], v[118:119]
	ds_read_b128 v[116:119], v86 offset:672
	v_fma_f64 v[4:5], v[92:93], v[18:19], -v[4:5]
	v_add_f64 v[2:3], v[2:3], v[4:5]
	v_mul_f64 v[4:5], v[98:99], v[12:13]
	v_fma_f64 v[4:5], v[96:97], v[14:15], -v[4:5]
	s_waitcnt vmcnt(28) lgkmcnt(1)
	v_mul_f64 v[122:123], v[112:113], v[132:133]
	v_add_f64 v[2:3], v[2:3], v[4:5]
	v_mul_f64 v[4:5], v[102:103], v[74:75]
	v_fmac_f64_e32 v[122:123], v[114:115], v[166:167]
	v_fma_f64 v[4:5], v[100:101], v[76:77], -v[4:5]
	v_add_f64 v[124:125], v[120:121], v[122:123]
	ds_read_b128 v[120:123], v86 offset:688
	s_waitcnt vmcnt(24) lgkmcnt(1)
	v_mul_f64 v[126:127], v[116:117], v[176:177]
	v_add_f64 v[2:3], v[2:3], v[4:5]
	v_mul_f64 v[4:5], v[106:107], v[70:71]
	s_waitcnt vmcnt(22)
	v_fmac_f64_e32 v[126:127], v[118:119], v[178:179]
	v_fma_f64 v[4:5], v[104:105], v[72:73], -v[4:5]
	v_add_f64 v[128:129], v[124:125], v[126:127]
	ds_read_b128 v[124:127], v86 offset:704
	v_add_f64 v[2:3], v[2:3], v[4:5]
	v_mul_f64 v[4:5], v[110:111], v[168:169]
	v_fma_f64 v[4:5], v[108:109], v[170:171], -v[4:5]
	v_add_f64 v[2:3], v[2:3], v[4:5]
	v_mul_f64 v[4:5], v[114:115], v[132:133]
	s_waitcnt vmcnt(20) lgkmcnt(1)
	v_mul_f64 v[130:131], v[120:121], v[172:173]
	v_fma_f64 v[4:5], v[112:113], v[166:167], -v[4:5]
	v_fmac_f64_e32 v[130:131], v[122:123], v[174:175]
	v_add_f64 v[2:3], v[2:3], v[4:5]
	v_mul_f64 v[4:5], v[118:119], v[176:177]
	v_add_f64 v[158:159], v[128:129], v[130:131]
	ds_read_b128 v[128:131], v86 offset:720
	s_waitcnt vmcnt(16) lgkmcnt(1)
	v_mul_f64 v[160:161], v[124:125], v[184:185]
	v_fma_f64 v[4:5], v[116:117], v[178:179], -v[4:5]
	s_waitcnt vmcnt(14)
	v_fmac_f64_e32 v[160:161], v[126:127], v[186:187]
	v_add_f64 v[2:3], v[2:3], v[4:5]
	v_mul_f64 v[4:5], v[122:123], v[172:173]
	v_add_f64 v[200:201], v[158:159], v[160:161]
	ds_read_b128 v[158:161], v86 offset:736
	v_fma_f64 v[4:5], v[120:121], v[174:175], -v[4:5]
	v_add_f64 v[2:3], v[2:3], v[4:5]
	v_mul_f64 v[4:5], v[126:127], v[184:185]
	v_fma_f64 v[4:5], v[124:125], v[186:187], -v[4:5]
	v_add_f64 v[2:3], v[2:3], v[4:5]
	s_waitcnt vmcnt(12) lgkmcnt(1)
	v_mul_f64 v[4:5], v[130:131], v[180:181]
	v_mul_f64 v[202:203], v[128:129], v[180:181]
	v_fma_f64 v[4:5], v[128:129], v[182:183], -v[4:5]
	v_fmac_f64_e32 v[202:203], v[130:131], v[182:183]
	v_add_f64 v[2:3], v[2:3], v[4:5]
	s_waitcnt vmcnt(8) lgkmcnt(0)
	v_mul_f64 v[4:5], v[160:161], v[192:193]
	v_add_f64 v[200:201], v[200:201], v[202:203]
	v_mul_f64 v[202:203], v[158:159], v[192:193]
	s_waitcnt vmcnt(6)
	v_fma_f64 v[4:5], v[158:159], v[194:195], -v[4:5]
	v_fmac_f64_e32 v[202:203], v[160:161], v[194:195]
	v_add_f64 v[2:3], v[2:3], v[4:5]
	s_waitcnt vmcnt(5)
	v_mul_f64 v[4:5], v[164:165], v[188:189]
	v_add_f64 v[200:201], v[200:201], v[202:203]
	v_mul_f64 v[202:203], v[162:163], v[188:189]
	s_waitcnt vmcnt(4)
	v_fma_f64 v[4:5], v[162:163], v[190:191], -v[4:5]
	v_fmac_f64_e32 v[202:203], v[164:165], v[190:191]
	v_add_f64 v[2:3], v[2:3], v[4:5]
	v_add_f64 v[200:201], v[200:201], v[202:203]
	s_waitcnt vmcnt(2)
	v_add_f64 v[2:3], v[196:197], -v[2:3]
	s_waitcnt vmcnt(0)
	v_add_f64 v[4:5], v[198:199], -v[200:201]
	buffer_store_dword v3, off, s[0:3], 0 offset:132
	buffer_store_dword v2, off, s[0:3], 0 offset:128
	;; [unrolled: 1-line block ×4, first 2 shown]
	s_and_saveexec_b64 s[6:7], vcc
	s_cbranch_execz .LBB23_143
; %bb.142:
	buffer_load_dword v2, v146, s[0:3], 0 offen
	buffer_load_dword v3, v146, s[0:3], 0 offen offset:4
	buffer_load_dword v4, v146, s[0:3], 0 offen offset:8
	;; [unrolled: 1-line block ×3, first 2 shown]
	s_nop 0
	buffer_store_dword v86, off, s[0:3], 0 offset:112
	buffer_store_dword v86, off, s[0:3], 0 offset:116
	buffer_store_dword v86, off, s[0:3], 0 offset:120
	buffer_store_dword v86, off, s[0:3], 0 offset:124
	s_waitcnt vmcnt(4)
	ds_write_b128 v157, v[2:5]
.LBB23_143:
	s_or_b64 exec, exec, s[6:7]
	s_waitcnt lgkmcnt(0)
	; wave barrier
	s_waitcnt lgkmcnt(0)
	buffer_load_dword v2, off, s[0:3], 0 offset:128
	buffer_load_dword v3, off, s[0:3], 0 offset:132
	;; [unrolled: 1-line block ×64, first 2 shown]
	ds_read_b128 v[88:91], v86 offset:512
	ds_read_b128 v[92:95], v86 offset:528
	;; [unrolled: 1-line block ×4, first 2 shown]
	buffer_load_dword v204, off, s[0:3], 0 offset:112
	buffer_load_dword v205, off, s[0:3], 0 offset:116
	;; [unrolled: 1-line block ×4, first 2 shown]
	v_cmp_lt_u32_e32 vcc, 6, v156
	ds_read_b128 v[174:177], v86 offset:752
	s_waitcnt vmcnt(62) lgkmcnt(4)
	v_mul_f64 v[104:105], v[88:89], v[4:5]
	v_fmac_f64_e32 v[104:105], v[90:91], v[2:3]
	s_waitcnt lgkmcnt(3)
	v_mul_f64 v[106:107], v[92:93], v[6:7]
	v_add_f64 v[104:105], v[104:105], 0
	s_waitcnt vmcnt(60) lgkmcnt(2)
	v_mul_f64 v[108:109], v[96:97], v[8:9]
	v_mul_f64 v[4:5], v[90:91], v[4:5]
	v_fma_f64 v[2:3], v[88:89], v[2:3], -v[4:5]
	v_mul_f64 v[4:5], v[94:95], v[6:7]
	s_waitcnt vmcnt(56) lgkmcnt(1)
	v_mul_f64 v[110:111], v[100:101], v[14:15]
	v_add_f64 v[2:3], v[2:3], 0
	s_waitcnt vmcnt(54)
	v_fmac_f64_e32 v[106:107], v[94:95], v[20:21]
	v_add_f64 v[112:113], v[104:105], v[106:107]
	ds_read_b128 v[104:107], v86 offset:576
	s_waitcnt vmcnt(52)
	v_fmac_f64_e32 v[108:109], v[98:99], v[18:19]
	v_add_f64 v[108:109], v[112:113], v[108:109]
	s_waitcnt vmcnt(50)
	v_fmac_f64_e32 v[110:111], v[102:103], v[16:17]
	v_add_f64 v[112:113], v[108:109], v[110:111]
	ds_read_b128 v[108:111], v86 offset:592
	s_waitcnt vmcnt(48) lgkmcnt(1)
	v_mul_f64 v[114:115], v[104:105], v[10:11]
	v_fmac_f64_e32 v[114:115], v[106:107], v[12:13]
	v_add_f64 v[116:117], v[112:113], v[114:115]
	ds_read_b128 v[112:115], v86 offset:608
	s_waitcnt vmcnt(44) lgkmcnt(1)
	v_mul_f64 v[118:119], v[108:109], v[74:75]
	s_waitcnt vmcnt(42)
	v_fmac_f64_e32 v[118:119], v[110:111], v[76:77]
	v_add_f64 v[120:121], v[116:117], v[118:119]
	ds_read_b128 v[116:119], v86 offset:624
	s_waitcnt vmcnt(40) lgkmcnt(1)
	v_mul_f64 v[122:123], v[112:113], v[70:71]
	v_fmac_f64_e32 v[122:123], v[114:115], v[72:73]
	v_add_f64 v[124:125], v[120:121], v[122:123]
	ds_read_b128 v[120:123], v86 offset:640
	v_fma_f64 v[4:5], v[92:93], v[20:21], -v[4:5]
	v_add_f64 v[2:3], v[2:3], v[4:5]
	v_mul_f64 v[4:5], v[98:99], v[8:9]
	s_waitcnt vmcnt(36) lgkmcnt(1)
	v_mul_f64 v[126:127], v[116:117], v[82:83]
	v_fma_f64 v[4:5], v[96:97], v[18:19], -v[4:5]
	s_waitcnt vmcnt(34)
	v_fmac_f64_e32 v[126:127], v[118:119], v[84:85]
	v_add_f64 v[2:3], v[2:3], v[4:5]
	v_mul_f64 v[4:5], v[102:103], v[14:15]
	v_add_f64 v[128:129], v[124:125], v[126:127]
	ds_read_b128 v[124:127], v86 offset:656
	s_waitcnt vmcnt(32) lgkmcnt(1)
	v_mul_f64 v[130:131], v[120:121], v[78:79]
	v_fma_f64 v[4:5], v[100:101], v[16:17], -v[4:5]
	v_fmac_f64_e32 v[130:131], v[122:123], v[80:81]
	v_add_f64 v[2:3], v[2:3], v[4:5]
	v_mul_f64 v[4:5], v[106:107], v[10:11]
	v_add_f64 v[158:159], v[128:129], v[130:131]
	ds_read_b128 v[128:131], v86 offset:672
	v_fma_f64 v[4:5], v[104:105], v[12:13], -v[4:5]
	v_add_f64 v[2:3], v[2:3], v[4:5]
	v_mul_f64 v[4:5], v[110:111], v[74:75]
	v_fma_f64 v[4:5], v[108:109], v[76:77], -v[4:5]
	s_waitcnt vmcnt(28) lgkmcnt(1)
	v_mul_f64 v[160:161], v[124:125], v[180:181]
	v_add_f64 v[2:3], v[2:3], v[4:5]
	v_mul_f64 v[4:5], v[114:115], v[70:71]
	s_waitcnt vmcnt(26)
	v_fmac_f64_e32 v[160:161], v[126:127], v[182:183]
	v_fma_f64 v[4:5], v[112:113], v[72:73], -v[4:5]
	v_add_f64 v[162:163], v[158:159], v[160:161]
	ds_read_b128 v[158:161], v86 offset:688
	s_waitcnt vmcnt(24) lgkmcnt(1)
	v_mul_f64 v[164:165], v[128:129], v[132:133]
	v_add_f64 v[2:3], v[2:3], v[4:5]
	v_mul_f64 v[4:5], v[118:119], v[82:83]
	v_fmac_f64_e32 v[164:165], v[130:131], v[178:179]
	v_fma_f64 v[4:5], v[116:117], v[84:85], -v[4:5]
	v_add_f64 v[166:167], v[162:163], v[164:165]
	ds_read_b128 v[162:165], v86 offset:704
	v_add_f64 v[2:3], v[2:3], v[4:5]
	v_mul_f64 v[4:5], v[122:123], v[78:79]
	v_fma_f64 v[4:5], v[120:121], v[80:81], -v[4:5]
	v_add_f64 v[2:3], v[2:3], v[4:5]
	v_mul_f64 v[4:5], v[126:127], v[180:181]
	s_waitcnt vmcnt(20) lgkmcnt(1)
	v_mul_f64 v[168:169], v[158:159], v[188:189]
	v_fma_f64 v[4:5], v[124:125], v[182:183], -v[4:5]
	s_waitcnt vmcnt(18)
	v_fmac_f64_e32 v[168:169], v[160:161], v[190:191]
	v_add_f64 v[2:3], v[2:3], v[4:5]
	v_mul_f64 v[4:5], v[130:131], v[132:133]
	v_add_f64 v[170:171], v[166:167], v[168:169]
	ds_read_b128 v[166:169], v86 offset:720
	s_waitcnt vmcnt(16) lgkmcnt(1)
	v_mul_f64 v[172:173], v[162:163], v[184:185]
	v_fma_f64 v[4:5], v[128:129], v[178:179], -v[4:5]
	v_fmac_f64_e32 v[172:173], v[164:165], v[186:187]
	v_add_f64 v[2:3], v[2:3], v[4:5]
	v_mul_f64 v[4:5], v[160:161], v[188:189]
	v_add_f64 v[208:209], v[170:171], v[172:173]
	ds_read_b128 v[170:173], v86 offset:736
	v_fma_f64 v[4:5], v[158:159], v[190:191], -v[4:5]
	v_add_f64 v[2:3], v[2:3], v[4:5]
	v_mul_f64 v[4:5], v[164:165], v[184:185]
	v_fma_f64 v[4:5], v[162:163], v[186:187], -v[4:5]
	v_add_f64 v[2:3], v[2:3], v[4:5]
	s_waitcnt vmcnt(12) lgkmcnt(1)
	v_mul_f64 v[4:5], v[168:169], v[196:197]
	v_mul_f64 v[210:211], v[166:167], v[196:197]
	s_waitcnt vmcnt(10)
	v_fma_f64 v[4:5], v[166:167], v[198:199], -v[4:5]
	v_fmac_f64_e32 v[210:211], v[168:169], v[198:199]
	v_add_f64 v[2:3], v[2:3], v[4:5]
	s_waitcnt vmcnt(8) lgkmcnt(0)
	v_mul_f64 v[4:5], v[172:173], v[192:193]
	v_add_f64 v[86:87], v[208:209], v[210:211]
	v_mul_f64 v[208:209], v[170:171], v[192:193]
	v_fma_f64 v[4:5], v[170:171], v[194:195], -v[4:5]
	v_fmac_f64_e32 v[208:209], v[172:173], v[194:195]
	v_add_f64 v[2:3], v[2:3], v[4:5]
	s_waitcnt vmcnt(6)
	v_mul_f64 v[4:5], v[176:177], v[200:201]
	v_add_f64 v[86:87], v[86:87], v[208:209]
	v_mul_f64 v[208:209], v[174:175], v[200:201]
	s_waitcnt vmcnt(4)
	v_fma_f64 v[4:5], v[174:175], v[202:203], -v[4:5]
	v_fmac_f64_e32 v[208:209], v[176:177], v[202:203]
	v_add_f64 v[2:3], v[2:3], v[4:5]
	v_add_f64 v[86:87], v[86:87], v[208:209]
	s_waitcnt vmcnt(2)
	v_add_f64 v[2:3], v[204:205], -v[2:3]
	s_waitcnt vmcnt(0)
	v_add_f64 v[4:5], v[206:207], -v[86:87]
	buffer_store_dword v3, off, s[0:3], 0 offset:116
	buffer_store_dword v2, off, s[0:3], 0 offset:112
	;; [unrolled: 1-line block ×4, first 2 shown]
	s_and_saveexec_b64 s[6:7], vcc
	s_cbranch_execz .LBB23_145
; %bb.144:
	buffer_load_dword v2, v152, s[0:3], 0 offen
	buffer_load_dword v3, v152, s[0:3], 0 offen offset:4
	buffer_load_dword v4, v152, s[0:3], 0 offen offset:8
	;; [unrolled: 1-line block ×3, first 2 shown]
	v_mov_b32_e32 v6, 0
	buffer_store_dword v6, off, s[0:3], 0 offset:96
	buffer_store_dword v6, off, s[0:3], 0 offset:100
	;; [unrolled: 1-line block ×4, first 2 shown]
	s_waitcnt vmcnt(4)
	ds_write_b128 v157, v[2:5]
.LBB23_145:
	s_or_b64 exec, exec, s[6:7]
	s_waitcnt lgkmcnt(0)
	; wave barrier
	s_waitcnt lgkmcnt(0)
	buffer_load_dword v2, off, s[0:3], 0 offset:112
	buffer_load_dword v3, off, s[0:3], 0 offset:116
	;; [unrolled: 1-line block ×68, first 2 shown]
	v_mov_b32_e32 v94, 0
	ds_read_b128 v[90:93], v94 offset:496
	ds_read_b128 v[96:99], v94 offset:512
	buffer_load_dword v212, off, s[0:3], 0 offset:96
	buffer_load_dword v213, off, s[0:3], 0 offset:100
	;; [unrolled: 1-line block ×4, first 2 shown]
	ds_read_b128 v[100:103], v94 offset:528
	ds_read_b128 v[104:107], v94 offset:544
	ds_read_b128 v[182:185], v94 offset:752
	v_cmp_lt_u32_e32 vcc, 5, v156
	s_waitcnt vmcnt(62) lgkmcnt(4)
	v_mul_f64 v[108:109], v[90:91], v[8:9]
	v_fmac_f64_e32 v[108:109], v[92:93], v[2:3]
	v_add_f64 v[108:109], v[108:109], 0
	v_mul_f64 v[8:9], v[92:93], v[8:9]
	s_waitcnt lgkmcnt(3)
	v_mul_f64 v[110:111], v[96:97], v[10:11]
	v_fmac_f64_e32 v[110:111], v[98:99], v[4:5]
	v_add_f64 v[108:109], v[108:109], v[110:111]
	v_fma_f64 v[2:3], v[90:91], v[2:3], -v[8:9]
	s_waitcnt vmcnt(60) lgkmcnt(2)
	v_mul_f64 v[110:111], v[100:101], v[12:13]
	v_fmac_f64_e32 v[110:111], v[102:103], v[6:7]
	v_add_f64 v[112:113], v[108:109], v[110:111]
	ds_read_b128 v[108:111], v94 offset:560
	s_waitcnt vmcnt(56) lgkmcnt(2)
	v_mul_f64 v[114:115], v[104:105], v[18:19]
	v_mul_f64 v[8:9], v[98:99], v[10:11]
	s_waitcnt vmcnt(54)
	v_fmac_f64_e32 v[114:115], v[106:107], v[20:21]
	v_add_f64 v[116:117], v[112:113], v[114:115]
	ds_read_b128 v[112:115], v94 offset:576
	s_waitcnt vmcnt(52) lgkmcnt(1)
	v_mul_f64 v[118:119], v[108:109], v[14:15]
	v_fmac_f64_e32 v[118:119], v[110:111], v[16:17]
	v_add_f64 v[120:121], v[116:117], v[118:119]
	ds_read_b128 v[116:119], v94 offset:592
	s_waitcnt vmcnt(48) lgkmcnt(1)
	v_mul_f64 v[122:123], v[112:113], v[74:75]
	s_waitcnt vmcnt(46)
	v_fmac_f64_e32 v[122:123], v[114:115], v[76:77]
	v_add_f64 v[124:125], v[120:121], v[122:123]
	ds_read_b128 v[120:123], v94 offset:608
	s_waitcnt vmcnt(44) lgkmcnt(1)
	v_mul_f64 v[126:127], v[116:117], v[70:71]
	v_fmac_f64_e32 v[126:127], v[118:119], v[72:73]
	v_add_f64 v[128:129], v[124:125], v[126:127]
	ds_read_b128 v[124:127], v94 offset:624
	s_waitcnt vmcnt(40) lgkmcnt(1)
	v_mul_f64 v[130:131], v[120:121], v[82:83]
	s_waitcnt vmcnt(38)
	v_fmac_f64_e32 v[130:131], v[122:123], v[84:85]
	v_add_f64 v[2:3], v[2:3], 0
	v_fma_f64 v[4:5], v[96:97], v[4:5], -v[8:9]
	v_add_f64 v[158:159], v[128:129], v[130:131]
	ds_read_b128 v[128:131], v94 offset:640
	v_add_f64 v[2:3], v[2:3], v[4:5]
	v_mul_f64 v[4:5], v[102:103], v[12:13]
	v_fma_f64 v[4:5], v[100:101], v[6:7], -v[4:5]
	v_add_f64 v[2:3], v[2:3], v[4:5]
	v_mul_f64 v[4:5], v[106:107], v[18:19]
	s_waitcnt vmcnt(36) lgkmcnt(1)
	v_mul_f64 v[160:161], v[124:125], v[78:79]
	v_fma_f64 v[4:5], v[104:105], v[20:21], -v[4:5]
	v_fmac_f64_e32 v[160:161], v[126:127], v[80:81]
	v_add_f64 v[2:3], v[2:3], v[4:5]
	v_mul_f64 v[4:5], v[110:111], v[14:15]
	v_add_f64 v[162:163], v[158:159], v[160:161]
	ds_read_b128 v[158:161], v94 offset:656
	s_waitcnt vmcnt(32) lgkmcnt(1)
	v_mul_f64 v[164:165], v[128:129], v[132:133]
	v_fma_f64 v[4:5], v[108:109], v[16:17], -v[4:5]
	s_waitcnt vmcnt(30)
	v_fmac_f64_e32 v[164:165], v[130:131], v[186:187]
	v_add_f64 v[2:3], v[2:3], v[4:5]
	v_mul_f64 v[4:5], v[114:115], v[74:75]
	v_add_f64 v[166:167], v[162:163], v[164:165]
	ds_read_b128 v[162:165], v94 offset:672
	v_fma_f64 v[4:5], v[112:113], v[76:77], -v[4:5]
	v_add_f64 v[2:3], v[2:3], v[4:5]
	v_mul_f64 v[4:5], v[118:119], v[70:71]
	v_fma_f64 v[4:5], v[116:117], v[72:73], -v[4:5]
	s_waitcnt vmcnt(28) lgkmcnt(1)
	v_mul_f64 v[168:169], v[158:159], v[86:87]
	v_add_f64 v[2:3], v[2:3], v[4:5]
	v_mul_f64 v[4:5], v[122:123], v[82:83]
	v_fmac_f64_e32 v[168:169], v[160:161], v[88:89]
	v_fma_f64 v[4:5], v[120:121], v[84:85], -v[4:5]
	v_add_f64 v[170:171], v[166:167], v[168:169]
	ds_read_b128 v[166:169], v94 offset:688
	s_waitcnt vmcnt(24) lgkmcnt(1)
	v_mul_f64 v[172:173], v[162:163], v[192:193]
	v_add_f64 v[2:3], v[2:3], v[4:5]
	v_mul_f64 v[4:5], v[126:127], v[78:79]
	s_waitcnt vmcnt(22)
	v_fmac_f64_e32 v[172:173], v[164:165], v[194:195]
	v_fma_f64 v[4:5], v[124:125], v[80:81], -v[4:5]
	v_add_f64 v[174:175], v[170:171], v[172:173]
	ds_read_b128 v[170:173], v94 offset:704
	v_add_f64 v[2:3], v[2:3], v[4:5]
	v_mul_f64 v[4:5], v[130:131], v[132:133]
	v_fma_f64 v[4:5], v[128:129], v[186:187], -v[4:5]
	v_add_f64 v[2:3], v[2:3], v[4:5]
	v_mul_f64 v[4:5], v[160:161], v[86:87]
	s_waitcnt vmcnt(20) lgkmcnt(1)
	v_mul_f64 v[176:177], v[166:167], v[188:189]
	v_fma_f64 v[4:5], v[158:159], v[88:89], -v[4:5]
	v_fmac_f64_e32 v[176:177], v[168:169], v[190:191]
	v_add_f64 v[2:3], v[2:3], v[4:5]
	v_mul_f64 v[4:5], v[164:165], v[192:193]
	v_add_f64 v[178:179], v[174:175], v[176:177]
	ds_read_b128 v[174:177], v94 offset:720
	s_waitcnt vmcnt(16) lgkmcnt(1)
	v_mul_f64 v[180:181], v[170:171], v[200:201]
	v_fma_f64 v[4:5], v[162:163], v[194:195], -v[4:5]
	s_waitcnt vmcnt(14)
	v_fmac_f64_e32 v[180:181], v[172:173], v[202:203]
	v_add_f64 v[2:3], v[2:3], v[4:5]
	v_mul_f64 v[4:5], v[168:169], v[188:189]
	v_add_f64 v[216:217], v[178:179], v[180:181]
	ds_read_b128 v[178:181], v94 offset:736
	v_fma_f64 v[4:5], v[166:167], v[190:191], -v[4:5]
	v_add_f64 v[2:3], v[2:3], v[4:5]
	v_mul_f64 v[4:5], v[172:173], v[200:201]
	v_fma_f64 v[4:5], v[170:171], v[202:203], -v[4:5]
	v_add_f64 v[2:3], v[2:3], v[4:5]
	s_waitcnt vmcnt(12) lgkmcnt(1)
	v_mul_f64 v[4:5], v[176:177], v[196:197]
	v_mul_f64 v[218:219], v[174:175], v[196:197]
	v_fma_f64 v[4:5], v[174:175], v[198:199], -v[4:5]
	v_fmac_f64_e32 v[218:219], v[176:177], v[198:199]
	v_add_f64 v[2:3], v[2:3], v[4:5]
	s_waitcnt vmcnt(8) lgkmcnt(0)
	v_mul_f64 v[4:5], v[180:181], v[208:209]
	v_add_f64 v[216:217], v[216:217], v[218:219]
	v_mul_f64 v[218:219], v[178:179], v[208:209]
	s_waitcnt vmcnt(6)
	v_fma_f64 v[4:5], v[178:179], v[210:211], -v[4:5]
	v_fmac_f64_e32 v[218:219], v[180:181], v[210:211]
	v_add_f64 v[2:3], v[2:3], v[4:5]
	s_waitcnt vmcnt(5)
	v_mul_f64 v[4:5], v[184:185], v[204:205]
	v_add_f64 v[216:217], v[216:217], v[218:219]
	v_mul_f64 v[218:219], v[182:183], v[204:205]
	s_waitcnt vmcnt(4)
	v_fma_f64 v[4:5], v[182:183], v[206:207], -v[4:5]
	v_fmac_f64_e32 v[218:219], v[184:185], v[206:207]
	v_add_f64 v[2:3], v[2:3], v[4:5]
	v_add_f64 v[216:217], v[216:217], v[218:219]
	s_waitcnt vmcnt(2)
	v_add_f64 v[2:3], v[212:213], -v[2:3]
	s_waitcnt vmcnt(0)
	v_add_f64 v[4:5], v[214:215], -v[216:217]
	buffer_store_dword v3, off, s[0:3], 0 offset:100
	buffer_store_dword v2, off, s[0:3], 0 offset:96
	;; [unrolled: 1-line block ×4, first 2 shown]
	s_and_saveexec_b64 s[6:7], vcc
	s_cbranch_execz .LBB23_147
; %bb.146:
	buffer_load_dword v2, v151, s[0:3], 0 offen
	buffer_load_dword v3, v151, s[0:3], 0 offen offset:4
	buffer_load_dword v4, v151, s[0:3], 0 offen offset:8
	;; [unrolled: 1-line block ×3, first 2 shown]
	s_nop 0
	buffer_store_dword v94, off, s[0:3], 0 offset:80
	buffer_store_dword v94, off, s[0:3], 0 offset:84
	;; [unrolled: 1-line block ×4, first 2 shown]
	s_waitcnt vmcnt(4)
	ds_write_b128 v157, v[2:5]
.LBB23_147:
	s_or_b64 exec, exec, s[6:7]
	s_waitcnt lgkmcnt(0)
	; wave barrier
	s_waitcnt lgkmcnt(0)
	buffer_load_dword v2, off, s[0:3], 0 offset:96
	buffer_load_dword v3, off, s[0:3], 0 offset:100
	buffer_load_dword v8, off, s[0:3], 0 offset:104
	buffer_load_dword v9, off, s[0:3], 0 offset:108
	buffer_load_dword v4, off, s[0:3], 0 offset:112
	buffer_load_dword v5, off, s[0:3], 0 offset:116
	buffer_load_dword v10, off, s[0:3], 0 offset:120
	buffer_load_dword v11, off, s[0:3], 0 offset:124
	buffer_load_dword v6, off, s[0:3], 0 offset:128
	buffer_load_dword v7, off, s[0:3], 0 offset:132
	buffer_load_dword v12, off, s[0:3], 0 offset:136
	buffer_load_dword v13, off, s[0:3], 0 offset:140
	buffer_load_dword v14, off, s[0:3], 0 offset:168
	buffer_load_dword v16, off, s[0:3], 0 offset:160
	buffer_load_dword v19, off, s[0:3], 0 offset:156
	buffer_load_dword v18, off, s[0:3], 0 offset:152
	buffer_load_dword v21, off, s[0:3], 0 offset:148
	buffer_load_dword v20, off, s[0:3], 0 offset:144
	buffer_load_dword v17, off, s[0:3], 0 offset:164
	buffer_load_dword v15, off, s[0:3], 0 offset:172
	buffer_load_dword v70, off, s[0:3], 0 offset:200
	buffer_load_dword v72, off, s[0:3], 0 offset:192
	buffer_load_dword v75, off, s[0:3], 0 offset:188
	buffer_load_dword v74, off, s[0:3], 0 offset:184
	buffer_load_dword v77, off, s[0:3], 0 offset:180
	buffer_load_dword v76, off, s[0:3], 0 offset:176
	buffer_load_dword v73, off, s[0:3], 0 offset:196
	buffer_load_dword v71, off, s[0:3], 0 offset:204
	buffer_load_dword v78, off, s[0:3], 0 offset:232
	buffer_load_dword v80, off, s[0:3], 0 offset:224
	buffer_load_dword v83, off, s[0:3], 0 offset:220
	buffer_load_dword v82, off, s[0:3], 0 offset:216
	buffer_load_dword v85, off, s[0:3], 0 offset:212
	buffer_load_dword v84, off, s[0:3], 0 offset:208
	buffer_load_dword v81, off, s[0:3], 0 offset:228
	buffer_load_dword v79, off, s[0:3], 0 offset:236
	buffer_load_dword v86, off, s[0:3], 0 offset:264
	buffer_load_dword v88, off, s[0:3], 0 offset:256
	buffer_load_dword v91, off, s[0:3], 0 offset:252
	buffer_load_dword v90, off, s[0:3], 0 offset:248
	buffer_load_dword v93, off, s[0:3], 0 offset:244
	buffer_load_dword v92, off, s[0:3], 0 offset:240
	buffer_load_dword v89, off, s[0:3], 0 offset:260
	buffer_load_dword v87, off, s[0:3], 0 offset:268
	buffer_load_dword v132, off, s[0:3], 0 offset:296
	buffer_load_dword v194, off, s[0:3], 0 offset:288
	buffer_load_dword v197, off, s[0:3], 0 offset:284
	buffer_load_dword v196, off, s[0:3], 0 offset:280
	buffer_load_dword v199, off, s[0:3], 0 offset:276
	buffer_load_dword v198, off, s[0:3], 0 offset:272
	buffer_load_dword v195, off, s[0:3], 0 offset:292
	buffer_load_dword v133, off, s[0:3], 0 offset:300
	buffer_load_dword v200, off, s[0:3], 0 offset:328
	buffer_load_dword v202, off, s[0:3], 0 offset:320
	buffer_load_dword v205, off, s[0:3], 0 offset:316
	buffer_load_dword v204, off, s[0:3], 0 offset:312
	buffer_load_dword v207, off, s[0:3], 0 offset:308
	buffer_load_dword v206, off, s[0:3], 0 offset:304
	buffer_load_dword v203, off, s[0:3], 0 offset:324
	buffer_load_dword v201, off, s[0:3], 0 offset:332
	buffer_load_dword v208, off, s[0:3], 0 offset:360
	buffer_load_dword v210, off, s[0:3], 0 offset:352
	buffer_load_dword v213, off, s[0:3], 0 offset:348
	buffer_load_dword v212, off, s[0:3], 0 offset:344
	buffer_load_dword v215, off, s[0:3], 0 offset:340
	buffer_load_dword v214, off, s[0:3], 0 offset:336
	buffer_load_dword v211, off, s[0:3], 0 offset:356
	buffer_load_dword v209, off, s[0:3], 0 offset:364
	buffer_load_dword v217, off, s[0:3], 0 offset:380
	buffer_load_dword v216, off, s[0:3], 0 offset:376
	buffer_load_dword v219, off, s[0:3], 0 offset:372
	buffer_load_dword v218, off, s[0:3], 0 offset:368
	ds_read_b128 v[96:99], v94 offset:480
	buffer_load_dword v220, off, s[0:3], 0 offset:80
	buffer_load_dword v221, off, s[0:3], 0 offset:84
	;; [unrolled: 1-line block ×4, first 2 shown]
	ds_read_b128 v[100:103], v94 offset:496
	ds_read_b128 v[104:107], v94 offset:512
	;; [unrolled: 1-line block ×3, first 2 shown]
	v_cmp_lt_u32_e32 vcc, 4, v156
	ds_read_b128 v[190:193], v94 offset:752
	s_waitcnt vmcnt(62) lgkmcnt(4)
	v_mul_f64 v[112:113], v[96:97], v[8:9]
	v_fmac_f64_e32 v[112:113], v[98:99], v[2:3]
	v_add_f64 v[112:113], v[112:113], 0
	v_mul_f64 v[8:9], v[98:99], v[8:9]
	s_waitcnt lgkmcnt(3)
	v_mul_f64 v[114:115], v[100:101], v[10:11]
	v_fmac_f64_e32 v[114:115], v[102:103], v[4:5]
	v_add_f64 v[112:113], v[112:113], v[114:115]
	v_fma_f64 v[2:3], v[96:97], v[2:3], -v[8:9]
	s_waitcnt lgkmcnt(2)
	v_mul_f64 v[114:115], v[104:105], v[12:13]
	v_fmac_f64_e32 v[114:115], v[106:107], v[6:7]
	v_add_f64 v[116:117], v[112:113], v[114:115]
	ds_read_b128 v[112:115], v94 offset:544
	s_waitcnt vmcnt(60) lgkmcnt(2)
	v_mul_f64 v[118:119], v[108:109], v[18:19]
	v_mul_f64 v[8:9], v[102:103], v[10:11]
	s_waitcnt vmcnt(58)
	v_fmac_f64_e32 v[118:119], v[110:111], v[20:21]
	v_add_f64 v[120:121], v[116:117], v[118:119]
	ds_read_b128 v[116:119], v94 offset:560
	s_waitcnt vmcnt(56) lgkmcnt(1)
	v_mul_f64 v[122:123], v[112:113], v[14:15]
	v_fmac_f64_e32 v[122:123], v[114:115], v[16:17]
	v_add_f64 v[124:125], v[120:121], v[122:123]
	ds_read_b128 v[120:123], v94 offset:576
	s_waitcnt vmcnt(52) lgkmcnt(1)
	v_mul_f64 v[126:127], v[116:117], v[74:75]
	s_waitcnt vmcnt(50)
	v_fmac_f64_e32 v[126:127], v[118:119], v[76:77]
	v_add_f64 v[128:129], v[124:125], v[126:127]
	ds_read_b128 v[124:127], v94 offset:592
	s_waitcnt vmcnt(48) lgkmcnt(1)
	v_mul_f64 v[130:131], v[120:121], v[70:71]
	v_fmac_f64_e32 v[130:131], v[122:123], v[72:73]
	v_add_f64 v[158:159], v[128:129], v[130:131]
	ds_read_b128 v[128:131], v94 offset:608
	s_waitcnt vmcnt(44) lgkmcnt(1)
	v_mul_f64 v[160:161], v[124:125], v[82:83]
	s_waitcnt vmcnt(42)
	v_fmac_f64_e32 v[160:161], v[126:127], v[84:85]
	v_add_f64 v[2:3], v[2:3], 0
	v_fma_f64 v[4:5], v[100:101], v[4:5], -v[8:9]
	v_add_f64 v[162:163], v[158:159], v[160:161]
	ds_read_b128 v[158:161], v94 offset:624
	s_waitcnt vmcnt(40) lgkmcnt(1)
	v_mul_f64 v[164:165], v[128:129], v[78:79]
	v_add_f64 v[2:3], v[2:3], v[4:5]
	v_mul_f64 v[4:5], v[106:107], v[12:13]
	v_fmac_f64_e32 v[164:165], v[130:131], v[80:81]
	v_fma_f64 v[4:5], v[104:105], v[6:7], -v[4:5]
	v_add_f64 v[166:167], v[162:163], v[164:165]
	ds_read_b128 v[162:165], v94 offset:640
	v_add_f64 v[2:3], v[2:3], v[4:5]
	v_mul_f64 v[4:5], v[110:111], v[18:19]
	v_fma_f64 v[4:5], v[108:109], v[20:21], -v[4:5]
	v_add_f64 v[2:3], v[2:3], v[4:5]
	v_mul_f64 v[4:5], v[114:115], v[14:15]
	s_waitcnt vmcnt(36) lgkmcnt(1)
	v_mul_f64 v[168:169], v[158:159], v[90:91]
	v_fma_f64 v[4:5], v[112:113], v[16:17], -v[4:5]
	s_waitcnt vmcnt(34)
	v_fmac_f64_e32 v[168:169], v[160:161], v[92:93]
	v_add_f64 v[2:3], v[2:3], v[4:5]
	v_mul_f64 v[4:5], v[118:119], v[74:75]
	v_add_f64 v[170:171], v[166:167], v[168:169]
	ds_read_b128 v[166:169], v94 offset:656
	s_waitcnt vmcnt(32) lgkmcnt(1)
	v_mul_f64 v[172:173], v[162:163], v[86:87]
	v_fma_f64 v[4:5], v[116:117], v[76:77], -v[4:5]
	v_fmac_f64_e32 v[172:173], v[164:165], v[88:89]
	v_add_f64 v[2:3], v[2:3], v[4:5]
	v_mul_f64 v[4:5], v[122:123], v[70:71]
	v_add_f64 v[174:175], v[170:171], v[172:173]
	ds_read_b128 v[170:173], v94 offset:672
	v_fma_f64 v[4:5], v[120:121], v[72:73], -v[4:5]
	v_add_f64 v[2:3], v[2:3], v[4:5]
	v_mul_f64 v[4:5], v[126:127], v[82:83]
	v_fma_f64 v[4:5], v[124:125], v[84:85], -v[4:5]
	s_waitcnt vmcnt(28) lgkmcnt(1)
	v_mul_f64 v[176:177], v[166:167], v[196:197]
	v_add_f64 v[2:3], v[2:3], v[4:5]
	v_mul_f64 v[4:5], v[130:131], v[78:79]
	s_waitcnt vmcnt(26)
	v_fmac_f64_e32 v[176:177], v[168:169], v[198:199]
	v_fma_f64 v[4:5], v[128:129], v[80:81], -v[4:5]
	v_add_f64 v[178:179], v[174:175], v[176:177]
	ds_read_b128 v[174:177], v94 offset:688
	s_waitcnt vmcnt(24) lgkmcnt(1)
	v_mul_f64 v[180:181], v[170:171], v[132:133]
	v_add_f64 v[2:3], v[2:3], v[4:5]
	v_mul_f64 v[4:5], v[160:161], v[90:91]
	v_fmac_f64_e32 v[180:181], v[172:173], v[194:195]
	v_fma_f64 v[4:5], v[158:159], v[92:93], -v[4:5]
	v_add_f64 v[182:183], v[178:179], v[180:181]
	ds_read_b128 v[178:181], v94 offset:704
	v_add_f64 v[2:3], v[2:3], v[4:5]
	v_mul_f64 v[4:5], v[164:165], v[86:87]
	v_fma_f64 v[4:5], v[162:163], v[88:89], -v[4:5]
	v_add_f64 v[2:3], v[2:3], v[4:5]
	v_mul_f64 v[4:5], v[168:169], v[196:197]
	s_waitcnt vmcnt(20) lgkmcnt(1)
	v_mul_f64 v[184:185], v[174:175], v[204:205]
	v_fma_f64 v[4:5], v[166:167], v[198:199], -v[4:5]
	s_waitcnt vmcnt(18)
	v_fmac_f64_e32 v[184:185], v[176:177], v[206:207]
	v_add_f64 v[2:3], v[2:3], v[4:5]
	v_mul_f64 v[4:5], v[172:173], v[132:133]
	v_add_f64 v[186:187], v[182:183], v[184:185]
	ds_read_b128 v[182:185], v94 offset:720
	s_waitcnt vmcnt(16) lgkmcnt(1)
	v_mul_f64 v[188:189], v[178:179], v[200:201]
	v_fma_f64 v[4:5], v[170:171], v[194:195], -v[4:5]
	v_fmac_f64_e32 v[188:189], v[180:181], v[202:203]
	v_add_f64 v[2:3], v[2:3], v[4:5]
	v_mul_f64 v[4:5], v[176:177], v[204:205]
	v_add_f64 v[224:225], v[186:187], v[188:189]
	ds_read_b128 v[186:189], v94 offset:736
	v_fma_f64 v[4:5], v[174:175], v[206:207], -v[4:5]
	v_add_f64 v[2:3], v[2:3], v[4:5]
	v_mul_f64 v[4:5], v[180:181], v[200:201]
	v_fma_f64 v[4:5], v[178:179], v[202:203], -v[4:5]
	v_add_f64 v[2:3], v[2:3], v[4:5]
	s_waitcnt vmcnt(12) lgkmcnt(1)
	v_mul_f64 v[4:5], v[184:185], v[212:213]
	v_mul_f64 v[226:227], v[182:183], v[212:213]
	s_waitcnt vmcnt(10)
	v_fma_f64 v[4:5], v[182:183], v[214:215], -v[4:5]
	v_fmac_f64_e32 v[226:227], v[184:185], v[214:215]
	v_add_f64 v[2:3], v[2:3], v[4:5]
	s_waitcnt vmcnt(8) lgkmcnt(0)
	v_mul_f64 v[4:5], v[188:189], v[208:209]
	v_add_f64 v[94:95], v[224:225], v[226:227]
	v_mul_f64 v[224:225], v[186:187], v[208:209]
	v_fma_f64 v[4:5], v[186:187], v[210:211], -v[4:5]
	v_fmac_f64_e32 v[224:225], v[188:189], v[210:211]
	v_add_f64 v[2:3], v[2:3], v[4:5]
	s_waitcnt vmcnt(6)
	v_mul_f64 v[4:5], v[192:193], v[216:217]
	v_add_f64 v[94:95], v[94:95], v[224:225]
	v_mul_f64 v[224:225], v[190:191], v[216:217]
	s_waitcnt vmcnt(4)
	v_fma_f64 v[4:5], v[190:191], v[218:219], -v[4:5]
	v_fmac_f64_e32 v[224:225], v[192:193], v[218:219]
	v_add_f64 v[2:3], v[2:3], v[4:5]
	v_add_f64 v[94:95], v[94:95], v[224:225]
	s_waitcnt vmcnt(2)
	v_add_f64 v[2:3], v[220:221], -v[2:3]
	s_waitcnt vmcnt(0)
	v_add_f64 v[4:5], v[222:223], -v[94:95]
	buffer_store_dword v3, off, s[0:3], 0 offset:84
	buffer_store_dword v2, off, s[0:3], 0 offset:80
	;; [unrolled: 1-line block ×4, first 2 shown]
	s_and_saveexec_b64 s[6:7], vcc
	s_cbranch_execz .LBB23_149
; %bb.148:
	buffer_load_dword v2, v150, s[0:3], 0 offen
	buffer_load_dword v3, v150, s[0:3], 0 offen offset:4
	buffer_load_dword v4, v150, s[0:3], 0 offen offset:8
	buffer_load_dword v5, v150, s[0:3], 0 offen offset:12
	v_mov_b32_e32 v6, 0
	buffer_store_dword v6, off, s[0:3], 0 offset:64
	buffer_store_dword v6, off, s[0:3], 0 offset:68
	;; [unrolled: 1-line block ×4, first 2 shown]
	s_waitcnt vmcnt(4)
	ds_write_b128 v157, v[2:5]
.LBB23_149:
	s_or_b64 exec, exec, s[6:7]
	s_waitcnt lgkmcnt(0)
	; wave barrier
	s_waitcnt lgkmcnt(0)
	buffer_load_dword v2, off, s[0:3], 0 offset:80
	buffer_load_dword v3, off, s[0:3], 0 offset:84
	;; [unrolled: 1-line block ×76, first 2 shown]
	v_mov_b32_e32 v102, 0
	ds_read_b128 v[104:107], v102 offset:464
	buffer_load_dword v228, off, s[0:3], 0 offset:64
	buffer_load_dword v229, off, s[0:3], 0 offset:68
	;; [unrolled: 1-line block ×4, first 2 shown]
	ds_read_b128 v[108:111], v102 offset:480
	ds_read_b128 v[112:115], v102 offset:496
	;; [unrolled: 1-line block ×4, first 2 shown]
	v_cmp_lt_u32_e32 vcc, 3, v156
	s_waitcnt vmcnt(62) lgkmcnt(4)
	v_mul_f64 v[120:121], v[104:105], v[8:9]
	v_fmac_f64_e32 v[120:121], v[106:107], v[2:3]
	v_add_f64 v[120:121], v[120:121], 0
	v_mul_f64 v[8:9], v[106:107], v[8:9]
	s_waitcnt lgkmcnt(3)
	v_mul_f64 v[122:123], v[108:109], v[10:11]
	v_fmac_f64_e32 v[122:123], v[110:111], v[4:5]
	v_add_f64 v[120:121], v[120:121], v[122:123]
	v_fma_f64 v[2:3], v[104:105], v[2:3], -v[8:9]
	s_waitcnt lgkmcnt(2)
	v_mul_f64 v[122:123], v[112:113], v[12:13]
	v_fmac_f64_e32 v[122:123], v[114:115], v[6:7]
	v_add_f64 v[124:125], v[120:121], v[122:123]
	ds_read_b128 v[120:123], v102 offset:528
	s_waitcnt lgkmcnt(2)
	v_mul_f64 v[126:127], v[116:117], v[18:19]
	v_mul_f64 v[8:9], v[110:111], v[10:11]
	v_fmac_f64_e32 v[126:127], v[118:119], v[20:21]
	v_add_f64 v[128:129], v[124:125], v[126:127]
	ds_read_b128 v[124:127], v102 offset:544
	s_waitcnt vmcnt(60) lgkmcnt(1)
	v_mul_f64 v[130:131], v[120:121], v[14:15]
	v_fmac_f64_e32 v[130:131], v[122:123], v[16:17]
	v_add_f64 v[158:159], v[128:129], v[130:131]
	ds_read_b128 v[128:131], v102 offset:560
	s_waitcnt vmcnt(56) lgkmcnt(1)
	v_mul_f64 v[160:161], v[124:125], v[74:75]
	s_waitcnt vmcnt(54)
	v_fmac_f64_e32 v[160:161], v[126:127], v[76:77]
	v_add_f64 v[162:163], v[158:159], v[160:161]
	ds_read_b128 v[158:161], v102 offset:576
	s_waitcnt vmcnt(52) lgkmcnt(1)
	v_mul_f64 v[164:165], v[128:129], v[70:71]
	v_fmac_f64_e32 v[164:165], v[130:131], v[72:73]
	v_add_f64 v[166:167], v[162:163], v[164:165]
	ds_read_b128 v[162:165], v102 offset:592
	s_waitcnt vmcnt(48) lgkmcnt(1)
	v_mul_f64 v[168:169], v[158:159], v[82:83]
	s_waitcnt vmcnt(46)
	v_fmac_f64_e32 v[168:169], v[160:161], v[84:85]
	v_add_f64 v[170:171], v[166:167], v[168:169]
	ds_read_b128 v[166:169], v102 offset:608
	v_add_f64 v[2:3], v[2:3], 0
	v_fma_f64 v[4:5], v[108:109], v[4:5], -v[8:9]
	s_waitcnt vmcnt(44) lgkmcnt(1)
	v_mul_f64 v[172:173], v[162:163], v[78:79]
	v_add_f64 v[2:3], v[2:3], v[4:5]
	v_mul_f64 v[4:5], v[114:115], v[12:13]
	v_fmac_f64_e32 v[172:173], v[164:165], v[80:81]
	v_fma_f64 v[4:5], v[112:113], v[6:7], -v[4:5]
	v_add_f64 v[174:175], v[170:171], v[172:173]
	ds_read_b128 v[170:173], v102 offset:624
	s_waitcnt vmcnt(40) lgkmcnt(1)
	v_mul_f64 v[176:177], v[166:167], v[90:91]
	v_add_f64 v[2:3], v[2:3], v[4:5]
	v_mul_f64 v[4:5], v[118:119], v[18:19]
	s_waitcnt vmcnt(38)
	v_fmac_f64_e32 v[176:177], v[168:169], v[92:93]
	v_fma_f64 v[4:5], v[116:117], v[20:21], -v[4:5]
	v_add_f64 v[178:179], v[174:175], v[176:177]
	ds_read_b128 v[174:177], v102 offset:640
	v_add_f64 v[2:3], v[2:3], v[4:5]
	v_mul_f64 v[4:5], v[122:123], v[14:15]
	v_fma_f64 v[4:5], v[120:121], v[16:17], -v[4:5]
	v_add_f64 v[2:3], v[2:3], v[4:5]
	v_mul_f64 v[4:5], v[126:127], v[74:75]
	s_waitcnt vmcnt(36) lgkmcnt(1)
	v_mul_f64 v[180:181], v[170:171], v[86:87]
	v_fma_f64 v[4:5], v[124:125], v[76:77], -v[4:5]
	v_fmac_f64_e32 v[180:181], v[172:173], v[88:89]
	v_add_f64 v[2:3], v[2:3], v[4:5]
	v_mul_f64 v[4:5], v[130:131], v[70:71]
	v_add_f64 v[182:183], v[178:179], v[180:181]
	ds_read_b128 v[178:181], v102 offset:656
	s_waitcnt vmcnt(32) lgkmcnt(1)
	v_mul_f64 v[184:185], v[174:175], v[98:99]
	v_fma_f64 v[4:5], v[128:129], v[72:73], -v[4:5]
	s_waitcnt vmcnt(30)
	v_fmac_f64_e32 v[184:185], v[176:177], v[100:101]
	v_add_f64 v[2:3], v[2:3], v[4:5]
	v_mul_f64 v[4:5], v[160:161], v[82:83]
	v_add_f64 v[186:187], v[182:183], v[184:185]
	ds_read_b128 v[182:185], v102 offset:672
	v_fma_f64 v[4:5], v[158:159], v[84:85], -v[4:5]
	v_add_f64 v[2:3], v[2:3], v[4:5]
	v_mul_f64 v[4:5], v[164:165], v[78:79]
	v_fma_f64 v[4:5], v[162:163], v[80:81], -v[4:5]
	s_waitcnt vmcnt(28) lgkmcnt(1)
	v_mul_f64 v[188:189], v[178:179], v[94:95]
	v_add_f64 v[2:3], v[2:3], v[4:5]
	v_mul_f64 v[4:5], v[168:169], v[90:91]
	v_fmac_f64_e32 v[188:189], v[180:181], v[96:97]
	v_fma_f64 v[4:5], v[166:167], v[92:93], -v[4:5]
	v_add_f64 v[190:191], v[186:187], v[188:189]
	ds_read_b128 v[186:189], v102 offset:688
	s_waitcnt vmcnt(24) lgkmcnt(1)
	v_mul_f64 v[192:193], v[182:183], v[208:209]
	v_add_f64 v[2:3], v[2:3], v[4:5]
	v_mul_f64 v[4:5], v[172:173], v[86:87]
	s_waitcnt vmcnt(22)
	v_fmac_f64_e32 v[192:193], v[184:185], v[210:211]
	v_fma_f64 v[4:5], v[170:171], v[88:89], -v[4:5]
	v_add_f64 v[194:195], v[190:191], v[192:193]
	ds_read_b128 v[190:193], v102 offset:704
	v_add_f64 v[2:3], v[2:3], v[4:5]
	v_mul_f64 v[4:5], v[176:177], v[98:99]
	v_fma_f64 v[4:5], v[174:175], v[100:101], -v[4:5]
	v_add_f64 v[2:3], v[2:3], v[4:5]
	v_mul_f64 v[4:5], v[180:181], v[94:95]
	s_waitcnt vmcnt(20) lgkmcnt(1)
	v_mul_f64 v[196:197], v[186:187], v[132:133]
	v_fma_f64 v[4:5], v[178:179], v[96:97], -v[4:5]
	v_fmac_f64_e32 v[196:197], v[188:189], v[206:207]
	v_add_f64 v[2:3], v[2:3], v[4:5]
	v_mul_f64 v[4:5], v[184:185], v[208:209]
	v_add_f64 v[198:199], v[194:195], v[196:197]
	ds_read_b128 v[194:197], v102 offset:720
	s_waitcnt vmcnt(16) lgkmcnt(1)
	v_mul_f64 v[200:201], v[190:191], v[216:217]
	v_fma_f64 v[4:5], v[182:183], v[210:211], -v[4:5]
	s_waitcnt vmcnt(14)
	v_fmac_f64_e32 v[200:201], v[192:193], v[218:219]
	v_add_f64 v[2:3], v[2:3], v[4:5]
	v_mul_f64 v[4:5], v[188:189], v[132:133]
	v_add_f64 v[232:233], v[198:199], v[200:201]
	ds_read_b128 v[198:201], v102 offset:736
	v_fma_f64 v[4:5], v[186:187], v[206:207], -v[4:5]
	v_add_f64 v[2:3], v[2:3], v[4:5]
	v_mul_f64 v[4:5], v[192:193], v[216:217]
	v_fma_f64 v[4:5], v[190:191], v[218:219], -v[4:5]
	v_add_f64 v[2:3], v[2:3], v[4:5]
	s_waitcnt vmcnt(12) lgkmcnt(1)
	v_mul_f64 v[4:5], v[196:197], v[212:213]
	v_mul_f64 v[234:235], v[194:195], v[212:213]
	v_fma_f64 v[4:5], v[194:195], v[214:215], -v[4:5]
	v_fmac_f64_e32 v[234:235], v[196:197], v[214:215]
	v_add_f64 v[2:3], v[2:3], v[4:5]
	s_waitcnt vmcnt(8) lgkmcnt(0)
	v_mul_f64 v[4:5], v[200:201], v[224:225]
	v_add_f64 v[232:233], v[232:233], v[234:235]
	v_mul_f64 v[234:235], v[198:199], v[224:225]
	s_waitcnt vmcnt(6)
	v_fma_f64 v[4:5], v[198:199], v[226:227], -v[4:5]
	v_fmac_f64_e32 v[234:235], v[200:201], v[226:227]
	v_add_f64 v[2:3], v[2:3], v[4:5]
	s_waitcnt vmcnt(5)
	v_mul_f64 v[4:5], v[204:205], v[220:221]
	v_add_f64 v[232:233], v[232:233], v[234:235]
	v_mul_f64 v[234:235], v[202:203], v[220:221]
	s_waitcnt vmcnt(4)
	v_fma_f64 v[4:5], v[202:203], v[222:223], -v[4:5]
	v_fmac_f64_e32 v[234:235], v[204:205], v[222:223]
	v_add_f64 v[2:3], v[2:3], v[4:5]
	v_add_f64 v[232:233], v[232:233], v[234:235]
	s_waitcnt vmcnt(2)
	v_add_f64 v[2:3], v[228:229], -v[2:3]
	s_waitcnt vmcnt(0)
	v_add_f64 v[4:5], v[230:231], -v[232:233]
	buffer_store_dword v3, off, s[0:3], 0 offset:68
	buffer_store_dword v2, off, s[0:3], 0 offset:64
	;; [unrolled: 1-line block ×4, first 2 shown]
	s_and_saveexec_b64 s[6:7], vcc
	s_cbranch_execz .LBB23_151
; %bb.150:
	buffer_load_dword v2, v155, s[0:3], 0 offen
	buffer_load_dword v3, v155, s[0:3], 0 offen offset:4
	buffer_load_dword v4, v155, s[0:3], 0 offen offset:8
	;; [unrolled: 1-line block ×3, first 2 shown]
	s_nop 0
	buffer_store_dword v102, off, s[0:3], 0 offset:48
	buffer_store_dword v102, off, s[0:3], 0 offset:52
	;; [unrolled: 1-line block ×4, first 2 shown]
	s_waitcnt vmcnt(4)
	ds_write_b128 v157, v[2:5]
.LBB23_151:
	s_or_b64 exec, exec, s[6:7]
	s_waitcnt lgkmcnt(0)
	; wave barrier
	s_waitcnt lgkmcnt(0)
	buffer_load_dword v2, off, s[0:3], 0 offset:64
	buffer_load_dword v3, off, s[0:3], 0 offset:68
	;; [unrolled: 1-line block ×76, first 2 shown]
	ds_read_b128 v[104:107], v102 offset:448
	buffer_load_dword v233, off, s[0:3], 0 offset:380
	buffer_load_dword v232, off, s[0:3], 0 offset:376
	;; [unrolled: 1-line block ×8, first 2 shown]
	ds_read_b128 v[108:111], v102 offset:464
	ds_read_b128 v[112:115], v102 offset:480
	;; [unrolled: 1-line block ×3, first 2 shown]
	v_cmp_lt_u32_e32 vcc, 2, v156
	ds_read_b128 v[206:209], v102 offset:752
	s_waitcnt vmcnt(62) lgkmcnt(4)
	v_mul_f64 v[120:121], v[104:105], v[8:9]
	v_fmac_f64_e32 v[120:121], v[106:107], v[2:3]
	v_add_f64 v[120:121], v[120:121], 0
	v_mul_f64 v[8:9], v[106:107], v[8:9]
	s_waitcnt lgkmcnt(3)
	v_mul_f64 v[122:123], v[108:109], v[10:11]
	v_fmac_f64_e32 v[122:123], v[110:111], v[4:5]
	v_add_f64 v[120:121], v[120:121], v[122:123]
	v_fma_f64 v[2:3], v[104:105], v[2:3], -v[8:9]
	s_waitcnt lgkmcnt(2)
	v_mul_f64 v[122:123], v[112:113], v[12:13]
	v_fmac_f64_e32 v[122:123], v[114:115], v[6:7]
	v_add_f64 v[124:125], v[120:121], v[122:123]
	ds_read_b128 v[120:123], v102 offset:512
	v_mul_f64 v[8:9], v[110:111], v[10:11]
	v_add_f64 v[2:3], v[2:3], 0
	s_waitcnt lgkmcnt(2)
	v_mul_f64 v[126:127], v[116:117], v[18:19]
	v_fma_f64 v[4:5], v[108:109], v[4:5], -v[8:9]
	v_fmac_f64_e32 v[126:127], v[118:119], v[20:21]
	v_add_f64 v[128:129], v[124:125], v[126:127]
	ds_read_b128 v[124:127], v102 offset:528
	s_waitcnt lgkmcnt(1)
	v_mul_f64 v[130:131], v[120:121], v[14:15]
	v_fmac_f64_e32 v[130:131], v[122:123], v[16:17]
	v_add_f64 v[158:159], v[128:129], v[130:131]
	ds_read_b128 v[128:131], v102 offset:544
	s_waitcnt vmcnt(58) lgkmcnt(1)
	v_mul_f64 v[160:161], v[124:125], v[74:75]
	s_waitcnt vmcnt(56)
	v_fmac_f64_e32 v[160:161], v[126:127], v[76:77]
	v_add_f64 v[162:163], v[158:159], v[160:161]
	ds_read_b128 v[158:161], v102 offset:560
	s_waitcnt lgkmcnt(1)
	v_mul_f64 v[164:165], v[128:129], v[70:71]
	v_fmac_f64_e32 v[164:165], v[130:131], v[72:73]
	v_add_f64 v[166:167], v[162:163], v[164:165]
	ds_read_b128 v[162:165], v102 offset:576
	s_waitcnt vmcnt(50) lgkmcnt(1)
	v_mul_f64 v[168:169], v[158:159], v[82:83]
	s_waitcnt vmcnt(48)
	v_fmac_f64_e32 v[168:169], v[160:161], v[84:85]
	v_add_f64 v[170:171], v[166:167], v[168:169]
	ds_read_b128 v[166:169], v102 offset:592
	s_waitcnt lgkmcnt(1)
	v_mul_f64 v[172:173], v[162:163], v[78:79]
	v_fmac_f64_e32 v[172:173], v[164:165], v[80:81]
	v_add_f64 v[174:175], v[170:171], v[172:173]
	ds_read_b128 v[170:173], v102 offset:608
	v_add_f64 v[2:3], v[2:3], v[4:5]
	v_mul_f64 v[4:5], v[114:115], v[12:13]
	v_fma_f64 v[4:5], v[112:113], v[6:7], -v[4:5]
	s_waitcnt vmcnt(42) lgkmcnt(1)
	v_mul_f64 v[176:177], v[166:167], v[90:91]
	v_add_f64 v[2:3], v[2:3], v[4:5]
	v_mul_f64 v[4:5], v[118:119], v[18:19]
	s_waitcnt vmcnt(40)
	v_fmac_f64_e32 v[176:177], v[168:169], v[92:93]
	v_fma_f64 v[4:5], v[116:117], v[20:21], -v[4:5]
	v_add_f64 v[178:179], v[174:175], v[176:177]
	ds_read_b128 v[174:177], v102 offset:624
	s_waitcnt lgkmcnt(1)
	v_mul_f64 v[180:181], v[170:171], v[86:87]
	v_add_f64 v[2:3], v[2:3], v[4:5]
	v_mul_f64 v[4:5], v[122:123], v[14:15]
	v_fmac_f64_e32 v[180:181], v[172:173], v[88:89]
	v_fma_f64 v[4:5], v[120:121], v[16:17], -v[4:5]
	v_add_f64 v[182:183], v[178:179], v[180:181]
	ds_read_b128 v[178:181], v102 offset:640
	v_add_f64 v[2:3], v[2:3], v[4:5]
	v_mul_f64 v[4:5], v[126:127], v[74:75]
	v_fma_f64 v[4:5], v[124:125], v[76:77], -v[4:5]
	v_add_f64 v[2:3], v[2:3], v[4:5]
	v_mul_f64 v[4:5], v[130:131], v[70:71]
	s_waitcnt vmcnt(34) lgkmcnt(1)
	v_mul_f64 v[184:185], v[174:175], v[98:99]
	v_fma_f64 v[4:5], v[128:129], v[72:73], -v[4:5]
	s_waitcnt vmcnt(32)
	v_fmac_f64_e32 v[184:185], v[176:177], v[100:101]
	v_add_f64 v[2:3], v[2:3], v[4:5]
	v_mul_f64 v[4:5], v[160:161], v[82:83]
	v_add_f64 v[186:187], v[182:183], v[184:185]
	ds_read_b128 v[182:185], v102 offset:656
	s_waitcnt lgkmcnt(1)
	v_mul_f64 v[188:189], v[178:179], v[94:95]
	v_fma_f64 v[4:5], v[158:159], v[84:85], -v[4:5]
	v_fmac_f64_e32 v[188:189], v[180:181], v[96:97]
	v_add_f64 v[2:3], v[2:3], v[4:5]
	v_mul_f64 v[4:5], v[164:165], v[78:79]
	v_add_f64 v[190:191], v[186:187], v[188:189]
	ds_read_b128 v[186:189], v102 offset:672
	v_fma_f64 v[4:5], v[162:163], v[80:81], -v[4:5]
	v_add_f64 v[2:3], v[2:3], v[4:5]
	v_mul_f64 v[4:5], v[168:169], v[90:91]
	v_fma_f64 v[4:5], v[166:167], v[92:93], -v[4:5]
	s_waitcnt vmcnt(26) lgkmcnt(1)
	v_mul_f64 v[192:193], v[182:183], v[212:213]
	v_add_f64 v[2:3], v[2:3], v[4:5]
	v_mul_f64 v[4:5], v[172:173], v[86:87]
	s_waitcnt vmcnt(24)
	v_fmac_f64_e32 v[192:193], v[184:185], v[214:215]
	v_fma_f64 v[4:5], v[170:171], v[88:89], -v[4:5]
	v_add_f64 v[194:195], v[190:191], v[192:193]
	ds_read_b128 v[190:193], v102 offset:688
	s_waitcnt lgkmcnt(1)
	v_mul_f64 v[196:197], v[186:187], v[132:133]
	v_add_f64 v[2:3], v[2:3], v[4:5]
	v_mul_f64 v[4:5], v[176:177], v[98:99]
	v_fmac_f64_e32 v[196:197], v[188:189], v[210:211]
	v_fma_f64 v[4:5], v[174:175], v[100:101], -v[4:5]
	v_add_f64 v[198:199], v[194:195], v[196:197]
	ds_read_b128 v[194:197], v102 offset:704
	v_add_f64 v[2:3], v[2:3], v[4:5]
	v_mul_f64 v[4:5], v[180:181], v[94:95]
	v_fma_f64 v[4:5], v[178:179], v[96:97], -v[4:5]
	v_add_f64 v[2:3], v[2:3], v[4:5]
	v_mul_f64 v[4:5], v[184:185], v[212:213]
	s_waitcnt vmcnt(18) lgkmcnt(1)
	v_mul_f64 v[200:201], v[190:191], v[220:221]
	v_fma_f64 v[4:5], v[182:183], v[214:215], -v[4:5]
	s_waitcnt vmcnt(16)
	v_fmac_f64_e32 v[200:201], v[192:193], v[222:223]
	v_add_f64 v[2:3], v[2:3], v[4:5]
	v_mul_f64 v[4:5], v[188:189], v[132:133]
	v_add_f64 v[202:203], v[198:199], v[200:201]
	ds_read_b128 v[198:201], v102 offset:720
	s_waitcnt lgkmcnt(1)
	v_mul_f64 v[204:205], v[194:195], v[216:217]
	v_fma_f64 v[4:5], v[186:187], v[210:211], -v[4:5]
	v_fmac_f64_e32 v[204:205], v[196:197], v[218:219]
	v_add_f64 v[2:3], v[2:3], v[4:5]
	v_mul_f64 v[4:5], v[192:193], v[220:221]
	v_add_f64 v[240:241], v[202:203], v[204:205]
	ds_read_b128 v[202:205], v102 offset:736
	v_fma_f64 v[4:5], v[190:191], v[222:223], -v[4:5]
	v_add_f64 v[2:3], v[2:3], v[4:5]
	v_mul_f64 v[4:5], v[196:197], v[216:217]
	v_fma_f64 v[4:5], v[194:195], v[218:219], -v[4:5]
	v_add_f64 v[2:3], v[2:3], v[4:5]
	s_waitcnt vmcnt(10) lgkmcnt(1)
	v_mul_f64 v[4:5], v[200:201], v[228:229]
	v_mul_f64 v[242:243], v[198:199], v[228:229]
	s_waitcnt vmcnt(8)
	v_fma_f64 v[4:5], v[198:199], v[230:231], -v[4:5]
	v_fmac_f64_e32 v[242:243], v[200:201], v[230:231]
	v_add_f64 v[2:3], v[2:3], v[4:5]
	s_waitcnt lgkmcnt(0)
	v_mul_f64 v[4:5], v[204:205], v[224:225]
	v_add_f64 v[102:103], v[240:241], v[242:243]
	v_mul_f64 v[240:241], v[202:203], v[224:225]
	v_fma_f64 v[4:5], v[202:203], v[226:227], -v[4:5]
	v_fmac_f64_e32 v[240:241], v[204:205], v[226:227]
	v_add_f64 v[2:3], v[2:3], v[4:5]
	s_waitcnt vmcnt(6)
	v_mul_f64 v[4:5], v[208:209], v[232:233]
	v_add_f64 v[102:103], v[102:103], v[240:241]
	v_mul_f64 v[240:241], v[206:207], v[232:233]
	s_waitcnt vmcnt(4)
	v_fma_f64 v[4:5], v[206:207], v[234:235], -v[4:5]
	v_fmac_f64_e32 v[240:241], v[208:209], v[234:235]
	v_add_f64 v[2:3], v[2:3], v[4:5]
	v_add_f64 v[102:103], v[102:103], v[240:241]
	s_waitcnt vmcnt(2)
	v_add_f64 v[2:3], v[236:237], -v[2:3]
	s_waitcnt vmcnt(0)
	v_add_f64 v[4:5], v[238:239], -v[102:103]
	buffer_store_dword v3, off, s[0:3], 0 offset:52
	buffer_store_dword v2, off, s[0:3], 0 offset:48
	;; [unrolled: 1-line block ×4, first 2 shown]
	s_and_saveexec_b64 s[6:7], vcc
	s_cbranch_execz .LBB23_153
; %bb.152:
	buffer_load_dword v2, v154, s[0:3], 0 offen
	buffer_load_dword v3, v154, s[0:3], 0 offen offset:4
	buffer_load_dword v4, v154, s[0:3], 0 offen offset:8
	;; [unrolled: 1-line block ×3, first 2 shown]
	v_mov_b32_e32 v6, 0
	buffer_store_dword v6, off, s[0:3], 0 offset:32
	buffer_store_dword v6, off, s[0:3], 0 offset:36
	buffer_store_dword v6, off, s[0:3], 0 offset:40
	buffer_store_dword v6, off, s[0:3], 0 offset:44
	s_waitcnt vmcnt(4)
	ds_write_b128 v157, v[2:5]
.LBB23_153:
	s_or_b64 exec, exec, s[6:7]
	s_waitcnt lgkmcnt(0)
	; wave barrier
	s_waitcnt lgkmcnt(0)
	buffer_load_dword v4, off, s[0:3], 0 offset:32
	buffer_load_dword v5, off, s[0:3], 0 offset:36
	;; [unrolled: 1-line block ×88, first 2 shown]
	v_mov_b32_e32 v158, 0
	ds_read_b128 v[114:117], v158 offset:432
	ds_read_b128 v[118:121], v158 offset:448
	;; [unrolled: 1-line block ×5, first 2 shown]
	v_cmp_lt_u32_e32 vcc, 1, v156
	s_waitcnt vmcnt(62) lgkmcnt(3)
	v_mul_f64 v[132:133], v[118:119], v[14:15]
	v_mul_f64 v[130:131], v[114:115], v[12:13]
	v_fmac_f64_e32 v[130:131], v[116:117], v[6:7]
	v_add_f64 v[130:131], v[130:131], 0
	v_fmac_f64_e32 v[132:133], v[120:121], v[8:9]
	v_add_f64 v[130:131], v[130:131], v[132:133]
	s_waitcnt lgkmcnt(2)
	v_mul_f64 v[132:133], v[122:123], v[16:17]
	v_fmac_f64_e32 v[132:133], v[124:125], v[10:11]
	v_add_f64 v[160:161], v[130:131], v[132:133]
	ds_read_b128 v[130:133], v158 offset:496
	s_waitcnt lgkmcnt(2)
	v_mul_f64 v[162:163], v[126:127], v[70:71]
	v_fmac_f64_e32 v[162:163], v[128:129], v[72:73]
	v_add_f64 v[164:165], v[160:161], v[162:163]
	ds_read_b128 v[160:163], v158 offset:512
	s_waitcnt lgkmcnt(1)
	v_mul_f64 v[166:167], v[130:131], v[18:19]
	v_fmac_f64_e32 v[166:167], v[132:133], v[20:21]
	v_add_f64 v[168:169], v[164:165], v[166:167]
	ds_read_b128 v[164:167], v158 offset:528
	s_waitcnt vmcnt(58) lgkmcnt(1)
	v_mul_f64 v[170:171], v[160:161], v[78:79]
	s_waitcnt vmcnt(56)
	v_fmac_f64_e32 v[170:171], v[162:163], v[80:81]
	v_add_f64 v[172:173], v[168:169], v[170:171]
	ds_read_b128 v[168:171], v158 offset:544
	s_waitcnt lgkmcnt(1)
	v_mul_f64 v[174:175], v[164:165], v[74:75]
	v_fmac_f64_e32 v[174:175], v[166:167], v[76:77]
	v_add_f64 v[176:177], v[172:173], v[174:175]
	ds_read_b128 v[172:175], v158 offset:560
	s_waitcnt vmcnt(50) lgkmcnt(1)
	v_mul_f64 v[178:179], v[168:169], v[86:87]
	s_waitcnt vmcnt(48)
	v_fmac_f64_e32 v[178:179], v[170:171], v[88:89]
	v_add_f64 v[180:181], v[176:177], v[178:179]
	ds_read_b128 v[176:179], v158 offset:576
	s_waitcnt lgkmcnt(1)
	v_mul_f64 v[182:183], v[172:173], v[82:83]
	v_mul_f64 v[12:13], v[116:117], v[12:13]
	v_fmac_f64_e32 v[182:183], v[174:175], v[84:85]
	v_fma_f64 v[6:7], v[114:115], v[6:7], -v[12:13]
	v_mul_f64 v[12:13], v[120:121], v[14:15]
	v_add_f64 v[184:185], v[180:181], v[182:183]
	ds_read_b128 v[180:183], v158 offset:592
	s_waitcnt vmcnt(42) lgkmcnt(1)
	v_mul_f64 v[186:187], v[176:177], v[94:95]
	v_add_f64 v[6:7], v[6:7], 0
	v_fma_f64 v[8:9], v[118:119], v[8:9], -v[12:13]
	s_waitcnt vmcnt(40)
	v_fmac_f64_e32 v[186:187], v[178:179], v[96:97]
	v_add_f64 v[6:7], v[6:7], v[8:9]
	v_mul_f64 v[8:9], v[124:125], v[16:17]
	v_add_f64 v[188:189], v[184:185], v[186:187]
	ds_read_b128 v[184:187], v158 offset:608
	v_fma_f64 v[8:9], v[122:123], v[10:11], -v[8:9]
	v_add_f64 v[6:7], v[6:7], v[8:9]
	v_mul_f64 v[8:9], v[128:129], v[70:71]
	v_fma_f64 v[8:9], v[126:127], v[72:73], -v[8:9]
	s_waitcnt lgkmcnt(1)
	v_mul_f64 v[190:191], v[180:181], v[90:91]
	v_add_f64 v[6:7], v[6:7], v[8:9]
	v_mul_f64 v[8:9], v[132:133], v[18:19]
	v_fmac_f64_e32 v[190:191], v[182:183], v[92:93]
	v_fma_f64 v[8:9], v[130:131], v[20:21], -v[8:9]
	v_add_f64 v[192:193], v[188:189], v[190:191]
	ds_read_b128 v[188:191], v158 offset:624
	s_waitcnt vmcnt(34) lgkmcnt(1)
	v_mul_f64 v[194:195], v[184:185], v[102:103]
	v_add_f64 v[6:7], v[6:7], v[8:9]
	v_mul_f64 v[8:9], v[162:163], v[78:79]
	s_waitcnt vmcnt(32)
	v_fmac_f64_e32 v[194:195], v[186:187], v[104:105]
	v_fma_f64 v[8:9], v[160:161], v[80:81], -v[8:9]
	v_add_f64 v[196:197], v[192:193], v[194:195]
	ds_read_b128 v[192:195], v158 offset:640
	v_add_f64 v[6:7], v[6:7], v[8:9]
	v_mul_f64 v[8:9], v[166:167], v[74:75]
	v_fma_f64 v[8:9], v[164:165], v[76:77], -v[8:9]
	v_add_f64 v[6:7], v[6:7], v[8:9]
	v_mul_f64 v[8:9], v[170:171], v[86:87]
	s_waitcnt lgkmcnt(1)
	v_mul_f64 v[198:199], v[188:189], v[98:99]
	v_fma_f64 v[8:9], v[168:169], v[88:89], -v[8:9]
	v_fmac_f64_e32 v[198:199], v[190:191], v[100:101]
	v_add_f64 v[6:7], v[6:7], v[8:9]
	v_mul_f64 v[8:9], v[174:175], v[82:83]
	v_add_f64 v[200:201], v[196:197], v[198:199]
	ds_read_b128 v[196:199], v158 offset:656
	s_waitcnt vmcnt(26) lgkmcnt(1)
	v_mul_f64 v[202:203], v[192:193], v[110:111]
	v_fma_f64 v[8:9], v[172:173], v[84:85], -v[8:9]
	s_waitcnt vmcnt(24)
	v_fmac_f64_e32 v[202:203], v[194:195], v[112:113]
	v_add_f64 v[6:7], v[6:7], v[8:9]
	v_mul_f64 v[8:9], v[178:179], v[94:95]
	v_add_f64 v[204:205], v[200:201], v[202:203]
	ds_read_b128 v[200:203], v158 offset:672
	v_fma_f64 v[8:9], v[176:177], v[96:97], -v[8:9]
	v_add_f64 v[6:7], v[6:7], v[8:9]
	v_mul_f64 v[8:9], v[182:183], v[90:91]
	v_fma_f64 v[8:9], v[180:181], v[92:93], -v[8:9]
	s_waitcnt lgkmcnt(1)
	v_mul_f64 v[206:207], v[196:197], v[106:107]
	v_add_f64 v[6:7], v[6:7], v[8:9]
	v_mul_f64 v[8:9], v[186:187], v[102:103]
	v_fmac_f64_e32 v[206:207], v[198:199], v[108:109]
	v_fma_f64 v[8:9], v[184:185], v[104:105], -v[8:9]
	v_add_f64 v[208:209], v[204:205], v[206:207]
	ds_read_b128 v[204:207], v158 offset:688
	s_waitcnt vmcnt(18) lgkmcnt(1)
	v_mul_f64 v[210:211], v[200:201], v[228:229]
	v_add_f64 v[6:7], v[6:7], v[8:9]
	v_mul_f64 v[8:9], v[190:191], v[98:99]
	s_waitcnt vmcnt(16)
	v_fmac_f64_e32 v[210:211], v[202:203], v[230:231]
	v_fma_f64 v[8:9], v[188:189], v[100:101], -v[8:9]
	v_add_f64 v[212:213], v[208:209], v[210:211]
	ds_read_b128 v[208:211], v158 offset:704
	v_add_f64 v[6:7], v[6:7], v[8:9]
	v_mul_f64 v[8:9], v[194:195], v[110:111]
	v_fma_f64 v[8:9], v[192:193], v[112:113], -v[8:9]
	v_add_f64 v[6:7], v[6:7], v[8:9]
	v_mul_f64 v[8:9], v[198:199], v[106:107]
	s_waitcnt lgkmcnt(1)
	v_mul_f64 v[214:215], v[204:205], v[224:225]
	v_fma_f64 v[8:9], v[196:197], v[108:109], -v[8:9]
	v_fmac_f64_e32 v[214:215], v[206:207], v[226:227]
	v_add_f64 v[6:7], v[6:7], v[8:9]
	v_mul_f64 v[8:9], v[202:203], v[228:229]
	v_add_f64 v[216:217], v[212:213], v[214:215]
	ds_read_b128 v[212:215], v158 offset:720
	s_waitcnt vmcnt(10) lgkmcnt(1)
	v_mul_f64 v[218:219], v[208:209], v[236:237]
	v_fma_f64 v[8:9], v[200:201], v[230:231], -v[8:9]
	s_waitcnt vmcnt(8)
	v_fmac_f64_e32 v[218:219], v[210:211], v[238:239]
	v_add_f64 v[6:7], v[6:7], v[8:9]
	v_mul_f64 v[8:9], v[206:207], v[224:225]
	v_add_f64 v[248:249], v[216:217], v[218:219]
	ds_read_b128 v[216:219], v158 offset:736
	v_fma_f64 v[8:9], v[204:205], v[226:227], -v[8:9]
	v_add_f64 v[6:7], v[6:7], v[8:9]
	v_mul_f64 v[8:9], v[210:211], v[236:237]
	v_fma_f64 v[8:9], v[208:209], v[238:239], -v[8:9]
	v_add_f64 v[6:7], v[6:7], v[8:9]
	s_waitcnt lgkmcnt(1)
	v_mul_f64 v[8:9], v[214:215], v[232:233]
	v_mul_f64 v[250:251], v[212:213], v[232:233]
	v_fma_f64 v[8:9], v[212:213], v[234:235], -v[8:9]
	v_fmac_f64_e32 v[250:251], v[214:215], v[234:235]
	v_add_f64 v[6:7], v[6:7], v[8:9]
	s_waitcnt vmcnt(3) lgkmcnt(0)
	v_mul_f64 v[8:9], v[218:219], v[244:245]
	v_add_f64 v[248:249], v[248:249], v[250:251]
	v_mul_f64 v[250:251], v[216:217], v[244:245]
	s_waitcnt vmcnt(1)
	v_fma_f64 v[8:9], v[216:217], v[246:247], -v[8:9]
	v_fmac_f64_e32 v[250:251], v[218:219], v[246:247]
	v_add_f64 v[6:7], v[6:7], v[8:9]
	s_waitcnt vmcnt(0)
	v_mul_f64 v[8:9], v[222:223], v[240:241]
	v_add_f64 v[248:249], v[248:249], v[250:251]
	v_mul_f64 v[250:251], v[220:221], v[240:241]
	v_fma_f64 v[8:9], v[220:221], v[242:243], -v[8:9]
	v_fmac_f64_e32 v[250:251], v[222:223], v[242:243]
	v_add_f64 v[6:7], v[6:7], v[8:9]
	v_add_f64 v[248:249], v[248:249], v[250:251]
	v_add_f64 v[4:5], v[4:5], -v[6:7]
	v_add_f64 v[2:3], v[2:3], -v[248:249]
	buffer_store_dword v5, off, s[0:3], 0 offset:36
	buffer_store_dword v4, off, s[0:3], 0 offset:32
	;; [unrolled: 1-line block ×4, first 2 shown]
	s_and_saveexec_b64 s[6:7], vcc
	s_cbranch_execz .LBB23_155
; %bb.154:
	buffer_load_dword v2, v153, s[0:3], 0 offen
	buffer_load_dword v3, v153, s[0:3], 0 offen offset:4
	buffer_load_dword v4, v153, s[0:3], 0 offen offset:8
	;; [unrolled: 1-line block ×3, first 2 shown]
	s_nop 0
	buffer_store_dword v158, off, s[0:3], 0 offset:16
	buffer_store_dword v158, off, s[0:3], 0 offset:20
	;; [unrolled: 1-line block ×4, first 2 shown]
	s_waitcnt vmcnt(4)
	ds_write_b128 v157, v[2:5]
.LBB23_155:
	s_or_b64 exec, exec, s[6:7]
	s_waitcnt lgkmcnt(0)
	; wave barrier
	s_waitcnt lgkmcnt(0)
	ds_read_b128 v[14:17], v158 offset:416
	ds_read_b128 v[10:13], v158 offset:432
	;; [unrolled: 1-line block ×4, first 2 shown]
	buffer_load_dword v20, off, s[0:3], 0 offset:16
	buffer_load_dword v21, off, s[0:3], 0 offset:20
	;; [unrolled: 1-line block ×92, first 2 shown]
	s_waitcnt vmcnt(62) lgkmcnt(3)
	v_mul_f64 v[160:161], v[14:15], v[76:77]
	v_fmac_f64_e32 v[160:161], v[16:17], v[70:71]
	s_waitcnt lgkmcnt(2)
	v_mul_f64 v[162:163], v[10:11], v[78:79]
	v_add_f64 v[160:161], v[160:161], 0
	v_fmac_f64_e32 v[162:163], v[12:13], v[72:73]
	v_add_f64 v[160:161], v[160:161], v[162:163]
	s_waitcnt lgkmcnt(1)
	v_mul_f64 v[162:163], v[6:7], v[80:81]
	v_fmac_f64_e32 v[162:163], v[8:9], v[74:75]
	v_add_f64 v[164:165], v[160:161], v[162:163]
	ds_read_b128 v[160:163], v158 offset:480
	v_mul_f64 v[16:17], v[16:17], v[76:77]
	v_fma_f64 v[14:15], v[14:15], v[70:71], -v[16:17]
	s_waitcnt lgkmcnt(1)
	v_mul_f64 v[166:167], v[2:3], v[86:87]
	v_mul_f64 v[12:13], v[12:13], v[78:79]
	v_fmac_f64_e32 v[166:167], v[4:5], v[88:89]
	v_add_f64 v[168:169], v[164:165], v[166:167]
	ds_read_b128 v[164:167], v158 offset:496
	s_waitcnt lgkmcnt(1)
	v_mul_f64 v[170:171], v[160:161], v[82:83]
	v_fmac_f64_e32 v[170:171], v[162:163], v[84:85]
	v_add_f64 v[172:173], v[168:169], v[170:171]
	ds_read_b128 v[168:171], v158 offset:512
	s_waitcnt lgkmcnt(1)
	v_mul_f64 v[174:175], v[164:165], v[94:95]
	s_waitcnt vmcnt(60)
	v_fmac_f64_e32 v[174:175], v[166:167], v[96:97]
	v_add_f64 v[176:177], v[172:173], v[174:175]
	ds_read_b128 v[172:175], v158 offset:528
	s_waitcnt lgkmcnt(1)
	v_mul_f64 v[178:179], v[168:169], v[90:91]
	v_fmac_f64_e32 v[178:179], v[170:171], v[92:93]
	v_add_f64 v[180:181], v[176:177], v[178:179]
	ds_read_b128 v[176:179], v158 offset:544
	s_waitcnt vmcnt(54) lgkmcnt(1)
	v_mul_f64 v[182:183], v[172:173], v[102:103]
	s_waitcnt vmcnt(52)
	v_fmac_f64_e32 v[182:183], v[174:175], v[104:105]
	v_add_f64 v[184:185], v[180:181], v[182:183]
	ds_read_b128 v[180:183], v158 offset:560
	s_waitcnt lgkmcnt(1)
	v_mul_f64 v[186:187], v[176:177], v[98:99]
	v_fmac_f64_e32 v[186:187], v[178:179], v[100:101]
	v_add_f64 v[188:189], v[184:185], v[186:187]
	ds_read_b128 v[184:187], v158 offset:576
	s_waitcnt vmcnt(46) lgkmcnt(1)
	v_mul_f64 v[190:191], v[180:181], v[110:111]
	s_waitcnt vmcnt(44)
	v_fmac_f64_e32 v[190:191], v[182:183], v[112:113]
	v_add_f64 v[192:193], v[188:189], v[190:191]
	ds_read_b128 v[188:191], v158 offset:592
	s_waitcnt lgkmcnt(1)
	v_mul_f64 v[194:195], v[184:185], v[106:107]
	v_fmac_f64_e32 v[194:195], v[186:187], v[108:109]
	v_add_f64 v[14:15], v[14:15], 0
	v_fma_f64 v[10:11], v[10:11], v[72:73], -v[12:13]
	v_mul_f64 v[8:9], v[8:9], v[80:81]
	v_add_f64 v[196:197], v[192:193], v[194:195]
	ds_read_b128 v[192:195], v158 offset:608
	v_add_f64 v[10:11], v[14:15], v[10:11]
	v_fma_f64 v[6:7], v[6:7], v[74:75], -v[8:9]
	v_mul_f64 v[4:5], v[4:5], v[86:87]
	v_add_f64 v[6:7], v[10:11], v[6:7]
	v_fma_f64 v[2:3], v[2:3], v[88:89], -v[4:5]
	v_mul_f64 v[4:5], v[162:163], v[82:83]
	v_add_f64 v[2:3], v[6:7], v[2:3]
	v_fma_f64 v[4:5], v[160:161], v[84:85], -v[4:5]
	s_waitcnt vmcnt(38) lgkmcnt(1)
	v_mul_f64 v[198:199], v[188:189], v[118:119]
	v_add_f64 v[2:3], v[2:3], v[4:5]
	v_mul_f64 v[4:5], v[166:167], v[94:95]
	s_waitcnt vmcnt(36)
	v_fmac_f64_e32 v[198:199], v[190:191], v[120:121]
	v_fma_f64 v[4:5], v[164:165], v[96:97], -v[4:5]
	v_add_f64 v[200:201], v[196:197], v[198:199]
	ds_read_b128 v[196:199], v158 offset:624
	s_waitcnt lgkmcnt(1)
	v_mul_f64 v[202:203], v[192:193], v[114:115]
	v_add_f64 v[2:3], v[2:3], v[4:5]
	v_mul_f64 v[4:5], v[170:171], v[90:91]
	v_fmac_f64_e32 v[202:203], v[194:195], v[116:117]
	v_fma_f64 v[4:5], v[168:169], v[92:93], -v[4:5]
	v_add_f64 v[204:205], v[200:201], v[202:203]
	ds_read_b128 v[200:203], v158 offset:640
	v_add_f64 v[2:3], v[2:3], v[4:5]
	v_mul_f64 v[4:5], v[174:175], v[102:103]
	v_fma_f64 v[4:5], v[172:173], v[104:105], -v[4:5]
	v_add_f64 v[2:3], v[2:3], v[4:5]
	v_mul_f64 v[4:5], v[178:179], v[98:99]
	s_waitcnt vmcnt(30) lgkmcnt(1)
	v_mul_f64 v[206:207], v[196:197], v[126:127]
	v_fma_f64 v[4:5], v[176:177], v[100:101], -v[4:5]
	s_waitcnt vmcnt(28)
	v_fmac_f64_e32 v[206:207], v[198:199], v[128:129]
	v_add_f64 v[2:3], v[2:3], v[4:5]
	v_mul_f64 v[4:5], v[182:183], v[110:111]
	v_add_f64 v[208:209], v[204:205], v[206:207]
	ds_read_b128 v[204:207], v158 offset:656
	s_waitcnt lgkmcnt(1)
	v_mul_f64 v[210:211], v[200:201], v[122:123]
	v_fma_f64 v[4:5], v[180:181], v[112:113], -v[4:5]
	v_fmac_f64_e32 v[210:211], v[202:203], v[124:125]
	v_add_f64 v[2:3], v[2:3], v[4:5]
	v_mul_f64 v[4:5], v[186:187], v[106:107]
	v_add_f64 v[212:213], v[208:209], v[210:211]
	ds_read_b128 v[208:211], v158 offset:672
	v_fma_f64 v[4:5], v[184:185], v[108:109], -v[4:5]
	v_add_f64 v[2:3], v[2:3], v[4:5]
	v_mul_f64 v[4:5], v[190:191], v[118:119]
	v_fma_f64 v[4:5], v[188:189], v[120:121], -v[4:5]
	s_waitcnt vmcnt(22) lgkmcnt(1)
	v_mul_f64 v[214:215], v[204:205], v[232:233]
	v_add_f64 v[2:3], v[2:3], v[4:5]
	v_mul_f64 v[4:5], v[194:195], v[114:115]
	s_waitcnt vmcnt(20)
	v_fmac_f64_e32 v[214:215], v[206:207], v[234:235]
	v_fma_f64 v[4:5], v[192:193], v[116:117], -v[4:5]
	v_add_f64 v[216:217], v[212:213], v[214:215]
	ds_read_b128 v[212:215], v158 offset:688
	s_waitcnt lgkmcnt(1)
	v_mul_f64 v[218:219], v[208:209], v[130:131]
	v_add_f64 v[2:3], v[2:3], v[4:5]
	v_mul_f64 v[4:5], v[198:199], v[126:127]
	v_fmac_f64_e32 v[218:219], v[210:211], v[132:133]
	v_fma_f64 v[4:5], v[196:197], v[128:129], -v[4:5]
	v_add_f64 v[220:221], v[216:217], v[218:219]
	ds_read_b128 v[216:219], v158 offset:704
	v_add_f64 v[2:3], v[2:3], v[4:5]
	v_mul_f64 v[4:5], v[202:203], v[122:123]
	v_fma_f64 v[4:5], v[200:201], v[124:125], -v[4:5]
	v_add_f64 v[2:3], v[2:3], v[4:5]
	v_mul_f64 v[4:5], v[206:207], v[232:233]
	s_waitcnt vmcnt(14) lgkmcnt(1)
	v_mul_f64 v[222:223], v[212:213], v[240:241]
	v_fma_f64 v[4:5], v[204:205], v[234:235], -v[4:5]
	s_waitcnt vmcnt(12)
	v_fmac_f64_e32 v[222:223], v[214:215], v[242:243]
	v_add_f64 v[2:3], v[2:3], v[4:5]
	v_mul_f64 v[4:5], v[210:211], v[130:131]
	v_add_f64 v[224:225], v[220:221], v[222:223]
	ds_read_b128 v[220:223], v158 offset:720
	s_waitcnt lgkmcnt(1)
	v_mul_f64 v[226:227], v[216:217], v[236:237]
	v_fma_f64 v[4:5], v[208:209], v[132:133], -v[4:5]
	v_fmac_f64_e32 v[226:227], v[218:219], v[238:239]
	v_add_f64 v[2:3], v[2:3], v[4:5]
	v_mul_f64 v[4:5], v[214:215], v[240:241]
	v_add_f64 v[134:135], v[224:225], v[226:227]
	ds_read_b128 v[224:227], v158 offset:736
	ds_read_b128 v[228:231], v158 offset:752
	v_fma_f64 v[4:5], v[212:213], v[242:243], -v[4:5]
	v_add_f64 v[2:3], v[2:3], v[4:5]
	v_mul_f64 v[4:5], v[218:219], v[236:237]
	v_fma_f64 v[4:5], v[216:217], v[238:239], -v[4:5]
	v_add_f64 v[2:3], v[2:3], v[4:5]
	s_waitcnt vmcnt(6) lgkmcnt(2)
	v_mul_f64 v[4:5], v[222:223], v[248:249]
	v_mul_f64 v[136:137], v[220:221], v[248:249]
	s_waitcnt vmcnt(4)
	v_fma_f64 v[4:5], v[220:221], v[250:251], -v[4:5]
	v_fmac_f64_e32 v[136:137], v[222:223], v[250:251]
	v_add_f64 v[2:3], v[2:3], v[4:5]
	s_waitcnt lgkmcnt(1)
	v_mul_f64 v[4:5], v[226:227], v[244:245]
	v_add_f64 v[134:135], v[134:135], v[136:137]
	v_mul_f64 v[136:137], v[224:225], v[244:245]
	v_fma_f64 v[4:5], v[224:225], v[246:247], -v[4:5]
	v_fmac_f64_e32 v[136:137], v[226:227], v[246:247]
	v_add_f64 v[2:3], v[2:3], v[4:5]
	s_waitcnt vmcnt(2) lgkmcnt(0)
	v_mul_f64 v[4:5], v[230:231], v[252:253]
	v_add_f64 v[134:135], v[134:135], v[136:137]
	v_mul_f64 v[136:137], v[228:229], v[252:253]
	s_waitcnt vmcnt(0)
	v_fma_f64 v[4:5], v[228:229], v[254:255], -v[4:5]
	v_fmac_f64_e32 v[136:137], v[230:231], v[254:255]
	v_add_f64 v[2:3], v[2:3], v[4:5]
	v_add_f64 v[134:135], v[134:135], v[136:137]
	v_add_f64 v[2:3], v[20:21], -v[2:3]
	v_cmp_ne_u32_e32 vcc, 0, v156
	v_add_f64 v[4:5], v[18:19], -v[134:135]
	buffer_store_dword v3, off, s[0:3], 0 offset:20
	buffer_store_dword v2, off, s[0:3], 0 offset:16
	;; [unrolled: 1-line block ×4, first 2 shown]
	s_and_saveexec_b64 s[6:7], vcc
	s_cbranch_execz .LBB23_157
; %bb.156:
	buffer_load_dword v2, off, s[0:3], 0
	buffer_load_dword v3, off, s[0:3], 0 offset:4
	buffer_load_dword v4, off, s[0:3], 0 offset:8
	;; [unrolled: 1-line block ×3, first 2 shown]
	v_mov_b32_e32 v6, 0
	buffer_store_dword v6, off, s[0:3], 0
	buffer_store_dword v6, off, s[0:3], 0 offset:4
	buffer_store_dword v6, off, s[0:3], 0 offset:8
	;; [unrolled: 1-line block ×3, first 2 shown]
	s_waitcnt vmcnt(4)
	ds_write_b128 v157, v[2:5]
.LBB23_157:
	s_or_b64 exec, exec, s[6:7]
	s_waitcnt lgkmcnt(0)
	; wave barrier
	s_waitcnt lgkmcnt(0)
	buffer_load_dword v9, off, s[0:3], 0 offset:28
	buffer_load_dword v6, off, s[0:3], 0 offset:40
	;; [unrolled: 1-line block ×6, first 2 shown]
	buffer_load_dword v4, off, s[0:3], 0
	buffer_load_dword v5, off, s[0:3], 0 offset:4
	buffer_load_dword v2, off, s[0:3], 0 offset:8
	;; [unrolled: 1-line block ×57, first 2 shown]
	v_mov_b32_e32 v122, 0
	ds_read_b128 v[124:127], v122 offset:400
	ds_read_b128 v[128:131], v122 offset:416
	buffer_load_dword v115, off, s[0:3], 0 offset:284
	buffer_load_dword v114, off, s[0:3], 0 offset:280
	;; [unrolled: 1-line block ×8, first 2 shown]
	ds_read_b128 v[158:161], v122 offset:432
	ds_read_b128 v[162:165], v122 offset:448
	buffer_load_dword v137, off, s[0:3], 0 offset:316
	buffer_load_dword v136, off, s[0:3], 0 offset:312
	;; [unrolled: 1-line block ×24, first 2 shown]
	ds_read_b128 v[166:169], v122 offset:464
	ds_read_b128 v[170:173], v122 offset:480
	;; [unrolled: 1-line block ×19, first 2 shown]
	s_and_b64 vcc, exec, s[26:27]
	s_waitcnt vmcnt(62) lgkmcnt(14)
	v_mul_f64 v[134:135], v[128:129], v[6:7]
	v_mul_f64 v[132:133], v[124:125], v[8:9]
	;; [unrolled: 1-line block ×3, first 2 shown]
	v_fma_f64 v[8:9], v[124:125], v[10:11], -v[8:9]
	v_mul_f64 v[6:7], v[130:131], v[6:7]
	v_fmac_f64_e32 v[132:133], v[126:127], v[10:11]
	v_add_f64 v[8:9], v[8:9], 0
	v_add_f64 v[132:133], v[132:133], 0
	v_fma_f64 v[6:7], v[128:129], v[14:15], -v[6:7]
	v_fmac_f64_e32 v[134:135], v[130:131], v[14:15]
	v_add_f64 v[6:7], v[8:9], v[6:7]
	v_mul_f64 v[8:9], v[160:161], v[16:17]
	v_add_f64 v[132:133], v[132:133], v[134:135]
	v_mul_f64 v[134:135], v[158:159], v[16:17]
	v_fma_f64 v[8:9], v[158:159], v[12:13], -v[8:9]
	v_fmac_f64_e32 v[134:135], v[160:161], v[12:13]
	v_add_f64 v[6:7], v[6:7], v[8:9]
	v_mul_f64 v[8:9], v[164:165], v[70:71]
	v_add_f64 v[132:133], v[132:133], v[134:135]
	v_mul_f64 v[134:135], v[162:163], v[70:71]
	;; [unrolled: 6-line block ×5, first 2 shown]
	v_fma_f64 v[8:9], v[174:175], v[76:77], -v[8:9]
	v_fmac_f64_e32 v[134:135], v[176:177], v[76:77]
	v_add_f64 v[6:7], v[6:7], v[8:9]
	s_waitcnt vmcnt(58)
	v_mul_f64 v[8:9], v[180:181], v[86:87]
	v_add_f64 v[132:133], v[132:133], v[134:135]
	v_mul_f64 v[134:135], v[178:179], v[86:87]
	s_waitcnt vmcnt(56)
	v_fma_f64 v[8:9], v[178:179], v[88:89], -v[8:9]
	v_fmac_f64_e32 v[134:135], v[180:181], v[88:89]
	v_add_f64 v[6:7], v[6:7], v[8:9]
	v_mul_f64 v[8:9], v[184:185], v[82:83]
	v_add_f64 v[132:133], v[132:133], v[134:135]
	v_mul_f64 v[134:135], v[182:183], v[82:83]
	v_fma_f64 v[8:9], v[182:183], v[84:85], -v[8:9]
	v_fmac_f64_e32 v[134:135], v[184:185], v[84:85]
	v_add_f64 v[6:7], v[6:7], v[8:9]
	s_waitcnt vmcnt(50) lgkmcnt(13)
	v_mul_f64 v[8:9], v[188:189], v[94:95]
	v_add_f64 v[132:133], v[132:133], v[134:135]
	v_mul_f64 v[134:135], v[186:187], v[94:95]
	s_waitcnt vmcnt(48)
	v_fma_f64 v[8:9], v[186:187], v[96:97], -v[8:9]
	v_fmac_f64_e32 v[134:135], v[188:189], v[96:97]
	v_add_f64 v[6:7], v[6:7], v[8:9]
	s_waitcnt lgkmcnt(12)
	v_mul_f64 v[8:9], v[192:193], v[90:91]
	v_add_f64 v[132:133], v[132:133], v[134:135]
	v_mul_f64 v[134:135], v[190:191], v[90:91]
	v_fma_f64 v[8:9], v[190:191], v[92:93], -v[8:9]
	v_fmac_f64_e32 v[134:135], v[192:193], v[92:93]
	v_add_f64 v[6:7], v[6:7], v[8:9]
	s_waitcnt vmcnt(42) lgkmcnt(11)
	v_mul_f64 v[8:9], v[196:197], v[102:103]
	v_add_f64 v[132:133], v[132:133], v[134:135]
	v_mul_f64 v[134:135], v[194:195], v[102:103]
	s_waitcnt vmcnt(40)
	v_fma_f64 v[8:9], v[194:195], v[104:105], -v[8:9]
	v_fmac_f64_e32 v[134:135], v[196:197], v[104:105]
	v_add_f64 v[6:7], v[6:7], v[8:9]
	s_waitcnt lgkmcnt(10)
	;; [unrolled: 15-line block ×7, first 2 shown]
	v_mul_f64 v[8:9], v[240:241], v[138:139]
	v_add_f64 v[122:123], v[122:123], v[132:133]
	v_mul_f64 v[132:133], v[238:239], v[138:139]
	v_fma_f64 v[8:9], v[238:239], v[140:141], -v[8:9]
	v_fmac_f64_e32 v[132:133], v[240:241], v[140:141]
	v_add_f64 v[6:7], v[6:7], v[8:9]
	v_add_f64 v[122:123], v[122:123], v[132:133]
	v_add_f64 v[4:5], v[4:5], -v[6:7]
	v_add_f64 v[2:3], v[2:3], -v[122:123]
	buffer_store_dword v5, off, s[0:3], 0 offset:4
	buffer_store_dword v4, off, s[0:3], 0
	buffer_store_dword v3, off, s[0:3], 0 offset:12
	buffer_store_dword v2, off, s[0:3], 0 offset:8
	s_cbranch_vccz .LBB23_205
; %bb.158:
	v_pk_mov_b32 v[2:3], s[24:25], s[24:25] op_sel:[0,1]
	flat_load_dword v2, v[2:3] offset:88
	s_load_dwordx2 s[4:5], s[4:5], 0x4
	v_bfe_u32 v4, v0, 10, 10
	v_bfe_u32 v0, v0, 20, 10
	s_waitcnt lgkmcnt(0)
	s_lshr_b32 s4, s4, 16
	s_mul_i32 s4, s4, s5
	v_mul_u32_u24_e32 v3, s4, v156
	v_mul_u32_u24_e32 v4, s5, v4
	v_add3_u32 v0, v3, v4, v0
	v_mov_b32_e32 v3, 0x308
	v_lshl_add_u32 v0, v0, 4, v3
	s_waitcnt vmcnt(0)
	v_add_u32_e32 v2, -1, v2
	v_cmp_ne_u32_e32 vcc, 22, v2
	s_and_saveexec_b64 s[4:5], vcc
	s_cbranch_execz .LBB23_160
; %bb.159:
	v_mov_b32_e32 v3, 0
	v_accvgpr_read_b32 v11, a1
	v_lshl_add_u32 v6, v2, 4, v3
	buffer_load_dword v2, v11, s[0:3], 0 offen
	buffer_load_dword v3, v11, s[0:3], 0 offen offset:4
	buffer_load_dword v4, v11, s[0:3], 0 offen offset:8
	buffer_load_dword v5, v11, s[0:3], 0 offen offset:12
	buffer_load_dword v7, v6, s[0:3], 0 offen
	buffer_load_dword v8, v6, s[0:3], 0 offen offset:4
	buffer_load_dword v9, v6, s[0:3], 0 offen offset:8
	buffer_load_dword v10, v6, s[0:3], 0 offen offset:12
	s_waitcnt vmcnt(4)
	ds_write2_b64 v0, v[2:3], v[4:5] offset1:1
	s_waitcnt vmcnt(3)
	buffer_store_dword v7, v11, s[0:3], 0 offen
	s_waitcnt vmcnt(3)
	buffer_store_dword v8, v11, s[0:3], 0 offen offset:4
	s_waitcnt vmcnt(3)
	buffer_store_dword v9, v11, s[0:3], 0 offen offset:8
	s_waitcnt vmcnt(3)
	buffer_store_dword v10, v11, s[0:3], 0 offen offset:12
	buffer_store_dword v5, v6, s[0:3], 0 offen offset:12
	buffer_store_dword v4, v6, s[0:3], 0 offen offset:8
	buffer_store_dword v3, v6, s[0:3], 0 offen offset:4
	buffer_store_dword v2, v6, s[0:3], 0 offen
.LBB23_160:
	s_or_b64 exec, exec, s[4:5]
	v_pk_mov_b32 v[2:3], s[24:25], s[24:25] op_sel:[0,1]
	flat_load_dword v2, v[2:3] offset:84
	s_waitcnt vmcnt(0) lgkmcnt(0)
	v_add_u32_e32 v2, -1, v2
	v_cmp_ne_u32_e32 vcc, 21, v2
	s_and_saveexec_b64 s[4:5], vcc
	s_cbranch_execz .LBB23_162
; %bb.161:
	v_mov_b32_e32 v3, 0
	v_accvgpr_read_b32 v11, a2
	v_lshl_add_u32 v6, v2, 4, v3
	buffer_load_dword v2, v11, s[0:3], 0 offen
	buffer_load_dword v3, v11, s[0:3], 0 offen offset:4
	buffer_load_dword v4, v11, s[0:3], 0 offen offset:8
	buffer_load_dword v5, v11, s[0:3], 0 offen offset:12
	buffer_load_dword v7, v6, s[0:3], 0 offen
	buffer_load_dword v8, v6, s[0:3], 0 offen offset:4
	buffer_load_dword v9, v6, s[0:3], 0 offen offset:8
	buffer_load_dword v10, v6, s[0:3], 0 offen offset:12
	s_waitcnt vmcnt(4)
	ds_write2_b64 v0, v[2:3], v[4:5] offset1:1
	s_waitcnt vmcnt(3)
	buffer_store_dword v7, v11, s[0:3], 0 offen
	s_waitcnt vmcnt(3)
	buffer_store_dword v8, v11, s[0:3], 0 offen offset:4
	s_waitcnt vmcnt(3)
	buffer_store_dword v9, v11, s[0:3], 0 offen offset:8
	s_waitcnt vmcnt(3)
	buffer_store_dword v10, v11, s[0:3], 0 offen offset:12
	buffer_store_dword v5, v6, s[0:3], 0 offen offset:12
	buffer_store_dword v4, v6, s[0:3], 0 offen offset:8
	buffer_store_dword v3, v6, s[0:3], 0 offen offset:4
	buffer_store_dword v2, v6, s[0:3], 0 offen
.LBB23_162:
	s_or_b64 exec, exec, s[4:5]
	v_pk_mov_b32 v[2:3], s[24:25], s[24:25] op_sel:[0,1]
	flat_load_dword v2, v[2:3] offset:80
	s_waitcnt vmcnt(0) lgkmcnt(0)
	;; [unrolled: 35-line block ×11, first 2 shown]
	v_add_u32_e32 v2, -1, v2
	v_cmp_ne_u32_e32 vcc, 11, v2
	s_and_saveexec_b64 s[4:5], vcc
	s_cbranch_execz .LBB23_182
; %bb.181:
	v_mov_b32_e32 v3, 0
	v_lshl_add_u32 v6, v2, 4, v3
	buffer_load_dword v2, v1, s[0:3], 0 offen
	buffer_load_dword v3, v1, s[0:3], 0 offen offset:4
	buffer_load_dword v4, v1, s[0:3], 0 offen offset:8
	buffer_load_dword v5, v1, s[0:3], 0 offen offset:12
	buffer_load_dword v7, v6, s[0:3], 0 offen
	buffer_load_dword v8, v6, s[0:3], 0 offen offset:4
	buffer_load_dword v9, v6, s[0:3], 0 offen offset:8
	buffer_load_dword v10, v6, s[0:3], 0 offen offset:12
	s_waitcnt vmcnt(4)
	ds_write2_b64 v0, v[2:3], v[4:5] offset1:1
	s_waitcnt vmcnt(3)
	buffer_store_dword v7, v1, s[0:3], 0 offen
	s_waitcnt vmcnt(3)
	buffer_store_dword v8, v1, s[0:3], 0 offen offset:4
	s_waitcnt vmcnt(3)
	buffer_store_dword v9, v1, s[0:3], 0 offen offset:8
	s_waitcnt vmcnt(3)
	buffer_store_dword v10, v1, s[0:3], 0 offen offset:12
	buffer_store_dword v5, v6, s[0:3], 0 offen offset:12
	buffer_store_dword v4, v6, s[0:3], 0 offen offset:8
	buffer_store_dword v3, v6, s[0:3], 0 offen offset:4
	buffer_store_dword v2, v6, s[0:3], 0 offen
.LBB23_182:
	s_or_b64 exec, exec, s[4:5]
	v_pk_mov_b32 v[2:3], s[24:25], s[24:25] op_sel:[0,1]
	flat_load_dword v2, v[2:3] offset:40
	s_waitcnt vmcnt(0) lgkmcnt(0)
	v_add_u32_e32 v2, -1, v2
	v_cmp_ne_u32_e32 vcc, 10, v2
	s_and_saveexec_b64 s[4:5], vcc
	s_cbranch_execz .LBB23_184
; %bb.183:
	v_mov_b32_e32 v3, 0
	v_lshl_add_u32 v6, v2, 4, v3
	buffer_load_dword v2, v149, s[0:3], 0 offen
	buffer_load_dword v3, v149, s[0:3], 0 offen offset:4
	buffer_load_dword v4, v149, s[0:3], 0 offen offset:8
	buffer_load_dword v5, v149, s[0:3], 0 offen offset:12
	buffer_load_dword v7, v6, s[0:3], 0 offen
	buffer_load_dword v8, v6, s[0:3], 0 offen offset:4
	buffer_load_dword v9, v6, s[0:3], 0 offen offset:8
	buffer_load_dword v10, v6, s[0:3], 0 offen offset:12
	s_waitcnt vmcnt(4)
	ds_write2_b64 v0, v[2:3], v[4:5] offset1:1
	s_waitcnt vmcnt(3)
	buffer_store_dword v7, v149, s[0:3], 0 offen
	s_waitcnt vmcnt(3)
	buffer_store_dword v8, v149, s[0:3], 0 offen offset:4
	s_waitcnt vmcnt(3)
	buffer_store_dword v9, v149, s[0:3], 0 offen offset:8
	s_waitcnt vmcnt(3)
	buffer_store_dword v10, v149, s[0:3], 0 offen offset:12
	buffer_store_dword v5, v6, s[0:3], 0 offen offset:12
	buffer_store_dword v4, v6, s[0:3], 0 offen offset:8
	buffer_store_dword v3, v6, s[0:3], 0 offen offset:4
	buffer_store_dword v2, v6, s[0:3], 0 offen
.LBB23_184:
	s_or_b64 exec, exec, s[4:5]
	v_pk_mov_b32 v[2:3], s[24:25], s[24:25] op_sel:[0,1]
	flat_load_dword v2, v[2:3] offset:36
	s_waitcnt vmcnt(0) lgkmcnt(0)
	;; [unrolled: 34-line block ×10, first 2 shown]
	v_add_u32_e32 v2, -1, v2
	v_cmp_ne_u32_e32 vcc, 1, v2
	s_and_saveexec_b64 s[4:5], vcc
	s_cbranch_execz .LBB23_202
; %bb.201:
	v_mov_b32_e32 v3, 0
	v_lshl_add_u32 v6, v2, 4, v3
	buffer_load_dword v2, v153, s[0:3], 0 offen
	buffer_load_dword v3, v153, s[0:3], 0 offen offset:4
	buffer_load_dword v4, v153, s[0:3], 0 offen offset:8
	;; [unrolled: 1-line block ×3, first 2 shown]
	buffer_load_dword v7, v6, s[0:3], 0 offen
	buffer_load_dword v8, v6, s[0:3], 0 offen offset:4
	buffer_load_dword v9, v6, s[0:3], 0 offen offset:8
	;; [unrolled: 1-line block ×3, first 2 shown]
	s_waitcnt vmcnt(4)
	ds_write2_b64 v0, v[2:3], v[4:5] offset1:1
	s_waitcnt vmcnt(3)
	buffer_store_dword v7, v153, s[0:3], 0 offen
	s_waitcnt vmcnt(3)
	buffer_store_dword v8, v153, s[0:3], 0 offen offset:4
	s_waitcnt vmcnt(3)
	buffer_store_dword v9, v153, s[0:3], 0 offen offset:8
	;; [unrolled: 2-line block ×3, first 2 shown]
	buffer_store_dword v5, v6, s[0:3], 0 offen offset:12
	buffer_store_dword v4, v6, s[0:3], 0 offen offset:8
	;; [unrolled: 1-line block ×3, first 2 shown]
	buffer_store_dword v2, v6, s[0:3], 0 offen
.LBB23_202:
	s_or_b64 exec, exec, s[4:5]
	v_pk_mov_b32 v[2:3], s[24:25], s[24:25] op_sel:[0,1]
	flat_load_dword v2, v[2:3]
	s_waitcnt vmcnt(0) lgkmcnt(0)
	v_add_u32_e32 v2, -1, v2
	v_cmp_ne_u32_e32 vcc, 0, v2
	s_and_saveexec_b64 s[4:5], vcc
	s_cbranch_execz .LBB23_204
; %bb.203:
	v_mov_b32_e32 v3, 0
	v_lshl_add_u32 v6, v2, 4, v3
	buffer_load_dword v2, off, s[0:3], 0
	buffer_load_dword v3, off, s[0:3], 0 offset:4
	buffer_load_dword v4, off, s[0:3], 0 offset:8
	;; [unrolled: 1-line block ×3, first 2 shown]
	buffer_load_dword v7, v6, s[0:3], 0 offen
	buffer_load_dword v8, v6, s[0:3], 0 offen offset:4
	buffer_load_dword v9, v6, s[0:3], 0 offen offset:8
	;; [unrolled: 1-line block ×3, first 2 shown]
	s_waitcnt vmcnt(4)
	ds_write2_b64 v0, v[2:3], v[4:5] offset1:1
	s_waitcnt vmcnt(3)
	buffer_store_dword v7, off, s[0:3], 0
	s_waitcnt vmcnt(3)
	buffer_store_dword v8, off, s[0:3], 0 offset:4
	s_waitcnt vmcnt(3)
	buffer_store_dword v9, off, s[0:3], 0 offset:8
	;; [unrolled: 2-line block ×3, first 2 shown]
	buffer_store_dword v5, v6, s[0:3], 0 offen offset:12
	buffer_store_dword v4, v6, s[0:3], 0 offen offset:8
	;; [unrolled: 1-line block ×3, first 2 shown]
	buffer_store_dword v2, v6, s[0:3], 0 offen
.LBB23_204:
	s_or_b64 exec, exec, s[4:5]
.LBB23_205:
	v_accvgpr_read_b32 v110, a9
	v_accvgpr_read_b32 v116, a11
	;; [unrolled: 1-line block ×5, first 2 shown]
	buffer_load_dword v2, off, s[0:3], 0
	buffer_load_dword v3, off, s[0:3], 0 offset:4
	buffer_load_dword v4, off, s[0:3], 0 offset:8
	;; [unrolled: 1-line block ×3, first 2 shown]
	buffer_load_dword v7, v153, s[0:3], 0 offen offset:4
	buffer_load_dword v8, v153, s[0:3], 0 offen offset:8
	;; [unrolled: 1-line block ×3, first 2 shown]
	buffer_load_dword v10, v154, s[0:3], 0 offen
	buffer_load_dword v11, v154, s[0:3], 0 offen offset:4
	buffer_load_dword v12, v154, s[0:3], 0 offen offset:8
	buffer_load_dword v6, v153, s[0:3], 0 offen
	buffer_load_dword v13, v154, s[0:3], 0 offen offset:12
	buffer_load_dword v15, v155, s[0:3], 0 offen offset:4
	;; [unrolled: 1-line block ×4, first 2 shown]
	buffer_load_dword v18, v150, s[0:3], 0 offen
	buffer_load_dword v19, v150, s[0:3], 0 offen offset:4
	buffer_load_dword v20, v150, s[0:3], 0 offen offset:8
	buffer_load_dword v14, v155, s[0:3], 0 offen
                                        ; kill: killed $vgpr153
                                        ; kill: killed $vgpr155
                                        ; kill: killed $vgpr154
	buffer_load_dword v21, v150, s[0:3], 0 offen offset:12
	buffer_load_dword v71, v151, s[0:3], 0 offen offset:4
	;; [unrolled: 1-line block ×4, first 2 shown]
	buffer_load_dword v74, v152, s[0:3], 0 offen
	buffer_load_dword v75, v152, s[0:3], 0 offen offset:4
	buffer_load_dword v76, v152, s[0:3], 0 offen offset:8
	buffer_load_dword v70, v151, s[0:3], 0 offen
	buffer_load_dword v77, v152, s[0:3], 0 offen offset:12
	buffer_load_dword v79, v146, s[0:3], 0 offen offset:4
	;; [unrolled: 1-line block ×4, first 2 shown]
	buffer_load_dword v82, v148, s[0:3], 0 offen
	buffer_load_dword v83, v148, s[0:3], 0 offen offset:4
	buffer_load_dword v84, v148, s[0:3], 0 offen offset:8
                                        ; kill: killed $vgpr152
                                        ; kill: killed $vgpr151
                                        ; kill: killed $vgpr150
	buffer_load_dword v78, v146, s[0:3], 0 offen
	buffer_load_dword v85, v148, s[0:3], 0 offen offset:12
	buffer_load_dword v87, v147, s[0:3], 0 offen offset:4
	;; [unrolled: 1-line block ×4, first 2 shown]
	buffer_load_dword v90, v149, s[0:3], 0 offen
	buffer_load_dword v91, v149, s[0:3], 0 offen offset:4
	buffer_load_dword v92, v149, s[0:3], 0 offen offset:8
	buffer_load_dword v86, v147, s[0:3], 0 offen
	buffer_load_dword v93, v149, s[0:3], 0 offen offset:12
	buffer_load_dword v95, v1, s[0:3], 0 offen offset:4
	;; [unrolled: 1-line block ×4, first 2 shown]
	buffer_load_dword v98, v110, s[0:3], 0 offen
	buffer_load_dword v99, v110, s[0:3], 0 offen offset:4
                                        ; kill: killed $vgpr148
                                        ; kill: killed $vgpr149
                                        ; kill: killed $vgpr146
                                        ; kill: killed $vgpr147
	buffer_load_dword v100, v110, s[0:3], 0 offen offset:8
	buffer_load_dword v94, v1, s[0:3], 0 offen
	buffer_load_dword v101, v110, s[0:3], 0 offen offset:12
	buffer_load_dword v103, v116, s[0:3], 0 offen offset:4
	;; [unrolled: 1-line block ×4, first 2 shown]
	buffer_load_dword v106, v115, s[0:3], 0 offen
	buffer_load_dword v107, v115, s[0:3], 0 offen offset:4
	buffer_load_dword v108, v115, s[0:3], 0 offen offset:8
	buffer_load_dword v102, v116, s[0:3], 0 offen
	buffer_load_dword v109, v115, s[0:3], 0 offen offset:12
	buffer_load_dword v111, v118, s[0:3], 0 offen offset:4
	;; [unrolled: 1-line block ×4, first 2 shown]
	buffer_load_dword v114, v0, s[0:3], 0 offen
                                        ; kill: killed $vgpr1
                                        ; kill: killed $vgpr116
                                        ; kill: killed $vgpr110
                                        ; kill: killed $vgpr115
	s_nop 0
	buffer_load_dword v115, v0, s[0:3], 0 offen offset:4
	buffer_load_dword v116, v0, s[0:3], 0 offen offset:8
	buffer_load_dword v110, v118, s[0:3], 0 offen
	buffer_load_dword v117, v0, s[0:3], 0 offen offset:12
	v_accvgpr_read_b32 v1, a6
                                        ; kill: killed $vgpr0
	v_accvgpr_read_b32 v0, a5
	buffer_load_dword v119, v1, s[0:3], 0 offen offset:4
	buffer_load_dword v120, v1, s[0:3], 0 offen offset:8
	;; [unrolled: 1-line block ×3, first 2 shown]
                                        ; kill: killed $vgpr118
	buffer_load_dword v122, v0, s[0:3], 0 offen
	buffer_load_dword v123, v0, s[0:3], 0 offen offset:4
	buffer_load_dword v124, v0, s[0:3], 0 offen offset:8
	buffer_load_dword v118, v1, s[0:3], 0 offen
	buffer_load_dword v125, v0, s[0:3], 0 offen offset:12
	v_accvgpr_read_b32 v1, a4
	v_accvgpr_read_b32 v0, a3
	buffer_load_dword v127, v1, s[0:3], 0 offen offset:4
	buffer_load_dword v128, v1, s[0:3], 0 offen offset:8
	;; [unrolled: 1-line block ×3, first 2 shown]
	buffer_load_dword v130, v0, s[0:3], 0 offen
	buffer_load_dword v131, v0, s[0:3], 0 offen offset:4
	buffer_load_dword v132, v0, s[0:3], 0 offen offset:8
	buffer_load_dword v126, v1, s[0:3], 0 offen
	buffer_load_dword v133, v0, s[0:3], 0 offen offset:12
	v_accvgpr_read_b32 v1, a2
	v_accvgpr_read_b32 v0, a1
	buffer_load_dword v137, v1, s[0:3], 0 offen offset:4
	buffer_load_dword v138, v1, s[0:3], 0 offen offset:8
	;; [unrolled: 1-line block ×3, first 2 shown]
	buffer_load_dword v140, v0, s[0:3], 0 offen
	buffer_load_dword v141, v0, s[0:3], 0 offen offset:4
	buffer_load_dword v142, v0, s[0:3], 0 offen offset:8
	buffer_load_dword v136, v1, s[0:3], 0 offen
	buffer_load_dword v143, v0, s[0:3], 0 offen offset:12
	v_accvgpr_read_b32 v0, a0
	buffer_load_dword v144, v0, s[0:3], 0 offen
	buffer_load_dword v145, v0, s[0:3], 0 offen offset:4
	buffer_load_dword v146, v0, s[0:3], 0 offen offset:8
	buffer_load_dword v147, v0, s[0:3], 0 offen offset:12
	s_waitcnt vmcnt(62)
	global_store_dwordx4 v[22:23], v[2:5], off
	global_store_dwordx4 v[24:25], v[6:9], off
	;; [unrolled: 1-line block ×7, first 2 shown]
	s_waitcnt vmcnt(62)
	global_store_dwordx4 v[38:39], v[78:81], off
	global_store_dwordx4 v[40:41], v[82:85], off
	s_waitcnt vmcnt(62)
	global_store_dwordx4 v[42:43], v[86:89], off
	s_waitcnt vmcnt(62)
	;; [unrolled: 2-line block ×15, first 2 shown]
	global_store_dwordx4 v[30:31], v[144:147], off
	s_endpgm
	.section	.rodata,"a",@progbits
	.p2align	6, 0x0
	.amdhsa_kernel _ZN9rocsolver6v33100L18getri_kernel_smallILi24E19rocblas_complex_numIdEPS3_EEvT1_iilPiilS6_bb
		.amdhsa_group_segment_fixed_size 1800
		.amdhsa_private_segment_fixed_size 400
		.amdhsa_kernarg_size 60
		.amdhsa_user_sgpr_count 10
		.amdhsa_user_sgpr_private_segment_buffer 1
		.amdhsa_user_sgpr_dispatch_ptr 1
		.amdhsa_user_sgpr_queue_ptr 0
		.amdhsa_user_sgpr_kernarg_segment_ptr 1
		.amdhsa_user_sgpr_dispatch_id 0
		.amdhsa_user_sgpr_flat_scratch_init 1
		.amdhsa_user_sgpr_kernarg_preload_length 0
		.amdhsa_user_sgpr_kernarg_preload_offset 0
		.amdhsa_user_sgpr_private_segment_size 0
		.amdhsa_uses_dynamic_stack 0
		.amdhsa_system_sgpr_private_segment_wavefront_offset 1
		.amdhsa_system_sgpr_workgroup_id_x 1
		.amdhsa_system_sgpr_workgroup_id_y 0
		.amdhsa_system_sgpr_workgroup_id_z 0
		.amdhsa_system_sgpr_workgroup_info 0
		.amdhsa_system_vgpr_workitem_id 2
		.amdhsa_next_free_vgpr 268
		.amdhsa_next_free_sgpr 29
		.amdhsa_accum_offset 256
		.amdhsa_reserve_vcc 1
		.amdhsa_reserve_flat_scratch 1
		.amdhsa_float_round_mode_32 0
		.amdhsa_float_round_mode_16_64 0
		.amdhsa_float_denorm_mode_32 3
		.amdhsa_float_denorm_mode_16_64 3
		.amdhsa_dx10_clamp 1
		.amdhsa_ieee_mode 1
		.amdhsa_fp16_overflow 0
		.amdhsa_tg_split 0
		.amdhsa_exception_fp_ieee_invalid_op 0
		.amdhsa_exception_fp_denorm_src 0
		.amdhsa_exception_fp_ieee_div_zero 0
		.amdhsa_exception_fp_ieee_overflow 0
		.amdhsa_exception_fp_ieee_underflow 0
		.amdhsa_exception_fp_ieee_inexact 0
		.amdhsa_exception_int_div_zero 0
	.end_amdhsa_kernel
	.section	.text._ZN9rocsolver6v33100L18getri_kernel_smallILi24E19rocblas_complex_numIdEPS3_EEvT1_iilPiilS6_bb,"axG",@progbits,_ZN9rocsolver6v33100L18getri_kernel_smallILi24E19rocblas_complex_numIdEPS3_EEvT1_iilPiilS6_bb,comdat
.Lfunc_end23:
	.size	_ZN9rocsolver6v33100L18getri_kernel_smallILi24E19rocblas_complex_numIdEPS3_EEvT1_iilPiilS6_bb, .Lfunc_end23-_ZN9rocsolver6v33100L18getri_kernel_smallILi24E19rocblas_complex_numIdEPS3_EEvT1_iilPiilS6_bb
                                        ; -- End function
	.section	.AMDGPU.csdata,"",@progbits
; Kernel info:
; codeLenInByte = 45640
; NumSgprs: 35
; NumVgprs: 256
; NumAgprs: 12
; TotalNumVgprs: 268
; ScratchSize: 400
; MemoryBound: 0
; FloatMode: 240
; IeeeMode: 1
; LDSByteSize: 1800 bytes/workgroup (compile time only)
; SGPRBlocks: 4
; VGPRBlocks: 33
; NumSGPRsForWavesPerEU: 35
; NumVGPRsForWavesPerEU: 268
; AccumOffset: 256
; Occupancy: 1
; WaveLimiterHint : 1
; COMPUTE_PGM_RSRC2:SCRATCH_EN: 1
; COMPUTE_PGM_RSRC2:USER_SGPR: 10
; COMPUTE_PGM_RSRC2:TRAP_HANDLER: 0
; COMPUTE_PGM_RSRC2:TGID_X_EN: 1
; COMPUTE_PGM_RSRC2:TGID_Y_EN: 0
; COMPUTE_PGM_RSRC2:TGID_Z_EN: 0
; COMPUTE_PGM_RSRC2:TIDIG_COMP_CNT: 2
; COMPUTE_PGM_RSRC3_GFX90A:ACCUM_OFFSET: 63
; COMPUTE_PGM_RSRC3_GFX90A:TG_SPLIT: 0
	.section	.text._ZN9rocsolver6v33100L18getri_kernel_smallILi25E19rocblas_complex_numIdEPS3_EEvT1_iilPiilS6_bb,"axG",@progbits,_ZN9rocsolver6v33100L18getri_kernel_smallILi25E19rocblas_complex_numIdEPS3_EEvT1_iilPiilS6_bb,comdat
	.globl	_ZN9rocsolver6v33100L18getri_kernel_smallILi25E19rocblas_complex_numIdEPS3_EEvT1_iilPiilS6_bb ; -- Begin function _ZN9rocsolver6v33100L18getri_kernel_smallILi25E19rocblas_complex_numIdEPS3_EEvT1_iilPiilS6_bb
	.p2align	8
	.type	_ZN9rocsolver6v33100L18getri_kernel_smallILi25E19rocblas_complex_numIdEPS3_EEvT1_iilPiilS6_bb,@function
_ZN9rocsolver6v33100L18getri_kernel_smallILi25E19rocblas_complex_numIdEPS3_EEvT1_iilPiilS6_bb: ; @_ZN9rocsolver6v33100L18getri_kernel_smallILi25E19rocblas_complex_numIdEPS3_EEvT1_iilPiilS6_bb
; %bb.0:
	s_add_u32 flat_scratch_lo, s8, s11
	s_addc_u32 flat_scratch_hi, s9, 0
	s_add_u32 s0, s0, s11
	v_and_b32_e32 v171, 0x3ff, v0
	s_addc_u32 s1, s1, 0
	v_cmp_gt_u32_e32 vcc, 25, v171
	s_and_saveexec_b64 s[8:9], vcc
	s_cbranch_execz .LBB24_114
; %bb.1:
	s_load_dword s8, s[6:7], 0x38
	s_load_dwordx4 s[20:23], s[6:7], 0x10
	s_load_dwordx4 s[12:15], s[6:7], 0x28
                                        ; implicit-def: $sgpr24_sgpr25
	s_waitcnt lgkmcnt(0)
	s_bitcmp1_b32 s8, 8
	s_cselect_b64 s[26:27], -1, 0
	s_ashr_i32 s11, s10, 31
	s_bfe_u32 s9, s8, 0x10008
	s_cmp_eq_u32 s9, 0
	s_cbranch_scc1 .LBB24_3
; %bb.2:
	s_load_dword s16, s[6:7], 0x20
	s_mul_i32 s9, s10, s13
	s_mul_hi_u32 s13, s10, s12
	s_mul_i32 s18, s11, s12
	s_add_i32 s9, s13, s9
	s_add_i32 s13, s9, s18
	s_mul_i32 s12, s10, s12
	s_waitcnt lgkmcnt(0)
	s_ashr_i32 s17, s16, 31
	s_lshl_b64 s[12:13], s[12:13], 2
	s_add_u32 s9, s22, s12
	s_addc_u32 s18, s23, s13
	s_lshl_b64 s[12:13], s[16:17], 2
	s_add_u32 s24, s9, s12
	s_addc_u32 s25, s18, s13
.LBB24_3:
	s_load_dwordx4 s[16:19], s[6:7], 0x0
	s_mul_i32 s6, s10, s21
	s_mul_hi_u32 s7, s10, s20
	s_add_i32 s9, s7, s6
	s_mul_i32 s12, s11, s20
	s_add_i32 s13, s9, s12
	s_mul_i32 s12, s10, s20
	s_waitcnt lgkmcnt(0)
	s_ashr_i32 s7, s18, 31
	s_lshl_b64 s[12:13], s[12:13], 4
	s_mov_b32 s6, s18
	s_add_u32 s9, s16, s12
	s_addc_u32 s12, s17, s13
	s_lshl_b64 s[6:7], s[6:7], 4
	s_add_u32 s6, s9, s6
	s_addc_u32 s7, s12, s7
	v_lshlrev_b32_e32 v84, 4, v171
	v_mov_b32_e32 v1, s7
	v_add_co_u32_e32 v34, vcc, s6, v84
	s_ashr_i32 s13, s19, 31
	s_mov_b32 s12, s19
	s_add_i32 s9, s19, s19
	v_addc_co_u32_e32 v35, vcc, 0, v1, vcc
	s_lshl_b64 s[12:13], s[12:13], 4
	v_add_u32_e32 v2, s9, v171
	v_mov_b32_e32 v1, s13
	v_add_co_u32_e32 v36, vcc, s12, v34
	v_ashrrev_i32_e32 v3, 31, v2
	v_addc_co_u32_e32 v37, vcc, v35, v1, vcc
	v_lshlrev_b64 v[4:5], 4, v[2:3]
	v_mov_b32_e32 v1, s7
	v_add_co_u32_e32 v38, vcc, s6, v4
	global_load_dwordx4 v[10:13], v84, s[6:7]
	v_addc_co_u32_e32 v39, vcc, v1, v5, vcc
	global_load_dwordx4 v[14:17], v[36:37], off
	global_load_dwordx4 v[18:21], v[38:39], off
	v_add_u32_e32 v2, s19, v2
	v_ashrrev_i32_e32 v3, 31, v2
	v_lshlrev_b64 v[4:5], 4, v[2:3]
	v_add_u32_e32 v2, s19, v2
	v_add_co_u32_e32 v40, vcc, s6, v4
	v_ashrrev_i32_e32 v3, 31, v2
	v_addc_co_u32_e32 v41, vcc, v1, v5, vcc
	v_add_u32_e32 v6, s19, v2
	v_lshlrev_b64 v[2:3], 4, v[2:3]
	v_add_co_u32_e32 v42, vcc, s6, v2
	v_addc_co_u32_e32 v43, vcc, v1, v3, vcc
	global_load_dwordx4 v[22:25], v[40:41], off
	global_load_dwordx4 v[26:29], v[42:43], off
	v_ashrrev_i32_e32 v7, 31, v6
	v_lshlrev_b64 v[2:3], 4, v[6:7]
	v_mov_b32_e32 v4, s7
	v_add_co_u32_e32 v44, vcc, s6, v2
	v_addc_co_u32_e32 v45, vcc, v4, v3, vcc
	global_load_dwordx4 v[2:5], v[44:45], off
	v_add_u32_e32 v6, s19, v6
	v_ashrrev_i32_e32 v7, 31, v6
	v_add_u32_e32 v30, s19, v6
	v_lshlrev_b64 v[6:7], 4, v[6:7]
	v_add_co_u32_e32 v46, vcc, s6, v6
	v_ashrrev_i32_e32 v31, 31, v30
	v_addc_co_u32_e32 v47, vcc, v1, v7, vcc
	global_load_dwordx4 v[6:9], v[46:47], off
	v_lshlrev_b64 v[32:33], 4, v[30:31]
	v_add_co_u32_e32 v48, vcc, s6, v32
	v_addc_co_u32_e32 v49, vcc, v1, v33, vcc
	s_bitcmp0_b32 s8, 0
	s_mov_b64 s[8:9], -1
	s_waitcnt vmcnt(6)
	buffer_store_dword v13, off, s[0:3], 0 offset:12
	buffer_store_dword v12, off, s[0:3], 0 offset:8
	;; [unrolled: 1-line block ×3, first 2 shown]
	buffer_store_dword v10, off, s[0:3], 0
	s_waitcnt vmcnt(9)
	buffer_store_dword v17, off, s[0:3], 0 offset:28
	buffer_store_dword v16, off, s[0:3], 0 offset:24
	buffer_store_dword v15, off, s[0:3], 0 offset:20
	buffer_store_dword v14, off, s[0:3], 0 offset:16
	s_waitcnt vmcnt(12)
	buffer_store_dword v21, off, s[0:3], 0 offset:44
	buffer_store_dword v20, off, s[0:3], 0 offset:40
	buffer_store_dword v19, off, s[0:3], 0 offset:36
	buffer_store_dword v18, off, s[0:3], 0 offset:32
	;; [unrolled: 5-line block ×3, first 2 shown]
	v_add_u32_e32 v18, s19, v30
	v_ashrrev_i32_e32 v19, 31, v18
	v_lshlrev_b64 v[10:11], 4, v[18:19]
	v_add_u32_e32 v18, s19, v18
	v_add_co_u32_e32 v50, vcc, s6, v10
	v_ashrrev_i32_e32 v19, 31, v18
	v_addc_co_u32_e32 v51, vcc, v1, v11, vcc
	v_lshlrev_b64 v[20:21], 4, v[18:19]
	v_add_u32_e32 v30, s19, v18
	v_add_co_u32_e32 v52, vcc, s6, v20
	v_ashrrev_i32_e32 v31, 31, v30
	v_addc_co_u32_e32 v53, vcc, v1, v21, vcc
	;; [unrolled: 5-line block ×3, first 2 shown]
	v_lshlrev_b64 v[32:33], 4, v[30:31]
	v_add_u32_e32 v60, s19, v30
	v_add_co_u32_e32 v56, vcc, s6, v32
	v_ashrrev_i32_e32 v61, 31, v60
	global_load_dwordx4 v[10:13], v[48:49], off
	global_load_dwordx4 v[14:17], v[50:51], off
	global_load_dwordx4 v[18:21], v[52:53], off
	global_load_dwordx4 v[22:25], v[54:55], off
	v_addc_co_u32_e32 v57, vcc, v1, v33, vcc
	s_waitcnt vmcnt(22)
	buffer_store_dword v29, off, s[0:3], 0 offset:76
	buffer_store_dword v28, off, s[0:3], 0 offset:72
	;; [unrolled: 1-line block ×4, first 2 shown]
	s_waitcnt vmcnt(25)
	buffer_store_dword v5, off, s[0:3], 0 offset:92
	v_lshlrev_b64 v[26:27], 4, v[60:61]
	v_add_u32_e32 v62, s19, v60
	v_add_co_u32_e32 v58, vcc, s6, v26
	v_ashrrev_i32_e32 v63, 31, v62
	v_addc_co_u32_e32 v59, vcc, v1, v27, vcc
	v_lshlrev_b64 v[60:61], 4, v[62:63]
	v_add_u32_e32 v64, s19, v62
	v_add_co_u32_e32 v60, vcc, s6, v60
	v_ashrrev_i32_e32 v65, 31, v64
	v_addc_co_u32_e32 v61, vcc, v1, v61, vcc
	;; [unrolled: 5-line block ×10, first 2 shown]
	v_lshlrev_b64 v[78:79], 4, v[80:81]
	v_add_co_u32_e32 v78, vcc, s6, v78
	global_load_dwordx4 v[26:29], v[56:57], off
	global_load_dwordx4 v[30:33], v[58:59], off
	;; [unrolled: 1-line block ×10, first 2 shown]
	v_addc_co_u32_e32 v79, vcc, v1, v79, vcc
	global_load_dwordx4 v[118:121], v[76:77], off
	global_load_dwordx4 v[122:125], v[78:79], off
	v_add_u32_e32 v82, s19, v80
	v_ashrrev_i32_e32 v83, 31, v82
	v_lshlrev_b64 v[80:81], 4, v[82:83]
	v_add_u32_e32 v82, s19, v82
	v_add_co_u32_e32 v80, vcc, s6, v80
	v_ashrrev_i32_e32 v83, 31, v82
	v_addc_co_u32_e32 v81, vcc, v1, v81, vcc
	v_lshlrev_b64 v[82:83], 4, v[82:83]
	v_add_co_u32_e32 v82, vcc, s6, v82
	v_addc_co_u32_e32 v83, vcc, v1, v83, vcc
	global_load_dwordx4 v[126:129], v[80:81], off
	global_load_dwordx4 v[130:133], v[82:83], off
	s_nop 0
	buffer_store_dword v4, off, s[0:3], 0 offset:88
	buffer_store_dword v3, off, s[0:3], 0 offset:84
	buffer_store_dword v2, off, s[0:3], 0 offset:80
	s_waitcnt vmcnt(42)
	buffer_store_dword v9, off, s[0:3], 0 offset:108
	buffer_store_dword v8, off, s[0:3], 0 offset:104
	buffer_store_dword v7, off, s[0:3], 0 offset:100
	buffer_store_dword v6, off, s[0:3], 0 offset:96
	s_waitcnt vmcnt(29)
	buffer_store_dword v13, off, s[0:3], 0 offset:124
	;; [unrolled: 5-line block ×15, first 2 shown]
	buffer_store_dword v116, off, s[0:3], 0 offset:328
	buffer_store_dword v115, off, s[0:3], 0 offset:324
	buffer_store_dword v114, off, s[0:3], 0 offset:320
	buffer_store_dword v121, off, s[0:3], 0 offset:348
	buffer_store_dword v120, off, s[0:3], 0 offset:344
	buffer_store_dword v119, off, s[0:3], 0 offset:340
	buffer_store_dword v118, off, s[0:3], 0 offset:336
	s_waitcnt vmcnt(62)
	buffer_store_dword v125, off, s[0:3], 0 offset:364
	buffer_store_dword v124, off, s[0:3], 0 offset:360
	;; [unrolled: 1-line block ×8, first 2 shown]
	v_mov_b32_e32 v2, 0
	v_add_u32_e32 v3, 64, v2
	v_accvgpr_write_b32 a17, v3
	v_add_u32_e32 v3, 0x50, v2
	v_accvgpr_write_b32 a19, v3
	;; [unrolled: 2-line block ×16, first 2 shown]
	v_add_u32_e32 v3, 0x140, v2
	v_add_u32_e32 v1, 16, v2
	v_accvgpr_write_b32 a4, v3
	v_add_u32_e32 v3, 0x150, v2
	v_accvgpr_write_b32 a21, v1
	v_add_u32_e32 v1, 32, v2
	v_add_u32_e32 v170, 48, v2
	v_accvgpr_write_b32 a3, v3
	v_add_u32_e32 v24, 0x160, v2
	v_add_u32_e32 v23, 0x170, v2
	;; [unrolled: 1-line block ×3, first 2 shown]
	buffer_store_dword v133, off, s[0:3], 0 offset:396
	buffer_store_dword v132, off, s[0:3], 0 offset:392
	;; [unrolled: 1-line block ×4, first 2 shown]
	s_cbranch_scc1 .LBB24_112
; %bb.4:
	v_cmp_eq_u32_e64 s[6:7], 0, v171
	s_and_saveexec_b64 s[8:9], s[6:7]
	s_cbranch_execz .LBB24_6
; %bb.5:
	v_mov_b32_e32 v2, 0
	ds_write_b32 v2, v2 offset:800
.LBB24_6:
	s_or_b64 exec, exec, s[8:9]
	v_mov_b32_e32 v2, 0
	v_lshl_add_u32 v12, v171, 4, v2
	s_waitcnt lgkmcnt(0)
	; wave barrier
	s_waitcnt lgkmcnt(0)
	buffer_load_dword v2, v12, s[0:3], 0 offen
	buffer_load_dword v3, v12, s[0:3], 0 offen offset:4
	buffer_load_dword v4, v12, s[0:3], 0 offen offset:8
	;; [unrolled: 1-line block ×3, first 2 shown]
	s_waitcnt vmcnt(2)
	v_cmp_eq_f64_e32 vcc, 0, v[2:3]
	s_waitcnt vmcnt(0)
	v_cmp_eq_f64_e64 s[8:9], 0, v[4:5]
	s_and_b64 s[8:9], vcc, s[8:9]
	s_and_saveexec_b64 s[12:13], s[8:9]
	s_cbranch_execz .LBB24_10
; %bb.7:
	v_mov_b32_e32 v2, 0
	ds_read_b32 v4, v2 offset:800
	v_add_u32_e32 v3, 1, v171
	s_waitcnt lgkmcnt(0)
	v_readfirstlane_b32 s8, v4
	s_cmp_eq_u32 s8, 0
	s_cselect_b64 s[16:17], -1, 0
	v_cmp_gt_i32_e32 vcc, s8, v3
	s_or_b64 s[16:17], s[16:17], vcc
	s_and_b64 exec, exec, s[16:17]
	s_cbranch_execz .LBB24_10
; %bb.8:
	s_mov_b64 s[16:17], 0
	v_mov_b32_e32 v4, s8
.LBB24_9:                               ; =>This Inner Loop Header: Depth=1
	ds_cmpst_rtn_b32 v4, v2, v4, v3 offset:800
	s_waitcnt lgkmcnt(0)
	v_cmp_ne_u32_e32 vcc, 0, v4
	v_cmp_le_i32_e64 s[8:9], v4, v3
	s_and_b64 s[8:9], vcc, s[8:9]
	s_and_b64 s[8:9], exec, s[8:9]
	s_or_b64 s[16:17], s[8:9], s[16:17]
	s_andn2_b64 exec, exec, s[16:17]
	s_cbranch_execnz .LBB24_9
.LBB24_10:
	s_or_b64 exec, exec, s[12:13]
	v_mov_b32_e32 v3, 0
	s_waitcnt lgkmcnt(0)
	; wave barrier
	ds_read_b32 v2, v3 offset:800
	s_and_saveexec_b64 s[8:9], s[6:7]
	s_cbranch_execz .LBB24_12
; %bb.11:
	s_lshl_b64 s[12:13], s[10:11], 2
	s_add_u32 s12, s14, s12
	s_addc_u32 s13, s15, s13
	s_waitcnt lgkmcnt(0)
	global_store_dword v3, v2, s[12:13]
.LBB24_12:
	s_or_b64 exec, exec, s[8:9]
	s_waitcnt lgkmcnt(0)
	v_cmp_ne_u32_e32 vcc, 0, v2
	s_mov_b64 s[8:9], 0
	s_cbranch_vccnz .LBB24_112
; %bb.13:
	buffer_load_dword v7, v12, s[0:3], 0 offen offset:4
	buffer_load_dword v6, v12, s[0:3], 0 offen
	buffer_load_dword v9, v12, s[0:3], 0 offen offset:12
	buffer_load_dword v8, v12, s[0:3], 0 offen offset:8
                                        ; implicit-def: $vgpr10_vgpr11
	s_waitcnt vmcnt(3)
	v_xor_b32_e32 v3, 0x80000000, v7
	s_waitcnt vmcnt(2)
	v_cmp_gt_f64_e32 vcc, 0, v[6:7]
	s_waitcnt vmcnt(1)
	v_xor_b32_e32 v4, 0x80000000, v9
	v_cndmask_b32_e32 v3, v7, v3, vcc
	s_waitcnt vmcnt(0)
	v_cmp_gt_f64_e32 vcc, 0, v[8:9]
	v_mov_b32_e32 v2, v6
	v_cndmask_b32_e32 v5, v9, v4, vcc
	v_mov_b32_e32 v4, v8
	v_cmp_ngt_f64_e32 vcc, v[2:3], v[4:5]
                                        ; implicit-def: $vgpr4_vgpr5
	s_and_saveexec_b64 s[8:9], vcc
	s_xor_b64 s[8:9], exec, s[8:9]
	s_cbranch_execz .LBB24_15
; %bb.14:
	v_div_scale_f64 v[2:3], s[12:13], v[8:9], v[8:9], v[6:7]
	v_rcp_f64_e32 v[4:5], v[2:3]
	v_div_scale_f64 v[10:11], vcc, v[6:7], v[8:9], v[6:7]
	v_fma_f64 v[14:15], -v[2:3], v[4:5], 1.0
	v_fmac_f64_e32 v[4:5], v[4:5], v[14:15]
	v_fma_f64 v[14:15], -v[2:3], v[4:5], 1.0
	v_fmac_f64_e32 v[4:5], v[4:5], v[14:15]
	v_mul_f64 v[14:15], v[10:11], v[4:5]
	v_fma_f64 v[2:3], -v[2:3], v[14:15], v[10:11]
	v_div_fmas_f64 v[2:3], v[2:3], v[4:5], v[14:15]
	v_div_fixup_f64 v[2:3], v[2:3], v[8:9], v[6:7]
	v_fmac_f64_e32 v[8:9], v[6:7], v[2:3]
	v_div_scale_f64 v[4:5], s[12:13], v[8:9], v[8:9], 1.0
	v_rcp_f64_e32 v[6:7], v[4:5]
	v_fma_f64 v[10:11], -v[4:5], v[6:7], 1.0
	v_fmac_f64_e32 v[6:7], v[6:7], v[10:11]
	v_fma_f64 v[10:11], -v[4:5], v[6:7], 1.0
	v_fmac_f64_e32 v[6:7], v[6:7], v[10:11]
	v_div_scale_f64 v[10:11], vcc, 1.0, v[8:9], 1.0
	v_mul_f64 v[14:15], v[10:11], v[6:7]
	v_fma_f64 v[4:5], -v[4:5], v[14:15], v[10:11]
	s_nop 1
	v_div_fmas_f64 v[4:5], v[4:5], v[6:7], v[14:15]
	v_div_fixup_f64 v[4:5], v[4:5], v[8:9], 1.0
	v_mul_f64 v[10:11], v[2:3], v[4:5]
	v_xor_b32_e32 v5, 0x80000000, v5
	v_xor_b32_e32 v3, 0x80000000, v11
	v_mov_b32_e32 v2, v10
                                        ; implicit-def: $vgpr6_vgpr7
                                        ; implicit-def: $vgpr8_vgpr9
.LBB24_15:
	s_andn2_saveexec_b64 s[8:9], s[8:9]
	s_cbranch_execz .LBB24_17
; %bb.16:
	v_div_scale_f64 v[2:3], s[12:13], v[6:7], v[6:7], v[8:9]
	v_rcp_f64_e32 v[4:5], v[2:3]
	v_div_scale_f64 v[10:11], vcc, v[8:9], v[6:7], v[8:9]
	v_fma_f64 v[14:15], -v[2:3], v[4:5], 1.0
	v_fmac_f64_e32 v[4:5], v[4:5], v[14:15]
	v_fma_f64 v[14:15], -v[2:3], v[4:5], 1.0
	v_fmac_f64_e32 v[4:5], v[4:5], v[14:15]
	v_mul_f64 v[14:15], v[10:11], v[4:5]
	v_fma_f64 v[2:3], -v[2:3], v[14:15], v[10:11]
	v_div_fmas_f64 v[2:3], v[2:3], v[4:5], v[14:15]
	v_div_fixup_f64 v[4:5], v[2:3], v[6:7], v[8:9]
	v_fmac_f64_e32 v[6:7], v[8:9], v[4:5]
	v_div_scale_f64 v[2:3], s[12:13], v[6:7], v[6:7], 1.0
	v_rcp_f64_e32 v[8:9], v[2:3]
	v_fma_f64 v[10:11], -v[2:3], v[8:9], 1.0
	v_fmac_f64_e32 v[8:9], v[8:9], v[10:11]
	v_fma_f64 v[10:11], -v[2:3], v[8:9], 1.0
	v_fmac_f64_e32 v[8:9], v[8:9], v[10:11]
	v_div_scale_f64 v[10:11], vcc, 1.0, v[6:7], 1.0
	v_mul_f64 v[14:15], v[10:11], v[8:9]
	v_fma_f64 v[2:3], -v[2:3], v[14:15], v[10:11]
	s_nop 1
	v_div_fmas_f64 v[2:3], v[2:3], v[8:9], v[14:15]
	v_div_fixup_f64 v[10:11], v[2:3], v[6:7], 1.0
	v_xor_b32_e32 v3, 0x80000000, v11
	v_mov_b32_e32 v2, v10
	v_mul_f64 v[4:5], v[4:5], -v[10:11]
.LBB24_17:
	s_or_b64 exec, exec, s[8:9]
	buffer_store_dword v11, v12, s[0:3], 0 offen offset:4
	buffer_store_dword v10, v12, s[0:3], 0 offen
	buffer_store_dword v5, v12, s[0:3], 0 offen offset:12
	buffer_store_dword v4, v12, s[0:3], 0 offen offset:8
	v_accvgpr_read_b32 v6, a21
	buffer_load_dword v11, v6, s[0:3], 0 offen offset:12
	buffer_load_dword v10, v6, s[0:3], 0 offen offset:8
	;; [unrolled: 1-line block ×3, first 2 shown]
	buffer_load_dword v8, v6, s[0:3], 0 offen
	v_xor_b32_e32 v5, 0x80000000, v5
	v_add_u32_e32 v6, 0x190, v84
	ds_write_b128 v84, v[2:5]
	s_waitcnt vmcnt(0)
	ds_write_b128 v84, v[8:11] offset:400
	s_waitcnt lgkmcnt(0)
	; wave barrier
	s_waitcnt lgkmcnt(0)
	s_and_saveexec_b64 s[8:9], s[6:7]
	s_cbranch_execz .LBB24_19
; %bb.18:
	buffer_load_dword v14, v12, s[0:3], 0 offen offset:8
	buffer_load_dword v15, v12, s[0:3], 0 offen offset:12
	buffer_load_dword v16, v12, s[0:3], 0 offen
	buffer_load_dword v17, v12, s[0:3], 0 offen offset:4
	ds_read_b128 v[2:5], v6
	v_mov_b32_e32 v7, 0
	ds_read_b128 v[8:11], v7 offset:16
	s_waitcnt vmcnt(2) lgkmcnt(1)
	v_mul_f64 v[18:19], v[4:5], v[14:15]
	v_mul_f64 v[14:15], v[2:3], v[14:15]
	s_waitcnt vmcnt(0)
	v_fmac_f64_e32 v[14:15], v[4:5], v[16:17]
	v_fma_f64 v[2:3], v[2:3], v[16:17], -v[18:19]
	v_add_f64 v[4:5], v[14:15], 0
	v_add_f64 v[2:3], v[2:3], 0
	s_waitcnt lgkmcnt(0)
	v_mul_f64 v[14:15], v[4:5], v[10:11]
	v_mul_f64 v[10:11], v[2:3], v[10:11]
	v_fma_f64 v[2:3], v[2:3], v[8:9], -v[14:15]
	v_fmac_f64_e32 v[10:11], v[4:5], v[8:9]
	buffer_store_dword v2, off, s[0:3], 0 offset:16
	buffer_store_dword v3, off, s[0:3], 0 offset:20
	;; [unrolled: 1-line block ×4, first 2 shown]
.LBB24_19:
	s_or_b64 exec, exec, s[8:9]
	s_waitcnt lgkmcnt(0)
	; wave barrier
	buffer_load_dword v2, v1, s[0:3], 0 offen
	buffer_load_dword v3, v1, s[0:3], 0 offen offset:4
	buffer_load_dword v4, v1, s[0:3], 0 offen offset:8
	;; [unrolled: 1-line block ×3, first 2 shown]
	v_cmp_gt_u32_e32 vcc, 2, v171
	s_waitcnt vmcnt(0)
	ds_write_b128 v6, v[2:5]
	s_waitcnt lgkmcnt(0)
	; wave barrier
	s_waitcnt lgkmcnt(0)
	s_and_saveexec_b64 s[8:9], vcc
	s_cbranch_execz .LBB24_23
; %bb.20:
	buffer_load_dword v8, v12, s[0:3], 0 offen offset:8
	buffer_load_dword v9, v12, s[0:3], 0 offen offset:12
	buffer_load_dword v10, v12, s[0:3], 0 offen
	buffer_load_dword v11, v12, s[0:3], 0 offen offset:4
	ds_read_b128 v[2:5], v6
	s_waitcnt vmcnt(2) lgkmcnt(0)
	v_mul_f64 v[12:13], v[4:5], v[8:9]
	v_mul_f64 v[8:9], v[2:3], v[8:9]
	s_waitcnt vmcnt(0)
	v_fma_f64 v[2:3], v[2:3], v[10:11], -v[12:13]
	v_fmac_f64_e32 v[8:9], v[4:5], v[10:11]
	v_add_f64 v[4:5], v[2:3], 0
	v_add_f64 v[2:3], v[8:9], 0
	s_and_saveexec_b64 s[12:13], s[6:7]
	s_cbranch_execz .LBB24_22
; %bb.21:
	buffer_load_dword v12, off, s[0:3], 0 offset:24
	buffer_load_dword v13, off, s[0:3], 0 offset:28
	;; [unrolled: 1-line block ×4, first 2 shown]
	v_mov_b32_e32 v7, 0
	ds_read_b128 v[8:11], v7 offset:416
	s_waitcnt vmcnt(2) lgkmcnt(0)
	v_mul_f64 v[16:17], v[8:9], v[12:13]
	v_mul_f64 v[12:13], v[10:11], v[12:13]
	s_waitcnt vmcnt(0)
	v_fmac_f64_e32 v[16:17], v[10:11], v[14:15]
	v_fma_f64 v[8:9], v[8:9], v[14:15], -v[12:13]
	v_add_f64 v[2:3], v[2:3], v[16:17]
	v_add_f64 v[4:5], v[4:5], v[8:9]
.LBB24_22:
	s_or_b64 exec, exec, s[12:13]
	v_mov_b32_e32 v7, 0
	ds_read_b128 v[8:11], v7 offset:32
	s_waitcnt lgkmcnt(0)
	v_mul_f64 v[12:13], v[2:3], v[10:11]
	v_mul_f64 v[10:11], v[4:5], v[10:11]
	v_fma_f64 v[4:5], v[4:5], v[8:9], -v[12:13]
	v_fmac_f64_e32 v[10:11], v[2:3], v[8:9]
	buffer_store_dword v5, off, s[0:3], 0 offset:36
	buffer_store_dword v4, off, s[0:3], 0 offset:32
	;; [unrolled: 1-line block ×4, first 2 shown]
.LBB24_23:
	s_or_b64 exec, exec, s[8:9]
	s_waitcnt lgkmcnt(0)
	; wave barrier
	buffer_load_dword v2, v170, s[0:3], 0 offen
	buffer_load_dword v3, v170, s[0:3], 0 offen offset:4
	buffer_load_dword v4, v170, s[0:3], 0 offen offset:8
	;; [unrolled: 1-line block ×3, first 2 shown]
	v_cmp_gt_u32_e32 vcc, 3, v171
	v_add_u32_e32 v7, -1, v171
	s_waitcnt vmcnt(0)
	ds_write_b128 v6, v[2:5]
	s_waitcnt lgkmcnt(0)
	; wave barrier
	s_waitcnt lgkmcnt(0)
	s_and_saveexec_b64 s[6:7], vcc
	s_cbranch_execz .LBB24_27
; %bb.24:
	v_pk_mov_b32 v[2:3], 0, 0
	v_add_u32_e32 v8, -1, v171
	v_add_u32_e32 v9, 0x190, v84
	v_add_u32_e32 v10, 0, v84
	s_mov_b64 s[8:9], 0
	v_pk_mov_b32 v[4:5], v[2:3], v[2:3] op_sel:[0,1]
.LBB24_25:                              ; =>This Inner Loop Header: Depth=1
	buffer_load_dword v16, v10, s[0:3], 0 offen offset:8
	buffer_load_dword v17, v10, s[0:3], 0 offen offset:12
	buffer_load_dword v18, v10, s[0:3], 0 offen
	buffer_load_dword v19, v10, s[0:3], 0 offen offset:4
	ds_read_b128 v[12:15], v9
	v_add_u32_e32 v8, 1, v8
	v_cmp_lt_u32_e32 vcc, 1, v8
	v_add_u32_e32 v9, 16, v9
	v_add_u32_e32 v10, 16, v10
	s_or_b64 s[8:9], vcc, s[8:9]
	s_waitcnt vmcnt(2) lgkmcnt(0)
	v_mul_f64 v[20:21], v[14:15], v[16:17]
	v_mul_f64 v[16:17], v[12:13], v[16:17]
	s_waitcnt vmcnt(0)
	v_fma_f64 v[12:13], v[12:13], v[18:19], -v[20:21]
	v_fmac_f64_e32 v[16:17], v[14:15], v[18:19]
	v_add_f64 v[4:5], v[4:5], v[12:13]
	v_add_f64 v[2:3], v[2:3], v[16:17]
	s_andn2_b64 exec, exec, s[8:9]
	s_cbranch_execnz .LBB24_25
; %bb.26:
	s_or_b64 exec, exec, s[8:9]
	v_mov_b32_e32 v8, 0
	ds_read_b128 v[8:11], v8 offset:48
	s_waitcnt lgkmcnt(0)
	v_mul_f64 v[12:13], v[2:3], v[10:11]
	v_mul_f64 v[10:11], v[4:5], v[10:11]
	v_fma_f64 v[4:5], v[4:5], v[8:9], -v[12:13]
	v_fmac_f64_e32 v[10:11], v[2:3], v[8:9]
	buffer_store_dword v5, off, s[0:3], 0 offset:52
	buffer_store_dword v4, off, s[0:3], 0 offset:48
	buffer_store_dword v11, off, s[0:3], 0 offset:60
	buffer_store_dword v10, off, s[0:3], 0 offset:56
.LBB24_27:
	s_or_b64 exec, exec, s[6:7]
	v_accvgpr_read_b32 v5, a17
	s_waitcnt lgkmcnt(0)
	; wave barrier
	buffer_load_dword v2, v5, s[0:3], 0 offen
	buffer_load_dword v3, v5, s[0:3], 0 offen offset:4
	buffer_load_dword v4, v5, s[0:3], 0 offen offset:8
	s_nop 0
	buffer_load_dword v5, v5, s[0:3], 0 offen offset:12
	v_cmp_gt_u32_e32 vcc, 4, v171
	s_waitcnt vmcnt(0)
	ds_write_b128 v6, v[2:5]
	s_waitcnt lgkmcnt(0)
	; wave barrier
	s_waitcnt lgkmcnt(0)
	s_and_saveexec_b64 s[6:7], vcc
	s_cbranch_execz .LBB24_31
; %bb.28:
	v_pk_mov_b32 v[2:3], 0, 0
	v_add_u32_e32 v8, -1, v171
	v_add_u32_e32 v9, 0x190, v84
	v_add_u32_e32 v10, 0, v84
	s_mov_b64 s[8:9], 0
	v_pk_mov_b32 v[4:5], v[2:3], v[2:3] op_sel:[0,1]
.LBB24_29:                              ; =>This Inner Loop Header: Depth=1
	buffer_load_dword v16, v10, s[0:3], 0 offen offset:8
	buffer_load_dword v17, v10, s[0:3], 0 offen offset:12
	buffer_load_dword v18, v10, s[0:3], 0 offen
	buffer_load_dword v19, v10, s[0:3], 0 offen offset:4
	ds_read_b128 v[12:15], v9
	v_add_u32_e32 v8, 1, v8
	v_cmp_lt_u32_e32 vcc, 2, v8
	v_add_u32_e32 v9, 16, v9
	v_add_u32_e32 v10, 16, v10
	s_or_b64 s[8:9], vcc, s[8:9]
	s_waitcnt vmcnt(2) lgkmcnt(0)
	v_mul_f64 v[20:21], v[14:15], v[16:17]
	v_mul_f64 v[16:17], v[12:13], v[16:17]
	s_waitcnt vmcnt(0)
	v_fma_f64 v[12:13], v[12:13], v[18:19], -v[20:21]
	v_fmac_f64_e32 v[16:17], v[14:15], v[18:19]
	v_add_f64 v[4:5], v[4:5], v[12:13]
	v_add_f64 v[2:3], v[2:3], v[16:17]
	s_andn2_b64 exec, exec, s[8:9]
	s_cbranch_execnz .LBB24_29
; %bb.30:
	s_or_b64 exec, exec, s[8:9]
	v_mov_b32_e32 v8, 0
	ds_read_b128 v[8:11], v8 offset:64
	s_waitcnt lgkmcnt(0)
	v_mul_f64 v[12:13], v[2:3], v[10:11]
	v_mul_f64 v[10:11], v[4:5], v[10:11]
	v_fma_f64 v[4:5], v[4:5], v[8:9], -v[12:13]
	v_fmac_f64_e32 v[10:11], v[2:3], v[8:9]
	buffer_store_dword v5, off, s[0:3], 0 offset:68
	buffer_store_dword v4, off, s[0:3], 0 offset:64
	buffer_store_dword v11, off, s[0:3], 0 offset:76
	buffer_store_dword v10, off, s[0:3], 0 offset:72
.LBB24_31:
	s_or_b64 exec, exec, s[6:7]
	v_accvgpr_read_b32 v5, a19
	s_waitcnt lgkmcnt(0)
	; wave barrier
	buffer_load_dword v2, v5, s[0:3], 0 offen
	buffer_load_dword v3, v5, s[0:3], 0 offen offset:4
	buffer_load_dword v4, v5, s[0:3], 0 offen offset:8
	s_nop 0
	buffer_load_dword v5, v5, s[0:3], 0 offen offset:12
	v_cmp_gt_u32_e32 vcc, 5, v171
	;; [unrolled: 59-line block ×18, first 2 shown]
	s_waitcnt vmcnt(0)
	ds_write_b128 v6, v[2:5]
	s_waitcnt lgkmcnt(0)
	; wave barrier
	s_waitcnt lgkmcnt(0)
	s_and_saveexec_b64 s[6:7], vcc
	s_cbranch_execz .LBB24_99
; %bb.96:
	v_pk_mov_b32 v[2:3], 0, 0
	v_add_u32_e32 v8, -1, v171
	v_add_u32_e32 v9, 0x190, v84
	v_add_u32_e32 v10, 0, v84
	s_mov_b64 s[8:9], 0
	v_pk_mov_b32 v[4:5], v[2:3], v[2:3] op_sel:[0,1]
.LBB24_97:                              ; =>This Inner Loop Header: Depth=1
	buffer_load_dword v16, v10, s[0:3], 0 offen offset:8
	buffer_load_dword v17, v10, s[0:3], 0 offen offset:12
	buffer_load_dword v18, v10, s[0:3], 0 offen
	buffer_load_dword v19, v10, s[0:3], 0 offen offset:4
	ds_read_b128 v[12:15], v9
	v_add_u32_e32 v8, 1, v8
	v_cmp_lt_u32_e32 vcc, 19, v8
	v_add_u32_e32 v9, 16, v9
	v_add_u32_e32 v10, 16, v10
	s_or_b64 s[8:9], vcc, s[8:9]
	s_waitcnt vmcnt(2) lgkmcnt(0)
	v_mul_f64 v[20:21], v[14:15], v[16:17]
	v_mul_f64 v[16:17], v[12:13], v[16:17]
	s_waitcnt vmcnt(0)
	v_fma_f64 v[12:13], v[12:13], v[18:19], -v[20:21]
	v_fmac_f64_e32 v[16:17], v[14:15], v[18:19]
	v_add_f64 v[4:5], v[4:5], v[12:13]
	v_add_f64 v[2:3], v[2:3], v[16:17]
	s_andn2_b64 exec, exec, s[8:9]
	s_cbranch_execnz .LBB24_97
; %bb.98:
	s_or_b64 exec, exec, s[8:9]
	v_mov_b32_e32 v8, 0
	ds_read_b128 v[8:11], v8 offset:336
	s_waitcnt lgkmcnt(0)
	v_mul_f64 v[12:13], v[2:3], v[10:11]
	v_mul_f64 v[10:11], v[4:5], v[10:11]
	v_fma_f64 v[4:5], v[4:5], v[8:9], -v[12:13]
	v_fmac_f64_e32 v[10:11], v[2:3], v[8:9]
	buffer_store_dword v5, off, s[0:3], 0 offset:340
	buffer_store_dword v4, off, s[0:3], 0 offset:336
	;; [unrolled: 1-line block ×4, first 2 shown]
.LBB24_99:
	s_or_b64 exec, exec, s[6:7]
	s_waitcnt lgkmcnt(0)
	; wave barrier
	buffer_load_dword v2, v24, s[0:3], 0 offen
	buffer_load_dword v3, v24, s[0:3], 0 offen offset:4
	buffer_load_dword v4, v24, s[0:3], 0 offen offset:8
	;; [unrolled: 1-line block ×3, first 2 shown]
	v_cmp_gt_u32_e32 vcc, 22, v171
	s_waitcnt vmcnt(0)
	ds_write_b128 v6, v[2:5]
	s_waitcnt lgkmcnt(0)
	; wave barrier
	s_waitcnt lgkmcnt(0)
	s_and_saveexec_b64 s[6:7], vcc
	s_cbranch_execz .LBB24_103
; %bb.100:
	v_pk_mov_b32 v[2:3], 0, 0
	v_add_u32_e32 v8, -1, v171
	v_add_u32_e32 v9, 0x190, v84
	v_add_u32_e32 v10, 0, v84
	s_mov_b64 s[8:9], 0
	v_pk_mov_b32 v[4:5], v[2:3], v[2:3] op_sel:[0,1]
.LBB24_101:                             ; =>This Inner Loop Header: Depth=1
	buffer_load_dword v16, v10, s[0:3], 0 offen offset:8
	buffer_load_dword v17, v10, s[0:3], 0 offen offset:12
	buffer_load_dword v18, v10, s[0:3], 0 offen
	buffer_load_dword v19, v10, s[0:3], 0 offen offset:4
	ds_read_b128 v[12:15], v9
	v_add_u32_e32 v8, 1, v8
	v_cmp_lt_u32_e32 vcc, 20, v8
	v_add_u32_e32 v9, 16, v9
	v_add_u32_e32 v10, 16, v10
	s_or_b64 s[8:9], vcc, s[8:9]
	s_waitcnt vmcnt(2) lgkmcnt(0)
	v_mul_f64 v[20:21], v[14:15], v[16:17]
	v_mul_f64 v[16:17], v[12:13], v[16:17]
	s_waitcnt vmcnt(0)
	v_fma_f64 v[12:13], v[12:13], v[18:19], -v[20:21]
	v_fmac_f64_e32 v[16:17], v[14:15], v[18:19]
	v_add_f64 v[4:5], v[4:5], v[12:13]
	v_add_f64 v[2:3], v[2:3], v[16:17]
	s_andn2_b64 exec, exec, s[8:9]
	s_cbranch_execnz .LBB24_101
; %bb.102:
	s_or_b64 exec, exec, s[8:9]
	v_mov_b32_e32 v8, 0
	ds_read_b128 v[8:11], v8 offset:352
	s_waitcnt lgkmcnt(0)
	v_mul_f64 v[12:13], v[2:3], v[10:11]
	v_mul_f64 v[10:11], v[4:5], v[10:11]
	v_fma_f64 v[4:5], v[4:5], v[8:9], -v[12:13]
	v_fmac_f64_e32 v[10:11], v[2:3], v[8:9]
	buffer_store_dword v5, off, s[0:3], 0 offset:356
	buffer_store_dword v4, off, s[0:3], 0 offset:352
	buffer_store_dword v11, off, s[0:3], 0 offset:364
	buffer_store_dword v10, off, s[0:3], 0 offset:360
.LBB24_103:
	s_or_b64 exec, exec, s[6:7]
	s_waitcnt lgkmcnt(0)
	; wave barrier
	buffer_load_dword v2, v23, s[0:3], 0 offen
	buffer_load_dword v3, v23, s[0:3], 0 offen offset:4
	buffer_load_dword v4, v23, s[0:3], 0 offen offset:8
	;; [unrolled: 1-line block ×3, first 2 shown]
	v_cmp_gt_u32_e32 vcc, 23, v171
	s_waitcnt vmcnt(0)
	ds_write_b128 v6, v[2:5]
	s_waitcnt lgkmcnt(0)
	; wave barrier
	s_waitcnt lgkmcnt(0)
	s_and_saveexec_b64 s[6:7], vcc
	s_cbranch_execz .LBB24_107
; %bb.104:
	v_pk_mov_b32 v[2:3], 0, 0
	v_add_u32_e32 v8, -1, v171
	v_add_u32_e32 v9, 0x190, v84
	v_add_u32_e32 v10, 0, v84
	s_mov_b64 s[8:9], 0
	v_pk_mov_b32 v[4:5], v[2:3], v[2:3] op_sel:[0,1]
.LBB24_105:                             ; =>This Inner Loop Header: Depth=1
	buffer_load_dword v16, v10, s[0:3], 0 offen offset:8
	buffer_load_dword v17, v10, s[0:3], 0 offen offset:12
	buffer_load_dword v18, v10, s[0:3], 0 offen
	buffer_load_dword v19, v10, s[0:3], 0 offen offset:4
	ds_read_b128 v[12:15], v9
	v_add_u32_e32 v8, 1, v8
	v_cmp_lt_u32_e32 vcc, 21, v8
	v_add_u32_e32 v9, 16, v9
	v_add_u32_e32 v10, 16, v10
	s_or_b64 s[8:9], vcc, s[8:9]
	s_waitcnt vmcnt(2) lgkmcnt(0)
	v_mul_f64 v[20:21], v[14:15], v[16:17]
	v_mul_f64 v[16:17], v[12:13], v[16:17]
	s_waitcnt vmcnt(0)
	v_fma_f64 v[12:13], v[12:13], v[18:19], -v[20:21]
	v_fmac_f64_e32 v[16:17], v[14:15], v[18:19]
	v_add_f64 v[4:5], v[4:5], v[12:13]
	v_add_f64 v[2:3], v[2:3], v[16:17]
	s_andn2_b64 exec, exec, s[8:9]
	s_cbranch_execnz .LBB24_105
; %bb.106:
	s_or_b64 exec, exec, s[8:9]
	v_mov_b32_e32 v8, 0
	ds_read_b128 v[8:11], v8 offset:368
	s_waitcnt lgkmcnt(0)
	v_mul_f64 v[12:13], v[2:3], v[10:11]
	v_mul_f64 v[10:11], v[4:5], v[10:11]
	v_fma_f64 v[4:5], v[4:5], v[8:9], -v[12:13]
	v_fmac_f64_e32 v[10:11], v[2:3], v[8:9]
	buffer_store_dword v5, off, s[0:3], 0 offset:372
	buffer_store_dword v4, off, s[0:3], 0 offset:368
	;; [unrolled: 1-line block ×4, first 2 shown]
.LBB24_107:
	s_or_b64 exec, exec, s[6:7]
	s_waitcnt lgkmcnt(0)
	; wave barrier
	buffer_load_dword v2, v22, s[0:3], 0 offen
	buffer_load_dword v3, v22, s[0:3], 0 offen offset:4
	buffer_load_dword v4, v22, s[0:3], 0 offen offset:8
	;; [unrolled: 1-line block ×3, first 2 shown]
	v_cmp_ne_u32_e32 vcc, 24, v171
	s_waitcnt vmcnt(0)
	ds_write_b128 v6, v[2:5]
	s_waitcnt lgkmcnt(0)
	; wave barrier
	s_waitcnt lgkmcnt(0)
	s_and_saveexec_b64 s[6:7], vcc
	s_cbranch_execz .LBB24_111
; %bb.108:
	v_pk_mov_b32 v[2:3], 0, 0
	v_add_u32_e32 v6, 0x190, v84
	v_add_u32_e32 v8, 0, v84
	s_mov_b64 s[8:9], 0
	v_pk_mov_b32 v[4:5], v[2:3], v[2:3] op_sel:[0,1]
.LBB24_109:                             ; =>This Inner Loop Header: Depth=1
	buffer_load_dword v14, v8, s[0:3], 0 offen offset:8
	buffer_load_dword v15, v8, s[0:3], 0 offen offset:12
	buffer_load_dword v16, v8, s[0:3], 0 offen
	buffer_load_dword v17, v8, s[0:3], 0 offen offset:4
	ds_read_b128 v[10:13], v6
	v_add_u32_e32 v7, 1, v7
	v_cmp_lt_u32_e32 vcc, 22, v7
	v_add_u32_e32 v6, 16, v6
	v_add_u32_e32 v8, 16, v8
	s_or_b64 s[8:9], vcc, s[8:9]
	s_waitcnt vmcnt(2) lgkmcnt(0)
	v_mul_f64 v[18:19], v[12:13], v[14:15]
	v_mul_f64 v[14:15], v[10:11], v[14:15]
	s_waitcnt vmcnt(0)
	v_fma_f64 v[10:11], v[10:11], v[16:17], -v[18:19]
	v_fmac_f64_e32 v[14:15], v[12:13], v[16:17]
	v_add_f64 v[4:5], v[4:5], v[10:11]
	v_add_f64 v[2:3], v[2:3], v[14:15]
	s_andn2_b64 exec, exec, s[8:9]
	s_cbranch_execnz .LBB24_109
; %bb.110:
	s_or_b64 exec, exec, s[8:9]
	v_mov_b32_e32 v6, 0
	ds_read_b128 v[6:9], v6 offset:384
	s_waitcnt lgkmcnt(0)
	v_mul_f64 v[10:11], v[2:3], v[8:9]
	v_mul_f64 v[8:9], v[4:5], v[8:9]
	v_fma_f64 v[4:5], v[4:5], v[6:7], -v[10:11]
	v_fmac_f64_e32 v[8:9], v[2:3], v[6:7]
	buffer_store_dword v5, off, s[0:3], 0 offset:388
	buffer_store_dword v4, off, s[0:3], 0 offset:384
	;; [unrolled: 1-line block ×4, first 2 shown]
.LBB24_111:
	s_or_b64 exec, exec, s[6:7]
	s_mov_b64 s[8:9], -1
	s_waitcnt lgkmcnt(0)
	; wave barrier
.LBB24_112:
	s_and_b64 vcc, exec, s[8:9]
	s_cbranch_vccz .LBB24_114
; %bb.113:
	s_lshl_b64 s[6:7], s[10:11], 2
	s_add_u32 s6, s14, s6
	s_addc_u32 s7, s15, s7
	v_mov_b32_e32 v2, 0
	global_load_dword v2, v2, s[6:7]
	s_waitcnt vmcnt(0)
	v_cmp_ne_u32_e32 vcc, 0, v2
	s_cbranch_vccz .LBB24_115
.LBB24_114:
	s_endpgm
.LBB24_115:
	v_mov_b32_e32 v2, 0x190
	v_accvgpr_write_b32 a2, v24
	v_accvgpr_write_b32 a1, v23
	;; [unrolled: 1-line block ×3, first 2 shown]
	v_lshl_add_u32 v136, v171, 4, v2
	v_cmp_eq_u32_e32 vcc, 24, v171
	s_and_saveexec_b64 s[6:7], vcc
	s_cbranch_execz .LBB24_117
; %bb.116:
	v_accvgpr_read_b32 v5, a1
	buffer_load_dword v2, v5, s[0:3], 0 offen
	buffer_load_dword v3, v5, s[0:3], 0 offen offset:4
	buffer_load_dword v4, v5, s[0:3], 0 offen offset:8
	s_nop 0
	buffer_load_dword v5, v5, s[0:3], 0 offen offset:12
	v_mov_b32_e32 v6, 0
	buffer_store_dword v6, off, s[0:3], 0 offset:368
	buffer_store_dword v6, off, s[0:3], 0 offset:372
	;; [unrolled: 1-line block ×4, first 2 shown]
	s_waitcnt vmcnt(4)
	ds_write_b128 v136, v[2:5]
.LBB24_117:
	s_or_b64 exec, exec, s[6:7]
	s_waitcnt lgkmcnt(0)
	; wave barrier
	s_waitcnt lgkmcnt(0)
	buffer_load_dword v8, off, s[0:3], 0 offset:392
	buffer_load_dword v9, off, s[0:3], 0 offset:396
	;; [unrolled: 1-line block ×8, first 2 shown]
	v_mov_b32_e32 v2, 0
	ds_read_b128 v[4:7], v2 offset:784
	v_cmp_lt_u32_e32 vcc, 22, v171
	s_waitcnt vmcnt(6) lgkmcnt(0)
	v_mul_f64 v[16:17], v[4:5], v[8:9]
	v_mul_f64 v[8:9], v[6:7], v[8:9]
	s_waitcnt vmcnt(4)
	v_fma_f64 v[4:5], v[4:5], v[10:11], -v[8:9]
	v_fmac_f64_e32 v[16:17], v[6:7], v[10:11]
	v_add_f64 v[4:5], v[4:5], 0
	v_add_f64 v[6:7], v[16:17], 0
	s_waitcnt vmcnt(2)
	v_add_f64 v[4:5], v[12:13], -v[4:5]
	s_waitcnt vmcnt(0)
	v_add_f64 v[6:7], v[14:15], -v[6:7]
	buffer_store_dword v4, off, s[0:3], 0 offset:368
	buffer_store_dword v5, off, s[0:3], 0 offset:372
	;; [unrolled: 1-line block ×4, first 2 shown]
	s_and_saveexec_b64 s[6:7], vcc
	s_cbranch_execz .LBB24_119
; %bb.118:
	v_accvgpr_read_b32 v3, a2
	buffer_load_dword v4, v3, s[0:3], 0 offen
	buffer_load_dword v5, v3, s[0:3], 0 offen offset:4
	buffer_load_dword v6, v3, s[0:3], 0 offen offset:8
	;; [unrolled: 1-line block ×3, first 2 shown]
	s_nop 0
	buffer_store_dword v2, off, s[0:3], 0 offset:352
	buffer_store_dword v2, off, s[0:3], 0 offset:356
	buffer_store_dword v2, off, s[0:3], 0 offset:360
	buffer_store_dword v2, off, s[0:3], 0 offset:364
	s_waitcnt vmcnt(4)
	ds_write_b128 v136, v[4:7]
.LBB24_119:
	s_or_b64 exec, exec, s[6:7]
	s_waitcnt lgkmcnt(0)
	; wave barrier
	s_waitcnt lgkmcnt(0)
	buffer_load_dword v12, off, s[0:3], 0 offset:376
	buffer_load_dword v13, off, s[0:3], 0 offset:380
	;; [unrolled: 1-line block ×12, first 2 shown]
	ds_read_b128 v[4:7], v2 offset:768
	ds_read_b128 v[8:11], v2 offset:784
	v_cmp_lt_u32_e32 vcc, 21, v171
	s_waitcnt vmcnt(10) lgkmcnt(1)
	v_mul_f64 v[2:3], v[4:5], v[12:13]
	v_mul_f64 v[12:13], v[6:7], v[12:13]
	s_waitcnt vmcnt(8) lgkmcnt(0)
	v_mul_f64 v[24:25], v[8:9], v[14:15]
	v_mul_f64 v[14:15], v[10:11], v[14:15]
	s_waitcnt vmcnt(6)
	v_fma_f64 v[4:5], v[4:5], v[16:17], -v[12:13]
	v_fmac_f64_e32 v[2:3], v[6:7], v[16:17]
	s_waitcnt vmcnt(4)
	v_fma_f64 v[6:7], v[8:9], v[18:19], -v[14:15]
	v_add_f64 v[4:5], v[4:5], 0
	v_fmac_f64_e32 v[24:25], v[10:11], v[18:19]
	v_add_f64 v[2:3], v[2:3], 0
	v_add_f64 v[4:5], v[4:5], v[6:7]
	;; [unrolled: 1-line block ×3, first 2 shown]
	s_waitcnt vmcnt(2)
	v_add_f64 v[4:5], v[20:21], -v[4:5]
	s_waitcnt vmcnt(0)
	v_add_f64 v[2:3], v[22:23], -v[2:3]
	buffer_store_dword v4, off, s[0:3], 0 offset:352
	buffer_store_dword v5, off, s[0:3], 0 offset:356
	;; [unrolled: 1-line block ×4, first 2 shown]
	s_and_saveexec_b64 s[6:7], vcc
	s_cbranch_execz .LBB24_121
; %bb.120:
	v_accvgpr_read_b32 v5, a3
	buffer_load_dword v2, v5, s[0:3], 0 offen
	buffer_load_dword v3, v5, s[0:3], 0 offen offset:4
	buffer_load_dword v4, v5, s[0:3], 0 offen offset:8
	s_nop 0
	buffer_load_dword v5, v5, s[0:3], 0 offen offset:12
	v_mov_b32_e32 v6, 0
	buffer_store_dword v6, off, s[0:3], 0 offset:336
	buffer_store_dword v6, off, s[0:3], 0 offset:340
	;; [unrolled: 1-line block ×4, first 2 shown]
	s_waitcnt vmcnt(4)
	ds_write_b128 v136, v[2:5]
.LBB24_121:
	s_or_b64 exec, exec, s[6:7]
	s_waitcnt lgkmcnt(0)
	; wave barrier
	s_waitcnt lgkmcnt(0)
	buffer_load_dword v16, off, s[0:3], 0 offset:360
	buffer_load_dword v17, off, s[0:3], 0 offset:364
	;; [unrolled: 1-line block ×16, first 2 shown]
	v_mov_b32_e32 v2, 0
	ds_read_b128 v[4:7], v2 offset:752
	ds_read_b128 v[8:11], v2 offset:768
	;; [unrolled: 1-line block ×3, first 2 shown]
	v_cmp_lt_u32_e32 vcc, 20, v171
	s_waitcnt vmcnt(14) lgkmcnt(2)
	v_mul_f64 v[32:33], v[4:5], v[16:17]
	v_mul_f64 v[16:17], v[6:7], v[16:17]
	s_waitcnt vmcnt(12) lgkmcnt(1)
	v_mul_f64 v[84:85], v[8:9], v[18:19]
	v_mul_f64 v[18:19], v[10:11], v[18:19]
	;; [unrolled: 3-line block ×3, first 2 shown]
	s_waitcnt vmcnt(8)
	v_fma_f64 v[4:5], v[4:5], v[22:23], -v[16:17]
	v_fmac_f64_e32 v[32:33], v[6:7], v[22:23]
	s_waitcnt vmcnt(6)
	v_fma_f64 v[6:7], v[8:9], v[24:25], -v[18:19]
	v_add_f64 v[4:5], v[4:5], 0
	v_fmac_f64_e32 v[84:85], v[10:11], v[24:25]
	s_waitcnt vmcnt(4)
	v_fma_f64 v[8:9], v[12:13], v[26:27], -v[20:21]
	v_add_f64 v[10:11], v[32:33], 0
	v_add_f64 v[4:5], v[4:5], v[6:7]
	v_fmac_f64_e32 v[86:87], v[14:15], v[26:27]
	v_add_f64 v[10:11], v[10:11], v[84:85]
	v_add_f64 v[4:5], v[4:5], v[8:9]
	;; [unrolled: 1-line block ×3, first 2 shown]
	s_waitcnt vmcnt(2)
	v_add_f64 v[4:5], v[28:29], -v[4:5]
	s_waitcnt vmcnt(0)
	v_add_f64 v[6:7], v[30:31], -v[6:7]
	buffer_store_dword v4, off, s[0:3], 0 offset:336
	buffer_store_dword v5, off, s[0:3], 0 offset:340
	;; [unrolled: 1-line block ×4, first 2 shown]
	s_and_saveexec_b64 s[6:7], vcc
	s_cbranch_execz .LBB24_123
; %bb.122:
	v_accvgpr_read_b32 v3, a4
	buffer_load_dword v4, v3, s[0:3], 0 offen
	buffer_load_dword v5, v3, s[0:3], 0 offen offset:4
	buffer_load_dword v6, v3, s[0:3], 0 offen offset:8
	;; [unrolled: 1-line block ×3, first 2 shown]
	s_nop 0
	buffer_store_dword v2, off, s[0:3], 0 offset:320
	buffer_store_dword v2, off, s[0:3], 0 offset:324
	;; [unrolled: 1-line block ×4, first 2 shown]
	s_waitcnt vmcnt(4)
	ds_write_b128 v136, v[4:7]
.LBB24_123:
	s_or_b64 exec, exec, s[6:7]
	s_waitcnt lgkmcnt(0)
	; wave barrier
	s_waitcnt lgkmcnt(0)
	buffer_load_dword v20, off, s[0:3], 0 offset:344
	buffer_load_dword v21, off, s[0:3], 0 offset:348
	;; [unrolled: 1-line block ×20, first 2 shown]
	ds_read_b128 v[4:7], v2 offset:736
	ds_read_b128 v[8:11], v2 offset:752
	;; [unrolled: 1-line block ×4, first 2 shown]
	v_cmp_lt_u32_e32 vcc, 19, v171
	s_waitcnt vmcnt(18) lgkmcnt(3)
	v_mul_f64 v[2:3], v[4:5], v[20:21]
	v_mul_f64 v[20:21], v[6:7], v[20:21]
	s_waitcnt vmcnt(16) lgkmcnt(2)
	v_mul_f64 v[90:91], v[8:9], v[22:23]
	v_mul_f64 v[22:23], v[10:11], v[22:23]
	;; [unrolled: 3-line block ×4, first 2 shown]
	s_waitcnt vmcnt(10)
	v_fma_f64 v[4:5], v[4:5], v[28:29], -v[20:21]
	v_fmac_f64_e32 v[2:3], v[6:7], v[28:29]
	s_waitcnt vmcnt(8)
	v_fma_f64 v[6:7], v[8:9], v[30:31], -v[22:23]
	v_add_f64 v[4:5], v[4:5], 0
	v_fmac_f64_e32 v[90:91], v[10:11], v[30:31]
	s_waitcnt vmcnt(6)
	v_fma_f64 v[8:9], v[12:13], v[32:33], -v[24:25]
	v_add_f64 v[2:3], v[2:3], 0
	v_add_f64 v[4:5], v[4:5], v[6:7]
	v_fmac_f64_e32 v[92:93], v[14:15], v[32:33]
	s_waitcnt vmcnt(4)
	v_fma_f64 v[10:11], v[16:17], v[84:85], -v[26:27]
	v_add_f64 v[2:3], v[2:3], v[90:91]
	v_add_f64 v[4:5], v[4:5], v[8:9]
	v_fmac_f64_e32 v[94:95], v[18:19], v[84:85]
	v_add_f64 v[2:3], v[2:3], v[92:93]
	v_add_f64 v[4:5], v[4:5], v[10:11]
	;; [unrolled: 1-line block ×3, first 2 shown]
	s_waitcnt vmcnt(2)
	v_add_f64 v[4:5], v[86:87], -v[4:5]
	s_waitcnt vmcnt(0)
	v_add_f64 v[2:3], v[88:89], -v[2:3]
	buffer_store_dword v4, off, s[0:3], 0 offset:320
	buffer_store_dword v5, off, s[0:3], 0 offset:324
	;; [unrolled: 1-line block ×4, first 2 shown]
	s_and_saveexec_b64 s[6:7], vcc
	s_cbranch_execz .LBB24_125
; %bb.124:
	v_accvgpr_read_b32 v5, a5
	buffer_load_dword v2, v5, s[0:3], 0 offen
	buffer_load_dword v3, v5, s[0:3], 0 offen offset:4
	buffer_load_dword v4, v5, s[0:3], 0 offen offset:8
	s_nop 0
	buffer_load_dword v5, v5, s[0:3], 0 offen offset:12
	v_mov_b32_e32 v6, 0
	buffer_store_dword v6, off, s[0:3], 0 offset:304
	buffer_store_dword v6, off, s[0:3], 0 offset:308
	;; [unrolled: 1-line block ×4, first 2 shown]
	s_waitcnt vmcnt(4)
	ds_write_b128 v136, v[2:5]
.LBB24_125:
	s_or_b64 exec, exec, s[6:7]
	v_mov_b32_e32 v2, 0
	s_waitcnt lgkmcnt(0)
	; wave barrier
	s_waitcnt lgkmcnt(0)
	ds_read_b128 v[4:7], v2 offset:720
	ds_read_b128 v[8:11], v2 offset:736
	;; [unrolled: 1-line block ×4, first 2 shown]
	buffer_load_dword v24, off, s[0:3], 0 offset:304
	buffer_load_dword v25, off, s[0:3], 0 offset:308
	;; [unrolled: 1-line block ×20, first 2 shown]
	v_cmp_lt_u32_e32 vcc, 18, v171
	s_waitcnt vmcnt(12) lgkmcnt(3)
	v_mul_f64 v[20:21], v[4:5], v[30:31]
	v_fmac_f64_e32 v[20:21], v[6:7], v[28:29]
	v_add_f64 v[20:21], v[20:21], 0
	v_mul_f64 v[6:7], v[6:7], v[30:31]
	s_waitcnt vmcnt(8) lgkmcnt(2)
	v_mul_f64 v[22:23], v[8:9], v[84:85]
	v_fmac_f64_e32 v[22:23], v[10:11], v[32:33]
	v_add_f64 v[20:21], v[20:21], v[22:23]
	v_fma_f64 v[4:5], v[4:5], v[28:29], -v[6:7]
	s_waitcnt vmcnt(4) lgkmcnt(1)
	v_mul_f64 v[22:23], v[12:13], v[88:89]
	v_fmac_f64_e32 v[22:23], v[14:15], v[86:87]
	v_add_f64 v[20:21], v[20:21], v[22:23]
	s_waitcnt vmcnt(0) lgkmcnt(0)
	v_mul_f64 v[22:23], v[16:17], v[92:93]
	v_fmac_f64_e32 v[22:23], v[18:19], v[90:91]
	v_add_f64 v[94:95], v[20:21], v[22:23]
	ds_read_b128 v[20:23], v2 offset:784
	buffer_load_dword v97, off, s[0:3], 0 offset:388
	buffer_load_dword v96, off, s[0:3], 0 offset:384
	;; [unrolled: 1-line block ×4, first 2 shown]
	v_mul_f64 v[6:7], v[10:11], v[84:85]
	v_add_f64 v[4:5], v[4:5], 0
	v_fma_f64 v[6:7], v[8:9], v[32:33], -v[6:7]
	v_add_f64 v[4:5], v[4:5], v[6:7]
	v_mul_f64 v[6:7], v[14:15], v[88:89]
	v_fma_f64 v[6:7], v[12:13], v[86:87], -v[6:7]
	v_add_f64 v[4:5], v[4:5], v[6:7]
	v_mul_f64 v[6:7], v[18:19], v[92:93]
	v_fma_f64 v[6:7], v[16:17], v[90:91], -v[6:7]
	v_add_f64 v[4:5], v[4:5], v[6:7]
	s_waitcnt vmcnt(0) lgkmcnt(0)
	v_mul_f64 v[6:7], v[22:23], v[98:99]
	v_mul_f64 v[100:101], v[20:21], v[98:99]
	v_fma_f64 v[6:7], v[20:21], v[96:97], -v[6:7]
	v_fmac_f64_e32 v[100:101], v[22:23], v[96:97]
	v_add_f64 v[4:5], v[4:5], v[6:7]
	v_add_f64 v[94:95], v[94:95], v[100:101]
	v_add_f64 v[4:5], v[24:25], -v[4:5]
	v_add_f64 v[6:7], v[26:27], -v[94:95]
	buffer_store_dword v5, off, s[0:3], 0 offset:308
	buffer_store_dword v4, off, s[0:3], 0 offset:304
	;; [unrolled: 1-line block ×4, first 2 shown]
	s_and_saveexec_b64 s[6:7], vcc
	s_cbranch_execz .LBB24_127
; %bb.126:
	v_accvgpr_read_b32 v3, a6
	buffer_load_dword v4, v3, s[0:3], 0 offen
	buffer_load_dword v5, v3, s[0:3], 0 offen offset:4
	buffer_load_dword v6, v3, s[0:3], 0 offen offset:8
	;; [unrolled: 1-line block ×3, first 2 shown]
	s_nop 0
	buffer_store_dword v2, off, s[0:3], 0 offset:288
	buffer_store_dword v2, off, s[0:3], 0 offset:292
	;; [unrolled: 1-line block ×4, first 2 shown]
	s_waitcnt vmcnt(4)
	ds_write_b128 v136, v[4:7]
.LBB24_127:
	s_or_b64 exec, exec, s[6:7]
	s_waitcnt lgkmcnt(0)
	; wave barrier
	s_waitcnt lgkmcnt(0)
	buffer_load_dword v28, off, s[0:3], 0 offset:312
	buffer_load_dword v29, off, s[0:3], 0 offset:316
	;; [unrolled: 1-line block ×28, first 2 shown]
	ds_read_b128 v[4:7], v2 offset:704
	ds_read_b128 v[8:11], v2 offset:720
	;; [unrolled: 1-line block ×6, first 2 shown]
	v_cmp_lt_u32_e32 vcc, 17, v171
	s_waitcnt vmcnt(26) lgkmcnt(5)
	v_mul_f64 v[2:3], v[4:5], v[28:29]
	v_mul_f64 v[28:29], v[6:7], v[28:29]
	s_waitcnt vmcnt(24) lgkmcnt(4)
	v_mul_f64 v[106:107], v[8:9], v[30:31]
	v_mul_f64 v[30:31], v[10:11], v[30:31]
	;; [unrolled: 3-line block ×4, first 2 shown]
	s_waitcnt vmcnt(17)
	v_mul_f64 v[110:111], v[16:17], v[88:89]
	v_mul_f64 v[88:89], v[18:19], v[88:89]
	s_waitcnt vmcnt(15) lgkmcnt(0)
	v_mul_f64 v[114:115], v[24:25], v[90:91]
	v_mul_f64 v[90:91], v[26:27], v[90:91]
	s_waitcnt vmcnt(14)
	v_fmac_f64_e32 v[112:113], v[22:23], v[86:87]
	s_waitcnt vmcnt(12)
	v_fma_f64 v[4:5], v[4:5], v[92:93], -v[28:29]
	v_fmac_f64_e32 v[2:3], v[6:7], v[92:93]
	s_waitcnt vmcnt(10)
	v_fma_f64 v[6:7], v[8:9], v[94:95], -v[30:31]
	v_add_f64 v[4:5], v[4:5], 0
	v_fmac_f64_e32 v[106:107], v[10:11], v[94:95]
	s_waitcnt vmcnt(8)
	v_fma_f64 v[8:9], v[12:13], v[96:97], -v[32:33]
	v_add_f64 v[2:3], v[2:3], 0
	v_add_f64 v[4:5], v[4:5], v[6:7]
	v_fmac_f64_e32 v[108:109], v[14:15], v[96:97]
	s_waitcnt vmcnt(6)
	v_fma_f64 v[10:11], v[16:17], v[98:99], -v[88:89]
	v_add_f64 v[2:3], v[2:3], v[106:107]
	v_add_f64 v[4:5], v[4:5], v[8:9]
	v_fmac_f64_e32 v[110:111], v[18:19], v[98:99]
	v_fma_f64 v[12:13], v[20:21], v[86:87], -v[84:85]
	v_add_f64 v[2:3], v[2:3], v[108:109]
	v_add_f64 v[4:5], v[4:5], v[10:11]
	s_waitcnt vmcnt(4)
	v_fma_f64 v[14:15], v[24:25], v[100:101], -v[90:91]
	v_add_f64 v[2:3], v[2:3], v[110:111]
	v_add_f64 v[4:5], v[4:5], v[12:13]
	v_fmac_f64_e32 v[114:115], v[26:27], v[100:101]
	v_add_f64 v[2:3], v[2:3], v[112:113]
	v_add_f64 v[4:5], v[4:5], v[14:15]
	;; [unrolled: 1-line block ×3, first 2 shown]
	s_waitcnt vmcnt(2)
	v_add_f64 v[4:5], v[102:103], -v[4:5]
	s_waitcnt vmcnt(0)
	v_add_f64 v[2:3], v[104:105], -v[2:3]
	buffer_store_dword v5, off, s[0:3], 0 offset:292
	buffer_store_dword v4, off, s[0:3], 0 offset:288
	;; [unrolled: 1-line block ×4, first 2 shown]
	s_and_saveexec_b64 s[6:7], vcc
	s_cbranch_execz .LBB24_129
; %bb.128:
	v_accvgpr_read_b32 v5, a7
	buffer_load_dword v2, v5, s[0:3], 0 offen
	buffer_load_dword v3, v5, s[0:3], 0 offen offset:4
	buffer_load_dword v4, v5, s[0:3], 0 offen offset:8
	s_nop 0
	buffer_load_dword v5, v5, s[0:3], 0 offen offset:12
	v_mov_b32_e32 v6, 0
	buffer_store_dword v6, off, s[0:3], 0 offset:272
	buffer_store_dword v6, off, s[0:3], 0 offset:276
	;; [unrolled: 1-line block ×4, first 2 shown]
	s_waitcnt vmcnt(4)
	ds_write_b128 v136, v[2:5]
.LBB24_129:
	s_or_b64 exec, exec, s[6:7]
	s_waitcnt lgkmcnt(0)
	; wave barrier
	s_waitcnt lgkmcnt(0)
	buffer_load_dword v32, off, s[0:3], 0 offset:296
	buffer_load_dword v33, off, s[0:3], 0 offset:300
	;; [unrolled: 1-line block ×32, first 2 shown]
	v_mov_b32_e32 v2, 0
	ds_read_b128 v[4:7], v2 offset:688
	ds_read_b128 v[8:11], v2 offset:704
	;; [unrolled: 1-line block ×7, first 2 shown]
	v_cmp_lt_u32_e32 vcc, 16, v171
	s_waitcnt vmcnt(30) lgkmcnt(6)
	v_mul_f64 v[114:115], v[4:5], v[32:33]
	v_mul_f64 v[32:33], v[6:7], v[32:33]
	s_waitcnt vmcnt(28) lgkmcnt(5)
	v_mul_f64 v[116:117], v[8:9], v[84:85]
	v_mul_f64 v[84:85], v[10:11], v[84:85]
	;; [unrolled: 3-line block ×4, first 2 shown]
	s_waitcnt vmcnt(21)
	v_mul_f64 v[120:121], v[16:17], v[92:93]
	v_mul_f64 v[92:93], v[18:19], v[92:93]
	s_waitcnt vmcnt(17) lgkmcnt(1)
	v_mul_f64 v[124:125], v[24:25], v[98:99]
	v_mul_f64 v[98:99], v[26:27], v[98:99]
	s_waitcnt vmcnt(16) lgkmcnt(0)
	v_mul_f64 v[126:127], v[28:29], v[94:95]
	v_mul_f64 v[94:95], v[30:31], v[94:95]
	s_waitcnt vmcnt(13)
	v_fma_f64 v[4:5], v[4:5], v[100:101], -v[32:33]
	v_fmac_f64_e32 v[114:115], v[6:7], v[100:101]
	s_waitcnt vmcnt(11)
	v_fma_f64 v[6:7], v[8:9], v[102:103], -v[84:85]
	v_add_f64 v[4:5], v[4:5], 0
	v_fmac_f64_e32 v[116:117], v[10:11], v[102:103]
	s_waitcnt vmcnt(9)
	v_fma_f64 v[8:9], v[12:13], v[104:105], -v[86:87]
	s_waitcnt vmcnt(7)
	v_fmac_f64_e32 v[120:121], v[18:19], v[106:107]
	v_add_f64 v[18:19], v[114:115], 0
	v_add_f64 v[4:5], v[4:5], v[6:7]
	v_fmac_f64_e32 v[118:119], v[14:15], v[104:105]
	v_fma_f64 v[10:11], v[16:17], v[106:107], -v[92:93]
	v_add_f64 v[18:19], v[18:19], v[116:117]
	v_add_f64 v[4:5], v[4:5], v[8:9]
	v_fma_f64 v[12:13], v[20:21], v[90:91], -v[88:89]
	v_add_f64 v[6:7], v[18:19], v[118:119]
	v_add_f64 v[4:5], v[4:5], v[10:11]
	v_fmac_f64_e32 v[122:123], v[22:23], v[90:91]
	s_waitcnt vmcnt(5)
	v_fma_f64 v[14:15], v[24:25], v[108:109], -v[98:99]
	v_add_f64 v[6:7], v[6:7], v[120:121]
	v_add_f64 v[4:5], v[4:5], v[12:13]
	v_fmac_f64_e32 v[124:125], v[26:27], v[108:109]
	s_waitcnt vmcnt(4)
	v_fma_f64 v[16:17], v[28:29], v[96:97], -v[94:95]
	v_add_f64 v[6:7], v[6:7], v[122:123]
	v_add_f64 v[4:5], v[4:5], v[14:15]
	v_fmac_f64_e32 v[126:127], v[30:31], v[96:97]
	v_add_f64 v[6:7], v[6:7], v[124:125]
	v_add_f64 v[4:5], v[4:5], v[16:17]
	;; [unrolled: 1-line block ×3, first 2 shown]
	s_waitcnt vmcnt(2)
	v_add_f64 v[4:5], v[110:111], -v[4:5]
	s_waitcnt vmcnt(0)
	v_add_f64 v[6:7], v[112:113], -v[6:7]
	buffer_store_dword v5, off, s[0:3], 0 offset:276
	buffer_store_dword v4, off, s[0:3], 0 offset:272
	buffer_store_dword v7, off, s[0:3], 0 offset:284
	buffer_store_dword v6, off, s[0:3], 0 offset:280
	s_and_saveexec_b64 s[6:7], vcc
	s_cbranch_execz .LBB24_131
; %bb.130:
	v_accvgpr_read_b32 v3, a8
	buffer_load_dword v4, v3, s[0:3], 0 offen
	buffer_load_dword v5, v3, s[0:3], 0 offen offset:4
	buffer_load_dword v6, v3, s[0:3], 0 offen offset:8
	;; [unrolled: 1-line block ×3, first 2 shown]
	s_nop 0
	buffer_store_dword v2, off, s[0:3], 0 offset:256
	buffer_store_dword v2, off, s[0:3], 0 offset:260
	;; [unrolled: 1-line block ×4, first 2 shown]
	s_waitcnt vmcnt(4)
	ds_write_b128 v136, v[4:7]
.LBB24_131:
	s_or_b64 exec, exec, s[6:7]
	s_waitcnt lgkmcnt(0)
	; wave barrier
	s_waitcnt lgkmcnt(0)
	buffer_load_dword v32, off, s[0:3], 0 offset:280
	buffer_load_dword v33, off, s[0:3], 0 offset:284
	;; [unrolled: 1-line block ×36, first 2 shown]
	ds_read_b128 v[4:7], v2 offset:672
	ds_read_b128 v[8:11], v2 offset:688
	;; [unrolled: 1-line block ×8, first 2 shown]
	v_cmp_lt_u32_e32 vcc, 15, v171
	s_waitcnt vmcnt(34) lgkmcnt(7)
	v_mul_f64 v[2:3], v[4:5], v[32:33]
	v_mul_f64 v[32:33], v[6:7], v[32:33]
	s_waitcnt vmcnt(32) lgkmcnt(6)
	v_mul_f64 v[122:123], v[8:9], v[88:89]
	v_mul_f64 v[88:89], v[10:11], v[88:89]
	;; [unrolled: 3-line block ×4, first 2 shown]
	s_waitcnt vmcnt(25)
	v_mul_f64 v[126:127], v[16:17], v[96:97]
	v_mul_f64 v[96:97], v[18:19], v[96:97]
	s_waitcnt vmcnt(23) lgkmcnt(1)
	v_mul_f64 v[132:133], v[28:29], v[98:99]
	v_mul_f64 v[98:99], v[30:31], v[98:99]
	s_waitcnt vmcnt(20)
	v_mul_f64 v[130:131], v[24:25], v[102:103]
	v_mul_f64 v[102:103], v[26:27], v[102:103]
	s_waitcnt vmcnt(18) lgkmcnt(0)
	v_mul_f64 v[134:135], v[84:85], v[104:105]
	s_waitcnt vmcnt(17)
	v_fmac_f64_e32 v[128:129], v[22:23], v[94:95]
	s_waitcnt vmcnt(16)
	v_fmac_f64_e32 v[132:133], v[30:31], v[100:101]
	s_waitcnt vmcnt(14)
	v_fma_f64 v[4:5], v[4:5], v[106:107], -v[32:33]
	v_fmac_f64_e32 v[2:3], v[6:7], v[106:107]
	s_waitcnt vmcnt(12)
	v_fma_f64 v[6:7], v[8:9], v[108:109], -v[88:89]
	v_add_f64 v[4:5], v[4:5], 0
	v_fmac_f64_e32 v[122:123], v[10:11], v[108:109]
	s_waitcnt vmcnt(10)
	v_fma_f64 v[8:9], v[12:13], v[110:111], -v[90:91]
	v_add_f64 v[2:3], v[2:3], 0
	v_add_f64 v[4:5], v[4:5], v[6:7]
	v_fmac_f64_e32 v[124:125], v[14:15], v[110:111]
	s_waitcnt vmcnt(8)
	v_fma_f64 v[10:11], v[16:17], v[112:113], -v[96:97]
	v_add_f64 v[2:3], v[2:3], v[122:123]
	v_add_f64 v[4:5], v[4:5], v[8:9]
	v_fmac_f64_e32 v[126:127], v[18:19], v[112:113]
	v_fma_f64 v[12:13], v[20:21], v[94:95], -v[92:93]
	v_add_f64 v[2:3], v[2:3], v[124:125]
	v_add_f64 v[4:5], v[4:5], v[10:11]
	s_waitcnt vmcnt(6)
	v_fma_f64 v[14:15], v[24:25], v[114:115], -v[102:103]
	v_add_f64 v[2:3], v[2:3], v[126:127]
	v_add_f64 v[4:5], v[4:5], v[12:13]
	v_fmac_f64_e32 v[130:131], v[26:27], v[114:115]
	v_fma_f64 v[16:17], v[28:29], v[100:101], -v[98:99]
	v_add_f64 v[2:3], v[2:3], v[128:129]
	v_add_f64 v[4:5], v[4:5], v[14:15]
	v_mul_f64 v[6:7], v[86:87], v[104:105]
	v_add_f64 v[2:3], v[2:3], v[130:131]
	v_add_f64 v[4:5], v[4:5], v[16:17]
	s_waitcnt vmcnt(4)
	v_fma_f64 v[6:7], v[84:85], v[116:117], -v[6:7]
	v_fmac_f64_e32 v[134:135], v[86:87], v[116:117]
	v_add_f64 v[2:3], v[2:3], v[132:133]
	v_add_f64 v[4:5], v[4:5], v[6:7]
	;; [unrolled: 1-line block ×3, first 2 shown]
	s_waitcnt vmcnt(2)
	v_add_f64 v[4:5], v[118:119], -v[4:5]
	s_waitcnt vmcnt(0)
	v_add_f64 v[2:3], v[120:121], -v[2:3]
	buffer_store_dword v5, off, s[0:3], 0 offset:260
	buffer_store_dword v4, off, s[0:3], 0 offset:256
	buffer_store_dword v3, off, s[0:3], 0 offset:268
	buffer_store_dword v2, off, s[0:3], 0 offset:264
	s_and_saveexec_b64 s[6:7], vcc
	s_cbranch_execz .LBB24_133
; %bb.132:
	v_accvgpr_read_b32 v5, a12
	buffer_load_dword v2, v5, s[0:3], 0 offen
	buffer_load_dword v3, v5, s[0:3], 0 offen offset:4
	buffer_load_dword v4, v5, s[0:3], 0 offen offset:8
	s_nop 0
	buffer_load_dword v5, v5, s[0:3], 0 offen offset:12
	v_mov_b32_e32 v6, 0
	buffer_store_dword v6, off, s[0:3], 0 offset:240
	buffer_store_dword v6, off, s[0:3], 0 offset:244
	;; [unrolled: 1-line block ×4, first 2 shown]
	s_waitcnt vmcnt(4)
	ds_write_b128 v136, v[2:5]
.LBB24_133:
	s_or_b64 exec, exec, s[6:7]
	v_mov_b32_e32 v94, 0
	s_waitcnt lgkmcnt(0)
	; wave barrier
	s_waitcnt lgkmcnt(0)
	ds_read_b128 v[14:17], v94 offset:656
	ds_read_b128 v[10:13], v94 offset:672
	;; [unrolled: 1-line block ×4, first 2 shown]
	buffer_load_dword v24, off, s[0:3], 0 offset:240
	buffer_load_dword v25, off, s[0:3], 0 offset:244
	;; [unrolled: 1-line block ×20, first 2 shown]
	v_cmp_lt_u32_e32 vcc, 14, v171
	s_waitcnt vmcnt(12) lgkmcnt(3)
	v_mul_f64 v[18:19], v[14:15], v[86:87]
	v_fmac_f64_e32 v[18:19], v[16:17], v[26:27]
	v_add_f64 v[18:19], v[18:19], 0
	v_mul_f64 v[16:17], v[16:17], v[86:87]
	s_waitcnt vmcnt(8) lgkmcnt(2)
	v_mul_f64 v[20:21], v[10:11], v[88:89]
	v_fmac_f64_e32 v[20:21], v[12:13], v[32:33]
	v_add_f64 v[18:19], v[18:19], v[20:21]
	v_fma_f64 v[14:15], v[14:15], v[26:27], -v[16:17]
	s_waitcnt vmcnt(4) lgkmcnt(1)
	v_mul_f64 v[20:21], v[6:7], v[90:91]
	v_fmac_f64_e32 v[20:21], v[8:9], v[84:85]
	v_add_f64 v[18:19], v[18:19], v[20:21]
	s_waitcnt vmcnt(0) lgkmcnt(0)
	v_mul_f64 v[20:21], v[2:3], v[92:93]
	v_fmac_f64_e32 v[20:21], v[4:5], v[30:31]
	v_add_f64 v[96:97], v[18:19], v[20:21]
	ds_read_b128 v[18:21], v94 offset:720
	buffer_load_dword v29, off, s[0:3], 0 offset:324
	buffer_load_dword v28, off, s[0:3], 0 offset:320
	;; [unrolled: 1-line block ×4, first 2 shown]
	v_mul_f64 v[12:13], v[12:13], v[88:89]
	v_add_f64 v[14:15], v[14:15], 0
	v_fma_f64 v[10:11], v[10:11], v[32:33], -v[12:13]
	v_mul_f64 v[8:9], v[8:9], v[90:91]
	v_add_f64 v[10:11], v[14:15], v[10:11]
	v_fma_f64 v[6:7], v[6:7], v[84:85], -v[8:9]
	;; [unrolled: 3-line block ×3, first 2 shown]
	v_add_f64 v[2:3], v[6:7], v[2:3]
	s_waitcnt vmcnt(0) lgkmcnt(0)
	v_mul_f64 v[98:99], v[18:19], v[112:113]
	v_fmac_f64_e32 v[98:99], v[20:21], v[28:29]
	v_add_f64 v[100:101], v[96:97], v[98:99]
	ds_read_b128 v[96:99], v94 offset:736
	buffer_load_dword v115, off, s[0:3], 0 offset:340
	buffer_load_dword v114, off, s[0:3], 0 offset:336
	buffer_load_dword v117, off, s[0:3], 0 offset:348
	buffer_load_dword v116, off, s[0:3], 0 offset:344
	v_mul_f64 v[4:5], v[20:21], v[112:113]
	v_fma_f64 v[4:5], v[18:19], v[28:29], -v[4:5]
	v_add_f64 v[2:3], v[2:3], v[4:5]
	s_waitcnt vmcnt(0) lgkmcnt(0)
	v_mul_f64 v[102:103], v[96:97], v[116:117]
	v_fmac_f64_e32 v[102:103], v[98:99], v[114:115]
	v_add_f64 v[104:105], v[100:101], v[102:103]
	ds_read_b128 v[100:103], v94 offset:752
	buffer_load_dword v119, off, s[0:3], 0 offset:356
	buffer_load_dword v118, off, s[0:3], 0 offset:352
	buffer_load_dword v121, off, s[0:3], 0 offset:364
	buffer_load_dword v120, off, s[0:3], 0 offset:360
	v_mul_f64 v[4:5], v[98:99], v[116:117]
	v_fma_f64 v[4:5], v[96:97], v[114:115], -v[4:5]
	;; [unrolled: 12-line block ×4, first 2 shown]
	v_add_f64 v[2:3], v[2:3], v[4:5]
	s_waitcnt vmcnt(0) lgkmcnt(0)
	v_mul_f64 v[4:5], v[110:111], v[130:131]
	v_mul_f64 v[132:133], v[108:109], v[130:131]
	v_fma_f64 v[4:5], v[108:109], v[128:129], -v[4:5]
	v_fmac_f64_e32 v[132:133], v[110:111], v[128:129]
	v_add_f64 v[2:3], v[2:3], v[4:5]
	v_add_f64 v[126:127], v[126:127], v[132:133]
	v_add_f64 v[2:3], v[24:25], -v[2:3]
	v_add_f64 v[4:5], v[22:23], -v[126:127]
	buffer_store_dword v3, off, s[0:3], 0 offset:244
	buffer_store_dword v2, off, s[0:3], 0 offset:240
	;; [unrolled: 1-line block ×4, first 2 shown]
	s_and_saveexec_b64 s[6:7], vcc
	s_cbranch_execz .LBB24_135
; %bb.134:
	v_accvgpr_read_b32 v5, a10
	buffer_load_dword v2, v5, s[0:3], 0 offen
	buffer_load_dword v3, v5, s[0:3], 0 offen offset:4
	buffer_load_dword v4, v5, s[0:3], 0 offen offset:8
	s_nop 0
	buffer_load_dword v5, v5, s[0:3], 0 offen offset:12
	s_nop 0
	buffer_store_dword v94, off, s[0:3], 0 offset:224
	buffer_store_dword v94, off, s[0:3], 0 offset:228
	;; [unrolled: 1-line block ×4, first 2 shown]
	s_waitcnt vmcnt(4)
	ds_write_b128 v136, v[2:5]
.LBB24_135:
	s_or_b64 exec, exec, s[6:7]
	s_waitcnt lgkmcnt(0)
	; wave barrier
	s_waitcnt lgkmcnt(0)
	ds_read_b128 v[14:17], v94 offset:640
	ds_read_b128 v[10:13], v94 offset:656
	;; [unrolled: 1-line block ×4, first 2 shown]
	buffer_load_dword v24, off, s[0:3], 0 offset:224
	buffer_load_dword v25, off, s[0:3], 0 offset:228
	buffer_load_dword v22, off, s[0:3], 0 offset:232
	buffer_load_dword v23, off, s[0:3], 0 offset:236
	buffer_load_dword v88, off, s[0:3], 0 offset:240
	buffer_load_dword v89, off, s[0:3], 0 offset:244
	buffer_load_dword v90, off, s[0:3], 0 offset:248
	buffer_load_dword v91, off, s[0:3], 0 offset:252
	buffer_load_dword v30, off, s[0:3], 0 offset:256
	buffer_load_dword v31, off, s[0:3], 0 offset:260
	buffer_load_dword v92, off, s[0:3], 0 offset:264
	buffer_load_dword v93, off, s[0:3], 0 offset:268
	buffer_load_dword v26, off, s[0:3], 0 offset:272
	buffer_load_dword v27, off, s[0:3], 0 offset:276
	buffer_load_dword v28, off, s[0:3], 0 offset:280
	buffer_load_dword v29, off, s[0:3], 0 offset:284
	buffer_load_dword v33, off, s[0:3], 0 offset:292
	buffer_load_dword v32, off, s[0:3], 0 offset:288
	buffer_load_dword v85, off, s[0:3], 0 offset:300
	buffer_load_dword v84, off, s[0:3], 0 offset:296
	v_cmp_lt_u32_e32 vcc, 13, v171
	s_waitcnt vmcnt(12) lgkmcnt(3)
	v_mul_f64 v[18:19], v[14:15], v[90:91]
	v_fmac_f64_e32 v[18:19], v[16:17], v[88:89]
	v_add_f64 v[18:19], v[18:19], 0
	v_mul_f64 v[16:17], v[16:17], v[90:91]
	s_waitcnt vmcnt(8) lgkmcnt(2)
	v_mul_f64 v[20:21], v[10:11], v[92:93]
	v_fmac_f64_e32 v[20:21], v[12:13], v[30:31]
	v_add_f64 v[18:19], v[18:19], v[20:21]
	v_fma_f64 v[14:15], v[14:15], v[88:89], -v[16:17]
	s_waitcnt vmcnt(4) lgkmcnt(1)
	v_mul_f64 v[20:21], v[6:7], v[28:29]
	v_fmac_f64_e32 v[20:21], v[8:9], v[26:27]
	v_add_f64 v[18:19], v[18:19], v[20:21]
	s_waitcnt vmcnt(0) lgkmcnt(0)
	v_mul_f64 v[20:21], v[2:3], v[84:85]
	v_fmac_f64_e32 v[20:21], v[4:5], v[32:33]
	v_add_f64 v[96:97], v[18:19], v[20:21]
	ds_read_b128 v[18:21], v94 offset:704
	buffer_load_dword v87, off, s[0:3], 0 offset:308
	buffer_load_dword v86, off, s[0:3], 0 offset:304
	;; [unrolled: 1-line block ×4, first 2 shown]
	v_mul_f64 v[12:13], v[12:13], v[92:93]
	v_add_f64 v[14:15], v[14:15], 0
	v_fma_f64 v[10:11], v[10:11], v[30:31], -v[12:13]
	v_mul_f64 v[8:9], v[8:9], v[28:29]
	v_add_f64 v[10:11], v[14:15], v[10:11]
	v_fma_f64 v[6:7], v[6:7], v[26:27], -v[8:9]
	v_mul_f64 v[4:5], v[4:5], v[84:85]
	v_add_f64 v[6:7], v[10:11], v[6:7]
	v_fma_f64 v[2:3], v[2:3], v[32:33], -v[4:5]
	v_add_f64 v[2:3], v[6:7], v[2:3]
	s_waitcnt vmcnt(0) lgkmcnt(0)
	v_mul_f64 v[98:99], v[18:19], v[116:117]
	v_fmac_f64_e32 v[98:99], v[20:21], v[86:87]
	v_add_f64 v[100:101], v[96:97], v[98:99]
	ds_read_b128 v[96:99], v94 offset:720
	buffer_load_dword v119, off, s[0:3], 0 offset:324
	buffer_load_dword v118, off, s[0:3], 0 offset:320
	buffer_load_dword v121, off, s[0:3], 0 offset:332
	buffer_load_dword v120, off, s[0:3], 0 offset:328
	v_mul_f64 v[4:5], v[20:21], v[116:117]
	v_fma_f64 v[4:5], v[18:19], v[86:87], -v[4:5]
	v_add_f64 v[2:3], v[2:3], v[4:5]
	s_waitcnt vmcnt(0) lgkmcnt(0)
	v_mul_f64 v[102:103], v[96:97], v[120:121]
	v_fmac_f64_e32 v[102:103], v[98:99], v[118:119]
	v_add_f64 v[104:105], v[100:101], v[102:103]
	ds_read_b128 v[100:103], v94 offset:736
	buffer_load_dword v123, off, s[0:3], 0 offset:340
	buffer_load_dword v122, off, s[0:3], 0 offset:336
	buffer_load_dword v125, off, s[0:3], 0 offset:348
	buffer_load_dword v124, off, s[0:3], 0 offset:344
	v_mul_f64 v[4:5], v[98:99], v[120:121]
	v_fma_f64 v[4:5], v[96:97], v[118:119], -v[4:5]
	;; [unrolled: 12-line block ×5, first 2 shown]
	v_add_f64 v[2:3], v[2:3], v[4:5]
	s_waitcnt vmcnt(0) lgkmcnt(0)
	v_mul_f64 v[4:5], v[114:115], v[138:139]
	v_mul_f64 v[140:141], v[112:113], v[138:139]
	v_fma_f64 v[4:5], v[112:113], v[94:95], -v[4:5]
	v_fmac_f64_e32 v[140:141], v[114:115], v[94:95]
	v_add_f64 v[2:3], v[2:3], v[4:5]
	v_add_f64 v[134:135], v[134:135], v[140:141]
	v_add_f64 v[2:3], v[24:25], -v[2:3]
	v_add_f64 v[4:5], v[22:23], -v[134:135]
	buffer_store_dword v3, off, s[0:3], 0 offset:228
	buffer_store_dword v2, off, s[0:3], 0 offset:224
	;; [unrolled: 1-line block ×4, first 2 shown]
	s_and_saveexec_b64 s[6:7], vcc
	s_cbranch_execz .LBB24_137
; %bb.136:
	v_accvgpr_read_b32 v5, a11
	buffer_load_dword v2, v5, s[0:3], 0 offen
	buffer_load_dword v3, v5, s[0:3], 0 offen offset:4
	buffer_load_dword v4, v5, s[0:3], 0 offen offset:8
	s_nop 0
	buffer_load_dword v5, v5, s[0:3], 0 offen offset:12
	v_mov_b32_e32 v6, 0
	buffer_store_dword v6, off, s[0:3], 0 offset:208
	buffer_store_dword v6, off, s[0:3], 0 offset:212
	;; [unrolled: 1-line block ×4, first 2 shown]
	s_waitcnt vmcnt(4)
	ds_write_b128 v136, v[2:5]
.LBB24_137:
	s_or_b64 exec, exec, s[6:7]
	s_waitcnt lgkmcnt(0)
	; wave barrier
	s_waitcnt lgkmcnt(0)
	buffer_load_dword v2, off, s[0:3], 0 offset:224
	buffer_load_dword v3, off, s[0:3], 0 offset:228
	;; [unrolled: 1-line block ×48, first 2 shown]
	v_mov_b32_e32 v12, 0
	ds_read_b128 v[14:17], v12 offset:624
	ds_read_b128 v[18:21], v12 offset:640
	;; [unrolled: 1-line block ×11, first 2 shown]
	v_cmp_lt_u32_e32 vcc, 12, v171
	s_waitcnt vmcnt(44) lgkmcnt(10)
	v_mul_f64 v[172:173], v[14:15], v[6:7]
	v_mul_f64 v[6:7], v[16:17], v[6:7]
	v_fmac_f64_e32 v[172:173], v[16:17], v[2:3]
	v_fma_f64 v[2:3], v[14:15], v[2:3], -v[6:7]
	s_waitcnt vmcnt(40) lgkmcnt(9)
	v_mul_f64 v[174:175], v[18:19], v[8:9]
	v_mul_f64 v[6:7], v[20:21], v[8:9]
	v_fmac_f64_e32 v[174:175], v[20:21], v[4:5]
	v_add_f64 v[2:3], v[2:3], 0
	v_fma_f64 v[4:5], v[18:19], v[4:5], -v[6:7]
	v_add_f64 v[2:3], v[2:3], v[4:5]
	s_waitcnt vmcnt(38) lgkmcnt(8)
	v_mul_f64 v[4:5], v[24:25], v[10:11]
	v_mul_f64 v[176:177], v[22:23], v[10:11]
	v_add_f64 v[172:173], v[172:173], 0
	s_waitcnt vmcnt(32) lgkmcnt(7)
	v_mul_f64 v[178:179], v[26:27], v[112:113]
	v_add_f64 v[172:173], v[172:173], v[174:175]
	s_waitcnt lgkmcnt(6)
	v_mul_f64 v[180:181], v[30:31], v[108:109]
	v_fmac_f64_e32 v[180:181], v[32:33], v[110:111]
	s_waitcnt vmcnt(30) lgkmcnt(4)
	v_mul_f64 v[184:185], v[88:89], v[114:115]
	s_waitcnt vmcnt(26)
	v_mul_f64 v[182:183], v[84:85], v[118:119]
	v_fmac_f64_e32 v[184:185], v[90:91], v[116:117]
	s_waitcnt vmcnt(24) lgkmcnt(2)
	v_mul_f64 v[188:189], v[96:97], v[120:121]
	s_waitcnt vmcnt(22)
	v_fmac_f64_e32 v[188:189], v[98:99], v[122:123]
	s_waitcnt vmcnt(20)
	v_mul_f64 v[186:187], v[92:93], v[124:125]
	s_waitcnt vmcnt(16) lgkmcnt(1)
	v_mul_f64 v[190:191], v[100:101], v[130:131]
	s_waitcnt vmcnt(14)
	v_fma_f64 v[4:5], v[22:23], v[132:133], -v[4:5]
	v_add_f64 v[2:3], v[2:3], v[4:5]
	v_mul_f64 v[4:5], v[28:29], v[112:113]
	s_waitcnt vmcnt(12)
	v_fma_f64 v[4:5], v[26:27], v[134:135], -v[4:5]
	v_add_f64 v[2:3], v[2:3], v[4:5]
	v_mul_f64 v[4:5], v[32:33], v[108:109]
	v_fma_f64 v[4:5], v[30:31], v[110:111], -v[4:5]
	v_add_f64 v[2:3], v[2:3], v[4:5]
	v_mul_f64 v[4:5], v[86:87], v[118:119]
	s_waitcnt vmcnt(10)
	v_fma_f64 v[4:5], v[84:85], v[138:139], -v[4:5]
	v_add_f64 v[2:3], v[2:3], v[4:5]
	v_mul_f64 v[4:5], v[90:91], v[114:115]
	v_fma_f64 v[4:5], v[88:89], v[116:117], -v[4:5]
	v_fmac_f64_e32 v[176:177], v[24:25], v[132:133]
	v_add_f64 v[2:3], v[2:3], v[4:5]
	v_mul_f64 v[4:5], v[94:95], v[124:125]
	v_fmac_f64_e32 v[178:179], v[28:29], v[134:135]
	v_add_f64 v[172:173], v[172:173], v[176:177]
	s_waitcnt vmcnt(8)
	v_fma_f64 v[4:5], v[92:93], v[140:141], -v[4:5]
	v_add_f64 v[172:173], v[172:173], v[178:179]
	v_add_f64 v[2:3], v[2:3], v[4:5]
	v_mul_f64 v[4:5], v[98:99], v[120:121]
	v_fmac_f64_e32 v[182:183], v[86:87], v[138:139]
	v_add_f64 v[172:173], v[172:173], v[180:181]
	v_fma_f64 v[4:5], v[96:97], v[122:123], -v[4:5]
	v_add_f64 v[172:173], v[172:173], v[182:183]
	v_add_f64 v[2:3], v[2:3], v[4:5]
	v_mul_f64 v[4:5], v[102:103], v[130:131]
	v_fmac_f64_e32 v[186:187], v[94:95], v[140:141]
	v_add_f64 v[172:173], v[172:173], v[184:185]
	s_waitcnt vmcnt(6)
	v_fma_f64 v[4:5], v[100:101], v[142:143], -v[4:5]
	v_add_f64 v[172:173], v[172:173], v[186:187]
	v_add_f64 v[2:3], v[2:3], v[4:5]
	s_waitcnt vmcnt(5) lgkmcnt(0)
	v_mul_f64 v[4:5], v[106:107], v[126:127]
	v_fmac_f64_e32 v[190:191], v[102:103], v[142:143]
	v_add_f64 v[172:173], v[172:173], v[188:189]
	v_mul_f64 v[174:175], v[104:105], v[126:127]
	s_waitcnt vmcnt(4)
	v_fma_f64 v[4:5], v[104:105], v[128:129], -v[4:5]
	v_add_f64 v[172:173], v[172:173], v[190:191]
	v_fmac_f64_e32 v[174:175], v[106:107], v[128:129]
	v_add_f64 v[2:3], v[2:3], v[4:5]
	v_add_f64 v[172:173], v[172:173], v[174:175]
	s_waitcnt vmcnt(2)
	v_add_f64 v[2:3], v[144:145], -v[2:3]
	s_waitcnt vmcnt(0)
	v_add_f64 v[4:5], v[146:147], -v[172:173]
	buffer_store_dword v3, off, s[0:3], 0 offset:212
	buffer_store_dword v2, off, s[0:3], 0 offset:208
	;; [unrolled: 1-line block ×4, first 2 shown]
	s_and_saveexec_b64 s[6:7], vcc
	s_cbranch_execz .LBB24_139
; %bb.138:
	v_accvgpr_read_b32 v5, a9
	buffer_load_dword v2, v5, s[0:3], 0 offen
	buffer_load_dword v3, v5, s[0:3], 0 offen offset:4
	buffer_load_dword v4, v5, s[0:3], 0 offen offset:8
	s_nop 0
	buffer_load_dword v5, v5, s[0:3], 0 offen offset:12
	s_nop 0
	buffer_store_dword v12, off, s[0:3], 0 offset:192
	buffer_store_dword v12, off, s[0:3], 0 offset:196
	;; [unrolled: 1-line block ×4, first 2 shown]
	s_waitcnt vmcnt(4)
	ds_write_b128 v136, v[2:5]
.LBB24_139:
	s_or_b64 exec, exec, s[6:7]
	s_waitcnt lgkmcnt(0)
	; wave barrier
	s_waitcnt lgkmcnt(0)
	buffer_load_dword v2, off, s[0:3], 0 offset:208
	buffer_load_dword v3, off, s[0:3], 0 offset:212
	;; [unrolled: 1-line block ×52, first 2 shown]
	ds_read_b128 v[14:17], v12 offset:608
	ds_read_b128 v[18:21], v12 offset:624
	;; [unrolled: 1-line block ×10, first 2 shown]
	v_cmp_lt_u32_e32 vcc, 11, v171
	s_waitcnt vmcnt(48) lgkmcnt(9)
	v_mul_f64 v[104:105], v[14:15], v[6:7]
	v_mul_f64 v[6:7], v[16:17], v[6:7]
	v_fmac_f64_e32 v[104:105], v[16:17], v[2:3]
	v_fma_f64 v[2:3], v[14:15], v[2:3], -v[6:7]
	s_waitcnt vmcnt(44) lgkmcnt(8)
	v_mul_f64 v[106:107], v[18:19], v[8:9]
	v_mul_f64 v[6:7], v[20:21], v[8:9]
	v_fmac_f64_e32 v[106:107], v[20:21], v[4:5]
	v_add_f64 v[2:3], v[2:3], 0
	v_fma_f64 v[4:5], v[18:19], v[4:5], -v[6:7]
	v_add_f64 v[2:3], v[2:3], v[4:5]
	s_waitcnt vmcnt(42) lgkmcnt(7)
	v_mul_f64 v[4:5], v[24:25], v[10:11]
	v_mul_f64 v[108:109], v[22:23], v[10:11]
	v_add_f64 v[104:105], v[104:105], 0
	s_waitcnt vmcnt(36) lgkmcnt(6)
	v_mul_f64 v[110:111], v[26:27], v[116:117]
	v_add_f64 v[104:105], v[104:105], v[106:107]
	s_waitcnt lgkmcnt(5)
	v_mul_f64 v[180:181], v[30:31], v[112:113]
	v_fmac_f64_e32 v[180:181], v[32:33], v[114:115]
	s_waitcnt vmcnt(34) lgkmcnt(3)
	v_mul_f64 v[184:185], v[88:89], v[118:119]
	s_waitcnt vmcnt(30)
	v_mul_f64 v[182:183], v[84:85], v[122:123]
	v_fmac_f64_e32 v[184:185], v[90:91], v[120:121]
	s_waitcnt vmcnt(26) lgkmcnt(2)
	v_mul_f64 v[186:187], v[92:93], v[128:129]
	s_waitcnt vmcnt(25) lgkmcnt(1)
	v_mul_f64 v[188:189], v[96:97], v[124:125]
	s_waitcnt vmcnt(23)
	v_fma_f64 v[4:5], v[22:23], v[130:131], -v[4:5]
	v_add_f64 v[2:3], v[2:3], v[4:5]
	v_mul_f64 v[4:5], v[28:29], v[116:117]
	s_waitcnt vmcnt(21)
	v_fma_f64 v[4:5], v[26:27], v[132:133], -v[4:5]
	v_fmac_f64_e32 v[108:109], v[24:25], v[130:131]
	v_add_f64 v[2:3], v[2:3], v[4:5]
	v_mul_f64 v[4:5], v[32:33], v[112:113]
	v_fmac_f64_e32 v[110:111], v[28:29], v[132:133]
	v_add_f64 v[104:105], v[104:105], v[108:109]
	v_fma_f64 v[4:5], v[30:31], v[114:115], -v[4:5]
	v_add_f64 v[104:105], v[104:105], v[110:111]
	v_add_f64 v[2:3], v[2:3], v[4:5]
	v_mul_f64 v[4:5], v[86:87], v[122:123]
	s_waitcnt vmcnt(19)
	v_fmac_f64_e32 v[182:183], v[86:87], v[134:135]
	v_add_f64 v[104:105], v[104:105], v[180:181]
	v_fma_f64 v[4:5], v[84:85], v[134:135], -v[4:5]
	v_add_f64 v[104:105], v[104:105], v[182:183]
	v_add_f64 v[2:3], v[2:3], v[4:5]
	v_mul_f64 v[4:5], v[90:91], v[118:119]
	s_waitcnt vmcnt(17)
	v_fmac_f64_e32 v[186:187], v[94:95], v[138:139]
	v_add_f64 v[104:105], v[104:105], v[184:185]
	v_fma_f64 v[4:5], v[88:89], v[120:121], -v[4:5]
	s_waitcnt vmcnt(16)
	v_fmac_f64_e32 v[188:189], v[98:99], v[126:127]
	v_add_f64 v[104:105], v[104:105], v[186:187]
	v_add_f64 v[2:3], v[2:3], v[4:5]
	v_mul_f64 v[4:5], v[94:95], v[128:129]
	v_add_f64 v[180:181], v[104:105], v[188:189]
	ds_read_b128 v[104:107], v12 offset:768
	ds_read_b128 v[108:111], v12 offset:784
	v_fma_f64 v[4:5], v[92:93], v[138:139], -v[4:5]
	v_add_f64 v[2:3], v[2:3], v[4:5]
	v_mul_f64 v[4:5], v[98:99], v[124:125]
	v_fma_f64 v[4:5], v[96:97], v[126:127], -v[4:5]
	v_add_f64 v[2:3], v[2:3], v[4:5]
	s_waitcnt vmcnt(12) lgkmcnt(2)
	v_mul_f64 v[4:5], v[102:103], v[144:145]
	v_mul_f64 v[182:183], v[100:101], v[144:145]
	s_waitcnt vmcnt(10)
	v_fma_f64 v[4:5], v[100:101], v[146:147], -v[4:5]
	v_fmac_f64_e32 v[182:183], v[102:103], v[146:147]
	v_add_f64 v[2:3], v[2:3], v[4:5]
	s_waitcnt vmcnt(8) lgkmcnt(1)
	v_mul_f64 v[4:5], v[106:107], v[140:141]
	v_add_f64 v[12:13], v[180:181], v[182:183]
	v_mul_f64 v[180:181], v[104:105], v[140:141]
	v_fma_f64 v[4:5], v[104:105], v[142:143], -v[4:5]
	v_fmac_f64_e32 v[180:181], v[106:107], v[142:143]
	v_add_f64 v[2:3], v[2:3], v[4:5]
	s_waitcnt vmcnt(6) lgkmcnt(0)
	v_mul_f64 v[4:5], v[110:111], v[172:173]
	v_add_f64 v[12:13], v[12:13], v[180:181]
	v_mul_f64 v[180:181], v[108:109], v[172:173]
	s_waitcnt vmcnt(4)
	v_fma_f64 v[4:5], v[108:109], v[174:175], -v[4:5]
	v_fmac_f64_e32 v[180:181], v[110:111], v[174:175]
	v_add_f64 v[2:3], v[2:3], v[4:5]
	v_add_f64 v[12:13], v[12:13], v[180:181]
	s_waitcnt vmcnt(2)
	v_add_f64 v[2:3], v[176:177], -v[2:3]
	s_waitcnt vmcnt(0)
	v_add_f64 v[4:5], v[178:179], -v[12:13]
	buffer_store_dword v3, off, s[0:3], 0 offset:196
	buffer_store_dword v2, off, s[0:3], 0 offset:192
	;; [unrolled: 1-line block ×4, first 2 shown]
	s_and_saveexec_b64 s[6:7], vcc
	s_cbranch_execz .LBB24_141
; %bb.140:
	v_accvgpr_read_b32 v5, a14
	buffer_load_dword v2, v5, s[0:3], 0 offen
	buffer_load_dword v3, v5, s[0:3], 0 offen offset:4
	buffer_load_dword v4, v5, s[0:3], 0 offen offset:8
	s_nop 0
	buffer_load_dword v5, v5, s[0:3], 0 offen offset:12
	v_mov_b32_e32 v6, 0
	buffer_store_dword v6, off, s[0:3], 0 offset:176
	buffer_store_dword v6, off, s[0:3], 0 offset:180
	;; [unrolled: 1-line block ×4, first 2 shown]
	s_waitcnt vmcnt(4)
	ds_write_b128 v136, v[2:5]
.LBB24_141:
	s_or_b64 exec, exec, s[6:7]
	s_waitcnt lgkmcnt(0)
	; wave barrier
	s_waitcnt lgkmcnt(0)
	buffer_load_dword v2, off, s[0:3], 0 offset:192
	buffer_load_dword v3, off, s[0:3], 0 offset:196
	;; [unrolled: 1-line block ×56, first 2 shown]
	v_mov_b32_e32 v24, 0
	ds_read_b128 v[18:21], v24 offset:592
	ds_read_b128 v[26:29], v24 offset:608
	;; [unrolled: 1-line block ×9, first 2 shown]
	v_cmp_lt_u32_e32 vcc, 10, v171
	s_waitcnt vmcnt(52) lgkmcnt(8)
	v_mul_f64 v[104:105], v[18:19], v[6:7]
	v_fmac_f64_e32 v[104:105], v[20:21], v[2:3]
	v_mul_f64 v[6:7], v[20:21], v[6:7]
	v_add_f64 v[104:105], v[104:105], 0
	s_waitcnt vmcnt(48) lgkmcnt(7)
	v_mul_f64 v[106:107], v[26:27], v[8:9]
	v_fmac_f64_e32 v[106:107], v[28:29], v[4:5]
	s_waitcnt vmcnt(46) lgkmcnt(6)
	v_mul_f64 v[108:109], v[30:31], v[10:11]
	v_fma_f64 v[2:3], v[18:19], v[2:3], -v[6:7]
	v_mul_f64 v[6:7], v[28:29], v[8:9]
	v_add_f64 v[104:105], v[104:105], v[106:107]
	v_add_f64 v[2:3], v[2:3], 0
	v_fma_f64 v[4:5], v[26:27], v[4:5], -v[6:7]
	s_waitcnt vmcnt(40) lgkmcnt(5)
	v_mul_f64 v[110:111], v[84:85], v[16:17]
	s_waitcnt lgkmcnt(4)
	v_mul_f64 v[112:113], v[88:89], v[12:13]
	v_add_f64 v[2:3], v[2:3], v[4:5]
	v_mul_f64 v[4:5], v[32:33], v[10:11]
	s_waitcnt vmcnt(36) lgkmcnt(3)
	v_mul_f64 v[114:115], v[92:93], v[126:127]
	v_fmac_f64_e32 v[112:113], v[90:91], v[14:15]
	s_waitcnt vmcnt(35) lgkmcnt(2)
	v_mul_f64 v[116:117], v[96:97], v[22:23]
	s_waitcnt vmcnt(33)
	v_fmac_f64_e32 v[108:109], v[32:33], v[128:129]
	v_add_f64 v[104:105], v[104:105], v[108:109]
	s_waitcnt vmcnt(31)
	v_fmac_f64_e32 v[110:111], v[86:87], v[130:131]
	v_add_f64 v[104:105], v[104:105], v[110:111]
	v_fma_f64 v[4:5], v[30:31], v[128:129], -v[4:5]
	s_waitcnt vmcnt(29)
	v_fmac_f64_e32 v[114:115], v[94:95], v[132:133]
	v_add_f64 v[104:105], v[104:105], v[112:113]
	v_add_f64 v[2:3], v[2:3], v[4:5]
	v_mul_f64 v[4:5], v[86:87], v[16:17]
	s_waitcnt vmcnt(28)
	v_fmac_f64_e32 v[116:117], v[98:99], v[124:125]
	v_add_f64 v[104:105], v[104:105], v[114:115]
	v_fma_f64 v[4:5], v[84:85], v[130:131], -v[4:5]
	v_add_f64 v[108:109], v[104:105], v[116:117]
	ds_read_b128 v[104:107], v24 offset:720
	s_waitcnt vmcnt(24) lgkmcnt(2)
	v_mul_f64 v[110:111], v[100:101], v[140:141]
	v_add_f64 v[2:3], v[2:3], v[4:5]
	v_mul_f64 v[4:5], v[90:91], v[12:13]
	s_waitcnt vmcnt(22)
	v_fmac_f64_e32 v[110:111], v[102:103], v[142:143]
	v_fma_f64 v[4:5], v[88:89], v[14:15], -v[4:5]
	v_add_f64 v[112:113], v[108:109], v[110:111]
	ds_read_b128 v[108:111], v24 offset:736
	v_add_f64 v[2:3], v[2:3], v[4:5]
	v_mul_f64 v[4:5], v[94:95], v[126:127]
	v_fma_f64 v[4:5], v[92:93], v[132:133], -v[4:5]
	v_add_f64 v[2:3], v[2:3], v[4:5]
	v_mul_f64 v[4:5], v[98:99], v[22:23]
	s_waitcnt vmcnt(20) lgkmcnt(1)
	v_mul_f64 v[114:115], v[104:105], v[134:135]
	v_fma_f64 v[4:5], v[96:97], v[124:125], -v[4:5]
	v_fmac_f64_e32 v[114:115], v[106:107], v[138:139]
	v_add_f64 v[2:3], v[2:3], v[4:5]
	v_mul_f64 v[4:5], v[102:103], v[140:141]
	v_add_f64 v[116:117], v[112:113], v[114:115]
	ds_read_b128 v[112:115], v24 offset:752
	s_waitcnt vmcnt(16) lgkmcnt(1)
	v_mul_f64 v[118:119], v[108:109], v[172:173]
	v_fma_f64 v[4:5], v[100:101], v[142:143], -v[4:5]
	s_waitcnt vmcnt(14)
	v_fmac_f64_e32 v[118:119], v[110:111], v[174:175]
	v_add_f64 v[2:3], v[2:3], v[4:5]
	v_mul_f64 v[4:5], v[106:107], v[134:135]
	v_add_f64 v[188:189], v[116:117], v[118:119]
	ds_read_b128 v[116:119], v24 offset:768
	v_fma_f64 v[4:5], v[104:105], v[138:139], -v[4:5]
	v_add_f64 v[2:3], v[2:3], v[4:5]
	v_mul_f64 v[4:5], v[110:111], v[172:173]
	v_fma_f64 v[4:5], v[108:109], v[174:175], -v[4:5]
	v_add_f64 v[2:3], v[2:3], v[4:5]
	s_waitcnt vmcnt(12) lgkmcnt(1)
	v_mul_f64 v[4:5], v[114:115], v[144:145]
	v_mul_f64 v[190:191], v[112:113], v[144:145]
	v_fma_f64 v[4:5], v[112:113], v[146:147], -v[4:5]
	v_fmac_f64_e32 v[190:191], v[114:115], v[146:147]
	v_add_f64 v[2:3], v[2:3], v[4:5]
	s_waitcnt vmcnt(8) lgkmcnt(0)
	v_mul_f64 v[4:5], v[118:119], v[180:181]
	v_add_f64 v[188:189], v[188:189], v[190:191]
	v_mul_f64 v[190:191], v[116:117], v[180:181]
	s_waitcnt vmcnt(6)
	v_fma_f64 v[4:5], v[116:117], v[182:183], -v[4:5]
	v_fmac_f64_e32 v[190:191], v[118:119], v[182:183]
	v_add_f64 v[2:3], v[2:3], v[4:5]
	s_waitcnt vmcnt(5)
	v_mul_f64 v[4:5], v[122:123], v[176:177]
	v_add_f64 v[188:189], v[188:189], v[190:191]
	v_mul_f64 v[190:191], v[120:121], v[176:177]
	s_waitcnt vmcnt(4)
	v_fma_f64 v[4:5], v[120:121], v[178:179], -v[4:5]
	v_fmac_f64_e32 v[190:191], v[122:123], v[178:179]
	v_add_f64 v[2:3], v[2:3], v[4:5]
	v_add_f64 v[188:189], v[188:189], v[190:191]
	s_waitcnt vmcnt(2)
	v_add_f64 v[2:3], v[184:185], -v[2:3]
	s_waitcnt vmcnt(0)
	v_add_f64 v[4:5], v[186:187], -v[188:189]
	buffer_store_dword v3, off, s[0:3], 0 offset:180
	buffer_store_dword v2, off, s[0:3], 0 offset:176
	;; [unrolled: 1-line block ×4, first 2 shown]
	s_and_saveexec_b64 s[6:7], vcc
	s_cbranch_execz .LBB24_143
; %bb.142:
	v_accvgpr_read_b32 v5, a16
	buffer_load_dword v2, v5, s[0:3], 0 offen
	buffer_load_dword v3, v5, s[0:3], 0 offen offset:4
	buffer_load_dword v4, v5, s[0:3], 0 offen offset:8
	s_nop 0
	buffer_load_dword v5, v5, s[0:3], 0 offen offset:12
	s_nop 0
	buffer_store_dword v24, off, s[0:3], 0 offset:160
	buffer_store_dword v24, off, s[0:3], 0 offset:164
	;; [unrolled: 1-line block ×4, first 2 shown]
	s_waitcnt vmcnt(4)
	ds_write_b128 v136, v[2:5]
.LBB24_143:
	s_or_b64 exec, exec, s[6:7]
	s_waitcnt lgkmcnt(0)
	; wave barrier
	s_waitcnt lgkmcnt(0)
	buffer_load_dword v2, off, s[0:3], 0 offset:176
	buffer_load_dword v3, off, s[0:3], 0 offset:180
	;; [unrolled: 1-line block ×60, first 2 shown]
	ds_read_b128 v[26:29], v24 offset:576
	ds_read_b128 v[30:33], v24 offset:592
	;; [unrolled: 1-line block ×8, first 2 shown]
	v_cmp_lt_u32_e32 vcc, 9, v171
	ds_read_b128 v[128:131], v24 offset:784
	s_waitcnt vmcnt(56) lgkmcnt(8)
	v_mul_f64 v[108:109], v[26:27], v[6:7]
	v_fmac_f64_e32 v[108:109], v[28:29], v[2:3]
	v_add_f64 v[108:109], v[108:109], 0
	v_mul_f64 v[6:7], v[28:29], v[6:7]
	s_waitcnt vmcnt(52) lgkmcnt(7)
	v_mul_f64 v[110:111], v[30:31], v[8:9]
	v_fmac_f64_e32 v[110:111], v[32:33], v[4:5]
	s_waitcnt vmcnt(50) lgkmcnt(6)
	v_mul_f64 v[112:113], v[84:85], v[10:11]
	v_add_f64 v[108:109], v[108:109], v[110:111]
	s_waitcnt vmcnt(48) lgkmcnt(4)
	v_mul_f64 v[116:117], v[92:93], v[12:13]
	v_fma_f64 v[2:3], v[26:27], v[2:3], -v[6:7]
	s_waitcnt vmcnt(46)
	v_fmac_f64_e32 v[116:117], v[94:95], v[14:15]
	v_mul_f64 v[6:7], v[32:33], v[8:9]
	s_waitcnt vmcnt(44)
	v_mul_f64 v[114:115], v[88:89], v[16:17]
	v_add_f64 v[2:3], v[2:3], 0
	v_fma_f64 v[4:5], v[30:31], v[4:5], -v[6:7]
	v_add_f64 v[2:3], v[2:3], v[4:5]
	s_waitcnt vmcnt(40) lgkmcnt(3)
	v_mul_f64 v[118:119], v[96:97], v[22:23]
	v_mul_f64 v[4:5], v[86:87], v[10:11]
	s_waitcnt vmcnt(38)
	v_fmac_f64_e32 v[112:113], v[86:87], v[132:133]
	v_add_f64 v[108:109], v[108:109], v[112:113]
	s_waitcnt vmcnt(36)
	v_fmac_f64_e32 v[114:115], v[90:91], v[134:135]
	v_add_f64 v[108:109], v[108:109], v[114:115]
	;; [unrolled: 3-line block ×3, first 2 shown]
	s_waitcnt vmcnt(32) lgkmcnt(2)
	v_mul_f64 v[110:111], v[100:101], v[18:19]
	v_add_f64 v[108:109], v[108:109], v[118:119]
	v_fmac_f64_e32 v[110:111], v[102:103], v[20:21]
	v_add_f64 v[112:113], v[108:109], v[110:111]
	ds_read_b128 v[108:111], v24 offset:704
	v_fma_f64 v[4:5], v[84:85], v[132:133], -v[4:5]
	v_add_f64 v[2:3], v[2:3], v[4:5]
	v_mul_f64 v[4:5], v[90:91], v[16:17]
	v_fma_f64 v[4:5], v[88:89], v[134:135], -v[4:5]
	s_waitcnt vmcnt(28) lgkmcnt(2)
	v_mul_f64 v[114:115], v[104:105], v[144:145]
	v_add_f64 v[2:3], v[2:3], v[4:5]
	v_mul_f64 v[4:5], v[94:95], v[12:13]
	s_waitcnt vmcnt(26)
	v_fmac_f64_e32 v[114:115], v[106:107], v[146:147]
	v_fma_f64 v[4:5], v[92:93], v[14:15], -v[4:5]
	v_add_f64 v[116:117], v[112:113], v[114:115]
	ds_read_b128 v[112:115], v24 offset:720
	s_waitcnt vmcnt(24) lgkmcnt(1)
	v_mul_f64 v[118:119], v[108:109], v[140:141]
	v_add_f64 v[2:3], v[2:3], v[4:5]
	v_mul_f64 v[4:5], v[98:99], v[22:23]
	v_fmac_f64_e32 v[118:119], v[110:111], v[142:143]
	v_fma_f64 v[4:5], v[96:97], v[138:139], -v[4:5]
	v_add_f64 v[120:121], v[116:117], v[118:119]
	ds_read_b128 v[116:119], v24 offset:736
	v_add_f64 v[2:3], v[2:3], v[4:5]
	v_mul_f64 v[4:5], v[102:103], v[18:19]
	v_fma_f64 v[4:5], v[100:101], v[20:21], -v[4:5]
	v_add_f64 v[2:3], v[2:3], v[4:5]
	v_mul_f64 v[4:5], v[106:107], v[144:145]
	s_waitcnt vmcnt(20) lgkmcnt(1)
	v_mul_f64 v[122:123], v[112:113], v[176:177]
	v_fma_f64 v[4:5], v[104:105], v[146:147], -v[4:5]
	s_waitcnt vmcnt(18)
	v_fmac_f64_e32 v[122:123], v[114:115], v[178:179]
	v_add_f64 v[2:3], v[2:3], v[4:5]
	v_mul_f64 v[4:5], v[110:111], v[140:141]
	v_add_f64 v[124:125], v[120:121], v[122:123]
	ds_read_b128 v[120:123], v24 offset:752
	s_waitcnt vmcnt(16) lgkmcnt(1)
	v_mul_f64 v[126:127], v[116:117], v[172:173]
	v_fma_f64 v[4:5], v[108:109], v[142:143], -v[4:5]
	v_fmac_f64_e32 v[126:127], v[118:119], v[174:175]
	v_add_f64 v[2:3], v[2:3], v[4:5]
	v_mul_f64 v[4:5], v[114:115], v[176:177]
	v_add_f64 v[196:197], v[124:125], v[126:127]
	ds_read_b128 v[124:127], v24 offset:768
	v_fma_f64 v[4:5], v[112:113], v[178:179], -v[4:5]
	v_add_f64 v[2:3], v[2:3], v[4:5]
	v_mul_f64 v[4:5], v[118:119], v[172:173]
	v_fma_f64 v[4:5], v[116:117], v[174:175], -v[4:5]
	v_add_f64 v[2:3], v[2:3], v[4:5]
	s_waitcnt vmcnt(12) lgkmcnt(1)
	v_mul_f64 v[4:5], v[122:123], v[184:185]
	v_mul_f64 v[198:199], v[120:121], v[184:185]
	s_waitcnt vmcnt(10)
	v_fma_f64 v[4:5], v[120:121], v[186:187], -v[4:5]
	v_fmac_f64_e32 v[198:199], v[122:123], v[186:187]
	v_add_f64 v[2:3], v[2:3], v[4:5]
	s_waitcnt vmcnt(8) lgkmcnt(0)
	v_mul_f64 v[4:5], v[126:127], v[180:181]
	v_add_f64 v[24:25], v[196:197], v[198:199]
	v_mul_f64 v[196:197], v[124:125], v[180:181]
	v_fma_f64 v[4:5], v[124:125], v[182:183], -v[4:5]
	v_fmac_f64_e32 v[196:197], v[126:127], v[182:183]
	v_add_f64 v[2:3], v[2:3], v[4:5]
	s_waitcnt vmcnt(6)
	v_mul_f64 v[4:5], v[130:131], v[188:189]
	v_add_f64 v[24:25], v[24:25], v[196:197]
	v_mul_f64 v[196:197], v[128:129], v[188:189]
	s_waitcnt vmcnt(4)
	v_fma_f64 v[4:5], v[128:129], v[190:191], -v[4:5]
	v_fmac_f64_e32 v[196:197], v[130:131], v[190:191]
	v_add_f64 v[2:3], v[2:3], v[4:5]
	v_add_f64 v[24:25], v[24:25], v[196:197]
	s_waitcnt vmcnt(2)
	v_add_f64 v[2:3], v[192:193], -v[2:3]
	s_waitcnt vmcnt(0)
	v_add_f64 v[4:5], v[194:195], -v[24:25]
	buffer_store_dword v3, off, s[0:3], 0 offset:164
	buffer_store_dword v2, off, s[0:3], 0 offset:160
	;; [unrolled: 1-line block ×4, first 2 shown]
	s_and_saveexec_b64 s[6:7], vcc
	s_cbranch_execz .LBB24_145
; %bb.144:
	v_accvgpr_read_b32 v5, a13
	buffer_load_dword v2, v5, s[0:3], 0 offen
	buffer_load_dword v3, v5, s[0:3], 0 offen offset:4
	buffer_load_dword v4, v5, s[0:3], 0 offen offset:8
	s_nop 0
	buffer_load_dword v5, v5, s[0:3], 0 offen offset:12
	v_mov_b32_e32 v6, 0
	buffer_store_dword v6, off, s[0:3], 0 offset:144
	buffer_store_dword v6, off, s[0:3], 0 offset:148
	;; [unrolled: 1-line block ×4, first 2 shown]
	s_waitcnt vmcnt(4)
	ds_write_b128 v136, v[2:5]
.LBB24_145:
	s_or_b64 exec, exec, s[6:7]
	s_waitcnt lgkmcnt(0)
	; wave barrier
	s_waitcnt lgkmcnt(0)
	buffer_load_dword v2, off, s[0:3], 0 offset:160
	buffer_load_dword v3, off, s[0:3], 0 offset:164
	;; [unrolled: 1-line block ×64, first 2 shown]
	v_mov_b32_e32 v88, 0
	ds_read_b128 v[30:33], v88 offset:560
	ds_read_b128 v[84:87], v88 offset:576
	;; [unrolled: 1-line block ×7, first 2 shown]
	v_cmp_lt_u32_e32 vcc, 8, v171
	s_waitcnt vmcnt(60) lgkmcnt(6)
	v_mul_f64 v[106:107], v[30:31], v[6:7]
	v_fmac_f64_e32 v[106:107], v[32:33], v[2:3]
	v_add_f64 v[106:107], v[106:107], 0
	v_mul_f64 v[6:7], v[32:33], v[6:7]
	s_waitcnt vmcnt(56) lgkmcnt(5)
	v_mul_f64 v[108:109], v[84:85], v[8:9]
	v_fmac_f64_e32 v[108:109], v[86:87], v[4:5]
	s_waitcnt vmcnt(54) lgkmcnt(4)
	v_mul_f64 v[110:111], v[90:91], v[10:11]
	v_add_f64 v[106:107], v[106:107], v[108:109]
	v_fma_f64 v[2:3], v[30:31], v[2:3], -v[6:7]
	v_mul_f64 v[6:7], v[86:87], v[8:9]
	s_waitcnt vmcnt(50) lgkmcnt(3)
	v_mul_f64 v[112:113], v[94:95], v[16:17]
	s_waitcnt vmcnt(49) lgkmcnt(2)
	v_mul_f64 v[114:115], v[98:99], v[12:13]
	v_add_f64 v[2:3], v[2:3], 0
	s_waitcnt vmcnt(47)
	v_fmac_f64_e32 v[110:111], v[92:93], v[20:21]
	v_add_f64 v[106:107], v[106:107], v[110:111]
	s_waitcnt vmcnt(45)
	v_fmac_f64_e32 v[112:113], v[96:97], v[18:19]
	;; [unrolled: 3-line block ×3, first 2 shown]
	v_add_f64 v[110:111], v[106:107], v[114:115]
	ds_read_b128 v[106:109], v88 offset:656
	s_waitcnt vmcnt(40) lgkmcnt(2)
	v_mul_f64 v[112:113], v[102:103], v[26:27]
	v_fma_f64 v[4:5], v[84:85], v[4:5], -v[6:7]
	s_waitcnt vmcnt(38)
	v_fmac_f64_e32 v[112:113], v[104:105], v[28:29]
	v_add_f64 v[114:115], v[110:111], v[112:113]
	ds_read_b128 v[110:113], v88 offset:672
	s_waitcnt vmcnt(36) lgkmcnt(1)
	v_mul_f64 v[116:117], v[106:107], v[22:23]
	v_fmac_f64_e32 v[116:117], v[108:109], v[24:25]
	v_add_f64 v[2:3], v[2:3], v[4:5]
	v_mul_f64 v[4:5], v[92:93], v[10:11]
	v_add_f64 v[118:119], v[114:115], v[116:117]
	ds_read_b128 v[114:117], v88 offset:688
	s_waitcnt vmcnt(32) lgkmcnt(1)
	v_mul_f64 v[120:121], v[110:111], v[172:173]
	v_fma_f64 v[4:5], v[90:91], v[20:21], -v[4:5]
	s_waitcnt vmcnt(30)
	v_fmac_f64_e32 v[120:121], v[112:113], v[174:175]
	v_add_f64 v[2:3], v[2:3], v[4:5]
	v_mul_f64 v[4:5], v[96:97], v[16:17]
	v_add_f64 v[122:123], v[118:119], v[120:121]
	ds_read_b128 v[118:121], v88 offset:704
	v_fma_f64 v[4:5], v[94:95], v[18:19], -v[4:5]
	v_add_f64 v[2:3], v[2:3], v[4:5]
	v_mul_f64 v[4:5], v[100:101], v[12:13]
	v_fma_f64 v[4:5], v[98:99], v[14:15], -v[4:5]
	s_waitcnt vmcnt(28) lgkmcnt(1)
	v_mul_f64 v[124:125], v[114:115], v[134:135]
	v_add_f64 v[2:3], v[2:3], v[4:5]
	v_mul_f64 v[4:5], v[104:105], v[26:27]
	v_fmac_f64_e32 v[124:125], v[116:117], v[146:147]
	v_fma_f64 v[4:5], v[102:103], v[28:29], -v[4:5]
	v_add_f64 v[126:127], v[122:123], v[124:125]
	ds_read_b128 v[122:125], v88 offset:720
	s_waitcnt vmcnt(24) lgkmcnt(1)
	v_mul_f64 v[128:129], v[118:119], v[180:181]
	v_add_f64 v[2:3], v[2:3], v[4:5]
	v_mul_f64 v[4:5], v[108:109], v[22:23]
	s_waitcnt vmcnt(22)
	v_fmac_f64_e32 v[128:129], v[120:121], v[182:183]
	v_fma_f64 v[4:5], v[106:107], v[24:25], -v[4:5]
	v_add_f64 v[130:131], v[126:127], v[128:129]
	ds_read_b128 v[126:129], v88 offset:736
	v_add_f64 v[2:3], v[2:3], v[4:5]
	v_mul_f64 v[4:5], v[112:113], v[172:173]
	v_fma_f64 v[4:5], v[110:111], v[174:175], -v[4:5]
	v_add_f64 v[2:3], v[2:3], v[4:5]
	v_mul_f64 v[4:5], v[116:117], v[134:135]
	s_waitcnt vmcnt(20) lgkmcnt(1)
	v_mul_f64 v[132:133], v[122:123], v[176:177]
	v_fma_f64 v[4:5], v[114:115], v[146:147], -v[4:5]
	v_fmac_f64_e32 v[132:133], v[124:125], v[178:179]
	v_add_f64 v[2:3], v[2:3], v[4:5]
	v_mul_f64 v[4:5], v[120:121], v[180:181]
	v_add_f64 v[138:139], v[130:131], v[132:133]
	ds_read_b128 v[130:133], v88 offset:752
	s_waitcnt vmcnt(16) lgkmcnt(1)
	v_mul_f64 v[140:141], v[126:127], v[188:189]
	v_fma_f64 v[4:5], v[118:119], v[182:183], -v[4:5]
	s_waitcnt vmcnt(14)
	v_fmac_f64_e32 v[140:141], v[128:129], v[190:191]
	v_add_f64 v[2:3], v[2:3], v[4:5]
	v_mul_f64 v[4:5], v[124:125], v[176:177]
	v_add_f64 v[204:205], v[138:139], v[140:141]
	ds_read_b128 v[138:141], v88 offset:768
	v_fma_f64 v[4:5], v[122:123], v[178:179], -v[4:5]
	v_add_f64 v[2:3], v[2:3], v[4:5]
	v_mul_f64 v[4:5], v[128:129], v[188:189]
	v_fma_f64 v[4:5], v[126:127], v[190:191], -v[4:5]
	v_add_f64 v[2:3], v[2:3], v[4:5]
	s_waitcnt vmcnt(12) lgkmcnt(1)
	v_mul_f64 v[4:5], v[132:133], v[184:185]
	v_mul_f64 v[206:207], v[130:131], v[184:185]
	v_fma_f64 v[4:5], v[130:131], v[186:187], -v[4:5]
	v_fmac_f64_e32 v[206:207], v[132:133], v[186:187]
	v_add_f64 v[2:3], v[2:3], v[4:5]
	s_waitcnt vmcnt(8) lgkmcnt(0)
	v_mul_f64 v[4:5], v[140:141], v[196:197]
	v_add_f64 v[204:205], v[204:205], v[206:207]
	v_mul_f64 v[206:207], v[138:139], v[196:197]
	s_waitcnt vmcnt(6)
	v_fma_f64 v[4:5], v[138:139], v[198:199], -v[4:5]
	v_fmac_f64_e32 v[206:207], v[140:141], v[198:199]
	v_add_f64 v[2:3], v[2:3], v[4:5]
	s_waitcnt vmcnt(5)
	v_mul_f64 v[4:5], v[144:145], v[192:193]
	v_add_f64 v[204:205], v[204:205], v[206:207]
	v_mul_f64 v[206:207], v[142:143], v[192:193]
	s_waitcnt vmcnt(4)
	v_fma_f64 v[4:5], v[142:143], v[194:195], -v[4:5]
	v_fmac_f64_e32 v[206:207], v[144:145], v[194:195]
	v_add_f64 v[2:3], v[2:3], v[4:5]
	v_add_f64 v[204:205], v[204:205], v[206:207]
	s_waitcnt vmcnt(2)
	v_add_f64 v[2:3], v[200:201], -v[2:3]
	s_waitcnt vmcnt(0)
	v_add_f64 v[4:5], v[202:203], -v[204:205]
	buffer_store_dword v3, off, s[0:3], 0 offset:148
	buffer_store_dword v2, off, s[0:3], 0 offset:144
	;; [unrolled: 1-line block ×4, first 2 shown]
	s_and_saveexec_b64 s[6:7], vcc
	s_cbranch_execz .LBB24_147
; %bb.146:
	v_accvgpr_read_b32 v5, a15
	buffer_load_dword v2, v5, s[0:3], 0 offen
	buffer_load_dword v3, v5, s[0:3], 0 offen offset:4
	buffer_load_dword v4, v5, s[0:3], 0 offen offset:8
	s_nop 0
	buffer_load_dword v5, v5, s[0:3], 0 offen offset:12
	s_nop 0
	buffer_store_dword v88, off, s[0:3], 0 offset:128
	buffer_store_dword v88, off, s[0:3], 0 offset:132
	;; [unrolled: 1-line block ×4, first 2 shown]
	s_waitcnt vmcnt(4)
	ds_write_b128 v136, v[2:5]
.LBB24_147:
	s_or_b64 exec, exec, s[6:7]
	s_waitcnt lgkmcnt(0)
	; wave barrier
	s_waitcnt lgkmcnt(0)
	buffer_load_dword v2, off, s[0:3], 0 offset:144
	buffer_load_dword v3, off, s[0:3], 0 offset:148
	;; [unrolled: 1-line block ×64, first 2 shown]
	ds_read_b128 v[90:93], v88 offset:544
	ds_read_b128 v[94:97], v88 offset:560
	;; [unrolled: 1-line block ×4, first 2 shown]
	buffer_load_dword v208, off, s[0:3], 0 offset:128
	buffer_load_dword v209, off, s[0:3], 0 offset:132
	;; [unrolled: 1-line block ×4, first 2 shown]
	v_cmp_lt_u32_e32 vcc, 7, v171
	ds_read_b128 v[180:183], v88 offset:784
	s_waitcnt vmcnt(62) lgkmcnt(4)
	v_mul_f64 v[106:107], v[90:91], v[4:5]
	v_fmac_f64_e32 v[106:107], v[92:93], v[2:3]
	s_waitcnt lgkmcnt(3)
	v_mul_f64 v[108:109], v[94:95], v[6:7]
	v_add_f64 v[106:107], v[106:107], 0
	s_waitcnt vmcnt(60) lgkmcnt(2)
	v_mul_f64 v[110:111], v[98:99], v[8:9]
	v_mul_f64 v[4:5], v[92:93], v[4:5]
	v_fma_f64 v[2:3], v[90:91], v[2:3], -v[4:5]
	v_mul_f64 v[4:5], v[96:97], v[6:7]
	s_waitcnt vmcnt(56) lgkmcnt(1)
	v_mul_f64 v[112:113], v[102:103], v[14:15]
	v_add_f64 v[2:3], v[2:3], 0
	s_waitcnt vmcnt(54)
	v_fmac_f64_e32 v[108:109], v[96:97], v[20:21]
	v_add_f64 v[114:115], v[106:107], v[108:109]
	ds_read_b128 v[106:109], v88 offset:608
	s_waitcnt vmcnt(52)
	v_fmac_f64_e32 v[110:111], v[100:101], v[18:19]
	v_add_f64 v[110:111], v[114:115], v[110:111]
	s_waitcnt vmcnt(50)
	v_fmac_f64_e32 v[112:113], v[104:105], v[16:17]
	v_add_f64 v[114:115], v[110:111], v[112:113]
	ds_read_b128 v[110:113], v88 offset:624
	s_waitcnt vmcnt(48) lgkmcnt(1)
	v_mul_f64 v[116:117], v[106:107], v[10:11]
	v_fmac_f64_e32 v[116:117], v[108:109], v[12:13]
	v_add_f64 v[118:119], v[114:115], v[116:117]
	ds_read_b128 v[114:117], v88 offset:640
	s_waitcnt vmcnt(44) lgkmcnt(1)
	v_mul_f64 v[120:121], v[110:111], v[26:27]
	s_waitcnt vmcnt(42)
	v_fmac_f64_e32 v[120:121], v[112:113], v[28:29]
	v_add_f64 v[122:123], v[118:119], v[120:121]
	ds_read_b128 v[118:121], v88 offset:656
	s_waitcnt vmcnt(40) lgkmcnt(1)
	v_mul_f64 v[124:125], v[114:115], v[22:23]
	v_fmac_f64_e32 v[124:125], v[116:117], v[24:25]
	v_add_f64 v[126:127], v[122:123], v[124:125]
	ds_read_b128 v[122:125], v88 offset:672
	v_fma_f64 v[4:5], v[94:95], v[20:21], -v[4:5]
	v_add_f64 v[2:3], v[2:3], v[4:5]
	v_mul_f64 v[4:5], v[100:101], v[8:9]
	s_waitcnt vmcnt(36) lgkmcnt(1)
	v_mul_f64 v[128:129], v[118:119], v[84:85]
	v_fma_f64 v[4:5], v[98:99], v[18:19], -v[4:5]
	s_waitcnt vmcnt(34)
	v_fmac_f64_e32 v[128:129], v[120:121], v[86:87]
	v_add_f64 v[2:3], v[2:3], v[4:5]
	v_mul_f64 v[4:5], v[104:105], v[14:15]
	v_add_f64 v[130:131], v[126:127], v[128:129]
	ds_read_b128 v[126:129], v88 offset:688
	s_waitcnt vmcnt(32) lgkmcnt(1)
	v_mul_f64 v[132:133], v[122:123], v[30:31]
	v_fma_f64 v[4:5], v[102:103], v[16:17], -v[4:5]
	v_fmac_f64_e32 v[132:133], v[124:125], v[32:33]
	v_add_f64 v[2:3], v[2:3], v[4:5]
	v_mul_f64 v[4:5], v[108:109], v[10:11]
	v_add_f64 v[138:139], v[130:131], v[132:133]
	ds_read_b128 v[130:133], v88 offset:704
	v_fma_f64 v[4:5], v[106:107], v[12:13], -v[4:5]
	v_add_f64 v[2:3], v[2:3], v[4:5]
	v_mul_f64 v[4:5], v[112:113], v[26:27]
	v_fma_f64 v[4:5], v[110:111], v[28:29], -v[4:5]
	s_waitcnt vmcnt(28) lgkmcnt(1)
	v_mul_f64 v[140:141], v[126:127], v[184:185]
	v_add_f64 v[2:3], v[2:3], v[4:5]
	v_mul_f64 v[4:5], v[116:117], v[22:23]
	s_waitcnt vmcnt(26)
	v_fmac_f64_e32 v[140:141], v[128:129], v[186:187]
	v_fma_f64 v[4:5], v[114:115], v[24:25], -v[4:5]
	v_add_f64 v[142:143], v[138:139], v[140:141]
	ds_read_b128 v[138:141], v88 offset:720
	s_waitcnt vmcnt(24) lgkmcnt(1)
	v_mul_f64 v[144:145], v[130:131], v[134:135]
	v_add_f64 v[2:3], v[2:3], v[4:5]
	v_mul_f64 v[4:5], v[120:121], v[84:85]
	v_fmac_f64_e32 v[144:145], v[132:133], v[146:147]
	v_fma_f64 v[4:5], v[118:119], v[86:87], -v[4:5]
	v_add_f64 v[172:173], v[142:143], v[144:145]
	ds_read_b128 v[142:145], v88 offset:736
	v_add_f64 v[2:3], v[2:3], v[4:5]
	v_mul_f64 v[4:5], v[124:125], v[30:31]
	v_fma_f64 v[4:5], v[122:123], v[32:33], -v[4:5]
	v_add_f64 v[2:3], v[2:3], v[4:5]
	v_mul_f64 v[4:5], v[128:129], v[184:185]
	s_waitcnt vmcnt(20) lgkmcnt(1)
	v_mul_f64 v[174:175], v[138:139], v[192:193]
	v_fma_f64 v[4:5], v[126:127], v[186:187], -v[4:5]
	s_waitcnt vmcnt(18)
	v_fmac_f64_e32 v[174:175], v[140:141], v[194:195]
	v_add_f64 v[2:3], v[2:3], v[4:5]
	v_mul_f64 v[4:5], v[132:133], v[134:135]
	v_add_f64 v[176:177], v[172:173], v[174:175]
	ds_read_b128 v[172:175], v88 offset:752
	s_waitcnt vmcnt(16) lgkmcnt(1)
	v_mul_f64 v[178:179], v[142:143], v[188:189]
	v_fma_f64 v[4:5], v[130:131], v[146:147], -v[4:5]
	v_fmac_f64_e32 v[178:179], v[144:145], v[190:191]
	v_add_f64 v[2:3], v[2:3], v[4:5]
	v_mul_f64 v[4:5], v[140:141], v[192:193]
	v_add_f64 v[212:213], v[176:177], v[178:179]
	ds_read_b128 v[176:179], v88 offset:768
	v_fma_f64 v[4:5], v[138:139], v[194:195], -v[4:5]
	v_add_f64 v[2:3], v[2:3], v[4:5]
	v_mul_f64 v[4:5], v[144:145], v[188:189]
	v_fma_f64 v[4:5], v[142:143], v[190:191], -v[4:5]
	v_add_f64 v[2:3], v[2:3], v[4:5]
	s_waitcnt vmcnt(12) lgkmcnt(1)
	v_mul_f64 v[4:5], v[174:175], v[200:201]
	v_mul_f64 v[214:215], v[172:173], v[200:201]
	s_waitcnt vmcnt(10)
	v_fma_f64 v[4:5], v[172:173], v[202:203], -v[4:5]
	v_fmac_f64_e32 v[214:215], v[174:175], v[202:203]
	v_add_f64 v[2:3], v[2:3], v[4:5]
	s_waitcnt vmcnt(8) lgkmcnt(0)
	v_mul_f64 v[4:5], v[178:179], v[196:197]
	v_add_f64 v[88:89], v[212:213], v[214:215]
	v_mul_f64 v[212:213], v[176:177], v[196:197]
	v_fma_f64 v[4:5], v[176:177], v[198:199], -v[4:5]
	v_fmac_f64_e32 v[212:213], v[178:179], v[198:199]
	v_add_f64 v[2:3], v[2:3], v[4:5]
	s_waitcnt vmcnt(6)
	v_mul_f64 v[4:5], v[182:183], v[204:205]
	v_add_f64 v[88:89], v[88:89], v[212:213]
	v_mul_f64 v[212:213], v[180:181], v[204:205]
	s_waitcnt vmcnt(4)
	v_fma_f64 v[4:5], v[180:181], v[206:207], -v[4:5]
	v_fmac_f64_e32 v[212:213], v[182:183], v[206:207]
	v_add_f64 v[2:3], v[2:3], v[4:5]
	v_add_f64 v[88:89], v[88:89], v[212:213]
	s_waitcnt vmcnt(2)
	v_add_f64 v[2:3], v[208:209], -v[2:3]
	s_waitcnt vmcnt(0)
	v_add_f64 v[4:5], v[210:211], -v[88:89]
	buffer_store_dword v3, off, s[0:3], 0 offset:132
	buffer_store_dword v2, off, s[0:3], 0 offset:128
	;; [unrolled: 1-line block ×4, first 2 shown]
	s_and_saveexec_b64 s[6:7], vcc
	s_cbranch_execz .LBB24_149
; %bb.148:
	v_accvgpr_read_b32 v5, a20
	buffer_load_dword v2, v5, s[0:3], 0 offen
	buffer_load_dword v3, v5, s[0:3], 0 offen offset:4
	buffer_load_dword v4, v5, s[0:3], 0 offen offset:8
	s_nop 0
	buffer_load_dword v5, v5, s[0:3], 0 offen offset:12
	v_mov_b32_e32 v6, 0
	buffer_store_dword v6, off, s[0:3], 0 offset:112
	buffer_store_dword v6, off, s[0:3], 0 offset:116
	;; [unrolled: 1-line block ×4, first 2 shown]
	s_waitcnt vmcnt(4)
	ds_write_b128 v136, v[2:5]
.LBB24_149:
	s_or_b64 exec, exec, s[6:7]
	s_waitcnt lgkmcnt(0)
	; wave barrier
	s_waitcnt lgkmcnt(0)
	buffer_load_dword v2, off, s[0:3], 0 offset:128
	buffer_load_dword v3, off, s[0:3], 0 offset:132
	;; [unrolled: 1-line block ×68, first 2 shown]
	v_mov_b32_e32 v96, 0
	ds_read_b128 v[92:95], v96 offset:528
	ds_read_b128 v[98:101], v96 offset:544
	buffer_load_dword v216, off, s[0:3], 0 offset:112
	buffer_load_dword v217, off, s[0:3], 0 offset:116
	;; [unrolled: 1-line block ×4, first 2 shown]
	ds_read_b128 v[102:105], v96 offset:560
	ds_read_b128 v[106:109], v96 offset:576
	;; [unrolled: 1-line block ×3, first 2 shown]
	v_cmp_lt_u32_e32 vcc, 6, v171
	s_waitcnt vmcnt(62) lgkmcnt(4)
	v_mul_f64 v[110:111], v[92:93], v[8:9]
	v_fmac_f64_e32 v[110:111], v[94:95], v[2:3]
	v_add_f64 v[110:111], v[110:111], 0
	v_mul_f64 v[8:9], v[94:95], v[8:9]
	s_waitcnt lgkmcnt(3)
	v_mul_f64 v[112:113], v[98:99], v[10:11]
	v_fmac_f64_e32 v[112:113], v[100:101], v[4:5]
	v_add_f64 v[110:111], v[110:111], v[112:113]
	v_fma_f64 v[2:3], v[92:93], v[2:3], -v[8:9]
	s_waitcnt vmcnt(60) lgkmcnt(2)
	v_mul_f64 v[112:113], v[102:103], v[12:13]
	v_fmac_f64_e32 v[112:113], v[104:105], v[6:7]
	v_add_f64 v[114:115], v[110:111], v[112:113]
	ds_read_b128 v[110:113], v96 offset:592
	s_waitcnt vmcnt(56) lgkmcnt(2)
	v_mul_f64 v[116:117], v[106:107], v[18:19]
	v_mul_f64 v[8:9], v[100:101], v[10:11]
	s_waitcnt vmcnt(54)
	v_fmac_f64_e32 v[116:117], v[108:109], v[20:21]
	v_add_f64 v[118:119], v[114:115], v[116:117]
	ds_read_b128 v[114:117], v96 offset:608
	s_waitcnt vmcnt(52) lgkmcnt(1)
	v_mul_f64 v[120:121], v[110:111], v[14:15]
	v_fmac_f64_e32 v[120:121], v[112:113], v[16:17]
	v_add_f64 v[122:123], v[118:119], v[120:121]
	ds_read_b128 v[118:121], v96 offset:624
	s_waitcnt vmcnt(48) lgkmcnt(1)
	v_mul_f64 v[124:125], v[114:115], v[26:27]
	s_waitcnt vmcnt(46)
	v_fmac_f64_e32 v[124:125], v[116:117], v[28:29]
	v_add_f64 v[126:127], v[122:123], v[124:125]
	ds_read_b128 v[122:125], v96 offset:640
	s_waitcnt vmcnt(44) lgkmcnt(1)
	v_mul_f64 v[128:129], v[118:119], v[22:23]
	v_fmac_f64_e32 v[128:129], v[120:121], v[24:25]
	v_add_f64 v[130:131], v[126:127], v[128:129]
	ds_read_b128 v[126:129], v96 offset:656
	s_waitcnt vmcnt(40) lgkmcnt(1)
	v_mul_f64 v[132:133], v[122:123], v[84:85]
	s_waitcnt vmcnt(38)
	v_fmac_f64_e32 v[132:133], v[124:125], v[86:87]
	v_add_f64 v[2:3], v[2:3], 0
	v_fma_f64 v[4:5], v[98:99], v[4:5], -v[8:9]
	v_add_f64 v[138:139], v[130:131], v[132:133]
	ds_read_b128 v[130:133], v96 offset:672
	v_add_f64 v[2:3], v[2:3], v[4:5]
	v_mul_f64 v[4:5], v[104:105], v[12:13]
	v_fma_f64 v[4:5], v[102:103], v[6:7], -v[4:5]
	v_add_f64 v[2:3], v[2:3], v[4:5]
	v_mul_f64 v[4:5], v[108:109], v[18:19]
	s_waitcnt vmcnt(36) lgkmcnt(1)
	v_mul_f64 v[140:141], v[126:127], v[30:31]
	v_fma_f64 v[4:5], v[106:107], v[20:21], -v[4:5]
	v_fmac_f64_e32 v[140:141], v[128:129], v[32:33]
	v_add_f64 v[2:3], v[2:3], v[4:5]
	v_mul_f64 v[4:5], v[112:113], v[14:15]
	v_add_f64 v[142:143], v[138:139], v[140:141]
	ds_read_b128 v[138:141], v96 offset:688
	s_waitcnt vmcnt(32) lgkmcnt(1)
	v_mul_f64 v[144:145], v[130:131], v[134:135]
	v_fma_f64 v[4:5], v[110:111], v[16:17], -v[4:5]
	s_waitcnt vmcnt(30)
	v_fmac_f64_e32 v[144:145], v[132:133], v[146:147]
	v_add_f64 v[2:3], v[2:3], v[4:5]
	v_mul_f64 v[4:5], v[116:117], v[26:27]
	v_add_f64 v[172:173], v[142:143], v[144:145]
	ds_read_b128 v[142:145], v96 offset:704
	v_fma_f64 v[4:5], v[114:115], v[28:29], -v[4:5]
	v_add_f64 v[2:3], v[2:3], v[4:5]
	v_mul_f64 v[4:5], v[120:121], v[22:23]
	v_fma_f64 v[4:5], v[118:119], v[24:25], -v[4:5]
	s_waitcnt vmcnt(28) lgkmcnt(1)
	v_mul_f64 v[174:175], v[138:139], v[88:89]
	v_add_f64 v[2:3], v[2:3], v[4:5]
	v_mul_f64 v[4:5], v[124:125], v[84:85]
	v_fmac_f64_e32 v[174:175], v[140:141], v[90:91]
	v_fma_f64 v[4:5], v[122:123], v[86:87], -v[4:5]
	v_add_f64 v[176:177], v[172:173], v[174:175]
	ds_read_b128 v[172:175], v96 offset:720
	s_waitcnt vmcnt(24) lgkmcnt(1)
	v_mul_f64 v[178:179], v[142:143], v[196:197]
	v_add_f64 v[2:3], v[2:3], v[4:5]
	v_mul_f64 v[4:5], v[128:129], v[30:31]
	s_waitcnt vmcnt(22)
	v_fmac_f64_e32 v[178:179], v[144:145], v[198:199]
	v_fma_f64 v[4:5], v[126:127], v[32:33], -v[4:5]
	v_add_f64 v[180:181], v[176:177], v[178:179]
	ds_read_b128 v[176:179], v96 offset:736
	v_add_f64 v[2:3], v[2:3], v[4:5]
	v_mul_f64 v[4:5], v[132:133], v[134:135]
	v_fma_f64 v[4:5], v[130:131], v[146:147], -v[4:5]
	v_add_f64 v[2:3], v[2:3], v[4:5]
	v_mul_f64 v[4:5], v[140:141], v[88:89]
	s_waitcnt vmcnt(20) lgkmcnt(1)
	v_mul_f64 v[182:183], v[172:173], v[192:193]
	v_fma_f64 v[4:5], v[138:139], v[90:91], -v[4:5]
	v_fmac_f64_e32 v[182:183], v[174:175], v[194:195]
	v_add_f64 v[2:3], v[2:3], v[4:5]
	v_mul_f64 v[4:5], v[144:145], v[196:197]
	v_add_f64 v[184:185], v[180:181], v[182:183]
	ds_read_b128 v[180:183], v96 offset:752
	s_waitcnt vmcnt(16) lgkmcnt(1)
	v_mul_f64 v[186:187], v[176:177], v[204:205]
	v_fma_f64 v[4:5], v[142:143], v[198:199], -v[4:5]
	s_waitcnt vmcnt(14)
	v_fmac_f64_e32 v[186:187], v[178:179], v[206:207]
	v_add_f64 v[2:3], v[2:3], v[4:5]
	v_mul_f64 v[4:5], v[174:175], v[192:193]
	v_add_f64 v[220:221], v[184:185], v[186:187]
	ds_read_b128 v[184:187], v96 offset:768
	v_fma_f64 v[4:5], v[172:173], v[194:195], -v[4:5]
	v_add_f64 v[2:3], v[2:3], v[4:5]
	v_mul_f64 v[4:5], v[178:179], v[204:205]
	v_fma_f64 v[4:5], v[176:177], v[206:207], -v[4:5]
	v_add_f64 v[2:3], v[2:3], v[4:5]
	s_waitcnt vmcnt(12) lgkmcnt(1)
	v_mul_f64 v[4:5], v[182:183], v[200:201]
	v_mul_f64 v[222:223], v[180:181], v[200:201]
	v_fma_f64 v[4:5], v[180:181], v[202:203], -v[4:5]
	v_fmac_f64_e32 v[222:223], v[182:183], v[202:203]
	v_add_f64 v[2:3], v[2:3], v[4:5]
	s_waitcnt vmcnt(8) lgkmcnt(0)
	v_mul_f64 v[4:5], v[186:187], v[212:213]
	v_add_f64 v[220:221], v[220:221], v[222:223]
	v_mul_f64 v[222:223], v[184:185], v[212:213]
	s_waitcnt vmcnt(6)
	v_fma_f64 v[4:5], v[184:185], v[214:215], -v[4:5]
	v_fmac_f64_e32 v[222:223], v[186:187], v[214:215]
	v_add_f64 v[2:3], v[2:3], v[4:5]
	s_waitcnt vmcnt(5)
	v_mul_f64 v[4:5], v[190:191], v[208:209]
	v_add_f64 v[220:221], v[220:221], v[222:223]
	v_mul_f64 v[222:223], v[188:189], v[208:209]
	s_waitcnt vmcnt(4)
	v_fma_f64 v[4:5], v[188:189], v[210:211], -v[4:5]
	v_fmac_f64_e32 v[222:223], v[190:191], v[210:211]
	v_add_f64 v[2:3], v[2:3], v[4:5]
	v_add_f64 v[220:221], v[220:221], v[222:223]
	s_waitcnt vmcnt(2)
	v_add_f64 v[2:3], v[216:217], -v[2:3]
	s_waitcnt vmcnt(0)
	v_add_f64 v[4:5], v[218:219], -v[220:221]
	buffer_store_dword v3, off, s[0:3], 0 offset:116
	buffer_store_dword v2, off, s[0:3], 0 offset:112
	;; [unrolled: 1-line block ×4, first 2 shown]
	s_and_saveexec_b64 s[6:7], vcc
	s_cbranch_execz .LBB24_151
; %bb.150:
	v_accvgpr_read_b32 v5, a18
	buffer_load_dword v2, v5, s[0:3], 0 offen
	buffer_load_dword v3, v5, s[0:3], 0 offen offset:4
	buffer_load_dword v4, v5, s[0:3], 0 offen offset:8
	s_nop 0
	buffer_load_dword v5, v5, s[0:3], 0 offen offset:12
	s_nop 0
	buffer_store_dword v96, off, s[0:3], 0 offset:96
	buffer_store_dword v96, off, s[0:3], 0 offset:100
	;; [unrolled: 1-line block ×4, first 2 shown]
	s_waitcnt vmcnt(4)
	ds_write_b128 v136, v[2:5]
.LBB24_151:
	s_or_b64 exec, exec, s[6:7]
	s_waitcnt lgkmcnt(0)
	; wave barrier
	s_waitcnt lgkmcnt(0)
	buffer_load_dword v2, off, s[0:3], 0 offset:112
	buffer_load_dword v3, off, s[0:3], 0 offset:116
	;; [unrolled: 1-line block ×72, first 2 shown]
	ds_read_b128 v[98:101], v96 offset:512
	buffer_load_dword v224, off, s[0:3], 0 offset:96
	buffer_load_dword v225, off, s[0:3], 0 offset:100
	;; [unrolled: 1-line block ×4, first 2 shown]
	ds_read_b128 v[102:105], v96 offset:528
	ds_read_b128 v[106:109], v96 offset:544
	;; [unrolled: 1-line block ×3, first 2 shown]
	v_cmp_lt_u32_e32 vcc, 5, v171
	ds_read_b128 v[196:199], v96 offset:784
	s_waitcnt vmcnt(62) lgkmcnt(4)
	v_mul_f64 v[114:115], v[98:99], v[8:9]
	v_fmac_f64_e32 v[114:115], v[100:101], v[2:3]
	v_add_f64 v[114:115], v[114:115], 0
	v_mul_f64 v[8:9], v[100:101], v[8:9]
	s_waitcnt lgkmcnt(3)
	v_mul_f64 v[116:117], v[102:103], v[10:11]
	v_fmac_f64_e32 v[116:117], v[104:105], v[4:5]
	v_add_f64 v[114:115], v[114:115], v[116:117]
	v_fma_f64 v[2:3], v[98:99], v[2:3], -v[8:9]
	s_waitcnt lgkmcnt(2)
	v_mul_f64 v[116:117], v[106:107], v[12:13]
	v_fmac_f64_e32 v[116:117], v[108:109], v[6:7]
	v_add_f64 v[118:119], v[114:115], v[116:117]
	ds_read_b128 v[114:117], v96 offset:576
	s_waitcnt vmcnt(60) lgkmcnt(2)
	v_mul_f64 v[120:121], v[110:111], v[18:19]
	v_mul_f64 v[8:9], v[104:105], v[10:11]
	s_waitcnt vmcnt(58)
	v_fmac_f64_e32 v[120:121], v[112:113], v[20:21]
	v_add_f64 v[122:123], v[118:119], v[120:121]
	ds_read_b128 v[118:121], v96 offset:592
	s_waitcnt vmcnt(56) lgkmcnt(1)
	v_mul_f64 v[124:125], v[114:115], v[14:15]
	v_fmac_f64_e32 v[124:125], v[116:117], v[16:17]
	v_add_f64 v[126:127], v[122:123], v[124:125]
	ds_read_b128 v[122:125], v96 offset:608
	s_waitcnt vmcnt(52) lgkmcnt(1)
	v_mul_f64 v[128:129], v[118:119], v[26:27]
	s_waitcnt vmcnt(50)
	v_fmac_f64_e32 v[128:129], v[120:121], v[28:29]
	v_add_f64 v[130:131], v[126:127], v[128:129]
	ds_read_b128 v[126:129], v96 offset:624
	s_waitcnt vmcnt(48) lgkmcnt(1)
	v_mul_f64 v[132:133], v[122:123], v[22:23]
	v_fmac_f64_e32 v[132:133], v[124:125], v[24:25]
	v_add_f64 v[138:139], v[130:131], v[132:133]
	ds_read_b128 v[130:133], v96 offset:640
	s_waitcnt vmcnt(44) lgkmcnt(1)
	v_mul_f64 v[140:141], v[126:127], v[84:85]
	s_waitcnt vmcnt(42)
	v_fmac_f64_e32 v[140:141], v[128:129], v[86:87]
	v_add_f64 v[2:3], v[2:3], 0
	v_fma_f64 v[4:5], v[102:103], v[4:5], -v[8:9]
	v_add_f64 v[142:143], v[138:139], v[140:141]
	ds_read_b128 v[138:141], v96 offset:656
	s_waitcnt vmcnt(40) lgkmcnt(1)
	v_mul_f64 v[144:145], v[130:131], v[30:31]
	v_add_f64 v[2:3], v[2:3], v[4:5]
	v_mul_f64 v[4:5], v[108:109], v[12:13]
	v_fmac_f64_e32 v[144:145], v[132:133], v[32:33]
	v_fma_f64 v[4:5], v[106:107], v[6:7], -v[4:5]
	v_add_f64 v[172:173], v[142:143], v[144:145]
	ds_read_b128 v[142:145], v96 offset:672
	v_add_f64 v[2:3], v[2:3], v[4:5]
	v_mul_f64 v[4:5], v[112:113], v[18:19]
	v_fma_f64 v[4:5], v[110:111], v[20:21], -v[4:5]
	v_add_f64 v[2:3], v[2:3], v[4:5]
	v_mul_f64 v[4:5], v[116:117], v[14:15]
	s_waitcnt vmcnt(36) lgkmcnt(1)
	v_mul_f64 v[174:175], v[138:139], v[92:93]
	v_fma_f64 v[4:5], v[114:115], v[16:17], -v[4:5]
	s_waitcnt vmcnt(34)
	v_fmac_f64_e32 v[174:175], v[140:141], v[94:95]
	v_add_f64 v[2:3], v[2:3], v[4:5]
	v_mul_f64 v[4:5], v[120:121], v[26:27]
	v_add_f64 v[176:177], v[172:173], v[174:175]
	ds_read_b128 v[172:175], v96 offset:688
	s_waitcnt vmcnt(32) lgkmcnt(1)
	v_mul_f64 v[178:179], v[142:143], v[88:89]
	v_fma_f64 v[4:5], v[118:119], v[28:29], -v[4:5]
	v_fmac_f64_e32 v[178:179], v[144:145], v[90:91]
	v_add_f64 v[2:3], v[2:3], v[4:5]
	v_mul_f64 v[4:5], v[124:125], v[22:23]
	v_add_f64 v[180:181], v[176:177], v[178:179]
	ds_read_b128 v[176:179], v96 offset:704
	v_fma_f64 v[4:5], v[122:123], v[24:25], -v[4:5]
	v_add_f64 v[2:3], v[2:3], v[4:5]
	v_mul_f64 v[4:5], v[128:129], v[84:85]
	v_fma_f64 v[4:5], v[126:127], v[86:87], -v[4:5]
	s_waitcnt vmcnt(28) lgkmcnt(1)
	v_mul_f64 v[182:183], v[172:173], v[200:201]
	v_add_f64 v[2:3], v[2:3], v[4:5]
	v_mul_f64 v[4:5], v[132:133], v[30:31]
	s_waitcnt vmcnt(26)
	v_fmac_f64_e32 v[182:183], v[174:175], v[202:203]
	v_fma_f64 v[4:5], v[130:131], v[32:33], -v[4:5]
	v_add_f64 v[184:185], v[180:181], v[182:183]
	ds_read_b128 v[180:183], v96 offset:720
	s_waitcnt vmcnt(24) lgkmcnt(1)
	v_mul_f64 v[186:187], v[176:177], v[134:135]
	v_add_f64 v[2:3], v[2:3], v[4:5]
	v_mul_f64 v[4:5], v[140:141], v[92:93]
	v_fmac_f64_e32 v[186:187], v[178:179], v[146:147]
	v_fma_f64 v[4:5], v[138:139], v[94:95], -v[4:5]
	v_add_f64 v[188:189], v[184:185], v[186:187]
	ds_read_b128 v[184:187], v96 offset:736
	v_add_f64 v[2:3], v[2:3], v[4:5]
	v_mul_f64 v[4:5], v[144:145], v[88:89]
	v_fma_f64 v[4:5], v[142:143], v[90:91], -v[4:5]
	v_add_f64 v[2:3], v[2:3], v[4:5]
	v_mul_f64 v[4:5], v[174:175], v[200:201]
	s_waitcnt vmcnt(20) lgkmcnt(1)
	v_mul_f64 v[190:191], v[180:181], v[208:209]
	v_fma_f64 v[4:5], v[172:173], v[202:203], -v[4:5]
	s_waitcnt vmcnt(18)
	v_fmac_f64_e32 v[190:191], v[182:183], v[210:211]
	v_add_f64 v[2:3], v[2:3], v[4:5]
	v_mul_f64 v[4:5], v[178:179], v[134:135]
	v_add_f64 v[192:193], v[188:189], v[190:191]
	ds_read_b128 v[188:191], v96 offset:752
	s_waitcnt vmcnt(16) lgkmcnt(1)
	v_mul_f64 v[194:195], v[184:185], v[204:205]
	v_fma_f64 v[4:5], v[176:177], v[146:147], -v[4:5]
	v_fmac_f64_e32 v[194:195], v[186:187], v[206:207]
	v_add_f64 v[2:3], v[2:3], v[4:5]
	v_mul_f64 v[4:5], v[182:183], v[208:209]
	v_add_f64 v[228:229], v[192:193], v[194:195]
	ds_read_b128 v[192:195], v96 offset:768
	v_fma_f64 v[4:5], v[180:181], v[210:211], -v[4:5]
	v_add_f64 v[2:3], v[2:3], v[4:5]
	v_mul_f64 v[4:5], v[186:187], v[204:205]
	v_fma_f64 v[4:5], v[184:185], v[206:207], -v[4:5]
	v_add_f64 v[2:3], v[2:3], v[4:5]
	s_waitcnt vmcnt(12) lgkmcnt(1)
	v_mul_f64 v[4:5], v[190:191], v[216:217]
	v_mul_f64 v[230:231], v[188:189], v[216:217]
	s_waitcnt vmcnt(10)
	v_fma_f64 v[4:5], v[188:189], v[218:219], -v[4:5]
	v_fmac_f64_e32 v[230:231], v[190:191], v[218:219]
	v_add_f64 v[2:3], v[2:3], v[4:5]
	s_waitcnt vmcnt(8) lgkmcnt(0)
	v_mul_f64 v[4:5], v[194:195], v[212:213]
	v_add_f64 v[96:97], v[228:229], v[230:231]
	v_mul_f64 v[228:229], v[192:193], v[212:213]
	v_fma_f64 v[4:5], v[192:193], v[214:215], -v[4:5]
	v_fmac_f64_e32 v[228:229], v[194:195], v[214:215]
	v_add_f64 v[2:3], v[2:3], v[4:5]
	s_waitcnt vmcnt(6)
	v_mul_f64 v[4:5], v[198:199], v[220:221]
	v_add_f64 v[96:97], v[96:97], v[228:229]
	v_mul_f64 v[228:229], v[196:197], v[220:221]
	s_waitcnt vmcnt(4)
	v_fma_f64 v[4:5], v[196:197], v[222:223], -v[4:5]
	v_fmac_f64_e32 v[228:229], v[198:199], v[222:223]
	v_add_f64 v[2:3], v[2:3], v[4:5]
	v_add_f64 v[96:97], v[96:97], v[228:229]
	s_waitcnt vmcnt(2)
	v_add_f64 v[2:3], v[224:225], -v[2:3]
	s_waitcnt vmcnt(0)
	v_add_f64 v[4:5], v[226:227], -v[96:97]
	buffer_store_dword v3, off, s[0:3], 0 offset:100
	buffer_store_dword v2, off, s[0:3], 0 offset:96
	;; [unrolled: 1-line block ×4, first 2 shown]
	s_and_saveexec_b64 s[6:7], vcc
	s_cbranch_execz .LBB24_153
; %bb.152:
	v_accvgpr_read_b32 v5, a19
	buffer_load_dword v2, v5, s[0:3], 0 offen
	buffer_load_dword v3, v5, s[0:3], 0 offen offset:4
	buffer_load_dword v4, v5, s[0:3], 0 offen offset:8
	s_nop 0
	buffer_load_dword v5, v5, s[0:3], 0 offen offset:12
	v_mov_b32_e32 v6, 0
	buffer_store_dword v6, off, s[0:3], 0 offset:80
	buffer_store_dword v6, off, s[0:3], 0 offset:84
	;; [unrolled: 1-line block ×4, first 2 shown]
	s_waitcnt vmcnt(4)
	ds_write_b128 v136, v[2:5]
.LBB24_153:
	s_or_b64 exec, exec, s[6:7]
	s_waitcnt lgkmcnt(0)
	; wave barrier
	s_waitcnt lgkmcnt(0)
	buffer_load_dword v2, off, s[0:3], 0 offset:96
	buffer_load_dword v3, off, s[0:3], 0 offset:100
	;; [unrolled: 1-line block ×76, first 2 shown]
	v_mov_b32_e32 v104, 0
	ds_read_b128 v[106:109], v104 offset:496
	buffer_load_dword v232, off, s[0:3], 0 offset:80
	buffer_load_dword v233, off, s[0:3], 0 offset:84
	;; [unrolled: 1-line block ×4, first 2 shown]
	ds_read_b128 v[110:113], v104 offset:512
	ds_read_b128 v[114:117], v104 offset:528
	;; [unrolled: 1-line block ×4, first 2 shown]
	v_cmp_lt_u32_e32 vcc, 4, v171
	s_waitcnt vmcnt(62) lgkmcnt(4)
	v_mul_f64 v[122:123], v[106:107], v[8:9]
	v_fmac_f64_e32 v[122:123], v[108:109], v[2:3]
	v_add_f64 v[122:123], v[122:123], 0
	v_mul_f64 v[8:9], v[108:109], v[8:9]
	s_waitcnt lgkmcnt(3)
	v_mul_f64 v[124:125], v[110:111], v[10:11]
	v_fmac_f64_e32 v[124:125], v[112:113], v[4:5]
	v_add_f64 v[122:123], v[122:123], v[124:125]
	v_fma_f64 v[2:3], v[106:107], v[2:3], -v[8:9]
	s_waitcnt lgkmcnt(2)
	v_mul_f64 v[124:125], v[114:115], v[12:13]
	v_fmac_f64_e32 v[124:125], v[116:117], v[6:7]
	v_add_f64 v[126:127], v[122:123], v[124:125]
	ds_read_b128 v[122:125], v104 offset:560
	s_waitcnt lgkmcnt(2)
	v_mul_f64 v[128:129], v[118:119], v[18:19]
	v_mul_f64 v[8:9], v[112:113], v[10:11]
	v_fmac_f64_e32 v[128:129], v[120:121], v[20:21]
	v_add_f64 v[130:131], v[126:127], v[128:129]
	ds_read_b128 v[126:129], v104 offset:576
	s_waitcnt vmcnt(60) lgkmcnt(1)
	v_mul_f64 v[132:133], v[122:123], v[14:15]
	v_fmac_f64_e32 v[132:133], v[124:125], v[16:17]
	v_add_f64 v[138:139], v[130:131], v[132:133]
	ds_read_b128 v[130:133], v104 offset:592
	s_waitcnt vmcnt(56) lgkmcnt(1)
	v_mul_f64 v[140:141], v[126:127], v[26:27]
	s_waitcnt vmcnt(54)
	v_fmac_f64_e32 v[140:141], v[128:129], v[28:29]
	v_add_f64 v[142:143], v[138:139], v[140:141]
	ds_read_b128 v[138:141], v104 offset:608
	s_waitcnt vmcnt(52) lgkmcnt(1)
	v_mul_f64 v[144:145], v[130:131], v[22:23]
	v_fmac_f64_e32 v[144:145], v[132:133], v[24:25]
	v_add_f64 v[172:173], v[142:143], v[144:145]
	ds_read_b128 v[142:145], v104 offset:624
	s_waitcnt vmcnt(48) lgkmcnt(1)
	v_mul_f64 v[174:175], v[138:139], v[84:85]
	s_waitcnt vmcnt(46)
	v_fmac_f64_e32 v[174:175], v[140:141], v[86:87]
	v_add_f64 v[176:177], v[172:173], v[174:175]
	ds_read_b128 v[172:175], v104 offset:640
	v_add_f64 v[2:3], v[2:3], 0
	v_fma_f64 v[4:5], v[110:111], v[4:5], -v[8:9]
	s_waitcnt vmcnt(44) lgkmcnt(1)
	v_mul_f64 v[178:179], v[142:143], v[30:31]
	v_add_f64 v[2:3], v[2:3], v[4:5]
	v_mul_f64 v[4:5], v[116:117], v[12:13]
	v_fmac_f64_e32 v[178:179], v[144:145], v[32:33]
	v_fma_f64 v[4:5], v[114:115], v[6:7], -v[4:5]
	v_add_f64 v[180:181], v[176:177], v[178:179]
	ds_read_b128 v[176:179], v104 offset:656
	s_waitcnt vmcnt(40) lgkmcnt(1)
	v_mul_f64 v[182:183], v[172:173], v[92:93]
	v_add_f64 v[2:3], v[2:3], v[4:5]
	v_mul_f64 v[4:5], v[120:121], v[18:19]
	s_waitcnt vmcnt(38)
	v_fmac_f64_e32 v[182:183], v[174:175], v[94:95]
	v_fma_f64 v[4:5], v[118:119], v[20:21], -v[4:5]
	v_add_f64 v[184:185], v[180:181], v[182:183]
	ds_read_b128 v[180:183], v104 offset:672
	v_add_f64 v[2:3], v[2:3], v[4:5]
	v_mul_f64 v[4:5], v[124:125], v[14:15]
	v_fma_f64 v[4:5], v[122:123], v[16:17], -v[4:5]
	v_add_f64 v[2:3], v[2:3], v[4:5]
	v_mul_f64 v[4:5], v[128:129], v[26:27]
	s_waitcnt vmcnt(36) lgkmcnt(1)
	v_mul_f64 v[186:187], v[176:177], v[88:89]
	v_fma_f64 v[4:5], v[126:127], v[28:29], -v[4:5]
	v_fmac_f64_e32 v[186:187], v[178:179], v[90:91]
	v_add_f64 v[2:3], v[2:3], v[4:5]
	v_mul_f64 v[4:5], v[132:133], v[22:23]
	v_add_f64 v[188:189], v[184:185], v[186:187]
	ds_read_b128 v[184:187], v104 offset:688
	s_waitcnt vmcnt(32) lgkmcnt(1)
	v_mul_f64 v[190:191], v[180:181], v[100:101]
	v_fma_f64 v[4:5], v[130:131], v[24:25], -v[4:5]
	s_waitcnt vmcnt(30)
	v_fmac_f64_e32 v[190:191], v[182:183], v[102:103]
	v_add_f64 v[2:3], v[2:3], v[4:5]
	v_mul_f64 v[4:5], v[140:141], v[84:85]
	v_add_f64 v[192:193], v[188:189], v[190:191]
	ds_read_b128 v[188:191], v104 offset:704
	v_fma_f64 v[4:5], v[138:139], v[86:87], -v[4:5]
	v_add_f64 v[2:3], v[2:3], v[4:5]
	v_mul_f64 v[4:5], v[144:145], v[30:31]
	v_fma_f64 v[4:5], v[142:143], v[32:33], -v[4:5]
	s_waitcnt vmcnt(28) lgkmcnt(1)
	v_mul_f64 v[194:195], v[184:185], v[96:97]
	v_add_f64 v[2:3], v[2:3], v[4:5]
	v_mul_f64 v[4:5], v[174:175], v[92:93]
	v_fmac_f64_e32 v[194:195], v[186:187], v[98:99]
	v_fma_f64 v[4:5], v[172:173], v[94:95], -v[4:5]
	v_add_f64 v[196:197], v[192:193], v[194:195]
	ds_read_b128 v[192:195], v104 offset:720
	s_waitcnt vmcnt(24) lgkmcnt(1)
	v_mul_f64 v[198:199], v[188:189], v[212:213]
	v_add_f64 v[2:3], v[2:3], v[4:5]
	v_mul_f64 v[4:5], v[178:179], v[88:89]
	s_waitcnt vmcnt(22)
	v_fmac_f64_e32 v[198:199], v[190:191], v[214:215]
	v_fma_f64 v[4:5], v[176:177], v[90:91], -v[4:5]
	v_add_f64 v[200:201], v[196:197], v[198:199]
	ds_read_b128 v[196:199], v104 offset:736
	v_add_f64 v[2:3], v[2:3], v[4:5]
	v_mul_f64 v[4:5], v[182:183], v[100:101]
	v_fma_f64 v[4:5], v[180:181], v[102:103], -v[4:5]
	v_add_f64 v[2:3], v[2:3], v[4:5]
	v_mul_f64 v[4:5], v[186:187], v[96:97]
	s_waitcnt vmcnt(20) lgkmcnt(1)
	v_mul_f64 v[202:203], v[192:193], v[134:135]
	v_fma_f64 v[4:5], v[184:185], v[98:99], -v[4:5]
	v_fmac_f64_e32 v[202:203], v[194:195], v[146:147]
	v_add_f64 v[2:3], v[2:3], v[4:5]
	v_mul_f64 v[4:5], v[190:191], v[212:213]
	v_add_f64 v[204:205], v[200:201], v[202:203]
	ds_read_b128 v[200:203], v104 offset:752
	s_waitcnt vmcnt(16) lgkmcnt(1)
	v_mul_f64 v[206:207], v[196:197], v[220:221]
	v_fma_f64 v[4:5], v[188:189], v[214:215], -v[4:5]
	s_waitcnt vmcnt(14)
	v_fmac_f64_e32 v[206:207], v[198:199], v[222:223]
	v_add_f64 v[2:3], v[2:3], v[4:5]
	v_mul_f64 v[4:5], v[194:195], v[134:135]
	v_add_f64 v[236:237], v[204:205], v[206:207]
	ds_read_b128 v[204:207], v104 offset:768
	v_fma_f64 v[4:5], v[192:193], v[146:147], -v[4:5]
	v_add_f64 v[2:3], v[2:3], v[4:5]
	v_mul_f64 v[4:5], v[198:199], v[220:221]
	v_fma_f64 v[4:5], v[196:197], v[222:223], -v[4:5]
	v_add_f64 v[2:3], v[2:3], v[4:5]
	s_waitcnt vmcnt(12) lgkmcnt(1)
	v_mul_f64 v[4:5], v[202:203], v[216:217]
	v_mul_f64 v[238:239], v[200:201], v[216:217]
	v_fma_f64 v[4:5], v[200:201], v[218:219], -v[4:5]
	v_fmac_f64_e32 v[238:239], v[202:203], v[218:219]
	v_add_f64 v[2:3], v[2:3], v[4:5]
	s_waitcnt vmcnt(8) lgkmcnt(0)
	v_mul_f64 v[4:5], v[206:207], v[228:229]
	v_add_f64 v[236:237], v[236:237], v[238:239]
	v_mul_f64 v[238:239], v[204:205], v[228:229]
	s_waitcnt vmcnt(6)
	v_fma_f64 v[4:5], v[204:205], v[230:231], -v[4:5]
	v_fmac_f64_e32 v[238:239], v[206:207], v[230:231]
	v_add_f64 v[2:3], v[2:3], v[4:5]
	s_waitcnt vmcnt(5)
	v_mul_f64 v[4:5], v[210:211], v[224:225]
	v_add_f64 v[236:237], v[236:237], v[238:239]
	v_mul_f64 v[238:239], v[208:209], v[224:225]
	s_waitcnt vmcnt(4)
	v_fma_f64 v[4:5], v[208:209], v[226:227], -v[4:5]
	v_fmac_f64_e32 v[238:239], v[210:211], v[226:227]
	v_add_f64 v[2:3], v[2:3], v[4:5]
	v_add_f64 v[236:237], v[236:237], v[238:239]
	s_waitcnt vmcnt(2)
	v_add_f64 v[2:3], v[232:233], -v[2:3]
	s_waitcnt vmcnt(0)
	v_add_f64 v[4:5], v[234:235], -v[236:237]
	buffer_store_dword v3, off, s[0:3], 0 offset:84
	buffer_store_dword v2, off, s[0:3], 0 offset:80
	;; [unrolled: 1-line block ×4, first 2 shown]
	s_and_saveexec_b64 s[6:7], vcc
	s_cbranch_execz .LBB24_155
; %bb.154:
	v_accvgpr_read_b32 v5, a17
	buffer_load_dword v2, v5, s[0:3], 0 offen
	buffer_load_dword v3, v5, s[0:3], 0 offen offset:4
	buffer_load_dword v4, v5, s[0:3], 0 offen offset:8
	s_nop 0
	buffer_load_dword v5, v5, s[0:3], 0 offen offset:12
	s_nop 0
	buffer_store_dword v104, off, s[0:3], 0 offset:64
	buffer_store_dword v104, off, s[0:3], 0 offset:68
	;; [unrolled: 1-line block ×4, first 2 shown]
	s_waitcnt vmcnt(4)
	ds_write_b128 v136, v[2:5]
.LBB24_155:
	s_or_b64 exec, exec, s[6:7]
	s_waitcnt lgkmcnt(0)
	; wave barrier
	s_waitcnt lgkmcnt(0)
	buffer_load_dword v2, off, s[0:3], 0 offset:80
	buffer_load_dword v3, off, s[0:3], 0 offset:84
	;; [unrolled: 1-line block ×76, first 2 shown]
	ds_read_b128 v[106:109], v104 offset:480
	buffer_load_dword v237, off, s[0:3], 0 offset:396
	buffer_load_dword v236, off, s[0:3], 0 offset:392
	;; [unrolled: 1-line block ×8, first 2 shown]
	ds_read_b128 v[110:113], v104 offset:496
	ds_read_b128 v[114:117], v104 offset:512
	;; [unrolled: 1-line block ×3, first 2 shown]
	v_cmp_lt_u32_e32 vcc, 3, v171
	ds_read_b128 v[212:215], v104 offset:784
	s_waitcnt vmcnt(62) lgkmcnt(4)
	v_mul_f64 v[122:123], v[106:107], v[8:9]
	v_fmac_f64_e32 v[122:123], v[108:109], v[2:3]
	v_add_f64 v[122:123], v[122:123], 0
	v_mul_f64 v[8:9], v[108:109], v[8:9]
	s_waitcnt lgkmcnt(3)
	v_mul_f64 v[124:125], v[110:111], v[10:11]
	v_fmac_f64_e32 v[124:125], v[112:113], v[4:5]
	v_add_f64 v[122:123], v[122:123], v[124:125]
	v_fma_f64 v[2:3], v[106:107], v[2:3], -v[8:9]
	s_waitcnt lgkmcnt(2)
	v_mul_f64 v[124:125], v[114:115], v[12:13]
	v_fmac_f64_e32 v[124:125], v[116:117], v[6:7]
	v_add_f64 v[126:127], v[122:123], v[124:125]
	ds_read_b128 v[122:125], v104 offset:544
	v_mul_f64 v[8:9], v[112:113], v[10:11]
	v_add_f64 v[2:3], v[2:3], 0
	s_waitcnt lgkmcnt(2)
	v_mul_f64 v[128:129], v[118:119], v[18:19]
	v_fma_f64 v[4:5], v[110:111], v[4:5], -v[8:9]
	v_fmac_f64_e32 v[128:129], v[120:121], v[20:21]
	v_add_f64 v[130:131], v[126:127], v[128:129]
	ds_read_b128 v[126:129], v104 offset:560
	s_waitcnt lgkmcnt(1)
	v_mul_f64 v[132:133], v[122:123], v[14:15]
	v_fmac_f64_e32 v[132:133], v[124:125], v[16:17]
	v_add_f64 v[138:139], v[130:131], v[132:133]
	ds_read_b128 v[130:133], v104 offset:576
	s_waitcnt vmcnt(58) lgkmcnt(1)
	v_mul_f64 v[140:141], v[126:127], v[26:27]
	s_waitcnt vmcnt(56)
	v_fmac_f64_e32 v[140:141], v[128:129], v[28:29]
	v_add_f64 v[142:143], v[138:139], v[140:141]
	ds_read_b128 v[138:141], v104 offset:592
	s_waitcnt lgkmcnt(1)
	v_mul_f64 v[144:145], v[130:131], v[22:23]
	v_fmac_f64_e32 v[144:145], v[132:133], v[24:25]
	v_add_f64 v[172:173], v[142:143], v[144:145]
	ds_read_b128 v[142:145], v104 offset:608
	s_waitcnt vmcnt(50) lgkmcnt(1)
	v_mul_f64 v[174:175], v[138:139], v[84:85]
	s_waitcnt vmcnt(48)
	v_fmac_f64_e32 v[174:175], v[140:141], v[86:87]
	v_add_f64 v[176:177], v[172:173], v[174:175]
	ds_read_b128 v[172:175], v104 offset:624
	s_waitcnt lgkmcnt(1)
	v_mul_f64 v[178:179], v[142:143], v[30:31]
	v_fmac_f64_e32 v[178:179], v[144:145], v[32:33]
	v_add_f64 v[180:181], v[176:177], v[178:179]
	ds_read_b128 v[176:179], v104 offset:640
	v_add_f64 v[2:3], v[2:3], v[4:5]
	v_mul_f64 v[4:5], v[116:117], v[12:13]
	v_fma_f64 v[4:5], v[114:115], v[6:7], -v[4:5]
	s_waitcnt vmcnt(42) lgkmcnt(1)
	v_mul_f64 v[182:183], v[172:173], v[92:93]
	v_add_f64 v[2:3], v[2:3], v[4:5]
	v_mul_f64 v[4:5], v[120:121], v[18:19]
	s_waitcnt vmcnt(40)
	v_fmac_f64_e32 v[182:183], v[174:175], v[94:95]
	v_fma_f64 v[4:5], v[118:119], v[20:21], -v[4:5]
	v_add_f64 v[184:185], v[180:181], v[182:183]
	ds_read_b128 v[180:183], v104 offset:656
	s_waitcnt lgkmcnt(1)
	v_mul_f64 v[186:187], v[176:177], v[88:89]
	v_add_f64 v[2:3], v[2:3], v[4:5]
	v_mul_f64 v[4:5], v[124:125], v[14:15]
	v_fmac_f64_e32 v[186:187], v[178:179], v[90:91]
	v_fma_f64 v[4:5], v[122:123], v[16:17], -v[4:5]
	v_add_f64 v[188:189], v[184:185], v[186:187]
	ds_read_b128 v[184:187], v104 offset:672
	v_add_f64 v[2:3], v[2:3], v[4:5]
	v_mul_f64 v[4:5], v[128:129], v[26:27]
	v_fma_f64 v[4:5], v[126:127], v[28:29], -v[4:5]
	v_add_f64 v[2:3], v[2:3], v[4:5]
	v_mul_f64 v[4:5], v[132:133], v[22:23]
	s_waitcnt vmcnt(34) lgkmcnt(1)
	v_mul_f64 v[190:191], v[180:181], v[100:101]
	v_fma_f64 v[4:5], v[130:131], v[24:25], -v[4:5]
	s_waitcnt vmcnt(32)
	v_fmac_f64_e32 v[190:191], v[182:183], v[102:103]
	v_add_f64 v[2:3], v[2:3], v[4:5]
	v_mul_f64 v[4:5], v[140:141], v[84:85]
	v_add_f64 v[192:193], v[188:189], v[190:191]
	ds_read_b128 v[188:191], v104 offset:688
	s_waitcnt lgkmcnt(1)
	v_mul_f64 v[194:195], v[184:185], v[96:97]
	v_fma_f64 v[4:5], v[138:139], v[86:87], -v[4:5]
	v_fmac_f64_e32 v[194:195], v[186:187], v[98:99]
	v_add_f64 v[2:3], v[2:3], v[4:5]
	v_mul_f64 v[4:5], v[144:145], v[30:31]
	v_add_f64 v[196:197], v[192:193], v[194:195]
	ds_read_b128 v[192:195], v104 offset:704
	v_fma_f64 v[4:5], v[142:143], v[32:33], -v[4:5]
	v_add_f64 v[2:3], v[2:3], v[4:5]
	v_mul_f64 v[4:5], v[174:175], v[92:93]
	v_fma_f64 v[4:5], v[172:173], v[94:95], -v[4:5]
	s_waitcnt vmcnt(26) lgkmcnt(1)
	v_mul_f64 v[198:199], v[188:189], v[216:217]
	v_add_f64 v[2:3], v[2:3], v[4:5]
	v_mul_f64 v[4:5], v[178:179], v[88:89]
	s_waitcnt vmcnt(24)
	v_fmac_f64_e32 v[198:199], v[190:191], v[218:219]
	v_fma_f64 v[4:5], v[176:177], v[90:91], -v[4:5]
	v_add_f64 v[200:201], v[196:197], v[198:199]
	ds_read_b128 v[196:199], v104 offset:720
	s_waitcnt lgkmcnt(1)
	v_mul_f64 v[202:203], v[192:193], v[134:135]
	v_add_f64 v[2:3], v[2:3], v[4:5]
	v_mul_f64 v[4:5], v[182:183], v[100:101]
	v_fmac_f64_e32 v[202:203], v[194:195], v[146:147]
	v_fma_f64 v[4:5], v[180:181], v[102:103], -v[4:5]
	v_add_f64 v[204:205], v[200:201], v[202:203]
	ds_read_b128 v[200:203], v104 offset:736
	v_add_f64 v[2:3], v[2:3], v[4:5]
	v_mul_f64 v[4:5], v[186:187], v[96:97]
	v_fma_f64 v[4:5], v[184:185], v[98:99], -v[4:5]
	v_add_f64 v[2:3], v[2:3], v[4:5]
	v_mul_f64 v[4:5], v[190:191], v[216:217]
	s_waitcnt vmcnt(18) lgkmcnt(1)
	v_mul_f64 v[206:207], v[196:197], v[224:225]
	v_fma_f64 v[4:5], v[188:189], v[218:219], -v[4:5]
	s_waitcnt vmcnt(16)
	v_fmac_f64_e32 v[206:207], v[198:199], v[226:227]
	v_add_f64 v[2:3], v[2:3], v[4:5]
	v_mul_f64 v[4:5], v[194:195], v[134:135]
	v_add_f64 v[208:209], v[204:205], v[206:207]
	ds_read_b128 v[204:207], v104 offset:752
	s_waitcnt lgkmcnt(1)
	v_mul_f64 v[210:211], v[200:201], v[220:221]
	v_fma_f64 v[4:5], v[192:193], v[146:147], -v[4:5]
	v_fmac_f64_e32 v[210:211], v[202:203], v[222:223]
	v_add_f64 v[2:3], v[2:3], v[4:5]
	v_mul_f64 v[4:5], v[198:199], v[224:225]
	v_add_f64 v[244:245], v[208:209], v[210:211]
	ds_read_b128 v[208:211], v104 offset:768
	v_fma_f64 v[4:5], v[196:197], v[226:227], -v[4:5]
	v_add_f64 v[2:3], v[2:3], v[4:5]
	v_mul_f64 v[4:5], v[202:203], v[220:221]
	v_fma_f64 v[4:5], v[200:201], v[222:223], -v[4:5]
	v_add_f64 v[2:3], v[2:3], v[4:5]
	s_waitcnt vmcnt(10) lgkmcnt(1)
	v_mul_f64 v[4:5], v[206:207], v[232:233]
	v_mul_f64 v[246:247], v[204:205], v[232:233]
	s_waitcnt vmcnt(8)
	v_fma_f64 v[4:5], v[204:205], v[234:235], -v[4:5]
	v_fmac_f64_e32 v[246:247], v[206:207], v[234:235]
	v_add_f64 v[2:3], v[2:3], v[4:5]
	s_waitcnt lgkmcnt(0)
	v_mul_f64 v[4:5], v[210:211], v[228:229]
	v_add_f64 v[104:105], v[244:245], v[246:247]
	v_mul_f64 v[244:245], v[208:209], v[228:229]
	v_fma_f64 v[4:5], v[208:209], v[230:231], -v[4:5]
	v_fmac_f64_e32 v[244:245], v[210:211], v[230:231]
	v_add_f64 v[2:3], v[2:3], v[4:5]
	s_waitcnt vmcnt(6)
	v_mul_f64 v[4:5], v[214:215], v[236:237]
	v_add_f64 v[104:105], v[104:105], v[244:245]
	v_mul_f64 v[244:245], v[212:213], v[236:237]
	s_waitcnt vmcnt(4)
	v_fma_f64 v[4:5], v[212:213], v[238:239], -v[4:5]
	v_fmac_f64_e32 v[244:245], v[214:215], v[238:239]
	v_add_f64 v[2:3], v[2:3], v[4:5]
	v_add_f64 v[104:105], v[104:105], v[244:245]
	s_waitcnt vmcnt(2)
	v_add_f64 v[2:3], v[240:241], -v[2:3]
	s_waitcnt vmcnt(0)
	v_add_f64 v[4:5], v[242:243], -v[104:105]
	buffer_store_dword v3, off, s[0:3], 0 offset:68
	buffer_store_dword v2, off, s[0:3], 0 offset:64
	;; [unrolled: 1-line block ×4, first 2 shown]
	s_and_saveexec_b64 s[6:7], vcc
	s_cbranch_execz .LBB24_157
; %bb.156:
	buffer_load_dword v2, v170, s[0:3], 0 offen
	buffer_load_dword v3, v170, s[0:3], 0 offen offset:4
	buffer_load_dword v4, v170, s[0:3], 0 offen offset:8
	;; [unrolled: 1-line block ×3, first 2 shown]
	v_mov_b32_e32 v6, 0
	buffer_store_dword v6, off, s[0:3], 0 offset:48
	buffer_store_dword v6, off, s[0:3], 0 offset:52
	;; [unrolled: 1-line block ×4, first 2 shown]
	s_waitcnt vmcnt(4)
	ds_write_b128 v136, v[2:5]
.LBB24_157:
	s_or_b64 exec, exec, s[6:7]
	s_waitcnt lgkmcnt(0)
	; wave barrier
	s_waitcnt lgkmcnt(0)
	buffer_load_dword v4, off, s[0:3], 0 offset:48
	buffer_load_dword v5, off, s[0:3], 0 offset:52
	;; [unrolled: 1-line block ×88, first 2 shown]
	v_mov_b32_e32 v137, 0
	ds_read_b128 v[116:119], v137 offset:464
	ds_read_b128 v[120:123], v137 offset:480
	;; [unrolled: 1-line block ×5, first 2 shown]
	v_cmp_lt_u32_e32 vcc, 2, v171
	s_waitcnt vmcnt(62) lgkmcnt(3)
	v_mul_f64 v[134:135], v[120:121], v[14:15]
	v_mul_f64 v[132:133], v[116:117], v[12:13]
	v_fmac_f64_e32 v[132:133], v[118:119], v[6:7]
	v_add_f64 v[132:133], v[132:133], 0
	v_fmac_f64_e32 v[134:135], v[122:123], v[8:9]
	v_add_f64 v[132:133], v[132:133], v[134:135]
	s_waitcnt lgkmcnt(2)
	v_mul_f64 v[134:135], v[124:125], v[16:17]
	v_fmac_f64_e32 v[134:135], v[126:127], v[10:11]
	v_add_f64 v[138:139], v[132:133], v[134:135]
	ds_read_b128 v[132:135], v137 offset:528
	s_waitcnt lgkmcnt(2)
	v_mul_f64 v[140:141], v[128:129], v[22:23]
	v_fmac_f64_e32 v[140:141], v[130:131], v[24:25]
	v_add_f64 v[142:143], v[138:139], v[140:141]
	ds_read_b128 v[138:141], v137 offset:544
	;; [unrolled: 5-line block ×3, first 2 shown]
	s_waitcnt vmcnt(58) lgkmcnt(1)
	v_mul_f64 v[174:175], v[138:139], v[30:31]
	s_waitcnt vmcnt(56)
	v_fmac_f64_e32 v[174:175], v[140:141], v[32:33]
	v_add_f64 v[176:177], v[172:173], v[174:175]
	ds_read_b128 v[172:175], v137 offset:576
	s_waitcnt lgkmcnt(1)
	v_mul_f64 v[178:179], v[142:143], v[26:27]
	v_fmac_f64_e32 v[178:179], v[144:145], v[28:29]
	v_add_f64 v[180:181], v[176:177], v[178:179]
	ds_read_b128 v[176:179], v137 offset:592
	s_waitcnt vmcnt(50) lgkmcnt(1)
	v_mul_f64 v[182:183], v[172:173], v[88:89]
	s_waitcnt vmcnt(48)
	v_fmac_f64_e32 v[182:183], v[174:175], v[90:91]
	v_add_f64 v[184:185], v[180:181], v[182:183]
	ds_read_b128 v[180:183], v137 offset:608
	s_waitcnt lgkmcnt(1)
	v_mul_f64 v[186:187], v[176:177], v[84:85]
	v_mul_f64 v[12:13], v[118:119], v[12:13]
	v_fmac_f64_e32 v[186:187], v[178:179], v[86:87]
	v_fma_f64 v[6:7], v[116:117], v[6:7], -v[12:13]
	v_mul_f64 v[12:13], v[122:123], v[14:15]
	v_add_f64 v[188:189], v[184:185], v[186:187]
	ds_read_b128 v[184:187], v137 offset:624
	s_waitcnt vmcnt(42) lgkmcnt(1)
	v_mul_f64 v[190:191], v[180:181], v[96:97]
	v_add_f64 v[6:7], v[6:7], 0
	v_fma_f64 v[8:9], v[120:121], v[8:9], -v[12:13]
	s_waitcnt vmcnt(40)
	v_fmac_f64_e32 v[190:191], v[182:183], v[98:99]
	v_add_f64 v[6:7], v[6:7], v[8:9]
	v_mul_f64 v[8:9], v[126:127], v[16:17]
	v_add_f64 v[192:193], v[188:189], v[190:191]
	ds_read_b128 v[188:191], v137 offset:640
	v_fma_f64 v[8:9], v[124:125], v[10:11], -v[8:9]
	v_add_f64 v[6:7], v[6:7], v[8:9]
	v_mul_f64 v[8:9], v[130:131], v[22:23]
	v_fma_f64 v[8:9], v[128:129], v[24:25], -v[8:9]
	s_waitcnt lgkmcnt(1)
	v_mul_f64 v[194:195], v[184:185], v[92:93]
	v_add_f64 v[6:7], v[6:7], v[8:9]
	v_mul_f64 v[8:9], v[134:135], v[18:19]
	v_fmac_f64_e32 v[194:195], v[186:187], v[94:95]
	v_fma_f64 v[8:9], v[132:133], v[20:21], -v[8:9]
	v_add_f64 v[196:197], v[192:193], v[194:195]
	ds_read_b128 v[192:195], v137 offset:656
	s_waitcnt vmcnt(34) lgkmcnt(1)
	v_mul_f64 v[198:199], v[188:189], v[104:105]
	v_add_f64 v[6:7], v[6:7], v[8:9]
	v_mul_f64 v[8:9], v[140:141], v[30:31]
	s_waitcnt vmcnt(32)
	v_fmac_f64_e32 v[198:199], v[190:191], v[106:107]
	v_fma_f64 v[8:9], v[138:139], v[32:33], -v[8:9]
	v_add_f64 v[200:201], v[196:197], v[198:199]
	ds_read_b128 v[196:199], v137 offset:672
	v_add_f64 v[6:7], v[6:7], v[8:9]
	v_mul_f64 v[8:9], v[144:145], v[26:27]
	v_fma_f64 v[8:9], v[142:143], v[28:29], -v[8:9]
	v_add_f64 v[6:7], v[6:7], v[8:9]
	v_mul_f64 v[8:9], v[174:175], v[88:89]
	s_waitcnt lgkmcnt(1)
	v_mul_f64 v[202:203], v[192:193], v[100:101]
	v_fma_f64 v[8:9], v[172:173], v[90:91], -v[8:9]
	v_fmac_f64_e32 v[202:203], v[194:195], v[102:103]
	v_add_f64 v[6:7], v[6:7], v[8:9]
	v_mul_f64 v[8:9], v[178:179], v[84:85]
	v_add_f64 v[204:205], v[200:201], v[202:203]
	ds_read_b128 v[200:203], v137 offset:688
	s_waitcnt vmcnt(26) lgkmcnt(1)
	v_mul_f64 v[206:207], v[196:197], v[112:113]
	v_fma_f64 v[8:9], v[176:177], v[86:87], -v[8:9]
	s_waitcnt vmcnt(24)
	v_fmac_f64_e32 v[206:207], v[198:199], v[114:115]
	v_add_f64 v[6:7], v[6:7], v[8:9]
	v_mul_f64 v[8:9], v[182:183], v[96:97]
	v_add_f64 v[208:209], v[204:205], v[206:207]
	ds_read_b128 v[204:207], v137 offset:704
	v_fma_f64 v[8:9], v[180:181], v[98:99], -v[8:9]
	v_add_f64 v[6:7], v[6:7], v[8:9]
	v_mul_f64 v[8:9], v[186:187], v[92:93]
	v_fma_f64 v[8:9], v[184:185], v[94:95], -v[8:9]
	s_waitcnt lgkmcnt(1)
	v_mul_f64 v[210:211], v[200:201], v[108:109]
	v_add_f64 v[6:7], v[6:7], v[8:9]
	v_mul_f64 v[8:9], v[190:191], v[104:105]
	v_fmac_f64_e32 v[210:211], v[202:203], v[110:111]
	v_fma_f64 v[8:9], v[188:189], v[106:107], -v[8:9]
	v_add_f64 v[212:213], v[208:209], v[210:211]
	ds_read_b128 v[208:211], v137 offset:720
	s_waitcnt vmcnt(18) lgkmcnt(1)
	v_mul_f64 v[214:215], v[204:205], v[230:231]
	v_add_f64 v[6:7], v[6:7], v[8:9]
	v_mul_f64 v[8:9], v[194:195], v[100:101]
	s_waitcnt vmcnt(16)
	v_fmac_f64_e32 v[214:215], v[206:207], v[232:233]
	v_fma_f64 v[8:9], v[192:193], v[102:103], -v[8:9]
	v_add_f64 v[216:217], v[212:213], v[214:215]
	ds_read_b128 v[212:215], v137 offset:736
	v_add_f64 v[6:7], v[6:7], v[8:9]
	v_mul_f64 v[8:9], v[198:199], v[112:113]
	v_fma_f64 v[8:9], v[196:197], v[114:115], -v[8:9]
	v_add_f64 v[6:7], v[6:7], v[8:9]
	v_mul_f64 v[8:9], v[202:203], v[108:109]
	s_waitcnt lgkmcnt(1)
	v_mul_f64 v[218:219], v[208:209], v[146:147]
	v_fma_f64 v[8:9], v[200:201], v[110:111], -v[8:9]
	v_fmac_f64_e32 v[218:219], v[210:211], v[228:229]
	v_add_f64 v[6:7], v[6:7], v[8:9]
	v_mul_f64 v[8:9], v[206:207], v[230:231]
	v_add_f64 v[220:221], v[216:217], v[218:219]
	ds_read_b128 v[216:219], v137 offset:752
	s_waitcnt vmcnt(10) lgkmcnt(1)
	v_mul_f64 v[222:223], v[212:213], v[238:239]
	v_fma_f64 v[8:9], v[204:205], v[232:233], -v[8:9]
	s_waitcnt vmcnt(8)
	v_fmac_f64_e32 v[222:223], v[214:215], v[240:241]
	v_add_f64 v[6:7], v[6:7], v[8:9]
	v_mul_f64 v[8:9], v[210:211], v[146:147]
	v_add_f64 v[250:251], v[220:221], v[222:223]
	ds_read_b128 v[220:223], v137 offset:768
	v_fma_f64 v[8:9], v[208:209], v[228:229], -v[8:9]
	v_add_f64 v[6:7], v[6:7], v[8:9]
	v_mul_f64 v[8:9], v[214:215], v[238:239]
	v_fma_f64 v[8:9], v[212:213], v[240:241], -v[8:9]
	v_add_f64 v[6:7], v[6:7], v[8:9]
	s_waitcnt lgkmcnt(1)
	v_mul_f64 v[8:9], v[218:219], v[234:235]
	v_mul_f64 v[252:253], v[216:217], v[234:235]
	v_fma_f64 v[8:9], v[216:217], v[236:237], -v[8:9]
	v_fmac_f64_e32 v[252:253], v[218:219], v[236:237]
	v_add_f64 v[6:7], v[6:7], v[8:9]
	s_waitcnt vmcnt(3) lgkmcnt(0)
	v_mul_f64 v[8:9], v[222:223], v[246:247]
	v_add_f64 v[250:251], v[250:251], v[252:253]
	v_mul_f64 v[252:253], v[220:221], v[246:247]
	s_waitcnt vmcnt(1)
	v_fma_f64 v[8:9], v[220:221], v[248:249], -v[8:9]
	v_fmac_f64_e32 v[252:253], v[222:223], v[248:249]
	v_add_f64 v[6:7], v[6:7], v[8:9]
	s_waitcnt vmcnt(0)
	v_mul_f64 v[8:9], v[226:227], v[242:243]
	v_add_f64 v[250:251], v[250:251], v[252:253]
	v_mul_f64 v[252:253], v[224:225], v[242:243]
	v_fma_f64 v[8:9], v[224:225], v[244:245], -v[8:9]
	v_fmac_f64_e32 v[252:253], v[226:227], v[244:245]
	v_add_f64 v[6:7], v[6:7], v[8:9]
	v_add_f64 v[250:251], v[250:251], v[252:253]
	v_add_f64 v[4:5], v[4:5], -v[6:7]
	v_add_f64 v[2:3], v[2:3], -v[250:251]
	buffer_store_dword v5, off, s[0:3], 0 offset:52
	buffer_store_dword v4, off, s[0:3], 0 offset:48
	;; [unrolled: 1-line block ×4, first 2 shown]
	s_and_saveexec_b64 s[6:7], vcc
	s_cbranch_execz .LBB24_159
; %bb.158:
	buffer_load_dword v2, v1, s[0:3], 0 offen
	buffer_load_dword v3, v1, s[0:3], 0 offen offset:4
	buffer_load_dword v4, v1, s[0:3], 0 offen offset:8
	buffer_load_dword v5, v1, s[0:3], 0 offen offset:12
	s_nop 0
	buffer_store_dword v137, off, s[0:3], 0 offset:32
	buffer_store_dword v137, off, s[0:3], 0 offset:36
	;; [unrolled: 1-line block ×4, first 2 shown]
	s_waitcnt vmcnt(4)
	ds_write_b128 v136, v[2:5]
.LBB24_159:
	s_or_b64 exec, exec, s[6:7]
	s_waitcnt lgkmcnt(0)
	; wave barrier
	s_waitcnt lgkmcnt(0)
	ds_read_b128 v[14:17], v137 offset:448
	ds_read_b128 v[10:13], v137 offset:464
	;; [unrolled: 1-line block ×4, first 2 shown]
	buffer_load_dword v20, off, s[0:3], 0 offset:32
	buffer_load_dword v21, off, s[0:3], 0 offset:36
	;; [unrolled: 1-line block ×92, first 2 shown]
	s_waitcnt vmcnt(62) lgkmcnt(3)
	v_mul_f64 v[138:139], v[14:15], v[28:29]
	v_fmac_f64_e32 v[138:139], v[16:17], v[22:23]
	s_waitcnt lgkmcnt(2)
	v_mul_f64 v[140:141], v[10:11], v[30:31]
	v_add_f64 v[138:139], v[138:139], 0
	v_fmac_f64_e32 v[140:141], v[12:13], v[24:25]
	v_add_f64 v[138:139], v[138:139], v[140:141]
	s_waitcnt lgkmcnt(1)
	v_mul_f64 v[140:141], v[6:7], v[32:33]
	v_fmac_f64_e32 v[140:141], v[8:9], v[26:27]
	v_add_f64 v[142:143], v[138:139], v[140:141]
	ds_read_b128 v[138:141], v137 offset:512
	v_mul_f64 v[16:17], v[16:17], v[28:29]
	v_fma_f64 v[14:15], v[14:15], v[22:23], -v[16:17]
	s_waitcnt lgkmcnt(1)
	v_mul_f64 v[144:145], v[2:3], v[88:89]
	v_mul_f64 v[12:13], v[12:13], v[30:31]
	v_fmac_f64_e32 v[144:145], v[4:5], v[90:91]
	v_add_f64 v[172:173], v[142:143], v[144:145]
	ds_read_b128 v[142:145], v137 offset:528
	s_waitcnt lgkmcnt(1)
	v_mul_f64 v[174:175], v[138:139], v[84:85]
	v_fmac_f64_e32 v[174:175], v[140:141], v[86:87]
	v_add_f64 v[176:177], v[172:173], v[174:175]
	ds_read_b128 v[172:175], v137 offset:544
	s_waitcnt lgkmcnt(1)
	v_mul_f64 v[178:179], v[142:143], v[96:97]
	s_waitcnt vmcnt(60)
	v_fmac_f64_e32 v[178:179], v[144:145], v[98:99]
	v_add_f64 v[180:181], v[176:177], v[178:179]
	ds_read_b128 v[176:179], v137 offset:560
	s_waitcnt lgkmcnt(1)
	v_mul_f64 v[182:183], v[172:173], v[92:93]
	v_fmac_f64_e32 v[182:183], v[174:175], v[94:95]
	v_add_f64 v[184:185], v[180:181], v[182:183]
	ds_read_b128 v[180:183], v137 offset:576
	s_waitcnt vmcnt(54) lgkmcnt(1)
	v_mul_f64 v[186:187], v[176:177], v[104:105]
	s_waitcnt vmcnt(52)
	v_fmac_f64_e32 v[186:187], v[178:179], v[106:107]
	v_add_f64 v[188:189], v[184:185], v[186:187]
	ds_read_b128 v[184:187], v137 offset:592
	s_waitcnt lgkmcnt(1)
	v_mul_f64 v[190:191], v[180:181], v[100:101]
	v_fmac_f64_e32 v[190:191], v[182:183], v[102:103]
	v_add_f64 v[192:193], v[188:189], v[190:191]
	ds_read_b128 v[188:191], v137 offset:608
	s_waitcnt vmcnt(46) lgkmcnt(1)
	v_mul_f64 v[194:195], v[184:185], v[112:113]
	s_waitcnt vmcnt(44)
	v_fmac_f64_e32 v[194:195], v[186:187], v[114:115]
	v_add_f64 v[196:197], v[192:193], v[194:195]
	ds_read_b128 v[192:195], v137 offset:624
	s_waitcnt lgkmcnt(1)
	v_mul_f64 v[198:199], v[188:189], v[108:109]
	v_fmac_f64_e32 v[198:199], v[190:191], v[110:111]
	v_add_f64 v[14:15], v[14:15], 0
	v_fma_f64 v[10:11], v[10:11], v[24:25], -v[12:13]
	v_mul_f64 v[8:9], v[8:9], v[32:33]
	v_add_f64 v[200:201], v[196:197], v[198:199]
	ds_read_b128 v[196:199], v137 offset:640
	v_add_f64 v[10:11], v[14:15], v[10:11]
	v_fma_f64 v[6:7], v[6:7], v[26:27], -v[8:9]
	v_mul_f64 v[4:5], v[4:5], v[88:89]
	v_add_f64 v[6:7], v[10:11], v[6:7]
	v_fma_f64 v[2:3], v[2:3], v[90:91], -v[4:5]
	v_mul_f64 v[4:5], v[140:141], v[84:85]
	v_add_f64 v[2:3], v[6:7], v[2:3]
	v_fma_f64 v[4:5], v[138:139], v[86:87], -v[4:5]
	s_waitcnt vmcnt(38) lgkmcnt(1)
	v_mul_f64 v[202:203], v[192:193], v[120:121]
	v_add_f64 v[2:3], v[2:3], v[4:5]
	v_mul_f64 v[4:5], v[144:145], v[96:97]
	s_waitcnt vmcnt(36)
	v_fmac_f64_e32 v[202:203], v[194:195], v[122:123]
	v_fma_f64 v[4:5], v[142:143], v[98:99], -v[4:5]
	v_add_f64 v[204:205], v[200:201], v[202:203]
	ds_read_b128 v[200:203], v137 offset:656
	s_waitcnt lgkmcnt(1)
	v_mul_f64 v[206:207], v[196:197], v[116:117]
	v_add_f64 v[2:3], v[2:3], v[4:5]
	v_mul_f64 v[4:5], v[174:175], v[92:93]
	v_fmac_f64_e32 v[206:207], v[198:199], v[118:119]
	v_fma_f64 v[4:5], v[172:173], v[94:95], -v[4:5]
	v_add_f64 v[208:209], v[204:205], v[206:207]
	ds_read_b128 v[204:207], v137 offset:672
	v_add_f64 v[2:3], v[2:3], v[4:5]
	v_mul_f64 v[4:5], v[178:179], v[104:105]
	v_fma_f64 v[4:5], v[176:177], v[106:107], -v[4:5]
	v_add_f64 v[2:3], v[2:3], v[4:5]
	v_mul_f64 v[4:5], v[182:183], v[100:101]
	s_waitcnt vmcnt(30) lgkmcnt(1)
	v_mul_f64 v[210:211], v[200:201], v[128:129]
	v_fma_f64 v[4:5], v[180:181], v[102:103], -v[4:5]
	s_waitcnt vmcnt(28)
	v_fmac_f64_e32 v[210:211], v[202:203], v[130:131]
	v_add_f64 v[2:3], v[2:3], v[4:5]
	v_mul_f64 v[4:5], v[186:187], v[112:113]
	v_add_f64 v[212:213], v[208:209], v[210:211]
	ds_read_b128 v[208:211], v137 offset:688
	s_waitcnt lgkmcnt(1)
	v_mul_f64 v[214:215], v[204:205], v[124:125]
	v_fma_f64 v[4:5], v[184:185], v[114:115], -v[4:5]
	v_fmac_f64_e32 v[214:215], v[206:207], v[126:127]
	v_add_f64 v[2:3], v[2:3], v[4:5]
	v_mul_f64 v[4:5], v[190:191], v[108:109]
	v_add_f64 v[216:217], v[212:213], v[214:215]
	ds_read_b128 v[212:215], v137 offset:704
	v_fma_f64 v[4:5], v[188:189], v[110:111], -v[4:5]
	v_add_f64 v[2:3], v[2:3], v[4:5]
	v_mul_f64 v[4:5], v[194:195], v[120:121]
	v_fma_f64 v[4:5], v[192:193], v[122:123], -v[4:5]
	s_waitcnt vmcnt(22) lgkmcnt(1)
	v_mul_f64 v[218:219], v[208:209], v[146:147]
	v_add_f64 v[2:3], v[2:3], v[4:5]
	v_mul_f64 v[4:5], v[198:199], v[116:117]
	s_waitcnt vmcnt(20)
	v_fmac_f64_e32 v[218:219], v[210:211], v[236:237]
	v_fma_f64 v[4:5], v[196:197], v[118:119], -v[4:5]
	v_add_f64 v[220:221], v[216:217], v[218:219]
	ds_read_b128 v[216:219], v137 offset:720
	s_waitcnt lgkmcnt(1)
	v_mul_f64 v[222:223], v[212:213], v[132:133]
	v_add_f64 v[2:3], v[2:3], v[4:5]
	v_mul_f64 v[4:5], v[202:203], v[128:129]
	v_fmac_f64_e32 v[222:223], v[214:215], v[134:135]
	v_fma_f64 v[4:5], v[200:201], v[130:131], -v[4:5]
	v_add_f64 v[224:225], v[220:221], v[222:223]
	ds_read_b128 v[220:223], v137 offset:736
	v_add_f64 v[2:3], v[2:3], v[4:5]
	v_mul_f64 v[4:5], v[206:207], v[124:125]
	v_fma_f64 v[4:5], v[204:205], v[126:127], -v[4:5]
	v_add_f64 v[2:3], v[2:3], v[4:5]
	v_mul_f64 v[4:5], v[210:211], v[146:147]
	s_waitcnt vmcnt(14) lgkmcnt(1)
	v_mul_f64 v[226:227], v[216:217], v[242:243]
	v_fma_f64 v[4:5], v[208:209], v[236:237], -v[4:5]
	s_waitcnt vmcnt(12)
	v_fmac_f64_e32 v[226:227], v[218:219], v[244:245]
	v_add_f64 v[2:3], v[2:3], v[4:5]
	v_mul_f64 v[4:5], v[214:215], v[132:133]
	v_add_f64 v[228:229], v[224:225], v[226:227]
	ds_read_b128 v[224:227], v137 offset:752
	s_waitcnt lgkmcnt(1)
	v_mul_f64 v[230:231], v[220:221], v[238:239]
	v_fma_f64 v[4:5], v[212:213], v[134:135], -v[4:5]
	v_fmac_f64_e32 v[230:231], v[222:223], v[240:241]
	v_add_f64 v[2:3], v[2:3], v[4:5]
	v_mul_f64 v[4:5], v[218:219], v[242:243]
	v_add_f64 v[150:151], v[228:229], v[230:231]
	ds_read_b128 v[228:231], v137 offset:768
	ds_read_b128 v[232:235], v137 offset:784
	v_fma_f64 v[4:5], v[216:217], v[244:245], -v[4:5]
	v_add_f64 v[2:3], v[2:3], v[4:5]
	v_mul_f64 v[4:5], v[222:223], v[238:239]
	v_fma_f64 v[4:5], v[220:221], v[240:241], -v[4:5]
	v_add_f64 v[2:3], v[2:3], v[4:5]
	s_waitcnt vmcnt(6) lgkmcnt(2)
	v_mul_f64 v[4:5], v[226:227], v[250:251]
	v_mul_f64 v[152:153], v[224:225], v[250:251]
	s_waitcnt vmcnt(4)
	v_fma_f64 v[4:5], v[224:225], v[252:253], -v[4:5]
	v_fmac_f64_e32 v[152:153], v[226:227], v[252:253]
	v_add_f64 v[2:3], v[2:3], v[4:5]
	s_waitcnt lgkmcnt(1)
	v_mul_f64 v[4:5], v[230:231], v[246:247]
	v_add_f64 v[150:151], v[150:151], v[152:153]
	v_mul_f64 v[152:153], v[228:229], v[246:247]
	v_fma_f64 v[4:5], v[228:229], v[248:249], -v[4:5]
	v_fmac_f64_e32 v[152:153], v[230:231], v[248:249]
	v_add_f64 v[2:3], v[2:3], v[4:5]
	s_waitcnt vmcnt(2) lgkmcnt(0)
	v_mul_f64 v[4:5], v[234:235], v[254:255]
	v_add_f64 v[150:151], v[150:151], v[152:153]
	v_mul_f64 v[152:153], v[232:233], v[254:255]
	s_waitcnt vmcnt(0)
	v_fma_f64 v[4:5], v[232:233], v[148:149], -v[4:5]
	v_fmac_f64_e32 v[152:153], v[234:235], v[148:149]
	v_add_f64 v[2:3], v[2:3], v[4:5]
	v_add_f64 v[150:151], v[150:151], v[152:153]
	v_add_f64 v[2:3], v[20:21], -v[2:3]
	v_cmp_lt_u32_e32 vcc, 1, v171
	v_add_f64 v[4:5], v[18:19], -v[150:151]
	buffer_store_dword v3, off, s[0:3], 0 offset:36
	buffer_store_dword v2, off, s[0:3], 0 offset:32
	;; [unrolled: 1-line block ×4, first 2 shown]
	s_and_saveexec_b64 s[6:7], vcc
	s_cbranch_execz .LBB24_161
; %bb.160:
	v_accvgpr_read_b32 v5, a21
	buffer_load_dword v2, v5, s[0:3], 0 offen
	buffer_load_dword v3, v5, s[0:3], 0 offen offset:4
	buffer_load_dword v4, v5, s[0:3], 0 offen offset:8
	s_nop 0
	buffer_load_dword v5, v5, s[0:3], 0 offen offset:12
	v_mov_b32_e32 v6, 0
	buffer_store_dword v6, off, s[0:3], 0 offset:16
	buffer_store_dword v6, off, s[0:3], 0 offset:20
	;; [unrolled: 1-line block ×4, first 2 shown]
	s_waitcnt vmcnt(4)
	ds_write_b128 v136, v[2:5]
.LBB24_161:
	s_or_b64 exec, exec, s[6:7]
	s_waitcnt lgkmcnt(0)
	; wave barrier
	s_waitcnt lgkmcnt(0)
	buffer_load_dword v9, off, s[0:3], 0 offset:44
	buffer_load_dword v6, off, s[0:3], 0 offset:56
	;; [unrolled: 1-line block ×64, first 2 shown]
	v_mov_b32_e32 v172, 0
	ds_read_b128 v[124:127], v172 offset:432
	ds_read_b128 v[128:131], v172 offset:448
	buffer_load_dword v117, off, s[0:3], 0 offset:300
	buffer_load_dword v116, off, s[0:3], 0 offset:296
	;; [unrolled: 1-line block ×8, first 2 shown]
	ds_read_b128 v[132:135], v172 offset:464
	ds_read_b128 v[138:141], v172 offset:480
	buffer_load_dword v147, off, s[0:3], 0 offset:332
	buffer_load_dword v146, off, s[0:3], 0 offset:328
	;; [unrolled: 1-line block ×24, first 2 shown]
	ds_read_b128 v[242:245], v172 offset:784
	v_cmp_ne_u32_e32 vcc, 0, v171
	s_waitcnt vmcnt(62) lgkmcnt(1)
	v_mul_f64 v[176:177], v[138:139], v[22:23]
	v_fmac_f64_e32 v[176:177], v[140:141], v[24:25]
	v_mul_f64 v[144:145], v[128:129], v[6:7]
	v_mul_f64 v[142:143], v[124:125], v[8:9]
	;; [unrolled: 1-line block ×3, first 2 shown]
	v_fmac_f64_e32 v[142:143], v[126:127], v[10:11]
	v_add_f64 v[142:143], v[142:143], 0
	v_fma_f64 v[8:9], v[124:125], v[10:11], -v[8:9]
	v_mul_f64 v[6:7], v[130:131], v[6:7]
	v_add_f64 v[8:9], v[8:9], 0
	v_fmac_f64_e32 v[144:145], v[130:131], v[14:15]
	v_add_f64 v[142:143], v[142:143], v[144:145]
	v_mul_f64 v[144:145], v[132:133], v[16:17]
	v_fmac_f64_e32 v[144:145], v[134:135], v[12:13]
	v_add_f64 v[174:175], v[142:143], v[144:145]
	ds_read_b128 v[142:145], v172 offset:496
	v_add_f64 v[178:179], v[174:175], v[176:177]
	ds_read_b128 v[174:177], v172 offset:512
	v_fma_f64 v[6:7], v[128:129], v[14:15], -v[6:7]
	v_add_f64 v[6:7], v[8:9], v[6:7]
	s_waitcnt lgkmcnt(1)
	v_mul_f64 v[180:181], v[142:143], v[18:19]
	v_fmac_f64_e32 v[180:181], v[144:145], v[20:21]
	v_add_f64 v[182:183], v[178:179], v[180:181]
	ds_read_b128 v[178:181], v172 offset:528
	s_waitcnt lgkmcnt(1)
	v_mul_f64 v[184:185], v[174:175], v[30:31]
	v_fmac_f64_e32 v[184:185], v[176:177], v[32:33]
	v_add_f64 v[186:187], v[182:183], v[184:185]
	ds_read_b128 v[182:185], v172 offset:544
	;; [unrolled: 5-line block ×3, first 2 shown]
	s_waitcnt vmcnt(58) lgkmcnt(1)
	v_mul_f64 v[192:193], v[182:183], v[88:89]
	s_waitcnt vmcnt(56)
	v_fmac_f64_e32 v[192:193], v[184:185], v[90:91]
	v_add_f64 v[194:195], v[190:191], v[192:193]
	ds_read_b128 v[190:193], v172 offset:576
	s_waitcnt lgkmcnt(1)
	v_mul_f64 v[196:197], v[186:187], v[84:85]
	v_fmac_f64_e32 v[196:197], v[188:189], v[86:87]
	v_add_f64 v[198:199], v[194:195], v[196:197]
	ds_read_b128 v[194:197], v172 offset:592
	s_waitcnt vmcnt(50) lgkmcnt(1)
	v_mul_f64 v[200:201], v[190:191], v[96:97]
	s_waitcnt vmcnt(48)
	v_fmac_f64_e32 v[200:201], v[192:193], v[98:99]
	v_add_f64 v[202:203], v[198:199], v[200:201]
	ds_read_b128 v[198:201], v172 offset:608
	v_mul_f64 v[8:9], v[134:135], v[16:17]
	s_waitcnt lgkmcnt(1)
	v_mul_f64 v[204:205], v[194:195], v[92:93]
	v_fma_f64 v[8:9], v[132:133], v[12:13], -v[8:9]
	v_fmac_f64_e32 v[204:205], v[196:197], v[94:95]
	v_add_f64 v[6:7], v[6:7], v[8:9]
	v_mul_f64 v[8:9], v[140:141], v[22:23]
	v_add_f64 v[206:207], v[202:203], v[204:205]
	ds_read_b128 v[202:205], v172 offset:624
	s_waitcnt vmcnt(42) lgkmcnt(1)
	v_mul_f64 v[208:209], v[198:199], v[104:105]
	v_fma_f64 v[8:9], v[138:139], v[24:25], -v[8:9]
	s_waitcnt vmcnt(40)
	v_fmac_f64_e32 v[208:209], v[200:201], v[106:107]
	v_add_f64 v[6:7], v[6:7], v[8:9]
	v_mul_f64 v[8:9], v[144:145], v[18:19]
	v_add_f64 v[210:211], v[206:207], v[208:209]
	ds_read_b128 v[206:209], v172 offset:640
	v_fma_f64 v[8:9], v[142:143], v[20:21], -v[8:9]
	v_add_f64 v[6:7], v[6:7], v[8:9]
	v_mul_f64 v[8:9], v[176:177], v[30:31]
	v_fma_f64 v[8:9], v[174:175], v[32:33], -v[8:9]
	s_waitcnt lgkmcnt(1)
	v_mul_f64 v[212:213], v[202:203], v[100:101]
	v_add_f64 v[6:7], v[6:7], v[8:9]
	v_mul_f64 v[8:9], v[180:181], v[26:27]
	v_fmac_f64_e32 v[212:213], v[204:205], v[102:103]
	v_fma_f64 v[8:9], v[178:179], v[28:29], -v[8:9]
	v_add_f64 v[214:215], v[210:211], v[212:213]
	ds_read_b128 v[210:213], v172 offset:656
	s_waitcnt vmcnt(34) lgkmcnt(1)
	v_mul_f64 v[216:217], v[206:207], v[112:113]
	v_add_f64 v[6:7], v[6:7], v[8:9]
	v_mul_f64 v[8:9], v[184:185], v[88:89]
	s_waitcnt vmcnt(32)
	v_fmac_f64_e32 v[216:217], v[208:209], v[114:115]
	v_fma_f64 v[8:9], v[182:183], v[90:91], -v[8:9]
	v_add_f64 v[218:219], v[214:215], v[216:217]
	ds_read_b128 v[214:217], v172 offset:672
	v_add_f64 v[6:7], v[6:7], v[8:9]
	v_mul_f64 v[8:9], v[188:189], v[84:85]
	v_fma_f64 v[8:9], v[186:187], v[86:87], -v[8:9]
	v_add_f64 v[6:7], v[6:7], v[8:9]
	v_mul_f64 v[8:9], v[192:193], v[96:97]
	s_waitcnt lgkmcnt(1)
	v_mul_f64 v[220:221], v[210:211], v[108:109]
	v_fma_f64 v[8:9], v[190:191], v[98:99], -v[8:9]
	v_fmac_f64_e32 v[220:221], v[212:213], v[110:111]
	v_add_f64 v[6:7], v[6:7], v[8:9]
	v_mul_f64 v[8:9], v[196:197], v[92:93]
	v_add_f64 v[222:223], v[218:219], v[220:221]
	ds_read_b128 v[218:221], v172 offset:688
	s_waitcnt vmcnt(26) lgkmcnt(1)
	v_mul_f64 v[224:225], v[214:215], v[120:121]
	v_fma_f64 v[8:9], v[194:195], v[94:95], -v[8:9]
	s_waitcnt vmcnt(24)
	v_fmac_f64_e32 v[224:225], v[216:217], v[122:123]
	v_add_f64 v[6:7], v[6:7], v[8:9]
	v_mul_f64 v[8:9], v[200:201], v[104:105]
	v_add_f64 v[226:227], v[222:223], v[224:225]
	ds_read_b128 v[222:225], v172 offset:704
	v_fma_f64 v[8:9], v[198:199], v[106:107], -v[8:9]
	v_add_f64 v[6:7], v[6:7], v[8:9]
	v_mul_f64 v[8:9], v[204:205], v[100:101]
	v_fma_f64 v[8:9], v[202:203], v[102:103], -v[8:9]
	s_waitcnt lgkmcnt(1)
	v_mul_f64 v[228:229], v[218:219], v[116:117]
	v_add_f64 v[6:7], v[6:7], v[8:9]
	v_mul_f64 v[8:9], v[208:209], v[112:113]
	v_fmac_f64_e32 v[228:229], v[220:221], v[118:119]
	v_fma_f64 v[8:9], v[206:207], v[114:115], -v[8:9]
	v_add_f64 v[230:231], v[226:227], v[228:229]
	ds_read_b128 v[226:229], v172 offset:720
	s_waitcnt vmcnt(18) lgkmcnt(1)
	v_mul_f64 v[232:233], v[222:223], v[150:151]
	v_add_f64 v[6:7], v[6:7], v[8:9]
	v_mul_f64 v[8:9], v[212:213], v[108:109]
	s_waitcnt vmcnt(16)
	v_fmac_f64_e32 v[232:233], v[224:225], v[152:153]
	v_fma_f64 v[8:9], v[210:211], v[110:111], -v[8:9]
	v_add_f64 v[234:235], v[230:231], v[232:233]
	ds_read_b128 v[230:233], v172 offset:736
	v_add_f64 v[6:7], v[6:7], v[8:9]
	v_mul_f64 v[8:9], v[216:217], v[120:121]
	v_fma_f64 v[8:9], v[214:215], v[122:123], -v[8:9]
	v_add_f64 v[6:7], v[6:7], v[8:9]
	v_mul_f64 v[8:9], v[220:221], v[116:117]
	s_waitcnt lgkmcnt(1)
	v_mul_f64 v[236:237], v[226:227], v[146:147]
	v_fma_f64 v[8:9], v[218:219], v[118:119], -v[8:9]
	v_fmac_f64_e32 v[236:237], v[228:229], v[148:149]
	v_add_f64 v[6:7], v[6:7], v[8:9]
	v_mul_f64 v[8:9], v[224:225], v[150:151]
	v_add_f64 v[238:239], v[234:235], v[236:237]
	ds_read_b128 v[234:237], v172 offset:752
	s_waitcnt vmcnt(10) lgkmcnt(1)
	v_mul_f64 v[240:241], v[230:231], v[250:251]
	v_fma_f64 v[8:9], v[222:223], v[152:153], -v[8:9]
	s_waitcnt vmcnt(8)
	v_fmac_f64_e32 v[240:241], v[232:233], v[252:253]
	v_add_f64 v[6:7], v[6:7], v[8:9]
	v_mul_f64 v[8:9], v[228:229], v[146:147]
	v_add_f64 v[160:161], v[238:239], v[240:241]
	ds_read_b128 v[238:241], v172 offset:768
	v_fma_f64 v[8:9], v[226:227], v[148:149], -v[8:9]
	v_add_f64 v[6:7], v[6:7], v[8:9]
	v_mul_f64 v[8:9], v[232:233], v[250:251]
	v_fma_f64 v[8:9], v[230:231], v[252:253], -v[8:9]
	v_add_f64 v[6:7], v[6:7], v[8:9]
	s_waitcnt lgkmcnt(1)
	v_mul_f64 v[8:9], v[236:237], v[246:247]
	v_mul_f64 v[162:163], v[234:235], v[246:247]
	v_fma_f64 v[8:9], v[234:235], v[248:249], -v[8:9]
	v_fmac_f64_e32 v[162:163], v[236:237], v[248:249]
	v_add_f64 v[6:7], v[6:7], v[8:9]
	s_waitcnt vmcnt(2) lgkmcnt(0)
	v_mul_f64 v[8:9], v[240:241], v[156:157]
	v_add_f64 v[160:161], v[160:161], v[162:163]
	v_mul_f64 v[162:163], v[238:239], v[156:157]
	s_waitcnt vmcnt(0)
	v_fma_f64 v[8:9], v[238:239], v[158:159], -v[8:9]
	v_fmac_f64_e32 v[162:163], v[240:241], v[158:159]
	v_add_f64 v[6:7], v[6:7], v[8:9]
	v_mul_f64 v[8:9], v[244:245], v[254:255]
	v_add_f64 v[160:161], v[160:161], v[162:163]
	v_mul_f64 v[162:163], v[242:243], v[254:255]
	v_fma_f64 v[8:9], v[242:243], v[154:155], -v[8:9]
	v_fmac_f64_e32 v[162:163], v[244:245], v[154:155]
	v_add_f64 v[6:7], v[6:7], v[8:9]
	v_add_f64 v[160:161], v[160:161], v[162:163]
	v_add_f64 v[4:5], v[4:5], -v[6:7]
	v_add_f64 v[2:3], v[2:3], -v[160:161]
	buffer_store_dword v5, off, s[0:3], 0 offset:20
	buffer_store_dword v4, off, s[0:3], 0 offset:16
	;; [unrolled: 1-line block ×4, first 2 shown]
	s_and_saveexec_b64 s[6:7], vcc
	s_cbranch_execz .LBB24_163
; %bb.162:
	buffer_load_dword v2, off, s[0:3], 0
	buffer_load_dword v3, off, s[0:3], 0 offset:4
	buffer_load_dword v4, off, s[0:3], 0 offset:8
	buffer_load_dword v5, off, s[0:3], 0 offset:12
	s_nop 0
	buffer_store_dword v172, off, s[0:3], 0
	buffer_store_dword v172, off, s[0:3], 0 offset:4
	buffer_store_dword v172, off, s[0:3], 0 offset:8
	;; [unrolled: 1-line block ×3, first 2 shown]
	s_waitcnt vmcnt(4)
	ds_write_b128 v136, v[2:5]
.LBB24_163:
	s_or_b64 exec, exec, s[6:7]
	s_waitcnt lgkmcnt(0)
	; wave barrier
	s_waitcnt lgkmcnt(0)
	buffer_load_dword v22, off, s[0:3], 0 offset:16
	buffer_load_dword v23, off, s[0:3], 0 offset:20
	;; [unrolled: 1-line block ×12, first 2 shown]
	buffer_load_dword v20, off, s[0:3], 0
	buffer_load_dword v21, off, s[0:3], 0 offset:4
	buffer_load_dword v18, off, s[0:3], 0 offset:8
	;; [unrolled: 1-line block ×3, first 2 shown]
	ds_read_b128 v[2:5], v172 offset:416
	ds_read_b128 v[6:9], v172 offset:432
	;; [unrolled: 1-line block ×4, first 2 shown]
	buffer_load_dword v85, off, s[0:3], 0 offset:92
	buffer_load_dword v84, off, s[0:3], 0 offset:88
	;; [unrolled: 1-line block ×48, first 2 shown]
	s_and_b64 vcc, exec, s[26:27]
	s_waitcnt vmcnt(60) lgkmcnt(3)
	v_mul_f64 v[132:133], v[2:3], v[24:25]
	v_fmac_f64_e32 v[132:133], v[4:5], v[22:23]
	v_add_f64 v[132:133], v[132:133], 0
	v_mul_f64 v[4:5], v[4:5], v[24:25]
	s_waitcnt vmcnt(56) lgkmcnt(2)
	v_mul_f64 v[134:135], v[6:7], v[32:33]
	v_fma_f64 v[2:3], v[2:3], v[22:23], -v[4:5]
	v_mul_f64 v[4:5], v[8:9], v[32:33]
	v_add_f64 v[2:3], v[2:3], 0
	s_waitcnt vmcnt(52)
	v_fmac_f64_e32 v[134:135], v[8:9], v[28:29]
	v_add_f64 v[150:151], v[132:133], v[134:135]
	buffer_load_dword v133, off, s[0:3], 0 offset:284
	buffer_load_dword v132, off, s[0:3], 0 offset:280
	;; [unrolled: 1-line block ×32, first 2 shown]
	ds_read_b128 v[174:177], v172 offset:480
	buffer_load_dword v167, off, s[0:3], 0 offset:396
	buffer_load_dword v166, off, s[0:3], 0 offset:392
	;; [unrolled: 1-line block ×4, first 2 shown]
	v_fma_f64 v[4:5], v[6:7], v[28:29], -v[4:5]
	v_add_f64 v[2:3], v[2:3], v[4:5]
	s_waitcnt lgkmcnt(2)
	v_mul_f64 v[4:5], v[12:13], v[26:27]
	v_mul_f64 v[148:149], v[10:11], v[26:27]
	ds_read_b128 v[178:181], v172 offset:496
	ds_read_b128 v[182:185], v172 offset:512
	v_fma_f64 v[4:5], v[10:11], v[30:31], -v[4:5]
	v_fmac_f64_e32 v[148:149], v[12:13], v[30:31]
	v_add_f64 v[2:3], v[2:3], v[4:5]
	s_waitcnt vmcnt(62) lgkmcnt(3)
	v_mul_f64 v[4:5], v[16:17], v[88:89]
	v_add_f64 v[148:149], v[150:151], v[148:149]
	v_mul_f64 v[150:151], v[14:15], v[88:89]
	v_fma_f64 v[4:5], v[14:15], v[90:91], -v[4:5]
	v_fmac_f64_e32 v[150:151], v[16:17], v[90:91]
	v_add_f64 v[2:3], v[2:3], v[4:5]
	s_waitcnt lgkmcnt(2)
	v_mul_f64 v[4:5], v[176:177], v[84:85]
	v_add_f64 v[148:149], v[148:149], v[150:151]
	v_mul_f64 v[150:151], v[174:175], v[84:85]
	ds_read_b128 v[186:189], v172 offset:528
	ds_read_b128 v[190:193], v172 offset:544
	v_fma_f64 v[4:5], v[174:175], v[86:87], -v[4:5]
	v_fmac_f64_e32 v[150:151], v[176:177], v[86:87]
	v_add_f64 v[2:3], v[2:3], v[4:5]
	s_waitcnt lgkmcnt(3)
	v_mul_f64 v[4:5], v[180:181], v[96:97]
	v_add_f64 v[148:149], v[148:149], v[150:151]
	v_mul_f64 v[150:151], v[178:179], v[96:97]
	v_fma_f64 v[4:5], v[178:179], v[98:99], -v[4:5]
	v_fmac_f64_e32 v[150:151], v[180:181], v[98:99]
	v_add_f64 v[2:3], v[2:3], v[4:5]
	s_waitcnt lgkmcnt(2)
	v_mul_f64 v[4:5], v[184:185], v[92:93]
	v_add_f64 v[148:149], v[148:149], v[150:151]
	v_mul_f64 v[150:151], v[182:183], v[92:93]
	ds_read_b128 v[194:197], v172 offset:560
	ds_read_b128 v[198:201], v172 offset:576
	v_fma_f64 v[4:5], v[182:183], v[94:95], -v[4:5]
	v_fmac_f64_e32 v[150:151], v[184:185], v[94:95]
	v_add_f64 v[2:3], v[2:3], v[4:5]
	s_waitcnt lgkmcnt(3)
	v_mul_f64 v[4:5], v[188:189], v[104:105]
	v_add_f64 v[148:149], v[148:149], v[150:151]
	v_mul_f64 v[150:151], v[186:187], v[104:105]
	s_waitcnt vmcnt(60)
	v_fma_f64 v[4:5], v[186:187], v[106:107], -v[4:5]
	v_fmac_f64_e32 v[150:151], v[188:189], v[106:107]
	v_add_f64 v[2:3], v[2:3], v[4:5]
	s_waitcnt lgkmcnt(2)
	v_mul_f64 v[4:5], v[192:193], v[100:101]
	v_add_f64 v[148:149], v[148:149], v[150:151]
	v_mul_f64 v[150:151], v[190:191], v[100:101]
	ds_read_b128 v[202:205], v172 offset:592
	ds_read_b128 v[206:209], v172 offset:608
	v_fma_f64 v[4:5], v[190:191], v[102:103], -v[4:5]
	v_fmac_f64_e32 v[150:151], v[192:193], v[102:103]
	v_add_f64 v[2:3], v[2:3], v[4:5]
	s_waitcnt vmcnt(54) lgkmcnt(3)
	v_mul_f64 v[4:5], v[196:197], v[112:113]
	v_add_f64 v[148:149], v[148:149], v[150:151]
	v_mul_f64 v[150:151], v[194:195], v[112:113]
	s_waitcnt vmcnt(52)
	v_fma_f64 v[4:5], v[194:195], v[114:115], -v[4:5]
	v_fmac_f64_e32 v[150:151], v[196:197], v[114:115]
	v_add_f64 v[2:3], v[2:3], v[4:5]
	s_waitcnt lgkmcnt(2)
	v_mul_f64 v[4:5], v[200:201], v[108:109]
	v_add_f64 v[148:149], v[148:149], v[150:151]
	v_mul_f64 v[150:151], v[198:199], v[108:109]
	ds_read_b128 v[210:213], v172 offset:624
	ds_read_b128 v[214:217], v172 offset:640
	v_fma_f64 v[4:5], v[198:199], v[110:111], -v[4:5]
	v_fmac_f64_e32 v[150:151], v[200:201], v[110:111]
	v_add_f64 v[2:3], v[2:3], v[4:5]
	s_waitcnt vmcnt(46) lgkmcnt(3)
	;; [unrolled: 17-line block ×6, first 2 shown]
	v_mul_f64 v[4:5], v[236:237], v[156:157]
	v_add_f64 v[148:149], v[148:149], v[150:151]
	v_mul_f64 v[150:151], v[234:235], v[156:157]
	s_waitcnt vmcnt(12)
	v_fma_f64 v[4:5], v[234:235], v[158:159], -v[4:5]
	v_fmac_f64_e32 v[150:151], v[236:237], v[158:159]
	v_add_f64 v[2:3], v[2:3], v[4:5]
	s_waitcnt lgkmcnt(2)
	v_mul_f64 v[4:5], v[240:241], v[152:153]
	v_add_f64 v[148:149], v[148:149], v[150:151]
	v_mul_f64 v[150:151], v[238:239], v[152:153]
	ds_read_b128 v[250:253], v172 offset:784
	v_fma_f64 v[4:5], v[238:239], v[154:155], -v[4:5]
	v_fmac_f64_e32 v[150:151], v[240:241], v[154:155]
	v_add_f64 v[2:3], v[2:3], v[4:5]
	s_waitcnt vmcnt(6) lgkmcnt(2)
	v_mul_f64 v[4:5], v[244:245], v[254:255]
	v_add_f64 v[148:149], v[148:149], v[150:151]
	v_mul_f64 v[150:151], v[242:243], v[254:255]
	s_waitcnt vmcnt(4)
	v_fma_f64 v[4:5], v[242:243], v[164:165], -v[4:5]
	v_fmac_f64_e32 v[150:151], v[244:245], v[164:165]
	v_add_f64 v[2:3], v[2:3], v[4:5]
	s_waitcnt lgkmcnt(1)
	v_mul_f64 v[4:5], v[248:249], v[160:161]
	v_add_f64 v[148:149], v[148:149], v[150:151]
	v_mul_f64 v[150:151], v[246:247], v[160:161]
	v_fma_f64 v[4:5], v[246:247], v[162:163], -v[4:5]
	v_fmac_f64_e32 v[150:151], v[248:249], v[162:163]
	v_add_f64 v[2:3], v[2:3], v[4:5]
	s_waitcnt vmcnt(2) lgkmcnt(0)
	v_mul_f64 v[4:5], v[252:253], v[166:167]
	v_add_f64 v[148:149], v[148:149], v[150:151]
	v_mul_f64 v[150:151], v[250:251], v[166:167]
	s_waitcnt vmcnt(0)
	v_fma_f64 v[4:5], v[250:251], v[168:169], -v[4:5]
	v_fmac_f64_e32 v[150:151], v[252:253], v[168:169]
	v_add_f64 v[2:3], v[2:3], v[4:5]
	v_add_f64 v[148:149], v[148:149], v[150:151]
	v_add_f64 v[2:3], v[20:21], -v[2:3]
	v_add_f64 v[4:5], v[18:19], -v[148:149]
	buffer_store_dword v3, off, s[0:3], 0 offset:4
	buffer_store_dword v2, off, s[0:3], 0
	buffer_store_dword v5, off, s[0:3], 0 offset:12
	buffer_store_dword v4, off, s[0:3], 0 offset:8
	s_cbranch_vccz .LBB24_213
; %bb.164:
	v_pk_mov_b32 v[2:3], s[24:25], s[24:25] op_sel:[0,1]
	flat_load_dword v2, v[2:3] offset:92
	s_load_dwordx2 s[4:5], s[4:5], 0x4
	v_bfe_u32 v4, v0, 10, 10
	v_bfe_u32 v0, v0, 20, 10
	s_waitcnt lgkmcnt(0)
	s_lshr_b32 s4, s4, 16
	s_mul_i32 s4, s4, s5
	v_mul_u32_u24_e32 v3, s4, v171
	v_mul_u32_u24_e32 v4, s5, v4
	v_add3_u32 v0, v3, v4, v0
	v_mov_b32_e32 v3, 0x328
	v_lshl_add_u32 v0, v0, 4, v3
	s_waitcnt vmcnt(0)
	v_add_u32_e32 v2, -1, v2
	v_cmp_ne_u32_e32 vcc, 23, v2
	s_mov_b64 s[4:5], exec
	s_and_b64 s[6:7], s[4:5], vcc
	v_accvgpr_read_b32 v11, a1
	s_mov_b64 exec, s[6:7]
	s_cbranch_execz .LBB24_166
; %bb.165:
	v_mov_b32_e32 v3, 0
	v_lshl_add_u32 v6, v2, 4, v3
	buffer_load_dword v2, v11, s[0:3], 0 offen
	buffer_load_dword v3, v11, s[0:3], 0 offen offset:4
	buffer_load_dword v4, v11, s[0:3], 0 offen offset:8
	;; [unrolled: 1-line block ×3, first 2 shown]
	buffer_load_dword v7, v6, s[0:3], 0 offen
	buffer_load_dword v8, v6, s[0:3], 0 offen offset:4
	buffer_load_dword v9, v6, s[0:3], 0 offen offset:8
	;; [unrolled: 1-line block ×3, first 2 shown]
	s_waitcnt vmcnt(4)
	ds_write2_b64 v0, v[2:3], v[4:5] offset1:1
	s_waitcnt vmcnt(3)
	buffer_store_dword v7, v11, s[0:3], 0 offen
	s_waitcnt vmcnt(3)
	buffer_store_dword v8, v11, s[0:3], 0 offen offset:4
	s_waitcnt vmcnt(3)
	buffer_store_dword v9, v11, s[0:3], 0 offen offset:8
	;; [unrolled: 2-line block ×3, first 2 shown]
	buffer_store_dword v5, v6, s[0:3], 0 offen offset:12
	buffer_store_dword v4, v6, s[0:3], 0 offen offset:8
	;; [unrolled: 1-line block ×3, first 2 shown]
	buffer_store_dword v2, v6, s[0:3], 0 offen
.LBB24_166:
	s_or_b64 exec, exec, s[4:5]
	v_pk_mov_b32 v[2:3], s[24:25], s[24:25] op_sel:[0,1]
	flat_load_dword v2, v[2:3] offset:88
	s_waitcnt vmcnt(0) lgkmcnt(0)
	v_add_u32_e32 v2, -1, v2
	v_cmp_ne_u32_e32 vcc, 22, v2
	s_mov_b64 s[4:5], exec
	s_and_b64 s[6:7], s[4:5], vcc
	v_accvgpr_read_b32 v11, a2
	s_mov_b64 exec, s[6:7]
	s_cbranch_execz .LBB24_168
; %bb.167:
	v_mov_b32_e32 v3, 0
	v_lshl_add_u32 v6, v2, 4, v3
	buffer_load_dword v2, v11, s[0:3], 0 offen
	buffer_load_dword v3, v11, s[0:3], 0 offen offset:4
	buffer_load_dword v4, v11, s[0:3], 0 offen offset:8
	;; [unrolled: 1-line block ×3, first 2 shown]
	buffer_load_dword v7, v6, s[0:3], 0 offen
	buffer_load_dword v8, v6, s[0:3], 0 offen offset:4
	buffer_load_dword v9, v6, s[0:3], 0 offen offset:8
	;; [unrolled: 1-line block ×3, first 2 shown]
	s_waitcnt vmcnt(4)
	ds_write2_b64 v0, v[2:3], v[4:5] offset1:1
	s_waitcnt vmcnt(3)
	buffer_store_dword v7, v11, s[0:3], 0 offen
	s_waitcnt vmcnt(3)
	buffer_store_dword v8, v11, s[0:3], 0 offen offset:4
	s_waitcnt vmcnt(3)
	buffer_store_dword v9, v11, s[0:3], 0 offen offset:8
	;; [unrolled: 2-line block ×3, first 2 shown]
	buffer_store_dword v5, v6, s[0:3], 0 offen offset:12
	buffer_store_dword v4, v6, s[0:3], 0 offen offset:8
	;; [unrolled: 1-line block ×3, first 2 shown]
	buffer_store_dword v2, v6, s[0:3], 0 offen
.LBB24_168:
	s_or_b64 exec, exec, s[4:5]
	v_pk_mov_b32 v[2:3], s[24:25], s[24:25] op_sel:[0,1]
	flat_load_dword v2, v[2:3] offset:84
	s_waitcnt vmcnt(0) lgkmcnt(0)
	v_add_u32_e32 v2, -1, v2
	v_cmp_ne_u32_e32 vcc, 21, v2
	s_and_saveexec_b64 s[4:5], vcc
	s_cbranch_execz .LBB24_170
; %bb.169:
	v_mov_b32_e32 v3, 0
	v_accvgpr_read_b32 v11, a3
	v_lshl_add_u32 v6, v2, 4, v3
	buffer_load_dword v2, v11, s[0:3], 0 offen
	buffer_load_dword v3, v11, s[0:3], 0 offen offset:4
	buffer_load_dword v4, v11, s[0:3], 0 offen offset:8
	buffer_load_dword v5, v11, s[0:3], 0 offen offset:12
	buffer_load_dword v7, v6, s[0:3], 0 offen
	buffer_load_dword v8, v6, s[0:3], 0 offen offset:4
	buffer_load_dword v9, v6, s[0:3], 0 offen offset:8
	buffer_load_dword v10, v6, s[0:3], 0 offen offset:12
	s_waitcnt vmcnt(4)
	ds_write2_b64 v0, v[2:3], v[4:5] offset1:1
	s_waitcnt vmcnt(3)
	buffer_store_dword v7, v11, s[0:3], 0 offen
	s_waitcnt vmcnt(3)
	buffer_store_dword v8, v11, s[0:3], 0 offen offset:4
	s_waitcnt vmcnt(3)
	buffer_store_dword v9, v11, s[0:3], 0 offen offset:8
	s_waitcnt vmcnt(3)
	buffer_store_dword v10, v11, s[0:3], 0 offen offset:12
	buffer_store_dword v5, v6, s[0:3], 0 offen offset:12
	buffer_store_dword v4, v6, s[0:3], 0 offen offset:8
	buffer_store_dword v3, v6, s[0:3], 0 offen offset:4
	buffer_store_dword v2, v6, s[0:3], 0 offen
.LBB24_170:
	s_or_b64 exec, exec, s[4:5]
	v_pk_mov_b32 v[2:3], s[24:25], s[24:25] op_sel:[0,1]
	flat_load_dword v2, v[2:3] offset:80
	s_waitcnt vmcnt(0) lgkmcnt(0)
	v_add_u32_e32 v2, -1, v2
	v_cmp_ne_u32_e32 vcc, 20, v2
	s_and_saveexec_b64 s[4:5], vcc
	s_cbranch_execz .LBB24_172
; %bb.171:
	v_mov_b32_e32 v3, 0
	v_accvgpr_read_b32 v11, a4
	v_lshl_add_u32 v6, v2, 4, v3
	buffer_load_dword v2, v11, s[0:3], 0 offen
	buffer_load_dword v3, v11, s[0:3], 0 offen offset:4
	buffer_load_dword v4, v11, s[0:3], 0 offen offset:8
	buffer_load_dword v5, v11, s[0:3], 0 offen offset:12
	buffer_load_dword v7, v6, s[0:3], 0 offen
	buffer_load_dword v8, v6, s[0:3], 0 offen offset:4
	buffer_load_dword v9, v6, s[0:3], 0 offen offset:8
	buffer_load_dword v10, v6, s[0:3], 0 offen offset:12
	s_waitcnt vmcnt(4)
	ds_write2_b64 v0, v[2:3], v[4:5] offset1:1
	s_waitcnt vmcnt(3)
	buffer_store_dword v7, v11, s[0:3], 0 offen
	s_waitcnt vmcnt(3)
	buffer_store_dword v8, v11, s[0:3], 0 offen offset:4
	s_waitcnt vmcnt(3)
	buffer_store_dword v9, v11, s[0:3], 0 offen offset:8
	s_waitcnt vmcnt(3)
	buffer_store_dword v10, v11, s[0:3], 0 offen offset:12
	buffer_store_dword v5, v6, s[0:3], 0 offen offset:12
	buffer_store_dword v4, v6, s[0:3], 0 offen offset:8
	buffer_store_dword v3, v6, s[0:3], 0 offen offset:4
	buffer_store_dword v2, v6, s[0:3], 0 offen
.LBB24_172:
	;; [unrolled: 35-line block ×18, first 2 shown]
	s_or_b64 exec, exec, s[4:5]
	v_pk_mov_b32 v[2:3], s[24:25], s[24:25] op_sel:[0,1]
	flat_load_dword v2, v[2:3] offset:12
	s_waitcnt vmcnt(0) lgkmcnt(0)
	v_add_u32_e32 v2, -1, v2
	v_cmp_ne_u32_e32 vcc, 3, v2
	s_and_saveexec_b64 s[4:5], vcc
	s_cbranch_execz .LBB24_206
; %bb.205:
	v_mov_b32_e32 v3, 0
	v_lshl_add_u32 v6, v2, 4, v3
	buffer_load_dword v2, v170, s[0:3], 0 offen
	buffer_load_dword v3, v170, s[0:3], 0 offen offset:4
	buffer_load_dword v4, v170, s[0:3], 0 offen offset:8
	buffer_load_dword v5, v170, s[0:3], 0 offen offset:12
	buffer_load_dword v7, v6, s[0:3], 0 offen
	buffer_load_dword v8, v6, s[0:3], 0 offen offset:4
	buffer_load_dword v9, v6, s[0:3], 0 offen offset:8
	;; [unrolled: 1-line block ×3, first 2 shown]
	s_waitcnt vmcnt(4)
	ds_write2_b64 v0, v[2:3], v[4:5] offset1:1
	s_waitcnt vmcnt(3)
	buffer_store_dword v7, v170, s[0:3], 0 offen
	s_waitcnt vmcnt(3)
	buffer_store_dword v8, v170, s[0:3], 0 offen offset:4
	s_waitcnt vmcnt(3)
	buffer_store_dword v9, v170, s[0:3], 0 offen offset:8
	;; [unrolled: 2-line block ×3, first 2 shown]
	buffer_store_dword v5, v6, s[0:3], 0 offen offset:12
	buffer_store_dword v4, v6, s[0:3], 0 offen offset:8
	;; [unrolled: 1-line block ×3, first 2 shown]
	buffer_store_dword v2, v6, s[0:3], 0 offen
.LBB24_206:
	s_or_b64 exec, exec, s[4:5]
	v_pk_mov_b32 v[2:3], s[24:25], s[24:25] op_sel:[0,1]
	flat_load_dword v2, v[2:3] offset:8
	s_waitcnt vmcnt(0) lgkmcnt(0)
	v_add_u32_e32 v2, -1, v2
	v_cmp_ne_u32_e32 vcc, 2, v2
	s_and_saveexec_b64 s[4:5], vcc
	s_cbranch_execz .LBB24_208
; %bb.207:
	v_mov_b32_e32 v3, 0
	v_lshl_add_u32 v6, v2, 4, v3
	buffer_load_dword v2, v1, s[0:3], 0 offen
	buffer_load_dword v3, v1, s[0:3], 0 offen offset:4
	buffer_load_dword v4, v1, s[0:3], 0 offen offset:8
	;; [unrolled: 1-line block ×3, first 2 shown]
	buffer_load_dword v7, v6, s[0:3], 0 offen
	buffer_load_dword v8, v6, s[0:3], 0 offen offset:4
	buffer_load_dword v9, v6, s[0:3], 0 offen offset:8
	;; [unrolled: 1-line block ×3, first 2 shown]
	s_waitcnt vmcnt(4)
	ds_write2_b64 v0, v[2:3], v[4:5] offset1:1
	s_waitcnt vmcnt(3)
	buffer_store_dword v7, v1, s[0:3], 0 offen
	s_waitcnt vmcnt(3)
	buffer_store_dword v8, v1, s[0:3], 0 offen offset:4
	s_waitcnt vmcnt(3)
	buffer_store_dword v9, v1, s[0:3], 0 offen offset:8
	;; [unrolled: 2-line block ×3, first 2 shown]
	buffer_store_dword v5, v6, s[0:3], 0 offen offset:12
	buffer_store_dword v4, v6, s[0:3], 0 offen offset:8
	;; [unrolled: 1-line block ×3, first 2 shown]
	buffer_store_dword v2, v6, s[0:3], 0 offen
.LBB24_208:
	s_or_b64 exec, exec, s[4:5]
	v_pk_mov_b32 v[2:3], s[24:25], s[24:25] op_sel:[0,1]
	flat_load_dword v2, v[2:3] offset:4
	s_waitcnt vmcnt(0) lgkmcnt(0)
	v_add_u32_e32 v2, -1, v2
	v_cmp_ne_u32_e32 vcc, 1, v2
	s_and_saveexec_b64 s[4:5], vcc
	s_cbranch_execz .LBB24_210
; %bb.209:
	v_mov_b32_e32 v3, 0
	v_accvgpr_read_b32 v11, a21
	v_lshl_add_u32 v6, v2, 4, v3
	buffer_load_dword v2, v11, s[0:3], 0 offen
	buffer_load_dword v3, v11, s[0:3], 0 offen offset:4
	buffer_load_dword v4, v11, s[0:3], 0 offen offset:8
	;; [unrolled: 1-line block ×3, first 2 shown]
	buffer_load_dword v7, v6, s[0:3], 0 offen
	buffer_load_dword v8, v6, s[0:3], 0 offen offset:4
	buffer_load_dword v9, v6, s[0:3], 0 offen offset:8
	;; [unrolled: 1-line block ×3, first 2 shown]
	s_waitcnt vmcnt(4)
	ds_write2_b64 v0, v[2:3], v[4:5] offset1:1
	s_waitcnt vmcnt(3)
	buffer_store_dword v7, v11, s[0:3], 0 offen
	s_waitcnt vmcnt(3)
	buffer_store_dword v8, v11, s[0:3], 0 offen offset:4
	s_waitcnt vmcnt(3)
	buffer_store_dword v9, v11, s[0:3], 0 offen offset:8
	s_waitcnt vmcnt(3)
	buffer_store_dword v10, v11, s[0:3], 0 offen offset:12
	buffer_store_dword v5, v6, s[0:3], 0 offen offset:12
	buffer_store_dword v4, v6, s[0:3], 0 offen offset:8
	buffer_store_dword v3, v6, s[0:3], 0 offen offset:4
	buffer_store_dword v2, v6, s[0:3], 0 offen
.LBB24_210:
	s_or_b64 exec, exec, s[4:5]
	v_pk_mov_b32 v[2:3], s[24:25], s[24:25] op_sel:[0,1]
	flat_load_dword v2, v[2:3]
	s_waitcnt vmcnt(0) lgkmcnt(0)
	v_add_u32_e32 v2, -1, v2
	v_cmp_ne_u32_e32 vcc, 0, v2
	s_and_saveexec_b64 s[4:5], vcc
	s_cbranch_execz .LBB24_212
; %bb.211:
	v_mov_b32_e32 v3, 0
	v_lshl_add_u32 v6, v2, 4, v3
	buffer_load_dword v2, off, s[0:3], 0
	buffer_load_dword v3, off, s[0:3], 0 offset:4
	buffer_load_dword v4, off, s[0:3], 0 offset:8
	;; [unrolled: 1-line block ×3, first 2 shown]
	buffer_load_dword v7, v6, s[0:3], 0 offen
	buffer_load_dword v8, v6, s[0:3], 0 offen offset:4
	buffer_load_dword v9, v6, s[0:3], 0 offen offset:8
	;; [unrolled: 1-line block ×3, first 2 shown]
	s_waitcnt vmcnt(4)
	ds_write2_b64 v0, v[2:3], v[4:5] offset1:1
	s_waitcnt vmcnt(3)
	buffer_store_dword v7, off, s[0:3], 0
	s_waitcnt vmcnt(3)
	buffer_store_dword v8, off, s[0:3], 0 offset:4
	s_waitcnt vmcnt(3)
	buffer_store_dword v9, off, s[0:3], 0 offset:8
	;; [unrolled: 2-line block ×3, first 2 shown]
	buffer_store_dword v5, v6, s[0:3], 0 offen offset:12
	buffer_store_dword v4, v6, s[0:3], 0 offen offset:8
	;; [unrolled: 1-line block ×3, first 2 shown]
	buffer_store_dword v2, v6, s[0:3], 0 offen
.LBB24_212:
	s_or_b64 exec, exec, s[4:5]
.LBB24_213:
	v_accvgpr_read_b32 v18, a21
	buffer_load_dword v2, off, s[0:3], 0
	buffer_load_dword v3, off, s[0:3], 0 offset:4
	buffer_load_dword v4, off, s[0:3], 0 offset:8
	;; [unrolled: 1-line block ×3, first 2 shown]
	buffer_load_dword v6, v18, s[0:3], 0 offen
	buffer_load_dword v7, v18, s[0:3], 0 offen offset:4
	buffer_load_dword v8, v18, s[0:3], 0 offen offset:8
	;; [unrolled: 1-line block ×6, first 2 shown]
	buffer_load_dword v14, v170, s[0:3], 0 offen
	buffer_load_dword v15, v170, s[0:3], 0 offen offset:4
	buffer_load_dword v16, v170, s[0:3], 0 offen offset:8
	buffer_load_dword v10, v1, s[0:3], 0 offen
	buffer_load_dword v17, v170, s[0:3], 0 offen offset:12
	v_accvgpr_read_b32 v0, a17
                                        ; kill: killed $vgpr1
	v_accvgpr_read_b32 v84, a19
	v_accvgpr_read_b32 v1, a18
	;; [unrolled: 1-line block ×4, first 2 shown]
	buffer_load_dword v19, v0, s[0:3], 0 offen offset:4
	buffer_load_dword v20, v0, s[0:3], 0 offen offset:8
	;; [unrolled: 1-line block ×3, first 2 shown]
                                        ; kill: killed $vgpr18
	buffer_load_dword v22, v84, s[0:3], 0 offen
	buffer_load_dword v23, v84, s[0:3], 0 offen offset:4
	buffer_load_dword v24, v84, s[0:3], 0 offen offset:8
	buffer_load_dword v18, v0, s[0:3], 0 offen
	buffer_load_dword v25, v84, s[0:3], 0 offen offset:12
	buffer_load_dword v27, v1, s[0:3], 0 offen offset:4
	;; [unrolled: 1-line block ×4, first 2 shown]
	buffer_load_dword v30, v87, s[0:3], 0 offen
	buffer_load_dword v31, v87, s[0:3], 0 offen offset:4
	buffer_load_dword v32, v87, s[0:3], 0 offen offset:8
	buffer_load_dword v26, v1, s[0:3], 0 offen
	buffer_load_dword v33, v87, s[0:3], 0 offen offset:12
	buffer_load_dword v85, v102, s[0:3], 0 offen offset:4
	;; [unrolled: 1-line block ×3, first 2 shown]
                                        ; kill: killed $vgpr84
                                        ; kill: killed $vgpr87
                                        ; kill: killed $vgpr0
                                        ; kill: killed $vgpr1
	s_nop 0
	buffer_load_dword v87, v102, s[0:3], 0 offen offset:12
	v_accvgpr_read_b32 v1, a13
	v_accvgpr_read_b32 v103, a16
	;; [unrolled: 1-line block ×4, first 2 shown]
	buffer_load_dword v88, v1, s[0:3], 0 offen
	buffer_load_dword v89, v1, s[0:3], 0 offen offset:4
	buffer_load_dword v90, v1, s[0:3], 0 offen offset:8
	buffer_load_dword v84, v102, s[0:3], 0 offen
	buffer_load_dword v91, v1, s[0:3], 0 offen offset:12
	buffer_load_dword v93, v103, s[0:3], 0 offen offset:4
	;; [unrolled: 1-line block ×4, first 2 shown]
	buffer_load_dword v96, v100, s[0:3], 0 offen
	buffer_load_dword v97, v100, s[0:3], 0 offen offset:4
	buffer_load_dword v98, v100, s[0:3], 0 offen offset:8
	buffer_load_dword v92, v103, s[0:3], 0 offen
	buffer_load_dword v99, v100, s[0:3], 0 offen offset:12
	buffer_load_dword v101, v0, s[0:3], 0 offen offset:4
                                        ; kill: killed $vgpr102
                                        ; kill: killed $vgpr103
                                        ; kill: killed $vgpr1
                                        ; kill: killed $vgpr100
	s_nop 0
	buffer_load_dword v102, v0, s[0:3], 0 offen offset:8
	buffer_load_dword v103, v0, s[0:3], 0 offen offset:12
	v_accvgpr_read_b32 v116, a11
	v_accvgpr_read_b32 v1, a10
	;; [unrolled: 1-line block ×3, first 2 shown]
	buffer_load_dword v104, v116, s[0:3], 0 offen
	buffer_load_dword v105, v116, s[0:3], 0 offen offset:4
	buffer_load_dword v106, v116, s[0:3], 0 offen offset:8
	buffer_load_dword v100, v0, s[0:3], 0 offen
	buffer_load_dword v107, v116, s[0:3], 0 offen offset:12
	buffer_load_dword v109, v1, s[0:3], 0 offen offset:4
	buffer_load_dword v110, v1, s[0:3], 0 offen offset:8
	buffer_load_dword v111, v1, s[0:3], 0 offen offset:12
	buffer_load_dword v112, v117, s[0:3], 0 offen
	buffer_load_dword v113, v117, s[0:3], 0 offen offset:4
	buffer_load_dword v114, v117, s[0:3], 0 offen offset:8
	buffer_load_dword v108, v1, s[0:3], 0 offen
	buffer_load_dword v115, v117, s[0:3], 0 offen offset:12
                                        ; kill: killed $vgpr0
                                        ; kill: killed $vgpr1
	v_accvgpr_read_b32 v1, a8
	v_accvgpr_read_b32 v0, a7
                                        ; kill: killed $vgpr116
                                        ; kill: killed $vgpr117
	buffer_load_dword v117, v1, s[0:3], 0 offen offset:4
	buffer_load_dword v118, v1, s[0:3], 0 offen offset:8
	buffer_load_dword v119, v1, s[0:3], 0 offen offset:12
	buffer_load_dword v120, v0, s[0:3], 0 offen
	buffer_load_dword v121, v0, s[0:3], 0 offen offset:4
	buffer_load_dword v122, v0, s[0:3], 0 offen offset:8
	buffer_load_dword v116, v1, s[0:3], 0 offen
	buffer_load_dword v123, v0, s[0:3], 0 offen offset:12
	v_accvgpr_read_b32 v1, a6
	v_accvgpr_read_b32 v0, a5
	buffer_load_dword v125, v1, s[0:3], 0 offen offset:4
	buffer_load_dword v126, v1, s[0:3], 0 offen offset:8
	buffer_load_dword v127, v1, s[0:3], 0 offen offset:12
	buffer_load_dword v128, v0, s[0:3], 0 offen
	buffer_load_dword v129, v0, s[0:3], 0 offen offset:4
	buffer_load_dword v130, v0, s[0:3], 0 offen offset:8
	buffer_load_dword v124, v1, s[0:3], 0 offen
	buffer_load_dword v131, v0, s[0:3], 0 offen offset:12
	v_accvgpr_read_b32 v1, a4
	v_accvgpr_read_b32 v0, a3
	;; [unrolled: 10-line block ×3, first 2 shown]
	buffer_load_dword v141, v1, s[0:3], 0 offen offset:4
	buffer_load_dword v142, v1, s[0:3], 0 offen offset:8
	;; [unrolled: 1-line block ×3, first 2 shown]
	buffer_load_dword v144, v0, s[0:3], 0 offen
	buffer_load_dword v145, v0, s[0:3], 0 offen offset:4
	buffer_load_dword v146, v0, s[0:3], 0 offen offset:8
	buffer_load_dword v140, v1, s[0:3], 0 offen
	buffer_load_dword v147, v0, s[0:3], 0 offen offset:12
	v_accvgpr_read_b32 v0, a0
	buffer_load_dword v148, v0, s[0:3], 0 offen
	buffer_load_dword v149, v0, s[0:3], 0 offen offset:4
	buffer_load_dword v150, v0, s[0:3], 0 offen offset:8
	;; [unrolled: 1-line block ×3, first 2 shown]
                                        ; kill: killed $vgpr170
	s_waitcnt vmcnt(62)
	global_store_dwordx4 v[34:35], v[2:5], off
	global_store_dwordx4 v[36:37], v[6:9], off
	;; [unrolled: 1-line block ×8, first 2 shown]
	s_waitcnt vmcnt(62)
	global_store_dwordx4 v[50:51], v[84:87], off
	global_store_dwordx4 v[52:53], v[88:91], off
	s_waitcnt vmcnt(62)
	global_store_dwordx4 v[54:55], v[92:95], off
	global_store_dwordx4 v[56:57], v[96:99], off
	s_waitcnt vmcnt(57)
	global_store_dwordx4 v[58:59], v[100:103], off
	s_waitcnt vmcnt(57)
	global_store_dwordx4 v[60:61], v[104:107], off
	s_waitcnt vmcnt(51)
	global_store_dwordx4 v[62:63], v[108:111], off
	s_waitcnt vmcnt(51)
	global_store_dwordx4 v[64:65], v[112:115], off
	s_waitcnt vmcnt(45)
	global_store_dwordx4 v[66:67], v[116:119], off
	s_waitcnt vmcnt(45)
	global_store_dwordx4 v[68:69], v[120:123], off
	s_waitcnt vmcnt(39)
	global_store_dwordx4 v[70:71], v[124:127], off
	s_waitcnt vmcnt(39)
	global_store_dwordx4 v[72:73], v[128:131], off
	s_waitcnt vmcnt(33)
	global_store_dwordx4 v[74:75], v[132:135], off
	s_waitcnt vmcnt(33)
	global_store_dwordx4 v[76:77], v[136:139], off
	s_waitcnt vmcnt(27)
	global_store_dwordx4 v[78:79], v[140:143], off
	s_waitcnt vmcnt(27)
	global_store_dwordx4 v[80:81], v[144:147], off
	s_waitcnt vmcnt(24)
	global_store_dwordx4 v[82:83], v[148:151], off
	s_endpgm
	.section	.rodata,"a",@progbits
	.p2align	6, 0x0
	.amdhsa_kernel _ZN9rocsolver6v33100L18getri_kernel_smallILi25E19rocblas_complex_numIdEPS3_EEvT1_iilPiilS6_bb
		.amdhsa_group_segment_fixed_size 1832
		.amdhsa_private_segment_fixed_size 416
		.amdhsa_kernarg_size 60
		.amdhsa_user_sgpr_count 10
		.amdhsa_user_sgpr_private_segment_buffer 1
		.amdhsa_user_sgpr_dispatch_ptr 1
		.amdhsa_user_sgpr_queue_ptr 0
		.amdhsa_user_sgpr_kernarg_segment_ptr 1
		.amdhsa_user_sgpr_dispatch_id 0
		.amdhsa_user_sgpr_flat_scratch_init 1
		.amdhsa_user_sgpr_kernarg_preload_length 0
		.amdhsa_user_sgpr_kernarg_preload_offset 0
		.amdhsa_user_sgpr_private_segment_size 0
		.amdhsa_uses_dynamic_stack 0
		.amdhsa_system_sgpr_private_segment_wavefront_offset 1
		.amdhsa_system_sgpr_workgroup_id_x 1
		.amdhsa_system_sgpr_workgroup_id_y 0
		.amdhsa_system_sgpr_workgroup_id_z 0
		.amdhsa_system_sgpr_workgroup_info 0
		.amdhsa_system_vgpr_workitem_id 2
		.amdhsa_next_free_vgpr 278
		.amdhsa_next_free_sgpr 28
		.amdhsa_accum_offset 256
		.amdhsa_reserve_vcc 1
		.amdhsa_reserve_flat_scratch 1
		.amdhsa_float_round_mode_32 0
		.amdhsa_float_round_mode_16_64 0
		.amdhsa_float_denorm_mode_32 3
		.amdhsa_float_denorm_mode_16_64 3
		.amdhsa_dx10_clamp 1
		.amdhsa_ieee_mode 1
		.amdhsa_fp16_overflow 0
		.amdhsa_tg_split 0
		.amdhsa_exception_fp_ieee_invalid_op 0
		.amdhsa_exception_fp_denorm_src 0
		.amdhsa_exception_fp_ieee_div_zero 0
		.amdhsa_exception_fp_ieee_overflow 0
		.amdhsa_exception_fp_ieee_underflow 0
		.amdhsa_exception_fp_ieee_inexact 0
		.amdhsa_exception_int_div_zero 0
	.end_amdhsa_kernel
	.section	.text._ZN9rocsolver6v33100L18getri_kernel_smallILi25E19rocblas_complex_numIdEPS3_EEvT1_iilPiilS6_bb,"axG",@progbits,_ZN9rocsolver6v33100L18getri_kernel_smallILi25E19rocblas_complex_numIdEPS3_EEvT1_iilPiilS6_bb,comdat
.Lfunc_end24:
	.size	_ZN9rocsolver6v33100L18getri_kernel_smallILi25E19rocblas_complex_numIdEPS3_EEvT1_iilPiilS6_bb, .Lfunc_end24-_ZN9rocsolver6v33100L18getri_kernel_smallILi25E19rocblas_complex_numIdEPS3_EEvT1_iilPiilS6_bb
                                        ; -- End function
	.section	.AMDGPU.csdata,"",@progbits
; Kernel info:
; codeLenInByte = 49068
; NumSgprs: 34
; NumVgprs: 256
; NumAgprs: 22
; TotalNumVgprs: 278
; ScratchSize: 416
; MemoryBound: 0
; FloatMode: 240
; IeeeMode: 1
; LDSByteSize: 1832 bytes/workgroup (compile time only)
; SGPRBlocks: 4
; VGPRBlocks: 34
; NumSGPRsForWavesPerEU: 34
; NumVGPRsForWavesPerEU: 278
; AccumOffset: 256
; Occupancy: 1
; WaveLimiterHint : 1
; COMPUTE_PGM_RSRC2:SCRATCH_EN: 1
; COMPUTE_PGM_RSRC2:USER_SGPR: 10
; COMPUTE_PGM_RSRC2:TRAP_HANDLER: 0
; COMPUTE_PGM_RSRC2:TGID_X_EN: 1
; COMPUTE_PGM_RSRC2:TGID_Y_EN: 0
; COMPUTE_PGM_RSRC2:TGID_Z_EN: 0
; COMPUTE_PGM_RSRC2:TIDIG_COMP_CNT: 2
; COMPUTE_PGM_RSRC3_GFX90A:ACCUM_OFFSET: 63
; COMPUTE_PGM_RSRC3_GFX90A:TG_SPLIT: 0
	.section	.text._ZN9rocsolver6v33100L18getri_kernel_smallILi26E19rocblas_complex_numIdEPS3_EEvT1_iilPiilS6_bb,"axG",@progbits,_ZN9rocsolver6v33100L18getri_kernel_smallILi26E19rocblas_complex_numIdEPS3_EEvT1_iilPiilS6_bb,comdat
	.globl	_ZN9rocsolver6v33100L18getri_kernel_smallILi26E19rocblas_complex_numIdEPS3_EEvT1_iilPiilS6_bb ; -- Begin function _ZN9rocsolver6v33100L18getri_kernel_smallILi26E19rocblas_complex_numIdEPS3_EEvT1_iilPiilS6_bb
	.p2align	8
	.type	_ZN9rocsolver6v33100L18getri_kernel_smallILi26E19rocblas_complex_numIdEPS3_EEvT1_iilPiilS6_bb,@function
_ZN9rocsolver6v33100L18getri_kernel_smallILi26E19rocblas_complex_numIdEPS3_EEvT1_iilPiilS6_bb: ; @_ZN9rocsolver6v33100L18getri_kernel_smallILi26E19rocblas_complex_numIdEPS3_EEvT1_iilPiilS6_bb
; %bb.0:
	s_add_u32 flat_scratch_lo, s8, s11
	s_addc_u32 flat_scratch_hi, s9, 0
	s_add_u32 s0, s0, s11
	v_and_b32_e32 v178, 0x3ff, v0
	s_addc_u32 s1, s1, 0
	v_cmp_gt_u32_e32 vcc, 26, v178
	s_and_saveexec_b64 s[8:9], vcc
	s_cbranch_execz .LBB25_118
; %bb.1:
	s_load_dword s28, s[6:7], 0x38
	s_load_dwordx4 s[20:23], s[6:7], 0x10
	s_load_dwordx4 s[12:15], s[6:7], 0x28
                                        ; implicit-def: $sgpr24_sgpr25
	s_waitcnt lgkmcnt(0)
	s_bitcmp1_b32 s28, 8
	s_cselect_b64 s[26:27], -1, 0
	s_ashr_i32 s11, s10, 31
	s_bfe_u32 s8, s28, 0x10008
	s_cmp_eq_u32 s8, 0
	s_cbranch_scc1 .LBB25_3
; %bb.2:
	s_load_dword s8, s[6:7], 0x20
	s_mul_i32 s9, s10, s13
	s_mul_hi_u32 s13, s10, s12
	s_mul_i32 s16, s11, s12
	s_add_i32 s13, s13, s9
	s_add_i32 s13, s13, s16
	s_mul_i32 s12, s10, s12
	s_waitcnt lgkmcnt(0)
	s_ashr_i32 s9, s8, 31
	s_lshl_b64 s[12:13], s[12:13], 2
	s_add_u32 s12, s22, s12
	s_addc_u32 s13, s23, s13
	s_lshl_b64 s[8:9], s[8:9], 2
	s_add_u32 s24, s12, s8
	s_addc_u32 s25, s13, s9
.LBB25_3:
	s_load_dwordx4 s[16:19], s[6:7], 0x0
	s_mul_i32 s6, s10, s21
	s_mul_hi_u32 s7, s10, s20
	s_add_i32 s8, s7, s6
	s_mul_i32 s9, s11, s20
	s_add_i32 s9, s8, s9
	s_mul_i32 s8, s10, s20
	s_waitcnt lgkmcnt(0)
	s_ashr_i32 s7, s18, 31
	s_lshl_b64 s[8:9], s[8:9], 4
	s_mov_b32 s6, s18
	s_add_u32 s8, s16, s8
	s_addc_u32 s9, s17, s9
	s_lshl_b64 s[6:7], s[6:7], 4
	s_add_u32 s6, s8, s6
	s_addc_u32 s7, s9, s7
	s_add_i32 s12, s19, s19
	v_lshlrev_b32_e32 v12, 4, v178
	v_add_u32_e32 v6, s12, v178
	v_mov_b32_e32 v1, s7
	v_add_co_u32_e32 v22, vcc, s6, v12
	v_ashrrev_i32_e32 v7, 31, v6
	v_add_u32_e32 v8, s19, v6
	v_addc_co_u32_e32 v23, vcc, 0, v1, vcc
	v_lshlrev_b64 v[6:7], 4, v[6:7]
	s_mov_b32 s8, s19
	s_ashr_i32 s9, s19, 31
	v_mov_b32_e32 v9, s7
	v_add_co_u32_e32 v24, vcc, s6, v6
	s_lshl_b64 s[8:9], s[8:9], 4
	v_addc_co_u32_e32 v25, vcc, v9, v7, vcc
	v_mov_b32_e32 v1, s9
	v_add_co_u32_e32 v26, vcc, s8, v22
	v_addc_co_u32_e32 v27, vcc, v23, v1, vcc
	global_load_dwordx4 v[2:5], v12, s[6:7]
	global_load_dwordx4 v[14:17], v[26:27], off
	global_load_dwordx4 v[18:21], v[24:25], off
	v_ashrrev_i32_e32 v9, 31, v8
	v_lshlrev_b64 v[6:7], 4, v[8:9]
	v_mov_b32_e32 v1, s7
	v_add_co_u32_e32 v28, vcc, s6, v6
	v_add_u32_e32 v10, s19, v8
	v_addc_co_u32_e32 v29, vcc, v1, v7, vcc
	v_ashrrev_i32_e32 v11, 31, v10
	global_load_dwordx4 v[34:37], v[28:29], off
	v_lshlrev_b64 v[6:7], 4, v[10:11]
	v_add_co_u32_e32 v30, vcc, s6, v6
	v_addc_co_u32_e32 v31, vcc, v1, v7, vcc
	global_load_dwordx4 v[74:77], v[30:31], off
	v_add_u32_e32 v10, s19, v10
	v_add_u32_e32 v38, s19, v10
	;; [unrolled: 1-line block ×21, first 2 shown]
	v_ashrrev_i32_e32 v7, 31, v6
	v_lshlrev_b64 v[6:7], 4, v[6:7]
	v_add_co_u32_e32 v32, vcc, s6, v6
	v_addc_co_u32_e32 v33, vcc, v1, v7, vcc
	v_ashrrev_i32_e32 v11, 31, v10
	global_load_dwordx4 v[6:9], v[32:33], off
	v_ashrrev_i32_e32 v39, 31, v38
	v_ashrrev_i32_e32 v41, 31, v40
	;; [unrolled: 1-line block ×11, first 2 shown]
	s_waitcnt vmcnt(5)
	buffer_store_dword v5, off, s[0:3], 0 offset:12
	buffer_store_dword v4, off, s[0:3], 0 offset:8
	;; [unrolled: 1-line block ×3, first 2 shown]
	buffer_store_dword v2, off, s[0:3], 0
	s_waitcnt vmcnt(8)
	buffer_store_dword v17, off, s[0:3], 0 offset:28
	buffer_store_dword v16, off, s[0:3], 0 offset:24
	buffer_store_dword v15, off, s[0:3], 0 offset:20
	buffer_store_dword v14, off, s[0:3], 0 offset:16
	s_waitcnt vmcnt(11)
	buffer_store_dword v21, off, s[0:3], 0 offset:44
	buffer_store_dword v20, off, s[0:3], 0 offset:40
	buffer_store_dword v19, off, s[0:3], 0 offset:36
	buffer_store_dword v18, off, s[0:3], 0 offset:32
	;; [unrolled: 5-line block ×3, first 2 shown]
	s_waitcnt vmcnt(17)
	buffer_store_dword v77, off, s[0:3], 0 offset:76
	v_lshlrev_b64 v[2:3], 4, v[10:11]
	v_add_co_u32_e32 v34, vcc, s6, v2
	v_addc_co_u32_e32 v35, vcc, v1, v3, vcc
	v_lshlrev_b64 v[2:3], 4, v[38:39]
	v_add_co_u32_e32 v36, vcc, s6, v2
	v_addc_co_u32_e32 v37, vcc, v1, v3, vcc
	;; [unrolled: 3-line block ×11, first 2 shown]
	v_lshlrev_b64 v[10:11], 4, v[58:59]
	v_add_co_u32_e32 v56, vcc, s6, v10
	v_ashrrev_i32_e32 v61, 31, v60
	v_addc_co_u32_e32 v57, vcc, v1, v11, vcc
	v_lshlrev_b64 v[10:11], 4, v[60:61]
	v_add_co_u32_e32 v58, vcc, s6, v10
	v_ashrrev_i32_e32 v63, 31, v62
	v_addc_co_u32_e32 v59, vcc, v1, v11, vcc
	;; [unrolled: 4-line block ×6, first 2 shown]
	v_lshlrev_b64 v[10:11], 4, v[70:71]
	v_add_co_u32_e32 v68, vcc, s6, v10
	global_load_dwordx4 v[2:5], v[34:35], off
	global_load_dwordx4 v[14:17], v[36:37], off
	;; [unrolled: 1-line block ×16, first 2 shown]
	v_addc_co_u32_e32 v69, vcc, v1, v11, vcc
	global_load_dwordx4 v[130:133], v[66:67], off
	global_load_dwordx4 v[134:137], v[68:69], off
	v_ashrrev_i32_e32 v73, 31, v72
	v_lshlrev_b64 v[10:11], 4, v[72:73]
	v_add_co_u32_e32 v70, vcc, s6, v10
	v_addc_co_u32_e32 v71, vcc, v1, v11, vcc
	v_ashrrev_i32_e32 v139, 31, v138
	v_lshlrev_b64 v[10:11], 4, v[138:139]
	global_load_dwordx4 v[138:141], v[70:71], off
	v_add_co_u32_e32 v72, vcc, s6, v10
	v_addc_co_u32_e32 v73, vcc, v1, v11, vcc
	global_load_dwordx4 v[142:145], v[72:73], off
	s_nop 0
	buffer_store_dword v76, off, s[0:3], 0 offset:72
	buffer_store_dword v75, off, s[0:3], 0 offset:68
	buffer_store_dword v74, off, s[0:3], 0 offset:64
	s_waitcnt vmcnt(22)
	buffer_store_dword v5, off, s[0:3], 0 offset:92
	buffer_store_dword v4, off, s[0:3], 0 offset:88
	buffer_store_dword v3, off, s[0:3], 0 offset:84
	buffer_store_dword v2, off, s[0:3], 0 offset:80
	s_waitcnt vmcnt(25)
	buffer_store_dword v17, off, s[0:3], 0 offset:108
	;; [unrolled: 5-line block ×15, first 2 shown]
	buffer_store_dword v124, off, s[0:3], 0 offset:312
	buffer_store_dword v123, off, s[0:3], 0 offset:308
	;; [unrolled: 1-line block ×11, first 2 shown]
	s_waitcnt vmcnt(62)
	buffer_store_dword v137, off, s[0:3], 0 offset:364
	buffer_store_dword v136, off, s[0:3], 0 offset:360
	;; [unrolled: 1-line block ×12, first 2 shown]
	v_mov_b32_e32 v2, 0
	v_add_u32_e32 v3, 64, v2
	v_accvgpr_write_b32 a27, v3
	v_add_u32_e32 v3, 0x50, v2
	v_accvgpr_write_b32 a29, v3
	;; [unrolled: 2-line block ×18, first 2 shown]
	v_add_u32_e32 v3, 0x160, v2
	v_add_u32_e32 v1, 16, v2
	v_accvgpr_write_b32 a11, v3
	v_add_u32_e32 v3, 0x170, v2
	v_accvgpr_write_b32 a30, v1
	;; [unrolled: 2-line block ×5, first 2 shown]
	v_add_u32_e32 v76, 0x190, v2
	s_bitcmp0_b32 s28, 0
	s_mov_b64 s[8:9], -1
	buffer_store_dword v9, off, s[0:3], 0 offset:412
	buffer_store_dword v8, off, s[0:3], 0 offset:408
	;; [unrolled: 1-line block ×4, first 2 shown]
	s_cbranch_scc1 .LBB25_116
; %bb.4:
	v_cmp_eq_u32_e64 s[6:7], 0, v178
	s_and_saveexec_b64 s[8:9], s[6:7]
	s_cbranch_execz .LBB25_6
; %bb.5:
	v_mov_b32_e32 v2, 0
	ds_write_b32 v2, v2 offset:832
.LBB25_6:
	s_or_b64 exec, exec, s[8:9]
	v_mov_b32_e32 v2, 0
	v_lshl_add_u32 v13, v178, 4, v2
	s_waitcnt lgkmcnt(0)
	; wave barrier
	s_waitcnt lgkmcnt(0)
	buffer_load_dword v2, v13, s[0:3], 0 offen
	buffer_load_dword v3, v13, s[0:3], 0 offen offset:4
	buffer_load_dword v4, v13, s[0:3], 0 offen offset:8
	;; [unrolled: 1-line block ×3, first 2 shown]
	s_waitcnt vmcnt(2)
	v_cmp_eq_f64_e32 vcc, 0, v[2:3]
	s_waitcnt vmcnt(0)
	v_cmp_eq_f64_e64 s[8:9], 0, v[4:5]
	s_and_b64 s[8:9], vcc, s[8:9]
	s_and_saveexec_b64 s[12:13], s[8:9]
	s_cbranch_execz .LBB25_10
; %bb.7:
	v_mov_b32_e32 v2, 0
	ds_read_b32 v4, v2 offset:832
	v_add_u32_e32 v3, 1, v178
	s_waitcnt lgkmcnt(0)
	v_readfirstlane_b32 s8, v4
	s_cmp_eq_u32 s8, 0
	s_cselect_b64 s[16:17], -1, 0
	v_cmp_gt_i32_e32 vcc, s8, v3
	s_or_b64 s[16:17], s[16:17], vcc
	s_and_b64 exec, exec, s[16:17]
	s_cbranch_execz .LBB25_10
; %bb.8:
	s_mov_b64 s[16:17], 0
	v_mov_b32_e32 v4, s8
.LBB25_9:                               ; =>This Inner Loop Header: Depth=1
	ds_cmpst_rtn_b32 v4, v2, v4, v3 offset:832
	s_waitcnt lgkmcnt(0)
	v_cmp_ne_u32_e32 vcc, 0, v4
	v_cmp_le_i32_e64 s[8:9], v4, v3
	s_and_b64 s[8:9], vcc, s[8:9]
	s_and_b64 s[8:9], exec, s[8:9]
	s_or_b64 s[16:17], s[8:9], s[16:17]
	s_andn2_b64 exec, exec, s[16:17]
	s_cbranch_execnz .LBB25_9
.LBB25_10:
	s_or_b64 exec, exec, s[12:13]
	v_mov_b32_e32 v3, 0
	s_waitcnt lgkmcnt(0)
	; wave barrier
	ds_read_b32 v2, v3 offset:832
	s_and_saveexec_b64 s[8:9], s[6:7]
	s_cbranch_execz .LBB25_12
; %bb.11:
	s_lshl_b64 s[12:13], s[10:11], 2
	s_add_u32 s12, s14, s12
	s_addc_u32 s13, s15, s13
	s_waitcnt lgkmcnt(0)
	global_store_dword v3, v2, s[12:13]
.LBB25_12:
	s_or_b64 exec, exec, s[8:9]
	s_waitcnt lgkmcnt(0)
	v_cmp_ne_u32_e32 vcc, 0, v2
	s_mov_b64 s[8:9], 0
	s_cbranch_vccnz .LBB25_116
; %bb.13:
	buffer_load_dword v7, v13, s[0:3], 0 offen offset:4
	buffer_load_dword v6, v13, s[0:3], 0 offen
	buffer_load_dword v9, v13, s[0:3], 0 offen offset:12
	buffer_load_dword v8, v13, s[0:3], 0 offen offset:8
                                        ; implicit-def: $vgpr10_vgpr11
	s_waitcnt vmcnt(3)
	v_xor_b32_e32 v3, 0x80000000, v7
	s_waitcnt vmcnt(2)
	v_cmp_gt_f64_e32 vcc, 0, v[6:7]
	s_waitcnt vmcnt(1)
	v_xor_b32_e32 v4, 0x80000000, v9
	v_cndmask_b32_e32 v3, v7, v3, vcc
	s_waitcnt vmcnt(0)
	v_cmp_gt_f64_e32 vcc, 0, v[8:9]
	v_mov_b32_e32 v2, v6
	v_cndmask_b32_e32 v5, v9, v4, vcc
	v_mov_b32_e32 v4, v8
	v_cmp_ngt_f64_e32 vcc, v[2:3], v[4:5]
                                        ; implicit-def: $vgpr4_vgpr5
	s_and_saveexec_b64 s[8:9], vcc
	s_xor_b64 s[8:9], exec, s[8:9]
	s_cbranch_execz .LBB25_15
; %bb.14:
	v_div_scale_f64 v[2:3], s[12:13], v[8:9], v[8:9], v[6:7]
	v_rcp_f64_e32 v[4:5], v[2:3]
	v_div_scale_f64 v[10:11], vcc, v[6:7], v[8:9], v[6:7]
	v_fma_f64 v[14:15], -v[2:3], v[4:5], 1.0
	v_fmac_f64_e32 v[4:5], v[4:5], v[14:15]
	v_fma_f64 v[14:15], -v[2:3], v[4:5], 1.0
	v_fmac_f64_e32 v[4:5], v[4:5], v[14:15]
	v_mul_f64 v[14:15], v[10:11], v[4:5]
	v_fma_f64 v[2:3], -v[2:3], v[14:15], v[10:11]
	v_div_fmas_f64 v[2:3], v[2:3], v[4:5], v[14:15]
	v_div_fixup_f64 v[2:3], v[2:3], v[8:9], v[6:7]
	v_fmac_f64_e32 v[8:9], v[6:7], v[2:3]
	v_div_scale_f64 v[4:5], s[12:13], v[8:9], v[8:9], 1.0
	v_rcp_f64_e32 v[6:7], v[4:5]
	v_fma_f64 v[10:11], -v[4:5], v[6:7], 1.0
	v_fmac_f64_e32 v[6:7], v[6:7], v[10:11]
	v_fma_f64 v[10:11], -v[4:5], v[6:7], 1.0
	v_fmac_f64_e32 v[6:7], v[6:7], v[10:11]
	v_div_scale_f64 v[10:11], vcc, 1.0, v[8:9], 1.0
	v_mul_f64 v[14:15], v[10:11], v[6:7]
	v_fma_f64 v[4:5], -v[4:5], v[14:15], v[10:11]
	s_nop 1
	v_div_fmas_f64 v[4:5], v[4:5], v[6:7], v[14:15]
	v_div_fixup_f64 v[4:5], v[4:5], v[8:9], 1.0
	v_mul_f64 v[10:11], v[2:3], v[4:5]
	v_xor_b32_e32 v5, 0x80000000, v5
	v_xor_b32_e32 v3, 0x80000000, v11
	v_mov_b32_e32 v2, v10
                                        ; implicit-def: $vgpr6_vgpr7
                                        ; implicit-def: $vgpr8_vgpr9
.LBB25_15:
	s_andn2_saveexec_b64 s[8:9], s[8:9]
	s_cbranch_execz .LBB25_17
; %bb.16:
	v_div_scale_f64 v[2:3], s[12:13], v[6:7], v[6:7], v[8:9]
	v_rcp_f64_e32 v[4:5], v[2:3]
	v_div_scale_f64 v[10:11], vcc, v[8:9], v[6:7], v[8:9]
	v_fma_f64 v[14:15], -v[2:3], v[4:5], 1.0
	v_fmac_f64_e32 v[4:5], v[4:5], v[14:15]
	v_fma_f64 v[14:15], -v[2:3], v[4:5], 1.0
	v_fmac_f64_e32 v[4:5], v[4:5], v[14:15]
	v_mul_f64 v[14:15], v[10:11], v[4:5]
	v_fma_f64 v[2:3], -v[2:3], v[14:15], v[10:11]
	v_div_fmas_f64 v[2:3], v[2:3], v[4:5], v[14:15]
	v_div_fixup_f64 v[4:5], v[2:3], v[6:7], v[8:9]
	v_fmac_f64_e32 v[6:7], v[8:9], v[4:5]
	v_div_scale_f64 v[2:3], s[12:13], v[6:7], v[6:7], 1.0
	v_rcp_f64_e32 v[8:9], v[2:3]
	v_fma_f64 v[10:11], -v[2:3], v[8:9], 1.0
	v_fmac_f64_e32 v[8:9], v[8:9], v[10:11]
	v_fma_f64 v[10:11], -v[2:3], v[8:9], 1.0
	v_fmac_f64_e32 v[8:9], v[8:9], v[10:11]
	v_div_scale_f64 v[10:11], vcc, 1.0, v[6:7], 1.0
	v_mul_f64 v[14:15], v[10:11], v[8:9]
	v_fma_f64 v[2:3], -v[2:3], v[14:15], v[10:11]
	s_nop 1
	v_div_fmas_f64 v[2:3], v[2:3], v[8:9], v[14:15]
	v_div_fixup_f64 v[10:11], v[2:3], v[6:7], 1.0
	v_xor_b32_e32 v3, 0x80000000, v11
	v_mov_b32_e32 v2, v10
	v_mul_f64 v[4:5], v[4:5], -v[10:11]
.LBB25_17:
	s_or_b64 exec, exec, s[8:9]
	buffer_store_dword v11, v13, s[0:3], 0 offen offset:4
	buffer_store_dword v10, v13, s[0:3], 0 offen
	buffer_store_dword v5, v13, s[0:3], 0 offen offset:12
	buffer_store_dword v4, v13, s[0:3], 0 offen offset:8
	v_accvgpr_read_b32 v6, a30
	buffer_load_dword v11, v6, s[0:3], 0 offen offset:12
	buffer_load_dword v10, v6, s[0:3], 0 offen offset:8
	;; [unrolled: 1-line block ×3, first 2 shown]
	buffer_load_dword v8, v6, s[0:3], 0 offen
	v_xor_b32_e32 v5, 0x80000000, v5
	v_add_u32_e32 v6, 0x1a0, v12
	ds_write_b128 v12, v[2:5]
	s_waitcnt vmcnt(0)
	ds_write_b128 v12, v[8:11] offset:416
	s_waitcnt lgkmcnt(0)
	; wave barrier
	s_waitcnt lgkmcnt(0)
	s_and_saveexec_b64 s[8:9], s[6:7]
	s_cbranch_execz .LBB25_19
; %bb.18:
	buffer_load_dword v14, v13, s[0:3], 0 offen offset:8
	buffer_load_dword v15, v13, s[0:3], 0 offen offset:12
	buffer_load_dword v16, v13, s[0:3], 0 offen
	buffer_load_dword v17, v13, s[0:3], 0 offen offset:4
	ds_read_b128 v[2:5], v6
	v_mov_b32_e32 v7, 0
	ds_read_b128 v[8:11], v7 offset:16
	s_waitcnt vmcnt(2) lgkmcnt(1)
	v_mul_f64 v[18:19], v[4:5], v[14:15]
	v_mul_f64 v[14:15], v[2:3], v[14:15]
	s_waitcnt vmcnt(0)
	v_fmac_f64_e32 v[14:15], v[4:5], v[16:17]
	v_fma_f64 v[2:3], v[2:3], v[16:17], -v[18:19]
	v_add_f64 v[4:5], v[14:15], 0
	v_add_f64 v[2:3], v[2:3], 0
	s_waitcnt lgkmcnt(0)
	v_mul_f64 v[14:15], v[4:5], v[10:11]
	v_mul_f64 v[10:11], v[2:3], v[10:11]
	v_fma_f64 v[2:3], v[2:3], v[8:9], -v[14:15]
	v_fmac_f64_e32 v[10:11], v[4:5], v[8:9]
	buffer_store_dword v2, off, s[0:3], 0 offset:16
	buffer_store_dword v3, off, s[0:3], 0 offset:20
	buffer_store_dword v10, off, s[0:3], 0 offset:24
	buffer_store_dword v11, off, s[0:3], 0 offset:28
.LBB25_19:
	s_or_b64 exec, exec, s[8:9]
	v_accvgpr_read_b32 v5, a31
	s_waitcnt lgkmcnt(0)
	; wave barrier
	buffer_load_dword v2, v5, s[0:3], 0 offen
	buffer_load_dword v3, v5, s[0:3], 0 offen offset:4
	buffer_load_dword v4, v5, s[0:3], 0 offen offset:8
	s_nop 0
	buffer_load_dword v5, v5, s[0:3], 0 offen offset:12
	v_cmp_gt_u32_e32 vcc, 2, v178
	s_waitcnt vmcnt(0)
	ds_write_b128 v6, v[2:5]
	s_waitcnt lgkmcnt(0)
	; wave barrier
	s_waitcnt lgkmcnt(0)
	s_and_saveexec_b64 s[8:9], vcc
	s_cbranch_execz .LBB25_23
; %bb.20:
	buffer_load_dword v8, v13, s[0:3], 0 offen offset:8
	buffer_load_dword v9, v13, s[0:3], 0 offen offset:12
	buffer_load_dword v10, v13, s[0:3], 0 offen
	buffer_load_dword v11, v13, s[0:3], 0 offen offset:4
	ds_read_b128 v[2:5], v6
	s_waitcnt vmcnt(2) lgkmcnt(0)
	v_mul_f64 v[14:15], v[4:5], v[8:9]
	v_mul_f64 v[8:9], v[2:3], v[8:9]
	s_waitcnt vmcnt(0)
	v_fma_f64 v[2:3], v[2:3], v[10:11], -v[14:15]
	v_fmac_f64_e32 v[8:9], v[4:5], v[10:11]
	v_add_f64 v[4:5], v[2:3], 0
	v_add_f64 v[2:3], v[8:9], 0
	s_and_saveexec_b64 s[12:13], s[6:7]
	s_cbranch_execz .LBB25_22
; %bb.21:
	buffer_load_dword v14, off, s[0:3], 0 offset:24
	buffer_load_dword v15, off, s[0:3], 0 offset:28
	;; [unrolled: 1-line block ×4, first 2 shown]
	v_mov_b32_e32 v7, 0
	ds_read_b128 v[8:11], v7 offset:432
	s_waitcnt vmcnt(2) lgkmcnt(0)
	v_mul_f64 v[18:19], v[8:9], v[14:15]
	v_mul_f64 v[14:15], v[10:11], v[14:15]
	s_waitcnt vmcnt(0)
	v_fmac_f64_e32 v[18:19], v[10:11], v[16:17]
	v_fma_f64 v[8:9], v[8:9], v[16:17], -v[14:15]
	v_add_f64 v[2:3], v[2:3], v[18:19]
	v_add_f64 v[4:5], v[4:5], v[8:9]
.LBB25_22:
	s_or_b64 exec, exec, s[12:13]
	v_mov_b32_e32 v7, 0
	ds_read_b128 v[8:11], v7 offset:32
	s_waitcnt lgkmcnt(0)
	v_mul_f64 v[14:15], v[2:3], v[10:11]
	v_mul_f64 v[10:11], v[4:5], v[10:11]
	v_fma_f64 v[4:5], v[4:5], v[8:9], -v[14:15]
	v_fmac_f64_e32 v[10:11], v[2:3], v[8:9]
	buffer_store_dword v5, off, s[0:3], 0 offset:36
	buffer_store_dword v4, off, s[0:3], 0 offset:32
	;; [unrolled: 1-line block ×4, first 2 shown]
.LBB25_23:
	s_or_b64 exec, exec, s[8:9]
	s_waitcnt lgkmcnt(0)
	; wave barrier
	buffer_load_dword v2, v1, s[0:3], 0 offen
	buffer_load_dword v3, v1, s[0:3], 0 offen offset:4
	buffer_load_dword v4, v1, s[0:3], 0 offen offset:8
	;; [unrolled: 1-line block ×3, first 2 shown]
	v_cmp_gt_u32_e32 vcc, 3, v178
	v_add_u32_e32 v7, -1, v178
	s_waitcnt vmcnt(0)
	ds_write_b128 v6, v[2:5]
	s_waitcnt lgkmcnt(0)
	; wave barrier
	s_waitcnt lgkmcnt(0)
	s_and_saveexec_b64 s[6:7], vcc
	s_cbranch_execz .LBB25_27
; %bb.24:
	v_pk_mov_b32 v[2:3], 0, 0
	v_add_u32_e32 v8, -1, v178
	v_add_u32_e32 v9, 0x1a0, v12
	v_add_u32_e32 v10, 0, v12
	s_mov_b64 s[8:9], 0
	v_pk_mov_b32 v[4:5], v[2:3], v[2:3] op_sel:[0,1]
.LBB25_25:                              ; =>This Inner Loop Header: Depth=1
	buffer_load_dword v18, v10, s[0:3], 0 offen offset:8
	buffer_load_dword v19, v10, s[0:3], 0 offen offset:12
	buffer_load_dword v20, v10, s[0:3], 0 offen
	buffer_load_dword v21, v10, s[0:3], 0 offen offset:4
	ds_read_b128 v[14:17], v9
	v_add_u32_e32 v8, 1, v8
	v_cmp_lt_u32_e32 vcc, 1, v8
	v_add_u32_e32 v9, 16, v9
	v_add_u32_e32 v10, 16, v10
	s_or_b64 s[8:9], vcc, s[8:9]
	s_waitcnt vmcnt(2) lgkmcnt(0)
	v_mul_f64 v[74:75], v[16:17], v[18:19]
	v_mul_f64 v[18:19], v[14:15], v[18:19]
	s_waitcnt vmcnt(0)
	v_fma_f64 v[14:15], v[14:15], v[20:21], -v[74:75]
	v_fmac_f64_e32 v[18:19], v[16:17], v[20:21]
	v_add_f64 v[4:5], v[4:5], v[14:15]
	v_add_f64 v[2:3], v[2:3], v[18:19]
	s_andn2_b64 exec, exec, s[8:9]
	s_cbranch_execnz .LBB25_25
; %bb.26:
	s_or_b64 exec, exec, s[8:9]
	v_mov_b32_e32 v8, 0
	ds_read_b128 v[8:11], v8 offset:48
	s_waitcnt lgkmcnt(0)
	v_mul_f64 v[14:15], v[2:3], v[10:11]
	v_mul_f64 v[10:11], v[4:5], v[10:11]
	v_fma_f64 v[4:5], v[4:5], v[8:9], -v[14:15]
	v_fmac_f64_e32 v[10:11], v[2:3], v[8:9]
	buffer_store_dword v5, off, s[0:3], 0 offset:52
	buffer_store_dword v4, off, s[0:3], 0 offset:48
	buffer_store_dword v11, off, s[0:3], 0 offset:60
	buffer_store_dword v10, off, s[0:3], 0 offset:56
.LBB25_27:
	s_or_b64 exec, exec, s[6:7]
	v_accvgpr_read_b32 v5, a27
	s_waitcnt lgkmcnt(0)
	; wave barrier
	buffer_load_dword v2, v5, s[0:3], 0 offen
	buffer_load_dword v3, v5, s[0:3], 0 offen offset:4
	buffer_load_dword v4, v5, s[0:3], 0 offen offset:8
	s_nop 0
	buffer_load_dword v5, v5, s[0:3], 0 offen offset:12
	v_cmp_gt_u32_e32 vcc, 4, v178
	s_waitcnt vmcnt(0)
	ds_write_b128 v6, v[2:5]
	s_waitcnt lgkmcnt(0)
	; wave barrier
	s_waitcnt lgkmcnt(0)
	s_and_saveexec_b64 s[6:7], vcc
	s_cbranch_execz .LBB25_31
; %bb.28:
	v_pk_mov_b32 v[2:3], 0, 0
	v_add_u32_e32 v8, -1, v178
	v_add_u32_e32 v9, 0x1a0, v12
	v_add_u32_e32 v10, 0, v12
	s_mov_b64 s[8:9], 0
	v_pk_mov_b32 v[4:5], v[2:3], v[2:3] op_sel:[0,1]
.LBB25_29:                              ; =>This Inner Loop Header: Depth=1
	buffer_load_dword v18, v10, s[0:3], 0 offen offset:8
	buffer_load_dword v19, v10, s[0:3], 0 offen offset:12
	buffer_load_dword v20, v10, s[0:3], 0 offen
	buffer_load_dword v21, v10, s[0:3], 0 offen offset:4
	ds_read_b128 v[14:17], v9
	v_add_u32_e32 v8, 1, v8
	v_cmp_lt_u32_e32 vcc, 2, v8
	v_add_u32_e32 v9, 16, v9
	v_add_u32_e32 v10, 16, v10
	s_or_b64 s[8:9], vcc, s[8:9]
	s_waitcnt vmcnt(2) lgkmcnt(0)
	v_mul_f64 v[74:75], v[16:17], v[18:19]
	v_mul_f64 v[18:19], v[14:15], v[18:19]
	s_waitcnt vmcnt(0)
	v_fma_f64 v[14:15], v[14:15], v[20:21], -v[74:75]
	v_fmac_f64_e32 v[18:19], v[16:17], v[20:21]
	v_add_f64 v[4:5], v[4:5], v[14:15]
	v_add_f64 v[2:3], v[2:3], v[18:19]
	s_andn2_b64 exec, exec, s[8:9]
	s_cbranch_execnz .LBB25_29
; %bb.30:
	s_or_b64 exec, exec, s[8:9]
	v_mov_b32_e32 v8, 0
	ds_read_b128 v[8:11], v8 offset:64
	s_waitcnt lgkmcnt(0)
	v_mul_f64 v[14:15], v[2:3], v[10:11]
	v_mul_f64 v[10:11], v[4:5], v[10:11]
	v_fma_f64 v[4:5], v[4:5], v[8:9], -v[14:15]
	v_fmac_f64_e32 v[10:11], v[2:3], v[8:9]
	buffer_store_dword v5, off, s[0:3], 0 offset:68
	buffer_store_dword v4, off, s[0:3], 0 offset:64
	buffer_store_dword v11, off, s[0:3], 0 offset:76
	buffer_store_dword v10, off, s[0:3], 0 offset:72
.LBB25_31:
	s_or_b64 exec, exec, s[6:7]
	v_accvgpr_read_b32 v5, a29
	s_waitcnt lgkmcnt(0)
	; wave barrier
	buffer_load_dword v2, v5, s[0:3], 0 offen
	buffer_load_dword v3, v5, s[0:3], 0 offen offset:4
	buffer_load_dword v4, v5, s[0:3], 0 offen offset:8
	s_nop 0
	buffer_load_dword v5, v5, s[0:3], 0 offen offset:12
	v_cmp_gt_u32_e32 vcc, 5, v178
	;; [unrolled: 59-line block ×19, first 2 shown]
	s_waitcnt vmcnt(0)
	ds_write_b128 v6, v[2:5]
	s_waitcnt lgkmcnt(0)
	; wave barrier
	s_waitcnt lgkmcnt(0)
	s_and_saveexec_b64 s[6:7], vcc
	s_cbranch_execz .LBB25_103
; %bb.100:
	v_pk_mov_b32 v[2:3], 0, 0
	v_add_u32_e32 v8, -1, v178
	v_add_u32_e32 v9, 0x1a0, v12
	v_add_u32_e32 v10, 0, v12
	s_mov_b64 s[8:9], 0
	v_pk_mov_b32 v[4:5], v[2:3], v[2:3] op_sel:[0,1]
.LBB25_101:                             ; =>This Inner Loop Header: Depth=1
	buffer_load_dword v18, v10, s[0:3], 0 offen offset:8
	buffer_load_dword v19, v10, s[0:3], 0 offen offset:12
	buffer_load_dword v20, v10, s[0:3], 0 offen
	buffer_load_dword v21, v10, s[0:3], 0 offen offset:4
	ds_read_b128 v[14:17], v9
	v_add_u32_e32 v8, 1, v8
	v_cmp_lt_u32_e32 vcc, 20, v8
	v_add_u32_e32 v9, 16, v9
	v_add_u32_e32 v10, 16, v10
	s_or_b64 s[8:9], vcc, s[8:9]
	s_waitcnt vmcnt(2) lgkmcnt(0)
	v_mul_f64 v[74:75], v[16:17], v[18:19]
	v_mul_f64 v[18:19], v[14:15], v[18:19]
	s_waitcnt vmcnt(0)
	v_fma_f64 v[14:15], v[14:15], v[20:21], -v[74:75]
	v_fmac_f64_e32 v[18:19], v[16:17], v[20:21]
	v_add_f64 v[4:5], v[4:5], v[14:15]
	v_add_f64 v[2:3], v[2:3], v[18:19]
	s_andn2_b64 exec, exec, s[8:9]
	s_cbranch_execnz .LBB25_101
; %bb.102:
	s_or_b64 exec, exec, s[8:9]
	v_mov_b32_e32 v8, 0
	ds_read_b128 v[8:11], v8 offset:352
	s_waitcnt lgkmcnt(0)
	v_mul_f64 v[14:15], v[2:3], v[10:11]
	v_mul_f64 v[10:11], v[4:5], v[10:11]
	v_fma_f64 v[4:5], v[4:5], v[8:9], -v[14:15]
	v_fmac_f64_e32 v[10:11], v[2:3], v[8:9]
	buffer_store_dword v5, off, s[0:3], 0 offset:356
	buffer_store_dword v4, off, s[0:3], 0 offset:352
	;; [unrolled: 1-line block ×4, first 2 shown]
.LBB25_103:
	s_or_b64 exec, exec, s[6:7]
	v_accvgpr_read_b32 v5, a10
	s_waitcnt lgkmcnt(0)
	; wave barrier
	buffer_load_dword v2, v5, s[0:3], 0 offen
	buffer_load_dword v3, v5, s[0:3], 0 offen offset:4
	buffer_load_dword v4, v5, s[0:3], 0 offen offset:8
	s_nop 0
	buffer_load_dword v5, v5, s[0:3], 0 offen offset:12
	v_cmp_gt_u32_e32 vcc, 23, v178
	s_waitcnt vmcnt(0)
	ds_write_b128 v6, v[2:5]
	s_waitcnt lgkmcnt(0)
	; wave barrier
	s_waitcnt lgkmcnt(0)
	s_and_saveexec_b64 s[6:7], vcc
	s_cbranch_execz .LBB25_107
; %bb.104:
	v_pk_mov_b32 v[2:3], 0, 0
	v_add_u32_e32 v8, -1, v178
	v_add_u32_e32 v9, 0x1a0, v12
	v_add_u32_e32 v10, 0, v12
	s_mov_b64 s[8:9], 0
	v_pk_mov_b32 v[4:5], v[2:3], v[2:3] op_sel:[0,1]
.LBB25_105:                             ; =>This Inner Loop Header: Depth=1
	buffer_load_dword v18, v10, s[0:3], 0 offen offset:8
	buffer_load_dword v19, v10, s[0:3], 0 offen offset:12
	buffer_load_dword v20, v10, s[0:3], 0 offen
	buffer_load_dword v21, v10, s[0:3], 0 offen offset:4
	ds_read_b128 v[14:17], v9
	v_add_u32_e32 v8, 1, v8
	v_cmp_lt_u32_e32 vcc, 21, v8
	v_add_u32_e32 v9, 16, v9
	v_add_u32_e32 v10, 16, v10
	s_or_b64 s[8:9], vcc, s[8:9]
	s_waitcnt vmcnt(2) lgkmcnt(0)
	v_mul_f64 v[74:75], v[16:17], v[18:19]
	v_mul_f64 v[18:19], v[14:15], v[18:19]
	s_waitcnt vmcnt(0)
	v_fma_f64 v[14:15], v[14:15], v[20:21], -v[74:75]
	v_fmac_f64_e32 v[18:19], v[16:17], v[20:21]
	v_add_f64 v[4:5], v[4:5], v[14:15]
	v_add_f64 v[2:3], v[2:3], v[18:19]
	s_andn2_b64 exec, exec, s[8:9]
	s_cbranch_execnz .LBB25_105
; %bb.106:
	s_or_b64 exec, exec, s[8:9]
	v_mov_b32_e32 v8, 0
	ds_read_b128 v[8:11], v8 offset:368
	s_waitcnt lgkmcnt(0)
	v_mul_f64 v[14:15], v[2:3], v[10:11]
	v_mul_f64 v[10:11], v[4:5], v[10:11]
	v_fma_f64 v[4:5], v[4:5], v[8:9], -v[14:15]
	v_fmac_f64_e32 v[10:11], v[2:3], v[8:9]
	buffer_store_dword v5, off, s[0:3], 0 offset:372
	buffer_store_dword v4, off, s[0:3], 0 offset:368
	;; [unrolled: 1-line block ×4, first 2 shown]
.LBB25_107:
	s_or_b64 exec, exec, s[6:7]
	v_accvgpr_read_b32 v5, a9
	s_waitcnt lgkmcnt(0)
	; wave barrier
	buffer_load_dword v2, v5, s[0:3], 0 offen
	buffer_load_dword v3, v5, s[0:3], 0 offen offset:4
	buffer_load_dword v4, v5, s[0:3], 0 offen offset:8
	s_nop 0
	buffer_load_dword v5, v5, s[0:3], 0 offen offset:12
	v_cmp_gt_u32_e32 vcc, 24, v178
	s_waitcnt vmcnt(0)
	ds_write_b128 v6, v[2:5]
	s_waitcnt lgkmcnt(0)
	; wave barrier
	s_waitcnt lgkmcnt(0)
	s_and_saveexec_b64 s[6:7], vcc
	s_cbranch_execz .LBB25_111
; %bb.108:
	v_pk_mov_b32 v[2:3], 0, 0
	v_add_u32_e32 v8, -1, v178
	v_add_u32_e32 v9, 0x1a0, v12
	v_add_u32_e32 v10, 0, v12
	s_mov_b64 s[8:9], 0
	v_pk_mov_b32 v[4:5], v[2:3], v[2:3] op_sel:[0,1]
.LBB25_109:                             ; =>This Inner Loop Header: Depth=1
	buffer_load_dword v18, v10, s[0:3], 0 offen offset:8
	buffer_load_dword v19, v10, s[0:3], 0 offen offset:12
	buffer_load_dword v20, v10, s[0:3], 0 offen
	buffer_load_dword v21, v10, s[0:3], 0 offen offset:4
	ds_read_b128 v[14:17], v9
	v_add_u32_e32 v8, 1, v8
	v_cmp_lt_u32_e32 vcc, 22, v8
	v_add_u32_e32 v9, 16, v9
	v_add_u32_e32 v10, 16, v10
	s_or_b64 s[8:9], vcc, s[8:9]
	s_waitcnt vmcnt(2) lgkmcnt(0)
	v_mul_f64 v[74:75], v[16:17], v[18:19]
	v_mul_f64 v[18:19], v[14:15], v[18:19]
	s_waitcnt vmcnt(0)
	v_fma_f64 v[14:15], v[14:15], v[20:21], -v[74:75]
	v_fmac_f64_e32 v[18:19], v[16:17], v[20:21]
	v_add_f64 v[4:5], v[4:5], v[14:15]
	v_add_f64 v[2:3], v[2:3], v[18:19]
	s_andn2_b64 exec, exec, s[8:9]
	s_cbranch_execnz .LBB25_109
; %bb.110:
	s_or_b64 exec, exec, s[8:9]
	v_mov_b32_e32 v8, 0
	ds_read_b128 v[8:11], v8 offset:384
	s_waitcnt lgkmcnt(0)
	v_mul_f64 v[14:15], v[2:3], v[10:11]
	v_mul_f64 v[10:11], v[4:5], v[10:11]
	v_fma_f64 v[4:5], v[4:5], v[8:9], -v[14:15]
	v_fmac_f64_e32 v[10:11], v[2:3], v[8:9]
	buffer_store_dword v5, off, s[0:3], 0 offset:388
	buffer_store_dword v4, off, s[0:3], 0 offset:384
	;; [unrolled: 1-line block ×4, first 2 shown]
.LBB25_111:
	s_or_b64 exec, exec, s[6:7]
	s_waitcnt lgkmcnt(0)
	; wave barrier
	buffer_load_dword v2, v76, s[0:3], 0 offen
	buffer_load_dword v3, v76, s[0:3], 0 offen offset:4
	buffer_load_dword v4, v76, s[0:3], 0 offen offset:8
	;; [unrolled: 1-line block ×3, first 2 shown]
	v_cmp_ne_u32_e32 vcc, 25, v178
	s_waitcnt vmcnt(0)
	ds_write_b128 v6, v[2:5]
	s_waitcnt lgkmcnt(0)
	; wave barrier
	s_waitcnt lgkmcnt(0)
	s_and_saveexec_b64 s[6:7], vcc
	s_cbranch_execz .LBB25_115
; %bb.112:
	v_pk_mov_b32 v[2:3], 0, 0
	v_add_u32_e32 v6, 0x1a0, v12
	v_add_u32_e32 v8, 0, v12
	s_mov_b64 s[8:9], 0
	v_pk_mov_b32 v[4:5], v[2:3], v[2:3] op_sel:[0,1]
.LBB25_113:                             ; =>This Inner Loop Header: Depth=1
	buffer_load_dword v14, v8, s[0:3], 0 offen offset:8
	buffer_load_dword v15, v8, s[0:3], 0 offen offset:12
	buffer_load_dword v16, v8, s[0:3], 0 offen
	buffer_load_dword v17, v8, s[0:3], 0 offen offset:4
	ds_read_b128 v[10:13], v6
	v_add_u32_e32 v7, 1, v7
	v_cmp_lt_u32_e32 vcc, 23, v7
	v_add_u32_e32 v6, 16, v6
	v_add_u32_e32 v8, 16, v8
	s_or_b64 s[8:9], vcc, s[8:9]
	s_waitcnt vmcnt(2) lgkmcnt(0)
	v_mul_f64 v[18:19], v[12:13], v[14:15]
	v_mul_f64 v[14:15], v[10:11], v[14:15]
	s_waitcnt vmcnt(0)
	v_fma_f64 v[10:11], v[10:11], v[16:17], -v[18:19]
	v_fmac_f64_e32 v[14:15], v[12:13], v[16:17]
	v_add_f64 v[4:5], v[4:5], v[10:11]
	v_add_f64 v[2:3], v[2:3], v[14:15]
	s_andn2_b64 exec, exec, s[8:9]
	s_cbranch_execnz .LBB25_113
; %bb.114:
	s_or_b64 exec, exec, s[8:9]
	v_mov_b32_e32 v6, 0
	ds_read_b128 v[6:9], v6 offset:400
	s_waitcnt lgkmcnt(0)
	v_mul_f64 v[10:11], v[2:3], v[8:9]
	v_mul_f64 v[8:9], v[4:5], v[8:9]
	v_fma_f64 v[4:5], v[4:5], v[6:7], -v[10:11]
	v_fmac_f64_e32 v[8:9], v[2:3], v[6:7]
	buffer_store_dword v5, off, s[0:3], 0 offset:404
	buffer_store_dword v4, off, s[0:3], 0 offset:400
	;; [unrolled: 1-line block ×4, first 2 shown]
.LBB25_115:
	s_or_b64 exec, exec, s[6:7]
	s_mov_b64 s[8:9], -1
	s_waitcnt lgkmcnt(0)
	; wave barrier
.LBB25_116:
	s_and_b64 vcc, exec, s[8:9]
	s_cbranch_vccz .LBB25_118
; %bb.117:
	s_lshl_b64 s[6:7], s[10:11], 2
	s_add_u32 s6, s14, s6
	s_addc_u32 s7, s15, s7
	v_mov_b32_e32 v2, 0
	global_load_dword v2, v2, s[6:7]
	s_waitcnt vmcnt(0)
	v_cmp_ne_u32_e32 vcc, 0, v2
	s_cbranch_vccz .LBB25_119
.LBB25_118:
	s_endpgm
.LBB25_119:
	v_accvgpr_write_b32 a6, v30
	v_accvgpr_write_b32 a4, v28
	;; [unrolled: 1-line block ×4, first 2 shown]
	v_mov_b32_e32 v2, 0x1a0
	v_accvgpr_write_b32 a8, v76
	v_accvgpr_write_b32 a7, v31
	;; [unrolled: 1-line block ×5, first 2 shown]
	v_lshl_add_u32 v150, v178, 4, v2
	v_cmp_eq_u32_e32 vcc, 25, v178
	s_and_saveexec_b64 s[6:7], vcc
	s_cbranch_execz .LBB25_121
; %bb.120:
	v_accvgpr_read_b32 v5, a9
	buffer_load_dword v2, v5, s[0:3], 0 offen
	buffer_load_dword v3, v5, s[0:3], 0 offen offset:4
	buffer_load_dword v4, v5, s[0:3], 0 offen offset:8
	s_nop 0
	buffer_load_dword v5, v5, s[0:3], 0 offen offset:12
	v_mov_b32_e32 v6, 0
	buffer_store_dword v6, off, s[0:3], 0 offset:384
	buffer_store_dword v6, off, s[0:3], 0 offset:388
	;; [unrolled: 1-line block ×4, first 2 shown]
	s_waitcnt vmcnt(4)
	ds_write_b128 v150, v[2:5]
.LBB25_121:
	s_or_b64 exec, exec, s[6:7]
	s_waitcnt lgkmcnt(0)
	; wave barrier
	s_waitcnt lgkmcnt(0)
	buffer_load_dword v8, off, s[0:3], 0 offset:408
	buffer_load_dword v9, off, s[0:3], 0 offset:412
	buffer_load_dword v10, off, s[0:3], 0 offset:400
	buffer_load_dword v11, off, s[0:3], 0 offset:404
	buffer_load_dword v12, off, s[0:3], 0 offset:384
	buffer_load_dword v13, off, s[0:3], 0 offset:388
	buffer_load_dword v14, off, s[0:3], 0 offset:392
	buffer_load_dword v15, off, s[0:3], 0 offset:396
	v_mov_b32_e32 v2, 0
	ds_read_b128 v[4:7], v2 offset:816
	v_cmp_lt_u32_e32 vcc, 23, v178
	s_waitcnt vmcnt(6) lgkmcnt(0)
	v_mul_f64 v[16:17], v[4:5], v[8:9]
	v_mul_f64 v[8:9], v[6:7], v[8:9]
	s_waitcnt vmcnt(4)
	v_fma_f64 v[4:5], v[4:5], v[10:11], -v[8:9]
	v_fmac_f64_e32 v[16:17], v[6:7], v[10:11]
	v_add_f64 v[4:5], v[4:5], 0
	v_add_f64 v[6:7], v[16:17], 0
	s_waitcnt vmcnt(2)
	v_add_f64 v[4:5], v[12:13], -v[4:5]
	s_waitcnt vmcnt(0)
	v_add_f64 v[6:7], v[14:15], -v[6:7]
	buffer_store_dword v4, off, s[0:3], 0 offset:384
	buffer_store_dword v5, off, s[0:3], 0 offset:388
	;; [unrolled: 1-line block ×4, first 2 shown]
	s_and_saveexec_b64 s[6:7], vcc
	s_cbranch_execz .LBB25_123
; %bb.122:
	v_accvgpr_read_b32 v3, a10
	buffer_load_dword v4, v3, s[0:3], 0 offen
	buffer_load_dword v5, v3, s[0:3], 0 offen offset:4
	buffer_load_dword v6, v3, s[0:3], 0 offen offset:8
	;; [unrolled: 1-line block ×3, first 2 shown]
	s_nop 0
	buffer_store_dword v2, off, s[0:3], 0 offset:368
	buffer_store_dword v2, off, s[0:3], 0 offset:372
	;; [unrolled: 1-line block ×4, first 2 shown]
	s_waitcnt vmcnt(4)
	ds_write_b128 v150, v[4:7]
.LBB25_123:
	s_or_b64 exec, exec, s[6:7]
	s_waitcnt lgkmcnt(0)
	; wave barrier
	s_waitcnt lgkmcnt(0)
	buffer_load_dword v12, off, s[0:3], 0 offset:392
	buffer_load_dword v13, off, s[0:3], 0 offset:396
	;; [unrolled: 1-line block ×12, first 2 shown]
	ds_read_b128 v[4:7], v2 offset:800
	ds_read_b128 v[8:11], v2 offset:816
	v_cmp_lt_u32_e32 vcc, 22, v178
	s_waitcnt vmcnt(10) lgkmcnt(1)
	v_mul_f64 v[2:3], v[4:5], v[12:13]
	v_mul_f64 v[12:13], v[6:7], v[12:13]
	s_waitcnt vmcnt(8) lgkmcnt(0)
	v_mul_f64 v[76:77], v[8:9], v[14:15]
	v_mul_f64 v[14:15], v[10:11], v[14:15]
	s_waitcnt vmcnt(6)
	v_fma_f64 v[4:5], v[4:5], v[16:17], -v[12:13]
	v_fmac_f64_e32 v[2:3], v[6:7], v[16:17]
	s_waitcnt vmcnt(4)
	v_fma_f64 v[6:7], v[8:9], v[18:19], -v[14:15]
	v_add_f64 v[4:5], v[4:5], 0
	v_fmac_f64_e32 v[76:77], v[10:11], v[18:19]
	v_add_f64 v[2:3], v[2:3], 0
	v_add_f64 v[4:5], v[4:5], v[6:7]
	;; [unrolled: 1-line block ×3, first 2 shown]
	s_waitcnt vmcnt(2)
	v_add_f64 v[4:5], v[20:21], -v[4:5]
	s_waitcnt vmcnt(0)
	v_add_f64 v[2:3], v[74:75], -v[2:3]
	buffer_store_dword v4, off, s[0:3], 0 offset:368
	buffer_store_dword v5, off, s[0:3], 0 offset:372
	;; [unrolled: 1-line block ×4, first 2 shown]
	s_and_saveexec_b64 s[6:7], vcc
	s_cbranch_execz .LBB25_125
; %bb.124:
	v_accvgpr_read_b32 v5, a11
	buffer_load_dword v2, v5, s[0:3], 0 offen
	buffer_load_dword v3, v5, s[0:3], 0 offen offset:4
	buffer_load_dword v4, v5, s[0:3], 0 offen offset:8
	s_nop 0
	buffer_load_dword v5, v5, s[0:3], 0 offen offset:12
	v_mov_b32_e32 v6, 0
	buffer_store_dword v6, off, s[0:3], 0 offset:352
	buffer_store_dword v6, off, s[0:3], 0 offset:356
	buffer_store_dword v6, off, s[0:3], 0 offset:360
	buffer_store_dword v6, off, s[0:3], 0 offset:364
	s_waitcnt vmcnt(4)
	ds_write_b128 v150, v[2:5]
.LBB25_125:
	s_or_b64 exec, exec, s[6:7]
	s_waitcnt lgkmcnt(0)
	; wave barrier
	s_waitcnt lgkmcnt(0)
	buffer_load_dword v16, off, s[0:3], 0 offset:376
	buffer_load_dword v17, off, s[0:3], 0 offset:380
	;; [unrolled: 1-line block ×16, first 2 shown]
	v_mov_b32_e32 v2, 0
	ds_read_b128 v[4:7], v2 offset:784
	ds_read_b128 v[8:11], v2 offset:800
	;; [unrolled: 1-line block ×3, first 2 shown]
	v_cmp_lt_u32_e32 vcc, 21, v178
	s_waitcnt vmcnt(14) lgkmcnt(2)
	v_mul_f64 v[84:85], v[4:5], v[16:17]
	v_mul_f64 v[16:17], v[6:7], v[16:17]
	s_waitcnt vmcnt(12) lgkmcnt(1)
	v_mul_f64 v[86:87], v[8:9], v[18:19]
	v_mul_f64 v[18:19], v[10:11], v[18:19]
	;; [unrolled: 3-line block ×3, first 2 shown]
	s_waitcnt vmcnt(8)
	v_fma_f64 v[4:5], v[4:5], v[74:75], -v[16:17]
	v_fmac_f64_e32 v[84:85], v[6:7], v[74:75]
	s_waitcnt vmcnt(6)
	v_fma_f64 v[6:7], v[8:9], v[76:77], -v[18:19]
	v_add_f64 v[4:5], v[4:5], 0
	v_fmac_f64_e32 v[86:87], v[10:11], v[76:77]
	s_waitcnt vmcnt(4)
	v_fma_f64 v[8:9], v[12:13], v[78:79], -v[20:21]
	v_add_f64 v[10:11], v[84:85], 0
	v_add_f64 v[4:5], v[4:5], v[6:7]
	v_fmac_f64_e32 v[88:89], v[14:15], v[78:79]
	v_add_f64 v[10:11], v[10:11], v[86:87]
	v_add_f64 v[4:5], v[4:5], v[8:9]
	;; [unrolled: 1-line block ×3, first 2 shown]
	s_waitcnt vmcnt(2)
	v_add_f64 v[4:5], v[80:81], -v[4:5]
	s_waitcnt vmcnt(0)
	v_add_f64 v[6:7], v[82:83], -v[6:7]
	buffer_store_dword v4, off, s[0:3], 0 offset:352
	buffer_store_dword v5, off, s[0:3], 0 offset:356
	;; [unrolled: 1-line block ×4, first 2 shown]
	s_and_saveexec_b64 s[6:7], vcc
	s_cbranch_execz .LBB25_127
; %bb.126:
	v_accvgpr_read_b32 v3, a12
	buffer_load_dword v4, v3, s[0:3], 0 offen
	buffer_load_dword v5, v3, s[0:3], 0 offen offset:4
	buffer_load_dword v6, v3, s[0:3], 0 offen offset:8
	;; [unrolled: 1-line block ×3, first 2 shown]
	s_nop 0
	buffer_store_dword v2, off, s[0:3], 0 offset:336
	buffer_store_dword v2, off, s[0:3], 0 offset:340
	;; [unrolled: 1-line block ×4, first 2 shown]
	s_waitcnt vmcnt(4)
	ds_write_b128 v150, v[4:7]
.LBB25_127:
	s_or_b64 exec, exec, s[6:7]
	s_waitcnt lgkmcnt(0)
	; wave barrier
	s_waitcnt lgkmcnt(0)
	buffer_load_dword v20, off, s[0:3], 0 offset:360
	buffer_load_dword v21, off, s[0:3], 0 offset:364
	;; [unrolled: 1-line block ×20, first 2 shown]
	ds_read_b128 v[4:7], v2 offset:768
	ds_read_b128 v[8:11], v2 offset:784
	;; [unrolled: 1-line block ×4, first 2 shown]
	v_cmp_lt_u32_e32 vcc, 20, v178
	s_waitcnt vmcnt(18) lgkmcnt(3)
	v_mul_f64 v[2:3], v[4:5], v[20:21]
	v_mul_f64 v[20:21], v[6:7], v[20:21]
	s_waitcnt vmcnt(16) lgkmcnt(2)
	v_mul_f64 v[92:93], v[8:9], v[74:75]
	v_mul_f64 v[74:75], v[10:11], v[74:75]
	;; [unrolled: 3-line block ×4, first 2 shown]
	s_waitcnt vmcnt(10)
	v_fma_f64 v[4:5], v[4:5], v[80:81], -v[20:21]
	v_fmac_f64_e32 v[2:3], v[6:7], v[80:81]
	s_waitcnt vmcnt(8)
	v_fma_f64 v[6:7], v[8:9], v[82:83], -v[74:75]
	v_add_f64 v[4:5], v[4:5], 0
	v_fmac_f64_e32 v[92:93], v[10:11], v[82:83]
	s_waitcnt vmcnt(6)
	v_fma_f64 v[8:9], v[12:13], v[84:85], -v[76:77]
	v_add_f64 v[2:3], v[2:3], 0
	v_add_f64 v[4:5], v[4:5], v[6:7]
	v_fmac_f64_e32 v[94:95], v[14:15], v[84:85]
	s_waitcnt vmcnt(4)
	v_fma_f64 v[10:11], v[16:17], v[86:87], -v[78:79]
	v_add_f64 v[2:3], v[2:3], v[92:93]
	v_add_f64 v[4:5], v[4:5], v[8:9]
	v_fmac_f64_e32 v[96:97], v[18:19], v[86:87]
	v_add_f64 v[2:3], v[2:3], v[94:95]
	v_add_f64 v[4:5], v[4:5], v[10:11]
	;; [unrolled: 1-line block ×3, first 2 shown]
	s_waitcnt vmcnt(2)
	v_add_f64 v[4:5], v[88:89], -v[4:5]
	s_waitcnt vmcnt(0)
	v_add_f64 v[2:3], v[90:91], -v[2:3]
	buffer_store_dword v4, off, s[0:3], 0 offset:336
	buffer_store_dword v5, off, s[0:3], 0 offset:340
	;; [unrolled: 1-line block ×4, first 2 shown]
	s_and_saveexec_b64 s[6:7], vcc
	s_cbranch_execz .LBB25_129
; %bb.128:
	v_accvgpr_read_b32 v5, a13
	buffer_load_dword v2, v5, s[0:3], 0 offen
	buffer_load_dword v3, v5, s[0:3], 0 offen offset:4
	buffer_load_dword v4, v5, s[0:3], 0 offen offset:8
	s_nop 0
	buffer_load_dword v5, v5, s[0:3], 0 offen offset:12
	v_mov_b32_e32 v6, 0
	buffer_store_dword v6, off, s[0:3], 0 offset:320
	buffer_store_dword v6, off, s[0:3], 0 offset:324
	;; [unrolled: 1-line block ×4, first 2 shown]
	s_waitcnt vmcnt(4)
	ds_write_b128 v150, v[2:5]
.LBB25_129:
	s_or_b64 exec, exec, s[6:7]
	s_waitcnt lgkmcnt(0)
	; wave barrier
	s_waitcnt lgkmcnt(0)
	buffer_load_dword v20, off, s[0:3], 0 offset:344
	buffer_load_dword v21, off, s[0:3], 0 offset:348
	;; [unrolled: 1-line block ×24, first 2 shown]
	v_mov_b32_e32 v2, 0
	ds_read_b128 v[4:7], v2 offset:752
	ds_read_b128 v[8:11], v2 offset:768
	;; [unrolled: 1-line block ×5, first 2 shown]
	v_cmp_lt_u32_e32 vcc, 19, v178
	s_waitcnt vmcnt(22) lgkmcnt(4)
	v_mul_f64 v[100:101], v[4:5], v[20:21]
	v_mul_f64 v[20:21], v[6:7], v[20:21]
	s_waitcnt vmcnt(20) lgkmcnt(3)
	v_mul_f64 v[102:103], v[8:9], v[78:79]
	v_mul_f64 v[78:79], v[10:11], v[78:79]
	;; [unrolled: 3-line block ×4, first 2 shown]
	s_waitcnt vmcnt(13) lgkmcnt(0)
	v_mul_f64 v[108:109], v[74:75], v[82:83]
	s_waitcnt vmcnt(11)
	v_fma_f64 v[4:5], v[4:5], v[88:89], -v[20:21]
	v_fmac_f64_e32 v[100:101], v[6:7], v[88:89]
	s_waitcnt vmcnt(9)
	v_fma_f64 v[6:7], v[8:9], v[90:91], -v[78:79]
	v_add_f64 v[4:5], v[4:5], 0
	v_fmac_f64_e32 v[102:103], v[10:11], v[90:91]
	s_waitcnt vmcnt(7)
	v_fmac_f64_e32 v[104:105], v[14:15], v[92:93]
	v_fma_f64 v[8:9], v[12:13], v[92:93], -v[80:81]
	v_add_f64 v[14:15], v[100:101], 0
	v_add_f64 v[4:5], v[4:5], v[6:7]
	v_mul_f64 v[82:83], v[76:77], v[82:83]
	s_waitcnt vmcnt(5)
	v_fma_f64 v[10:11], v[16:17], v[94:95], -v[86:87]
	v_add_f64 v[14:15], v[14:15], v[102:103]
	v_add_f64 v[4:5], v[4:5], v[8:9]
	v_fmac_f64_e32 v[106:107], v[18:19], v[94:95]
	s_waitcnt vmcnt(4)
	v_fma_f64 v[12:13], v[74:75], v[84:85], -v[82:83]
	v_add_f64 v[6:7], v[14:15], v[104:105]
	v_add_f64 v[4:5], v[4:5], v[10:11]
	v_fmac_f64_e32 v[108:109], v[76:77], v[84:85]
	v_add_f64 v[6:7], v[6:7], v[106:107]
	v_add_f64 v[4:5], v[4:5], v[12:13]
	;; [unrolled: 1-line block ×3, first 2 shown]
	s_waitcnt vmcnt(2)
	v_add_f64 v[4:5], v[96:97], -v[4:5]
	s_waitcnt vmcnt(0)
	v_add_f64 v[6:7], v[98:99], -v[6:7]
	buffer_store_dword v5, off, s[0:3], 0 offset:324
	buffer_store_dword v4, off, s[0:3], 0 offset:320
	;; [unrolled: 1-line block ×4, first 2 shown]
	s_and_saveexec_b64 s[6:7], vcc
	s_cbranch_execz .LBB25_131
; %bb.130:
	v_accvgpr_read_b32 v3, a14
	buffer_load_dword v4, v3, s[0:3], 0 offen
	buffer_load_dword v5, v3, s[0:3], 0 offen offset:4
	buffer_load_dword v6, v3, s[0:3], 0 offen offset:8
	buffer_load_dword v7, v3, s[0:3], 0 offen offset:12
	s_nop 0
	buffer_store_dword v2, off, s[0:3], 0 offset:304
	buffer_store_dword v2, off, s[0:3], 0 offset:308
	;; [unrolled: 1-line block ×4, first 2 shown]
	s_waitcnt vmcnt(4)
	ds_write_b128 v150, v[4:7]
.LBB25_131:
	s_or_b64 exec, exec, s[6:7]
	s_waitcnt lgkmcnt(0)
	; wave barrier
	s_waitcnt lgkmcnt(0)
	buffer_load_dword v20, off, s[0:3], 0 offset:328
	buffer_load_dword v21, off, s[0:3], 0 offset:332
	buffer_load_dword v82, off, s[0:3], 0 offset:344
	buffer_load_dword v83, off, s[0:3], 0 offset:348
	buffer_load_dword v84, off, s[0:3], 0 offset:360
	buffer_load_dword v85, off, s[0:3], 0 offset:364
	buffer_load_dword v87, off, s[0:3], 0 offset:396
	buffer_load_dword v86, off, s[0:3], 0 offset:392
	buffer_load_dword v88, off, s[0:3], 0 offset:384
	buffer_load_dword v91, off, s[0:3], 0 offset:380
	buffer_load_dword v90, off, s[0:3], 0 offset:376
	buffer_load_dword v93, off, s[0:3], 0 offset:412
	buffer_load_dword v92, off, s[0:3], 0 offset:408
	buffer_load_dword v89, off, s[0:3], 0 offset:388
	buffer_load_dword v94, off, s[0:3], 0 offset:320
	buffer_load_dword v95, off, s[0:3], 0 offset:324
	buffer_load_dword v96, off, s[0:3], 0 offset:336
	buffer_load_dword v97, off, s[0:3], 0 offset:340
	buffer_load_dword v98, off, s[0:3], 0 offset:352
	buffer_load_dword v99, off, s[0:3], 0 offset:356
	buffer_load_dword v101, off, s[0:3], 0 offset:372
	buffer_load_dword v100, off, s[0:3], 0 offset:368
	buffer_load_dword v103, off, s[0:3], 0 offset:404
	buffer_load_dword v102, off, s[0:3], 0 offset:400
	buffer_load_dword v104, off, s[0:3], 0 offset:304
	buffer_load_dword v105, off, s[0:3], 0 offset:308
	buffer_load_dword v106, off, s[0:3], 0 offset:312
	buffer_load_dword v107, off, s[0:3], 0 offset:316
	ds_read_b128 v[4:7], v2 offset:736
	ds_read_b128 v[8:11], v2 offset:752
	;; [unrolled: 1-line block ×6, first 2 shown]
	v_cmp_lt_u32_e32 vcc, 18, v178
	s_waitcnt vmcnt(26) lgkmcnt(5)
	v_mul_f64 v[2:3], v[4:5], v[20:21]
	v_mul_f64 v[20:21], v[6:7], v[20:21]
	s_waitcnt vmcnt(24) lgkmcnt(4)
	v_mul_f64 v[108:109], v[8:9], v[82:83]
	v_mul_f64 v[82:83], v[10:11], v[82:83]
	;; [unrolled: 3-line block ×4, first 2 shown]
	s_waitcnt vmcnt(17)
	v_mul_f64 v[112:113], v[16:17], v[90:91]
	v_mul_f64 v[90:91], v[18:19], v[90:91]
	s_waitcnt vmcnt(15) lgkmcnt(0)
	v_mul_f64 v[116:117], v[78:79], v[92:93]
	v_mul_f64 v[92:93], v[80:81], v[92:93]
	s_waitcnt vmcnt(14)
	v_fmac_f64_e32 v[114:115], v[76:77], v[88:89]
	s_waitcnt vmcnt(12)
	v_fma_f64 v[4:5], v[4:5], v[94:95], -v[20:21]
	v_fmac_f64_e32 v[2:3], v[6:7], v[94:95]
	s_waitcnt vmcnt(10)
	v_fma_f64 v[6:7], v[8:9], v[96:97], -v[82:83]
	v_add_f64 v[4:5], v[4:5], 0
	v_fmac_f64_e32 v[108:109], v[10:11], v[96:97]
	s_waitcnt vmcnt(8)
	v_fma_f64 v[8:9], v[12:13], v[98:99], -v[84:85]
	v_add_f64 v[2:3], v[2:3], 0
	v_add_f64 v[4:5], v[4:5], v[6:7]
	v_fmac_f64_e32 v[110:111], v[14:15], v[98:99]
	s_waitcnt vmcnt(6)
	v_fma_f64 v[10:11], v[16:17], v[100:101], -v[90:91]
	v_add_f64 v[2:3], v[2:3], v[108:109]
	v_add_f64 v[4:5], v[4:5], v[8:9]
	v_fmac_f64_e32 v[112:113], v[18:19], v[100:101]
	v_fma_f64 v[12:13], v[74:75], v[88:89], -v[86:87]
	v_add_f64 v[2:3], v[2:3], v[110:111]
	v_add_f64 v[4:5], v[4:5], v[10:11]
	s_waitcnt vmcnt(4)
	v_fma_f64 v[14:15], v[78:79], v[102:103], -v[92:93]
	v_add_f64 v[2:3], v[2:3], v[112:113]
	v_add_f64 v[4:5], v[4:5], v[12:13]
	v_fmac_f64_e32 v[116:117], v[80:81], v[102:103]
	v_add_f64 v[2:3], v[2:3], v[114:115]
	v_add_f64 v[4:5], v[4:5], v[14:15]
	;; [unrolled: 1-line block ×3, first 2 shown]
	s_waitcnt vmcnt(2)
	v_add_f64 v[4:5], v[104:105], -v[4:5]
	s_waitcnt vmcnt(0)
	v_add_f64 v[2:3], v[106:107], -v[2:3]
	buffer_store_dword v5, off, s[0:3], 0 offset:308
	buffer_store_dword v4, off, s[0:3], 0 offset:304
	;; [unrolled: 1-line block ×4, first 2 shown]
	s_and_saveexec_b64 s[6:7], vcc
	s_cbranch_execz .LBB25_133
; %bb.132:
	v_accvgpr_read_b32 v5, a15
	buffer_load_dword v2, v5, s[0:3], 0 offen
	buffer_load_dword v3, v5, s[0:3], 0 offen offset:4
	buffer_load_dword v4, v5, s[0:3], 0 offen offset:8
	s_nop 0
	buffer_load_dword v5, v5, s[0:3], 0 offen offset:12
	v_mov_b32_e32 v6, 0
	buffer_store_dword v6, off, s[0:3], 0 offset:288
	buffer_store_dword v6, off, s[0:3], 0 offset:292
	;; [unrolled: 1-line block ×4, first 2 shown]
	s_waitcnt vmcnt(4)
	ds_write_b128 v150, v[2:5]
.LBB25_133:
	s_or_b64 exec, exec, s[6:7]
	s_waitcnt lgkmcnt(0)
	; wave barrier
	s_waitcnt lgkmcnt(0)
	buffer_load_dword v20, off, s[0:3], 0 offset:312
	buffer_load_dword v21, off, s[0:3], 0 offset:316
	;; [unrolled: 1-line block ×32, first 2 shown]
	v_mov_b32_e32 v2, 0
	ds_read_b128 v[4:7], v2 offset:720
	ds_read_b128 v[8:11], v2 offset:736
	;; [unrolled: 1-line block ×7, first 2 shown]
	v_cmp_lt_u32_e32 vcc, 17, v178
	s_waitcnt vmcnt(30) lgkmcnt(6)
	v_mul_f64 v[116:117], v[4:5], v[20:21]
	v_mul_f64 v[20:21], v[6:7], v[20:21]
	s_waitcnt vmcnt(28) lgkmcnt(5)
	v_mul_f64 v[118:119], v[8:9], v[86:87]
	v_mul_f64 v[86:87], v[10:11], v[86:87]
	;; [unrolled: 3-line block ×4, first 2 shown]
	s_waitcnt vmcnt(21)
	v_mul_f64 v[122:123], v[16:17], v[94:95]
	v_mul_f64 v[94:95], v[18:19], v[94:95]
	s_waitcnt vmcnt(17) lgkmcnt(1)
	v_mul_f64 v[126:127], v[78:79], v[100:101]
	v_mul_f64 v[100:101], v[80:81], v[100:101]
	s_waitcnt vmcnt(16) lgkmcnt(0)
	v_mul_f64 v[128:129], v[82:83], v[96:97]
	v_mul_f64 v[96:97], v[84:85], v[96:97]
	s_waitcnt vmcnt(13)
	v_fma_f64 v[4:5], v[4:5], v[102:103], -v[20:21]
	v_fmac_f64_e32 v[116:117], v[6:7], v[102:103]
	s_waitcnt vmcnt(11)
	v_fma_f64 v[6:7], v[8:9], v[104:105], -v[86:87]
	v_add_f64 v[4:5], v[4:5], 0
	v_fmac_f64_e32 v[118:119], v[10:11], v[104:105]
	s_waitcnt vmcnt(9)
	v_fma_f64 v[8:9], v[12:13], v[106:107], -v[88:89]
	s_waitcnt vmcnt(7)
	v_fmac_f64_e32 v[122:123], v[18:19], v[108:109]
	v_add_f64 v[18:19], v[116:117], 0
	v_add_f64 v[4:5], v[4:5], v[6:7]
	v_fmac_f64_e32 v[120:121], v[14:15], v[106:107]
	v_fma_f64 v[10:11], v[16:17], v[108:109], -v[94:95]
	v_add_f64 v[18:19], v[18:19], v[118:119]
	v_add_f64 v[4:5], v[4:5], v[8:9]
	v_fma_f64 v[12:13], v[74:75], v[92:93], -v[90:91]
	v_add_f64 v[6:7], v[18:19], v[120:121]
	v_add_f64 v[4:5], v[4:5], v[10:11]
	v_fmac_f64_e32 v[124:125], v[76:77], v[92:93]
	s_waitcnt vmcnt(5)
	v_fma_f64 v[14:15], v[78:79], v[110:111], -v[100:101]
	v_add_f64 v[6:7], v[6:7], v[122:123]
	v_add_f64 v[4:5], v[4:5], v[12:13]
	v_fmac_f64_e32 v[126:127], v[80:81], v[110:111]
	s_waitcnt vmcnt(4)
	v_fma_f64 v[16:17], v[82:83], v[98:99], -v[96:97]
	v_add_f64 v[6:7], v[6:7], v[124:125]
	v_add_f64 v[4:5], v[4:5], v[14:15]
	v_fmac_f64_e32 v[128:129], v[84:85], v[98:99]
	v_add_f64 v[6:7], v[6:7], v[126:127]
	v_add_f64 v[4:5], v[4:5], v[16:17]
	;; [unrolled: 1-line block ×3, first 2 shown]
	s_waitcnt vmcnt(2)
	v_add_f64 v[4:5], v[112:113], -v[4:5]
	s_waitcnt vmcnt(0)
	v_add_f64 v[6:7], v[114:115], -v[6:7]
	buffer_store_dword v5, off, s[0:3], 0 offset:292
	buffer_store_dword v4, off, s[0:3], 0 offset:288
	;; [unrolled: 1-line block ×4, first 2 shown]
	s_and_saveexec_b64 s[6:7], vcc
	s_cbranch_execz .LBB25_135
; %bb.134:
	v_accvgpr_read_b32 v3, a16
	buffer_load_dword v4, v3, s[0:3], 0 offen
	buffer_load_dword v5, v3, s[0:3], 0 offen offset:4
	buffer_load_dword v6, v3, s[0:3], 0 offen offset:8
	;; [unrolled: 1-line block ×3, first 2 shown]
	s_nop 0
	buffer_store_dword v2, off, s[0:3], 0 offset:272
	buffer_store_dword v2, off, s[0:3], 0 offset:276
	;; [unrolled: 1-line block ×4, first 2 shown]
	s_waitcnt vmcnt(4)
	ds_write_b128 v150, v[4:7]
.LBB25_135:
	s_or_b64 exec, exec, s[6:7]
	s_waitcnt lgkmcnt(0)
	; wave barrier
	s_waitcnt lgkmcnt(0)
	buffer_load_dword v20, off, s[0:3], 0 offset:296
	buffer_load_dword v21, off, s[0:3], 0 offset:300
	;; [unrolled: 1-line block ×36, first 2 shown]
	ds_read_b128 v[4:7], v2 offset:704
	ds_read_b128 v[8:11], v2 offset:720
	;; [unrolled: 1-line block ×8, first 2 shown]
	v_cmp_lt_u32_e32 vcc, 16, v178
	s_waitcnt vmcnt(34) lgkmcnt(7)
	v_mul_f64 v[2:3], v[4:5], v[20:21]
	v_mul_f64 v[20:21], v[6:7], v[20:21]
	s_waitcnt vmcnt(32) lgkmcnt(6)
	v_mul_f64 v[124:125], v[8:9], v[90:91]
	v_mul_f64 v[90:91], v[10:11], v[90:91]
	;; [unrolled: 3-line block ×4, first 2 shown]
	s_waitcnt vmcnt(25)
	v_mul_f64 v[128:129], v[16:17], v[98:99]
	v_mul_f64 v[98:99], v[18:19], v[98:99]
	s_waitcnt vmcnt(23) lgkmcnt(1)
	v_mul_f64 v[134:135], v[82:83], v[100:101]
	v_mul_f64 v[100:101], v[84:85], v[100:101]
	s_waitcnt vmcnt(20)
	v_mul_f64 v[132:133], v[78:79], v[104:105]
	v_mul_f64 v[104:105], v[80:81], v[104:105]
	s_waitcnt vmcnt(18) lgkmcnt(0)
	v_mul_f64 v[136:137], v[86:87], v[106:107]
	s_waitcnt vmcnt(17)
	v_fmac_f64_e32 v[130:131], v[76:77], v[96:97]
	s_waitcnt vmcnt(16)
	v_fmac_f64_e32 v[134:135], v[84:85], v[102:103]
	s_waitcnt vmcnt(14)
	v_fma_f64 v[4:5], v[4:5], v[108:109], -v[20:21]
	v_fmac_f64_e32 v[2:3], v[6:7], v[108:109]
	s_waitcnt vmcnt(12)
	v_fma_f64 v[6:7], v[8:9], v[110:111], -v[90:91]
	v_add_f64 v[4:5], v[4:5], 0
	v_fmac_f64_e32 v[124:125], v[10:11], v[110:111]
	s_waitcnt vmcnt(10)
	v_fma_f64 v[8:9], v[12:13], v[112:113], -v[92:93]
	v_add_f64 v[2:3], v[2:3], 0
	v_add_f64 v[4:5], v[4:5], v[6:7]
	v_fmac_f64_e32 v[126:127], v[14:15], v[112:113]
	s_waitcnt vmcnt(8)
	v_fma_f64 v[10:11], v[16:17], v[114:115], -v[98:99]
	v_add_f64 v[2:3], v[2:3], v[124:125]
	v_add_f64 v[4:5], v[4:5], v[8:9]
	v_fmac_f64_e32 v[128:129], v[18:19], v[114:115]
	v_fma_f64 v[12:13], v[74:75], v[96:97], -v[94:95]
	v_add_f64 v[2:3], v[2:3], v[126:127]
	v_add_f64 v[4:5], v[4:5], v[10:11]
	s_waitcnt vmcnt(6)
	v_fma_f64 v[14:15], v[78:79], v[116:117], -v[104:105]
	v_add_f64 v[2:3], v[2:3], v[128:129]
	v_add_f64 v[4:5], v[4:5], v[12:13]
	v_fmac_f64_e32 v[132:133], v[80:81], v[116:117]
	v_fma_f64 v[16:17], v[82:83], v[102:103], -v[100:101]
	v_add_f64 v[2:3], v[2:3], v[130:131]
	v_add_f64 v[4:5], v[4:5], v[14:15]
	v_mul_f64 v[6:7], v[88:89], v[106:107]
	v_add_f64 v[2:3], v[2:3], v[132:133]
	v_add_f64 v[4:5], v[4:5], v[16:17]
	s_waitcnt vmcnt(4)
	v_fma_f64 v[6:7], v[86:87], v[118:119], -v[6:7]
	v_fmac_f64_e32 v[136:137], v[88:89], v[118:119]
	v_add_f64 v[2:3], v[2:3], v[134:135]
	v_add_f64 v[4:5], v[4:5], v[6:7]
	;; [unrolled: 1-line block ×3, first 2 shown]
	s_waitcnt vmcnt(2)
	v_add_f64 v[4:5], v[120:121], -v[4:5]
	s_waitcnt vmcnt(0)
	v_add_f64 v[2:3], v[122:123], -v[2:3]
	buffer_store_dword v5, off, s[0:3], 0 offset:276
	buffer_store_dword v4, off, s[0:3], 0 offset:272
	;; [unrolled: 1-line block ×4, first 2 shown]
	s_and_saveexec_b64 s[6:7], vcc
	s_cbranch_execz .LBB25_137
; %bb.136:
	v_accvgpr_read_b32 v5, a17
	buffer_load_dword v2, v5, s[0:3], 0 offen
	buffer_load_dword v3, v5, s[0:3], 0 offen offset:4
	buffer_load_dword v4, v5, s[0:3], 0 offen offset:8
	s_nop 0
	buffer_load_dword v5, v5, s[0:3], 0 offen offset:12
	v_mov_b32_e32 v6, 0
	buffer_store_dword v6, off, s[0:3], 0 offset:256
	buffer_store_dword v6, off, s[0:3], 0 offset:260
	;; [unrolled: 1-line block ×4, first 2 shown]
	s_waitcnt vmcnt(4)
	ds_write_b128 v150, v[2:5]
.LBB25_137:
	s_or_b64 exec, exec, s[6:7]
	v_mov_b32_e32 v96, 0
	s_waitcnt lgkmcnt(0)
	; wave barrier
	s_waitcnt lgkmcnt(0)
	ds_read_b128 v[14:17], v96 offset:688
	ds_read_b128 v[10:13], v96 offset:704
	;; [unrolled: 1-line block ×4, first 2 shown]
	buffer_load_dword v76, off, s[0:3], 0 offset:256
	buffer_load_dword v77, off, s[0:3], 0 offset:260
	;; [unrolled: 1-line block ×20, first 2 shown]
	v_cmp_lt_u32_e32 vcc, 15, v178
	s_waitcnt vmcnt(12) lgkmcnt(3)
	v_mul_f64 v[18:19], v[14:15], v[88:89]
	v_fmac_f64_e32 v[18:19], v[16:17], v[78:79]
	v_add_f64 v[18:19], v[18:19], 0
	v_mul_f64 v[16:17], v[16:17], v[88:89]
	s_waitcnt vmcnt(8) lgkmcnt(2)
	v_mul_f64 v[20:21], v[10:11], v[90:91]
	v_fmac_f64_e32 v[20:21], v[12:13], v[84:85]
	v_add_f64 v[18:19], v[18:19], v[20:21]
	v_fma_f64 v[14:15], v[14:15], v[78:79], -v[16:17]
	s_waitcnt vmcnt(4) lgkmcnt(1)
	v_mul_f64 v[20:21], v[6:7], v[92:93]
	v_fmac_f64_e32 v[20:21], v[8:9], v[86:87]
	v_add_f64 v[18:19], v[18:19], v[20:21]
	s_waitcnt vmcnt(0) lgkmcnt(0)
	v_mul_f64 v[20:21], v[2:3], v[94:95]
	v_fmac_f64_e32 v[20:21], v[4:5], v[82:83]
	v_add_f64 v[98:99], v[18:19], v[20:21]
	ds_read_b128 v[18:21], v96 offset:752
	buffer_load_dword v81, off, s[0:3], 0 offset:340
	buffer_load_dword v80, off, s[0:3], 0 offset:336
	;; [unrolled: 1-line block ×4, first 2 shown]
	v_mul_f64 v[12:13], v[12:13], v[90:91]
	v_add_f64 v[14:15], v[14:15], 0
	v_fma_f64 v[10:11], v[10:11], v[84:85], -v[12:13]
	v_mul_f64 v[8:9], v[8:9], v[92:93]
	v_add_f64 v[10:11], v[14:15], v[10:11]
	v_fma_f64 v[6:7], v[6:7], v[86:87], -v[8:9]
	;; [unrolled: 3-line block ×3, first 2 shown]
	v_add_f64 v[2:3], v[6:7], v[2:3]
	s_waitcnt vmcnt(0) lgkmcnt(0)
	v_mul_f64 v[100:101], v[18:19], v[114:115]
	v_fmac_f64_e32 v[100:101], v[20:21], v[80:81]
	v_add_f64 v[102:103], v[98:99], v[100:101]
	ds_read_b128 v[98:101], v96 offset:768
	buffer_load_dword v117, off, s[0:3], 0 offset:356
	buffer_load_dword v116, off, s[0:3], 0 offset:352
	buffer_load_dword v119, off, s[0:3], 0 offset:364
	buffer_load_dword v118, off, s[0:3], 0 offset:360
	v_mul_f64 v[4:5], v[20:21], v[114:115]
	v_fma_f64 v[4:5], v[18:19], v[80:81], -v[4:5]
	v_add_f64 v[2:3], v[2:3], v[4:5]
	s_waitcnt vmcnt(0) lgkmcnt(0)
	v_mul_f64 v[104:105], v[98:99], v[118:119]
	v_fmac_f64_e32 v[104:105], v[100:101], v[116:117]
	v_add_f64 v[106:107], v[102:103], v[104:105]
	ds_read_b128 v[102:105], v96 offset:784
	buffer_load_dword v121, off, s[0:3], 0 offset:372
	buffer_load_dword v120, off, s[0:3], 0 offset:368
	buffer_load_dword v123, off, s[0:3], 0 offset:380
	buffer_load_dword v122, off, s[0:3], 0 offset:376
	v_mul_f64 v[4:5], v[100:101], v[118:119]
	v_fma_f64 v[4:5], v[98:99], v[116:117], -v[4:5]
	;; [unrolled: 12-line block ×4, first 2 shown]
	v_add_f64 v[2:3], v[2:3], v[4:5]
	s_waitcnt vmcnt(0) lgkmcnt(0)
	v_mul_f64 v[4:5], v[112:113], v[132:133]
	v_mul_f64 v[134:135], v[110:111], v[132:133]
	v_fma_f64 v[4:5], v[110:111], v[130:131], -v[4:5]
	v_fmac_f64_e32 v[134:135], v[112:113], v[130:131]
	v_add_f64 v[2:3], v[2:3], v[4:5]
	v_add_f64 v[128:129], v[128:129], v[134:135]
	v_add_f64 v[2:3], v[76:77], -v[2:3]
	v_add_f64 v[4:5], v[74:75], -v[128:129]
	buffer_store_dword v3, off, s[0:3], 0 offset:260
	buffer_store_dword v2, off, s[0:3], 0 offset:256
	;; [unrolled: 1-line block ×4, first 2 shown]
	s_and_saveexec_b64 s[6:7], vcc
	s_cbranch_execz .LBB25_139
; %bb.138:
	v_accvgpr_read_b32 v5, a18
	buffer_load_dword v2, v5, s[0:3], 0 offen
	buffer_load_dword v3, v5, s[0:3], 0 offen offset:4
	buffer_load_dword v4, v5, s[0:3], 0 offen offset:8
	s_nop 0
	buffer_load_dword v5, v5, s[0:3], 0 offen offset:12
	s_nop 0
	buffer_store_dword v96, off, s[0:3], 0 offset:240
	buffer_store_dword v96, off, s[0:3], 0 offset:244
	;; [unrolled: 1-line block ×4, first 2 shown]
	s_waitcnt vmcnt(4)
	ds_write_b128 v150, v[2:5]
.LBB25_139:
	s_or_b64 exec, exec, s[6:7]
	s_waitcnt lgkmcnt(0)
	; wave barrier
	s_waitcnt lgkmcnt(0)
	buffer_load_dword v4, off, s[0:3], 0 offset:256
	buffer_load_dword v5, off, s[0:3], 0 offset:260
	;; [unrolled: 1-line block ×44, first 2 shown]
	ds_read_b128 v[6:9], v96 offset:672
	ds_read_b128 v[10:13], v96 offset:688
	;; [unrolled: 1-line block ×10, first 2 shown]
	v_cmp_lt_u32_e32 vcc, 14, v178
	s_waitcnt vmcnt(40) lgkmcnt(9)
	v_mul_f64 v[138:139], v[6:7], v[98:99]
	v_mul_f64 v[98:99], v[8:9], v[98:99]
	s_waitcnt vmcnt(38) lgkmcnt(8)
	v_mul_f64 v[140:141], v[10:11], v[100:101]
	v_mul_f64 v[100:101], v[12:13], v[100:101]
	v_fmac_f64_e32 v[138:139], v[8:9], v[4:5]
	v_fma_f64 v[4:5], v[6:7], v[4:5], -v[98:99]
	s_waitcnt vmcnt(36) lgkmcnt(7)
	v_mul_f64 v[142:143], v[14:15], v[2:3]
	v_add_f64 v[4:5], v[4:5], 0
	v_mul_f64 v[2:3], v[16:17], v[2:3]
	v_add_f64 v[8:9], v[138:139], 0
	s_waitcnt vmcnt(30) lgkmcnt(6)
	v_mul_f64 v[144:145], v[18:19], v[106:107]
	s_waitcnt lgkmcnt(5)
	v_mul_f64 v[146:147], v[74:75], v[102:103]
	v_fmac_f64_e32 v[146:147], v[76:77], v[104:105]
	s_waitcnt vmcnt(28) lgkmcnt(3)
	v_mul_f64 v[152:153], v[82:83], v[108:109]
	s_waitcnt vmcnt(26)
	v_fmac_f64_e32 v[152:153], v[84:85], v[110:111]
	s_waitcnt vmcnt(24)
	v_mul_f64 v[148:149], v[78:79], v[112:113]
	s_waitcnt vmcnt(22) lgkmcnt(1)
	v_mul_f64 v[156:157], v[90:91], v[114:115]
	s_waitcnt vmcnt(20)
	v_fmac_f64_e32 v[156:157], v[92:93], v[116:117]
	s_waitcnt vmcnt(18)
	v_mul_f64 v[154:155], v[86:87], v[118:119]
	s_waitcnt vmcnt(16) lgkmcnt(0)
	v_mul_f64 v[180:181], v[94:95], v[120:121]
	s_waitcnt vmcnt(14)
	v_fma_f64 v[6:7], v[10:11], v[122:123], -v[100:101]
	v_add_f64 v[4:5], v[4:5], v[6:7]
	s_waitcnt vmcnt(12)
	v_fma_f64 v[2:3], v[14:15], v[124:125], -v[2:3]
	v_add_f64 v[2:3], v[4:5], v[2:3]
	v_mul_f64 v[4:5], v[20:21], v[106:107]
	s_waitcnt vmcnt(10)
	v_fma_f64 v[4:5], v[18:19], v[126:127], -v[4:5]
	v_add_f64 v[2:3], v[2:3], v[4:5]
	v_mul_f64 v[4:5], v[76:77], v[102:103]
	v_fma_f64 v[4:5], v[74:75], v[104:105], -v[4:5]
	v_add_f64 v[2:3], v[2:3], v[4:5]
	v_mul_f64 v[4:5], v[80:81], v[112:113]
	s_waitcnt vmcnt(8)
	v_fma_f64 v[4:5], v[78:79], v[128:129], -v[4:5]
	v_fmac_f64_e32 v[140:141], v[12:13], v[122:123]
	v_add_f64 v[2:3], v[2:3], v[4:5]
	v_mul_f64 v[4:5], v[84:85], v[108:109]
	v_fmac_f64_e32 v[142:143], v[16:17], v[124:125]
	v_add_f64 v[8:9], v[8:9], v[140:141]
	v_fma_f64 v[4:5], v[82:83], v[110:111], -v[4:5]
	v_fmac_f64_e32 v[144:145], v[20:21], v[126:127]
	v_add_f64 v[6:7], v[8:9], v[142:143]
	v_add_f64 v[2:3], v[2:3], v[4:5]
	v_mul_f64 v[4:5], v[88:89], v[118:119]
	v_add_f64 v[6:7], v[6:7], v[144:145]
	s_waitcnt vmcnt(6)
	v_fma_f64 v[4:5], v[86:87], v[130:131], -v[4:5]
	v_fmac_f64_e32 v[148:149], v[80:81], v[128:129]
	v_add_f64 v[6:7], v[6:7], v[146:147]
	v_add_f64 v[2:3], v[2:3], v[4:5]
	v_mul_f64 v[4:5], v[92:93], v[114:115]
	v_add_f64 v[6:7], v[6:7], v[148:149]
	v_fma_f64 v[4:5], v[90:91], v[116:117], -v[4:5]
	v_fmac_f64_e32 v[154:155], v[88:89], v[130:131]
	v_add_f64 v[6:7], v[6:7], v[152:153]
	v_add_f64 v[2:3], v[2:3], v[4:5]
	v_mul_f64 v[4:5], v[96:97], v[120:121]
	v_add_f64 v[6:7], v[6:7], v[154:155]
	s_waitcnt vmcnt(4)
	v_fma_f64 v[4:5], v[94:95], v[132:133], -v[4:5]
	v_fmac_f64_e32 v[180:181], v[96:97], v[132:133]
	v_add_f64 v[6:7], v[6:7], v[156:157]
	v_add_f64 v[2:3], v[2:3], v[4:5]
	;; [unrolled: 1-line block ×3, first 2 shown]
	s_waitcnt vmcnt(2)
	v_add_f64 v[2:3], v[134:135], -v[2:3]
	s_waitcnt vmcnt(0)
	v_add_f64 v[4:5], v[136:137], -v[6:7]
	buffer_store_dword v3, off, s[0:3], 0 offset:244
	buffer_store_dword v2, off, s[0:3], 0 offset:240
	;; [unrolled: 1-line block ×4, first 2 shown]
	s_and_saveexec_b64 s[6:7], vcc
	s_cbranch_execz .LBB25_141
; %bb.140:
	v_accvgpr_read_b32 v5, a22
	buffer_load_dword v2, v5, s[0:3], 0 offen
	buffer_load_dword v3, v5, s[0:3], 0 offen offset:4
	buffer_load_dword v4, v5, s[0:3], 0 offen offset:8
	s_nop 0
	buffer_load_dword v5, v5, s[0:3], 0 offen offset:12
	v_mov_b32_e32 v6, 0
	buffer_store_dword v6, off, s[0:3], 0 offset:224
	buffer_store_dword v6, off, s[0:3], 0 offset:228
	;; [unrolled: 1-line block ×4, first 2 shown]
	s_waitcnt vmcnt(4)
	ds_write_b128 v150, v[2:5]
.LBB25_141:
	s_or_b64 exec, exec, s[6:7]
	s_waitcnt lgkmcnt(0)
	; wave barrier
	s_waitcnt lgkmcnt(0)
	buffer_load_dword v2, off, s[0:3], 0 offset:240
	buffer_load_dword v3, off, s[0:3], 0 offset:244
	;; [unrolled: 1-line block ×48, first 2 shown]
	v_mov_b32_e32 v12, 0
	ds_read_b128 v[14:17], v12 offset:656
	ds_read_b128 v[18:21], v12 offset:672
	;; [unrolled: 1-line block ×11, first 2 shown]
	v_cmp_lt_u32_e32 vcc, 13, v178
	s_waitcnt vmcnt(44) lgkmcnt(10)
	v_mul_f64 v[148:149], v[14:15], v[6:7]
	v_mul_f64 v[6:7], v[16:17], v[6:7]
	v_fmac_f64_e32 v[148:149], v[16:17], v[2:3]
	v_fma_f64 v[2:3], v[14:15], v[2:3], -v[6:7]
	s_waitcnt vmcnt(40) lgkmcnt(9)
	v_mul_f64 v[152:153], v[18:19], v[8:9]
	v_mul_f64 v[6:7], v[20:21], v[8:9]
	v_fmac_f64_e32 v[152:153], v[20:21], v[4:5]
	v_add_f64 v[2:3], v[2:3], 0
	v_fma_f64 v[4:5], v[18:19], v[4:5], -v[6:7]
	v_add_f64 v[2:3], v[2:3], v[4:5]
	s_waitcnt vmcnt(38) lgkmcnt(8)
	v_mul_f64 v[4:5], v[76:77], v[10:11]
	v_mul_f64 v[154:155], v[74:75], v[10:11]
	v_add_f64 v[148:149], v[148:149], 0
	s_waitcnt vmcnt(32) lgkmcnt(7)
	v_mul_f64 v[156:157], v[78:79], v[114:115]
	v_add_f64 v[148:149], v[148:149], v[152:153]
	s_waitcnt lgkmcnt(6)
	v_mul_f64 v[180:181], v[82:83], v[110:111]
	v_fmac_f64_e32 v[180:181], v[84:85], v[112:113]
	s_waitcnt vmcnt(30) lgkmcnt(4)
	v_mul_f64 v[184:185], v[90:91], v[116:117]
	s_waitcnt vmcnt(26)
	v_mul_f64 v[182:183], v[86:87], v[120:121]
	v_fmac_f64_e32 v[184:185], v[92:93], v[118:119]
	s_waitcnt vmcnt(24) lgkmcnt(2)
	v_mul_f64 v[188:189], v[98:99], v[122:123]
	s_waitcnt vmcnt(22)
	v_fmac_f64_e32 v[188:189], v[100:101], v[124:125]
	s_waitcnt vmcnt(20)
	v_mul_f64 v[186:187], v[94:95], v[126:127]
	s_waitcnt vmcnt(16) lgkmcnt(1)
	v_mul_f64 v[190:191], v[102:103], v[132:133]
	s_waitcnt vmcnt(14)
	v_fma_f64 v[4:5], v[74:75], v[134:135], -v[4:5]
	v_add_f64 v[2:3], v[2:3], v[4:5]
	v_mul_f64 v[4:5], v[80:81], v[114:115]
	s_waitcnt vmcnt(12)
	v_fma_f64 v[4:5], v[78:79], v[136:137], -v[4:5]
	v_add_f64 v[2:3], v[2:3], v[4:5]
	v_mul_f64 v[4:5], v[84:85], v[110:111]
	v_fma_f64 v[4:5], v[82:83], v[112:113], -v[4:5]
	v_add_f64 v[2:3], v[2:3], v[4:5]
	v_mul_f64 v[4:5], v[88:89], v[120:121]
	s_waitcnt vmcnt(10)
	v_fma_f64 v[4:5], v[86:87], v[138:139], -v[4:5]
	v_add_f64 v[2:3], v[2:3], v[4:5]
	v_mul_f64 v[4:5], v[92:93], v[116:117]
	v_fma_f64 v[4:5], v[90:91], v[118:119], -v[4:5]
	v_fmac_f64_e32 v[154:155], v[76:77], v[134:135]
	v_add_f64 v[2:3], v[2:3], v[4:5]
	v_mul_f64 v[4:5], v[96:97], v[126:127]
	v_fmac_f64_e32 v[156:157], v[80:81], v[136:137]
	v_add_f64 v[148:149], v[148:149], v[154:155]
	s_waitcnt vmcnt(8)
	v_fma_f64 v[4:5], v[94:95], v[140:141], -v[4:5]
	v_add_f64 v[148:149], v[148:149], v[156:157]
	v_add_f64 v[2:3], v[2:3], v[4:5]
	v_mul_f64 v[4:5], v[100:101], v[122:123]
	v_fmac_f64_e32 v[182:183], v[88:89], v[138:139]
	v_add_f64 v[148:149], v[148:149], v[180:181]
	v_fma_f64 v[4:5], v[98:99], v[124:125], -v[4:5]
	v_add_f64 v[148:149], v[148:149], v[182:183]
	v_add_f64 v[2:3], v[2:3], v[4:5]
	v_mul_f64 v[4:5], v[104:105], v[132:133]
	v_fmac_f64_e32 v[186:187], v[96:97], v[140:141]
	v_add_f64 v[148:149], v[148:149], v[184:185]
	s_waitcnt vmcnt(6)
	v_fma_f64 v[4:5], v[102:103], v[142:143], -v[4:5]
	v_add_f64 v[148:149], v[148:149], v[186:187]
	v_add_f64 v[2:3], v[2:3], v[4:5]
	s_waitcnt vmcnt(5) lgkmcnt(0)
	v_mul_f64 v[4:5], v[108:109], v[128:129]
	v_fmac_f64_e32 v[190:191], v[104:105], v[142:143]
	v_add_f64 v[148:149], v[148:149], v[188:189]
	v_mul_f64 v[152:153], v[106:107], v[128:129]
	s_waitcnt vmcnt(4)
	v_fma_f64 v[4:5], v[106:107], v[130:131], -v[4:5]
	v_add_f64 v[148:149], v[148:149], v[190:191]
	v_fmac_f64_e32 v[152:153], v[108:109], v[130:131]
	v_add_f64 v[2:3], v[2:3], v[4:5]
	v_add_f64 v[148:149], v[148:149], v[152:153]
	s_waitcnt vmcnt(2)
	v_add_f64 v[2:3], v[144:145], -v[2:3]
	s_waitcnt vmcnt(0)
	v_add_f64 v[4:5], v[146:147], -v[148:149]
	buffer_store_dword v3, off, s[0:3], 0 offset:228
	buffer_store_dword v2, off, s[0:3], 0 offset:224
	;; [unrolled: 1-line block ×4, first 2 shown]
	s_and_saveexec_b64 s[6:7], vcc
	s_cbranch_execz .LBB25_143
; %bb.142:
	v_accvgpr_read_b32 v5, a20
	buffer_load_dword v2, v5, s[0:3], 0 offen
	buffer_load_dword v3, v5, s[0:3], 0 offen offset:4
	buffer_load_dword v4, v5, s[0:3], 0 offen offset:8
	s_nop 0
	buffer_load_dword v5, v5, s[0:3], 0 offen offset:12
	s_nop 0
	buffer_store_dword v12, off, s[0:3], 0 offset:208
	buffer_store_dword v12, off, s[0:3], 0 offset:212
	;; [unrolled: 1-line block ×4, first 2 shown]
	s_waitcnt vmcnt(4)
	ds_write_b128 v150, v[2:5]
.LBB25_143:
	s_or_b64 exec, exec, s[6:7]
	s_waitcnt lgkmcnt(0)
	; wave barrier
	s_waitcnt lgkmcnt(0)
	buffer_load_dword v2, off, s[0:3], 0 offset:224
	buffer_load_dword v3, off, s[0:3], 0 offset:228
	;; [unrolled: 1-line block ×52, first 2 shown]
	ds_read_b128 v[14:17], v12 offset:640
	ds_read_b128 v[18:21], v12 offset:656
	;; [unrolled: 1-line block ×10, first 2 shown]
	v_cmp_lt_u32_e32 vcc, 12, v178
	s_waitcnt vmcnt(48) lgkmcnt(9)
	v_mul_f64 v[106:107], v[14:15], v[6:7]
	v_mul_f64 v[6:7], v[16:17], v[6:7]
	v_fmac_f64_e32 v[106:107], v[16:17], v[2:3]
	v_fma_f64 v[2:3], v[14:15], v[2:3], -v[6:7]
	s_waitcnt vmcnt(44) lgkmcnt(8)
	v_mul_f64 v[108:109], v[18:19], v[8:9]
	v_mul_f64 v[6:7], v[20:21], v[8:9]
	v_fmac_f64_e32 v[108:109], v[20:21], v[4:5]
	v_add_f64 v[2:3], v[2:3], 0
	v_fma_f64 v[4:5], v[18:19], v[4:5], -v[6:7]
	v_add_f64 v[2:3], v[2:3], v[4:5]
	s_waitcnt vmcnt(42) lgkmcnt(7)
	v_mul_f64 v[4:5], v[76:77], v[10:11]
	v_mul_f64 v[110:111], v[74:75], v[10:11]
	v_add_f64 v[106:107], v[106:107], 0
	s_waitcnt vmcnt(36) lgkmcnt(6)
	v_mul_f64 v[112:113], v[78:79], v[118:119]
	v_add_f64 v[106:107], v[106:107], v[108:109]
	s_waitcnt lgkmcnt(5)
	v_mul_f64 v[180:181], v[82:83], v[114:115]
	v_fmac_f64_e32 v[180:181], v[84:85], v[116:117]
	s_waitcnt vmcnt(34) lgkmcnt(3)
	v_mul_f64 v[184:185], v[90:91], v[120:121]
	s_waitcnt vmcnt(30)
	v_mul_f64 v[182:183], v[86:87], v[124:125]
	v_fmac_f64_e32 v[184:185], v[92:93], v[122:123]
	s_waitcnt vmcnt(26) lgkmcnt(2)
	v_mul_f64 v[186:187], v[94:95], v[130:131]
	s_waitcnt vmcnt(25) lgkmcnt(1)
	v_mul_f64 v[188:189], v[98:99], v[126:127]
	s_waitcnt vmcnt(23)
	v_fma_f64 v[4:5], v[74:75], v[132:133], -v[4:5]
	v_add_f64 v[2:3], v[2:3], v[4:5]
	v_mul_f64 v[4:5], v[80:81], v[118:119]
	s_waitcnt vmcnt(21)
	v_fma_f64 v[4:5], v[78:79], v[134:135], -v[4:5]
	v_fmac_f64_e32 v[110:111], v[76:77], v[132:133]
	v_add_f64 v[2:3], v[2:3], v[4:5]
	v_mul_f64 v[4:5], v[84:85], v[114:115]
	v_fmac_f64_e32 v[112:113], v[80:81], v[134:135]
	v_add_f64 v[106:107], v[106:107], v[110:111]
	v_fma_f64 v[4:5], v[82:83], v[116:117], -v[4:5]
	v_add_f64 v[106:107], v[106:107], v[112:113]
	v_add_f64 v[2:3], v[2:3], v[4:5]
	v_mul_f64 v[4:5], v[88:89], v[124:125]
	s_waitcnt vmcnt(19)
	v_fmac_f64_e32 v[182:183], v[88:89], v[136:137]
	v_add_f64 v[106:107], v[106:107], v[180:181]
	v_fma_f64 v[4:5], v[86:87], v[136:137], -v[4:5]
	v_add_f64 v[106:107], v[106:107], v[182:183]
	v_add_f64 v[2:3], v[2:3], v[4:5]
	v_mul_f64 v[4:5], v[92:93], v[120:121]
	s_waitcnt vmcnt(17)
	v_fmac_f64_e32 v[186:187], v[96:97], v[138:139]
	v_add_f64 v[106:107], v[106:107], v[184:185]
	v_fma_f64 v[4:5], v[90:91], v[122:123], -v[4:5]
	s_waitcnt vmcnt(16)
	v_fmac_f64_e32 v[188:189], v[100:101], v[128:129]
	v_add_f64 v[106:107], v[106:107], v[186:187]
	v_add_f64 v[2:3], v[2:3], v[4:5]
	v_mul_f64 v[4:5], v[96:97], v[130:131]
	v_add_f64 v[180:181], v[106:107], v[188:189]
	ds_read_b128 v[106:109], v12 offset:800
	ds_read_b128 v[110:113], v12 offset:816
	v_fma_f64 v[4:5], v[94:95], v[138:139], -v[4:5]
	v_add_f64 v[2:3], v[2:3], v[4:5]
	v_mul_f64 v[4:5], v[100:101], v[126:127]
	v_fma_f64 v[4:5], v[98:99], v[128:129], -v[4:5]
	v_add_f64 v[2:3], v[2:3], v[4:5]
	s_waitcnt vmcnt(12) lgkmcnt(2)
	v_mul_f64 v[4:5], v[104:105], v[144:145]
	v_mul_f64 v[182:183], v[102:103], v[144:145]
	s_waitcnt vmcnt(10)
	v_fma_f64 v[4:5], v[102:103], v[146:147], -v[4:5]
	v_fmac_f64_e32 v[182:183], v[104:105], v[146:147]
	v_add_f64 v[2:3], v[2:3], v[4:5]
	s_waitcnt vmcnt(8) lgkmcnt(1)
	v_mul_f64 v[4:5], v[108:109], v[140:141]
	v_add_f64 v[12:13], v[180:181], v[182:183]
	v_mul_f64 v[180:181], v[106:107], v[140:141]
	v_fma_f64 v[4:5], v[106:107], v[142:143], -v[4:5]
	v_fmac_f64_e32 v[180:181], v[108:109], v[142:143]
	v_add_f64 v[2:3], v[2:3], v[4:5]
	s_waitcnt vmcnt(6) lgkmcnt(0)
	v_mul_f64 v[4:5], v[112:113], v[148:149]
	v_add_f64 v[12:13], v[12:13], v[180:181]
	v_mul_f64 v[180:181], v[110:111], v[148:149]
	s_waitcnt vmcnt(4)
	v_fma_f64 v[4:5], v[110:111], v[152:153], -v[4:5]
	v_fmac_f64_e32 v[180:181], v[112:113], v[152:153]
	v_add_f64 v[2:3], v[2:3], v[4:5]
	v_add_f64 v[12:13], v[12:13], v[180:181]
	s_waitcnt vmcnt(2)
	v_add_f64 v[2:3], v[154:155], -v[2:3]
	s_waitcnt vmcnt(0)
	v_add_f64 v[4:5], v[156:157], -v[12:13]
	buffer_store_dword v3, off, s[0:3], 0 offset:212
	buffer_store_dword v2, off, s[0:3], 0 offset:208
	;; [unrolled: 1-line block ×4, first 2 shown]
	s_and_saveexec_b64 s[6:7], vcc
	s_cbranch_execz .LBB25_145
; %bb.144:
	v_accvgpr_read_b32 v5, a21
	buffer_load_dword v2, v5, s[0:3], 0 offen
	buffer_load_dword v3, v5, s[0:3], 0 offen offset:4
	buffer_load_dword v4, v5, s[0:3], 0 offen offset:8
	s_nop 0
	buffer_load_dword v5, v5, s[0:3], 0 offen offset:12
	v_mov_b32_e32 v6, 0
	buffer_store_dword v6, off, s[0:3], 0 offset:192
	buffer_store_dword v6, off, s[0:3], 0 offset:196
	;; [unrolled: 1-line block ×4, first 2 shown]
	s_waitcnt vmcnt(4)
	ds_write_b128 v150, v[2:5]
.LBB25_145:
	s_or_b64 exec, exec, s[6:7]
	s_waitcnt lgkmcnt(0)
	; wave barrier
	s_waitcnt lgkmcnt(0)
	buffer_load_dword v2, off, s[0:3], 0 offset:208
	buffer_load_dword v3, off, s[0:3], 0 offset:212
	;; [unrolled: 1-line block ×56, first 2 shown]
	v_mov_b32_e32 v76, 0
	ds_read_b128 v[18:21], v76 offset:624
	ds_read_b128 v[78:81], v76 offset:640
	;; [unrolled: 1-line block ×9, first 2 shown]
	v_cmp_lt_u32_e32 vcc, 11, v178
	s_waitcnt vmcnt(52) lgkmcnt(8)
	v_mul_f64 v[106:107], v[18:19], v[6:7]
	v_fmac_f64_e32 v[106:107], v[20:21], v[2:3]
	v_mul_f64 v[6:7], v[20:21], v[6:7]
	v_add_f64 v[106:107], v[106:107], 0
	s_waitcnt vmcnt(48) lgkmcnt(7)
	v_mul_f64 v[108:109], v[78:79], v[8:9]
	v_fmac_f64_e32 v[108:109], v[80:81], v[4:5]
	s_waitcnt vmcnt(46) lgkmcnt(6)
	v_mul_f64 v[110:111], v[82:83], v[10:11]
	v_fma_f64 v[2:3], v[18:19], v[2:3], -v[6:7]
	v_mul_f64 v[6:7], v[80:81], v[8:9]
	v_add_f64 v[106:107], v[106:107], v[108:109]
	v_add_f64 v[2:3], v[2:3], 0
	v_fma_f64 v[4:5], v[78:79], v[4:5], -v[6:7]
	s_waitcnt vmcnt(40) lgkmcnt(5)
	v_mul_f64 v[112:113], v[86:87], v[16:17]
	s_waitcnt lgkmcnt(4)
	v_mul_f64 v[114:115], v[90:91], v[12:13]
	v_add_f64 v[2:3], v[2:3], v[4:5]
	v_mul_f64 v[4:5], v[84:85], v[10:11]
	s_waitcnt vmcnt(36) lgkmcnt(3)
	v_mul_f64 v[116:117], v[94:95], v[128:129]
	v_fmac_f64_e32 v[114:115], v[92:93], v[14:15]
	s_waitcnt vmcnt(35) lgkmcnt(2)
	v_mul_f64 v[118:119], v[98:99], v[74:75]
	s_waitcnt vmcnt(33)
	v_fmac_f64_e32 v[110:111], v[84:85], v[130:131]
	v_add_f64 v[106:107], v[106:107], v[110:111]
	s_waitcnt vmcnt(31)
	v_fmac_f64_e32 v[112:113], v[88:89], v[132:133]
	v_add_f64 v[106:107], v[106:107], v[112:113]
	v_fma_f64 v[4:5], v[82:83], v[130:131], -v[4:5]
	s_waitcnt vmcnt(29)
	v_fmac_f64_e32 v[116:117], v[96:97], v[134:135]
	v_add_f64 v[106:107], v[106:107], v[114:115]
	v_add_f64 v[2:3], v[2:3], v[4:5]
	v_mul_f64 v[4:5], v[88:89], v[16:17]
	s_waitcnt vmcnt(28)
	v_fmac_f64_e32 v[118:119], v[100:101], v[126:127]
	v_add_f64 v[106:107], v[106:107], v[116:117]
	v_fma_f64 v[4:5], v[86:87], v[132:133], -v[4:5]
	v_add_f64 v[110:111], v[106:107], v[118:119]
	ds_read_b128 v[106:109], v76 offset:752
	s_waitcnt vmcnt(24) lgkmcnt(2)
	v_mul_f64 v[112:113], v[102:103], v[140:141]
	v_add_f64 v[2:3], v[2:3], v[4:5]
	v_mul_f64 v[4:5], v[92:93], v[12:13]
	s_waitcnt vmcnt(22)
	v_fmac_f64_e32 v[112:113], v[104:105], v[142:143]
	v_fma_f64 v[4:5], v[90:91], v[14:15], -v[4:5]
	v_add_f64 v[114:115], v[110:111], v[112:113]
	ds_read_b128 v[110:113], v76 offset:768
	v_add_f64 v[2:3], v[2:3], v[4:5]
	v_mul_f64 v[4:5], v[96:97], v[128:129]
	v_fma_f64 v[4:5], v[94:95], v[134:135], -v[4:5]
	v_add_f64 v[2:3], v[2:3], v[4:5]
	v_mul_f64 v[4:5], v[100:101], v[74:75]
	s_waitcnt vmcnt(20) lgkmcnt(1)
	v_mul_f64 v[116:117], v[106:107], v[136:137]
	v_fma_f64 v[4:5], v[98:99], v[126:127], -v[4:5]
	v_fmac_f64_e32 v[116:117], v[108:109], v[138:139]
	v_add_f64 v[2:3], v[2:3], v[4:5]
	v_mul_f64 v[4:5], v[104:105], v[140:141]
	v_add_f64 v[118:119], v[114:115], v[116:117]
	ds_read_b128 v[114:117], v76 offset:784
	s_waitcnt vmcnt(16) lgkmcnt(1)
	v_mul_f64 v[120:121], v[110:111], v[148:149]
	v_fma_f64 v[4:5], v[102:103], v[142:143], -v[4:5]
	s_waitcnt vmcnt(14)
	v_fmac_f64_e32 v[120:121], v[112:113], v[152:153]
	v_add_f64 v[2:3], v[2:3], v[4:5]
	v_mul_f64 v[4:5], v[108:109], v[136:137]
	v_add_f64 v[188:189], v[118:119], v[120:121]
	ds_read_b128 v[118:121], v76 offset:800
	v_fma_f64 v[4:5], v[106:107], v[138:139], -v[4:5]
	v_add_f64 v[2:3], v[2:3], v[4:5]
	v_mul_f64 v[4:5], v[112:113], v[148:149]
	v_fma_f64 v[4:5], v[110:111], v[152:153], -v[4:5]
	v_add_f64 v[2:3], v[2:3], v[4:5]
	s_waitcnt vmcnt(12) lgkmcnt(1)
	v_mul_f64 v[4:5], v[116:117], v[144:145]
	v_mul_f64 v[190:191], v[114:115], v[144:145]
	v_fma_f64 v[4:5], v[114:115], v[146:147], -v[4:5]
	v_fmac_f64_e32 v[190:191], v[116:117], v[146:147]
	v_add_f64 v[2:3], v[2:3], v[4:5]
	s_waitcnt vmcnt(8) lgkmcnt(0)
	v_mul_f64 v[4:5], v[120:121], v[180:181]
	v_add_f64 v[188:189], v[188:189], v[190:191]
	v_mul_f64 v[190:191], v[118:119], v[180:181]
	s_waitcnt vmcnt(6)
	v_fma_f64 v[4:5], v[118:119], v[182:183], -v[4:5]
	v_fmac_f64_e32 v[190:191], v[120:121], v[182:183]
	v_add_f64 v[2:3], v[2:3], v[4:5]
	s_waitcnt vmcnt(5)
	v_mul_f64 v[4:5], v[124:125], v[154:155]
	v_add_f64 v[188:189], v[188:189], v[190:191]
	v_mul_f64 v[190:191], v[122:123], v[154:155]
	s_waitcnt vmcnt(4)
	v_fma_f64 v[4:5], v[122:123], v[156:157], -v[4:5]
	v_fmac_f64_e32 v[190:191], v[124:125], v[156:157]
	v_add_f64 v[2:3], v[2:3], v[4:5]
	v_add_f64 v[188:189], v[188:189], v[190:191]
	s_waitcnt vmcnt(2)
	v_add_f64 v[2:3], v[184:185], -v[2:3]
	s_waitcnt vmcnt(0)
	v_add_f64 v[4:5], v[186:187], -v[188:189]
	buffer_store_dword v3, off, s[0:3], 0 offset:196
	buffer_store_dword v2, off, s[0:3], 0 offset:192
	;; [unrolled: 1-line block ×4, first 2 shown]
	s_and_saveexec_b64 s[6:7], vcc
	s_cbranch_execz .LBB25_147
; %bb.146:
	v_accvgpr_read_b32 v5, a19
	buffer_load_dword v2, v5, s[0:3], 0 offen
	buffer_load_dword v3, v5, s[0:3], 0 offen offset:4
	buffer_load_dword v4, v5, s[0:3], 0 offen offset:8
	s_nop 0
	buffer_load_dword v5, v5, s[0:3], 0 offen offset:12
	s_nop 0
	buffer_store_dword v76, off, s[0:3], 0 offset:176
	buffer_store_dword v76, off, s[0:3], 0 offset:180
	;; [unrolled: 1-line block ×4, first 2 shown]
	s_waitcnt vmcnt(4)
	ds_write_b128 v150, v[2:5]
.LBB25_147:
	s_or_b64 exec, exec, s[6:7]
	s_waitcnt lgkmcnt(0)
	; wave barrier
	s_waitcnt lgkmcnt(0)
	buffer_load_dword v2, off, s[0:3], 0 offset:192
	buffer_load_dword v3, off, s[0:3], 0 offset:196
	;; [unrolled: 1-line block ×60, first 2 shown]
	ds_read_b128 v[78:81], v76 offset:608
	ds_read_b128 v[82:85], v76 offset:624
	;; [unrolled: 1-line block ×8, first 2 shown]
	v_cmp_lt_u32_e32 vcc, 10, v178
	ds_read_b128 v[130:133], v76 offset:816
	s_waitcnt vmcnt(56) lgkmcnt(8)
	v_mul_f64 v[110:111], v[78:79], v[6:7]
	v_fmac_f64_e32 v[110:111], v[80:81], v[2:3]
	v_add_f64 v[110:111], v[110:111], 0
	v_mul_f64 v[6:7], v[80:81], v[6:7]
	s_waitcnt vmcnt(52) lgkmcnt(7)
	v_mul_f64 v[112:113], v[82:83], v[8:9]
	v_fmac_f64_e32 v[112:113], v[84:85], v[4:5]
	s_waitcnt vmcnt(50) lgkmcnt(6)
	v_mul_f64 v[114:115], v[86:87], v[10:11]
	v_add_f64 v[110:111], v[110:111], v[112:113]
	s_waitcnt vmcnt(48) lgkmcnt(4)
	v_mul_f64 v[118:119], v[94:95], v[12:13]
	v_fma_f64 v[2:3], v[78:79], v[2:3], -v[6:7]
	s_waitcnt vmcnt(46)
	v_fmac_f64_e32 v[118:119], v[96:97], v[14:15]
	v_mul_f64 v[6:7], v[84:85], v[8:9]
	s_waitcnt vmcnt(44)
	v_mul_f64 v[116:117], v[90:91], v[16:17]
	v_add_f64 v[2:3], v[2:3], 0
	v_fma_f64 v[4:5], v[82:83], v[4:5], -v[6:7]
	v_add_f64 v[2:3], v[2:3], v[4:5]
	s_waitcnt vmcnt(40) lgkmcnt(3)
	v_mul_f64 v[120:121], v[98:99], v[74:75]
	v_mul_f64 v[4:5], v[88:89], v[10:11]
	s_waitcnt vmcnt(38)
	v_fmac_f64_e32 v[114:115], v[88:89], v[134:135]
	v_add_f64 v[110:111], v[110:111], v[114:115]
	s_waitcnt vmcnt(36)
	v_fmac_f64_e32 v[116:117], v[92:93], v[136:137]
	v_add_f64 v[110:111], v[110:111], v[116:117]
	;; [unrolled: 3-line block ×3, first 2 shown]
	s_waitcnt vmcnt(32) lgkmcnt(2)
	v_mul_f64 v[112:113], v[102:103], v[18:19]
	v_add_f64 v[110:111], v[110:111], v[120:121]
	v_fmac_f64_e32 v[112:113], v[104:105], v[20:21]
	v_add_f64 v[114:115], v[110:111], v[112:113]
	ds_read_b128 v[110:113], v76 offset:736
	v_fma_f64 v[4:5], v[86:87], v[134:135], -v[4:5]
	v_add_f64 v[2:3], v[2:3], v[4:5]
	v_mul_f64 v[4:5], v[92:93], v[16:17]
	v_fma_f64 v[4:5], v[90:91], v[136:137], -v[4:5]
	s_waitcnt vmcnt(28) lgkmcnt(2)
	v_mul_f64 v[116:117], v[106:107], v[144:145]
	v_add_f64 v[2:3], v[2:3], v[4:5]
	v_mul_f64 v[4:5], v[96:97], v[12:13]
	s_waitcnt vmcnt(26)
	v_fmac_f64_e32 v[116:117], v[108:109], v[146:147]
	v_fma_f64 v[4:5], v[94:95], v[14:15], -v[4:5]
	v_add_f64 v[118:119], v[114:115], v[116:117]
	ds_read_b128 v[114:117], v76 offset:752
	s_waitcnt vmcnt(24) lgkmcnt(1)
	v_mul_f64 v[120:121], v[110:111], v[140:141]
	v_add_f64 v[2:3], v[2:3], v[4:5]
	v_mul_f64 v[4:5], v[100:101], v[74:75]
	v_fmac_f64_e32 v[120:121], v[112:113], v[142:143]
	v_fma_f64 v[4:5], v[98:99], v[138:139], -v[4:5]
	v_add_f64 v[122:123], v[118:119], v[120:121]
	ds_read_b128 v[118:121], v76 offset:768
	v_add_f64 v[2:3], v[2:3], v[4:5]
	v_mul_f64 v[4:5], v[104:105], v[18:19]
	v_fma_f64 v[4:5], v[102:103], v[20:21], -v[4:5]
	v_add_f64 v[2:3], v[2:3], v[4:5]
	v_mul_f64 v[4:5], v[108:109], v[144:145]
	s_waitcnt vmcnt(20) lgkmcnt(1)
	v_mul_f64 v[124:125], v[114:115], v[154:155]
	v_fma_f64 v[4:5], v[106:107], v[146:147], -v[4:5]
	s_waitcnt vmcnt(18)
	v_fmac_f64_e32 v[124:125], v[116:117], v[156:157]
	v_add_f64 v[2:3], v[2:3], v[4:5]
	v_mul_f64 v[4:5], v[112:113], v[140:141]
	v_add_f64 v[126:127], v[122:123], v[124:125]
	ds_read_b128 v[122:125], v76 offset:784
	s_waitcnt vmcnt(16) lgkmcnt(1)
	v_mul_f64 v[128:129], v[118:119], v[148:149]
	v_fma_f64 v[4:5], v[110:111], v[142:143], -v[4:5]
	v_fmac_f64_e32 v[128:129], v[120:121], v[152:153]
	v_add_f64 v[2:3], v[2:3], v[4:5]
	v_mul_f64 v[4:5], v[116:117], v[154:155]
	v_add_f64 v[196:197], v[126:127], v[128:129]
	ds_read_b128 v[126:129], v76 offset:800
	v_fma_f64 v[4:5], v[114:115], v[156:157], -v[4:5]
	v_add_f64 v[2:3], v[2:3], v[4:5]
	v_mul_f64 v[4:5], v[120:121], v[148:149]
	v_fma_f64 v[4:5], v[118:119], v[152:153], -v[4:5]
	v_add_f64 v[2:3], v[2:3], v[4:5]
	s_waitcnt vmcnt(12) lgkmcnt(1)
	v_mul_f64 v[4:5], v[124:125], v[184:185]
	v_mul_f64 v[198:199], v[122:123], v[184:185]
	s_waitcnt vmcnt(10)
	v_fma_f64 v[4:5], v[122:123], v[186:187], -v[4:5]
	v_fmac_f64_e32 v[198:199], v[124:125], v[186:187]
	v_add_f64 v[2:3], v[2:3], v[4:5]
	s_waitcnt vmcnt(8) lgkmcnt(0)
	v_mul_f64 v[4:5], v[128:129], v[180:181]
	v_add_f64 v[76:77], v[196:197], v[198:199]
	v_mul_f64 v[196:197], v[126:127], v[180:181]
	v_fma_f64 v[4:5], v[126:127], v[182:183], -v[4:5]
	v_fmac_f64_e32 v[196:197], v[128:129], v[182:183]
	v_add_f64 v[2:3], v[2:3], v[4:5]
	s_waitcnt vmcnt(6)
	v_mul_f64 v[4:5], v[132:133], v[188:189]
	v_add_f64 v[76:77], v[76:77], v[196:197]
	v_mul_f64 v[196:197], v[130:131], v[188:189]
	s_waitcnt vmcnt(4)
	v_fma_f64 v[4:5], v[130:131], v[190:191], -v[4:5]
	v_fmac_f64_e32 v[196:197], v[132:133], v[190:191]
	v_add_f64 v[2:3], v[2:3], v[4:5]
	v_add_f64 v[76:77], v[76:77], v[196:197]
	s_waitcnt vmcnt(2)
	v_add_f64 v[2:3], v[192:193], -v[2:3]
	s_waitcnt vmcnt(0)
	v_add_f64 v[4:5], v[194:195], -v[76:77]
	buffer_store_dword v3, off, s[0:3], 0 offset:180
	buffer_store_dword v2, off, s[0:3], 0 offset:176
	;; [unrolled: 1-line block ×4, first 2 shown]
	s_and_saveexec_b64 s[6:7], vcc
	s_cbranch_execz .LBB25_149
; %bb.148:
	v_accvgpr_read_b32 v5, a24
	buffer_load_dword v2, v5, s[0:3], 0 offen
	buffer_load_dword v3, v5, s[0:3], 0 offen offset:4
	buffer_load_dword v4, v5, s[0:3], 0 offen offset:8
	s_nop 0
	buffer_load_dword v5, v5, s[0:3], 0 offen offset:12
	v_mov_b32_e32 v6, 0
	buffer_store_dword v6, off, s[0:3], 0 offset:160
	buffer_store_dword v6, off, s[0:3], 0 offset:164
	;; [unrolled: 1-line block ×4, first 2 shown]
	s_waitcnt vmcnt(4)
	ds_write_b128 v150, v[2:5]
.LBB25_149:
	s_or_b64 exec, exec, s[6:7]
	s_waitcnt lgkmcnt(0)
	; wave barrier
	s_waitcnt lgkmcnt(0)
	buffer_load_dword v2, off, s[0:3], 0 offset:176
	buffer_load_dword v3, off, s[0:3], 0 offset:180
	;; [unrolled: 1-line block ×64, first 2 shown]
	v_mov_b32_e32 v90, 0
	ds_read_b128 v[82:85], v90 offset:592
	ds_read_b128 v[86:89], v90 offset:608
	;; [unrolled: 1-line block ×7, first 2 shown]
	v_cmp_lt_u32_e32 vcc, 9, v178
	s_waitcnt vmcnt(60) lgkmcnt(6)
	v_mul_f64 v[108:109], v[82:83], v[6:7]
	v_fmac_f64_e32 v[108:109], v[84:85], v[2:3]
	v_add_f64 v[108:109], v[108:109], 0
	v_mul_f64 v[6:7], v[84:85], v[6:7]
	s_waitcnt vmcnt(56) lgkmcnt(5)
	v_mul_f64 v[110:111], v[86:87], v[8:9]
	v_fmac_f64_e32 v[110:111], v[88:89], v[4:5]
	s_waitcnt vmcnt(54) lgkmcnt(4)
	v_mul_f64 v[112:113], v[92:93], v[10:11]
	v_add_f64 v[108:109], v[108:109], v[110:111]
	v_fma_f64 v[2:3], v[82:83], v[2:3], -v[6:7]
	v_mul_f64 v[6:7], v[88:89], v[8:9]
	s_waitcnt vmcnt(50) lgkmcnt(3)
	v_mul_f64 v[114:115], v[96:97], v[16:17]
	s_waitcnt vmcnt(49) lgkmcnt(2)
	v_mul_f64 v[116:117], v[100:101], v[12:13]
	v_add_f64 v[2:3], v[2:3], 0
	s_waitcnt vmcnt(47)
	v_fmac_f64_e32 v[112:113], v[94:95], v[20:21]
	v_add_f64 v[108:109], v[108:109], v[112:113]
	s_waitcnt vmcnt(45)
	v_fmac_f64_e32 v[114:115], v[98:99], v[18:19]
	;; [unrolled: 3-line block ×3, first 2 shown]
	v_add_f64 v[112:113], v[108:109], v[116:117]
	ds_read_b128 v[108:111], v90 offset:688
	s_waitcnt vmcnt(40) lgkmcnt(2)
	v_mul_f64 v[114:115], v[104:105], v[78:79]
	v_fma_f64 v[4:5], v[86:87], v[4:5], -v[6:7]
	s_waitcnt vmcnt(38)
	v_fmac_f64_e32 v[114:115], v[106:107], v[80:81]
	v_add_f64 v[116:117], v[112:113], v[114:115]
	ds_read_b128 v[112:115], v90 offset:704
	s_waitcnt vmcnt(36) lgkmcnt(1)
	v_mul_f64 v[118:119], v[108:109], v[74:75]
	v_fmac_f64_e32 v[118:119], v[110:111], v[76:77]
	v_add_f64 v[2:3], v[2:3], v[4:5]
	v_mul_f64 v[4:5], v[94:95], v[10:11]
	v_add_f64 v[120:121], v[116:117], v[118:119]
	ds_read_b128 v[116:119], v90 offset:720
	s_waitcnt vmcnt(32) lgkmcnt(1)
	v_mul_f64 v[122:123], v[112:113], v[148:149]
	v_fma_f64 v[4:5], v[92:93], v[20:21], -v[4:5]
	s_waitcnt vmcnt(30)
	v_fmac_f64_e32 v[122:123], v[114:115], v[152:153]
	v_add_f64 v[2:3], v[2:3], v[4:5]
	v_mul_f64 v[4:5], v[98:99], v[16:17]
	v_add_f64 v[124:125], v[120:121], v[122:123]
	ds_read_b128 v[120:123], v90 offset:736
	v_fma_f64 v[4:5], v[96:97], v[18:19], -v[4:5]
	v_add_f64 v[2:3], v[2:3], v[4:5]
	v_mul_f64 v[4:5], v[102:103], v[12:13]
	v_fma_f64 v[4:5], v[100:101], v[14:15], -v[4:5]
	s_waitcnt vmcnt(28) lgkmcnt(1)
	v_mul_f64 v[126:127], v[116:117], v[144:145]
	v_add_f64 v[2:3], v[2:3], v[4:5]
	v_mul_f64 v[4:5], v[106:107], v[78:79]
	v_fmac_f64_e32 v[126:127], v[118:119], v[146:147]
	v_fma_f64 v[4:5], v[104:105], v[80:81], -v[4:5]
	v_add_f64 v[128:129], v[124:125], v[126:127]
	ds_read_b128 v[124:127], v90 offset:752
	s_waitcnt vmcnt(24) lgkmcnt(1)
	v_mul_f64 v[130:131], v[120:121], v[180:181]
	v_add_f64 v[2:3], v[2:3], v[4:5]
	v_mul_f64 v[4:5], v[110:111], v[74:75]
	s_waitcnt vmcnt(22)
	v_fmac_f64_e32 v[130:131], v[122:123], v[182:183]
	v_fma_f64 v[4:5], v[108:109], v[76:77], -v[4:5]
	v_add_f64 v[132:133], v[128:129], v[130:131]
	ds_read_b128 v[128:131], v90 offset:768
	v_add_f64 v[2:3], v[2:3], v[4:5]
	v_mul_f64 v[4:5], v[114:115], v[148:149]
	v_fma_f64 v[4:5], v[112:113], v[152:153], -v[4:5]
	v_add_f64 v[2:3], v[2:3], v[4:5]
	v_mul_f64 v[4:5], v[118:119], v[144:145]
	s_waitcnt vmcnt(20) lgkmcnt(1)
	v_mul_f64 v[134:135], v[124:125], v[154:155]
	v_fma_f64 v[4:5], v[116:117], v[146:147], -v[4:5]
	v_fmac_f64_e32 v[134:135], v[126:127], v[156:157]
	v_add_f64 v[2:3], v[2:3], v[4:5]
	v_mul_f64 v[4:5], v[122:123], v[180:181]
	v_add_f64 v[136:137], v[132:133], v[134:135]
	ds_read_b128 v[132:135], v90 offset:784
	s_waitcnt vmcnt(16) lgkmcnt(1)
	v_mul_f64 v[138:139], v[128:129], v[188:189]
	v_fma_f64 v[4:5], v[120:121], v[182:183], -v[4:5]
	s_waitcnt vmcnt(14)
	v_fmac_f64_e32 v[138:139], v[130:131], v[190:191]
	v_add_f64 v[2:3], v[2:3], v[4:5]
	v_mul_f64 v[4:5], v[126:127], v[154:155]
	v_add_f64 v[204:205], v[136:137], v[138:139]
	ds_read_b128 v[136:139], v90 offset:800
	v_fma_f64 v[4:5], v[124:125], v[156:157], -v[4:5]
	v_add_f64 v[2:3], v[2:3], v[4:5]
	v_mul_f64 v[4:5], v[130:131], v[188:189]
	v_fma_f64 v[4:5], v[128:129], v[190:191], -v[4:5]
	v_add_f64 v[2:3], v[2:3], v[4:5]
	s_waitcnt vmcnt(12) lgkmcnt(1)
	v_mul_f64 v[4:5], v[134:135], v[184:185]
	v_mul_f64 v[206:207], v[132:133], v[184:185]
	v_fma_f64 v[4:5], v[132:133], v[186:187], -v[4:5]
	v_fmac_f64_e32 v[206:207], v[134:135], v[186:187]
	v_add_f64 v[2:3], v[2:3], v[4:5]
	s_waitcnt vmcnt(8) lgkmcnt(0)
	v_mul_f64 v[4:5], v[138:139], v[196:197]
	v_add_f64 v[204:205], v[204:205], v[206:207]
	v_mul_f64 v[206:207], v[136:137], v[196:197]
	s_waitcnt vmcnt(6)
	v_fma_f64 v[4:5], v[136:137], v[198:199], -v[4:5]
	v_fmac_f64_e32 v[206:207], v[138:139], v[198:199]
	v_add_f64 v[2:3], v[2:3], v[4:5]
	s_waitcnt vmcnt(5)
	v_mul_f64 v[4:5], v[142:143], v[192:193]
	v_add_f64 v[204:205], v[204:205], v[206:207]
	v_mul_f64 v[206:207], v[140:141], v[192:193]
	s_waitcnt vmcnt(4)
	v_fma_f64 v[4:5], v[140:141], v[194:195], -v[4:5]
	v_fmac_f64_e32 v[206:207], v[142:143], v[194:195]
	v_add_f64 v[2:3], v[2:3], v[4:5]
	v_add_f64 v[204:205], v[204:205], v[206:207]
	s_waitcnt vmcnt(2)
	v_add_f64 v[2:3], v[200:201], -v[2:3]
	s_waitcnt vmcnt(0)
	v_add_f64 v[4:5], v[202:203], -v[204:205]
	buffer_store_dword v3, off, s[0:3], 0 offset:164
	buffer_store_dword v2, off, s[0:3], 0 offset:160
	buffer_store_dword v5, off, s[0:3], 0 offset:172
	buffer_store_dword v4, off, s[0:3], 0 offset:168
	s_and_saveexec_b64 s[6:7], vcc
	s_cbranch_execz .LBB25_151
; %bb.150:
	v_accvgpr_read_b32 v5, a26
	buffer_load_dword v2, v5, s[0:3], 0 offen
	buffer_load_dword v3, v5, s[0:3], 0 offen offset:4
	buffer_load_dword v4, v5, s[0:3], 0 offen offset:8
	s_nop 0
	buffer_load_dword v5, v5, s[0:3], 0 offen offset:12
	s_nop 0
	buffer_store_dword v90, off, s[0:3], 0 offset:144
	buffer_store_dword v90, off, s[0:3], 0 offset:148
	;; [unrolled: 1-line block ×4, first 2 shown]
	s_waitcnt vmcnt(4)
	ds_write_b128 v150, v[2:5]
.LBB25_151:
	s_or_b64 exec, exec, s[6:7]
	s_waitcnt lgkmcnt(0)
	; wave barrier
	s_waitcnt lgkmcnt(0)
	buffer_load_dword v2, off, s[0:3], 0 offset:160
	buffer_load_dword v3, off, s[0:3], 0 offset:164
	;; [unrolled: 1-line block ×64, first 2 shown]
	ds_read_b128 v[92:95], v90 offset:576
	ds_read_b128 v[96:99], v90 offset:592
	;; [unrolled: 1-line block ×4, first 2 shown]
	buffer_load_dword v208, off, s[0:3], 0 offset:144
	buffer_load_dword v209, off, s[0:3], 0 offset:148
	;; [unrolled: 1-line block ×4, first 2 shown]
	v_cmp_lt_u32_e32 vcc, 8, v178
	ds_read_b128 v[184:187], v90 offset:816
	s_waitcnt vmcnt(62) lgkmcnt(4)
	v_mul_f64 v[108:109], v[92:93], v[4:5]
	v_fmac_f64_e32 v[108:109], v[94:95], v[2:3]
	s_waitcnt lgkmcnt(3)
	v_mul_f64 v[110:111], v[96:97], v[6:7]
	v_add_f64 v[108:109], v[108:109], 0
	s_waitcnt vmcnt(60) lgkmcnt(2)
	v_mul_f64 v[112:113], v[100:101], v[8:9]
	v_mul_f64 v[4:5], v[94:95], v[4:5]
	v_fma_f64 v[2:3], v[92:93], v[2:3], -v[4:5]
	v_mul_f64 v[4:5], v[98:99], v[6:7]
	s_waitcnt vmcnt(56) lgkmcnt(1)
	v_mul_f64 v[114:115], v[104:105], v[14:15]
	v_add_f64 v[2:3], v[2:3], 0
	s_waitcnt vmcnt(54)
	v_fmac_f64_e32 v[110:111], v[98:99], v[20:21]
	v_add_f64 v[116:117], v[108:109], v[110:111]
	ds_read_b128 v[108:111], v90 offset:640
	s_waitcnt vmcnt(52)
	v_fmac_f64_e32 v[112:113], v[102:103], v[18:19]
	v_add_f64 v[112:113], v[116:117], v[112:113]
	s_waitcnt vmcnt(50)
	v_fmac_f64_e32 v[114:115], v[106:107], v[16:17]
	v_add_f64 v[116:117], v[112:113], v[114:115]
	ds_read_b128 v[112:115], v90 offset:656
	s_waitcnt vmcnt(48) lgkmcnt(1)
	v_mul_f64 v[118:119], v[108:109], v[10:11]
	v_fmac_f64_e32 v[118:119], v[110:111], v[12:13]
	v_add_f64 v[120:121], v[116:117], v[118:119]
	ds_read_b128 v[116:119], v90 offset:672
	s_waitcnt vmcnt(44) lgkmcnt(1)
	v_mul_f64 v[122:123], v[112:113], v[78:79]
	s_waitcnt vmcnt(42)
	v_fmac_f64_e32 v[122:123], v[114:115], v[80:81]
	v_add_f64 v[124:125], v[120:121], v[122:123]
	ds_read_b128 v[120:123], v90 offset:688
	s_waitcnt vmcnt(40) lgkmcnt(1)
	v_mul_f64 v[126:127], v[116:117], v[74:75]
	v_fmac_f64_e32 v[126:127], v[118:119], v[76:77]
	v_add_f64 v[128:129], v[124:125], v[126:127]
	ds_read_b128 v[124:127], v90 offset:704
	v_fma_f64 v[4:5], v[96:97], v[20:21], -v[4:5]
	v_add_f64 v[2:3], v[2:3], v[4:5]
	v_mul_f64 v[4:5], v[102:103], v[8:9]
	s_waitcnt vmcnt(36) lgkmcnt(1)
	v_mul_f64 v[130:131], v[120:121], v[86:87]
	v_fma_f64 v[4:5], v[100:101], v[18:19], -v[4:5]
	s_waitcnt vmcnt(34)
	v_fmac_f64_e32 v[130:131], v[122:123], v[88:89]
	v_add_f64 v[2:3], v[2:3], v[4:5]
	v_mul_f64 v[4:5], v[106:107], v[14:15]
	v_add_f64 v[132:133], v[128:129], v[130:131]
	ds_read_b128 v[128:131], v90 offset:720
	s_waitcnt vmcnt(32) lgkmcnt(1)
	v_mul_f64 v[134:135], v[124:125], v[82:83]
	v_fma_f64 v[4:5], v[104:105], v[16:17], -v[4:5]
	v_fmac_f64_e32 v[134:135], v[126:127], v[84:85]
	v_add_f64 v[2:3], v[2:3], v[4:5]
	v_mul_f64 v[4:5], v[110:111], v[10:11]
	v_add_f64 v[136:137], v[132:133], v[134:135]
	ds_read_b128 v[132:135], v90 offset:736
	v_fma_f64 v[4:5], v[108:109], v[12:13], -v[4:5]
	v_add_f64 v[2:3], v[2:3], v[4:5]
	v_mul_f64 v[4:5], v[114:115], v[78:79]
	v_fma_f64 v[4:5], v[112:113], v[80:81], -v[4:5]
	s_waitcnt vmcnt(28) lgkmcnt(1)
	v_mul_f64 v[138:139], v[128:129], v[154:155]
	v_add_f64 v[2:3], v[2:3], v[4:5]
	v_mul_f64 v[4:5], v[118:119], v[74:75]
	s_waitcnt vmcnt(26)
	v_fmac_f64_e32 v[138:139], v[130:131], v[156:157]
	v_fma_f64 v[4:5], v[116:117], v[76:77], -v[4:5]
	v_add_f64 v[140:141], v[136:137], v[138:139]
	ds_read_b128 v[136:139], v90 offset:752
	s_waitcnt vmcnt(24) lgkmcnt(1)
	v_mul_f64 v[142:143], v[132:133], v[148:149]
	v_add_f64 v[2:3], v[2:3], v[4:5]
	v_mul_f64 v[4:5], v[122:123], v[86:87]
	v_fmac_f64_e32 v[142:143], v[134:135], v[152:153]
	v_fma_f64 v[4:5], v[120:121], v[88:89], -v[4:5]
	v_add_f64 v[144:145], v[140:141], v[142:143]
	ds_read_b128 v[140:143], v90 offset:768
	v_add_f64 v[2:3], v[2:3], v[4:5]
	v_mul_f64 v[4:5], v[126:127], v[82:83]
	v_fma_f64 v[4:5], v[124:125], v[84:85], -v[4:5]
	v_add_f64 v[2:3], v[2:3], v[4:5]
	v_mul_f64 v[4:5], v[130:131], v[154:155]
	s_waitcnt vmcnt(20) lgkmcnt(1)
	v_mul_f64 v[146:147], v[136:137], v[192:193]
	v_fma_f64 v[4:5], v[128:129], v[156:157], -v[4:5]
	s_waitcnt vmcnt(18)
	v_fmac_f64_e32 v[146:147], v[138:139], v[194:195]
	v_add_f64 v[2:3], v[2:3], v[4:5]
	v_mul_f64 v[4:5], v[134:135], v[148:149]
	v_add_f64 v[180:181], v[144:145], v[146:147]
	ds_read_b128 v[144:147], v90 offset:784
	s_waitcnt vmcnt(16) lgkmcnt(1)
	v_mul_f64 v[182:183], v[140:141], v[188:189]
	v_fma_f64 v[4:5], v[132:133], v[152:153], -v[4:5]
	v_fmac_f64_e32 v[182:183], v[142:143], v[190:191]
	v_add_f64 v[2:3], v[2:3], v[4:5]
	v_mul_f64 v[4:5], v[138:139], v[192:193]
	v_add_f64 v[212:213], v[180:181], v[182:183]
	ds_read_b128 v[180:183], v90 offset:800
	v_fma_f64 v[4:5], v[136:137], v[194:195], -v[4:5]
	v_add_f64 v[2:3], v[2:3], v[4:5]
	v_mul_f64 v[4:5], v[142:143], v[188:189]
	v_fma_f64 v[4:5], v[140:141], v[190:191], -v[4:5]
	v_add_f64 v[2:3], v[2:3], v[4:5]
	s_waitcnt vmcnt(12) lgkmcnt(1)
	v_mul_f64 v[4:5], v[146:147], v[200:201]
	v_mul_f64 v[214:215], v[144:145], v[200:201]
	s_waitcnt vmcnt(10)
	v_fma_f64 v[4:5], v[144:145], v[202:203], -v[4:5]
	v_fmac_f64_e32 v[214:215], v[146:147], v[202:203]
	v_add_f64 v[2:3], v[2:3], v[4:5]
	s_waitcnt vmcnt(8) lgkmcnt(0)
	v_mul_f64 v[4:5], v[182:183], v[196:197]
	v_add_f64 v[90:91], v[212:213], v[214:215]
	v_mul_f64 v[212:213], v[180:181], v[196:197]
	v_fma_f64 v[4:5], v[180:181], v[198:199], -v[4:5]
	v_fmac_f64_e32 v[212:213], v[182:183], v[198:199]
	v_add_f64 v[2:3], v[2:3], v[4:5]
	s_waitcnt vmcnt(6)
	v_mul_f64 v[4:5], v[186:187], v[204:205]
	v_add_f64 v[90:91], v[90:91], v[212:213]
	v_mul_f64 v[212:213], v[184:185], v[204:205]
	s_waitcnt vmcnt(4)
	v_fma_f64 v[4:5], v[184:185], v[206:207], -v[4:5]
	v_fmac_f64_e32 v[212:213], v[186:187], v[206:207]
	v_add_f64 v[2:3], v[2:3], v[4:5]
	v_add_f64 v[90:91], v[90:91], v[212:213]
	s_waitcnt vmcnt(2)
	v_add_f64 v[2:3], v[208:209], -v[2:3]
	s_waitcnt vmcnt(0)
	v_add_f64 v[4:5], v[210:211], -v[90:91]
	buffer_store_dword v3, off, s[0:3], 0 offset:148
	buffer_store_dword v2, off, s[0:3], 0 offset:144
	;; [unrolled: 1-line block ×4, first 2 shown]
	s_and_saveexec_b64 s[6:7], vcc
	s_cbranch_execz .LBB25_153
; %bb.152:
	v_accvgpr_read_b32 v5, a23
	buffer_load_dword v2, v5, s[0:3], 0 offen
	buffer_load_dword v3, v5, s[0:3], 0 offen offset:4
	buffer_load_dword v4, v5, s[0:3], 0 offen offset:8
	s_nop 0
	buffer_load_dword v5, v5, s[0:3], 0 offen offset:12
	v_mov_b32_e32 v6, 0
	buffer_store_dword v6, off, s[0:3], 0 offset:128
	buffer_store_dword v6, off, s[0:3], 0 offset:132
	;; [unrolled: 1-line block ×4, first 2 shown]
	s_waitcnt vmcnt(4)
	ds_write_b128 v150, v[2:5]
.LBB25_153:
	s_or_b64 exec, exec, s[6:7]
	s_waitcnt lgkmcnt(0)
	; wave barrier
	s_waitcnt lgkmcnt(0)
	buffer_load_dword v2, off, s[0:3], 0 offset:144
	buffer_load_dword v3, off, s[0:3], 0 offset:148
	;; [unrolled: 1-line block ×68, first 2 shown]
	v_mov_b32_e32 v98, 0
	ds_read_b128 v[94:97], v98 offset:560
	ds_read_b128 v[100:103], v98 offset:576
	buffer_load_dword v216, off, s[0:3], 0 offset:128
	buffer_load_dword v217, off, s[0:3], 0 offset:132
	buffer_load_dword v218, off, s[0:3], 0 offset:136
	buffer_load_dword v219, off, s[0:3], 0 offset:140
	ds_read_b128 v[104:107], v98 offset:592
	ds_read_b128 v[108:111], v98 offset:608
	;; [unrolled: 1-line block ×3, first 2 shown]
	v_cmp_lt_u32_e32 vcc, 7, v178
	s_waitcnt vmcnt(62) lgkmcnt(4)
	v_mul_f64 v[112:113], v[94:95], v[8:9]
	v_fmac_f64_e32 v[112:113], v[96:97], v[2:3]
	v_add_f64 v[112:113], v[112:113], 0
	v_mul_f64 v[8:9], v[96:97], v[8:9]
	s_waitcnt lgkmcnt(3)
	v_mul_f64 v[114:115], v[100:101], v[10:11]
	v_fmac_f64_e32 v[114:115], v[102:103], v[4:5]
	v_add_f64 v[112:113], v[112:113], v[114:115]
	v_fma_f64 v[2:3], v[94:95], v[2:3], -v[8:9]
	s_waitcnt vmcnt(60) lgkmcnt(2)
	v_mul_f64 v[114:115], v[104:105], v[12:13]
	v_fmac_f64_e32 v[114:115], v[106:107], v[6:7]
	v_add_f64 v[116:117], v[112:113], v[114:115]
	ds_read_b128 v[112:115], v98 offset:624
	s_waitcnt vmcnt(56) lgkmcnt(2)
	v_mul_f64 v[118:119], v[108:109], v[18:19]
	v_mul_f64 v[8:9], v[102:103], v[10:11]
	s_waitcnt vmcnt(54)
	v_fmac_f64_e32 v[118:119], v[110:111], v[20:21]
	v_add_f64 v[120:121], v[116:117], v[118:119]
	ds_read_b128 v[116:119], v98 offset:640
	s_waitcnt vmcnt(52) lgkmcnt(1)
	v_mul_f64 v[122:123], v[112:113], v[14:15]
	v_fmac_f64_e32 v[122:123], v[114:115], v[16:17]
	v_add_f64 v[124:125], v[120:121], v[122:123]
	ds_read_b128 v[120:123], v98 offset:656
	s_waitcnt vmcnt(48) lgkmcnt(1)
	v_mul_f64 v[126:127], v[116:117], v[78:79]
	s_waitcnt vmcnt(46)
	v_fmac_f64_e32 v[126:127], v[118:119], v[80:81]
	v_add_f64 v[128:129], v[124:125], v[126:127]
	ds_read_b128 v[124:127], v98 offset:672
	s_waitcnt vmcnt(44) lgkmcnt(1)
	v_mul_f64 v[130:131], v[120:121], v[74:75]
	v_fmac_f64_e32 v[130:131], v[122:123], v[76:77]
	v_add_f64 v[132:133], v[128:129], v[130:131]
	ds_read_b128 v[128:131], v98 offset:688
	s_waitcnt vmcnt(40) lgkmcnt(1)
	v_mul_f64 v[134:135], v[124:125], v[86:87]
	s_waitcnt vmcnt(38)
	v_fmac_f64_e32 v[134:135], v[126:127], v[88:89]
	v_add_f64 v[2:3], v[2:3], 0
	v_fma_f64 v[4:5], v[100:101], v[4:5], -v[8:9]
	v_add_f64 v[136:137], v[132:133], v[134:135]
	ds_read_b128 v[132:135], v98 offset:704
	v_add_f64 v[2:3], v[2:3], v[4:5]
	v_mul_f64 v[4:5], v[106:107], v[12:13]
	v_fma_f64 v[4:5], v[104:105], v[6:7], -v[4:5]
	v_add_f64 v[2:3], v[2:3], v[4:5]
	v_mul_f64 v[4:5], v[110:111], v[18:19]
	s_waitcnt vmcnt(36) lgkmcnt(1)
	v_mul_f64 v[138:139], v[128:129], v[82:83]
	v_fma_f64 v[4:5], v[108:109], v[20:21], -v[4:5]
	v_fmac_f64_e32 v[138:139], v[130:131], v[84:85]
	v_add_f64 v[2:3], v[2:3], v[4:5]
	v_mul_f64 v[4:5], v[114:115], v[14:15]
	v_add_f64 v[140:141], v[136:137], v[138:139]
	ds_read_b128 v[136:139], v98 offset:720
	s_waitcnt vmcnt(32) lgkmcnt(1)
	v_mul_f64 v[142:143], v[132:133], v[148:149]
	v_fma_f64 v[4:5], v[112:113], v[16:17], -v[4:5]
	s_waitcnt vmcnt(30)
	v_fmac_f64_e32 v[142:143], v[134:135], v[152:153]
	v_add_f64 v[2:3], v[2:3], v[4:5]
	v_mul_f64 v[4:5], v[118:119], v[78:79]
	v_add_f64 v[144:145], v[140:141], v[142:143]
	ds_read_b128 v[140:143], v98 offset:736
	v_fma_f64 v[4:5], v[116:117], v[80:81], -v[4:5]
	v_add_f64 v[2:3], v[2:3], v[4:5]
	v_mul_f64 v[4:5], v[122:123], v[74:75]
	v_fma_f64 v[4:5], v[120:121], v[76:77], -v[4:5]
	s_waitcnt vmcnt(28) lgkmcnt(1)
	v_mul_f64 v[146:147], v[136:137], v[90:91]
	v_add_f64 v[2:3], v[2:3], v[4:5]
	v_mul_f64 v[4:5], v[126:127], v[86:87]
	v_fmac_f64_e32 v[146:147], v[138:139], v[92:93]
	v_fma_f64 v[4:5], v[124:125], v[88:89], -v[4:5]
	v_add_f64 v[180:181], v[144:145], v[146:147]
	ds_read_b128 v[144:147], v98 offset:752
	s_waitcnt vmcnt(24) lgkmcnt(1)
	v_mul_f64 v[182:183], v[140:141], v[196:197]
	v_add_f64 v[2:3], v[2:3], v[4:5]
	v_mul_f64 v[4:5], v[130:131], v[82:83]
	s_waitcnt vmcnt(22)
	v_fmac_f64_e32 v[182:183], v[142:143], v[198:199]
	v_fma_f64 v[4:5], v[128:129], v[84:85], -v[4:5]
	v_add_f64 v[184:185], v[180:181], v[182:183]
	ds_read_b128 v[180:183], v98 offset:768
	v_add_f64 v[2:3], v[2:3], v[4:5]
	v_mul_f64 v[4:5], v[134:135], v[148:149]
	v_fma_f64 v[4:5], v[132:133], v[152:153], -v[4:5]
	v_add_f64 v[2:3], v[2:3], v[4:5]
	v_mul_f64 v[4:5], v[138:139], v[90:91]
	s_waitcnt vmcnt(20) lgkmcnt(1)
	v_mul_f64 v[186:187], v[144:145], v[154:155]
	v_fma_f64 v[4:5], v[136:137], v[92:93], -v[4:5]
	v_fmac_f64_e32 v[186:187], v[146:147], v[156:157]
	v_add_f64 v[2:3], v[2:3], v[4:5]
	v_mul_f64 v[4:5], v[142:143], v[196:197]
	v_add_f64 v[188:189], v[184:185], v[186:187]
	ds_read_b128 v[184:187], v98 offset:784
	s_waitcnt vmcnt(16) lgkmcnt(1)
	v_mul_f64 v[190:191], v[180:181], v[204:205]
	v_fma_f64 v[4:5], v[140:141], v[198:199], -v[4:5]
	s_waitcnt vmcnt(14)
	v_fmac_f64_e32 v[190:191], v[182:183], v[206:207]
	v_add_f64 v[2:3], v[2:3], v[4:5]
	v_mul_f64 v[4:5], v[146:147], v[154:155]
	v_add_f64 v[220:221], v[188:189], v[190:191]
	ds_read_b128 v[188:191], v98 offset:800
	v_fma_f64 v[4:5], v[144:145], v[156:157], -v[4:5]
	v_add_f64 v[2:3], v[2:3], v[4:5]
	v_mul_f64 v[4:5], v[182:183], v[204:205]
	v_fma_f64 v[4:5], v[180:181], v[206:207], -v[4:5]
	v_add_f64 v[2:3], v[2:3], v[4:5]
	s_waitcnt vmcnt(12) lgkmcnt(1)
	v_mul_f64 v[4:5], v[186:187], v[200:201]
	v_mul_f64 v[222:223], v[184:185], v[200:201]
	v_fma_f64 v[4:5], v[184:185], v[202:203], -v[4:5]
	v_fmac_f64_e32 v[222:223], v[186:187], v[202:203]
	v_add_f64 v[2:3], v[2:3], v[4:5]
	s_waitcnt vmcnt(8) lgkmcnt(0)
	v_mul_f64 v[4:5], v[190:191], v[212:213]
	v_add_f64 v[220:221], v[220:221], v[222:223]
	v_mul_f64 v[222:223], v[188:189], v[212:213]
	s_waitcnt vmcnt(6)
	v_fma_f64 v[4:5], v[188:189], v[214:215], -v[4:5]
	v_fmac_f64_e32 v[222:223], v[190:191], v[214:215]
	v_add_f64 v[2:3], v[2:3], v[4:5]
	s_waitcnt vmcnt(5)
	v_mul_f64 v[4:5], v[194:195], v[208:209]
	v_add_f64 v[220:221], v[220:221], v[222:223]
	v_mul_f64 v[222:223], v[192:193], v[208:209]
	s_waitcnt vmcnt(4)
	v_fma_f64 v[4:5], v[192:193], v[210:211], -v[4:5]
	v_fmac_f64_e32 v[222:223], v[194:195], v[210:211]
	v_add_f64 v[2:3], v[2:3], v[4:5]
	v_add_f64 v[220:221], v[220:221], v[222:223]
	s_waitcnt vmcnt(2)
	v_add_f64 v[2:3], v[216:217], -v[2:3]
	s_waitcnt vmcnt(0)
	v_add_f64 v[4:5], v[218:219], -v[220:221]
	buffer_store_dword v3, off, s[0:3], 0 offset:132
	buffer_store_dword v2, off, s[0:3], 0 offset:128
	;; [unrolled: 1-line block ×4, first 2 shown]
	s_and_saveexec_b64 s[6:7], vcc
	s_cbranch_execz .LBB25_155
; %bb.154:
	v_accvgpr_read_b32 v5, a25
	buffer_load_dword v2, v5, s[0:3], 0 offen
	buffer_load_dword v3, v5, s[0:3], 0 offen offset:4
	buffer_load_dword v4, v5, s[0:3], 0 offen offset:8
	s_nop 0
	buffer_load_dword v5, v5, s[0:3], 0 offen offset:12
	s_nop 0
	buffer_store_dword v98, off, s[0:3], 0 offset:112
	buffer_store_dword v98, off, s[0:3], 0 offset:116
	;; [unrolled: 1-line block ×4, first 2 shown]
	s_waitcnt vmcnt(4)
	ds_write_b128 v150, v[2:5]
.LBB25_155:
	s_or_b64 exec, exec, s[6:7]
	s_waitcnt lgkmcnt(0)
	; wave barrier
	s_waitcnt lgkmcnt(0)
	buffer_load_dword v2, off, s[0:3], 0 offset:128
	buffer_load_dword v3, off, s[0:3], 0 offset:132
	;; [unrolled: 1-line block ×72, first 2 shown]
	ds_read_b128 v[100:103], v98 offset:544
	buffer_load_dword v224, off, s[0:3], 0 offset:112
	buffer_load_dword v225, off, s[0:3], 0 offset:116
	;; [unrolled: 1-line block ×4, first 2 shown]
	ds_read_b128 v[104:107], v98 offset:560
	ds_read_b128 v[108:111], v98 offset:576
	;; [unrolled: 1-line block ×3, first 2 shown]
	v_cmp_lt_u32_e32 vcc, 6, v178
	ds_read_b128 v[200:203], v98 offset:816
	s_waitcnt vmcnt(62) lgkmcnt(4)
	v_mul_f64 v[116:117], v[100:101], v[8:9]
	v_fmac_f64_e32 v[116:117], v[102:103], v[2:3]
	v_add_f64 v[116:117], v[116:117], 0
	v_mul_f64 v[8:9], v[102:103], v[8:9]
	s_waitcnt lgkmcnt(3)
	v_mul_f64 v[118:119], v[104:105], v[10:11]
	v_fmac_f64_e32 v[118:119], v[106:107], v[4:5]
	v_add_f64 v[116:117], v[116:117], v[118:119]
	v_fma_f64 v[2:3], v[100:101], v[2:3], -v[8:9]
	s_waitcnt lgkmcnt(2)
	v_mul_f64 v[118:119], v[108:109], v[12:13]
	v_fmac_f64_e32 v[118:119], v[110:111], v[6:7]
	v_add_f64 v[120:121], v[116:117], v[118:119]
	ds_read_b128 v[116:119], v98 offset:608
	s_waitcnt vmcnt(60) lgkmcnt(2)
	v_mul_f64 v[122:123], v[112:113], v[18:19]
	v_mul_f64 v[8:9], v[106:107], v[10:11]
	s_waitcnt vmcnt(58)
	v_fmac_f64_e32 v[122:123], v[114:115], v[20:21]
	v_add_f64 v[124:125], v[120:121], v[122:123]
	ds_read_b128 v[120:123], v98 offset:624
	s_waitcnt vmcnt(56) lgkmcnt(1)
	v_mul_f64 v[126:127], v[116:117], v[14:15]
	v_fmac_f64_e32 v[126:127], v[118:119], v[16:17]
	v_add_f64 v[128:129], v[124:125], v[126:127]
	ds_read_b128 v[124:127], v98 offset:640
	s_waitcnt vmcnt(52) lgkmcnt(1)
	v_mul_f64 v[130:131], v[120:121], v[78:79]
	s_waitcnt vmcnt(50)
	v_fmac_f64_e32 v[130:131], v[122:123], v[80:81]
	v_add_f64 v[132:133], v[128:129], v[130:131]
	ds_read_b128 v[128:131], v98 offset:656
	s_waitcnt vmcnt(48) lgkmcnt(1)
	v_mul_f64 v[134:135], v[124:125], v[74:75]
	v_fmac_f64_e32 v[134:135], v[126:127], v[76:77]
	v_add_f64 v[136:137], v[132:133], v[134:135]
	ds_read_b128 v[132:135], v98 offset:672
	s_waitcnt vmcnt(44) lgkmcnt(1)
	v_mul_f64 v[138:139], v[128:129], v[86:87]
	s_waitcnt vmcnt(42)
	v_fmac_f64_e32 v[138:139], v[130:131], v[88:89]
	v_add_f64 v[2:3], v[2:3], 0
	v_fma_f64 v[4:5], v[104:105], v[4:5], -v[8:9]
	v_add_f64 v[140:141], v[136:137], v[138:139]
	ds_read_b128 v[136:139], v98 offset:688
	s_waitcnt vmcnt(40) lgkmcnt(1)
	v_mul_f64 v[142:143], v[132:133], v[82:83]
	v_add_f64 v[2:3], v[2:3], v[4:5]
	v_mul_f64 v[4:5], v[110:111], v[12:13]
	v_fmac_f64_e32 v[142:143], v[134:135], v[84:85]
	v_fma_f64 v[4:5], v[108:109], v[6:7], -v[4:5]
	v_add_f64 v[144:145], v[140:141], v[142:143]
	ds_read_b128 v[140:143], v98 offset:704
	v_add_f64 v[2:3], v[2:3], v[4:5]
	v_mul_f64 v[4:5], v[114:115], v[18:19]
	v_fma_f64 v[4:5], v[112:113], v[20:21], -v[4:5]
	v_add_f64 v[2:3], v[2:3], v[4:5]
	v_mul_f64 v[4:5], v[118:119], v[14:15]
	s_waitcnt vmcnt(36) lgkmcnt(1)
	v_mul_f64 v[146:147], v[136:137], v[94:95]
	v_fma_f64 v[4:5], v[116:117], v[16:17], -v[4:5]
	s_waitcnt vmcnt(34)
	v_fmac_f64_e32 v[146:147], v[138:139], v[96:97]
	v_add_f64 v[2:3], v[2:3], v[4:5]
	v_mul_f64 v[4:5], v[122:123], v[78:79]
	v_add_f64 v[180:181], v[144:145], v[146:147]
	ds_read_b128 v[144:147], v98 offset:720
	s_waitcnt vmcnt(32) lgkmcnt(1)
	v_mul_f64 v[182:183], v[140:141], v[90:91]
	v_fma_f64 v[4:5], v[120:121], v[80:81], -v[4:5]
	v_fmac_f64_e32 v[182:183], v[142:143], v[92:93]
	v_add_f64 v[2:3], v[2:3], v[4:5]
	v_mul_f64 v[4:5], v[126:127], v[74:75]
	v_add_f64 v[184:185], v[180:181], v[182:183]
	ds_read_b128 v[180:183], v98 offset:736
	v_fma_f64 v[4:5], v[124:125], v[76:77], -v[4:5]
	v_add_f64 v[2:3], v[2:3], v[4:5]
	v_mul_f64 v[4:5], v[130:131], v[86:87]
	v_fma_f64 v[4:5], v[128:129], v[88:89], -v[4:5]
	s_waitcnt vmcnt(28) lgkmcnt(1)
	v_mul_f64 v[186:187], v[144:145], v[154:155]
	v_add_f64 v[2:3], v[2:3], v[4:5]
	v_mul_f64 v[4:5], v[134:135], v[82:83]
	s_waitcnt vmcnt(26)
	v_fmac_f64_e32 v[186:187], v[146:147], v[156:157]
	v_fma_f64 v[4:5], v[132:133], v[84:85], -v[4:5]
	v_add_f64 v[188:189], v[184:185], v[186:187]
	ds_read_b128 v[184:187], v98 offset:752
	s_waitcnt vmcnt(24) lgkmcnt(1)
	v_mul_f64 v[190:191], v[180:181], v[148:149]
	v_add_f64 v[2:3], v[2:3], v[4:5]
	v_mul_f64 v[4:5], v[138:139], v[94:95]
	v_fmac_f64_e32 v[190:191], v[182:183], v[152:153]
	v_fma_f64 v[4:5], v[136:137], v[96:97], -v[4:5]
	v_add_f64 v[192:193], v[188:189], v[190:191]
	ds_read_b128 v[188:191], v98 offset:768
	v_add_f64 v[2:3], v[2:3], v[4:5]
	v_mul_f64 v[4:5], v[142:143], v[90:91]
	v_fma_f64 v[4:5], v[140:141], v[92:93], -v[4:5]
	v_add_f64 v[2:3], v[2:3], v[4:5]
	v_mul_f64 v[4:5], v[146:147], v[154:155]
	s_waitcnt vmcnt(20) lgkmcnt(1)
	v_mul_f64 v[194:195], v[184:185], v[208:209]
	v_fma_f64 v[4:5], v[144:145], v[156:157], -v[4:5]
	s_waitcnt vmcnt(18)
	v_fmac_f64_e32 v[194:195], v[186:187], v[210:211]
	v_add_f64 v[2:3], v[2:3], v[4:5]
	v_mul_f64 v[4:5], v[182:183], v[148:149]
	v_add_f64 v[196:197], v[192:193], v[194:195]
	ds_read_b128 v[192:195], v98 offset:784
	s_waitcnt vmcnt(16) lgkmcnt(1)
	v_mul_f64 v[198:199], v[188:189], v[204:205]
	v_fma_f64 v[4:5], v[180:181], v[152:153], -v[4:5]
	v_fmac_f64_e32 v[198:199], v[190:191], v[206:207]
	v_add_f64 v[2:3], v[2:3], v[4:5]
	v_mul_f64 v[4:5], v[186:187], v[208:209]
	v_add_f64 v[228:229], v[196:197], v[198:199]
	ds_read_b128 v[196:199], v98 offset:800
	v_fma_f64 v[4:5], v[184:185], v[210:211], -v[4:5]
	v_add_f64 v[2:3], v[2:3], v[4:5]
	v_mul_f64 v[4:5], v[190:191], v[204:205]
	v_fma_f64 v[4:5], v[188:189], v[206:207], -v[4:5]
	v_add_f64 v[2:3], v[2:3], v[4:5]
	s_waitcnt vmcnt(12) lgkmcnt(1)
	v_mul_f64 v[4:5], v[194:195], v[216:217]
	v_mul_f64 v[230:231], v[192:193], v[216:217]
	s_waitcnt vmcnt(10)
	v_fma_f64 v[4:5], v[192:193], v[218:219], -v[4:5]
	v_fmac_f64_e32 v[230:231], v[194:195], v[218:219]
	v_add_f64 v[2:3], v[2:3], v[4:5]
	s_waitcnt vmcnt(8) lgkmcnt(0)
	v_mul_f64 v[4:5], v[198:199], v[212:213]
	v_add_f64 v[98:99], v[228:229], v[230:231]
	v_mul_f64 v[228:229], v[196:197], v[212:213]
	v_fma_f64 v[4:5], v[196:197], v[214:215], -v[4:5]
	v_fmac_f64_e32 v[228:229], v[198:199], v[214:215]
	v_add_f64 v[2:3], v[2:3], v[4:5]
	s_waitcnt vmcnt(6)
	v_mul_f64 v[4:5], v[202:203], v[220:221]
	v_add_f64 v[98:99], v[98:99], v[228:229]
	v_mul_f64 v[228:229], v[200:201], v[220:221]
	s_waitcnt vmcnt(4)
	v_fma_f64 v[4:5], v[200:201], v[222:223], -v[4:5]
	v_fmac_f64_e32 v[228:229], v[202:203], v[222:223]
	v_add_f64 v[2:3], v[2:3], v[4:5]
	v_add_f64 v[98:99], v[98:99], v[228:229]
	s_waitcnt vmcnt(2)
	v_add_f64 v[2:3], v[224:225], -v[2:3]
	s_waitcnt vmcnt(0)
	v_add_f64 v[4:5], v[226:227], -v[98:99]
	buffer_store_dword v3, off, s[0:3], 0 offset:116
	buffer_store_dword v2, off, s[0:3], 0 offset:112
	;; [unrolled: 1-line block ×4, first 2 shown]
	s_and_saveexec_b64 s[6:7], vcc
	s_cbranch_execz .LBB25_157
; %bb.156:
	v_accvgpr_read_b32 v5, a28
	buffer_load_dword v2, v5, s[0:3], 0 offen
	buffer_load_dword v3, v5, s[0:3], 0 offen offset:4
	buffer_load_dword v4, v5, s[0:3], 0 offen offset:8
	s_nop 0
	buffer_load_dword v5, v5, s[0:3], 0 offen offset:12
	v_mov_b32_e32 v6, 0
	buffer_store_dword v6, off, s[0:3], 0 offset:96
	buffer_store_dword v6, off, s[0:3], 0 offset:100
	;; [unrolled: 1-line block ×4, first 2 shown]
	s_waitcnt vmcnt(4)
	ds_write_b128 v150, v[2:5]
.LBB25_157:
	s_or_b64 exec, exec, s[6:7]
	s_waitcnt lgkmcnt(0)
	; wave barrier
	s_waitcnt lgkmcnt(0)
	buffer_load_dword v2, off, s[0:3], 0 offset:112
	buffer_load_dword v3, off, s[0:3], 0 offset:116
	;; [unrolled: 1-line block ×76, first 2 shown]
	v_mov_b32_e32 v106, 0
	ds_read_b128 v[108:111], v106 offset:528
	buffer_load_dword v232, off, s[0:3], 0 offset:96
	buffer_load_dword v233, off, s[0:3], 0 offset:100
	;; [unrolled: 1-line block ×4, first 2 shown]
	ds_read_b128 v[112:115], v106 offset:544
	ds_read_b128 v[116:119], v106 offset:560
	;; [unrolled: 1-line block ×4, first 2 shown]
	v_cmp_lt_u32_e32 vcc, 5, v178
	s_waitcnt vmcnt(62) lgkmcnt(4)
	v_mul_f64 v[124:125], v[108:109], v[8:9]
	v_fmac_f64_e32 v[124:125], v[110:111], v[2:3]
	v_add_f64 v[124:125], v[124:125], 0
	v_mul_f64 v[8:9], v[110:111], v[8:9]
	s_waitcnt lgkmcnt(3)
	v_mul_f64 v[126:127], v[112:113], v[10:11]
	v_fmac_f64_e32 v[126:127], v[114:115], v[4:5]
	v_add_f64 v[124:125], v[124:125], v[126:127]
	v_fma_f64 v[2:3], v[108:109], v[2:3], -v[8:9]
	s_waitcnt lgkmcnt(2)
	v_mul_f64 v[126:127], v[116:117], v[12:13]
	v_fmac_f64_e32 v[126:127], v[118:119], v[6:7]
	v_add_f64 v[128:129], v[124:125], v[126:127]
	ds_read_b128 v[124:127], v106 offset:592
	s_waitcnt lgkmcnt(2)
	v_mul_f64 v[130:131], v[120:121], v[18:19]
	v_mul_f64 v[8:9], v[114:115], v[10:11]
	v_fmac_f64_e32 v[130:131], v[122:123], v[20:21]
	v_add_f64 v[132:133], v[128:129], v[130:131]
	ds_read_b128 v[128:131], v106 offset:608
	s_waitcnt vmcnt(60) lgkmcnt(1)
	v_mul_f64 v[134:135], v[124:125], v[14:15]
	v_fmac_f64_e32 v[134:135], v[126:127], v[16:17]
	v_add_f64 v[136:137], v[132:133], v[134:135]
	ds_read_b128 v[132:135], v106 offset:624
	s_waitcnt vmcnt(56) lgkmcnt(1)
	v_mul_f64 v[138:139], v[128:129], v[78:79]
	s_waitcnt vmcnt(54)
	v_fmac_f64_e32 v[138:139], v[130:131], v[80:81]
	v_add_f64 v[140:141], v[136:137], v[138:139]
	ds_read_b128 v[136:139], v106 offset:640
	s_waitcnt vmcnt(52) lgkmcnt(1)
	v_mul_f64 v[142:143], v[132:133], v[74:75]
	v_fmac_f64_e32 v[142:143], v[134:135], v[76:77]
	v_add_f64 v[144:145], v[140:141], v[142:143]
	ds_read_b128 v[140:143], v106 offset:656
	s_waitcnt vmcnt(48) lgkmcnt(1)
	v_mul_f64 v[146:147], v[136:137], v[86:87]
	s_waitcnt vmcnt(46)
	v_fmac_f64_e32 v[146:147], v[138:139], v[88:89]
	v_add_f64 v[180:181], v[144:145], v[146:147]
	ds_read_b128 v[144:147], v106 offset:672
	v_add_f64 v[2:3], v[2:3], 0
	v_fma_f64 v[4:5], v[112:113], v[4:5], -v[8:9]
	s_waitcnt vmcnt(44) lgkmcnt(1)
	v_mul_f64 v[182:183], v[140:141], v[82:83]
	v_add_f64 v[2:3], v[2:3], v[4:5]
	v_mul_f64 v[4:5], v[118:119], v[12:13]
	v_fmac_f64_e32 v[182:183], v[142:143], v[84:85]
	v_fma_f64 v[4:5], v[116:117], v[6:7], -v[4:5]
	v_add_f64 v[184:185], v[180:181], v[182:183]
	ds_read_b128 v[180:183], v106 offset:688
	s_waitcnt vmcnt(40) lgkmcnt(1)
	v_mul_f64 v[186:187], v[144:145], v[94:95]
	v_add_f64 v[2:3], v[2:3], v[4:5]
	v_mul_f64 v[4:5], v[122:123], v[18:19]
	s_waitcnt vmcnt(38)
	v_fmac_f64_e32 v[186:187], v[146:147], v[96:97]
	v_fma_f64 v[4:5], v[120:121], v[20:21], -v[4:5]
	v_add_f64 v[188:189], v[184:185], v[186:187]
	ds_read_b128 v[184:187], v106 offset:704
	v_add_f64 v[2:3], v[2:3], v[4:5]
	v_mul_f64 v[4:5], v[126:127], v[14:15]
	v_fma_f64 v[4:5], v[124:125], v[16:17], -v[4:5]
	v_add_f64 v[2:3], v[2:3], v[4:5]
	v_mul_f64 v[4:5], v[130:131], v[78:79]
	s_waitcnt vmcnt(36) lgkmcnt(1)
	v_mul_f64 v[190:191], v[180:181], v[90:91]
	v_fma_f64 v[4:5], v[128:129], v[80:81], -v[4:5]
	v_fmac_f64_e32 v[190:191], v[182:183], v[92:93]
	v_add_f64 v[2:3], v[2:3], v[4:5]
	v_mul_f64 v[4:5], v[134:135], v[74:75]
	v_add_f64 v[192:193], v[188:189], v[190:191]
	ds_read_b128 v[188:191], v106 offset:720
	s_waitcnt vmcnt(32) lgkmcnt(1)
	v_mul_f64 v[194:195], v[184:185], v[102:103]
	v_fma_f64 v[4:5], v[132:133], v[76:77], -v[4:5]
	s_waitcnt vmcnt(30)
	v_fmac_f64_e32 v[194:195], v[186:187], v[104:105]
	v_add_f64 v[2:3], v[2:3], v[4:5]
	v_mul_f64 v[4:5], v[138:139], v[86:87]
	v_add_f64 v[196:197], v[192:193], v[194:195]
	ds_read_b128 v[192:195], v106 offset:736
	v_fma_f64 v[4:5], v[136:137], v[88:89], -v[4:5]
	v_add_f64 v[2:3], v[2:3], v[4:5]
	v_mul_f64 v[4:5], v[142:143], v[82:83]
	v_fma_f64 v[4:5], v[140:141], v[84:85], -v[4:5]
	s_waitcnt vmcnt(28) lgkmcnt(1)
	v_mul_f64 v[198:199], v[188:189], v[98:99]
	v_add_f64 v[2:3], v[2:3], v[4:5]
	v_mul_f64 v[4:5], v[146:147], v[94:95]
	v_fmac_f64_e32 v[198:199], v[190:191], v[100:101]
	v_fma_f64 v[4:5], v[144:145], v[96:97], -v[4:5]
	v_add_f64 v[200:201], v[196:197], v[198:199]
	ds_read_b128 v[196:199], v106 offset:752
	s_waitcnt vmcnt(24) lgkmcnt(1)
	v_mul_f64 v[202:203], v[192:193], v[154:155]
	v_add_f64 v[2:3], v[2:3], v[4:5]
	v_mul_f64 v[4:5], v[182:183], v[90:91]
	s_waitcnt vmcnt(22)
	v_fmac_f64_e32 v[202:203], v[194:195], v[156:157]
	v_fma_f64 v[4:5], v[180:181], v[92:93], -v[4:5]
	v_add_f64 v[204:205], v[200:201], v[202:203]
	ds_read_b128 v[200:203], v106 offset:768
	v_add_f64 v[2:3], v[2:3], v[4:5]
	v_mul_f64 v[4:5], v[186:187], v[102:103]
	v_fma_f64 v[4:5], v[184:185], v[104:105], -v[4:5]
	v_add_f64 v[2:3], v[2:3], v[4:5]
	v_mul_f64 v[4:5], v[190:191], v[98:99]
	s_waitcnt vmcnt(20) lgkmcnt(1)
	v_mul_f64 v[206:207], v[196:197], v[148:149]
	v_fma_f64 v[4:5], v[188:189], v[100:101], -v[4:5]
	v_fmac_f64_e32 v[206:207], v[198:199], v[152:153]
	v_add_f64 v[2:3], v[2:3], v[4:5]
	v_mul_f64 v[4:5], v[194:195], v[154:155]
	v_add_f64 v[208:209], v[204:205], v[206:207]
	ds_read_b128 v[204:207], v106 offset:784
	s_waitcnt vmcnt(16) lgkmcnt(1)
	v_mul_f64 v[210:211], v[200:201], v[220:221]
	v_fma_f64 v[4:5], v[192:193], v[156:157], -v[4:5]
	s_waitcnt vmcnt(14)
	v_fmac_f64_e32 v[210:211], v[202:203], v[222:223]
	v_add_f64 v[2:3], v[2:3], v[4:5]
	v_mul_f64 v[4:5], v[198:199], v[148:149]
	v_add_f64 v[236:237], v[208:209], v[210:211]
	ds_read_b128 v[208:211], v106 offset:800
	v_fma_f64 v[4:5], v[196:197], v[152:153], -v[4:5]
	v_add_f64 v[2:3], v[2:3], v[4:5]
	v_mul_f64 v[4:5], v[202:203], v[220:221]
	v_fma_f64 v[4:5], v[200:201], v[222:223], -v[4:5]
	v_add_f64 v[2:3], v[2:3], v[4:5]
	s_waitcnt vmcnt(12) lgkmcnt(1)
	v_mul_f64 v[4:5], v[206:207], v[216:217]
	v_mul_f64 v[238:239], v[204:205], v[216:217]
	v_fma_f64 v[4:5], v[204:205], v[218:219], -v[4:5]
	v_fmac_f64_e32 v[238:239], v[206:207], v[218:219]
	v_add_f64 v[2:3], v[2:3], v[4:5]
	s_waitcnt vmcnt(8) lgkmcnt(0)
	v_mul_f64 v[4:5], v[210:211], v[228:229]
	v_add_f64 v[236:237], v[236:237], v[238:239]
	v_mul_f64 v[238:239], v[208:209], v[228:229]
	s_waitcnt vmcnt(6)
	v_fma_f64 v[4:5], v[208:209], v[230:231], -v[4:5]
	v_fmac_f64_e32 v[238:239], v[210:211], v[230:231]
	v_add_f64 v[2:3], v[2:3], v[4:5]
	s_waitcnt vmcnt(5)
	v_mul_f64 v[4:5], v[214:215], v[224:225]
	v_add_f64 v[236:237], v[236:237], v[238:239]
	v_mul_f64 v[238:239], v[212:213], v[224:225]
	s_waitcnt vmcnt(4)
	v_fma_f64 v[4:5], v[212:213], v[226:227], -v[4:5]
	v_fmac_f64_e32 v[238:239], v[214:215], v[226:227]
	v_add_f64 v[2:3], v[2:3], v[4:5]
	v_add_f64 v[236:237], v[236:237], v[238:239]
	s_waitcnt vmcnt(2)
	v_add_f64 v[2:3], v[232:233], -v[2:3]
	s_waitcnt vmcnt(0)
	v_add_f64 v[4:5], v[234:235], -v[236:237]
	buffer_store_dword v3, off, s[0:3], 0 offset:100
	buffer_store_dword v2, off, s[0:3], 0 offset:96
	;; [unrolled: 1-line block ×4, first 2 shown]
	s_and_saveexec_b64 s[6:7], vcc
	s_cbranch_execz .LBB25_159
; %bb.158:
	v_accvgpr_read_b32 v5, a29
	buffer_load_dword v2, v5, s[0:3], 0 offen
	buffer_load_dword v3, v5, s[0:3], 0 offen offset:4
	buffer_load_dword v4, v5, s[0:3], 0 offen offset:8
	s_nop 0
	buffer_load_dword v5, v5, s[0:3], 0 offen offset:12
	s_nop 0
	buffer_store_dword v106, off, s[0:3], 0 offset:80
	buffer_store_dword v106, off, s[0:3], 0 offset:84
	;; [unrolled: 1-line block ×4, first 2 shown]
	s_waitcnt vmcnt(4)
	ds_write_b128 v150, v[2:5]
.LBB25_159:
	s_or_b64 exec, exec, s[6:7]
	s_waitcnt lgkmcnt(0)
	; wave barrier
	s_waitcnt lgkmcnt(0)
	buffer_load_dword v2, off, s[0:3], 0 offset:96
	buffer_load_dword v3, off, s[0:3], 0 offset:100
	buffer_load_dword v8, off, s[0:3], 0 offset:104
	buffer_load_dword v9, off, s[0:3], 0 offset:108
	buffer_load_dword v4, off, s[0:3], 0 offset:112
	buffer_load_dword v5, off, s[0:3], 0 offset:116
	buffer_load_dword v10, off, s[0:3], 0 offset:120
	buffer_load_dword v11, off, s[0:3], 0 offset:124
	buffer_load_dword v6, off, s[0:3], 0 offset:128
	buffer_load_dword v7, off, s[0:3], 0 offset:132
	buffer_load_dword v12, off, s[0:3], 0 offset:136
	buffer_load_dword v13, off, s[0:3], 0 offset:140
	buffer_load_dword v15, off, s[0:3], 0 offset:172
	buffer_load_dword v14, off, s[0:3], 0 offset:168
	buffer_load_dword v17, off, s[0:3], 0 offset:164
	buffer_load_dword v16, off, s[0:3], 0 offset:160
	buffer_load_dword v19, off, s[0:3], 0 offset:156
	buffer_load_dword v18, off, s[0:3], 0 offset:152
	buffer_load_dword v21, off, s[0:3], 0 offset:148
	buffer_load_dword v20, off, s[0:3], 0 offset:144
	buffer_load_dword v75, off, s[0:3], 0 offset:204
	buffer_load_dword v74, off, s[0:3], 0 offset:200
	buffer_load_dword v77, off, s[0:3], 0 offset:196
	buffer_load_dword v76, off, s[0:3], 0 offset:192
	buffer_load_dword v79, off, s[0:3], 0 offset:188
	buffer_load_dword v78, off, s[0:3], 0 offset:184
	buffer_load_dword v81, off, s[0:3], 0 offset:180
	buffer_load_dword v80, off, s[0:3], 0 offset:176
	buffer_load_dword v83, off, s[0:3], 0 offset:236
	buffer_load_dword v82, off, s[0:3], 0 offset:232
	buffer_load_dword v85, off, s[0:3], 0 offset:228
	buffer_load_dword v84, off, s[0:3], 0 offset:224
	buffer_load_dword v87, off, s[0:3], 0 offset:220
	buffer_load_dword v86, off, s[0:3], 0 offset:216
	buffer_load_dword v89, off, s[0:3], 0 offset:212
	buffer_load_dword v88, off, s[0:3], 0 offset:208
	buffer_load_dword v91, off, s[0:3], 0 offset:268
	buffer_load_dword v90, off, s[0:3], 0 offset:264
	buffer_load_dword v93, off, s[0:3], 0 offset:260
	buffer_load_dword v92, off, s[0:3], 0 offset:256
	buffer_load_dword v95, off, s[0:3], 0 offset:252
	buffer_load_dword v94, off, s[0:3], 0 offset:248
	buffer_load_dword v97, off, s[0:3], 0 offset:244
	buffer_load_dword v96, off, s[0:3], 0 offset:240
	buffer_load_dword v99, off, s[0:3], 0 offset:300
	buffer_load_dword v98, off, s[0:3], 0 offset:296
	buffer_load_dword v101, off, s[0:3], 0 offset:292
	buffer_load_dword v100, off, s[0:3], 0 offset:288
	buffer_load_dword v103, off, s[0:3], 0 offset:284
	buffer_load_dword v102, off, s[0:3], 0 offset:280
	buffer_load_dword v105, off, s[0:3], 0 offset:276
	buffer_load_dword v104, off, s[0:3], 0 offset:272
	buffer_load_dword v149, off, s[0:3], 0 offset:332
	buffer_load_dword v148, off, s[0:3], 0 offset:328
	buffer_load_dword v153, off, s[0:3], 0 offset:324
	buffer_load_dword v152, off, s[0:3], 0 offset:320
	buffer_load_dword v155, off, s[0:3], 0 offset:316
	buffer_load_dword v154, off, s[0:3], 0 offset:312
	buffer_load_dword v157, off, s[0:3], 0 offset:308
	buffer_load_dword v156, off, s[0:3], 0 offset:304
	buffer_load_dword v221, off, s[0:3], 0 offset:364
	buffer_load_dword v220, off, s[0:3], 0 offset:360
	buffer_load_dword v223, off, s[0:3], 0 offset:356
	buffer_load_dword v222, off, s[0:3], 0 offset:352
	buffer_load_dword v225, off, s[0:3], 0 offset:348
	buffer_load_dword v224, off, s[0:3], 0 offset:344
	buffer_load_dword v227, off, s[0:3], 0 offset:340
	buffer_load_dword v226, off, s[0:3], 0 offset:336
	buffer_load_dword v229, off, s[0:3], 0 offset:396
	buffer_load_dword v228, off, s[0:3], 0 offset:392
	buffer_load_dword v231, off, s[0:3], 0 offset:388
	buffer_load_dword v230, off, s[0:3], 0 offset:384
	buffer_load_dword v233, off, s[0:3], 0 offset:380
	buffer_load_dword v232, off, s[0:3], 0 offset:376
	buffer_load_dword v235, off, s[0:3], 0 offset:372
	buffer_load_dword v234, off, s[0:3], 0 offset:368
	ds_read_b128 v[108:111], v106 offset:512
	buffer_load_dword v237, off, s[0:3], 0 offset:412
	buffer_load_dword v236, off, s[0:3], 0 offset:408
	;; [unrolled: 1-line block ×8, first 2 shown]
	ds_read_b128 v[112:115], v106 offset:528
	ds_read_b128 v[116:119], v106 offset:544
	;; [unrolled: 1-line block ×3, first 2 shown]
	v_cmp_lt_u32_e32 vcc, 4, v178
	ds_read_b128 v[216:219], v106 offset:816
	s_waitcnt vmcnt(62) lgkmcnt(4)
	v_mul_f64 v[124:125], v[108:109], v[8:9]
	v_fmac_f64_e32 v[124:125], v[110:111], v[2:3]
	v_add_f64 v[124:125], v[124:125], 0
	v_mul_f64 v[8:9], v[110:111], v[8:9]
	s_waitcnt lgkmcnt(3)
	v_mul_f64 v[126:127], v[112:113], v[10:11]
	v_fmac_f64_e32 v[126:127], v[114:115], v[4:5]
	v_add_f64 v[124:125], v[124:125], v[126:127]
	v_fma_f64 v[2:3], v[108:109], v[2:3], -v[8:9]
	s_waitcnt lgkmcnt(2)
	v_mul_f64 v[126:127], v[116:117], v[12:13]
	v_fmac_f64_e32 v[126:127], v[118:119], v[6:7]
	v_add_f64 v[128:129], v[124:125], v[126:127]
	ds_read_b128 v[124:127], v106 offset:576
	v_mul_f64 v[8:9], v[114:115], v[10:11]
	v_add_f64 v[2:3], v[2:3], 0
	s_waitcnt lgkmcnt(2)
	v_mul_f64 v[130:131], v[120:121], v[18:19]
	v_fma_f64 v[4:5], v[112:113], v[4:5], -v[8:9]
	v_fmac_f64_e32 v[130:131], v[122:123], v[20:21]
	v_add_f64 v[132:133], v[128:129], v[130:131]
	ds_read_b128 v[128:131], v106 offset:592
	s_waitcnt lgkmcnt(1)
	v_mul_f64 v[134:135], v[124:125], v[14:15]
	v_fmac_f64_e32 v[134:135], v[126:127], v[16:17]
	v_add_f64 v[136:137], v[132:133], v[134:135]
	ds_read_b128 v[132:135], v106 offset:608
	s_waitcnt vmcnt(58) lgkmcnt(1)
	v_mul_f64 v[138:139], v[128:129], v[78:79]
	s_waitcnt vmcnt(56)
	v_fmac_f64_e32 v[138:139], v[130:131], v[80:81]
	v_add_f64 v[140:141], v[136:137], v[138:139]
	ds_read_b128 v[136:139], v106 offset:624
	s_waitcnt lgkmcnt(1)
	v_mul_f64 v[142:143], v[132:133], v[74:75]
	v_fmac_f64_e32 v[142:143], v[134:135], v[76:77]
	v_add_f64 v[144:145], v[140:141], v[142:143]
	ds_read_b128 v[140:143], v106 offset:640
	s_waitcnt vmcnt(50) lgkmcnt(1)
	v_mul_f64 v[146:147], v[136:137], v[86:87]
	s_waitcnt vmcnt(48)
	v_fmac_f64_e32 v[146:147], v[138:139], v[88:89]
	v_add_f64 v[180:181], v[144:145], v[146:147]
	ds_read_b128 v[144:147], v106 offset:656
	s_waitcnt lgkmcnt(1)
	v_mul_f64 v[182:183], v[140:141], v[82:83]
	v_fmac_f64_e32 v[182:183], v[142:143], v[84:85]
	v_add_f64 v[184:185], v[180:181], v[182:183]
	ds_read_b128 v[180:183], v106 offset:672
	v_add_f64 v[2:3], v[2:3], v[4:5]
	v_mul_f64 v[4:5], v[118:119], v[12:13]
	v_fma_f64 v[4:5], v[116:117], v[6:7], -v[4:5]
	s_waitcnt vmcnt(42) lgkmcnt(1)
	v_mul_f64 v[186:187], v[144:145], v[94:95]
	v_add_f64 v[2:3], v[2:3], v[4:5]
	v_mul_f64 v[4:5], v[122:123], v[18:19]
	s_waitcnt vmcnt(40)
	v_fmac_f64_e32 v[186:187], v[146:147], v[96:97]
	v_fma_f64 v[4:5], v[120:121], v[20:21], -v[4:5]
	v_add_f64 v[188:189], v[184:185], v[186:187]
	ds_read_b128 v[184:187], v106 offset:688
	s_waitcnt lgkmcnt(1)
	v_mul_f64 v[190:191], v[180:181], v[90:91]
	v_add_f64 v[2:3], v[2:3], v[4:5]
	v_mul_f64 v[4:5], v[126:127], v[14:15]
	v_fmac_f64_e32 v[190:191], v[182:183], v[92:93]
	v_fma_f64 v[4:5], v[124:125], v[16:17], -v[4:5]
	v_add_f64 v[192:193], v[188:189], v[190:191]
	ds_read_b128 v[188:191], v106 offset:704
	v_add_f64 v[2:3], v[2:3], v[4:5]
	v_mul_f64 v[4:5], v[130:131], v[78:79]
	v_fma_f64 v[4:5], v[128:129], v[80:81], -v[4:5]
	v_add_f64 v[2:3], v[2:3], v[4:5]
	v_mul_f64 v[4:5], v[134:135], v[74:75]
	s_waitcnt vmcnt(34) lgkmcnt(1)
	v_mul_f64 v[194:195], v[184:185], v[102:103]
	v_fma_f64 v[4:5], v[132:133], v[76:77], -v[4:5]
	s_waitcnt vmcnt(32)
	v_fmac_f64_e32 v[194:195], v[186:187], v[104:105]
	v_add_f64 v[2:3], v[2:3], v[4:5]
	v_mul_f64 v[4:5], v[138:139], v[86:87]
	v_add_f64 v[196:197], v[192:193], v[194:195]
	ds_read_b128 v[192:195], v106 offset:720
	s_waitcnt lgkmcnt(1)
	v_mul_f64 v[198:199], v[188:189], v[98:99]
	v_fma_f64 v[4:5], v[136:137], v[88:89], -v[4:5]
	v_fmac_f64_e32 v[198:199], v[190:191], v[100:101]
	v_add_f64 v[2:3], v[2:3], v[4:5]
	v_mul_f64 v[4:5], v[142:143], v[82:83]
	v_add_f64 v[200:201], v[196:197], v[198:199]
	ds_read_b128 v[196:199], v106 offset:736
	v_fma_f64 v[4:5], v[140:141], v[84:85], -v[4:5]
	v_add_f64 v[2:3], v[2:3], v[4:5]
	v_mul_f64 v[4:5], v[146:147], v[94:95]
	v_fma_f64 v[4:5], v[144:145], v[96:97], -v[4:5]
	s_waitcnt vmcnt(26) lgkmcnt(1)
	v_mul_f64 v[202:203], v[192:193], v[154:155]
	v_add_f64 v[2:3], v[2:3], v[4:5]
	v_mul_f64 v[4:5], v[182:183], v[90:91]
	s_waitcnt vmcnt(24)
	v_fmac_f64_e32 v[202:203], v[194:195], v[156:157]
	v_fma_f64 v[4:5], v[180:181], v[92:93], -v[4:5]
	v_add_f64 v[204:205], v[200:201], v[202:203]
	ds_read_b128 v[200:203], v106 offset:752
	s_waitcnt lgkmcnt(1)
	v_mul_f64 v[206:207], v[196:197], v[148:149]
	v_add_f64 v[2:3], v[2:3], v[4:5]
	v_mul_f64 v[4:5], v[186:187], v[102:103]
	v_fmac_f64_e32 v[206:207], v[198:199], v[152:153]
	v_fma_f64 v[4:5], v[184:185], v[104:105], -v[4:5]
	v_add_f64 v[208:209], v[204:205], v[206:207]
	ds_read_b128 v[204:207], v106 offset:768
	v_add_f64 v[2:3], v[2:3], v[4:5]
	v_mul_f64 v[4:5], v[190:191], v[98:99]
	v_fma_f64 v[4:5], v[188:189], v[100:101], -v[4:5]
	v_add_f64 v[2:3], v[2:3], v[4:5]
	v_mul_f64 v[4:5], v[194:195], v[154:155]
	s_waitcnt vmcnt(18) lgkmcnt(1)
	v_mul_f64 v[210:211], v[200:201], v[224:225]
	v_fma_f64 v[4:5], v[192:193], v[156:157], -v[4:5]
	s_waitcnt vmcnt(16)
	v_fmac_f64_e32 v[210:211], v[202:203], v[226:227]
	v_add_f64 v[2:3], v[2:3], v[4:5]
	v_mul_f64 v[4:5], v[198:199], v[148:149]
	v_add_f64 v[212:213], v[208:209], v[210:211]
	ds_read_b128 v[208:211], v106 offset:784
	s_waitcnt lgkmcnt(1)
	v_mul_f64 v[214:215], v[204:205], v[220:221]
	v_fma_f64 v[4:5], v[196:197], v[152:153], -v[4:5]
	v_fmac_f64_e32 v[214:215], v[206:207], v[222:223]
	v_add_f64 v[2:3], v[2:3], v[4:5]
	v_mul_f64 v[4:5], v[202:203], v[224:225]
	v_add_f64 v[244:245], v[212:213], v[214:215]
	ds_read_b128 v[212:215], v106 offset:800
	v_fma_f64 v[4:5], v[200:201], v[226:227], -v[4:5]
	v_add_f64 v[2:3], v[2:3], v[4:5]
	v_mul_f64 v[4:5], v[206:207], v[220:221]
	v_fma_f64 v[4:5], v[204:205], v[222:223], -v[4:5]
	v_add_f64 v[2:3], v[2:3], v[4:5]
	s_waitcnt vmcnt(10) lgkmcnt(1)
	v_mul_f64 v[4:5], v[210:211], v[232:233]
	v_mul_f64 v[246:247], v[208:209], v[232:233]
	s_waitcnt vmcnt(8)
	v_fma_f64 v[4:5], v[208:209], v[234:235], -v[4:5]
	v_fmac_f64_e32 v[246:247], v[210:211], v[234:235]
	v_add_f64 v[2:3], v[2:3], v[4:5]
	s_waitcnt lgkmcnt(0)
	v_mul_f64 v[4:5], v[214:215], v[228:229]
	v_add_f64 v[106:107], v[244:245], v[246:247]
	v_mul_f64 v[244:245], v[212:213], v[228:229]
	v_fma_f64 v[4:5], v[212:213], v[230:231], -v[4:5]
	v_fmac_f64_e32 v[244:245], v[214:215], v[230:231]
	v_add_f64 v[2:3], v[2:3], v[4:5]
	s_waitcnt vmcnt(6)
	v_mul_f64 v[4:5], v[218:219], v[236:237]
	v_add_f64 v[106:107], v[106:107], v[244:245]
	v_mul_f64 v[244:245], v[216:217], v[236:237]
	s_waitcnt vmcnt(4)
	v_fma_f64 v[4:5], v[216:217], v[238:239], -v[4:5]
	v_fmac_f64_e32 v[244:245], v[218:219], v[238:239]
	v_add_f64 v[2:3], v[2:3], v[4:5]
	v_add_f64 v[106:107], v[106:107], v[244:245]
	s_waitcnt vmcnt(2)
	v_add_f64 v[2:3], v[240:241], -v[2:3]
	s_waitcnt vmcnt(0)
	v_add_f64 v[4:5], v[242:243], -v[106:107]
	buffer_store_dword v3, off, s[0:3], 0 offset:84
	buffer_store_dword v2, off, s[0:3], 0 offset:80
	;; [unrolled: 1-line block ×4, first 2 shown]
	s_and_saveexec_b64 s[6:7], vcc
	s_cbranch_execz .LBB25_161
; %bb.160:
	v_accvgpr_read_b32 v5, a27
	buffer_load_dword v2, v5, s[0:3], 0 offen
	buffer_load_dword v3, v5, s[0:3], 0 offen offset:4
	buffer_load_dword v4, v5, s[0:3], 0 offen offset:8
	s_nop 0
	buffer_load_dword v5, v5, s[0:3], 0 offen offset:12
	v_mov_b32_e32 v6, 0
	buffer_store_dword v6, off, s[0:3], 0 offset:64
	buffer_store_dword v6, off, s[0:3], 0 offset:68
	;; [unrolled: 1-line block ×4, first 2 shown]
	s_waitcnt vmcnt(4)
	ds_write_b128 v150, v[2:5]
.LBB25_161:
	s_or_b64 exec, exec, s[6:7]
	s_waitcnt lgkmcnt(0)
	; wave barrier
	s_waitcnt lgkmcnt(0)
	buffer_load_dword v4, off, s[0:3], 0 offset:64
	buffer_load_dword v5, off, s[0:3], 0 offset:68
	;; [unrolled: 1-line block ×84, first 2 shown]
	v_mov_b32_e32 v138, 0
	ds_read_b128 v[118:121], v138 offset:496
	buffer_load_dword v249, off, s[0:3], 0 offset:412
	buffer_load_dword v248, off, s[0:3], 0 offset:408
	;; [unrolled: 1-line block ×4, first 2 shown]
	ds_read_b128 v[122:125], v138 offset:512
	ds_read_b128 v[126:129], v138 offset:528
	;; [unrolled: 1-line block ×4, first 2 shown]
	v_cmp_lt_u32_e32 vcc, 3, v178
	s_waitcnt vmcnt(62) lgkmcnt(4)
	v_mul_f64 v[134:135], v[118:119], v[12:13]
	v_fmac_f64_e32 v[134:135], v[120:121], v[6:7]
	s_waitcnt lgkmcnt(3)
	v_mul_f64 v[136:137], v[122:123], v[14:15]
	v_add_f64 v[134:135], v[134:135], 0
	v_fmac_f64_e32 v[136:137], v[124:125], v[8:9]
	v_add_f64 v[134:135], v[134:135], v[136:137]
	s_waitcnt lgkmcnt(2)
	v_mul_f64 v[136:137], v[126:127], v[16:17]
	v_fmac_f64_e32 v[136:137], v[128:129], v[10:11]
	v_add_f64 v[140:141], v[134:135], v[136:137]
	ds_read_b128 v[134:137], v138 offset:560
	v_mul_f64 v[12:13], v[120:121], v[12:13]
	s_waitcnt lgkmcnt(2)
	v_mul_f64 v[142:143], v[130:131], v[74:75]
	v_fma_f64 v[6:7], v[118:119], v[6:7], -v[12:13]
	v_fmac_f64_e32 v[142:143], v[132:133], v[76:77]
	v_add_f64 v[144:145], v[140:141], v[142:143]
	ds_read_b128 v[140:143], v138 offset:576
	s_waitcnt lgkmcnt(1)
	v_mul_f64 v[146:147], v[134:135], v[18:19]
	v_fmac_f64_e32 v[146:147], v[136:137], v[20:21]
	v_add_f64 v[180:181], v[144:145], v[146:147]
	ds_read_b128 v[144:147], v138 offset:592
	s_waitcnt vmcnt(58) lgkmcnt(1)
	v_mul_f64 v[182:183], v[140:141], v[82:83]
	s_waitcnt vmcnt(56)
	v_fmac_f64_e32 v[182:183], v[142:143], v[84:85]
	v_add_f64 v[184:185], v[180:181], v[182:183]
	ds_read_b128 v[180:183], v138 offset:608
	s_waitcnt lgkmcnt(1)
	v_mul_f64 v[186:187], v[144:145], v[78:79]
	v_fmac_f64_e32 v[186:187], v[146:147], v[80:81]
	v_add_f64 v[188:189], v[184:185], v[186:187]
	ds_read_b128 v[184:187], v138 offset:624
	s_waitcnt vmcnt(50) lgkmcnt(1)
	v_mul_f64 v[190:191], v[180:181], v[90:91]
	s_waitcnt vmcnt(48)
	v_fmac_f64_e32 v[190:191], v[182:183], v[92:93]
	v_add_f64 v[192:193], v[188:189], v[190:191]
	ds_read_b128 v[188:191], v138 offset:640
	s_waitcnt lgkmcnt(1)
	v_mul_f64 v[194:195], v[184:185], v[86:87]
	v_fmac_f64_e32 v[194:195], v[186:187], v[88:89]
	v_mul_f64 v[12:13], v[124:125], v[14:15]
	v_add_f64 v[196:197], v[192:193], v[194:195]
	ds_read_b128 v[192:195], v138 offset:656
	s_waitcnt vmcnt(42) lgkmcnt(1)
	v_mul_f64 v[198:199], v[188:189], v[98:99]
	v_add_f64 v[6:7], v[6:7], 0
	v_fma_f64 v[8:9], v[122:123], v[8:9], -v[12:13]
	s_waitcnt vmcnt(40)
	v_fmac_f64_e32 v[198:199], v[190:191], v[100:101]
	v_add_f64 v[6:7], v[6:7], v[8:9]
	v_mul_f64 v[8:9], v[128:129], v[16:17]
	v_add_f64 v[200:201], v[196:197], v[198:199]
	ds_read_b128 v[196:199], v138 offset:672
	v_fma_f64 v[8:9], v[126:127], v[10:11], -v[8:9]
	v_add_f64 v[6:7], v[6:7], v[8:9]
	v_mul_f64 v[8:9], v[132:133], v[74:75]
	v_fma_f64 v[8:9], v[130:131], v[76:77], -v[8:9]
	s_waitcnt lgkmcnt(1)
	v_mul_f64 v[202:203], v[192:193], v[94:95]
	v_add_f64 v[6:7], v[6:7], v[8:9]
	v_mul_f64 v[8:9], v[136:137], v[18:19]
	v_fmac_f64_e32 v[202:203], v[194:195], v[96:97]
	v_fma_f64 v[8:9], v[134:135], v[20:21], -v[8:9]
	v_add_f64 v[204:205], v[200:201], v[202:203]
	ds_read_b128 v[200:203], v138 offset:688
	s_waitcnt vmcnt(34) lgkmcnt(1)
	v_mul_f64 v[206:207], v[196:197], v[106:107]
	v_add_f64 v[6:7], v[6:7], v[8:9]
	v_mul_f64 v[8:9], v[142:143], v[82:83]
	s_waitcnt vmcnt(32)
	v_fmac_f64_e32 v[206:207], v[198:199], v[108:109]
	v_fma_f64 v[8:9], v[140:141], v[84:85], -v[8:9]
	v_add_f64 v[208:209], v[204:205], v[206:207]
	ds_read_b128 v[204:207], v138 offset:704
	v_add_f64 v[6:7], v[6:7], v[8:9]
	v_mul_f64 v[8:9], v[146:147], v[78:79]
	v_fma_f64 v[8:9], v[144:145], v[80:81], -v[8:9]
	v_add_f64 v[6:7], v[6:7], v[8:9]
	v_mul_f64 v[8:9], v[182:183], v[90:91]
	s_waitcnt lgkmcnt(1)
	v_mul_f64 v[210:211], v[200:201], v[102:103]
	v_fma_f64 v[8:9], v[180:181], v[92:93], -v[8:9]
	v_fmac_f64_e32 v[210:211], v[202:203], v[104:105]
	v_add_f64 v[6:7], v[6:7], v[8:9]
	v_mul_f64 v[8:9], v[186:187], v[86:87]
	v_add_f64 v[212:213], v[208:209], v[210:211]
	ds_read_b128 v[208:211], v138 offset:720
	s_waitcnt vmcnt(26) lgkmcnt(1)
	v_mul_f64 v[214:215], v[204:205], v[114:115]
	v_fma_f64 v[8:9], v[184:185], v[88:89], -v[8:9]
	s_waitcnt vmcnt(24)
	v_fmac_f64_e32 v[214:215], v[206:207], v[116:117]
	v_add_f64 v[6:7], v[6:7], v[8:9]
	v_mul_f64 v[8:9], v[190:191], v[98:99]
	v_add_f64 v[216:217], v[212:213], v[214:215]
	ds_read_b128 v[212:215], v138 offset:736
	v_fma_f64 v[8:9], v[188:189], v[100:101], -v[8:9]
	v_add_f64 v[6:7], v[6:7], v[8:9]
	v_mul_f64 v[8:9], v[194:195], v[94:95]
	v_fma_f64 v[8:9], v[192:193], v[96:97], -v[8:9]
	s_waitcnt lgkmcnt(1)
	v_mul_f64 v[218:219], v[208:209], v[110:111]
	v_add_f64 v[6:7], v[6:7], v[8:9]
	v_mul_f64 v[8:9], v[198:199], v[106:107]
	v_fmac_f64_e32 v[218:219], v[210:211], v[112:113]
	v_fma_f64 v[8:9], v[196:197], v[108:109], -v[8:9]
	v_add_f64 v[220:221], v[216:217], v[218:219]
	ds_read_b128 v[216:219], v138 offset:752
	s_waitcnt vmcnt(18) lgkmcnt(1)
	v_mul_f64 v[222:223], v[212:213], v[154:155]
	v_add_f64 v[6:7], v[6:7], v[8:9]
	v_mul_f64 v[8:9], v[202:203], v[102:103]
	s_waitcnt vmcnt(16)
	v_fmac_f64_e32 v[222:223], v[214:215], v[156:157]
	v_fma_f64 v[8:9], v[200:201], v[104:105], -v[8:9]
	v_add_f64 v[224:225], v[220:221], v[222:223]
	ds_read_b128 v[220:223], v138 offset:768
	v_add_f64 v[6:7], v[6:7], v[8:9]
	v_mul_f64 v[8:9], v[206:207], v[114:115]
	v_fma_f64 v[8:9], v[204:205], v[116:117], -v[8:9]
	v_add_f64 v[6:7], v[6:7], v[8:9]
	v_mul_f64 v[8:9], v[210:211], v[110:111]
	s_waitcnt lgkmcnt(1)
	v_mul_f64 v[226:227], v[216:217], v[148:149]
	v_fma_f64 v[8:9], v[208:209], v[112:113], -v[8:9]
	v_fmac_f64_e32 v[226:227], v[218:219], v[152:153]
	v_add_f64 v[6:7], v[6:7], v[8:9]
	v_mul_f64 v[8:9], v[214:215], v[154:155]
	v_add_f64 v[228:229], v[224:225], v[226:227]
	ds_read_b128 v[224:227], v138 offset:784
	s_waitcnt vmcnt(10) lgkmcnt(1)
	v_mul_f64 v[230:231], v[220:221], v[240:241]
	v_fma_f64 v[8:9], v[212:213], v[156:157], -v[8:9]
	s_waitcnt vmcnt(8)
	v_fmac_f64_e32 v[230:231], v[222:223], v[242:243]
	v_add_f64 v[6:7], v[6:7], v[8:9]
	v_mul_f64 v[8:9], v[218:219], v[148:149]
	v_add_f64 v[252:253], v[228:229], v[230:231]
	ds_read_b128 v[228:231], v138 offset:800
	v_fma_f64 v[8:9], v[216:217], v[152:153], -v[8:9]
	v_add_f64 v[6:7], v[6:7], v[8:9]
	v_mul_f64 v[8:9], v[222:223], v[240:241]
	v_fma_f64 v[8:9], v[220:221], v[242:243], -v[8:9]
	v_add_f64 v[6:7], v[6:7], v[8:9]
	s_waitcnt lgkmcnt(1)
	v_mul_f64 v[8:9], v[226:227], v[236:237]
	v_mul_f64 v[254:255], v[224:225], v[236:237]
	v_fma_f64 v[8:9], v[224:225], v[238:239], -v[8:9]
	v_fmac_f64_e32 v[254:255], v[226:227], v[238:239]
	v_add_f64 v[6:7], v[6:7], v[8:9]
	s_waitcnt vmcnt(6) lgkmcnt(0)
	v_mul_f64 v[8:9], v[230:231], v[244:245]
	v_add_f64 v[252:253], v[252:253], v[254:255]
	v_mul_f64 v[254:255], v[228:229], v[244:245]
	s_waitcnt vmcnt(4)
	v_fma_f64 v[8:9], v[228:229], v[246:247], -v[8:9]
	v_fmac_f64_e32 v[254:255], v[230:231], v[246:247]
	v_add_f64 v[6:7], v[6:7], v[8:9]
	s_waitcnt vmcnt(2)
	v_mul_f64 v[8:9], v[234:235], v[248:249]
	v_add_f64 v[252:253], v[252:253], v[254:255]
	v_mul_f64 v[254:255], v[232:233], v[248:249]
	s_waitcnt vmcnt(0)
	v_fma_f64 v[8:9], v[232:233], v[250:251], -v[8:9]
	v_fmac_f64_e32 v[254:255], v[234:235], v[250:251]
	v_add_f64 v[6:7], v[6:7], v[8:9]
	v_add_f64 v[252:253], v[252:253], v[254:255]
	v_add_f64 v[4:5], v[4:5], -v[6:7]
	v_add_f64 v[2:3], v[2:3], -v[252:253]
	buffer_store_dword v5, off, s[0:3], 0 offset:68
	buffer_store_dword v4, off, s[0:3], 0 offset:64
	;; [unrolled: 1-line block ×4, first 2 shown]
	s_and_saveexec_b64 s[6:7], vcc
	s_cbranch_execz .LBB25_163
; %bb.162:
	buffer_load_dword v2, v1, s[0:3], 0 offen
	buffer_load_dword v3, v1, s[0:3], 0 offen offset:4
	buffer_load_dword v4, v1, s[0:3], 0 offen offset:8
	;; [unrolled: 1-line block ×3, first 2 shown]
	s_nop 0
	buffer_store_dword v138, off, s[0:3], 0 offset:48
	buffer_store_dword v138, off, s[0:3], 0 offset:52
	;; [unrolled: 1-line block ×4, first 2 shown]
	s_waitcnt vmcnt(4)
	ds_write_b128 v150, v[2:5]
.LBB25_163:
	s_or_b64 exec, exec, s[6:7]
	s_waitcnt lgkmcnt(0)
	; wave barrier
	s_waitcnt lgkmcnt(0)
	ds_read_b128 v[14:17], v138 offset:480
	ds_read_b128 v[10:13], v138 offset:496
	;; [unrolled: 1-line block ×4, first 2 shown]
	buffer_load_dword v20, off, s[0:3], 0 offset:48
	buffer_load_dword v21, off, s[0:3], 0 offset:52
	;; [unrolled: 1-line block ×92, first 2 shown]
	s_waitcnt vmcnt(62) lgkmcnt(3)
	v_mul_f64 v[140:141], v[14:15], v[80:81]
	v_fmac_f64_e32 v[140:141], v[16:17], v[74:75]
	s_waitcnt lgkmcnt(2)
	v_mul_f64 v[142:143], v[10:11], v[82:83]
	v_add_f64 v[140:141], v[140:141], 0
	v_fmac_f64_e32 v[142:143], v[12:13], v[76:77]
	v_add_f64 v[140:141], v[140:141], v[142:143]
	s_waitcnt lgkmcnt(1)
	v_mul_f64 v[142:143], v[6:7], v[84:85]
	v_fmac_f64_e32 v[142:143], v[8:9], v[78:79]
	v_add_f64 v[144:145], v[140:141], v[142:143]
	ds_read_b128 v[140:143], v138 offset:544
	v_mul_f64 v[16:17], v[16:17], v[80:81]
	v_fma_f64 v[14:15], v[14:15], v[74:75], -v[16:17]
	s_waitcnt lgkmcnt(1)
	v_mul_f64 v[146:147], v[2:3], v[90:91]
	v_mul_f64 v[12:13], v[12:13], v[82:83]
	v_fmac_f64_e32 v[146:147], v[4:5], v[92:93]
	v_add_f64 v[180:181], v[144:145], v[146:147]
	ds_read_b128 v[144:147], v138 offset:560
	s_waitcnt lgkmcnt(1)
	v_mul_f64 v[182:183], v[140:141], v[86:87]
	v_fmac_f64_e32 v[182:183], v[142:143], v[88:89]
	v_add_f64 v[184:185], v[180:181], v[182:183]
	ds_read_b128 v[180:183], v138 offset:576
	s_waitcnt lgkmcnt(1)
	v_mul_f64 v[186:187], v[144:145], v[98:99]
	s_waitcnt vmcnt(60)
	v_fmac_f64_e32 v[186:187], v[146:147], v[100:101]
	v_add_f64 v[188:189], v[184:185], v[186:187]
	ds_read_b128 v[184:187], v138 offset:592
	s_waitcnt lgkmcnt(1)
	v_mul_f64 v[190:191], v[180:181], v[94:95]
	v_fmac_f64_e32 v[190:191], v[182:183], v[96:97]
	v_add_f64 v[192:193], v[188:189], v[190:191]
	ds_read_b128 v[188:191], v138 offset:608
	s_waitcnt vmcnt(54) lgkmcnt(1)
	v_mul_f64 v[194:195], v[184:185], v[106:107]
	s_waitcnt vmcnt(52)
	v_fmac_f64_e32 v[194:195], v[186:187], v[108:109]
	v_add_f64 v[196:197], v[192:193], v[194:195]
	ds_read_b128 v[192:195], v138 offset:624
	s_waitcnt lgkmcnt(1)
	v_mul_f64 v[198:199], v[188:189], v[102:103]
	v_fmac_f64_e32 v[198:199], v[190:191], v[104:105]
	v_add_f64 v[200:201], v[196:197], v[198:199]
	ds_read_b128 v[196:199], v138 offset:640
	s_waitcnt vmcnt(46) lgkmcnt(1)
	v_mul_f64 v[202:203], v[192:193], v[114:115]
	s_waitcnt vmcnt(44)
	v_fmac_f64_e32 v[202:203], v[194:195], v[116:117]
	v_add_f64 v[204:205], v[200:201], v[202:203]
	ds_read_b128 v[200:203], v138 offset:656
	s_waitcnt lgkmcnt(1)
	v_mul_f64 v[206:207], v[196:197], v[110:111]
	v_fmac_f64_e32 v[206:207], v[198:199], v[112:113]
	v_add_f64 v[14:15], v[14:15], 0
	v_fma_f64 v[10:11], v[10:11], v[76:77], -v[12:13]
	v_mul_f64 v[8:9], v[8:9], v[84:85]
	v_add_f64 v[208:209], v[204:205], v[206:207]
	ds_read_b128 v[204:207], v138 offset:672
	v_add_f64 v[10:11], v[14:15], v[10:11]
	v_fma_f64 v[6:7], v[6:7], v[78:79], -v[8:9]
	v_mul_f64 v[4:5], v[4:5], v[90:91]
	v_add_f64 v[6:7], v[10:11], v[6:7]
	v_fma_f64 v[2:3], v[2:3], v[92:93], -v[4:5]
	v_mul_f64 v[4:5], v[142:143], v[86:87]
	v_add_f64 v[2:3], v[6:7], v[2:3]
	v_fma_f64 v[4:5], v[140:141], v[88:89], -v[4:5]
	s_waitcnt vmcnt(38) lgkmcnt(1)
	v_mul_f64 v[210:211], v[200:201], v[122:123]
	v_add_f64 v[2:3], v[2:3], v[4:5]
	v_mul_f64 v[4:5], v[146:147], v[98:99]
	s_waitcnt vmcnt(36)
	v_fmac_f64_e32 v[210:211], v[202:203], v[124:125]
	v_fma_f64 v[4:5], v[144:145], v[100:101], -v[4:5]
	v_add_f64 v[212:213], v[208:209], v[210:211]
	ds_read_b128 v[208:211], v138 offset:688
	s_waitcnt lgkmcnt(1)
	v_mul_f64 v[214:215], v[204:205], v[118:119]
	v_add_f64 v[2:3], v[2:3], v[4:5]
	v_mul_f64 v[4:5], v[182:183], v[94:95]
	v_fmac_f64_e32 v[214:215], v[206:207], v[120:121]
	v_fma_f64 v[4:5], v[180:181], v[96:97], -v[4:5]
	v_add_f64 v[216:217], v[212:213], v[214:215]
	ds_read_b128 v[212:215], v138 offset:704
	v_add_f64 v[2:3], v[2:3], v[4:5]
	v_mul_f64 v[4:5], v[186:187], v[106:107]
	v_fma_f64 v[4:5], v[184:185], v[108:109], -v[4:5]
	v_add_f64 v[2:3], v[2:3], v[4:5]
	v_mul_f64 v[4:5], v[190:191], v[102:103]
	s_waitcnt vmcnt(30) lgkmcnt(1)
	v_mul_f64 v[218:219], v[208:209], v[130:131]
	v_fma_f64 v[4:5], v[188:189], v[104:105], -v[4:5]
	s_waitcnt vmcnt(28)
	v_fmac_f64_e32 v[218:219], v[210:211], v[132:133]
	v_add_f64 v[2:3], v[2:3], v[4:5]
	v_mul_f64 v[4:5], v[194:195], v[114:115]
	v_add_f64 v[220:221], v[216:217], v[218:219]
	ds_read_b128 v[216:219], v138 offset:720
	s_waitcnt lgkmcnt(1)
	v_mul_f64 v[222:223], v[212:213], v[126:127]
	v_fma_f64 v[4:5], v[192:193], v[116:117], -v[4:5]
	v_fmac_f64_e32 v[222:223], v[214:215], v[128:129]
	v_add_f64 v[2:3], v[2:3], v[4:5]
	v_mul_f64 v[4:5], v[198:199], v[110:111]
	v_add_f64 v[224:225], v[220:221], v[222:223]
	ds_read_b128 v[220:223], v138 offset:736
	v_fma_f64 v[4:5], v[196:197], v[112:113], -v[4:5]
	v_add_f64 v[2:3], v[2:3], v[4:5]
	v_mul_f64 v[4:5], v[202:203], v[122:123]
	v_fma_f64 v[4:5], v[200:201], v[124:125], -v[4:5]
	s_waitcnt vmcnt(22) lgkmcnt(1)
	v_mul_f64 v[226:227], v[216:217], v[148:149]
	v_add_f64 v[2:3], v[2:3], v[4:5]
	v_mul_f64 v[4:5], v[206:207], v[118:119]
	s_waitcnt vmcnt(20)
	v_fmac_f64_e32 v[226:227], v[218:219], v[152:153]
	v_fma_f64 v[4:5], v[204:205], v[120:121], -v[4:5]
	v_add_f64 v[228:229], v[224:225], v[226:227]
	ds_read_b128 v[224:227], v138 offset:752
	s_waitcnt lgkmcnt(1)
	v_mul_f64 v[230:231], v[220:221], v[134:135]
	v_add_f64 v[2:3], v[2:3], v[4:5]
	v_mul_f64 v[4:5], v[210:211], v[130:131]
	v_fmac_f64_e32 v[230:231], v[222:223], v[136:137]
	v_fma_f64 v[4:5], v[208:209], v[132:133], -v[4:5]
	v_add_f64 v[232:233], v[228:229], v[230:231]
	ds_read_b128 v[228:231], v138 offset:768
	v_add_f64 v[2:3], v[2:3], v[4:5]
	v_mul_f64 v[4:5], v[214:215], v[126:127]
	v_fma_f64 v[4:5], v[212:213], v[128:129], -v[4:5]
	v_add_f64 v[2:3], v[2:3], v[4:5]
	v_mul_f64 v[4:5], v[218:219], v[148:149]
	s_waitcnt vmcnt(14) lgkmcnt(1)
	v_mul_f64 v[234:235], v[224:225], v[244:245]
	v_fma_f64 v[4:5], v[216:217], v[152:153], -v[4:5]
	s_waitcnt vmcnt(12)
	v_fmac_f64_e32 v[234:235], v[226:227], v[246:247]
	v_add_f64 v[2:3], v[2:3], v[4:5]
	v_mul_f64 v[4:5], v[222:223], v[134:135]
	v_add_f64 v[236:237], v[232:233], v[234:235]
	ds_read_b128 v[232:235], v138 offset:784
	s_waitcnt lgkmcnt(1)
	v_mul_f64 v[238:239], v[228:229], v[154:155]
	v_fma_f64 v[4:5], v[220:221], v[136:137], -v[4:5]
	v_fmac_f64_e32 v[238:239], v[230:231], v[156:157]
	v_add_f64 v[2:3], v[2:3], v[4:5]
	v_mul_f64 v[4:5], v[226:227], v[244:245]
	v_add_f64 v[162:163], v[236:237], v[238:239]
	ds_read_b128 v[236:239], v138 offset:800
	ds_read_b128 v[240:243], v138 offset:816
	v_fma_f64 v[4:5], v[224:225], v[246:247], -v[4:5]
	v_add_f64 v[2:3], v[2:3], v[4:5]
	v_mul_f64 v[4:5], v[230:231], v[154:155]
	v_fma_f64 v[4:5], v[228:229], v[156:157], -v[4:5]
	v_add_f64 v[2:3], v[2:3], v[4:5]
	s_waitcnt vmcnt(6) lgkmcnt(2)
	v_mul_f64 v[4:5], v[234:235], v[252:253]
	v_mul_f64 v[164:165], v[232:233], v[252:253]
	s_waitcnt vmcnt(4)
	v_fma_f64 v[4:5], v[232:233], v[254:255], -v[4:5]
	v_fmac_f64_e32 v[164:165], v[234:235], v[254:255]
	v_add_f64 v[2:3], v[2:3], v[4:5]
	s_waitcnt lgkmcnt(1)
	v_mul_f64 v[4:5], v[238:239], v[248:249]
	v_add_f64 v[138:139], v[162:163], v[164:165]
	v_mul_f64 v[162:163], v[236:237], v[248:249]
	v_fma_f64 v[4:5], v[236:237], v[250:251], -v[4:5]
	v_fmac_f64_e32 v[162:163], v[238:239], v[250:251]
	v_add_f64 v[2:3], v[2:3], v[4:5]
	s_waitcnt vmcnt(2) lgkmcnt(0)
	v_mul_f64 v[4:5], v[242:243], v[158:159]
	v_add_f64 v[138:139], v[138:139], v[162:163]
	v_mul_f64 v[162:163], v[240:241], v[158:159]
	s_waitcnt vmcnt(0)
	v_fma_f64 v[4:5], v[240:241], v[160:161], -v[4:5]
	v_fmac_f64_e32 v[162:163], v[242:243], v[160:161]
	v_add_f64 v[2:3], v[2:3], v[4:5]
	v_add_f64 v[138:139], v[138:139], v[162:163]
	v_add_f64 v[2:3], v[20:21], -v[2:3]
	v_cmp_lt_u32_e32 vcc, 2, v178
	v_add_f64 v[4:5], v[18:19], -v[138:139]
	buffer_store_dword v3, off, s[0:3], 0 offset:52
	buffer_store_dword v2, off, s[0:3], 0 offset:48
	;; [unrolled: 1-line block ×4, first 2 shown]
	s_and_saveexec_b64 s[6:7], vcc
	s_cbranch_execz .LBB25_165
; %bb.164:
	v_accvgpr_read_b32 v5, a31
	buffer_load_dword v2, v5, s[0:3], 0 offen
	buffer_load_dword v3, v5, s[0:3], 0 offen offset:4
	buffer_load_dword v4, v5, s[0:3], 0 offen offset:8
	s_nop 0
	buffer_load_dword v5, v5, s[0:3], 0 offen offset:12
	v_mov_b32_e32 v6, 0
	buffer_store_dword v6, off, s[0:3], 0 offset:32
	buffer_store_dword v6, off, s[0:3], 0 offset:36
	;; [unrolled: 1-line block ×4, first 2 shown]
	s_waitcnt vmcnt(4)
	ds_write_b128 v150, v[2:5]
.LBB25_165:
	s_or_b64 exec, exec, s[6:7]
	s_waitcnt lgkmcnt(0)
	; wave barrier
	s_waitcnt lgkmcnt(0)
	buffer_load_dword v9, off, s[0:3], 0 offset:60
	buffer_load_dword v6, off, s[0:3], 0 offset:72
	;; [unrolled: 1-line block ×64, first 2 shown]
	v_mov_b32_e32 v151, 0
	ds_read_b128 v[126:129], v151 offset:464
	ds_read_b128 v[130:133], v151 offset:480
	buffer_load_dword v119, off, s[0:3], 0 offset:316
	buffer_load_dword v118, off, s[0:3], 0 offset:312
	;; [unrolled: 1-line block ×8, first 2 shown]
	ds_read_b128 v[134:137], v151 offset:496
	ds_read_b128 v[138:141], v151 offset:512
	buffer_load_dword v153, off, s[0:3], 0 offset:348
	buffer_load_dword v152, off, s[0:3], 0 offset:344
	;; [unrolled: 1-line block ×24, first 2 shown]
	ds_read_b128 v[244:247], v151 offset:816
	v_cmp_lt_u32_e32 vcc, 1, v178
	s_waitcnt vmcnt(62) lgkmcnt(1)
	v_mul_f64 v[148:149], v[138:139], v[74:75]
	v_fmac_f64_e32 v[148:149], v[140:141], v[76:77]
	v_mul_f64 v[144:145], v[130:131], v[6:7]
	v_mul_f64 v[142:143], v[126:127], v[8:9]
	;; [unrolled: 1-line block ×3, first 2 shown]
	v_fmac_f64_e32 v[142:143], v[128:129], v[10:11]
	v_add_f64 v[142:143], v[142:143], 0
	v_fma_f64 v[8:9], v[126:127], v[10:11], -v[8:9]
	v_mul_f64 v[6:7], v[132:133], v[6:7]
	v_add_f64 v[8:9], v[8:9], 0
	v_fmac_f64_e32 v[144:145], v[132:133], v[14:15]
	v_add_f64 v[142:143], v[142:143], v[144:145]
	v_mul_f64 v[144:145], v[134:135], v[16:17]
	v_fmac_f64_e32 v[144:145], v[136:137], v[12:13]
	v_add_f64 v[146:147], v[142:143], v[144:145]
	ds_read_b128 v[142:145], v151 offset:528
	v_add_f64 v[180:181], v[146:147], v[148:149]
	ds_read_b128 v[146:149], v151 offset:544
	v_fma_f64 v[6:7], v[130:131], v[14:15], -v[6:7]
	v_add_f64 v[6:7], v[8:9], v[6:7]
	s_waitcnt lgkmcnt(1)
	v_mul_f64 v[182:183], v[142:143], v[18:19]
	v_fmac_f64_e32 v[182:183], v[144:145], v[20:21]
	v_add_f64 v[184:185], v[180:181], v[182:183]
	ds_read_b128 v[180:183], v151 offset:560
	s_waitcnt lgkmcnt(1)
	v_mul_f64 v[186:187], v[146:147], v[82:83]
	v_fmac_f64_e32 v[186:187], v[148:149], v[84:85]
	v_add_f64 v[188:189], v[184:185], v[186:187]
	ds_read_b128 v[184:187], v151 offset:576
	s_waitcnt lgkmcnt(1)
	v_mul_f64 v[190:191], v[180:181], v[78:79]
	v_fmac_f64_e32 v[190:191], v[182:183], v[80:81]
	v_add_f64 v[192:193], v[188:189], v[190:191]
	ds_read_b128 v[188:191], v151 offset:592
	s_waitcnt vmcnt(58) lgkmcnt(1)
	v_mul_f64 v[194:195], v[184:185], v[90:91]
	s_waitcnt vmcnt(56)
	v_fmac_f64_e32 v[194:195], v[186:187], v[92:93]
	v_add_f64 v[196:197], v[192:193], v[194:195]
	ds_read_b128 v[192:195], v151 offset:608
	s_waitcnt lgkmcnt(1)
	v_mul_f64 v[198:199], v[188:189], v[86:87]
	v_fmac_f64_e32 v[198:199], v[190:191], v[88:89]
	v_add_f64 v[200:201], v[196:197], v[198:199]
	ds_read_b128 v[196:199], v151 offset:624
	s_waitcnt vmcnt(50) lgkmcnt(1)
	v_mul_f64 v[202:203], v[192:193], v[98:99]
	s_waitcnt vmcnt(48)
	v_fmac_f64_e32 v[202:203], v[194:195], v[100:101]
	v_add_f64 v[204:205], v[200:201], v[202:203]
	ds_read_b128 v[200:203], v151 offset:640
	v_mul_f64 v[8:9], v[136:137], v[16:17]
	s_waitcnt lgkmcnt(1)
	v_mul_f64 v[206:207], v[196:197], v[94:95]
	v_fma_f64 v[8:9], v[134:135], v[12:13], -v[8:9]
	v_fmac_f64_e32 v[206:207], v[198:199], v[96:97]
	v_add_f64 v[6:7], v[6:7], v[8:9]
	v_mul_f64 v[8:9], v[140:141], v[74:75]
	v_add_f64 v[208:209], v[204:205], v[206:207]
	ds_read_b128 v[204:207], v151 offset:656
	s_waitcnt vmcnt(42) lgkmcnt(1)
	v_mul_f64 v[210:211], v[200:201], v[106:107]
	v_fma_f64 v[8:9], v[138:139], v[76:77], -v[8:9]
	s_waitcnt vmcnt(40)
	v_fmac_f64_e32 v[210:211], v[202:203], v[108:109]
	v_add_f64 v[6:7], v[6:7], v[8:9]
	v_mul_f64 v[8:9], v[144:145], v[18:19]
	v_add_f64 v[212:213], v[208:209], v[210:211]
	ds_read_b128 v[208:211], v151 offset:672
	v_fma_f64 v[8:9], v[142:143], v[20:21], -v[8:9]
	v_add_f64 v[6:7], v[6:7], v[8:9]
	v_mul_f64 v[8:9], v[148:149], v[82:83]
	v_fma_f64 v[8:9], v[146:147], v[84:85], -v[8:9]
	s_waitcnt lgkmcnt(1)
	v_mul_f64 v[214:215], v[204:205], v[102:103]
	v_add_f64 v[6:7], v[6:7], v[8:9]
	v_mul_f64 v[8:9], v[182:183], v[78:79]
	v_fmac_f64_e32 v[214:215], v[206:207], v[104:105]
	v_fma_f64 v[8:9], v[180:181], v[80:81], -v[8:9]
	v_add_f64 v[216:217], v[212:213], v[214:215]
	ds_read_b128 v[212:215], v151 offset:688
	s_waitcnt vmcnt(34) lgkmcnt(1)
	v_mul_f64 v[218:219], v[208:209], v[114:115]
	v_add_f64 v[6:7], v[6:7], v[8:9]
	v_mul_f64 v[8:9], v[186:187], v[90:91]
	s_waitcnt vmcnt(32)
	v_fmac_f64_e32 v[218:219], v[210:211], v[116:117]
	v_fma_f64 v[8:9], v[184:185], v[92:93], -v[8:9]
	v_add_f64 v[220:221], v[216:217], v[218:219]
	ds_read_b128 v[216:219], v151 offset:704
	v_add_f64 v[6:7], v[6:7], v[8:9]
	v_mul_f64 v[8:9], v[190:191], v[86:87]
	v_fma_f64 v[8:9], v[188:189], v[88:89], -v[8:9]
	v_add_f64 v[6:7], v[6:7], v[8:9]
	v_mul_f64 v[8:9], v[194:195], v[98:99]
	s_waitcnt lgkmcnt(1)
	v_mul_f64 v[222:223], v[212:213], v[110:111]
	v_fma_f64 v[8:9], v[192:193], v[100:101], -v[8:9]
	v_fmac_f64_e32 v[222:223], v[214:215], v[112:113]
	v_add_f64 v[6:7], v[6:7], v[8:9]
	v_mul_f64 v[8:9], v[198:199], v[94:95]
	v_add_f64 v[224:225], v[220:221], v[222:223]
	ds_read_b128 v[220:223], v151 offset:720
	s_waitcnt vmcnt(26) lgkmcnt(1)
	v_mul_f64 v[226:227], v[216:217], v[122:123]
	v_fma_f64 v[8:9], v[196:197], v[96:97], -v[8:9]
	s_waitcnt vmcnt(24)
	v_fmac_f64_e32 v[226:227], v[218:219], v[124:125]
	v_add_f64 v[6:7], v[6:7], v[8:9]
	v_mul_f64 v[8:9], v[202:203], v[106:107]
	v_add_f64 v[228:229], v[224:225], v[226:227]
	ds_read_b128 v[224:227], v151 offset:736
	v_fma_f64 v[8:9], v[200:201], v[108:109], -v[8:9]
	v_add_f64 v[6:7], v[6:7], v[8:9]
	v_mul_f64 v[8:9], v[206:207], v[102:103]
	v_fma_f64 v[8:9], v[204:205], v[104:105], -v[8:9]
	s_waitcnt lgkmcnt(1)
	v_mul_f64 v[230:231], v[220:221], v[118:119]
	v_add_f64 v[6:7], v[6:7], v[8:9]
	v_mul_f64 v[8:9], v[210:211], v[114:115]
	v_fmac_f64_e32 v[230:231], v[222:223], v[120:121]
	v_fma_f64 v[8:9], v[208:209], v[116:117], -v[8:9]
	v_add_f64 v[232:233], v[228:229], v[230:231]
	ds_read_b128 v[228:231], v151 offset:752
	s_waitcnt vmcnt(18) lgkmcnt(1)
	v_mul_f64 v[234:235], v[224:225], v[156:157]
	v_add_f64 v[6:7], v[6:7], v[8:9]
	v_mul_f64 v[8:9], v[214:215], v[110:111]
	s_waitcnt vmcnt(16)
	v_fmac_f64_e32 v[234:235], v[226:227], v[158:159]
	v_fma_f64 v[8:9], v[212:213], v[112:113], -v[8:9]
	v_add_f64 v[236:237], v[232:233], v[234:235]
	ds_read_b128 v[232:235], v151 offset:768
	v_add_f64 v[6:7], v[6:7], v[8:9]
	v_mul_f64 v[8:9], v[218:219], v[122:123]
	v_fma_f64 v[8:9], v[216:217], v[124:125], -v[8:9]
	v_add_f64 v[6:7], v[6:7], v[8:9]
	v_mul_f64 v[8:9], v[222:223], v[118:119]
	s_waitcnt lgkmcnt(1)
	v_mul_f64 v[238:239], v[228:229], v[152:153]
	v_fma_f64 v[8:9], v[220:221], v[120:121], -v[8:9]
	v_fmac_f64_e32 v[238:239], v[230:231], v[154:155]
	v_add_f64 v[6:7], v[6:7], v[8:9]
	v_mul_f64 v[8:9], v[226:227], v[156:157]
	v_add_f64 v[240:241], v[236:237], v[238:239]
	ds_read_b128 v[236:239], v151 offset:784
	s_waitcnt vmcnt(10) lgkmcnt(1)
	v_mul_f64 v[242:243], v[232:233], v[164:165]
	v_fma_f64 v[8:9], v[224:225], v[158:159], -v[8:9]
	s_waitcnt vmcnt(8)
	v_fmac_f64_e32 v[242:243], v[234:235], v[248:249]
	v_add_f64 v[6:7], v[6:7], v[8:9]
	v_mul_f64 v[8:9], v[230:231], v[152:153]
	v_add_f64 v[168:169], v[240:241], v[242:243]
	ds_read_b128 v[240:243], v151 offset:800
	v_fma_f64 v[8:9], v[228:229], v[154:155], -v[8:9]
	v_add_f64 v[6:7], v[6:7], v[8:9]
	v_mul_f64 v[8:9], v[234:235], v[164:165]
	v_fma_f64 v[8:9], v[232:233], v[248:249], -v[8:9]
	v_add_f64 v[6:7], v[6:7], v[8:9]
	s_waitcnt lgkmcnt(1)
	v_mul_f64 v[8:9], v[238:239], v[160:161]
	v_mul_f64 v[170:171], v[236:237], v[160:161]
	v_fma_f64 v[8:9], v[236:237], v[162:163], -v[8:9]
	v_fmac_f64_e32 v[170:171], v[238:239], v[162:163]
	v_add_f64 v[6:7], v[6:7], v[8:9]
	s_waitcnt vmcnt(2) lgkmcnt(0)
	v_mul_f64 v[8:9], v[242:243], v[254:255]
	v_add_f64 v[168:169], v[168:169], v[170:171]
	v_mul_f64 v[170:171], v[240:241], v[254:255]
	s_waitcnt vmcnt(0)
	v_fma_f64 v[8:9], v[240:241], v[166:167], -v[8:9]
	v_fmac_f64_e32 v[170:171], v[242:243], v[166:167]
	v_add_f64 v[6:7], v[6:7], v[8:9]
	v_mul_f64 v[8:9], v[246:247], v[250:251]
	v_add_f64 v[168:169], v[168:169], v[170:171]
	v_mul_f64 v[170:171], v[244:245], v[250:251]
	v_fma_f64 v[8:9], v[244:245], v[252:253], -v[8:9]
	v_fmac_f64_e32 v[170:171], v[246:247], v[252:253]
	v_add_f64 v[6:7], v[6:7], v[8:9]
	v_add_f64 v[168:169], v[168:169], v[170:171]
	v_add_f64 v[4:5], v[4:5], -v[6:7]
	v_add_f64 v[2:3], v[2:3], -v[168:169]
	buffer_store_dword v5, off, s[0:3], 0 offset:36
	buffer_store_dword v4, off, s[0:3], 0 offset:32
	;; [unrolled: 1-line block ×4, first 2 shown]
	s_and_saveexec_b64 s[6:7], vcc
	s_cbranch_execz .LBB25_167
; %bb.166:
	v_accvgpr_read_b32 v5, a30
	buffer_load_dword v2, v5, s[0:3], 0 offen
	buffer_load_dword v3, v5, s[0:3], 0 offen offset:4
	buffer_load_dword v4, v5, s[0:3], 0 offen offset:8
	s_nop 0
	buffer_load_dword v5, v5, s[0:3], 0 offen offset:12
	s_nop 0
	buffer_store_dword v151, off, s[0:3], 0 offset:16
	buffer_store_dword v151, off, s[0:3], 0 offset:20
	;; [unrolled: 1-line block ×4, first 2 shown]
	s_waitcnt vmcnt(4)
	ds_write_b128 v150, v[2:5]
.LBB25_167:
	s_or_b64 exec, exec, s[6:7]
	s_waitcnt lgkmcnt(0)
	; wave barrier
	s_waitcnt lgkmcnt(0)
	buffer_load_dword v74, off, s[0:3], 0 offset:32
	buffer_load_dword v75, off, s[0:3], 0 offset:36
	buffer_load_dword v76, off, s[0:3], 0 offset:40
	buffer_load_dword v77, off, s[0:3], 0 offset:44
	buffer_load_dword v79, off, s[0:3], 0 offset:76
	buffer_load_dword v80, off, s[0:3], 0 offset:48
	buffer_load_dword v84, off, s[0:3], 0 offset:56
	buffer_load_dword v85, off, s[0:3], 0 offset:60
	buffer_load_dword v82, off, s[0:3], 0 offset:64
	buffer_load_dword v78, off, s[0:3], 0 offset:72
	buffer_load_dword v83, off, s[0:3], 0 offset:68
	buffer_load_dword v81, off, s[0:3], 0 offset:52
	buffer_load_dword v20, off, s[0:3], 0 offset:16
	buffer_load_dword v21, off, s[0:3], 0 offset:20
	buffer_load_dword v18, off, s[0:3], 0 offset:24
	buffer_load_dword v19, off, s[0:3], 0 offset:28
	ds_read_b128 v[2:5], v151 offset:448
	ds_read_b128 v[6:9], v151 offset:464
	;; [unrolled: 1-line block ×4, first 2 shown]
	buffer_load_dword v87, off, s[0:3], 0 offset:108
	buffer_load_dword v86, off, s[0:3], 0 offset:104
	;; [unrolled: 1-line block ×48, first 2 shown]
	v_cmp_ne_u32_e32 vcc, 0, v178
	s_waitcnt vmcnt(60) lgkmcnt(3)
	v_mul_f64 v[134:135], v[2:3], v[76:77]
	v_fmac_f64_e32 v[134:135], v[4:5], v[74:75]
	v_add_f64 v[134:135], v[134:135], 0
	v_mul_f64 v[4:5], v[4:5], v[76:77]
	s_waitcnt vmcnt(56) lgkmcnt(2)
	v_mul_f64 v[136:137], v[6:7], v[84:85]
	v_fma_f64 v[2:3], v[2:3], v[74:75], -v[4:5]
	v_mul_f64 v[4:5], v[8:9], v[84:85]
	s_waitcnt vmcnt(54) lgkmcnt(1)
	v_mul_f64 v[152:153], v[10:11], v[78:79]
	s_waitcnt vmcnt(52)
	v_fmac_f64_e32 v[136:137], v[8:9], v[80:81]
	v_add_f64 v[154:155], v[134:135], v[136:137]
	buffer_load_dword v135, off, s[0:3], 0 offset:300
	buffer_load_dword v134, off, s[0:3], 0 offset:296
	;; [unrolled: 1-line block ×32, first 2 shown]
	ds_read_b128 v[180:183], v151 offset:512
	buffer_load_dword v173, off, s[0:3], 0 offset:412
	buffer_load_dword v172, off, s[0:3], 0 offset:408
	;; [unrolled: 1-line block ×4, first 2 shown]
	v_add_f64 v[2:3], v[2:3], 0
	v_fma_f64 v[4:5], v[6:7], v[80:81], -v[4:5]
	v_fmac_f64_e32 v[152:153], v[12:13], v[82:83]
	ds_read_b128 v[184:187], v151 offset:528
	ds_read_b128 v[188:191], v151 offset:544
	v_add_f64 v[2:3], v[2:3], v[4:5]
	v_mul_f64 v[4:5], v[12:13], v[78:79]
	v_add_f64 v[152:153], v[154:155], v[152:153]
	s_waitcnt vmcnt(62) lgkmcnt(3)
	v_mul_f64 v[154:155], v[14:15], v[90:91]
	v_fma_f64 v[4:5], v[10:11], v[82:83], -v[4:5]
	v_fmac_f64_e32 v[154:155], v[16:17], v[92:93]
	v_add_f64 v[2:3], v[2:3], v[4:5]
	v_mul_f64 v[4:5], v[16:17], v[90:91]
	v_add_f64 v[152:153], v[152:153], v[154:155]
	s_waitcnt lgkmcnt(2)
	v_mul_f64 v[154:155], v[180:181], v[86:87]
	v_fma_f64 v[4:5], v[14:15], v[92:93], -v[4:5]
	v_fmac_f64_e32 v[154:155], v[182:183], v[88:89]
	ds_read_b128 v[192:195], v151 offset:560
	ds_read_b128 v[196:199], v151 offset:576
	v_add_f64 v[2:3], v[2:3], v[4:5]
	v_mul_f64 v[4:5], v[182:183], v[86:87]
	v_add_f64 v[152:153], v[152:153], v[154:155]
	s_waitcnt lgkmcnt(3)
	v_mul_f64 v[154:155], v[184:185], v[98:99]
	v_fma_f64 v[4:5], v[180:181], v[88:89], -v[4:5]
	v_fmac_f64_e32 v[154:155], v[186:187], v[100:101]
	v_add_f64 v[2:3], v[2:3], v[4:5]
	v_mul_f64 v[4:5], v[186:187], v[98:99]
	v_add_f64 v[152:153], v[152:153], v[154:155]
	s_waitcnt lgkmcnt(2)
	v_mul_f64 v[154:155], v[188:189], v[94:95]
	v_fma_f64 v[4:5], v[184:185], v[100:101], -v[4:5]
	v_fmac_f64_e32 v[154:155], v[190:191], v[96:97]
	ds_read_b128 v[200:203], v151 offset:592
	ds_read_b128 v[204:207], v151 offset:608
	v_add_f64 v[2:3], v[2:3], v[4:5]
	v_mul_f64 v[4:5], v[190:191], v[94:95]
	v_add_f64 v[152:153], v[152:153], v[154:155]
	s_waitcnt lgkmcnt(3)
	v_mul_f64 v[154:155], v[192:193], v[106:107]
	v_fma_f64 v[4:5], v[188:189], v[96:97], -v[4:5]
	s_waitcnt vmcnt(60)
	v_fmac_f64_e32 v[154:155], v[194:195], v[108:109]
	v_add_f64 v[2:3], v[2:3], v[4:5]
	v_mul_f64 v[4:5], v[194:195], v[106:107]
	v_add_f64 v[152:153], v[152:153], v[154:155]
	s_waitcnt lgkmcnt(2)
	v_mul_f64 v[154:155], v[196:197], v[102:103]
	v_fma_f64 v[4:5], v[192:193], v[108:109], -v[4:5]
	v_fmac_f64_e32 v[154:155], v[198:199], v[104:105]
	ds_read_b128 v[208:211], v151 offset:624
	ds_read_b128 v[212:215], v151 offset:640
	v_add_f64 v[2:3], v[2:3], v[4:5]
	v_mul_f64 v[4:5], v[198:199], v[102:103]
	v_add_f64 v[152:153], v[152:153], v[154:155]
	s_waitcnt vmcnt(54) lgkmcnt(3)
	v_mul_f64 v[154:155], v[200:201], v[114:115]
	v_fma_f64 v[4:5], v[196:197], v[104:105], -v[4:5]
	s_waitcnt vmcnt(52)
	v_fmac_f64_e32 v[154:155], v[202:203], v[116:117]
	v_add_f64 v[2:3], v[2:3], v[4:5]
	v_mul_f64 v[4:5], v[202:203], v[114:115]
	v_add_f64 v[152:153], v[152:153], v[154:155]
	s_waitcnt lgkmcnt(2)
	v_mul_f64 v[154:155], v[204:205], v[110:111]
	v_fma_f64 v[4:5], v[200:201], v[116:117], -v[4:5]
	v_fmac_f64_e32 v[154:155], v[206:207], v[112:113]
	ds_read_b128 v[216:219], v151 offset:656
	ds_read_b128 v[220:223], v151 offset:672
	v_add_f64 v[2:3], v[2:3], v[4:5]
	v_mul_f64 v[4:5], v[206:207], v[110:111]
	v_add_f64 v[152:153], v[152:153], v[154:155]
	s_waitcnt vmcnt(46) lgkmcnt(3)
	;; [unrolled: 17-line block ×5, first 2 shown]
	v_mul_f64 v[154:155], v[232:233], v[146:147]
	v_fma_f64 v[4:5], v[228:229], v[136:137], -v[4:5]
	s_waitcnt vmcnt(20)
	v_fmac_f64_e32 v[154:155], v[234:235], v[148:149]
	v_add_f64 v[2:3], v[2:3], v[4:5]
	v_mul_f64 v[4:5], v[234:235], v[146:147]
	v_add_f64 v[152:153], v[152:153], v[154:155]
	s_waitcnt lgkmcnt(2)
	v_mul_f64 v[154:155], v[236:237], v[142:143]
	v_fma_f64 v[4:5], v[232:233], v[148:149], -v[4:5]
	v_fmac_f64_e32 v[154:155], v[238:239], v[144:145]
	v_add_f64 v[2:3], v[2:3], v[4:5]
	v_mul_f64 v[4:5], v[238:239], v[142:143]
	v_add_f64 v[152:153], v[152:153], v[154:155]
	s_waitcnt vmcnt(14) lgkmcnt(1)
	v_mul_f64 v[154:155], v[240:241], v[160:161]
	ds_read_b128 v[248:251], v151 offset:784
	ds_read_b128 v[252:255], v151 offset:800
	v_fma_f64 v[4:5], v[236:237], v[144:145], -v[4:5]
	s_waitcnt vmcnt(12)
	v_fmac_f64_e32 v[154:155], v[242:243], v[162:163]
	v_add_f64 v[2:3], v[2:3], v[4:5]
	v_mul_f64 v[4:5], v[242:243], v[160:161]
	v_add_f64 v[152:153], v[152:153], v[154:155]
	s_waitcnt lgkmcnt(2)
	v_mul_f64 v[154:155], v[244:245], v[156:157]
	v_fma_f64 v[4:5], v[240:241], v[162:163], -v[4:5]
	v_fmac_f64_e32 v[154:155], v[246:247], v[158:159]
	v_add_f64 v[2:3], v[2:3], v[4:5]
	v_mul_f64 v[4:5], v[246:247], v[156:157]
	v_add_f64 v[176:177], v[152:153], v[154:155]
	ds_read_b128 v[152:155], v151 offset:816
	v_fma_f64 v[4:5], v[244:245], v[158:159], -v[4:5]
	v_add_f64 v[2:3], v[2:3], v[4:5]
	s_waitcnt vmcnt(6) lgkmcnt(2)
	v_mul_f64 v[4:5], v[250:251], v[168:169]
	v_mul_f64 v[24:25], v[248:249], v[168:169]
	s_waitcnt vmcnt(4)
	v_fma_f64 v[4:5], v[248:249], v[170:171], -v[4:5]
	v_fmac_f64_e32 v[24:25], v[250:251], v[170:171]
	v_add_f64 v[2:3], v[2:3], v[4:5]
	s_waitcnt lgkmcnt(1)
	v_mul_f64 v[4:5], v[254:255], v[164:165]
	v_add_f64 v[24:25], v[176:177], v[24:25]
	v_mul_f64 v[176:177], v[252:253], v[164:165]
	v_fma_f64 v[4:5], v[252:253], v[166:167], -v[4:5]
	v_fmac_f64_e32 v[176:177], v[254:255], v[166:167]
	v_add_f64 v[2:3], v[2:3], v[4:5]
	s_waitcnt vmcnt(2) lgkmcnt(0)
	v_mul_f64 v[4:5], v[154:155], v[172:173]
	v_add_f64 v[24:25], v[24:25], v[176:177]
	v_mul_f64 v[176:177], v[152:153], v[172:173]
	s_waitcnt vmcnt(0)
	v_fma_f64 v[4:5], v[152:153], v[174:175], -v[4:5]
	v_fmac_f64_e32 v[176:177], v[154:155], v[174:175]
	v_add_f64 v[2:3], v[2:3], v[4:5]
	v_add_f64 v[24:25], v[24:25], v[176:177]
	v_add_f64 v[2:3], v[20:21], -v[2:3]
	v_add_f64 v[4:5], v[18:19], -v[24:25]
	buffer_store_dword v3, off, s[0:3], 0 offset:20
	buffer_store_dword v2, off, s[0:3], 0 offset:16
	;; [unrolled: 1-line block ×4, first 2 shown]
	s_and_saveexec_b64 s[6:7], vcc
	s_cbranch_execz .LBB25_169
; %bb.168:
	buffer_load_dword v2, off, s[0:3], 0
	buffer_load_dword v3, off, s[0:3], 0 offset:4
	buffer_load_dword v4, off, s[0:3], 0 offset:8
	buffer_load_dword v5, off, s[0:3], 0 offset:12
	v_mov_b32_e32 v6, 0
	buffer_store_dword v6, off, s[0:3], 0
	buffer_store_dword v6, off, s[0:3], 0 offset:4
	buffer_store_dword v6, off, s[0:3], 0 offset:8
	;; [unrolled: 1-line block ×3, first 2 shown]
	s_waitcnt vmcnt(4)
	ds_write_b128 v150, v[2:5]
.LBB25_169:
	s_or_b64 exec, exec, s[6:7]
	s_waitcnt lgkmcnt(0)
	; wave barrier
	s_waitcnt lgkmcnt(0)
	buffer_load_dword v74, off, s[0:3], 0 offset:16
	buffer_load_dword v75, off, s[0:3], 0 offset:20
	;; [unrolled: 1-line block ×20, first 2 shown]
	buffer_load_dword v86, off, s[0:3], 0
	buffer_load_dword v87, off, s[0:3], 0 offset:4
	buffer_load_dword v84, off, s[0:3], 0 offset:8
	;; [unrolled: 1-line block ×43, first 2 shown]
	v_mov_b32_e32 v179, 0
	ds_read_b128 v[18:21], v179 offset:432
	ds_read_b128 v[14:17], v179 offset:448
	;; [unrolled: 1-line block ×5, first 2 shown]
	s_and_b64 vcc, exec, s[26:27]
	s_waitcnt vmcnt(60) lgkmcnt(4)
	v_mul_f64 v[24:25], v[18:19], v[78:79]
	v_fmac_f64_e32 v[24:25], v[20:21], v[74:75]
	v_add_f64 v[24:25], v[24:25], 0
	v_mul_f64 v[20:21], v[20:21], v[78:79]
	s_waitcnt vmcnt(56) lgkmcnt(3)
	v_mul_f64 v[138:139], v[14:15], v[80:81]
	v_fmac_f64_e32 v[138:139], v[16:17], v[76:77]
	s_waitcnt vmcnt(54) lgkmcnt(2)
	v_mul_f64 v[140:141], v[10:11], v[82:83]
	v_add_f64 v[24:25], v[24:25], v[138:139]
	v_fma_f64 v[18:19], v[18:19], v[74:75], -v[20:21]
	v_mul_f64 v[16:17], v[16:17], v[80:81]
	s_waitcnt vmcnt(50) lgkmcnt(1)
	v_mul_f64 v[154:155], v[6:7], v[92:93]
	v_add_f64 v[18:19], v[18:19], 0
	s_waitcnt vmcnt(48)
	v_fmac_f64_e32 v[140:141], v[12:13], v[96:97]
	v_add_f64 v[24:25], v[24:25], v[140:141]
	buffer_load_dword v139, off, s[0:3], 0 offset:284
	buffer_load_dword v138, off, s[0:3], 0 offset:280
	;; [unrolled: 1-line block ×40, first 2 shown]
	ds_read_b128 v[180:183], v179 offset:512
	ds_read_b128 v[184:187], v179 offset:528
	s_waitcnt vmcnt(62)
	v_fmac_f64_e32 v[154:155], v[8:9], v[94:95]
	v_add_f64 v[24:25], v[24:25], v[154:155]
	s_waitcnt lgkmcnt(2)
	v_mul_f64 v[154:155], v[2:3], v[88:89]
	v_fma_f64 v[14:15], v[14:15], v[76:77], -v[16:17]
	v_mul_f64 v[12:13], v[12:13], v[82:83]
	v_fmac_f64_e32 v[154:155], v[4:5], v[90:91]
	ds_read_b128 v[188:191], v179 offset:544
	ds_read_b128 v[192:195], v179 offset:560
	v_add_f64 v[14:15], v[18:19], v[14:15]
	v_fma_f64 v[10:11], v[10:11], v[96:97], -v[12:13]
	v_mul_f64 v[8:9], v[8:9], v[92:93]
	v_add_f64 v[24:25], v[24:25], v[154:155]
	s_waitcnt lgkmcnt(3)
	v_mul_f64 v[154:155], v[180:181], v[102:103]
	v_add_f64 v[10:11], v[14:15], v[10:11]
	v_fma_f64 v[6:7], v[6:7], v[94:95], -v[8:9]
	v_mul_f64 v[4:5], v[4:5], v[88:89]
	v_fmac_f64_e32 v[154:155], v[182:183], v[104:105]
	v_add_f64 v[6:7], v[10:11], v[6:7]
	v_fma_f64 v[2:3], v[2:3], v[90:91], -v[4:5]
	v_mul_f64 v[4:5], v[182:183], v[102:103]
	v_add_f64 v[24:25], v[24:25], v[154:155]
	s_waitcnt lgkmcnt(2)
	v_mul_f64 v[154:155], v[184:185], v[98:99]
	v_add_f64 v[2:3], v[6:7], v[2:3]
	v_fma_f64 v[4:5], v[180:181], v[104:105], -v[4:5]
	v_fmac_f64_e32 v[154:155], v[186:187], v[100:101]
	ds_read_b128 v[196:199], v179 offset:576
	ds_read_b128 v[200:203], v179 offset:592
	v_add_f64 v[2:3], v[2:3], v[4:5]
	v_mul_f64 v[4:5], v[186:187], v[98:99]
	v_add_f64 v[24:25], v[24:25], v[154:155]
	s_waitcnt lgkmcnt(3)
	v_mul_f64 v[154:155], v[188:189], v[110:111]
	v_fma_f64 v[4:5], v[184:185], v[100:101], -v[4:5]
	v_fmac_f64_e32 v[154:155], v[190:191], v[112:113]
	v_add_f64 v[2:3], v[2:3], v[4:5]
	v_mul_f64 v[4:5], v[190:191], v[110:111]
	v_add_f64 v[24:25], v[24:25], v[154:155]
	s_waitcnt lgkmcnt(2)
	v_mul_f64 v[154:155], v[192:193], v[106:107]
	v_fma_f64 v[4:5], v[188:189], v[112:113], -v[4:5]
	v_fmac_f64_e32 v[154:155], v[194:195], v[108:109]
	ds_read_b128 v[204:207], v179 offset:608
	ds_read_b128 v[208:211], v179 offset:624
	v_add_f64 v[2:3], v[2:3], v[4:5]
	v_mul_f64 v[4:5], v[194:195], v[106:107]
	v_add_f64 v[24:25], v[24:25], v[154:155]
	s_waitcnt vmcnt(58) lgkmcnt(3)
	v_mul_f64 v[154:155], v[196:197], v[118:119]
	v_fma_f64 v[4:5], v[192:193], v[108:109], -v[4:5]
	s_waitcnt vmcnt(56)
	v_fmac_f64_e32 v[154:155], v[198:199], v[120:121]
	v_add_f64 v[2:3], v[2:3], v[4:5]
	v_mul_f64 v[4:5], v[198:199], v[118:119]
	v_add_f64 v[24:25], v[24:25], v[154:155]
	s_waitcnt lgkmcnt(2)
	v_mul_f64 v[154:155], v[200:201], v[114:115]
	v_fma_f64 v[4:5], v[196:197], v[120:121], -v[4:5]
	v_fmac_f64_e32 v[154:155], v[202:203], v[116:117]
	ds_read_b128 v[212:215], v179 offset:640
	ds_read_b128 v[216:219], v179 offset:656
	v_add_f64 v[2:3], v[2:3], v[4:5]
	v_mul_f64 v[4:5], v[202:203], v[114:115]
	v_add_f64 v[24:25], v[24:25], v[154:155]
	s_waitcnt vmcnt(50) lgkmcnt(3)
	v_mul_f64 v[154:155], v[204:205], v[126:127]
	v_fma_f64 v[4:5], v[200:201], v[116:117], -v[4:5]
	s_waitcnt vmcnt(48)
	;; [unrolled: 17-line block ×6, first 2 shown]
	v_fmac_f64_e32 v[154:155], v[238:239], v[164:165]
	v_add_f64 v[2:3], v[2:3], v[4:5]
	v_mul_f64 v[4:5], v[238:239], v[162:163]
	v_add_f64 v[24:25], v[24:25], v[154:155]
	s_waitcnt lgkmcnt(2)
	v_mul_f64 v[154:155], v[240:241], v[158:159]
	v_fma_f64 v[4:5], v[236:237], v[164:165], -v[4:5]
	v_fmac_f64_e32 v[154:155], v[242:243], v[160:161]
	v_add_f64 v[2:3], v[2:3], v[4:5]
	v_mul_f64 v[4:5], v[242:243], v[158:159]
	v_add_f64 v[24:25], v[24:25], v[154:155]
	s_waitcnt vmcnt(10) lgkmcnt(1)
	v_mul_f64 v[154:155], v[244:245], v[170:171]
	ds_read_b128 v[252:255], v179 offset:800
	v_fma_f64 v[4:5], v[240:241], v[160:161], -v[4:5]
	s_waitcnt vmcnt(8)
	v_fmac_f64_e32 v[154:155], v[246:247], v[172:173]
	v_add_f64 v[2:3], v[2:3], v[4:5]
	v_mul_f64 v[4:5], v[246:247], v[170:171]
	v_add_f64 v[24:25], v[24:25], v[154:155]
	ds_read_b128 v[154:157], v179 offset:816
	v_fma_f64 v[4:5], v[244:245], v[172:173], -v[4:5]
	v_add_f64 v[2:3], v[2:3], v[4:5]
	s_waitcnt lgkmcnt(2)
	v_mul_f64 v[4:5], v[250:251], v[166:167]
	v_mul_f64 v[30:31], v[248:249], v[166:167]
	v_fma_f64 v[4:5], v[248:249], v[168:169], -v[4:5]
	v_fmac_f64_e32 v[30:31], v[250:251], v[168:169]
	v_add_f64 v[2:3], v[2:3], v[4:5]
	s_waitcnt vmcnt(2) lgkmcnt(1)
	v_mul_f64 v[4:5], v[254:255], v[26:27]
	v_add_f64 v[24:25], v[24:25], v[30:31]
	v_mul_f64 v[30:31], v[252:253], v[26:27]
	s_waitcnt vmcnt(0)
	v_fma_f64 v[4:5], v[252:253], v[28:29], -v[4:5]
	v_fmac_f64_e32 v[30:31], v[254:255], v[28:29]
	v_add_f64 v[2:3], v[2:3], v[4:5]
	s_waitcnt lgkmcnt(0)
	v_mul_f64 v[4:5], v[156:157], v[174:175]
	v_add_f64 v[24:25], v[24:25], v[30:31]
	v_mul_f64 v[30:31], v[154:155], v[174:175]
	v_fma_f64 v[4:5], v[154:155], v[176:177], -v[4:5]
	v_fmac_f64_e32 v[30:31], v[156:157], v[176:177]
	v_add_f64 v[2:3], v[2:3], v[4:5]
	v_add_f64 v[24:25], v[24:25], v[30:31]
	v_add_f64 v[2:3], v[86:87], -v[2:3]
	v_add_f64 v[4:5], v[84:85], -v[24:25]
	buffer_store_dword v3, off, s[0:3], 0 offset:4
	buffer_store_dword v2, off, s[0:3], 0
	buffer_store_dword v5, off, s[0:3], 0 offset:12
	buffer_store_dword v4, off, s[0:3], 0 offset:8
	s_cbranch_vccz .LBB25_221
; %bb.170:
	v_pk_mov_b32 v[2:3], s[24:25], s[24:25] op_sel:[0,1]
	flat_load_dword v2, v[2:3] offset:96
	s_load_dwordx2 s[4:5], s[4:5], 0x4
	v_bfe_u32 v4, v0, 10, 10
	v_bfe_u32 v0, v0, 20, 10
	s_waitcnt lgkmcnt(0)
	s_lshr_b32 s4, s4, 16
	s_mul_i32 s4, s4, s5
	v_mul_u32_u24_e32 v3, s4, v178
	v_mul_u32_u24_e32 v4, s5, v4
	v_add3_u32 v0, v3, v4, v0
	v_mov_b32_e32 v3, 0x348
	v_lshl_add_u32 v0, v0, 4, v3
	s_waitcnt vmcnt(0)
	v_add_u32_e32 v2, -1, v2
	v_cmp_ne_u32_e32 vcc, 24, v2
	s_and_saveexec_b64 s[4:5], vcc
	s_cbranch_execz .LBB25_172
; %bb.171:
	v_mov_b32_e32 v3, 0
	v_accvgpr_read_b32 v11, a9
	v_lshl_add_u32 v6, v2, 4, v3
	buffer_load_dword v2, v11, s[0:3], 0 offen
	buffer_load_dword v3, v11, s[0:3], 0 offen offset:4
	buffer_load_dword v4, v11, s[0:3], 0 offen offset:8
	buffer_load_dword v5, v11, s[0:3], 0 offen offset:12
	buffer_load_dword v7, v6, s[0:3], 0 offen
	buffer_load_dword v8, v6, s[0:3], 0 offen offset:4
	buffer_load_dword v9, v6, s[0:3], 0 offen offset:8
	buffer_load_dword v10, v6, s[0:3], 0 offen offset:12
	s_waitcnt vmcnt(4)
	ds_write2_b64 v0, v[2:3], v[4:5] offset1:1
	s_waitcnt vmcnt(3)
	buffer_store_dword v7, v11, s[0:3], 0 offen
	s_waitcnt vmcnt(3)
	buffer_store_dword v8, v11, s[0:3], 0 offen offset:4
	s_waitcnt vmcnt(3)
	buffer_store_dword v9, v11, s[0:3], 0 offen offset:8
	s_waitcnt vmcnt(3)
	buffer_store_dword v10, v11, s[0:3], 0 offen offset:12
	buffer_store_dword v5, v6, s[0:3], 0 offen offset:12
	buffer_store_dword v4, v6, s[0:3], 0 offen offset:8
	buffer_store_dword v3, v6, s[0:3], 0 offen offset:4
	buffer_store_dword v2, v6, s[0:3], 0 offen
.LBB25_172:
	s_or_b64 exec, exec, s[4:5]
	v_pk_mov_b32 v[2:3], s[24:25], s[24:25] op_sel:[0,1]
	flat_load_dword v2, v[2:3] offset:92
	s_waitcnt vmcnt(0) lgkmcnt(0)
	v_add_u32_e32 v2, -1, v2
	v_cmp_ne_u32_e32 vcc, 23, v2
	s_and_saveexec_b64 s[4:5], vcc
	s_cbranch_execz .LBB25_174
; %bb.173:
	v_mov_b32_e32 v3, 0
	v_accvgpr_read_b32 v11, a10
	v_lshl_add_u32 v6, v2, 4, v3
	buffer_load_dword v2, v11, s[0:3], 0 offen
	buffer_load_dword v3, v11, s[0:3], 0 offen offset:4
	buffer_load_dword v4, v11, s[0:3], 0 offen offset:8
	buffer_load_dword v5, v11, s[0:3], 0 offen offset:12
	buffer_load_dword v7, v6, s[0:3], 0 offen
	buffer_load_dword v8, v6, s[0:3], 0 offen offset:4
	buffer_load_dword v9, v6, s[0:3], 0 offen offset:8
	buffer_load_dword v10, v6, s[0:3], 0 offen offset:12
	s_waitcnt vmcnt(4)
	ds_write2_b64 v0, v[2:3], v[4:5] offset1:1
	s_waitcnt vmcnt(3)
	buffer_store_dword v7, v11, s[0:3], 0 offen
	s_waitcnt vmcnt(3)
	buffer_store_dword v8, v11, s[0:3], 0 offen offset:4
	s_waitcnt vmcnt(3)
	buffer_store_dword v9, v11, s[0:3], 0 offen offset:8
	s_waitcnt vmcnt(3)
	buffer_store_dword v10, v11, s[0:3], 0 offen offset:12
	buffer_store_dword v5, v6, s[0:3], 0 offen offset:12
	buffer_store_dword v4, v6, s[0:3], 0 offen offset:8
	buffer_store_dword v3, v6, s[0:3], 0 offen offset:4
	buffer_store_dword v2, v6, s[0:3], 0 offen
.LBB25_174:
	s_or_b64 exec, exec, s[4:5]
	v_pk_mov_b32 v[2:3], s[24:25], s[24:25] op_sel:[0,1]
	flat_load_dword v2, v[2:3] offset:88
	s_waitcnt vmcnt(0) lgkmcnt(0)
	;; [unrolled: 35-line block ×21, first 2 shown]
	v_add_u32_e32 v2, -1, v2
	v_cmp_ne_u32_e32 vcc, 3, v2
	s_and_saveexec_b64 s[4:5], vcc
	s_cbranch_execz .LBB25_214
; %bb.213:
	v_mov_b32_e32 v3, 0
	v_lshl_add_u32 v6, v2, 4, v3
	buffer_load_dword v2, v1, s[0:3], 0 offen
	buffer_load_dword v3, v1, s[0:3], 0 offen offset:4
	buffer_load_dword v4, v1, s[0:3], 0 offen offset:8
	;; [unrolled: 1-line block ×3, first 2 shown]
	buffer_load_dword v7, v6, s[0:3], 0 offen
	buffer_load_dword v8, v6, s[0:3], 0 offen offset:4
	buffer_load_dword v9, v6, s[0:3], 0 offen offset:8
	buffer_load_dword v10, v6, s[0:3], 0 offen offset:12
	s_waitcnt vmcnt(4)
	ds_write2_b64 v0, v[2:3], v[4:5] offset1:1
	s_waitcnt vmcnt(3)
	buffer_store_dword v7, v1, s[0:3], 0 offen
	s_waitcnt vmcnt(3)
	buffer_store_dword v8, v1, s[0:3], 0 offen offset:4
	s_waitcnt vmcnt(3)
	buffer_store_dword v9, v1, s[0:3], 0 offen offset:8
	;; [unrolled: 2-line block ×3, first 2 shown]
	buffer_store_dword v5, v6, s[0:3], 0 offen offset:12
	buffer_store_dword v4, v6, s[0:3], 0 offen offset:8
	;; [unrolled: 1-line block ×3, first 2 shown]
	buffer_store_dword v2, v6, s[0:3], 0 offen
.LBB25_214:
	s_or_b64 exec, exec, s[4:5]
	v_pk_mov_b32 v[2:3], s[24:25], s[24:25] op_sel:[0,1]
	flat_load_dword v2, v[2:3] offset:8
	s_waitcnt vmcnt(0) lgkmcnt(0)
	v_add_u32_e32 v2, -1, v2
	v_cmp_ne_u32_e32 vcc, 2, v2
	s_and_saveexec_b64 s[4:5], vcc
	s_cbranch_execz .LBB25_216
; %bb.215:
	v_mov_b32_e32 v3, 0
	v_accvgpr_read_b32 v11, a31
	v_lshl_add_u32 v6, v2, 4, v3
	buffer_load_dword v2, v11, s[0:3], 0 offen
	buffer_load_dword v3, v11, s[0:3], 0 offen offset:4
	buffer_load_dword v4, v11, s[0:3], 0 offen offset:8
	buffer_load_dword v5, v11, s[0:3], 0 offen offset:12
	buffer_load_dword v7, v6, s[0:3], 0 offen
	buffer_load_dword v8, v6, s[0:3], 0 offen offset:4
	buffer_load_dword v9, v6, s[0:3], 0 offen offset:8
	;; [unrolled: 1-line block ×3, first 2 shown]
	s_waitcnt vmcnt(4)
	ds_write2_b64 v0, v[2:3], v[4:5] offset1:1
	s_waitcnt vmcnt(3)
	buffer_store_dword v7, v11, s[0:3], 0 offen
	s_waitcnt vmcnt(3)
	buffer_store_dword v8, v11, s[0:3], 0 offen offset:4
	s_waitcnt vmcnt(3)
	buffer_store_dword v9, v11, s[0:3], 0 offen offset:8
	;; [unrolled: 2-line block ×3, first 2 shown]
	buffer_store_dword v5, v6, s[0:3], 0 offen offset:12
	buffer_store_dword v4, v6, s[0:3], 0 offen offset:8
	;; [unrolled: 1-line block ×3, first 2 shown]
	buffer_store_dword v2, v6, s[0:3], 0 offen
.LBB25_216:
	s_or_b64 exec, exec, s[4:5]
	v_pk_mov_b32 v[2:3], s[24:25], s[24:25] op_sel:[0,1]
	flat_load_dword v2, v[2:3] offset:4
	s_waitcnt vmcnt(0) lgkmcnt(0)
	v_add_u32_e32 v2, -1, v2
	v_cmp_ne_u32_e32 vcc, 1, v2
	s_and_saveexec_b64 s[4:5], vcc
	s_cbranch_execz .LBB25_218
; %bb.217:
	v_mov_b32_e32 v3, 0
	v_accvgpr_read_b32 v11, a30
	v_lshl_add_u32 v6, v2, 4, v3
	buffer_load_dword v2, v11, s[0:3], 0 offen
	buffer_load_dword v3, v11, s[0:3], 0 offen offset:4
	buffer_load_dword v4, v11, s[0:3], 0 offen offset:8
	;; [unrolled: 1-line block ×3, first 2 shown]
	buffer_load_dword v7, v6, s[0:3], 0 offen
	buffer_load_dword v8, v6, s[0:3], 0 offen offset:4
	buffer_load_dword v9, v6, s[0:3], 0 offen offset:8
	buffer_load_dword v10, v6, s[0:3], 0 offen offset:12
	s_waitcnt vmcnt(4)
	ds_write2_b64 v0, v[2:3], v[4:5] offset1:1
	s_waitcnt vmcnt(3)
	buffer_store_dword v7, v11, s[0:3], 0 offen
	s_waitcnt vmcnt(3)
	buffer_store_dword v8, v11, s[0:3], 0 offen offset:4
	s_waitcnt vmcnt(3)
	buffer_store_dword v9, v11, s[0:3], 0 offen offset:8
	;; [unrolled: 2-line block ×3, first 2 shown]
	buffer_store_dword v5, v6, s[0:3], 0 offen offset:12
	buffer_store_dword v4, v6, s[0:3], 0 offen offset:8
	;; [unrolled: 1-line block ×3, first 2 shown]
	buffer_store_dword v2, v6, s[0:3], 0 offen
.LBB25_218:
	s_or_b64 exec, exec, s[4:5]
	v_pk_mov_b32 v[2:3], s[24:25], s[24:25] op_sel:[0,1]
	flat_load_dword v2, v[2:3]
	s_waitcnt vmcnt(0) lgkmcnt(0)
	v_add_u32_e32 v2, -1, v2
	v_cmp_ne_u32_e32 vcc, 0, v2
	s_and_saveexec_b64 s[4:5], vcc
	s_cbranch_execz .LBB25_220
; %bb.219:
	v_mov_b32_e32 v3, 0
	v_lshl_add_u32 v6, v2, 4, v3
	buffer_load_dword v2, off, s[0:3], 0
	buffer_load_dword v3, off, s[0:3], 0 offset:4
	buffer_load_dword v4, off, s[0:3], 0 offset:8
	;; [unrolled: 1-line block ×3, first 2 shown]
	buffer_load_dword v7, v6, s[0:3], 0 offen
	buffer_load_dword v8, v6, s[0:3], 0 offen offset:4
	buffer_load_dword v9, v6, s[0:3], 0 offen offset:8
	;; [unrolled: 1-line block ×3, first 2 shown]
	s_waitcnt vmcnt(4)
	ds_write2_b64 v0, v[2:3], v[4:5] offset1:1
	s_waitcnt vmcnt(3)
	buffer_store_dword v7, off, s[0:3], 0
	s_waitcnt vmcnt(3)
	buffer_store_dword v8, off, s[0:3], 0 offset:4
	s_waitcnt vmcnt(3)
	buffer_store_dword v9, off, s[0:3], 0 offset:8
	;; [unrolled: 2-line block ×3, first 2 shown]
	buffer_store_dword v5, v6, s[0:3], 0 offen offset:12
	buffer_store_dword v4, v6, s[0:3], 0 offen offset:8
	;; [unrolled: 1-line block ×3, first 2 shown]
	buffer_store_dword v2, v6, s[0:3], 0 offen
.LBB25_220:
	s_or_b64 exec, exec, s[4:5]
.LBB25_221:
	v_accvgpr_read_b32 v21, a30
	v_accvgpr_read_b32 v24, a31
	;; [unrolled: 1-line block ×3, first 2 shown]
	buffer_load_dword v2, off, s[0:3], 0
	buffer_load_dword v3, off, s[0:3], 0 offset:4
	buffer_load_dword v4, off, s[0:3], 0 offset:8
	;; [unrolled: 1-line block ×3, first 2 shown]
	buffer_load_dword v7, v21, s[0:3], 0 offen offset:4
	buffer_load_dword v8, v21, s[0:3], 0 offen offset:8
	;; [unrolled: 1-line block ×3, first 2 shown]
	buffer_load_dword v10, v24, s[0:3], 0 offen
	buffer_load_dword v11, v24, s[0:3], 0 offen offset:4
	buffer_load_dword v12, v24, s[0:3], 0 offen offset:8
	buffer_load_dword v6, v21, s[0:3], 0 offen
	buffer_load_dword v13, v24, s[0:3], 0 offen offset:12
	buffer_load_dword v15, v1, s[0:3], 0 offen offset:4
	;; [unrolled: 1-line block ×4, first 2 shown]
	buffer_load_dword v18, v0, s[0:3], 0 offen
	buffer_load_dword v19, v0, s[0:3], 0 offen offset:4
	buffer_load_dword v20, v0, s[0:3], 0 offen offset:8
	buffer_load_dword v14, v1, s[0:3], 0 offen
                                        ; kill: killed $vgpr24
                                        ; kill: killed $vgpr21
                                        ; kill: killed $vgpr1
	s_nop 0
	buffer_load_dword v21, v0, s[0:3], 0 offen offset:12
	v_accvgpr_read_b32 v25, a29
	v_accvgpr_read_b32 v24, a28
	;; [unrolled: 1-line block ×4, first 2 shown]
	buffer_load_dword v75, v25, s[0:3], 0 offen offset:4
	buffer_load_dword v76, v25, s[0:3], 0 offen offset:8
	;; [unrolled: 1-line block ×3, first 2 shown]
	buffer_load_dword v78, v24, s[0:3], 0 offen
	buffer_load_dword v79, v24, s[0:3], 0 offen offset:4
	buffer_load_dword v80, v24, s[0:3], 0 offen offset:8
	buffer_load_dword v74, v25, s[0:3], 0 offen
	buffer_load_dword v81, v24, s[0:3], 0 offen offset:12
	buffer_load_dword v83, v26, s[0:3], 0 offen offset:4
	;; [unrolled: 1-line block ×4, first 2 shown]
	buffer_load_dword v86, v1, s[0:3], 0 offen
	buffer_load_dword v87, v1, s[0:3], 0 offen offset:4
	buffer_load_dword v88, v1, s[0:3], 0 offen offset:8
                                        ; kill: killed $vgpr25
                                        ; kill: killed $vgpr0
                                        ; kill: killed $vgpr24
	buffer_load_dword v82, v26, s[0:3], 0 offen
	buffer_load_dword v89, v1, s[0:3], 0 offen offset:12
	v_accvgpr_read_b32 v27, a26
	v_accvgpr_read_b32 v24, a24
	;; [unrolled: 1-line block ×4, first 2 shown]
	buffer_load_dword v91, v27, s[0:3], 0 offen offset:4
	buffer_load_dword v92, v27, s[0:3], 0 offen offset:8
	;; [unrolled: 1-line block ×3, first 2 shown]
	buffer_load_dword v94, v24, s[0:3], 0 offen
	buffer_load_dword v95, v24, s[0:3], 0 offen offset:4
	buffer_load_dword v96, v24, s[0:3], 0 offen offset:8
	buffer_load_dword v90, v27, s[0:3], 0 offen
	buffer_load_dword v97, v24, s[0:3], 0 offen offset:12
	buffer_load_dword v99, v0, s[0:3], 0 offen offset:4
	;; [unrolled: 1-line block ×4, first 2 shown]
	buffer_load_dword v102, v25, s[0:3], 0 offen
	buffer_load_dword v103, v25, s[0:3], 0 offen offset:4
                                        ; kill: killed $vgpr26
                                        ; kill: killed $vgpr27
                                        ; kill: killed $vgpr1
                                        ; kill: killed $vgpr24
	buffer_load_dword v104, v25, s[0:3], 0 offen offset:8
	buffer_load_dword v98, v0, s[0:3], 0 offen
	buffer_load_dword v105, v25, s[0:3], 0 offen offset:12
	v_accvgpr_read_b32 v24, a20
	v_accvgpr_read_b32 v26, a22
	;; [unrolled: 1-line block ×3, first 2 shown]
	buffer_load_dword v107, v24, s[0:3], 0 offen offset:4
	buffer_load_dword v108, v24, s[0:3], 0 offen offset:8
	;; [unrolled: 1-line block ×3, first 2 shown]
	buffer_load_dword v110, v26, s[0:3], 0 offen
	buffer_load_dword v111, v26, s[0:3], 0 offen offset:4
	buffer_load_dword v112, v26, s[0:3], 0 offen offset:8
	buffer_load_dword v106, v24, s[0:3], 0 offen
	buffer_load_dword v113, v26, s[0:3], 0 offen offset:12
	buffer_load_dword v115, v1, s[0:3], 0 offen offset:4
                                        ; kill: killed $vgpr25
                                        ; kill: killed $vgpr26
                                        ; kill: killed $vgpr0
                                        ; kill: killed $vgpr24
	buffer_load_dword v116, v1, s[0:3], 0 offen offset:8
	buffer_load_dword v117, v1, s[0:3], 0 offen offset:12
	v_accvgpr_read_b32 v0, a17
	buffer_load_dword v118, v0, s[0:3], 0 offen
	buffer_load_dword v119, v0, s[0:3], 0 offen offset:4
	buffer_load_dword v120, v0, s[0:3], 0 offen offset:8
	buffer_load_dword v114, v1, s[0:3], 0 offen
	buffer_load_dword v121, v0, s[0:3], 0 offen offset:12
	v_accvgpr_read_b32 v1, a16
	v_accvgpr_read_b32 v0, a15
	buffer_load_dword v123, v1, s[0:3], 0 offen offset:4
	buffer_load_dword v124, v1, s[0:3], 0 offen offset:8
	buffer_load_dword v125, v1, s[0:3], 0 offen offset:12
	buffer_load_dword v126, v0, s[0:3], 0 offen
	buffer_load_dword v127, v0, s[0:3], 0 offen offset:4
	buffer_load_dword v128, v0, s[0:3], 0 offen offset:8
	buffer_load_dword v122, v1, s[0:3], 0 offen
	buffer_load_dword v129, v0, s[0:3], 0 offen offset:12
	v_accvgpr_read_b32 v1, a14
	v_accvgpr_read_b32 v0, a13
	buffer_load_dword v131, v1, s[0:3], 0 offen offset:4
	buffer_load_dword v132, v1, s[0:3], 0 offen offset:8
	buffer_load_dword v133, v1, s[0:3], 0 offen offset:12
	;; [unrolled: 10-line block ×4, first 2 shown]
	buffer_load_dword v150, v0, s[0:3], 0 offen
	buffer_load_dword v151, v0, s[0:3], 0 offen offset:4
	buffer_load_dword v152, v0, s[0:3], 0 offen offset:8
	buffer_load_dword v146, v1, s[0:3], 0 offen
	buffer_load_dword v153, v0, s[0:3], 0 offen offset:12
	v_accvgpr_read_b32 v0, a8
	buffer_load_dword v154, v0, s[0:3], 0 offen
	buffer_load_dword v155, v0, s[0:3], 0 offen offset:4
	buffer_load_dword v156, v0, s[0:3], 0 offen offset:8
	;; [unrolled: 1-line block ×3, first 2 shown]
	v_accvgpr_read_b32 v0, a2
	v_accvgpr_read_b32 v1, a3
	s_waitcnt vmcnt(62)
	global_store_dwordx4 v[22:23], v[2:5], off
	global_store_dwordx4 v[0:1], v[6:9], off
	v_accvgpr_read_b32 v0, a0
	v_accvgpr_read_b32 v1, a1
	global_store_dwordx4 v[0:1], v[10:13], off
	v_accvgpr_read_b32 v0, a4
	v_accvgpr_read_b32 v1, a5
	global_store_dwordx4 v[0:1], v[14:17], off
	v_accvgpr_read_b32 v0, a6
	v_accvgpr_read_b32 v1, a7
	global_store_dwordx4 v[0:1], v[18:21], off
	global_store_dwordx4 v[34:35], v[74:77], off
	;; [unrolled: 1-line block ×5, first 2 shown]
	s_waitcnt vmcnt(62)
	global_store_dwordx4 v[42:43], v[90:93], off
	global_store_dwordx4 v[44:45], v[94:97], off
	;; [unrolled: 1-line block ×3, first 2 shown]
	s_waitcnt vmcnt(62)
	global_store_dwordx4 v[48:49], v[102:105], off
	s_waitcnt vmcnt(58)
	global_store_dwordx4 v[50:51], v[106:109], off
	;; [unrolled: 2-line block ×14, first 2 shown]
	s_endpgm
	.section	.rodata,"a",@progbits
	.p2align	6, 0x0
	.amdhsa_kernel _ZN9rocsolver6v33100L18getri_kernel_smallILi26E19rocblas_complex_numIdEPS3_EEvT1_iilPiilS6_bb
		.amdhsa_group_segment_fixed_size 1864
		.amdhsa_private_segment_fixed_size 432
		.amdhsa_kernarg_size 60
		.amdhsa_user_sgpr_count 10
		.amdhsa_user_sgpr_private_segment_buffer 1
		.amdhsa_user_sgpr_dispatch_ptr 1
		.amdhsa_user_sgpr_queue_ptr 0
		.amdhsa_user_sgpr_kernarg_segment_ptr 1
		.amdhsa_user_sgpr_dispatch_id 0
		.amdhsa_user_sgpr_flat_scratch_init 1
		.amdhsa_user_sgpr_kernarg_preload_length 0
		.amdhsa_user_sgpr_kernarg_preload_offset 0
		.amdhsa_user_sgpr_private_segment_size 0
		.amdhsa_uses_dynamic_stack 0
		.amdhsa_system_sgpr_private_segment_wavefront_offset 1
		.amdhsa_system_sgpr_workgroup_id_x 1
		.amdhsa_system_sgpr_workgroup_id_y 0
		.amdhsa_system_sgpr_workgroup_id_z 0
		.amdhsa_system_sgpr_workgroup_info 0
		.amdhsa_system_vgpr_workitem_id 2
		.amdhsa_next_free_vgpr 288
		.amdhsa_next_free_sgpr 29
		.amdhsa_accum_offset 256
		.amdhsa_reserve_vcc 1
		.amdhsa_reserve_flat_scratch 1
		.amdhsa_float_round_mode_32 0
		.amdhsa_float_round_mode_16_64 0
		.amdhsa_float_denorm_mode_32 3
		.amdhsa_float_denorm_mode_16_64 3
		.amdhsa_dx10_clamp 1
		.amdhsa_ieee_mode 1
		.amdhsa_fp16_overflow 0
		.amdhsa_tg_split 0
		.amdhsa_exception_fp_ieee_invalid_op 0
		.amdhsa_exception_fp_denorm_src 0
		.amdhsa_exception_fp_ieee_div_zero 0
		.amdhsa_exception_fp_ieee_overflow 0
		.amdhsa_exception_fp_ieee_underflow 0
		.amdhsa_exception_fp_ieee_inexact 0
		.amdhsa_exception_int_div_zero 0
	.end_amdhsa_kernel
	.section	.text._ZN9rocsolver6v33100L18getri_kernel_smallILi26E19rocblas_complex_numIdEPS3_EEvT1_iilPiilS6_bb,"axG",@progbits,_ZN9rocsolver6v33100L18getri_kernel_smallILi26E19rocblas_complex_numIdEPS3_EEvT1_iilPiilS6_bb,comdat
.Lfunc_end25:
	.size	_ZN9rocsolver6v33100L18getri_kernel_smallILi26E19rocblas_complex_numIdEPS3_EEvT1_iilPiilS6_bb, .Lfunc_end25-_ZN9rocsolver6v33100L18getri_kernel_smallILi26E19rocblas_complex_numIdEPS3_EEvT1_iilPiilS6_bb
                                        ; -- End function
	.section	.AMDGPU.csdata,"",@progbits
; Kernel info:
; codeLenInByte = 52424
; NumSgprs: 35
; NumVgprs: 256
; NumAgprs: 32
; TotalNumVgprs: 288
; ScratchSize: 432
; MemoryBound: 0
; FloatMode: 240
; IeeeMode: 1
; LDSByteSize: 1864 bytes/workgroup (compile time only)
; SGPRBlocks: 4
; VGPRBlocks: 35
; NumSGPRsForWavesPerEU: 35
; NumVGPRsForWavesPerEU: 288
; AccumOffset: 256
; Occupancy: 1
; WaveLimiterHint : 1
; COMPUTE_PGM_RSRC2:SCRATCH_EN: 1
; COMPUTE_PGM_RSRC2:USER_SGPR: 10
; COMPUTE_PGM_RSRC2:TRAP_HANDLER: 0
; COMPUTE_PGM_RSRC2:TGID_X_EN: 1
; COMPUTE_PGM_RSRC2:TGID_Y_EN: 0
; COMPUTE_PGM_RSRC2:TGID_Z_EN: 0
; COMPUTE_PGM_RSRC2:TIDIG_COMP_CNT: 2
; COMPUTE_PGM_RSRC3_GFX90A:ACCUM_OFFSET: 63
; COMPUTE_PGM_RSRC3_GFX90A:TG_SPLIT: 0
	.section	.text._ZN9rocsolver6v33100L18getri_kernel_smallILi27E19rocblas_complex_numIdEPS3_EEvT1_iilPiilS6_bb,"axG",@progbits,_ZN9rocsolver6v33100L18getri_kernel_smallILi27E19rocblas_complex_numIdEPS3_EEvT1_iilPiilS6_bb,comdat
	.globl	_ZN9rocsolver6v33100L18getri_kernel_smallILi27E19rocblas_complex_numIdEPS3_EEvT1_iilPiilS6_bb ; -- Begin function _ZN9rocsolver6v33100L18getri_kernel_smallILi27E19rocblas_complex_numIdEPS3_EEvT1_iilPiilS6_bb
	.p2align	8
	.type	_ZN9rocsolver6v33100L18getri_kernel_smallILi27E19rocblas_complex_numIdEPS3_EEvT1_iilPiilS6_bb,@function
_ZN9rocsolver6v33100L18getri_kernel_smallILi27E19rocblas_complex_numIdEPS3_EEvT1_iilPiilS6_bb: ; @_ZN9rocsolver6v33100L18getri_kernel_smallILi27E19rocblas_complex_numIdEPS3_EEvT1_iilPiilS6_bb
; %bb.0:
	s_add_u32 flat_scratch_lo, s8, s11
	s_addc_u32 flat_scratch_hi, s9, 0
	s_add_u32 s0, s0, s11
	v_and_b32_e32 v193, 0x3ff, v0
	s_addc_u32 s1, s1, 0
	v_cmp_gt_u32_e32 vcc, 27, v193
	s_and_saveexec_b64 s[8:9], vcc
	s_cbranch_execz .LBB26_122
; %bb.1:
	s_load_dword s8, s[6:7], 0x38
	s_load_dwordx4 s[20:23], s[6:7], 0x10
	s_load_dwordx4 s[12:15], s[6:7], 0x28
                                        ; implicit-def: $sgpr24_sgpr25
	s_waitcnt lgkmcnt(0)
	s_bitcmp1_b32 s8, 8
	s_cselect_b64 s[26:27], -1, 0
	s_ashr_i32 s11, s10, 31
	s_bfe_u32 s9, s8, 0x10008
	s_cmp_eq_u32 s9, 0
	s_cbranch_scc1 .LBB26_3
; %bb.2:
	s_load_dword s16, s[6:7], 0x20
	s_mul_i32 s9, s10, s13
	s_mul_hi_u32 s13, s10, s12
	s_mul_i32 s18, s11, s12
	s_add_i32 s9, s13, s9
	s_add_i32 s13, s9, s18
	s_mul_i32 s12, s10, s12
	s_waitcnt lgkmcnt(0)
	s_ashr_i32 s17, s16, 31
	s_lshl_b64 s[12:13], s[12:13], 2
	s_add_u32 s9, s22, s12
	s_addc_u32 s18, s23, s13
	s_lshl_b64 s[12:13], s[16:17], 2
	s_add_u32 s24, s9, s12
	s_addc_u32 s25, s18, s13
.LBB26_3:
	s_load_dwordx4 s[16:19], s[6:7], 0x0
	s_mul_i32 s6, s10, s21
	s_mul_hi_u32 s7, s10, s20
	s_add_i32 s9, s7, s6
	s_mul_i32 s12, s11, s20
	s_add_i32 s13, s9, s12
	s_mul_i32 s12, s10, s20
	s_waitcnt lgkmcnt(0)
	s_ashr_i32 s7, s18, 31
	s_lshl_b64 s[12:13], s[12:13], 4
	s_mov_b32 s6, s18
	s_add_u32 s9, s16, s12
	s_addc_u32 s12, s17, s13
	s_lshl_b64 s[6:7], s[6:7], 4
	s_add_u32 s6, s9, s6
	s_addc_u32 s7, s12, s7
	v_lshlrev_b32_e32 v100, 4, v193
	v_mov_b32_e32 v1, s7
	v_add_co_u32_e32 v46, vcc, s6, v100
	s_ashr_i32 s13, s19, 31
	s_mov_b32 s12, s19
	s_add_i32 s9, s19, s19
	v_addc_co_u32_e32 v47, vcc, 0, v1, vcc
	s_lshl_b64 s[12:13], s[12:13], 4
	v_add_u32_e32 v2, s9, v193
	global_load_dwordx4 v[6:9], v100, s[6:7]
	v_mov_b32_e32 v1, s13
	v_add_co_u32_e32 v10, vcc, s12, v46
	v_ashrrev_i32_e32 v3, 31, v2
	v_addc_co_u32_e32 v11, vcc, v47, v1, vcc
	v_lshlrev_b64 v[4:5], 4, v[2:3]
	v_mov_b32_e32 v1, s7
	v_add_co_u32_e32 v4, vcc, s6, v4
	v_add_u32_e32 v2, s19, v2
	v_addc_co_u32_e32 v5, vcc, v1, v5, vcc
	v_accvgpr_write_b32 a0, v10
	v_accvgpr_write_b32 a2, v4
	v_ashrrev_i32_e32 v3, 31, v2
	v_accvgpr_write_b32 a1, v11
	global_load_dwordx4 v[10:13], v[10:11], off
	v_accvgpr_write_b32 a3, v5
	global_load_dwordx4 v[14:17], v[4:5], off
	v_lshlrev_b64 v[4:5], 4, v[2:3]
	v_add_co_u32_e32 v4, vcc, s6, v4
	v_add_u32_e32 v2, s19, v2
	v_addc_co_u32_e32 v5, vcc, v1, v5, vcc
	v_accvgpr_write_b32 a4, v4
	v_ashrrev_i32_e32 v3, 31, v2
	v_accvgpr_write_b32 a5, v5
	global_load_dwordx4 v[18:21], v[4:5], off
	v_add_u32_e32 v4, s19, v2
	v_lshlrev_b64 v[2:3], 4, v[2:3]
	v_add_co_u32_e32 v22, vcc, s6, v2
	v_addc_co_u32_e32 v23, vcc, v1, v3, vcc
	v_accvgpr_write_b32 a6, v22
	v_ashrrev_i32_e32 v5, 31, v4
	v_accvgpr_write_b32 a7, v23
	global_load_dwordx4 v[22:25], v[22:23], off
	v_lshlrev_b64 v[2:3], 4, v[4:5]
	v_mov_b32_e32 v26, s7
	v_add_co_u32_e32 v2, vcc, s6, v2
	v_addc_co_u32_e32 v3, vcc, v26, v3, vcc
	global_load_dwordx4 v[26:29], v[2:3], off
	v_add_u32_e32 v30, s19, v4
	v_accvgpr_write_b32 a9, v3
	v_ashrrev_i32_e32 v31, 31, v30
	v_accvgpr_write_b32 a8, v2
	v_lshlrev_b64 v[2:3], 4, v[30:31]
	v_add_co_u32_e32 v2, vcc, s6, v2
	v_addc_co_u32_e32 v3, vcc, v1, v3, vcc
	v_accvgpr_write_b32 a11, v3
	v_accvgpr_write_b32 a10, v2
	global_load_dwordx4 v[2:5], v[2:3], off
	v_add_u32_e32 v30, s19, v30
	v_ashrrev_i32_e32 v31, 31, v30
	v_lshlrev_b64 v[32:33], 4, v[30:31]
	s_bitcmp0_b32 s8, 0
	s_waitcnt vmcnt(6)
	buffer_store_dword v9, off, s[0:3], 0 offset:12
	buffer_store_dword v8, off, s[0:3], 0 offset:8
	;; [unrolled: 1-line block ×3, first 2 shown]
	buffer_store_dword v6, off, s[0:3], 0
	s_waitcnt vmcnt(9)
	buffer_store_dword v13, off, s[0:3], 0 offset:28
	buffer_store_dword v12, off, s[0:3], 0 offset:24
	buffer_store_dword v11, off, s[0:3], 0 offset:20
	buffer_store_dword v10, off, s[0:3], 0 offset:16
	s_waitcnt vmcnt(12)
	buffer_store_dword v17, off, s[0:3], 0 offset:44
	buffer_store_dword v16, off, s[0:3], 0 offset:40
	buffer_store_dword v15, off, s[0:3], 0 offset:36
	buffer_store_dword v14, off, s[0:3], 0 offset:32
	;; [unrolled: 5-line block ×3, first 2 shown]
	v_add_u32_e32 v14, s19, v30
	v_add_co_u32_e32 v8, vcc, s6, v32
	v_ashrrev_i32_e32 v15, 31, v14
	v_addc_co_u32_e32 v9, vcc, v1, v33, vcc
	v_lshlrev_b64 v[6:7], 4, v[14:15]
	v_add_u32_e32 v14, s19, v14
	v_add_co_u32_e32 v10, vcc, s6, v6
	v_ashrrev_i32_e32 v15, 31, v14
	v_addc_co_u32_e32 v11, vcc, v1, v7, vcc
	v_lshlrev_b64 v[16:17], 4, v[14:15]
	;; [unrolled: 5-line block ×4, first 2 shown]
	v_add_u32_e32 v30, s19, v30
	v_accvgpr_write_b32 a13, v9
	v_accvgpr_write_b32 a15, v11
	;; [unrolled: 1-line block ×4, first 2 shown]
	v_add_co_u32_e32 v68, vcc, s6, v32
	v_ashrrev_i32_e32 v31, 31, v30
	v_accvgpr_write_b32 a12, v8
	global_load_dwordx4 v[6:9], v[8:9], off
	v_accvgpr_write_b32 a14, v10
	global_load_dwordx4 v[10:13], v[10:11], off
	;; [unrolled: 2-line block ×4, first 2 shown]
	v_addc_co_u32_e32 v69, vcc, v1, v33, vcc
	s_waitcnt vmcnt(22)
	buffer_store_dword v25, off, s[0:3], 0 offset:76
	buffer_store_dword v24, off, s[0:3], 0 offset:72
	;; [unrolled: 1-line block ×4, first 2 shown]
	s_waitcnt vmcnt(25)
	buffer_store_dword v29, off, s[0:3], 0 offset:92
	buffer_store_dword v28, off, s[0:3], 0 offset:88
	;; [unrolled: 1-line block ×4, first 2 shown]
	v_lshlrev_b64 v[22:23], 4, v[30:31]
	v_add_u32_e32 v30, s19, v30
	v_add_co_u32_e32 v70, vcc, s6, v22
	v_ashrrev_i32_e32 v31, 31, v30
	v_addc_co_u32_e32 v71, vcc, v1, v23, vcc
	v_lshlrev_b64 v[32:33], 4, v[30:31]
	v_add_u32_e32 v38, s19, v30
	v_add_co_u32_e32 v72, vcc, s6, v32
	v_ashrrev_i32_e32 v39, 31, v38
	v_addc_co_u32_e32 v73, vcc, v1, v33, vcc
	;; [unrolled: 5-line block ×12, first 2 shown]
	v_lshlrev_b64 v[94:95], 4, v[96:97]
	global_load_dwordx4 v[22:25], v[68:69], off
	global_load_dwordx4 v[26:29], v[70:71], off
	v_add_co_u32_e32 v94, vcc, s6, v94
	s_waitcnt vmcnt(30)
	buffer_store_dword v5, off, s[0:3], 0 offset:108
	global_load_dwordx4 v[30:33], v[72:73], off
	global_load_dwordx4 v[34:37], v[74:75], off
	;; [unrolled: 1-line block ×10, first 2 shown]
	v_addc_co_u32_e32 v95, vcc, v1, v95, vcc
	global_load_dwordx4 v[126:129], v[92:93], off
	global_load_dwordx4 v[130:133], v[94:95], off
	v_add_u32_e32 v98, s19, v96
	v_ashrrev_i32_e32 v99, 31, v98
	v_lshlrev_b64 v[96:97], 4, v[98:99]
	v_add_co_u32_e32 v96, vcc, s6, v96
	v_addc_co_u32_e32 v97, vcc, v1, v97, vcc
	v_add_u32_e32 v98, s19, v98
	v_ashrrev_i32_e32 v99, 31, v98
	global_load_dwordx4 v[134:137], v[96:97], off
	v_lshlrev_b64 v[98:99], 4, v[98:99]
	v_add_co_u32_e32 v98, vcc, s6, v98
	v_addc_co_u32_e32 v99, vcc, v1, v99, vcc
	global_load_dwordx4 v[138:141], v[98:99], off
	v_mov_b32_e32 v1, 0
	buffer_store_dword v4, off, s[0:3], 0 offset:104
	buffer_store_dword v3, off, s[0:3], 0 offset:100
	buffer_store_dword v2, off, s[0:3], 0 offset:96
	s_waitcnt vmcnt(31)
	buffer_store_dword v9, off, s[0:3], 0 offset:124
	buffer_store_dword v8, off, s[0:3], 0 offset:120
	buffer_store_dword v7, off, s[0:3], 0 offset:116
	buffer_store_dword v6, off, s[0:3], 0 offset:112
	s_waitcnt vmcnt(34)
	buffer_store_dword v13, off, s[0:3], 0 offset:140
	;; [unrolled: 5-line block ×15, first 2 shown]
	buffer_store_dword v120, off, s[0:3], 0 offset:344
	buffer_store_dword v119, off, s[0:3], 0 offset:340
	;; [unrolled: 1-line block ×11, first 2 shown]
	s_waitcnt vmcnt(62)
	buffer_store_dword v133, off, s[0:3], 0 offset:396
	buffer_store_dword v132, off, s[0:3], 0 offset:392
	;; [unrolled: 1-line block ×12, first 2 shown]
	v_add_u32_e32 v2, 16, v1
	v_accvgpr_write_b32 a44, v2
	v_add_u32_e32 v2, 32, v1
	v_accvgpr_write_b32 a43, v2
	;; [unrolled: 2-line block ×22, first 2 shown]
	v_add_u32_e32 v2, 0x180, v1
	v_add_u32_e32 v192, 48, v1
	v_accvgpr_write_b32 a22, v2
	v_add_u32_e32 v2, 0x190, v1
	v_add_u32_e32 v1, 0x1a0, v1
	v_accvgpr_write_b32 a21, v2
	v_accvgpr_write_b32 a20, v1
	s_mov_b64 s[8:9], -1
	s_cbranch_scc1 .LBB26_120
; %bb.4:
	v_cmp_eq_u32_e64 s[6:7], 0, v193
	s_and_saveexec_b64 s[8:9], s[6:7]
	s_cbranch_execz .LBB26_6
; %bb.5:
	v_mov_b32_e32 v1, 0
	ds_write_b32 v1, v1 offset:864
.LBB26_6:
	s_or_b64 exec, exec, s[8:9]
	v_mov_b32_e32 v1, 0
	v_lshl_add_u32 v12, v193, 4, v1
	s_waitcnt lgkmcnt(0)
	; wave barrier
	s_waitcnt lgkmcnt(0)
	buffer_load_dword v2, v12, s[0:3], 0 offen
	buffer_load_dword v3, v12, s[0:3], 0 offen offset:4
	buffer_load_dword v4, v12, s[0:3], 0 offen offset:8
	;; [unrolled: 1-line block ×3, first 2 shown]
	s_waitcnt vmcnt(2)
	v_cmp_eq_f64_e32 vcc, 0, v[2:3]
	s_waitcnt vmcnt(0)
	v_cmp_eq_f64_e64 s[8:9], 0, v[4:5]
	s_and_b64 s[8:9], vcc, s[8:9]
	s_and_saveexec_b64 s[12:13], s[8:9]
	s_cbranch_execz .LBB26_10
; %bb.7:
	v_mov_b32_e32 v2, 0
	ds_read_b32 v1, v2 offset:864
	v_add_u32_e32 v3, 1, v193
	s_waitcnt lgkmcnt(0)
	v_readfirstlane_b32 s8, v1
	s_cmp_eq_u32 s8, 0
	s_cselect_b64 s[16:17], -1, 0
	v_cmp_gt_i32_e32 vcc, s8, v3
	s_or_b64 s[16:17], s[16:17], vcc
	s_and_b64 exec, exec, s[16:17]
	s_cbranch_execz .LBB26_10
; %bb.8:
	s_mov_b64 s[16:17], 0
	v_mov_b32_e32 v4, s8
.LBB26_9:                               ; =>This Inner Loop Header: Depth=1
	ds_cmpst_rtn_b32 v4, v2, v4, v3 offset:864
	s_waitcnt lgkmcnt(0)
	v_cmp_ne_u32_e32 vcc, 0, v4
	v_cmp_le_i32_e64 s[8:9], v4, v3
	s_and_b64 s[8:9], vcc, s[8:9]
	s_and_b64 s[8:9], exec, s[8:9]
	s_or_b64 s[16:17], s[8:9], s[16:17]
	s_andn2_b64 exec, exec, s[16:17]
	s_cbranch_execnz .LBB26_9
.LBB26_10:
	s_or_b64 exec, exec, s[12:13]
	v_mov_b32_e32 v3, 0
	s_waitcnt lgkmcnt(0)
	; wave barrier
	ds_read_b32 v2, v3 offset:864
	s_and_saveexec_b64 s[8:9], s[6:7]
	s_cbranch_execz .LBB26_12
; %bb.11:
	s_lshl_b64 s[12:13], s[10:11], 2
	s_add_u32 s12, s14, s12
	s_addc_u32 s13, s15, s13
	s_waitcnt lgkmcnt(0)
	global_store_dword v3, v2, s[12:13]
.LBB26_12:
	s_or_b64 exec, exec, s[8:9]
	s_waitcnt lgkmcnt(0)
	v_cmp_ne_u32_e32 vcc, 0, v2
	s_mov_b64 s[8:9], 0
	s_cbranch_vccnz .LBB26_120
; %bb.13:
	buffer_load_dword v7, v12, s[0:3], 0 offen offset:4
	buffer_load_dword v6, v12, s[0:3], 0 offen
	buffer_load_dword v9, v12, s[0:3], 0 offen offset:12
	buffer_load_dword v8, v12, s[0:3], 0 offen offset:8
                                        ; implicit-def: $vgpr10_vgpr11
	s_waitcnt vmcnt(3)
	v_xor_b32_e32 v1, 0x80000000, v7
	s_waitcnt vmcnt(2)
	v_cmp_gt_f64_e32 vcc, 0, v[6:7]
	s_waitcnt vmcnt(1)
	v_xor_b32_e32 v4, 0x80000000, v9
	v_cndmask_b32_e32 v3, v7, v1, vcc
	s_waitcnt vmcnt(0)
	v_cmp_gt_f64_e32 vcc, 0, v[8:9]
	v_mov_b32_e32 v2, v6
	v_cndmask_b32_e32 v5, v9, v4, vcc
	v_mov_b32_e32 v4, v8
	v_cmp_ngt_f64_e32 vcc, v[2:3], v[4:5]
                                        ; implicit-def: $vgpr4_vgpr5
	s_and_saveexec_b64 s[8:9], vcc
	s_xor_b64 s[8:9], exec, s[8:9]
	s_cbranch_execz .LBB26_15
; %bb.14:
	v_div_scale_f64 v[2:3], s[12:13], v[8:9], v[8:9], v[6:7]
	v_rcp_f64_e32 v[4:5], v[2:3]
	v_div_scale_f64 v[10:11], vcc, v[6:7], v[8:9], v[6:7]
	v_fma_f64 v[14:15], -v[2:3], v[4:5], 1.0
	v_fmac_f64_e32 v[4:5], v[4:5], v[14:15]
	v_fma_f64 v[14:15], -v[2:3], v[4:5], 1.0
	v_fmac_f64_e32 v[4:5], v[4:5], v[14:15]
	v_mul_f64 v[14:15], v[10:11], v[4:5]
	v_fma_f64 v[2:3], -v[2:3], v[14:15], v[10:11]
	v_div_fmas_f64 v[2:3], v[2:3], v[4:5], v[14:15]
	v_div_fixup_f64 v[2:3], v[2:3], v[8:9], v[6:7]
	v_fmac_f64_e32 v[8:9], v[6:7], v[2:3]
	v_div_scale_f64 v[4:5], s[12:13], v[8:9], v[8:9], 1.0
	v_rcp_f64_e32 v[6:7], v[4:5]
	v_fma_f64 v[10:11], -v[4:5], v[6:7], 1.0
	v_fmac_f64_e32 v[6:7], v[6:7], v[10:11]
	v_fma_f64 v[10:11], -v[4:5], v[6:7], 1.0
	v_fmac_f64_e32 v[6:7], v[6:7], v[10:11]
	v_div_scale_f64 v[10:11], vcc, 1.0, v[8:9], 1.0
	v_mul_f64 v[14:15], v[10:11], v[6:7]
	v_fma_f64 v[4:5], -v[4:5], v[14:15], v[10:11]
	s_nop 1
	v_div_fmas_f64 v[4:5], v[4:5], v[6:7], v[14:15]
	v_div_fixup_f64 v[4:5], v[4:5], v[8:9], 1.0
	v_mul_f64 v[10:11], v[2:3], v[4:5]
	v_xor_b32_e32 v5, 0x80000000, v5
	v_xor_b32_e32 v3, 0x80000000, v11
	v_mov_b32_e32 v2, v10
                                        ; implicit-def: $vgpr6_vgpr7
                                        ; implicit-def: $vgpr8_vgpr9
.LBB26_15:
	s_andn2_saveexec_b64 s[8:9], s[8:9]
	s_cbranch_execz .LBB26_17
; %bb.16:
	v_div_scale_f64 v[2:3], s[12:13], v[6:7], v[6:7], v[8:9]
	v_rcp_f64_e32 v[4:5], v[2:3]
	v_div_scale_f64 v[10:11], vcc, v[8:9], v[6:7], v[8:9]
	v_fma_f64 v[14:15], -v[2:3], v[4:5], 1.0
	v_fmac_f64_e32 v[4:5], v[4:5], v[14:15]
	v_fma_f64 v[14:15], -v[2:3], v[4:5], 1.0
	v_fmac_f64_e32 v[4:5], v[4:5], v[14:15]
	v_mul_f64 v[14:15], v[10:11], v[4:5]
	v_fma_f64 v[2:3], -v[2:3], v[14:15], v[10:11]
	v_div_fmas_f64 v[2:3], v[2:3], v[4:5], v[14:15]
	v_div_fixup_f64 v[4:5], v[2:3], v[6:7], v[8:9]
	v_fmac_f64_e32 v[6:7], v[8:9], v[4:5]
	v_div_scale_f64 v[2:3], s[12:13], v[6:7], v[6:7], 1.0
	v_rcp_f64_e32 v[8:9], v[2:3]
	v_fma_f64 v[10:11], -v[2:3], v[8:9], 1.0
	v_fmac_f64_e32 v[8:9], v[8:9], v[10:11]
	v_fma_f64 v[10:11], -v[2:3], v[8:9], 1.0
	v_fmac_f64_e32 v[8:9], v[8:9], v[10:11]
	v_div_scale_f64 v[10:11], vcc, 1.0, v[6:7], 1.0
	v_mul_f64 v[14:15], v[10:11], v[8:9]
	v_fma_f64 v[2:3], -v[2:3], v[14:15], v[10:11]
	s_nop 1
	v_div_fmas_f64 v[2:3], v[2:3], v[8:9], v[14:15]
	v_div_fixup_f64 v[10:11], v[2:3], v[6:7], 1.0
	v_xor_b32_e32 v3, 0x80000000, v11
	v_mov_b32_e32 v2, v10
	v_mul_f64 v[4:5], v[4:5], -v[10:11]
.LBB26_17:
	s_or_b64 exec, exec, s[8:9]
	buffer_store_dword v11, v12, s[0:3], 0 offen offset:4
	buffer_store_dword v10, v12, s[0:3], 0 offen
	buffer_store_dword v5, v12, s[0:3], 0 offen offset:12
	buffer_store_dword v4, v12, s[0:3], 0 offen offset:8
	v_accvgpr_read_b32 v1, a44
	buffer_load_dword v11, v1, s[0:3], 0 offen offset:12
	buffer_load_dword v10, v1, s[0:3], 0 offen offset:8
	;; [unrolled: 1-line block ×3, first 2 shown]
	buffer_load_dword v8, v1, s[0:3], 0 offen
	v_xor_b32_e32 v5, 0x80000000, v5
	v_add_u32_e32 v6, 0x1b0, v100
	ds_write_b128 v100, v[2:5]
	s_waitcnt vmcnt(0)
	ds_write_b128 v100, v[8:11] offset:432
	s_waitcnt lgkmcnt(0)
	; wave barrier
	s_waitcnt lgkmcnt(0)
	s_and_saveexec_b64 s[8:9], s[6:7]
	s_cbranch_execz .LBB26_19
; %bb.18:
	buffer_load_dword v14, v12, s[0:3], 0 offen offset:8
	buffer_load_dword v15, v12, s[0:3], 0 offen offset:12
	buffer_load_dword v16, v12, s[0:3], 0 offen
	buffer_load_dword v17, v12, s[0:3], 0 offen offset:4
	ds_read_b128 v[2:5], v6
	v_mov_b32_e32 v1, 0
	ds_read_b128 v[8:11], v1 offset:16
	s_waitcnt vmcnt(2) lgkmcnt(1)
	v_mul_f64 v[18:19], v[4:5], v[14:15]
	v_mul_f64 v[14:15], v[2:3], v[14:15]
	s_waitcnt vmcnt(0)
	v_fmac_f64_e32 v[14:15], v[4:5], v[16:17]
	v_fma_f64 v[2:3], v[2:3], v[16:17], -v[18:19]
	v_add_f64 v[4:5], v[14:15], 0
	v_add_f64 v[2:3], v[2:3], 0
	s_waitcnt lgkmcnt(0)
	v_mul_f64 v[14:15], v[4:5], v[10:11]
	v_mul_f64 v[10:11], v[2:3], v[10:11]
	v_fma_f64 v[2:3], v[2:3], v[8:9], -v[14:15]
	v_fmac_f64_e32 v[10:11], v[4:5], v[8:9]
	buffer_store_dword v2, off, s[0:3], 0 offset:16
	buffer_store_dword v3, off, s[0:3], 0 offset:20
	;; [unrolled: 1-line block ×4, first 2 shown]
.LBB26_19:
	s_or_b64 exec, exec, s[8:9]
	v_accvgpr_read_b32 v1, a43
	s_waitcnt lgkmcnt(0)
	; wave barrier
	buffer_load_dword v2, v1, s[0:3], 0 offen
	buffer_load_dword v3, v1, s[0:3], 0 offen offset:4
	buffer_load_dword v4, v1, s[0:3], 0 offen offset:8
	;; [unrolled: 1-line block ×3, first 2 shown]
	v_cmp_gt_u32_e32 vcc, 2, v193
	s_waitcnt vmcnt(0)
	ds_write_b128 v6, v[2:5]
	s_waitcnt lgkmcnt(0)
	; wave barrier
	s_waitcnt lgkmcnt(0)
	s_and_saveexec_b64 s[8:9], vcc
	s_cbranch_execz .LBB26_23
; %bb.20:
	buffer_load_dword v8, v12, s[0:3], 0 offen offset:8
	buffer_load_dword v9, v12, s[0:3], 0 offen offset:12
	buffer_load_dword v10, v12, s[0:3], 0 offen
	buffer_load_dword v11, v12, s[0:3], 0 offen offset:4
	ds_read_b128 v[2:5], v6
	s_waitcnt vmcnt(2) lgkmcnt(0)
	v_mul_f64 v[12:13], v[4:5], v[8:9]
	v_mul_f64 v[8:9], v[2:3], v[8:9]
	s_waitcnt vmcnt(0)
	v_fma_f64 v[2:3], v[2:3], v[10:11], -v[12:13]
	v_fmac_f64_e32 v[8:9], v[4:5], v[10:11]
	v_add_f64 v[4:5], v[2:3], 0
	v_add_f64 v[2:3], v[8:9], 0
	s_and_saveexec_b64 s[12:13], s[6:7]
	s_cbranch_execz .LBB26_22
; %bb.21:
	buffer_load_dword v12, off, s[0:3], 0 offset:24
	buffer_load_dword v13, off, s[0:3], 0 offset:28
	;; [unrolled: 1-line block ×4, first 2 shown]
	v_mov_b32_e32 v1, 0
	ds_read_b128 v[8:11], v1 offset:448
	s_waitcnt vmcnt(2) lgkmcnt(0)
	v_mul_f64 v[16:17], v[8:9], v[12:13]
	v_mul_f64 v[12:13], v[10:11], v[12:13]
	s_waitcnt vmcnt(0)
	v_fmac_f64_e32 v[16:17], v[10:11], v[14:15]
	v_fma_f64 v[8:9], v[8:9], v[14:15], -v[12:13]
	v_add_f64 v[2:3], v[2:3], v[16:17]
	v_add_f64 v[4:5], v[4:5], v[8:9]
.LBB26_22:
	s_or_b64 exec, exec, s[12:13]
	v_mov_b32_e32 v1, 0
	ds_read_b128 v[8:11], v1 offset:32
	s_waitcnt lgkmcnt(0)
	v_mul_f64 v[12:13], v[2:3], v[10:11]
	v_mul_f64 v[10:11], v[4:5], v[10:11]
	v_fma_f64 v[4:5], v[4:5], v[8:9], -v[12:13]
	v_fmac_f64_e32 v[10:11], v[2:3], v[8:9]
	buffer_store_dword v5, off, s[0:3], 0 offset:36
	buffer_store_dword v4, off, s[0:3], 0 offset:32
	;; [unrolled: 1-line block ×4, first 2 shown]
.LBB26_23:
	s_or_b64 exec, exec, s[8:9]
	s_waitcnt lgkmcnt(0)
	; wave barrier
	buffer_load_dword v2, v192, s[0:3], 0 offen
	buffer_load_dword v3, v192, s[0:3], 0 offen offset:4
	buffer_load_dword v4, v192, s[0:3], 0 offen offset:8
	;; [unrolled: 1-line block ×3, first 2 shown]
	v_cmp_gt_u32_e32 vcc, 3, v193
	v_add_u32_e32 v7, -1, v193
	s_waitcnt vmcnt(0)
	ds_write_b128 v6, v[2:5]
	s_waitcnt lgkmcnt(0)
	; wave barrier
	s_waitcnt lgkmcnt(0)
	s_and_saveexec_b64 s[6:7], vcc
	s_cbranch_execz .LBB26_27
; %bb.24:
	v_pk_mov_b32 v[2:3], 0, 0
	v_add_u32_e32 v8, -1, v193
	v_add_u32_e32 v9, 0x1b0, v100
	v_add_u32_e32 v10, 0, v100
	s_mov_b64 s[8:9], 0
	v_pk_mov_b32 v[4:5], v[2:3], v[2:3] op_sel:[0,1]
.LBB26_25:                              ; =>This Inner Loop Header: Depth=1
	buffer_load_dword v16, v10, s[0:3], 0 offen offset:8
	buffer_load_dword v17, v10, s[0:3], 0 offen offset:12
	buffer_load_dword v18, v10, s[0:3], 0 offen
	buffer_load_dword v19, v10, s[0:3], 0 offen offset:4
	ds_read_b128 v[12:15], v9
	v_add_u32_e32 v8, 1, v8
	v_cmp_lt_u32_e32 vcc, 1, v8
	v_add_u32_e32 v9, 16, v9
	v_add_u32_e32 v10, 16, v10
	s_or_b64 s[8:9], vcc, s[8:9]
	s_waitcnt vmcnt(2) lgkmcnt(0)
	v_mul_f64 v[20:21], v[14:15], v[16:17]
	v_mul_f64 v[16:17], v[12:13], v[16:17]
	s_waitcnt vmcnt(0)
	v_fma_f64 v[12:13], v[12:13], v[18:19], -v[20:21]
	v_fmac_f64_e32 v[16:17], v[14:15], v[18:19]
	v_add_f64 v[4:5], v[4:5], v[12:13]
	v_add_f64 v[2:3], v[2:3], v[16:17]
	s_andn2_b64 exec, exec, s[8:9]
	s_cbranch_execnz .LBB26_25
; %bb.26:
	s_or_b64 exec, exec, s[8:9]
	v_mov_b32_e32 v1, 0
	ds_read_b128 v[8:11], v1 offset:48
	s_waitcnt lgkmcnt(0)
	v_mul_f64 v[12:13], v[2:3], v[10:11]
	v_mul_f64 v[10:11], v[4:5], v[10:11]
	v_fma_f64 v[4:5], v[4:5], v[8:9], -v[12:13]
	v_fmac_f64_e32 v[10:11], v[2:3], v[8:9]
	buffer_store_dword v5, off, s[0:3], 0 offset:52
	buffer_store_dword v4, off, s[0:3], 0 offset:48
	buffer_store_dword v11, off, s[0:3], 0 offset:60
	buffer_store_dword v10, off, s[0:3], 0 offset:56
.LBB26_27:
	s_or_b64 exec, exec, s[6:7]
	v_accvgpr_read_b32 v1, a39
	s_waitcnt lgkmcnt(0)
	; wave barrier
	buffer_load_dword v2, v1, s[0:3], 0 offen
	buffer_load_dword v3, v1, s[0:3], 0 offen offset:4
	buffer_load_dword v4, v1, s[0:3], 0 offen offset:8
	buffer_load_dword v5, v1, s[0:3], 0 offen offset:12
	v_cmp_gt_u32_e32 vcc, 4, v193
	s_waitcnt vmcnt(0)
	ds_write_b128 v6, v[2:5]
	s_waitcnt lgkmcnt(0)
	; wave barrier
	s_waitcnt lgkmcnt(0)
	s_and_saveexec_b64 s[6:7], vcc
	s_cbranch_execz .LBB26_31
; %bb.28:
	v_pk_mov_b32 v[2:3], 0, 0
	v_add_u32_e32 v8, -1, v193
	v_add_u32_e32 v9, 0x1b0, v100
	v_add_u32_e32 v10, 0, v100
	s_mov_b64 s[8:9], 0
	v_pk_mov_b32 v[4:5], v[2:3], v[2:3] op_sel:[0,1]
.LBB26_29:                              ; =>This Inner Loop Header: Depth=1
	buffer_load_dword v16, v10, s[0:3], 0 offen offset:8
	buffer_load_dword v17, v10, s[0:3], 0 offen offset:12
	buffer_load_dword v18, v10, s[0:3], 0 offen
	buffer_load_dword v19, v10, s[0:3], 0 offen offset:4
	ds_read_b128 v[12:15], v9
	v_add_u32_e32 v8, 1, v8
	v_cmp_lt_u32_e32 vcc, 2, v8
	v_add_u32_e32 v9, 16, v9
	v_add_u32_e32 v10, 16, v10
	s_or_b64 s[8:9], vcc, s[8:9]
	s_waitcnt vmcnt(2) lgkmcnt(0)
	v_mul_f64 v[20:21], v[14:15], v[16:17]
	v_mul_f64 v[16:17], v[12:13], v[16:17]
	s_waitcnt vmcnt(0)
	v_fma_f64 v[12:13], v[12:13], v[18:19], -v[20:21]
	v_fmac_f64_e32 v[16:17], v[14:15], v[18:19]
	v_add_f64 v[4:5], v[4:5], v[12:13]
	v_add_f64 v[2:3], v[2:3], v[16:17]
	s_andn2_b64 exec, exec, s[8:9]
	s_cbranch_execnz .LBB26_29
; %bb.30:
	s_or_b64 exec, exec, s[8:9]
	v_mov_b32_e32 v1, 0
	ds_read_b128 v[8:11], v1 offset:64
	s_waitcnt lgkmcnt(0)
	v_mul_f64 v[12:13], v[2:3], v[10:11]
	v_mul_f64 v[10:11], v[4:5], v[10:11]
	v_fma_f64 v[4:5], v[4:5], v[8:9], -v[12:13]
	v_fmac_f64_e32 v[10:11], v[2:3], v[8:9]
	buffer_store_dword v5, off, s[0:3], 0 offset:68
	buffer_store_dword v4, off, s[0:3], 0 offset:64
	buffer_store_dword v11, off, s[0:3], 0 offset:76
	buffer_store_dword v10, off, s[0:3], 0 offset:72
.LBB26_31:
	s_or_b64 exec, exec, s[6:7]
	v_accvgpr_read_b32 v1, a40
	s_waitcnt lgkmcnt(0)
	; wave barrier
	buffer_load_dword v2, v1, s[0:3], 0 offen
	buffer_load_dword v3, v1, s[0:3], 0 offen offset:4
	buffer_load_dword v4, v1, s[0:3], 0 offen offset:8
	buffer_load_dword v5, v1, s[0:3], 0 offen offset:12
	v_cmp_gt_u32_e32 vcc, 5, v193
	;; [unrolled: 58-line block ×19, first 2 shown]
	s_waitcnt vmcnt(0)
	ds_write_b128 v6, v[2:5]
	s_waitcnt lgkmcnt(0)
	; wave barrier
	s_waitcnt lgkmcnt(0)
	s_and_saveexec_b64 s[6:7], vcc
	s_cbranch_execz .LBB26_103
; %bb.100:
	v_pk_mov_b32 v[2:3], 0, 0
	v_add_u32_e32 v8, -1, v193
	v_add_u32_e32 v9, 0x1b0, v100
	v_add_u32_e32 v10, 0, v100
	s_mov_b64 s[8:9], 0
	v_pk_mov_b32 v[4:5], v[2:3], v[2:3] op_sel:[0,1]
.LBB26_101:                             ; =>This Inner Loop Header: Depth=1
	buffer_load_dword v16, v10, s[0:3], 0 offen offset:8
	buffer_load_dword v17, v10, s[0:3], 0 offen offset:12
	buffer_load_dword v18, v10, s[0:3], 0 offen
	buffer_load_dword v19, v10, s[0:3], 0 offen offset:4
	ds_read_b128 v[12:15], v9
	v_add_u32_e32 v8, 1, v8
	v_cmp_lt_u32_e32 vcc, 20, v8
	v_add_u32_e32 v9, 16, v9
	v_add_u32_e32 v10, 16, v10
	s_or_b64 s[8:9], vcc, s[8:9]
	s_waitcnt vmcnt(2) lgkmcnt(0)
	v_mul_f64 v[20:21], v[14:15], v[16:17]
	v_mul_f64 v[16:17], v[12:13], v[16:17]
	s_waitcnt vmcnt(0)
	v_fma_f64 v[12:13], v[12:13], v[18:19], -v[20:21]
	v_fmac_f64_e32 v[16:17], v[14:15], v[18:19]
	v_add_f64 v[4:5], v[4:5], v[12:13]
	v_add_f64 v[2:3], v[2:3], v[16:17]
	s_andn2_b64 exec, exec, s[8:9]
	s_cbranch_execnz .LBB26_101
; %bb.102:
	s_or_b64 exec, exec, s[8:9]
	v_mov_b32_e32 v1, 0
	ds_read_b128 v[8:11], v1 offset:352
	s_waitcnt lgkmcnt(0)
	v_mul_f64 v[12:13], v[2:3], v[10:11]
	v_mul_f64 v[10:11], v[4:5], v[10:11]
	v_fma_f64 v[4:5], v[4:5], v[8:9], -v[12:13]
	v_fmac_f64_e32 v[10:11], v[2:3], v[8:9]
	buffer_store_dword v5, off, s[0:3], 0 offset:356
	buffer_store_dword v4, off, s[0:3], 0 offset:352
	buffer_store_dword v11, off, s[0:3], 0 offset:364
	buffer_store_dword v10, off, s[0:3], 0 offset:360
.LBB26_103:
	s_or_b64 exec, exec, s[6:7]
	v_accvgpr_read_b32 v1, a23
	s_waitcnt lgkmcnt(0)
	; wave barrier
	buffer_load_dword v2, v1, s[0:3], 0 offen
	buffer_load_dword v3, v1, s[0:3], 0 offen offset:4
	buffer_load_dword v4, v1, s[0:3], 0 offen offset:8
	buffer_load_dword v5, v1, s[0:3], 0 offen offset:12
	v_cmp_gt_u32_e32 vcc, 23, v193
	s_waitcnt vmcnt(0)
	ds_write_b128 v6, v[2:5]
	s_waitcnt lgkmcnt(0)
	; wave barrier
	s_waitcnt lgkmcnt(0)
	s_and_saveexec_b64 s[6:7], vcc
	s_cbranch_execz .LBB26_107
; %bb.104:
	v_pk_mov_b32 v[2:3], 0, 0
	v_add_u32_e32 v8, -1, v193
	v_add_u32_e32 v9, 0x1b0, v100
	v_add_u32_e32 v10, 0, v100
	s_mov_b64 s[8:9], 0
	v_pk_mov_b32 v[4:5], v[2:3], v[2:3] op_sel:[0,1]
.LBB26_105:                             ; =>This Inner Loop Header: Depth=1
	buffer_load_dword v16, v10, s[0:3], 0 offen offset:8
	buffer_load_dword v17, v10, s[0:3], 0 offen offset:12
	buffer_load_dword v18, v10, s[0:3], 0 offen
	buffer_load_dword v19, v10, s[0:3], 0 offen offset:4
	ds_read_b128 v[12:15], v9
	v_add_u32_e32 v8, 1, v8
	v_cmp_lt_u32_e32 vcc, 21, v8
	v_add_u32_e32 v9, 16, v9
	v_add_u32_e32 v10, 16, v10
	s_or_b64 s[8:9], vcc, s[8:9]
	s_waitcnt vmcnt(2) lgkmcnt(0)
	v_mul_f64 v[20:21], v[14:15], v[16:17]
	v_mul_f64 v[16:17], v[12:13], v[16:17]
	s_waitcnt vmcnt(0)
	v_fma_f64 v[12:13], v[12:13], v[18:19], -v[20:21]
	v_fmac_f64_e32 v[16:17], v[14:15], v[18:19]
	v_add_f64 v[4:5], v[4:5], v[12:13]
	v_add_f64 v[2:3], v[2:3], v[16:17]
	s_andn2_b64 exec, exec, s[8:9]
	s_cbranch_execnz .LBB26_105
; %bb.106:
	s_or_b64 exec, exec, s[8:9]
	v_mov_b32_e32 v1, 0
	ds_read_b128 v[8:11], v1 offset:368
	s_waitcnt lgkmcnt(0)
	v_mul_f64 v[12:13], v[2:3], v[10:11]
	v_mul_f64 v[10:11], v[4:5], v[10:11]
	v_fma_f64 v[4:5], v[4:5], v[8:9], -v[12:13]
	v_fmac_f64_e32 v[10:11], v[2:3], v[8:9]
	buffer_store_dword v5, off, s[0:3], 0 offset:372
	buffer_store_dword v4, off, s[0:3], 0 offset:368
	buffer_store_dword v11, off, s[0:3], 0 offset:380
	buffer_store_dword v10, off, s[0:3], 0 offset:376
.LBB26_107:
	s_or_b64 exec, exec, s[6:7]
	v_accvgpr_read_b32 v1, a22
	s_waitcnt lgkmcnt(0)
	; wave barrier
	buffer_load_dword v2, v1, s[0:3], 0 offen
	buffer_load_dword v3, v1, s[0:3], 0 offen offset:4
	buffer_load_dword v4, v1, s[0:3], 0 offen offset:8
	buffer_load_dword v5, v1, s[0:3], 0 offen offset:12
	v_cmp_gt_u32_e32 vcc, 24, v193
	;; [unrolled: 58-line block ×3, first 2 shown]
	s_waitcnt vmcnt(0)
	ds_write_b128 v6, v[2:5]
	s_waitcnt lgkmcnt(0)
	; wave barrier
	s_waitcnt lgkmcnt(0)
	s_and_saveexec_b64 s[6:7], vcc
	s_cbranch_execz .LBB26_115
; %bb.112:
	v_pk_mov_b32 v[2:3], 0, 0
	v_add_u32_e32 v8, -1, v193
	v_add_u32_e32 v9, 0x1b0, v100
	v_add_u32_e32 v10, 0, v100
	s_mov_b64 s[8:9], 0
	v_pk_mov_b32 v[4:5], v[2:3], v[2:3] op_sel:[0,1]
.LBB26_113:                             ; =>This Inner Loop Header: Depth=1
	buffer_load_dword v16, v10, s[0:3], 0 offen offset:8
	buffer_load_dword v17, v10, s[0:3], 0 offen offset:12
	buffer_load_dword v18, v10, s[0:3], 0 offen
	buffer_load_dword v19, v10, s[0:3], 0 offen offset:4
	ds_read_b128 v[12:15], v9
	v_add_u32_e32 v8, 1, v8
	v_cmp_lt_u32_e32 vcc, 23, v8
	v_add_u32_e32 v9, 16, v9
	v_add_u32_e32 v10, 16, v10
	s_or_b64 s[8:9], vcc, s[8:9]
	s_waitcnt vmcnt(2) lgkmcnt(0)
	v_mul_f64 v[20:21], v[14:15], v[16:17]
	v_mul_f64 v[16:17], v[12:13], v[16:17]
	s_waitcnt vmcnt(0)
	v_fma_f64 v[12:13], v[12:13], v[18:19], -v[20:21]
	v_fmac_f64_e32 v[16:17], v[14:15], v[18:19]
	v_add_f64 v[4:5], v[4:5], v[12:13]
	v_add_f64 v[2:3], v[2:3], v[16:17]
	s_andn2_b64 exec, exec, s[8:9]
	s_cbranch_execnz .LBB26_113
; %bb.114:
	s_or_b64 exec, exec, s[8:9]
	v_mov_b32_e32 v1, 0
	ds_read_b128 v[8:11], v1 offset:400
	s_waitcnt lgkmcnt(0)
	v_mul_f64 v[12:13], v[2:3], v[10:11]
	v_mul_f64 v[10:11], v[4:5], v[10:11]
	v_fma_f64 v[4:5], v[4:5], v[8:9], -v[12:13]
	v_fmac_f64_e32 v[10:11], v[2:3], v[8:9]
	buffer_store_dword v5, off, s[0:3], 0 offset:404
	buffer_store_dword v4, off, s[0:3], 0 offset:400
	;; [unrolled: 1-line block ×4, first 2 shown]
.LBB26_115:
	s_or_b64 exec, exec, s[6:7]
	v_accvgpr_read_b32 v1, a20
	s_waitcnt lgkmcnt(0)
	; wave barrier
	buffer_load_dword v2, v1, s[0:3], 0 offen
	buffer_load_dword v3, v1, s[0:3], 0 offen offset:4
	buffer_load_dword v4, v1, s[0:3], 0 offen offset:8
	;; [unrolled: 1-line block ×3, first 2 shown]
	v_cmp_ne_u32_e32 vcc, 26, v193
	s_waitcnt vmcnt(0)
	ds_write_b128 v6, v[2:5]
	s_waitcnt lgkmcnt(0)
	; wave barrier
	s_waitcnt lgkmcnt(0)
	s_and_saveexec_b64 s[6:7], vcc
	s_cbranch_execz .LBB26_119
; %bb.116:
	v_pk_mov_b32 v[2:3], 0, 0
	v_add_u32_e32 v6, 0x1b0, v100
	v_add_u32_e32 v8, 0, v100
	s_mov_b64 s[8:9], 0
	v_pk_mov_b32 v[4:5], v[2:3], v[2:3] op_sel:[0,1]
.LBB26_117:                             ; =>This Inner Loop Header: Depth=1
	buffer_load_dword v14, v8, s[0:3], 0 offen offset:8
	buffer_load_dword v15, v8, s[0:3], 0 offen offset:12
	buffer_load_dword v16, v8, s[0:3], 0 offen
	buffer_load_dword v17, v8, s[0:3], 0 offen offset:4
	ds_read_b128 v[10:13], v6
	v_add_u32_e32 v7, 1, v7
	v_cmp_lt_u32_e32 vcc, 24, v7
	v_add_u32_e32 v6, 16, v6
	v_add_u32_e32 v8, 16, v8
	s_or_b64 s[8:9], vcc, s[8:9]
	s_waitcnt vmcnt(2) lgkmcnt(0)
	v_mul_f64 v[18:19], v[12:13], v[14:15]
	v_mul_f64 v[14:15], v[10:11], v[14:15]
	s_waitcnt vmcnt(0)
	v_fma_f64 v[10:11], v[10:11], v[16:17], -v[18:19]
	v_fmac_f64_e32 v[14:15], v[12:13], v[16:17]
	v_add_f64 v[4:5], v[4:5], v[10:11]
	v_add_f64 v[2:3], v[2:3], v[14:15]
	s_andn2_b64 exec, exec, s[8:9]
	s_cbranch_execnz .LBB26_117
; %bb.118:
	s_or_b64 exec, exec, s[8:9]
	v_mov_b32_e32 v1, 0
	ds_read_b128 v[6:9], v1 offset:416
	s_waitcnt lgkmcnt(0)
	v_mul_f64 v[10:11], v[2:3], v[8:9]
	v_mul_f64 v[8:9], v[4:5], v[8:9]
	v_fma_f64 v[4:5], v[4:5], v[6:7], -v[10:11]
	v_fmac_f64_e32 v[8:9], v[2:3], v[6:7]
	buffer_store_dword v5, off, s[0:3], 0 offset:420
	buffer_store_dword v4, off, s[0:3], 0 offset:416
	;; [unrolled: 1-line block ×4, first 2 shown]
.LBB26_119:
	s_or_b64 exec, exec, s[6:7]
	s_mov_b64 s[8:9], -1
	s_waitcnt lgkmcnt(0)
	; wave barrier
.LBB26_120:
	s_and_b64 vcc, exec, s[8:9]
	s_cbranch_vccz .LBB26_122
; %bb.121:
	s_lshl_b64 s[6:7], s[10:11], 2
	s_add_u32 s6, s14, s6
	s_addc_u32 s7, s15, s7
	v_mov_b32_e32 v1, 0
	global_load_dword v1, v1, s[6:7]
	s_waitcnt vmcnt(0)
	v_cmp_ne_u32_e32 vcc, 0, v1
	s_cbranch_vccz .LBB26_123
.LBB26_122:
	s_endpgm
.LBB26_123:
	v_mov_b32_e32 v1, 0x1b0
	v_lshl_add_u32 v1, v193, 4, v1
	v_cmp_eq_u32_e32 vcc, 26, v193
	s_and_saveexec_b64 s[6:7], vcc
	s_cbranch_execz .LBB26_125
; %bb.124:
	v_accvgpr_read_b32 v5, a21
	buffer_load_dword v2, v5, s[0:3], 0 offen
	buffer_load_dword v3, v5, s[0:3], 0 offen offset:4
	buffer_load_dword v4, v5, s[0:3], 0 offen offset:8
	s_nop 0
	buffer_load_dword v5, v5, s[0:3], 0 offen offset:12
	v_mov_b32_e32 v6, 0
	buffer_store_dword v6, off, s[0:3], 0 offset:400
	buffer_store_dword v6, off, s[0:3], 0 offset:404
	;; [unrolled: 1-line block ×4, first 2 shown]
	s_waitcnt vmcnt(4)
	ds_write_b128 v1, v[2:5]
.LBB26_125:
	s_or_b64 exec, exec, s[6:7]
	s_waitcnt lgkmcnt(0)
	; wave barrier
	s_waitcnt lgkmcnt(0)
	buffer_load_dword v8, off, s[0:3], 0 offset:424
	buffer_load_dword v9, off, s[0:3], 0 offset:428
	;; [unrolled: 1-line block ×8, first 2 shown]
	v_mov_b32_e32 v2, 0
	ds_read_b128 v[4:7], v2 offset:848
	v_cmp_lt_u32_e32 vcc, 24, v193
	s_waitcnt vmcnt(6) lgkmcnt(0)
	v_mul_f64 v[16:17], v[4:5], v[8:9]
	v_mul_f64 v[8:9], v[6:7], v[8:9]
	s_waitcnt vmcnt(4)
	v_fma_f64 v[4:5], v[4:5], v[10:11], -v[8:9]
	v_fmac_f64_e32 v[16:17], v[6:7], v[10:11]
	v_add_f64 v[4:5], v[4:5], 0
	v_add_f64 v[6:7], v[16:17], 0
	s_waitcnt vmcnt(2)
	v_add_f64 v[4:5], v[12:13], -v[4:5]
	s_waitcnt vmcnt(0)
	v_add_f64 v[6:7], v[14:15], -v[6:7]
	buffer_store_dword v4, off, s[0:3], 0 offset:400
	buffer_store_dword v5, off, s[0:3], 0 offset:404
	;; [unrolled: 1-line block ×4, first 2 shown]
	s_and_saveexec_b64 s[6:7], vcc
	s_cbranch_execz .LBB26_127
; %bb.126:
	v_accvgpr_read_b32 v3, a22
	buffer_load_dword v4, v3, s[0:3], 0 offen
	buffer_load_dword v5, v3, s[0:3], 0 offen offset:4
	buffer_load_dword v6, v3, s[0:3], 0 offen offset:8
	;; [unrolled: 1-line block ×3, first 2 shown]
	s_nop 0
	buffer_store_dword v2, off, s[0:3], 0 offset:384
	buffer_store_dword v2, off, s[0:3], 0 offset:388
	;; [unrolled: 1-line block ×4, first 2 shown]
	s_waitcnt vmcnt(4)
	ds_write_b128 v1, v[4:7]
.LBB26_127:
	s_or_b64 exec, exec, s[6:7]
	s_waitcnt lgkmcnt(0)
	; wave barrier
	s_waitcnt lgkmcnt(0)
	buffer_load_dword v12, off, s[0:3], 0 offset:408
	buffer_load_dword v13, off, s[0:3], 0 offset:412
	;; [unrolled: 1-line block ×12, first 2 shown]
	ds_read_b128 v[4:7], v2 offset:832
	ds_read_b128 v[8:11], v2 offset:848
	v_cmp_lt_u32_e32 vcc, 23, v193
	s_waitcnt vmcnt(10) lgkmcnt(1)
	v_mul_f64 v[2:3], v[4:5], v[12:13]
	v_mul_f64 v[12:13], v[6:7], v[12:13]
	s_waitcnt vmcnt(8) lgkmcnt(0)
	v_mul_f64 v[24:25], v[8:9], v[14:15]
	v_mul_f64 v[14:15], v[10:11], v[14:15]
	s_waitcnt vmcnt(6)
	v_fma_f64 v[4:5], v[4:5], v[16:17], -v[12:13]
	v_fmac_f64_e32 v[2:3], v[6:7], v[16:17]
	s_waitcnt vmcnt(4)
	v_fma_f64 v[6:7], v[8:9], v[18:19], -v[14:15]
	v_add_f64 v[4:5], v[4:5], 0
	v_fmac_f64_e32 v[24:25], v[10:11], v[18:19]
	v_add_f64 v[2:3], v[2:3], 0
	v_add_f64 v[4:5], v[4:5], v[6:7]
	;; [unrolled: 1-line block ×3, first 2 shown]
	s_waitcnt vmcnt(2)
	v_add_f64 v[4:5], v[20:21], -v[4:5]
	s_waitcnt vmcnt(0)
	v_add_f64 v[2:3], v[22:23], -v[2:3]
	buffer_store_dword v4, off, s[0:3], 0 offset:384
	buffer_store_dword v5, off, s[0:3], 0 offset:388
	;; [unrolled: 1-line block ×4, first 2 shown]
	s_and_saveexec_b64 s[6:7], vcc
	s_cbranch_execz .LBB26_129
; %bb.128:
	v_accvgpr_read_b32 v5, a23
	buffer_load_dword v2, v5, s[0:3], 0 offen
	buffer_load_dword v3, v5, s[0:3], 0 offen offset:4
	buffer_load_dword v4, v5, s[0:3], 0 offen offset:8
	s_nop 0
	buffer_load_dword v5, v5, s[0:3], 0 offen offset:12
	v_mov_b32_e32 v6, 0
	buffer_store_dword v6, off, s[0:3], 0 offset:368
	buffer_store_dword v6, off, s[0:3], 0 offset:372
	;; [unrolled: 1-line block ×4, first 2 shown]
	s_waitcnt vmcnt(4)
	ds_write_b128 v1, v[2:5]
.LBB26_129:
	s_or_b64 exec, exec, s[6:7]
	s_waitcnt lgkmcnt(0)
	; wave barrier
	s_waitcnt lgkmcnt(0)
	buffer_load_dword v16, off, s[0:3], 0 offset:392
	buffer_load_dword v17, off, s[0:3], 0 offset:396
	;; [unrolled: 1-line block ×16, first 2 shown]
	v_mov_b32_e32 v2, 0
	ds_read_b128 v[4:7], v2 offset:816
	ds_read_b128 v[8:11], v2 offset:832
	;; [unrolled: 1-line block ×3, first 2 shown]
	v_cmp_lt_u32_e32 vcc, 22, v193
	s_waitcnt vmcnt(14) lgkmcnt(2)
	v_mul_f64 v[32:33], v[4:5], v[16:17]
	v_mul_f64 v[16:17], v[6:7], v[16:17]
	s_waitcnt vmcnt(12) lgkmcnt(1)
	v_mul_f64 v[34:35], v[8:9], v[18:19]
	v_mul_f64 v[18:19], v[10:11], v[18:19]
	s_waitcnt vmcnt(10) lgkmcnt(0)
	v_mul_f64 v[36:37], v[12:13], v[20:21]
	v_mul_f64 v[20:21], v[14:15], v[20:21]
	s_waitcnt vmcnt(8)
	v_fma_f64 v[4:5], v[4:5], v[22:23], -v[16:17]
	v_fmac_f64_e32 v[32:33], v[6:7], v[22:23]
	s_waitcnt vmcnt(6)
	v_fma_f64 v[6:7], v[8:9], v[24:25], -v[18:19]
	v_add_f64 v[4:5], v[4:5], 0
	v_fmac_f64_e32 v[34:35], v[10:11], v[24:25]
	s_waitcnt vmcnt(4)
	v_fma_f64 v[8:9], v[12:13], v[26:27], -v[20:21]
	v_add_f64 v[10:11], v[32:33], 0
	v_add_f64 v[4:5], v[4:5], v[6:7]
	v_fmac_f64_e32 v[36:37], v[14:15], v[26:27]
	v_add_f64 v[10:11], v[10:11], v[34:35]
	v_add_f64 v[4:5], v[4:5], v[8:9]
	;; [unrolled: 1-line block ×3, first 2 shown]
	s_waitcnt vmcnt(2)
	v_add_f64 v[4:5], v[28:29], -v[4:5]
	s_waitcnt vmcnt(0)
	v_add_f64 v[6:7], v[30:31], -v[6:7]
	buffer_store_dword v4, off, s[0:3], 0 offset:368
	buffer_store_dword v5, off, s[0:3], 0 offset:372
	;; [unrolled: 1-line block ×4, first 2 shown]
	s_and_saveexec_b64 s[6:7], vcc
	s_cbranch_execz .LBB26_131
; %bb.130:
	v_accvgpr_read_b32 v3, a24
	buffer_load_dword v4, v3, s[0:3], 0 offen
	buffer_load_dword v5, v3, s[0:3], 0 offen offset:4
	buffer_load_dword v6, v3, s[0:3], 0 offen offset:8
	;; [unrolled: 1-line block ×3, first 2 shown]
	s_nop 0
	buffer_store_dword v2, off, s[0:3], 0 offset:352
	buffer_store_dword v2, off, s[0:3], 0 offset:356
	;; [unrolled: 1-line block ×4, first 2 shown]
	s_waitcnt vmcnt(4)
	ds_write_b128 v1, v[4:7]
.LBB26_131:
	s_or_b64 exec, exec, s[6:7]
	s_waitcnt lgkmcnt(0)
	; wave barrier
	s_waitcnt lgkmcnt(0)
	ds_read_b128 v[4:7], v2 offset:800
	ds_read_b128 v[8:11], v2 offset:816
	;; [unrolled: 1-line block ×4, first 2 shown]
	buffer_load_dword v2, off, s[0:3], 0 offset:352
	buffer_load_dword v3, off, s[0:3], 0 offset:356
	;; [unrolled: 1-line block ×16, first 2 shown]
	v_cmp_lt_u32_e32 vcc, 21, v193
	s_waitcnt vmcnt(8) lgkmcnt(3)
	v_mul_f64 v[34:35], v[4:5], v[24:25]
	v_fmac_f64_e32 v[34:35], v[6:7], v[22:23]
	v_add_f64 v[34:35], v[34:35], 0
	v_mul_f64 v[6:7], v[6:7], v[24:25]
	s_waitcnt vmcnt(4) lgkmcnt(2)
	v_mul_f64 v[36:37], v[8:9], v[28:29]
	v_fmac_f64_e32 v[36:37], v[10:11], v[26:27]
	v_add_f64 v[34:35], v[34:35], v[36:37]
	v_fma_f64 v[4:5], v[4:5], v[22:23], -v[6:7]
	s_waitcnt vmcnt(0) lgkmcnt(1)
	v_mul_f64 v[36:37], v[12:13], v[32:33]
	v_fmac_f64_e32 v[36:37], v[14:15], v[30:31]
	v_add_f64 v[34:35], v[34:35], v[36:37]
	buffer_load_dword v37, off, s[0:3], 0 offset:420
	buffer_load_dword v36, off, s[0:3], 0 offset:416
	;; [unrolled: 1-line block ×4, first 2 shown]
	v_mul_f64 v[6:7], v[10:11], v[28:29]
	v_add_f64 v[4:5], v[4:5], 0
	v_fma_f64 v[6:7], v[8:9], v[26:27], -v[6:7]
	v_add_f64 v[4:5], v[4:5], v[6:7]
	v_mul_f64 v[6:7], v[14:15], v[32:33]
	v_fma_f64 v[6:7], v[12:13], v[30:31], -v[6:7]
	v_add_f64 v[4:5], v[4:5], v[6:7]
	s_waitcnt vmcnt(0) lgkmcnt(0)
	v_mul_f64 v[6:7], v[18:19], v[38:39]
	v_mul_f64 v[40:41], v[16:17], v[38:39]
	v_fma_f64 v[6:7], v[16:17], v[36:37], -v[6:7]
	v_fmac_f64_e32 v[40:41], v[18:19], v[36:37]
	v_add_f64 v[4:5], v[4:5], v[6:7]
	v_add_f64 v[34:35], v[34:35], v[40:41]
	v_add_f64 v[2:3], v[2:3], -v[4:5]
	v_add_f64 v[4:5], v[20:21], -v[34:35]
	buffer_store_dword v2, off, s[0:3], 0 offset:352
	buffer_store_dword v3, off, s[0:3], 0 offset:356
	;; [unrolled: 1-line block ×4, first 2 shown]
	s_and_saveexec_b64 s[6:7], vcc
	s_cbranch_execz .LBB26_133
; %bb.132:
	v_accvgpr_read_b32 v5, a25
	buffer_load_dword v2, v5, s[0:3], 0 offen
	buffer_load_dword v3, v5, s[0:3], 0 offen offset:4
	buffer_load_dword v4, v5, s[0:3], 0 offen offset:8
	s_nop 0
	buffer_load_dword v5, v5, s[0:3], 0 offen offset:12
	v_mov_b32_e32 v6, 0
	buffer_store_dword v6, off, s[0:3], 0 offset:336
	buffer_store_dword v6, off, s[0:3], 0 offset:340
	;; [unrolled: 1-line block ×4, first 2 shown]
	s_waitcnt vmcnt(4)
	ds_write_b128 v1, v[2:5]
.LBB26_133:
	s_or_b64 exec, exec, s[6:7]
	s_waitcnt lgkmcnt(0)
	; wave barrier
	s_waitcnt lgkmcnt(0)
	buffer_load_dword v24, off, s[0:3], 0 offset:360
	buffer_load_dword v25, off, s[0:3], 0 offset:364
	;; [unrolled: 1-line block ×24, first 2 shown]
	v_mov_b32_e32 v2, 0
	ds_read_b128 v[4:7], v2 offset:784
	ds_read_b128 v[8:11], v2 offset:800
	;; [unrolled: 1-line block ×5, first 2 shown]
	v_cmp_lt_u32_e32 vcc, 20, v193
	s_waitcnt vmcnt(22) lgkmcnt(4)
	v_mul_f64 v[102:103], v[4:5], v[24:25]
	v_mul_f64 v[24:25], v[6:7], v[24:25]
	s_waitcnt vmcnt(20) lgkmcnt(3)
	v_mul_f64 v[104:105], v[8:9], v[26:27]
	v_mul_f64 v[26:27], v[10:11], v[26:27]
	;; [unrolled: 3-line block ×4, first 2 shown]
	s_waitcnt vmcnt(13) lgkmcnt(0)
	v_mul_f64 v[110:111], v[20:21], v[30:31]
	s_waitcnt vmcnt(11)
	v_fma_f64 v[4:5], v[4:5], v[36:37], -v[24:25]
	v_fmac_f64_e32 v[102:103], v[6:7], v[36:37]
	s_waitcnt vmcnt(9)
	v_fma_f64 v[6:7], v[8:9], v[38:39], -v[26:27]
	v_add_f64 v[4:5], v[4:5], 0
	v_fmac_f64_e32 v[104:105], v[10:11], v[38:39]
	s_waitcnt vmcnt(7)
	v_fmac_f64_e32 v[106:107], v[14:15], v[40:41]
	v_fma_f64 v[8:9], v[12:13], v[40:41], -v[28:29]
	v_add_f64 v[14:15], v[102:103], 0
	v_add_f64 v[4:5], v[4:5], v[6:7]
	v_mul_f64 v[30:31], v[22:23], v[30:31]
	s_waitcnt vmcnt(5)
	v_fma_f64 v[10:11], v[16:17], v[42:43], -v[34:35]
	v_add_f64 v[14:15], v[14:15], v[104:105]
	v_add_f64 v[4:5], v[4:5], v[8:9]
	v_fmac_f64_e32 v[108:109], v[18:19], v[42:43]
	s_waitcnt vmcnt(4)
	v_fma_f64 v[12:13], v[20:21], v[32:33], -v[30:31]
	v_add_f64 v[6:7], v[14:15], v[106:107]
	v_add_f64 v[4:5], v[4:5], v[10:11]
	v_fmac_f64_e32 v[110:111], v[22:23], v[32:33]
	v_add_f64 v[6:7], v[6:7], v[108:109]
	v_add_f64 v[4:5], v[4:5], v[12:13]
	;; [unrolled: 1-line block ×3, first 2 shown]
	s_waitcnt vmcnt(2)
	v_add_f64 v[4:5], v[44:45], -v[4:5]
	s_waitcnt vmcnt(0)
	v_add_f64 v[6:7], v[100:101], -v[6:7]
	buffer_store_dword v5, off, s[0:3], 0 offset:340
	buffer_store_dword v4, off, s[0:3], 0 offset:336
	;; [unrolled: 1-line block ×4, first 2 shown]
	s_and_saveexec_b64 s[6:7], vcc
	s_cbranch_execz .LBB26_135
; %bb.134:
	v_accvgpr_read_b32 v3, a26
	buffer_load_dword v4, v3, s[0:3], 0 offen
	buffer_load_dword v5, v3, s[0:3], 0 offen offset:4
	buffer_load_dword v6, v3, s[0:3], 0 offen offset:8
	;; [unrolled: 1-line block ×3, first 2 shown]
	s_nop 0
	buffer_store_dword v2, off, s[0:3], 0 offset:320
	buffer_store_dword v2, off, s[0:3], 0 offset:324
	;; [unrolled: 1-line block ×4, first 2 shown]
	s_waitcnt vmcnt(4)
	ds_write_b128 v1, v[4:7]
.LBB26_135:
	s_or_b64 exec, exec, s[6:7]
	s_waitcnt lgkmcnt(0)
	; wave barrier
	s_waitcnt lgkmcnt(0)
	buffer_load_dword v28, off, s[0:3], 0 offset:344
	buffer_load_dword v29, off, s[0:3], 0 offset:348
	;; [unrolled: 1-line block ×28, first 2 shown]
	ds_read_b128 v[4:7], v2 offset:768
	ds_read_b128 v[8:11], v2 offset:784
	;; [unrolled: 1-line block ×6, first 2 shown]
	v_cmp_lt_u32_e32 vcc, 19, v193
	s_waitcnt vmcnt(26) lgkmcnt(5)
	v_mul_f64 v[2:3], v[4:5], v[28:29]
	v_mul_f64 v[28:29], v[6:7], v[28:29]
	s_waitcnt vmcnt(24) lgkmcnt(4)
	v_mul_f64 v[110:111], v[8:9], v[30:31]
	v_mul_f64 v[30:31], v[10:11], v[30:31]
	;; [unrolled: 3-line block ×4, first 2 shown]
	s_waitcnt vmcnt(17)
	v_mul_f64 v[114:115], v[16:17], v[38:39]
	v_mul_f64 v[38:39], v[18:19], v[38:39]
	s_waitcnt vmcnt(15) lgkmcnt(0)
	v_mul_f64 v[118:119], v[24:25], v[40:41]
	v_mul_f64 v[40:41], v[26:27], v[40:41]
	s_waitcnt vmcnt(14)
	v_fmac_f64_e32 v[116:117], v[22:23], v[36:37]
	s_waitcnt vmcnt(12)
	v_fma_f64 v[4:5], v[4:5], v[42:43], -v[28:29]
	v_fmac_f64_e32 v[2:3], v[6:7], v[42:43]
	s_waitcnt vmcnt(10)
	v_fma_f64 v[6:7], v[8:9], v[44:45], -v[30:31]
	v_add_f64 v[4:5], v[4:5], 0
	v_fmac_f64_e32 v[110:111], v[10:11], v[44:45]
	s_waitcnt vmcnt(8)
	v_fma_f64 v[8:9], v[12:13], v[100:101], -v[32:33]
	v_add_f64 v[2:3], v[2:3], 0
	v_add_f64 v[4:5], v[4:5], v[6:7]
	v_fmac_f64_e32 v[112:113], v[14:15], v[100:101]
	s_waitcnt vmcnt(6)
	v_fma_f64 v[10:11], v[16:17], v[102:103], -v[38:39]
	v_add_f64 v[2:3], v[2:3], v[110:111]
	v_add_f64 v[4:5], v[4:5], v[8:9]
	v_fmac_f64_e32 v[114:115], v[18:19], v[102:103]
	v_fma_f64 v[12:13], v[20:21], v[36:37], -v[34:35]
	v_add_f64 v[2:3], v[2:3], v[112:113]
	v_add_f64 v[4:5], v[4:5], v[10:11]
	s_waitcnt vmcnt(4)
	v_fma_f64 v[14:15], v[24:25], v[104:105], -v[40:41]
	v_add_f64 v[2:3], v[2:3], v[114:115]
	v_add_f64 v[4:5], v[4:5], v[12:13]
	v_fmac_f64_e32 v[118:119], v[26:27], v[104:105]
	v_add_f64 v[2:3], v[2:3], v[116:117]
	v_add_f64 v[4:5], v[4:5], v[14:15]
	;; [unrolled: 1-line block ×3, first 2 shown]
	s_waitcnt vmcnt(2)
	v_add_f64 v[4:5], v[106:107], -v[4:5]
	s_waitcnt vmcnt(0)
	v_add_f64 v[2:3], v[108:109], -v[2:3]
	buffer_store_dword v5, off, s[0:3], 0 offset:324
	buffer_store_dword v4, off, s[0:3], 0 offset:320
	;; [unrolled: 1-line block ×4, first 2 shown]
	s_and_saveexec_b64 s[6:7], vcc
	s_cbranch_execz .LBB26_137
; %bb.136:
	v_accvgpr_read_b32 v5, a27
	buffer_load_dword v2, v5, s[0:3], 0 offen
	buffer_load_dword v3, v5, s[0:3], 0 offen offset:4
	buffer_load_dword v4, v5, s[0:3], 0 offen offset:8
	s_nop 0
	buffer_load_dword v5, v5, s[0:3], 0 offen offset:12
	v_mov_b32_e32 v6, 0
	buffer_store_dword v6, off, s[0:3], 0 offset:304
	buffer_store_dword v6, off, s[0:3], 0 offset:308
	;; [unrolled: 1-line block ×4, first 2 shown]
	s_waitcnt vmcnt(4)
	ds_write_b128 v1, v[2:5]
.LBB26_137:
	s_or_b64 exec, exec, s[6:7]
	s_waitcnt lgkmcnt(0)
	; wave barrier
	s_waitcnt lgkmcnt(0)
	buffer_load_dword v22, off, s[0:3], 0 offset:328
	buffer_load_dword v23, off, s[0:3], 0 offset:332
	;; [unrolled: 1-line block ×32, first 2 shown]
	v_mov_b32_e32 v24, 0
	ds_read_b128 v[2:5], v24 offset:752
	ds_read_b128 v[6:9], v24 offset:768
	;; [unrolled: 1-line block ×7, first 2 shown]
	v_cmp_lt_u32_e32 vcc, 18, v193
	s_waitcnt vmcnt(30) lgkmcnt(6)
	v_mul_f64 v[118:119], v[2:3], v[22:23]
	v_mul_f64 v[22:23], v[4:5], v[22:23]
	s_waitcnt vmcnt(28) lgkmcnt(5)
	v_mul_f64 v[120:121], v[6:7], v[34:35]
	v_mul_f64 v[34:35], v[8:9], v[34:35]
	;; [unrolled: 3-line block ×4, first 2 shown]
	s_waitcnt vmcnt(21)
	v_mul_f64 v[124:125], v[14:15], v[42:43]
	v_mul_f64 v[42:43], v[16:17], v[42:43]
	s_waitcnt vmcnt(17) lgkmcnt(1)
	v_mul_f64 v[128:129], v[26:27], v[102:103]
	v_mul_f64 v[102:103], v[28:29], v[102:103]
	s_waitcnt vmcnt(16) lgkmcnt(0)
	v_mul_f64 v[130:131], v[30:31], v[44:45]
	v_mul_f64 v[44:45], v[32:33], v[44:45]
	s_waitcnt vmcnt(13)
	v_fma_f64 v[2:3], v[2:3], v[104:105], -v[22:23]
	v_fmac_f64_e32 v[118:119], v[4:5], v[104:105]
	s_waitcnt vmcnt(11)
	v_fma_f64 v[4:5], v[6:7], v[106:107], -v[34:35]
	v_add_f64 v[2:3], v[2:3], 0
	v_fmac_f64_e32 v[120:121], v[8:9], v[106:107]
	s_waitcnt vmcnt(9)
	v_fma_f64 v[6:7], v[10:11], v[108:109], -v[36:37]
	s_waitcnt vmcnt(7)
	v_fmac_f64_e32 v[124:125], v[16:17], v[110:111]
	v_add_f64 v[16:17], v[118:119], 0
	v_add_f64 v[2:3], v[2:3], v[4:5]
	v_fmac_f64_e32 v[122:123], v[12:13], v[108:109]
	v_fma_f64 v[8:9], v[14:15], v[110:111], -v[42:43]
	v_add_f64 v[16:17], v[16:17], v[120:121]
	v_add_f64 v[2:3], v[2:3], v[6:7]
	v_fma_f64 v[10:11], v[18:19], v[40:41], -v[38:39]
	v_add_f64 v[4:5], v[16:17], v[122:123]
	v_add_f64 v[2:3], v[2:3], v[8:9]
	v_fmac_f64_e32 v[126:127], v[20:21], v[40:41]
	s_waitcnt vmcnt(5)
	v_fma_f64 v[12:13], v[26:27], v[112:113], -v[102:103]
	v_add_f64 v[4:5], v[4:5], v[124:125]
	v_add_f64 v[2:3], v[2:3], v[10:11]
	v_fmac_f64_e32 v[128:129], v[28:29], v[112:113]
	s_waitcnt vmcnt(4)
	v_fma_f64 v[14:15], v[30:31], v[100:101], -v[44:45]
	v_add_f64 v[4:5], v[4:5], v[126:127]
	v_add_f64 v[2:3], v[2:3], v[12:13]
	v_fmac_f64_e32 v[130:131], v[32:33], v[100:101]
	v_add_f64 v[4:5], v[4:5], v[128:129]
	v_add_f64 v[2:3], v[2:3], v[14:15]
	;; [unrolled: 1-line block ×3, first 2 shown]
	s_waitcnt vmcnt(2)
	v_add_f64 v[2:3], v[114:115], -v[2:3]
	s_waitcnt vmcnt(0)
	v_add_f64 v[4:5], v[116:117], -v[4:5]
	buffer_store_dword v3, off, s[0:3], 0 offset:308
	buffer_store_dword v2, off, s[0:3], 0 offset:304
	;; [unrolled: 1-line block ×4, first 2 shown]
	s_and_saveexec_b64 s[6:7], vcc
	s_cbranch_execz .LBB26_139
; %bb.138:
	v_accvgpr_read_b32 v5, a28
	buffer_load_dword v2, v5, s[0:3], 0 offen
	buffer_load_dword v3, v5, s[0:3], 0 offen offset:4
	buffer_load_dword v4, v5, s[0:3], 0 offen offset:8
	s_nop 0
	buffer_load_dword v5, v5, s[0:3], 0 offen offset:12
	s_nop 0
	buffer_store_dword v24, off, s[0:3], 0 offset:288
	buffer_store_dword v24, off, s[0:3], 0 offset:292
	;; [unrolled: 1-line block ×4, first 2 shown]
	s_waitcnt vmcnt(4)
	ds_write_b128 v1, v[2:5]
.LBB26_139:
	s_or_b64 exec, exec, s[6:7]
	s_waitcnt lgkmcnt(0)
	; wave barrier
	s_waitcnt lgkmcnt(0)
	ds_read_b128 v[14:17], v24 offset:736
	ds_read_b128 v[10:13], v24 offset:752
	;; [unrolled: 1-line block ×4, first 2 shown]
	buffer_load_dword v20, off, s[0:3], 0 offset:288
	buffer_load_dword v21, off, s[0:3], 0 offset:292
	;; [unrolled: 1-line block ×20, first 2 shown]
	v_cmp_lt_u32_e32 vcc, 17, v193
	s_waitcnt vmcnt(12) lgkmcnt(3)
	v_mul_f64 v[26:27], v[14:15], v[42:43]
	v_fmac_f64_e32 v[26:27], v[16:17], v[22:23]
	v_add_f64 v[26:27], v[26:27], 0
	v_mul_f64 v[16:17], v[16:17], v[42:43]
	s_waitcnt vmcnt(8) lgkmcnt(2)
	v_mul_f64 v[28:29], v[10:11], v[100:101]
	v_fmac_f64_e32 v[28:29], v[12:13], v[44:45]
	v_add_f64 v[26:27], v[26:27], v[28:29]
	v_fma_f64 v[14:15], v[14:15], v[22:23], -v[16:17]
	s_waitcnt vmcnt(4) lgkmcnt(1)
	v_mul_f64 v[28:29], v[6:7], v[104:105]
	v_fmac_f64_e32 v[28:29], v[8:9], v[102:103]
	v_add_f64 v[26:27], v[26:27], v[28:29]
	s_waitcnt vmcnt(0) lgkmcnt(0)
	v_mul_f64 v[28:29], v[2:3], v[108:109]
	v_fmac_f64_e32 v[28:29], v[4:5], v[106:107]
	v_add_f64 v[30:31], v[26:27], v[28:29]
	ds_read_b128 v[26:29], v24 offset:800
	buffer_load_dword v111, off, s[0:3], 0 offset:372
	buffer_load_dword v110, off, s[0:3], 0 offset:368
	;; [unrolled: 1-line block ×4, first 2 shown]
	v_mul_f64 v[12:13], v[12:13], v[100:101]
	v_add_f64 v[14:15], v[14:15], 0
	v_fma_f64 v[10:11], v[10:11], v[44:45], -v[12:13]
	v_mul_f64 v[8:9], v[8:9], v[104:105]
	v_add_f64 v[10:11], v[14:15], v[10:11]
	v_fma_f64 v[6:7], v[6:7], v[102:103], -v[8:9]
	;; [unrolled: 3-line block ×3, first 2 shown]
	v_add_f64 v[2:3], v[6:7], v[2:3]
	s_waitcnt vmcnt(0) lgkmcnt(0)
	v_mul_f64 v[32:33], v[26:27], v[112:113]
	v_fmac_f64_e32 v[32:33], v[28:29], v[110:111]
	v_add_f64 v[34:35], v[30:31], v[32:33]
	ds_read_b128 v[30:33], v24 offset:816
	buffer_load_dword v115, off, s[0:3], 0 offset:388
	buffer_load_dword v114, off, s[0:3], 0 offset:384
	buffer_load_dword v117, off, s[0:3], 0 offset:396
	buffer_load_dword v116, off, s[0:3], 0 offset:392
	v_mul_f64 v[4:5], v[28:29], v[112:113]
	v_fma_f64 v[4:5], v[26:27], v[110:111], -v[4:5]
	v_add_f64 v[2:3], v[2:3], v[4:5]
	s_waitcnt vmcnt(0) lgkmcnt(0)
	v_mul_f64 v[36:37], v[30:31], v[116:117]
	v_fmac_f64_e32 v[36:37], v[32:33], v[114:115]
	v_add_f64 v[38:39], v[34:35], v[36:37]
	ds_read_b128 v[34:37], v24 offset:832
	buffer_load_dword v119, off, s[0:3], 0 offset:404
	buffer_load_dword v118, off, s[0:3], 0 offset:400
	buffer_load_dword v121, off, s[0:3], 0 offset:412
	buffer_load_dword v120, off, s[0:3], 0 offset:408
	v_mul_f64 v[4:5], v[32:33], v[116:117]
	v_fma_f64 v[4:5], v[30:31], v[114:115], -v[4:5]
	;; [unrolled: 12-line block ×3, first 2 shown]
	v_add_f64 v[2:3], v[2:3], v[4:5]
	s_waitcnt vmcnt(0) lgkmcnt(0)
	v_mul_f64 v[4:5], v[40:41], v[124:125]
	v_mul_f64 v[126:127], v[38:39], v[124:125]
	v_fma_f64 v[4:5], v[38:39], v[24:25], -v[4:5]
	v_fmac_f64_e32 v[126:127], v[40:41], v[24:25]
	v_add_f64 v[2:3], v[2:3], v[4:5]
	v_add_f64 v[122:123], v[122:123], v[126:127]
	v_add_f64 v[2:3], v[20:21], -v[2:3]
	v_add_f64 v[4:5], v[18:19], -v[122:123]
	buffer_store_dword v3, off, s[0:3], 0 offset:292
	buffer_store_dword v2, off, s[0:3], 0 offset:288
	;; [unrolled: 1-line block ×4, first 2 shown]
	s_and_saveexec_b64 s[6:7], vcc
	s_cbranch_execz .LBB26_141
; %bb.140:
	v_accvgpr_read_b32 v5, a29
	buffer_load_dword v2, v5, s[0:3], 0 offen
	buffer_load_dword v3, v5, s[0:3], 0 offen offset:4
	buffer_load_dword v4, v5, s[0:3], 0 offen offset:8
	s_nop 0
	buffer_load_dword v5, v5, s[0:3], 0 offen offset:12
	v_mov_b32_e32 v6, 0
	buffer_store_dword v6, off, s[0:3], 0 offset:272
	buffer_store_dword v6, off, s[0:3], 0 offset:276
	;; [unrolled: 1-line block ×4, first 2 shown]
	s_waitcnt vmcnt(4)
	ds_write_b128 v1, v[2:5]
.LBB26_141:
	s_or_b64 exec, exec, s[6:7]
	v_mov_b32_e32 v44, 0
	s_waitcnt lgkmcnt(0)
	; wave barrier
	s_waitcnt lgkmcnt(0)
	ds_read_b128 v[14:17], v44 offset:720
	ds_read_b128 v[10:13], v44 offset:736
	;; [unrolled: 1-line block ×4, first 2 shown]
	buffer_load_dword v24, off, s[0:3], 0 offset:272
	buffer_load_dword v25, off, s[0:3], 0 offset:276
	;; [unrolled: 1-line block ×20, first 2 shown]
	v_cmp_lt_u32_e32 vcc, 16, v193
	s_waitcnt vmcnt(12) lgkmcnt(3)
	v_mul_f64 v[18:19], v[14:15], v[36:37]
	v_fmac_f64_e32 v[18:19], v[16:17], v[26:27]
	v_add_f64 v[18:19], v[18:19], 0
	v_mul_f64 v[16:17], v[16:17], v[36:37]
	s_waitcnt vmcnt(8) lgkmcnt(2)
	v_mul_f64 v[20:21], v[10:11], v[38:39]
	v_fmac_f64_e32 v[20:21], v[12:13], v[32:33]
	v_add_f64 v[18:19], v[18:19], v[20:21]
	v_fma_f64 v[14:15], v[14:15], v[26:27], -v[16:17]
	s_waitcnt vmcnt(4) lgkmcnt(1)
	v_mul_f64 v[20:21], v[6:7], v[40:41]
	v_fmac_f64_e32 v[20:21], v[8:9], v[34:35]
	v_add_f64 v[18:19], v[18:19], v[20:21]
	s_waitcnt vmcnt(0) lgkmcnt(0)
	v_mul_f64 v[20:21], v[2:3], v[42:43]
	v_fmac_f64_e32 v[20:21], v[4:5], v[30:31]
	v_add_f64 v[100:101], v[18:19], v[20:21]
	ds_read_b128 v[18:21], v44 offset:784
	buffer_load_dword v29, off, s[0:3], 0 offset:356
	buffer_load_dword v28, off, s[0:3], 0 offset:352
	;; [unrolled: 1-line block ×4, first 2 shown]
	v_mul_f64 v[12:13], v[12:13], v[38:39]
	v_add_f64 v[14:15], v[14:15], 0
	v_fma_f64 v[10:11], v[10:11], v[32:33], -v[12:13]
	v_mul_f64 v[8:9], v[8:9], v[40:41]
	v_add_f64 v[10:11], v[14:15], v[10:11]
	v_fma_f64 v[6:7], v[6:7], v[34:35], -v[8:9]
	;; [unrolled: 3-line block ×3, first 2 shown]
	v_add_f64 v[2:3], v[6:7], v[2:3]
	s_waitcnt vmcnt(0) lgkmcnt(0)
	v_mul_f64 v[102:103], v[18:19], v[116:117]
	v_fmac_f64_e32 v[102:103], v[20:21], v[28:29]
	v_add_f64 v[104:105], v[100:101], v[102:103]
	ds_read_b128 v[100:103], v44 offset:800
	buffer_load_dword v119, off, s[0:3], 0 offset:372
	buffer_load_dword v118, off, s[0:3], 0 offset:368
	buffer_load_dword v121, off, s[0:3], 0 offset:380
	buffer_load_dword v120, off, s[0:3], 0 offset:376
	v_mul_f64 v[4:5], v[20:21], v[116:117]
	v_fma_f64 v[4:5], v[18:19], v[28:29], -v[4:5]
	v_add_f64 v[2:3], v[2:3], v[4:5]
	s_waitcnt vmcnt(0) lgkmcnt(0)
	v_mul_f64 v[106:107], v[100:101], v[120:121]
	v_fmac_f64_e32 v[106:107], v[102:103], v[118:119]
	v_add_f64 v[108:109], v[104:105], v[106:107]
	ds_read_b128 v[104:107], v44 offset:816
	buffer_load_dword v123, off, s[0:3], 0 offset:388
	buffer_load_dword v122, off, s[0:3], 0 offset:384
	buffer_load_dword v125, off, s[0:3], 0 offset:396
	buffer_load_dword v124, off, s[0:3], 0 offset:392
	v_mul_f64 v[4:5], v[102:103], v[120:121]
	v_fma_f64 v[4:5], v[100:101], v[118:119], -v[4:5]
	;; [unrolled: 12-line block ×4, first 2 shown]
	v_add_f64 v[2:3], v[2:3], v[4:5]
	s_waitcnt vmcnt(0) lgkmcnt(0)
	v_mul_f64 v[4:5], v[114:115], v[134:135]
	v_mul_f64 v[136:137], v[112:113], v[134:135]
	v_fma_f64 v[4:5], v[112:113], v[132:133], -v[4:5]
	v_fmac_f64_e32 v[136:137], v[114:115], v[132:133]
	v_add_f64 v[2:3], v[2:3], v[4:5]
	v_add_f64 v[130:131], v[130:131], v[136:137]
	v_add_f64 v[2:3], v[24:25], -v[2:3]
	v_add_f64 v[4:5], v[22:23], -v[130:131]
	buffer_store_dword v3, off, s[0:3], 0 offset:276
	buffer_store_dword v2, off, s[0:3], 0 offset:272
	;; [unrolled: 1-line block ×4, first 2 shown]
	s_and_saveexec_b64 s[6:7], vcc
	s_cbranch_execz .LBB26_143
; %bb.142:
	v_accvgpr_read_b32 v5, a30
	buffer_load_dword v2, v5, s[0:3], 0 offen
	buffer_load_dword v3, v5, s[0:3], 0 offen offset:4
	buffer_load_dword v4, v5, s[0:3], 0 offen offset:8
	s_nop 0
	buffer_load_dword v5, v5, s[0:3], 0 offen offset:12
	s_nop 0
	buffer_store_dword v44, off, s[0:3], 0 offset:256
	buffer_store_dword v44, off, s[0:3], 0 offset:260
	;; [unrolled: 1-line block ×4, first 2 shown]
	s_waitcnt vmcnt(4)
	ds_write_b128 v1, v[2:5]
.LBB26_143:
	s_or_b64 exec, exec, s[6:7]
	s_waitcnt lgkmcnt(0)
	; wave barrier
	s_waitcnt lgkmcnt(0)
	buffer_load_dword v4, off, s[0:3], 0 offset:272
	buffer_load_dword v5, off, s[0:3], 0 offset:276
	;; [unrolled: 1-line block ×44, first 2 shown]
	ds_read_b128 v[6:9], v44 offset:704
	ds_read_b128 v[10:13], v44 offset:720
	;; [unrolled: 1-line block ×10, first 2 shown]
	v_cmp_lt_u32_e32 vcc, 15, v193
	s_waitcnt vmcnt(40) lgkmcnt(9)
	v_mul_f64 v[140:141], v[6:7], v[100:101]
	v_mul_f64 v[100:101], v[8:9], v[100:101]
	s_waitcnt vmcnt(38) lgkmcnt(8)
	v_mul_f64 v[142:143], v[10:11], v[102:103]
	v_mul_f64 v[102:103], v[12:13], v[102:103]
	v_fmac_f64_e32 v[140:141], v[8:9], v[4:5]
	v_fma_f64 v[4:5], v[6:7], v[4:5], -v[100:101]
	s_waitcnt vmcnt(36) lgkmcnt(7)
	v_mul_f64 v[144:145], v[14:15], v[2:3]
	v_add_f64 v[4:5], v[4:5], 0
	v_mul_f64 v[2:3], v[16:17], v[2:3]
	v_add_f64 v[8:9], v[140:141], 0
	s_waitcnt vmcnt(30) lgkmcnt(6)
	v_mul_f64 v[146:147], v[18:19], v[108:109]
	s_waitcnt lgkmcnt(5)
	v_mul_f64 v[148:149], v[22:23], v[104:105]
	v_fmac_f64_e32 v[148:149], v[24:25], v[106:107]
	s_waitcnt vmcnt(28) lgkmcnt(3)
	v_mul_f64 v[152:153], v[30:31], v[110:111]
	s_waitcnt vmcnt(26)
	v_fmac_f64_e32 v[152:153], v[32:33], v[112:113]
	s_waitcnt vmcnt(24)
	v_mul_f64 v[150:151], v[26:27], v[114:115]
	s_waitcnt vmcnt(22) lgkmcnt(1)
	v_mul_f64 v[158:159], v[38:39], v[116:117]
	s_waitcnt vmcnt(20)
	v_fmac_f64_e32 v[158:159], v[40:41], v[118:119]
	s_waitcnt vmcnt(18)
	v_mul_f64 v[154:155], v[34:35], v[120:121]
	s_waitcnt vmcnt(16) lgkmcnt(0)
	v_mul_f64 v[160:161], v[42:43], v[122:123]
	s_waitcnt vmcnt(14)
	v_fma_f64 v[6:7], v[10:11], v[124:125], -v[102:103]
	v_add_f64 v[4:5], v[4:5], v[6:7]
	s_waitcnt vmcnt(12)
	v_fma_f64 v[2:3], v[14:15], v[126:127], -v[2:3]
	v_add_f64 v[2:3], v[4:5], v[2:3]
	v_mul_f64 v[4:5], v[20:21], v[108:109]
	s_waitcnt vmcnt(10)
	v_fma_f64 v[4:5], v[18:19], v[128:129], -v[4:5]
	v_add_f64 v[2:3], v[2:3], v[4:5]
	v_mul_f64 v[4:5], v[24:25], v[104:105]
	v_fma_f64 v[4:5], v[22:23], v[106:107], -v[4:5]
	v_add_f64 v[2:3], v[2:3], v[4:5]
	v_mul_f64 v[4:5], v[28:29], v[114:115]
	s_waitcnt vmcnt(8)
	v_fma_f64 v[4:5], v[26:27], v[130:131], -v[4:5]
	v_fmac_f64_e32 v[142:143], v[12:13], v[124:125]
	v_add_f64 v[2:3], v[2:3], v[4:5]
	v_mul_f64 v[4:5], v[32:33], v[110:111]
	v_fmac_f64_e32 v[144:145], v[16:17], v[126:127]
	v_add_f64 v[8:9], v[8:9], v[142:143]
	v_fma_f64 v[4:5], v[30:31], v[112:113], -v[4:5]
	v_fmac_f64_e32 v[146:147], v[20:21], v[128:129]
	v_add_f64 v[6:7], v[8:9], v[144:145]
	v_add_f64 v[2:3], v[2:3], v[4:5]
	v_mul_f64 v[4:5], v[36:37], v[120:121]
	v_add_f64 v[6:7], v[6:7], v[146:147]
	s_waitcnt vmcnt(6)
	v_fma_f64 v[4:5], v[34:35], v[132:133], -v[4:5]
	v_fmac_f64_e32 v[150:151], v[28:29], v[130:131]
	v_add_f64 v[6:7], v[6:7], v[148:149]
	v_add_f64 v[2:3], v[2:3], v[4:5]
	v_mul_f64 v[4:5], v[40:41], v[116:117]
	v_add_f64 v[6:7], v[6:7], v[150:151]
	v_fma_f64 v[4:5], v[38:39], v[118:119], -v[4:5]
	v_fmac_f64_e32 v[154:155], v[36:37], v[132:133]
	v_add_f64 v[6:7], v[6:7], v[152:153]
	v_add_f64 v[2:3], v[2:3], v[4:5]
	v_mul_f64 v[4:5], v[44:45], v[122:123]
	v_add_f64 v[6:7], v[6:7], v[154:155]
	s_waitcnt vmcnt(4)
	v_fma_f64 v[4:5], v[42:43], v[134:135], -v[4:5]
	v_fmac_f64_e32 v[160:161], v[44:45], v[134:135]
	v_add_f64 v[6:7], v[6:7], v[158:159]
	v_add_f64 v[2:3], v[2:3], v[4:5]
	;; [unrolled: 1-line block ×3, first 2 shown]
	s_waitcnt vmcnt(2)
	v_add_f64 v[2:3], v[136:137], -v[2:3]
	s_waitcnt vmcnt(0)
	v_add_f64 v[4:5], v[138:139], -v[6:7]
	buffer_store_dword v3, off, s[0:3], 0 offset:260
	buffer_store_dword v2, off, s[0:3], 0 offset:256
	;; [unrolled: 1-line block ×4, first 2 shown]
	s_and_saveexec_b64 s[6:7], vcc
	s_cbranch_execz .LBB26_145
; %bb.144:
	v_accvgpr_read_b32 v5, a31
	buffer_load_dword v2, v5, s[0:3], 0 offen
	buffer_load_dword v3, v5, s[0:3], 0 offen offset:4
	buffer_load_dword v4, v5, s[0:3], 0 offen offset:8
	s_nop 0
	buffer_load_dword v5, v5, s[0:3], 0 offen offset:12
	v_mov_b32_e32 v6, 0
	buffer_store_dword v6, off, s[0:3], 0 offset:240
	buffer_store_dword v6, off, s[0:3], 0 offset:244
	;; [unrolled: 1-line block ×4, first 2 shown]
	s_waitcnt vmcnt(4)
	ds_write_b128 v1, v[2:5]
.LBB26_145:
	s_or_b64 exec, exec, s[6:7]
	s_waitcnt lgkmcnt(0)
	; wave barrier
	s_waitcnt lgkmcnt(0)
	buffer_load_dword v2, off, s[0:3], 0 offset:256
	buffer_load_dword v3, off, s[0:3], 0 offset:260
	buffer_load_dword v6, off, s[0:3], 0 offset:264
	buffer_load_dword v7, off, s[0:3], 0 offset:268
	buffer_load_dword v4, off, s[0:3], 0 offset:272
	buffer_load_dword v5, off, s[0:3], 0 offset:276
	buffer_load_dword v8, off, s[0:3], 0 offset:280
	buffer_load_dword v9, off, s[0:3], 0 offset:284
	buffer_load_dword v10, off, s[0:3], 0 offset:296
	buffer_load_dword v11, off, s[0:3], 0 offset:300
	buffer_load_dword v113, off, s[0:3], 0 offset:332
	buffer_load_dword v112, off, s[0:3], 0 offset:328
	buffer_load_dword v115, off, s[0:3], 0 offset:324
	buffer_load_dword v114, off, s[0:3], 0 offset:320
	buffer_load_dword v117, off, s[0:3], 0 offset:316
	buffer_load_dword v116, off, s[0:3], 0 offset:312
	buffer_load_dword v119, off, s[0:3], 0 offset:364
	buffer_load_dword v118, off, s[0:3], 0 offset:360
	buffer_load_dword v121, off, s[0:3], 0 offset:356
	buffer_load_dword v120, off, s[0:3], 0 offset:352
	buffer_load_dword v123, off, s[0:3], 0 offset:348
	buffer_load_dword v122, off, s[0:3], 0 offset:344
	buffer_load_dword v125, off, s[0:3], 0 offset:396
	buffer_load_dword v124, off, s[0:3], 0 offset:392
	buffer_load_dword v127, off, s[0:3], 0 offset:388
	buffer_load_dword v126, off, s[0:3], 0 offset:384
	buffer_load_dword v129, off, s[0:3], 0 offset:380
	buffer_load_dword v128, off, s[0:3], 0 offset:376
	buffer_load_dword v130, off, s[0:3], 0 offset:424
	buffer_load_dword v132, off, s[0:3], 0 offset:416
	buffer_load_dword v135, off, s[0:3], 0 offset:412
	buffer_load_dword v134, off, s[0:3], 0 offset:408
	buffer_load_dword v136, off, s[0:3], 0 offset:288
	buffer_load_dword v137, off, s[0:3], 0 offset:292
	buffer_load_dword v139, off, s[0:3], 0 offset:308
	buffer_load_dword v138, off, s[0:3], 0 offset:304
	buffer_load_dword v141, off, s[0:3], 0 offset:340
	buffer_load_dword v140, off, s[0:3], 0 offset:336
	buffer_load_dword v143, off, s[0:3], 0 offset:372
	buffer_load_dword v142, off, s[0:3], 0 offset:368
	buffer_load_dword v145, off, s[0:3], 0 offset:404
	buffer_load_dword v144, off, s[0:3], 0 offset:400
	buffer_load_dword v131, off, s[0:3], 0 offset:428
	buffer_load_dword v133, off, s[0:3], 0 offset:420
	buffer_load_dword v146, off, s[0:3], 0 offset:240
	buffer_load_dword v147, off, s[0:3], 0 offset:244
	buffer_load_dword v148, off, s[0:3], 0 offset:248
	buffer_load_dword v149, off, s[0:3], 0 offset:252
	v_mov_b32_e32 v12, 0
	ds_read_b128 v[14:17], v12 offset:688
	ds_read_b128 v[18:21], v12 offset:704
	;; [unrolled: 1-line block ×11, first 2 shown]
	v_cmp_lt_u32_e32 vcc, 14, v193
	s_waitcnt vmcnt(44) lgkmcnt(10)
	v_mul_f64 v[150:151], v[14:15], v[6:7]
	v_mul_f64 v[6:7], v[16:17], v[6:7]
	v_fmac_f64_e32 v[150:151], v[16:17], v[2:3]
	v_fma_f64 v[2:3], v[14:15], v[2:3], -v[6:7]
	s_waitcnt vmcnt(40) lgkmcnt(9)
	v_mul_f64 v[152:153], v[18:19], v[8:9]
	v_mul_f64 v[6:7], v[20:21], v[8:9]
	v_fmac_f64_e32 v[152:153], v[20:21], v[4:5]
	v_add_f64 v[2:3], v[2:3], 0
	v_fma_f64 v[4:5], v[18:19], v[4:5], -v[6:7]
	v_add_f64 v[2:3], v[2:3], v[4:5]
	s_waitcnt vmcnt(38) lgkmcnt(8)
	v_mul_f64 v[4:5], v[24:25], v[10:11]
	v_mul_f64 v[154:155], v[22:23], v[10:11]
	v_add_f64 v[150:151], v[150:151], 0
	s_waitcnt vmcnt(32) lgkmcnt(7)
	v_mul_f64 v[158:159], v[26:27], v[116:117]
	v_add_f64 v[150:151], v[150:151], v[152:153]
	s_waitcnt lgkmcnt(6)
	v_mul_f64 v[160:161], v[30:31], v[112:113]
	v_fmac_f64_e32 v[160:161], v[32:33], v[114:115]
	s_waitcnt vmcnt(30) lgkmcnt(4)
	v_mul_f64 v[164:165], v[38:39], v[118:119]
	s_waitcnt vmcnt(26)
	v_mul_f64 v[162:163], v[34:35], v[122:123]
	v_fmac_f64_e32 v[164:165], v[40:41], v[120:121]
	s_waitcnt vmcnt(24) lgkmcnt(2)
	v_mul_f64 v[168:169], v[100:101], v[124:125]
	s_waitcnt vmcnt(22)
	v_fmac_f64_e32 v[168:169], v[102:103], v[126:127]
	s_waitcnt vmcnt(20)
	v_mul_f64 v[166:167], v[42:43], v[128:129]
	s_waitcnt vmcnt(16) lgkmcnt(1)
	v_mul_f64 v[170:171], v[104:105], v[134:135]
	s_waitcnt vmcnt(14)
	v_fma_f64 v[4:5], v[22:23], v[136:137], -v[4:5]
	v_add_f64 v[2:3], v[2:3], v[4:5]
	v_mul_f64 v[4:5], v[28:29], v[116:117]
	s_waitcnt vmcnt(12)
	v_fma_f64 v[4:5], v[26:27], v[138:139], -v[4:5]
	v_add_f64 v[2:3], v[2:3], v[4:5]
	v_mul_f64 v[4:5], v[32:33], v[112:113]
	v_fma_f64 v[4:5], v[30:31], v[114:115], -v[4:5]
	v_add_f64 v[2:3], v[2:3], v[4:5]
	v_mul_f64 v[4:5], v[36:37], v[122:123]
	s_waitcnt vmcnt(10)
	v_fma_f64 v[4:5], v[34:35], v[140:141], -v[4:5]
	v_add_f64 v[2:3], v[2:3], v[4:5]
	v_mul_f64 v[4:5], v[40:41], v[118:119]
	v_fma_f64 v[4:5], v[38:39], v[120:121], -v[4:5]
	v_fmac_f64_e32 v[154:155], v[24:25], v[136:137]
	v_add_f64 v[2:3], v[2:3], v[4:5]
	v_mul_f64 v[4:5], v[44:45], v[128:129]
	v_fmac_f64_e32 v[158:159], v[28:29], v[138:139]
	v_add_f64 v[150:151], v[150:151], v[154:155]
	s_waitcnt vmcnt(8)
	v_fma_f64 v[4:5], v[42:43], v[142:143], -v[4:5]
	v_add_f64 v[150:151], v[150:151], v[158:159]
	v_add_f64 v[2:3], v[2:3], v[4:5]
	v_mul_f64 v[4:5], v[102:103], v[124:125]
	v_fmac_f64_e32 v[162:163], v[36:37], v[140:141]
	v_add_f64 v[150:151], v[150:151], v[160:161]
	v_fma_f64 v[4:5], v[100:101], v[126:127], -v[4:5]
	v_add_f64 v[150:151], v[150:151], v[162:163]
	v_add_f64 v[2:3], v[2:3], v[4:5]
	v_mul_f64 v[4:5], v[106:107], v[134:135]
	v_fmac_f64_e32 v[166:167], v[44:45], v[142:143]
	v_add_f64 v[150:151], v[150:151], v[164:165]
	s_waitcnt vmcnt(6)
	v_fma_f64 v[4:5], v[104:105], v[144:145], -v[4:5]
	v_add_f64 v[150:151], v[150:151], v[166:167]
	v_add_f64 v[2:3], v[2:3], v[4:5]
	s_waitcnt vmcnt(5) lgkmcnt(0)
	v_mul_f64 v[4:5], v[110:111], v[130:131]
	v_fmac_f64_e32 v[170:171], v[106:107], v[144:145]
	v_add_f64 v[150:151], v[150:151], v[168:169]
	v_mul_f64 v[152:153], v[108:109], v[130:131]
	s_waitcnt vmcnt(4)
	v_fma_f64 v[4:5], v[108:109], v[132:133], -v[4:5]
	v_add_f64 v[150:151], v[150:151], v[170:171]
	v_fmac_f64_e32 v[152:153], v[110:111], v[132:133]
	v_add_f64 v[2:3], v[2:3], v[4:5]
	v_add_f64 v[150:151], v[150:151], v[152:153]
	s_waitcnt vmcnt(2)
	v_add_f64 v[2:3], v[146:147], -v[2:3]
	s_waitcnt vmcnt(0)
	v_add_f64 v[4:5], v[148:149], -v[150:151]
	buffer_store_dword v3, off, s[0:3], 0 offset:244
	buffer_store_dword v2, off, s[0:3], 0 offset:240
	;; [unrolled: 1-line block ×4, first 2 shown]
	s_and_saveexec_b64 s[6:7], vcc
	s_cbranch_execz .LBB26_147
; %bb.146:
	v_accvgpr_read_b32 v5, a32
	buffer_load_dword v2, v5, s[0:3], 0 offen
	buffer_load_dword v3, v5, s[0:3], 0 offen offset:4
	buffer_load_dword v4, v5, s[0:3], 0 offen offset:8
	s_nop 0
	buffer_load_dword v5, v5, s[0:3], 0 offen offset:12
	s_nop 0
	buffer_store_dword v12, off, s[0:3], 0 offset:224
	buffer_store_dword v12, off, s[0:3], 0 offset:228
	;; [unrolled: 1-line block ×4, first 2 shown]
	s_waitcnt vmcnt(4)
	ds_write_b128 v1, v[2:5]
.LBB26_147:
	s_or_b64 exec, exec, s[6:7]
	s_waitcnt lgkmcnt(0)
	; wave barrier
	s_waitcnt lgkmcnt(0)
	buffer_load_dword v2, off, s[0:3], 0 offset:240
	buffer_load_dword v3, off, s[0:3], 0 offset:244
	;; [unrolled: 1-line block ×52, first 2 shown]
	ds_read_b128 v[14:17], v12 offset:672
	ds_read_b128 v[18:21], v12 offset:688
	ds_read_b128 v[22:25], v12 offset:704
	ds_read_b128 v[26:29], v12 offset:720
	ds_read_b128 v[30:33], v12 offset:736
	ds_read_b128 v[34:37], v12 offset:752
	ds_read_b128 v[38:41], v12 offset:768
	ds_read_b128 v[42:45], v12 offset:784
	ds_read_b128 v[100:103], v12 offset:800
	ds_read_b128 v[104:107], v12 offset:816
	v_cmp_lt_u32_e32 vcc, 13, v193
	s_waitcnt vmcnt(48) lgkmcnt(9)
	v_mul_f64 v[108:109], v[14:15], v[6:7]
	v_mul_f64 v[6:7], v[16:17], v[6:7]
	v_fmac_f64_e32 v[108:109], v[16:17], v[2:3]
	v_fma_f64 v[2:3], v[14:15], v[2:3], -v[6:7]
	s_waitcnt vmcnt(44) lgkmcnt(8)
	v_mul_f64 v[110:111], v[18:19], v[8:9]
	v_mul_f64 v[6:7], v[20:21], v[8:9]
	v_fmac_f64_e32 v[110:111], v[20:21], v[4:5]
	v_add_f64 v[2:3], v[2:3], 0
	v_fma_f64 v[4:5], v[18:19], v[4:5], -v[6:7]
	v_add_f64 v[2:3], v[2:3], v[4:5]
	s_waitcnt vmcnt(42) lgkmcnt(7)
	v_mul_f64 v[4:5], v[24:25], v[10:11]
	v_mul_f64 v[112:113], v[22:23], v[10:11]
	v_add_f64 v[108:109], v[108:109], 0
	s_waitcnt vmcnt(36) lgkmcnt(6)
	v_mul_f64 v[114:115], v[26:27], v[120:121]
	v_add_f64 v[108:109], v[108:109], v[110:111]
	s_waitcnt lgkmcnt(5)
	v_mul_f64 v[160:161], v[30:31], v[116:117]
	v_fmac_f64_e32 v[160:161], v[32:33], v[118:119]
	s_waitcnt vmcnt(34) lgkmcnt(3)
	v_mul_f64 v[164:165], v[38:39], v[122:123]
	s_waitcnt vmcnt(30)
	v_mul_f64 v[162:163], v[34:35], v[126:127]
	v_fmac_f64_e32 v[164:165], v[40:41], v[124:125]
	s_waitcnt vmcnt(26) lgkmcnt(2)
	v_mul_f64 v[166:167], v[42:43], v[132:133]
	s_waitcnt vmcnt(25) lgkmcnt(1)
	v_mul_f64 v[168:169], v[100:101], v[128:129]
	s_waitcnt vmcnt(23)
	v_fma_f64 v[4:5], v[22:23], v[134:135], -v[4:5]
	v_add_f64 v[2:3], v[2:3], v[4:5]
	v_mul_f64 v[4:5], v[28:29], v[120:121]
	s_waitcnt vmcnt(21)
	v_fma_f64 v[4:5], v[26:27], v[136:137], -v[4:5]
	v_fmac_f64_e32 v[112:113], v[24:25], v[134:135]
	v_add_f64 v[2:3], v[2:3], v[4:5]
	v_mul_f64 v[4:5], v[32:33], v[116:117]
	v_fmac_f64_e32 v[114:115], v[28:29], v[136:137]
	v_add_f64 v[108:109], v[108:109], v[112:113]
	v_fma_f64 v[4:5], v[30:31], v[118:119], -v[4:5]
	v_add_f64 v[108:109], v[108:109], v[114:115]
	v_add_f64 v[2:3], v[2:3], v[4:5]
	v_mul_f64 v[4:5], v[36:37], v[126:127]
	s_waitcnt vmcnt(19)
	v_fmac_f64_e32 v[162:163], v[36:37], v[138:139]
	v_add_f64 v[108:109], v[108:109], v[160:161]
	v_fma_f64 v[4:5], v[34:35], v[138:139], -v[4:5]
	v_add_f64 v[108:109], v[108:109], v[162:163]
	v_add_f64 v[2:3], v[2:3], v[4:5]
	v_mul_f64 v[4:5], v[40:41], v[122:123]
	s_waitcnt vmcnt(17)
	v_fmac_f64_e32 v[166:167], v[44:45], v[140:141]
	v_add_f64 v[108:109], v[108:109], v[164:165]
	v_fma_f64 v[4:5], v[38:39], v[124:125], -v[4:5]
	s_waitcnt vmcnt(16)
	v_fmac_f64_e32 v[168:169], v[102:103], v[130:131]
	v_add_f64 v[108:109], v[108:109], v[166:167]
	v_add_f64 v[2:3], v[2:3], v[4:5]
	v_mul_f64 v[4:5], v[44:45], v[132:133]
	v_add_f64 v[160:161], v[108:109], v[168:169]
	ds_read_b128 v[108:111], v12 offset:832
	ds_read_b128 v[112:115], v12 offset:848
	v_fma_f64 v[4:5], v[42:43], v[140:141], -v[4:5]
	v_add_f64 v[2:3], v[2:3], v[4:5]
	v_mul_f64 v[4:5], v[102:103], v[128:129]
	v_fma_f64 v[4:5], v[100:101], v[130:131], -v[4:5]
	v_add_f64 v[2:3], v[2:3], v[4:5]
	s_waitcnt vmcnt(12) lgkmcnt(2)
	v_mul_f64 v[4:5], v[106:107], v[146:147]
	v_mul_f64 v[162:163], v[104:105], v[146:147]
	s_waitcnt vmcnt(10)
	v_fma_f64 v[4:5], v[104:105], v[148:149], -v[4:5]
	v_fmac_f64_e32 v[162:163], v[106:107], v[148:149]
	v_add_f64 v[2:3], v[2:3], v[4:5]
	s_waitcnt vmcnt(8) lgkmcnt(1)
	v_mul_f64 v[4:5], v[110:111], v[142:143]
	v_add_f64 v[12:13], v[160:161], v[162:163]
	v_mul_f64 v[160:161], v[108:109], v[142:143]
	v_fma_f64 v[4:5], v[108:109], v[144:145], -v[4:5]
	v_fmac_f64_e32 v[160:161], v[110:111], v[144:145]
	v_add_f64 v[2:3], v[2:3], v[4:5]
	s_waitcnt vmcnt(6) lgkmcnt(0)
	v_mul_f64 v[4:5], v[114:115], v[150:151]
	v_add_f64 v[12:13], v[12:13], v[160:161]
	v_mul_f64 v[160:161], v[112:113], v[150:151]
	s_waitcnt vmcnt(4)
	v_fma_f64 v[4:5], v[112:113], v[152:153], -v[4:5]
	v_fmac_f64_e32 v[160:161], v[114:115], v[152:153]
	v_add_f64 v[2:3], v[2:3], v[4:5]
	v_add_f64 v[12:13], v[12:13], v[160:161]
	s_waitcnt vmcnt(2)
	v_add_f64 v[2:3], v[154:155], -v[2:3]
	s_waitcnt vmcnt(0)
	v_add_f64 v[4:5], v[158:159], -v[12:13]
	buffer_store_dword v3, off, s[0:3], 0 offset:228
	buffer_store_dword v2, off, s[0:3], 0 offset:224
	;; [unrolled: 1-line block ×4, first 2 shown]
	s_and_saveexec_b64 s[6:7], vcc
	s_cbranch_execz .LBB26_149
; %bb.148:
	v_accvgpr_read_b32 v5, a34
	buffer_load_dword v2, v5, s[0:3], 0 offen
	buffer_load_dword v3, v5, s[0:3], 0 offen offset:4
	buffer_load_dword v4, v5, s[0:3], 0 offen offset:8
	s_nop 0
	buffer_load_dword v5, v5, s[0:3], 0 offen offset:12
	v_mov_b32_e32 v6, 0
	buffer_store_dword v6, off, s[0:3], 0 offset:208
	buffer_store_dword v6, off, s[0:3], 0 offset:212
	;; [unrolled: 1-line block ×4, first 2 shown]
	s_waitcnt vmcnt(4)
	ds_write_b128 v1, v[2:5]
.LBB26_149:
	s_or_b64 exec, exec, s[6:7]
	s_waitcnt lgkmcnt(0)
	; wave barrier
	s_waitcnt lgkmcnt(0)
	buffer_load_dword v2, off, s[0:3], 0 offset:224
	buffer_load_dword v3, off, s[0:3], 0 offset:228
	;; [unrolled: 1-line block ×56, first 2 shown]
	v_mov_b32_e32 v24, 0
	ds_read_b128 v[18:21], v24 offset:656
	ds_read_b128 v[26:29], v24 offset:672
	;; [unrolled: 1-line block ×9, first 2 shown]
	v_cmp_lt_u32_e32 vcc, 12, v193
	s_waitcnt vmcnt(52) lgkmcnt(8)
	v_mul_f64 v[108:109], v[18:19], v[6:7]
	v_fmac_f64_e32 v[108:109], v[20:21], v[2:3]
	v_mul_f64 v[6:7], v[20:21], v[6:7]
	v_add_f64 v[108:109], v[108:109], 0
	s_waitcnt vmcnt(48) lgkmcnt(7)
	v_mul_f64 v[110:111], v[26:27], v[8:9]
	v_fmac_f64_e32 v[110:111], v[28:29], v[4:5]
	s_waitcnt vmcnt(46) lgkmcnt(6)
	v_mul_f64 v[112:113], v[30:31], v[10:11]
	v_fma_f64 v[2:3], v[18:19], v[2:3], -v[6:7]
	v_mul_f64 v[6:7], v[28:29], v[8:9]
	v_add_f64 v[108:109], v[108:109], v[110:111]
	v_add_f64 v[2:3], v[2:3], 0
	v_fma_f64 v[4:5], v[26:27], v[4:5], -v[6:7]
	s_waitcnt vmcnt(40) lgkmcnt(5)
	v_mul_f64 v[114:115], v[34:35], v[16:17]
	s_waitcnt lgkmcnt(4)
	v_mul_f64 v[116:117], v[38:39], v[12:13]
	v_add_f64 v[2:3], v[2:3], v[4:5]
	v_mul_f64 v[4:5], v[32:33], v[10:11]
	s_waitcnt vmcnt(36) lgkmcnt(3)
	v_mul_f64 v[118:119], v[42:43], v[130:131]
	v_fmac_f64_e32 v[116:117], v[40:41], v[14:15]
	s_waitcnt vmcnt(35) lgkmcnt(2)
	v_mul_f64 v[120:121], v[100:101], v[22:23]
	s_waitcnt vmcnt(33)
	v_fmac_f64_e32 v[112:113], v[32:33], v[132:133]
	v_add_f64 v[108:109], v[108:109], v[112:113]
	s_waitcnt vmcnt(31)
	v_fmac_f64_e32 v[114:115], v[36:37], v[134:135]
	v_add_f64 v[108:109], v[108:109], v[114:115]
	v_fma_f64 v[4:5], v[30:31], v[132:133], -v[4:5]
	s_waitcnt vmcnt(29)
	v_fmac_f64_e32 v[118:119], v[44:45], v[136:137]
	v_add_f64 v[108:109], v[108:109], v[116:117]
	v_add_f64 v[2:3], v[2:3], v[4:5]
	v_mul_f64 v[4:5], v[36:37], v[16:17]
	s_waitcnt vmcnt(28)
	v_fmac_f64_e32 v[120:121], v[102:103], v[128:129]
	v_add_f64 v[108:109], v[108:109], v[118:119]
	v_fma_f64 v[4:5], v[34:35], v[134:135], -v[4:5]
	v_add_f64 v[112:113], v[108:109], v[120:121]
	ds_read_b128 v[108:111], v24 offset:784
	s_waitcnt vmcnt(24) lgkmcnt(2)
	v_mul_f64 v[114:115], v[104:105], v[142:143]
	v_add_f64 v[2:3], v[2:3], v[4:5]
	v_mul_f64 v[4:5], v[40:41], v[12:13]
	s_waitcnt vmcnt(22)
	v_fmac_f64_e32 v[114:115], v[106:107], v[144:145]
	v_fma_f64 v[4:5], v[38:39], v[14:15], -v[4:5]
	v_add_f64 v[116:117], v[112:113], v[114:115]
	ds_read_b128 v[112:115], v24 offset:800
	v_add_f64 v[2:3], v[2:3], v[4:5]
	v_mul_f64 v[4:5], v[44:45], v[130:131]
	v_fma_f64 v[4:5], v[42:43], v[136:137], -v[4:5]
	v_add_f64 v[2:3], v[2:3], v[4:5]
	v_mul_f64 v[4:5], v[102:103], v[22:23]
	s_waitcnt vmcnt(20) lgkmcnt(1)
	v_mul_f64 v[118:119], v[108:109], v[138:139]
	v_fma_f64 v[4:5], v[100:101], v[128:129], -v[4:5]
	v_fmac_f64_e32 v[118:119], v[110:111], v[140:141]
	v_add_f64 v[2:3], v[2:3], v[4:5]
	v_mul_f64 v[4:5], v[106:107], v[142:143]
	v_add_f64 v[120:121], v[116:117], v[118:119]
	ds_read_b128 v[116:119], v24 offset:816
	s_waitcnt vmcnt(16) lgkmcnt(1)
	v_mul_f64 v[122:123], v[112:113], v[150:151]
	v_fma_f64 v[4:5], v[104:105], v[144:145], -v[4:5]
	s_waitcnt vmcnt(14)
	v_fmac_f64_e32 v[122:123], v[114:115], v[152:153]
	v_add_f64 v[2:3], v[2:3], v[4:5]
	v_mul_f64 v[4:5], v[110:111], v[138:139]
	v_add_f64 v[168:169], v[120:121], v[122:123]
	ds_read_b128 v[120:123], v24 offset:832
	v_fma_f64 v[4:5], v[108:109], v[140:141], -v[4:5]
	v_add_f64 v[2:3], v[2:3], v[4:5]
	v_mul_f64 v[4:5], v[114:115], v[150:151]
	v_fma_f64 v[4:5], v[112:113], v[152:153], -v[4:5]
	v_add_f64 v[2:3], v[2:3], v[4:5]
	s_waitcnt vmcnt(12) lgkmcnt(1)
	v_mul_f64 v[4:5], v[118:119], v[146:147]
	v_mul_f64 v[170:171], v[116:117], v[146:147]
	v_fma_f64 v[4:5], v[116:117], v[148:149], -v[4:5]
	v_fmac_f64_e32 v[170:171], v[118:119], v[148:149]
	v_add_f64 v[2:3], v[2:3], v[4:5]
	s_waitcnt vmcnt(8) lgkmcnt(0)
	v_mul_f64 v[4:5], v[122:123], v[160:161]
	v_add_f64 v[168:169], v[168:169], v[170:171]
	v_mul_f64 v[170:171], v[120:121], v[160:161]
	s_waitcnt vmcnt(6)
	v_fma_f64 v[4:5], v[120:121], v[162:163], -v[4:5]
	v_fmac_f64_e32 v[170:171], v[122:123], v[162:163]
	v_add_f64 v[2:3], v[2:3], v[4:5]
	s_waitcnt vmcnt(5)
	v_mul_f64 v[4:5], v[126:127], v[154:155]
	v_add_f64 v[168:169], v[168:169], v[170:171]
	v_mul_f64 v[170:171], v[124:125], v[154:155]
	s_waitcnt vmcnt(4)
	v_fma_f64 v[4:5], v[124:125], v[158:159], -v[4:5]
	v_fmac_f64_e32 v[170:171], v[126:127], v[158:159]
	v_add_f64 v[2:3], v[2:3], v[4:5]
	v_add_f64 v[168:169], v[168:169], v[170:171]
	s_waitcnt vmcnt(2)
	v_add_f64 v[2:3], v[164:165], -v[2:3]
	s_waitcnt vmcnt(0)
	v_add_f64 v[4:5], v[166:167], -v[168:169]
	buffer_store_dword v3, off, s[0:3], 0 offset:212
	buffer_store_dword v2, off, s[0:3], 0 offset:208
	;; [unrolled: 1-line block ×4, first 2 shown]
	s_and_saveexec_b64 s[6:7], vcc
	s_cbranch_execz .LBB26_151
; %bb.150:
	v_accvgpr_read_b32 v5, a33
	buffer_load_dword v2, v5, s[0:3], 0 offen
	buffer_load_dword v3, v5, s[0:3], 0 offen offset:4
	buffer_load_dword v4, v5, s[0:3], 0 offen offset:8
	s_nop 0
	buffer_load_dword v5, v5, s[0:3], 0 offen offset:12
	s_nop 0
	buffer_store_dword v24, off, s[0:3], 0 offset:192
	buffer_store_dword v24, off, s[0:3], 0 offset:196
	;; [unrolled: 1-line block ×4, first 2 shown]
	s_waitcnt vmcnt(4)
	ds_write_b128 v1, v[2:5]
.LBB26_151:
	s_or_b64 exec, exec, s[6:7]
	s_waitcnt lgkmcnt(0)
	; wave barrier
	s_waitcnt lgkmcnt(0)
	buffer_load_dword v2, off, s[0:3], 0 offset:208
	buffer_load_dword v3, off, s[0:3], 0 offset:212
	;; [unrolled: 1-line block ×60, first 2 shown]
	ds_read_b128 v[26:29], v24 offset:640
	ds_read_b128 v[30:33], v24 offset:656
	;; [unrolled: 1-line block ×8, first 2 shown]
	v_cmp_lt_u32_e32 vcc, 11, v193
	ds_read_b128 v[132:135], v24 offset:848
	s_waitcnt vmcnt(56) lgkmcnt(8)
	v_mul_f64 v[112:113], v[26:27], v[6:7]
	v_fmac_f64_e32 v[112:113], v[28:29], v[2:3]
	v_add_f64 v[112:113], v[112:113], 0
	v_mul_f64 v[6:7], v[28:29], v[6:7]
	s_waitcnt vmcnt(52) lgkmcnt(7)
	v_mul_f64 v[114:115], v[30:31], v[8:9]
	v_fmac_f64_e32 v[114:115], v[32:33], v[4:5]
	s_waitcnt vmcnt(50) lgkmcnt(6)
	v_mul_f64 v[116:117], v[34:35], v[10:11]
	v_add_f64 v[112:113], v[112:113], v[114:115]
	s_waitcnt vmcnt(48) lgkmcnt(4)
	v_mul_f64 v[120:121], v[42:43], v[12:13]
	v_fma_f64 v[2:3], v[26:27], v[2:3], -v[6:7]
	s_waitcnt vmcnt(46)
	v_fmac_f64_e32 v[120:121], v[44:45], v[14:15]
	v_mul_f64 v[6:7], v[32:33], v[8:9]
	s_waitcnt vmcnt(44)
	v_mul_f64 v[118:119], v[38:39], v[16:17]
	v_add_f64 v[2:3], v[2:3], 0
	v_fma_f64 v[4:5], v[30:31], v[4:5], -v[6:7]
	v_add_f64 v[2:3], v[2:3], v[4:5]
	s_waitcnt vmcnt(40) lgkmcnt(3)
	v_mul_f64 v[122:123], v[100:101], v[22:23]
	v_mul_f64 v[4:5], v[36:37], v[10:11]
	s_waitcnt vmcnt(38)
	v_fmac_f64_e32 v[116:117], v[36:37], v[136:137]
	v_add_f64 v[112:113], v[112:113], v[116:117]
	s_waitcnt vmcnt(36)
	v_fmac_f64_e32 v[118:119], v[40:41], v[138:139]
	v_add_f64 v[112:113], v[112:113], v[118:119]
	;; [unrolled: 3-line block ×3, first 2 shown]
	s_waitcnt vmcnt(32) lgkmcnt(2)
	v_mul_f64 v[114:115], v[104:105], v[18:19]
	v_add_f64 v[112:113], v[112:113], v[122:123]
	v_fmac_f64_e32 v[114:115], v[106:107], v[20:21]
	v_add_f64 v[116:117], v[112:113], v[114:115]
	ds_read_b128 v[112:115], v24 offset:768
	v_fma_f64 v[4:5], v[34:35], v[136:137], -v[4:5]
	v_add_f64 v[2:3], v[2:3], v[4:5]
	v_mul_f64 v[4:5], v[40:41], v[16:17]
	v_fma_f64 v[4:5], v[38:39], v[138:139], -v[4:5]
	s_waitcnt vmcnt(28) lgkmcnt(2)
	v_mul_f64 v[118:119], v[108:109], v[146:147]
	v_add_f64 v[2:3], v[2:3], v[4:5]
	v_mul_f64 v[4:5], v[44:45], v[12:13]
	s_waitcnt vmcnt(26)
	v_fmac_f64_e32 v[118:119], v[110:111], v[148:149]
	v_fma_f64 v[4:5], v[42:43], v[14:15], -v[4:5]
	v_add_f64 v[120:121], v[116:117], v[118:119]
	ds_read_b128 v[116:119], v24 offset:784
	s_waitcnt vmcnt(24) lgkmcnt(1)
	v_mul_f64 v[122:123], v[112:113], v[142:143]
	v_add_f64 v[2:3], v[2:3], v[4:5]
	v_mul_f64 v[4:5], v[102:103], v[22:23]
	v_fmac_f64_e32 v[122:123], v[114:115], v[144:145]
	v_fma_f64 v[4:5], v[100:101], v[140:141], -v[4:5]
	v_add_f64 v[124:125], v[120:121], v[122:123]
	ds_read_b128 v[120:123], v24 offset:800
	v_add_f64 v[2:3], v[2:3], v[4:5]
	v_mul_f64 v[4:5], v[106:107], v[18:19]
	v_fma_f64 v[4:5], v[104:105], v[20:21], -v[4:5]
	v_add_f64 v[2:3], v[2:3], v[4:5]
	v_mul_f64 v[4:5], v[110:111], v[146:147]
	s_waitcnt vmcnt(20) lgkmcnt(1)
	v_mul_f64 v[126:127], v[116:117], v[154:155]
	v_fma_f64 v[4:5], v[108:109], v[148:149], -v[4:5]
	s_waitcnt vmcnt(18)
	v_fmac_f64_e32 v[126:127], v[118:119], v[158:159]
	v_add_f64 v[2:3], v[2:3], v[4:5]
	v_mul_f64 v[4:5], v[114:115], v[142:143]
	v_add_f64 v[128:129], v[124:125], v[126:127]
	ds_read_b128 v[124:127], v24 offset:816
	s_waitcnt vmcnt(16) lgkmcnt(1)
	v_mul_f64 v[130:131], v[120:121], v[150:151]
	v_fma_f64 v[4:5], v[112:113], v[144:145], -v[4:5]
	v_fmac_f64_e32 v[130:131], v[122:123], v[152:153]
	v_add_f64 v[2:3], v[2:3], v[4:5]
	v_mul_f64 v[4:5], v[118:119], v[154:155]
	v_add_f64 v[176:177], v[128:129], v[130:131]
	ds_read_b128 v[128:131], v24 offset:832
	v_fma_f64 v[4:5], v[116:117], v[158:159], -v[4:5]
	v_add_f64 v[2:3], v[2:3], v[4:5]
	v_mul_f64 v[4:5], v[122:123], v[150:151]
	v_fma_f64 v[4:5], v[120:121], v[152:153], -v[4:5]
	v_add_f64 v[2:3], v[2:3], v[4:5]
	s_waitcnt vmcnt(12) lgkmcnt(1)
	v_mul_f64 v[4:5], v[126:127], v[164:165]
	v_mul_f64 v[178:179], v[124:125], v[164:165]
	s_waitcnt vmcnt(10)
	v_fma_f64 v[4:5], v[124:125], v[166:167], -v[4:5]
	v_fmac_f64_e32 v[178:179], v[126:127], v[166:167]
	v_add_f64 v[2:3], v[2:3], v[4:5]
	s_waitcnt vmcnt(8) lgkmcnt(0)
	v_mul_f64 v[4:5], v[130:131], v[160:161]
	v_add_f64 v[24:25], v[176:177], v[178:179]
	v_mul_f64 v[176:177], v[128:129], v[160:161]
	v_fma_f64 v[4:5], v[128:129], v[162:163], -v[4:5]
	v_fmac_f64_e32 v[176:177], v[130:131], v[162:163]
	v_add_f64 v[2:3], v[2:3], v[4:5]
	s_waitcnt vmcnt(6)
	v_mul_f64 v[4:5], v[134:135], v[168:169]
	v_add_f64 v[24:25], v[24:25], v[176:177]
	v_mul_f64 v[176:177], v[132:133], v[168:169]
	s_waitcnt vmcnt(4)
	v_fma_f64 v[4:5], v[132:133], v[170:171], -v[4:5]
	v_fmac_f64_e32 v[176:177], v[134:135], v[170:171]
	v_add_f64 v[2:3], v[2:3], v[4:5]
	v_add_f64 v[24:25], v[24:25], v[176:177]
	s_waitcnt vmcnt(2)
	v_add_f64 v[2:3], v[172:173], -v[2:3]
	s_waitcnt vmcnt(0)
	v_add_f64 v[4:5], v[174:175], -v[24:25]
	buffer_store_dword v3, off, s[0:3], 0 offset:196
	buffer_store_dword v2, off, s[0:3], 0 offset:192
	;; [unrolled: 1-line block ×4, first 2 shown]
	s_and_saveexec_b64 s[6:7], vcc
	s_cbranch_execz .LBB26_153
; %bb.152:
	v_accvgpr_read_b32 v5, a36
	buffer_load_dword v2, v5, s[0:3], 0 offen
	buffer_load_dword v3, v5, s[0:3], 0 offen offset:4
	buffer_load_dword v4, v5, s[0:3], 0 offen offset:8
	s_nop 0
	buffer_load_dword v5, v5, s[0:3], 0 offen offset:12
	v_mov_b32_e32 v6, 0
	buffer_store_dword v6, off, s[0:3], 0 offset:176
	buffer_store_dword v6, off, s[0:3], 0 offset:180
	;; [unrolled: 1-line block ×4, first 2 shown]
	s_waitcnt vmcnt(4)
	ds_write_b128 v1, v[2:5]
.LBB26_153:
	s_or_b64 exec, exec, s[6:7]
	s_waitcnt lgkmcnt(0)
	; wave barrier
	s_waitcnt lgkmcnt(0)
	buffer_load_dword v2, off, s[0:3], 0 offset:192
	buffer_load_dword v3, off, s[0:3], 0 offset:196
	;; [unrolled: 1-line block ×64, first 2 shown]
	v_mov_b32_e32 v38, 0
	ds_read_b128 v[30:33], v38 offset:624
	ds_read_b128 v[34:37], v38 offset:640
	;; [unrolled: 1-line block ×7, first 2 shown]
	v_cmp_lt_u32_e32 vcc, 10, v193
	s_waitcnt vmcnt(60) lgkmcnt(6)
	v_mul_f64 v[112:113], v[30:31], v[6:7]
	v_fmac_f64_e32 v[112:113], v[32:33], v[2:3]
	v_add_f64 v[112:113], v[112:113], 0
	v_mul_f64 v[6:7], v[32:33], v[6:7]
	s_waitcnt vmcnt(56) lgkmcnt(5)
	v_mul_f64 v[114:115], v[34:35], v[8:9]
	v_fmac_f64_e32 v[114:115], v[36:37], v[4:5]
	s_waitcnt vmcnt(54) lgkmcnt(4)
	v_mul_f64 v[116:117], v[40:41], v[10:11]
	v_add_f64 v[112:113], v[112:113], v[114:115]
	v_fma_f64 v[2:3], v[30:31], v[2:3], -v[6:7]
	v_mul_f64 v[6:7], v[36:37], v[8:9]
	s_waitcnt vmcnt(50) lgkmcnt(3)
	v_mul_f64 v[118:119], v[100:101], v[16:17]
	s_waitcnt vmcnt(49) lgkmcnt(2)
	v_mul_f64 v[120:121], v[104:105], v[12:13]
	v_add_f64 v[2:3], v[2:3], 0
	s_waitcnt vmcnt(47)
	v_fmac_f64_e32 v[116:117], v[42:43], v[20:21]
	v_add_f64 v[112:113], v[112:113], v[116:117]
	s_waitcnt vmcnt(45)
	v_fmac_f64_e32 v[118:119], v[102:103], v[18:19]
	;; [unrolled: 3-line block ×3, first 2 shown]
	v_add_f64 v[116:117], v[112:113], v[120:121]
	ds_read_b128 v[112:115], v38 offset:720
	s_waitcnt vmcnt(40) lgkmcnt(2)
	v_mul_f64 v[118:119], v[108:109], v[26:27]
	v_fma_f64 v[4:5], v[34:35], v[4:5], -v[6:7]
	s_waitcnt vmcnt(38)
	v_fmac_f64_e32 v[118:119], v[110:111], v[28:29]
	v_add_f64 v[120:121], v[116:117], v[118:119]
	ds_read_b128 v[116:119], v38 offset:736
	s_waitcnt vmcnt(36) lgkmcnt(1)
	v_mul_f64 v[122:123], v[112:113], v[22:23]
	v_fmac_f64_e32 v[122:123], v[114:115], v[24:25]
	v_add_f64 v[2:3], v[2:3], v[4:5]
	v_mul_f64 v[4:5], v[42:43], v[10:11]
	v_add_f64 v[124:125], v[120:121], v[122:123]
	ds_read_b128 v[120:123], v38 offset:752
	s_waitcnt vmcnt(32) lgkmcnt(1)
	v_mul_f64 v[126:127], v[116:117], v[150:151]
	v_fma_f64 v[4:5], v[40:41], v[20:21], -v[4:5]
	s_waitcnt vmcnt(30)
	v_fmac_f64_e32 v[126:127], v[118:119], v[152:153]
	v_add_f64 v[2:3], v[2:3], v[4:5]
	v_mul_f64 v[4:5], v[102:103], v[16:17]
	v_add_f64 v[128:129], v[124:125], v[126:127]
	ds_read_b128 v[124:127], v38 offset:768
	v_fma_f64 v[4:5], v[100:101], v[18:19], -v[4:5]
	v_add_f64 v[2:3], v[2:3], v[4:5]
	v_mul_f64 v[4:5], v[106:107], v[12:13]
	v_fma_f64 v[4:5], v[104:105], v[14:15], -v[4:5]
	s_waitcnt vmcnt(28) lgkmcnt(1)
	v_mul_f64 v[130:131], v[120:121], v[44:45]
	v_add_f64 v[2:3], v[2:3], v[4:5]
	v_mul_f64 v[4:5], v[110:111], v[26:27]
	v_fmac_f64_e32 v[130:131], v[122:123], v[148:149]
	v_fma_f64 v[4:5], v[108:109], v[28:29], -v[4:5]
	v_add_f64 v[132:133], v[128:129], v[130:131]
	ds_read_b128 v[128:131], v38 offset:784
	s_waitcnt vmcnt(24) lgkmcnt(1)
	v_mul_f64 v[134:135], v[124:125], v[160:161]
	v_add_f64 v[2:3], v[2:3], v[4:5]
	v_mul_f64 v[4:5], v[114:115], v[22:23]
	s_waitcnt vmcnt(22)
	v_fmac_f64_e32 v[134:135], v[126:127], v[162:163]
	v_fma_f64 v[4:5], v[112:113], v[24:25], -v[4:5]
	v_add_f64 v[136:137], v[132:133], v[134:135]
	ds_read_b128 v[132:135], v38 offset:800
	v_add_f64 v[2:3], v[2:3], v[4:5]
	v_mul_f64 v[4:5], v[118:119], v[150:151]
	v_fma_f64 v[4:5], v[116:117], v[152:153], -v[4:5]
	v_add_f64 v[2:3], v[2:3], v[4:5]
	v_mul_f64 v[4:5], v[122:123], v[44:45]
	s_waitcnt vmcnt(20) lgkmcnt(1)
	v_mul_f64 v[138:139], v[128:129], v[154:155]
	v_fma_f64 v[4:5], v[120:121], v[148:149], -v[4:5]
	v_fmac_f64_e32 v[138:139], v[130:131], v[158:159]
	v_add_f64 v[2:3], v[2:3], v[4:5]
	v_mul_f64 v[4:5], v[126:127], v[160:161]
	v_add_f64 v[140:141], v[136:137], v[138:139]
	ds_read_b128 v[136:139], v38 offset:816
	s_waitcnt vmcnt(16) lgkmcnt(1)
	v_mul_f64 v[142:143], v[132:133], v[168:169]
	v_fma_f64 v[4:5], v[124:125], v[162:163], -v[4:5]
	s_waitcnt vmcnt(14)
	v_fmac_f64_e32 v[142:143], v[134:135], v[170:171]
	v_add_f64 v[2:3], v[2:3], v[4:5]
	v_mul_f64 v[4:5], v[130:131], v[154:155]
	v_add_f64 v[184:185], v[140:141], v[142:143]
	ds_read_b128 v[140:143], v38 offset:832
	v_fma_f64 v[4:5], v[128:129], v[158:159], -v[4:5]
	v_add_f64 v[2:3], v[2:3], v[4:5]
	v_mul_f64 v[4:5], v[134:135], v[168:169]
	v_fma_f64 v[4:5], v[132:133], v[170:171], -v[4:5]
	v_add_f64 v[2:3], v[2:3], v[4:5]
	s_waitcnt vmcnt(12) lgkmcnt(1)
	v_mul_f64 v[4:5], v[138:139], v[164:165]
	v_mul_f64 v[186:187], v[136:137], v[164:165]
	v_fma_f64 v[4:5], v[136:137], v[166:167], -v[4:5]
	v_fmac_f64_e32 v[186:187], v[138:139], v[166:167]
	v_add_f64 v[2:3], v[2:3], v[4:5]
	s_waitcnt vmcnt(8) lgkmcnt(0)
	v_mul_f64 v[4:5], v[142:143], v[176:177]
	v_add_f64 v[184:185], v[184:185], v[186:187]
	v_mul_f64 v[186:187], v[140:141], v[176:177]
	s_waitcnt vmcnt(6)
	v_fma_f64 v[4:5], v[140:141], v[178:179], -v[4:5]
	v_fmac_f64_e32 v[186:187], v[142:143], v[178:179]
	v_add_f64 v[2:3], v[2:3], v[4:5]
	s_waitcnt vmcnt(5)
	v_mul_f64 v[4:5], v[146:147], v[172:173]
	v_add_f64 v[184:185], v[184:185], v[186:187]
	v_mul_f64 v[186:187], v[144:145], v[172:173]
	s_waitcnt vmcnt(4)
	v_fma_f64 v[4:5], v[144:145], v[174:175], -v[4:5]
	v_fmac_f64_e32 v[186:187], v[146:147], v[174:175]
	v_add_f64 v[2:3], v[2:3], v[4:5]
	v_add_f64 v[184:185], v[184:185], v[186:187]
	s_waitcnt vmcnt(2)
	v_add_f64 v[2:3], v[180:181], -v[2:3]
	s_waitcnt vmcnt(0)
	v_add_f64 v[4:5], v[182:183], -v[184:185]
	buffer_store_dword v3, off, s[0:3], 0 offset:180
	buffer_store_dword v2, off, s[0:3], 0 offset:176
	;; [unrolled: 1-line block ×4, first 2 shown]
	s_and_saveexec_b64 s[6:7], vcc
	s_cbranch_execz .LBB26_155
; %bb.154:
	v_accvgpr_read_b32 v5, a38
	buffer_load_dword v2, v5, s[0:3], 0 offen
	buffer_load_dword v3, v5, s[0:3], 0 offen offset:4
	buffer_load_dword v4, v5, s[0:3], 0 offen offset:8
	s_nop 0
	buffer_load_dword v5, v5, s[0:3], 0 offen offset:12
	s_nop 0
	buffer_store_dword v38, off, s[0:3], 0 offset:160
	buffer_store_dword v38, off, s[0:3], 0 offset:164
	;; [unrolled: 1-line block ×4, first 2 shown]
	s_waitcnt vmcnt(4)
	ds_write_b128 v1, v[2:5]
.LBB26_155:
	s_or_b64 exec, exec, s[6:7]
	s_waitcnt lgkmcnt(0)
	; wave barrier
	s_waitcnt lgkmcnt(0)
	buffer_load_dword v2, off, s[0:3], 0 offset:176
	buffer_load_dword v3, off, s[0:3], 0 offset:180
	;; [unrolled: 1-line block ×64, first 2 shown]
	ds_read_b128 v[40:43], v38 offset:608
	ds_read_b128 v[100:103], v38 offset:624
	;; [unrolled: 1-line block ×4, first 2 shown]
	buffer_load_dword v194, off, s[0:3], 0 offset:160
	buffer_load_dword v195, off, s[0:3], 0 offset:164
	;; [unrolled: 1-line block ×4, first 2 shown]
	v_cmp_lt_u32_e32 vcc, 9, v193
	ds_read_b128 v[158:161], v38 offset:848
	s_waitcnt vmcnt(62) lgkmcnt(4)
	v_mul_f64 v[112:113], v[40:41], v[4:5]
	v_fmac_f64_e32 v[112:113], v[42:43], v[2:3]
	s_waitcnt lgkmcnt(3)
	v_mul_f64 v[114:115], v[100:101], v[6:7]
	v_add_f64 v[112:113], v[112:113], 0
	s_waitcnt vmcnt(60) lgkmcnt(2)
	v_mul_f64 v[116:117], v[104:105], v[8:9]
	v_mul_f64 v[4:5], v[42:43], v[4:5]
	v_fma_f64 v[2:3], v[40:41], v[2:3], -v[4:5]
	v_mul_f64 v[4:5], v[102:103], v[6:7]
	s_waitcnt vmcnt(56) lgkmcnt(1)
	v_mul_f64 v[118:119], v[108:109], v[14:15]
	v_add_f64 v[2:3], v[2:3], 0
	s_waitcnt vmcnt(54)
	v_fmac_f64_e32 v[114:115], v[102:103], v[20:21]
	v_add_f64 v[120:121], v[112:113], v[114:115]
	ds_read_b128 v[112:115], v38 offset:672
	s_waitcnt vmcnt(52)
	v_fmac_f64_e32 v[116:117], v[106:107], v[18:19]
	v_add_f64 v[116:117], v[120:121], v[116:117]
	s_waitcnt vmcnt(50)
	v_fmac_f64_e32 v[118:119], v[110:111], v[16:17]
	v_add_f64 v[120:121], v[116:117], v[118:119]
	ds_read_b128 v[116:119], v38 offset:688
	s_waitcnt vmcnt(48) lgkmcnt(1)
	v_mul_f64 v[122:123], v[112:113], v[10:11]
	v_fmac_f64_e32 v[122:123], v[114:115], v[12:13]
	v_add_f64 v[124:125], v[120:121], v[122:123]
	ds_read_b128 v[120:123], v38 offset:704
	s_waitcnt vmcnt(44) lgkmcnt(1)
	v_mul_f64 v[126:127], v[116:117], v[26:27]
	s_waitcnt vmcnt(42)
	v_fmac_f64_e32 v[126:127], v[118:119], v[28:29]
	v_add_f64 v[128:129], v[124:125], v[126:127]
	ds_read_b128 v[124:127], v38 offset:720
	s_waitcnt vmcnt(40) lgkmcnt(1)
	v_mul_f64 v[130:131], v[120:121], v[22:23]
	v_fmac_f64_e32 v[130:131], v[122:123], v[24:25]
	v_add_f64 v[132:133], v[128:129], v[130:131]
	ds_read_b128 v[128:131], v38 offset:736
	v_fma_f64 v[4:5], v[100:101], v[20:21], -v[4:5]
	v_add_f64 v[2:3], v[2:3], v[4:5]
	v_mul_f64 v[4:5], v[106:107], v[8:9]
	s_waitcnt vmcnt(36) lgkmcnt(1)
	v_mul_f64 v[134:135], v[124:125], v[34:35]
	v_fma_f64 v[4:5], v[104:105], v[18:19], -v[4:5]
	s_waitcnt vmcnt(34)
	v_fmac_f64_e32 v[134:135], v[126:127], v[36:37]
	v_add_f64 v[2:3], v[2:3], v[4:5]
	v_mul_f64 v[4:5], v[110:111], v[14:15]
	v_add_f64 v[136:137], v[132:133], v[134:135]
	ds_read_b128 v[132:135], v38 offset:752
	s_waitcnt vmcnt(32) lgkmcnt(1)
	v_mul_f64 v[138:139], v[128:129], v[30:31]
	v_fma_f64 v[4:5], v[108:109], v[16:17], -v[4:5]
	v_fmac_f64_e32 v[138:139], v[130:131], v[32:33]
	v_add_f64 v[2:3], v[2:3], v[4:5]
	v_mul_f64 v[4:5], v[114:115], v[10:11]
	v_add_f64 v[140:141], v[136:137], v[138:139]
	ds_read_b128 v[136:139], v38 offset:768
	v_fma_f64 v[4:5], v[112:113], v[12:13], -v[4:5]
	v_add_f64 v[2:3], v[2:3], v[4:5]
	v_mul_f64 v[4:5], v[118:119], v[26:27]
	v_fma_f64 v[4:5], v[116:117], v[28:29], -v[4:5]
	s_waitcnt vmcnt(28) lgkmcnt(1)
	v_mul_f64 v[142:143], v[132:133], v[164:165]
	v_add_f64 v[2:3], v[2:3], v[4:5]
	v_mul_f64 v[4:5], v[122:123], v[22:23]
	s_waitcnt vmcnt(26)
	v_fmac_f64_e32 v[142:143], v[134:135], v[166:167]
	v_fma_f64 v[4:5], v[120:121], v[24:25], -v[4:5]
	v_add_f64 v[144:145], v[140:141], v[142:143]
	ds_read_b128 v[140:143], v38 offset:784
	s_waitcnt vmcnt(24) lgkmcnt(1)
	v_mul_f64 v[146:147], v[136:137], v[44:45]
	v_add_f64 v[2:3], v[2:3], v[4:5]
	v_mul_f64 v[4:5], v[126:127], v[34:35]
	v_fmac_f64_e32 v[146:147], v[138:139], v[162:163]
	v_fma_f64 v[4:5], v[124:125], v[36:37], -v[4:5]
	v_add_f64 v[148:149], v[144:145], v[146:147]
	ds_read_b128 v[144:147], v38 offset:800
	v_add_f64 v[2:3], v[2:3], v[4:5]
	v_mul_f64 v[4:5], v[130:131], v[30:31]
	v_fma_f64 v[4:5], v[128:129], v[32:33], -v[4:5]
	v_add_f64 v[2:3], v[2:3], v[4:5]
	v_mul_f64 v[4:5], v[134:135], v[164:165]
	s_waitcnt vmcnt(20) lgkmcnt(1)
	v_mul_f64 v[150:151], v[140:141], v[172:173]
	v_fma_f64 v[4:5], v[132:133], v[166:167], -v[4:5]
	s_waitcnt vmcnt(18)
	v_fmac_f64_e32 v[150:151], v[142:143], v[174:175]
	v_add_f64 v[2:3], v[2:3], v[4:5]
	v_mul_f64 v[4:5], v[138:139], v[44:45]
	v_add_f64 v[152:153], v[148:149], v[150:151]
	ds_read_b128 v[148:151], v38 offset:816
	s_waitcnt vmcnt(16) lgkmcnt(1)
	v_mul_f64 v[154:155], v[144:145], v[168:169]
	v_fma_f64 v[4:5], v[136:137], v[162:163], -v[4:5]
	v_fmac_f64_e32 v[154:155], v[146:147], v[170:171]
	v_add_f64 v[2:3], v[2:3], v[4:5]
	v_mul_f64 v[4:5], v[142:143], v[172:173]
	v_add_f64 v[198:199], v[152:153], v[154:155]
	ds_read_b128 v[152:155], v38 offset:832
	v_fma_f64 v[4:5], v[140:141], v[174:175], -v[4:5]
	v_add_f64 v[2:3], v[2:3], v[4:5]
	v_mul_f64 v[4:5], v[146:147], v[168:169]
	v_fma_f64 v[4:5], v[144:145], v[170:171], -v[4:5]
	v_add_f64 v[2:3], v[2:3], v[4:5]
	s_waitcnt vmcnt(12) lgkmcnt(1)
	v_mul_f64 v[4:5], v[150:151], v[180:181]
	v_mul_f64 v[200:201], v[148:149], v[180:181]
	s_waitcnt vmcnt(10)
	v_fma_f64 v[4:5], v[148:149], v[182:183], -v[4:5]
	v_fmac_f64_e32 v[200:201], v[150:151], v[182:183]
	v_add_f64 v[2:3], v[2:3], v[4:5]
	s_waitcnt vmcnt(8) lgkmcnt(0)
	v_mul_f64 v[4:5], v[154:155], v[176:177]
	v_add_f64 v[38:39], v[198:199], v[200:201]
	v_mul_f64 v[198:199], v[152:153], v[176:177]
	v_fma_f64 v[4:5], v[152:153], v[178:179], -v[4:5]
	v_fmac_f64_e32 v[198:199], v[154:155], v[178:179]
	v_add_f64 v[2:3], v[2:3], v[4:5]
	s_waitcnt vmcnt(6)
	v_mul_f64 v[4:5], v[160:161], v[184:185]
	v_add_f64 v[38:39], v[38:39], v[198:199]
	v_mul_f64 v[198:199], v[158:159], v[184:185]
	s_waitcnt vmcnt(4)
	v_fma_f64 v[4:5], v[158:159], v[186:187], -v[4:5]
	v_fmac_f64_e32 v[198:199], v[160:161], v[186:187]
	v_add_f64 v[2:3], v[2:3], v[4:5]
	v_add_f64 v[38:39], v[38:39], v[198:199]
	s_waitcnt vmcnt(2)
	v_add_f64 v[2:3], v[194:195], -v[2:3]
	s_waitcnt vmcnt(0)
	v_add_f64 v[4:5], v[196:197], -v[38:39]
	buffer_store_dword v3, off, s[0:3], 0 offset:164
	buffer_store_dword v2, off, s[0:3], 0 offset:160
	;; [unrolled: 1-line block ×4, first 2 shown]
	s_and_saveexec_b64 s[6:7], vcc
	s_cbranch_execz .LBB26_157
; %bb.156:
	v_accvgpr_read_b32 v5, a35
	buffer_load_dword v2, v5, s[0:3], 0 offen
	buffer_load_dword v3, v5, s[0:3], 0 offen offset:4
	buffer_load_dword v4, v5, s[0:3], 0 offen offset:8
	s_nop 0
	buffer_load_dword v5, v5, s[0:3], 0 offen offset:12
	v_mov_b32_e32 v6, 0
	buffer_store_dword v6, off, s[0:3], 0 offset:144
	buffer_store_dword v6, off, s[0:3], 0 offset:148
	;; [unrolled: 1-line block ×4, first 2 shown]
	s_waitcnt vmcnt(4)
	ds_write_b128 v1, v[2:5]
.LBB26_157:
	s_or_b64 exec, exec, s[6:7]
	s_waitcnt lgkmcnt(0)
	; wave barrier
	s_waitcnt lgkmcnt(0)
	buffer_load_dword v2, off, s[0:3], 0 offset:160
	buffer_load_dword v3, off, s[0:3], 0 offset:164
	;; [unrolled: 1-line block ×68, first 2 shown]
	v_mov_b32_e32 v100, 0
	ds_read_b128 v[42:45], v100 offset:592
	ds_read_b128 v[102:105], v100 offset:608
	buffer_load_dword v202, off, s[0:3], 0 offset:144
	buffer_load_dword v203, off, s[0:3], 0 offset:148
	;; [unrolled: 1-line block ×4, first 2 shown]
	ds_read_b128 v[106:109], v100 offset:624
	ds_read_b128 v[110:113], v100 offset:640
	;; [unrolled: 1-line block ×3, first 2 shown]
	v_cmp_lt_u32_e32 vcc, 8, v193
	s_waitcnt vmcnt(62) lgkmcnt(4)
	v_mul_f64 v[114:115], v[42:43], v[8:9]
	v_fmac_f64_e32 v[114:115], v[44:45], v[2:3]
	v_add_f64 v[114:115], v[114:115], 0
	v_mul_f64 v[8:9], v[44:45], v[8:9]
	s_waitcnt lgkmcnt(3)
	v_mul_f64 v[116:117], v[102:103], v[10:11]
	v_fmac_f64_e32 v[116:117], v[104:105], v[4:5]
	v_add_f64 v[114:115], v[114:115], v[116:117]
	v_fma_f64 v[2:3], v[42:43], v[2:3], -v[8:9]
	s_waitcnt vmcnt(60) lgkmcnt(2)
	v_mul_f64 v[116:117], v[106:107], v[12:13]
	v_fmac_f64_e32 v[116:117], v[108:109], v[6:7]
	v_add_f64 v[118:119], v[114:115], v[116:117]
	ds_read_b128 v[114:117], v100 offset:656
	s_waitcnt vmcnt(56) lgkmcnt(2)
	v_mul_f64 v[120:121], v[110:111], v[18:19]
	v_mul_f64 v[8:9], v[104:105], v[10:11]
	s_waitcnt vmcnt(54)
	v_fmac_f64_e32 v[120:121], v[112:113], v[20:21]
	v_add_f64 v[122:123], v[118:119], v[120:121]
	ds_read_b128 v[118:121], v100 offset:672
	s_waitcnt vmcnt(52) lgkmcnt(1)
	v_mul_f64 v[124:125], v[114:115], v[14:15]
	v_fmac_f64_e32 v[124:125], v[116:117], v[16:17]
	v_add_f64 v[126:127], v[122:123], v[124:125]
	ds_read_b128 v[122:125], v100 offset:688
	s_waitcnt vmcnt(48) lgkmcnt(1)
	v_mul_f64 v[128:129], v[118:119], v[26:27]
	s_waitcnt vmcnt(46)
	v_fmac_f64_e32 v[128:129], v[120:121], v[28:29]
	v_add_f64 v[130:131], v[126:127], v[128:129]
	ds_read_b128 v[126:129], v100 offset:704
	s_waitcnt vmcnt(44) lgkmcnt(1)
	v_mul_f64 v[132:133], v[122:123], v[22:23]
	v_fmac_f64_e32 v[132:133], v[124:125], v[24:25]
	v_add_f64 v[134:135], v[130:131], v[132:133]
	ds_read_b128 v[130:133], v100 offset:720
	s_waitcnt vmcnt(40) lgkmcnt(1)
	v_mul_f64 v[136:137], v[126:127], v[34:35]
	s_waitcnt vmcnt(38)
	v_fmac_f64_e32 v[136:137], v[128:129], v[36:37]
	v_add_f64 v[2:3], v[2:3], 0
	v_fma_f64 v[4:5], v[102:103], v[4:5], -v[8:9]
	v_add_f64 v[138:139], v[134:135], v[136:137]
	ds_read_b128 v[134:137], v100 offset:736
	v_add_f64 v[2:3], v[2:3], v[4:5]
	v_mul_f64 v[4:5], v[108:109], v[12:13]
	v_fma_f64 v[4:5], v[106:107], v[6:7], -v[4:5]
	v_add_f64 v[2:3], v[2:3], v[4:5]
	v_mul_f64 v[4:5], v[112:113], v[18:19]
	s_waitcnt vmcnt(36) lgkmcnt(1)
	v_mul_f64 v[140:141], v[130:131], v[30:31]
	v_fma_f64 v[4:5], v[110:111], v[20:21], -v[4:5]
	v_fmac_f64_e32 v[140:141], v[132:133], v[32:33]
	v_add_f64 v[2:3], v[2:3], v[4:5]
	v_mul_f64 v[4:5], v[116:117], v[14:15]
	v_add_f64 v[142:143], v[138:139], v[140:141]
	ds_read_b128 v[138:141], v100 offset:752
	s_waitcnt vmcnt(32) lgkmcnt(1)
	v_mul_f64 v[144:145], v[134:135], v[154:155]
	v_fma_f64 v[4:5], v[114:115], v[16:17], -v[4:5]
	s_waitcnt vmcnt(30)
	v_fmac_f64_e32 v[144:145], v[136:137], v[166:167]
	v_add_f64 v[2:3], v[2:3], v[4:5]
	v_mul_f64 v[4:5], v[120:121], v[26:27]
	v_add_f64 v[146:147], v[142:143], v[144:145]
	ds_read_b128 v[142:145], v100 offset:768
	v_fma_f64 v[4:5], v[118:119], v[28:29], -v[4:5]
	v_add_f64 v[2:3], v[2:3], v[4:5]
	v_mul_f64 v[4:5], v[124:125], v[22:23]
	v_fma_f64 v[4:5], v[122:123], v[24:25], -v[4:5]
	s_waitcnt vmcnt(28) lgkmcnt(1)
	v_mul_f64 v[148:149], v[138:139], v[38:39]
	v_add_f64 v[2:3], v[2:3], v[4:5]
	v_mul_f64 v[4:5], v[128:129], v[34:35]
	v_fmac_f64_e32 v[148:149], v[140:141], v[40:41]
	v_fma_f64 v[4:5], v[126:127], v[36:37], -v[4:5]
	v_add_f64 v[150:151], v[146:147], v[148:149]
	ds_read_b128 v[146:149], v100 offset:784
	s_waitcnt vmcnt(24) lgkmcnt(1)
	v_mul_f64 v[152:153], v[142:143], v[172:173]
	v_add_f64 v[2:3], v[2:3], v[4:5]
	v_mul_f64 v[4:5], v[132:133], v[30:31]
	s_waitcnt vmcnt(22)
	v_fmac_f64_e32 v[152:153], v[144:145], v[174:175]
	v_fma_f64 v[4:5], v[130:131], v[32:33], -v[4:5]
	v_add_f64 v[158:159], v[150:151], v[152:153]
	ds_read_b128 v[150:153], v100 offset:800
	v_add_f64 v[2:3], v[2:3], v[4:5]
	v_mul_f64 v[4:5], v[136:137], v[154:155]
	v_fma_f64 v[4:5], v[134:135], v[166:167], -v[4:5]
	v_add_f64 v[2:3], v[2:3], v[4:5]
	v_mul_f64 v[4:5], v[140:141], v[38:39]
	s_waitcnt vmcnt(20) lgkmcnt(1)
	v_mul_f64 v[160:161], v[146:147], v[168:169]
	v_fma_f64 v[4:5], v[138:139], v[40:41], -v[4:5]
	v_fmac_f64_e32 v[160:161], v[148:149], v[170:171]
	v_add_f64 v[2:3], v[2:3], v[4:5]
	v_mul_f64 v[4:5], v[144:145], v[172:173]
	v_add_f64 v[162:163], v[158:159], v[160:161]
	ds_read_b128 v[158:161], v100 offset:816
	s_waitcnt vmcnt(16) lgkmcnt(1)
	v_mul_f64 v[164:165], v[150:151], v[180:181]
	v_fma_f64 v[4:5], v[142:143], v[174:175], -v[4:5]
	s_waitcnt vmcnt(14)
	v_fmac_f64_e32 v[164:165], v[152:153], v[182:183]
	v_add_f64 v[2:3], v[2:3], v[4:5]
	v_mul_f64 v[4:5], v[148:149], v[168:169]
	v_add_f64 v[206:207], v[162:163], v[164:165]
	ds_read_b128 v[162:165], v100 offset:832
	v_fma_f64 v[4:5], v[146:147], v[170:171], -v[4:5]
	v_add_f64 v[2:3], v[2:3], v[4:5]
	v_mul_f64 v[4:5], v[152:153], v[180:181]
	v_fma_f64 v[4:5], v[150:151], v[182:183], -v[4:5]
	v_add_f64 v[2:3], v[2:3], v[4:5]
	s_waitcnt vmcnt(12) lgkmcnt(1)
	v_mul_f64 v[4:5], v[160:161], v[176:177]
	v_mul_f64 v[208:209], v[158:159], v[176:177]
	v_fma_f64 v[4:5], v[158:159], v[178:179], -v[4:5]
	v_fmac_f64_e32 v[208:209], v[160:161], v[178:179]
	v_add_f64 v[2:3], v[2:3], v[4:5]
	s_waitcnt vmcnt(8) lgkmcnt(0)
	v_mul_f64 v[4:5], v[164:165], v[198:199]
	v_add_f64 v[206:207], v[206:207], v[208:209]
	v_mul_f64 v[208:209], v[162:163], v[198:199]
	s_waitcnt vmcnt(6)
	v_fma_f64 v[4:5], v[162:163], v[200:201], -v[4:5]
	v_fmac_f64_e32 v[208:209], v[164:165], v[200:201]
	v_add_f64 v[2:3], v[2:3], v[4:5]
	s_waitcnt vmcnt(5)
	v_mul_f64 v[4:5], v[196:197], v[184:185]
	v_add_f64 v[206:207], v[206:207], v[208:209]
	v_mul_f64 v[208:209], v[194:195], v[184:185]
	s_waitcnt vmcnt(4)
	v_fma_f64 v[4:5], v[194:195], v[186:187], -v[4:5]
	v_fmac_f64_e32 v[208:209], v[196:197], v[186:187]
	v_add_f64 v[2:3], v[2:3], v[4:5]
	v_add_f64 v[206:207], v[206:207], v[208:209]
	s_waitcnt vmcnt(2)
	v_add_f64 v[2:3], v[202:203], -v[2:3]
	s_waitcnt vmcnt(0)
	v_add_f64 v[4:5], v[204:205], -v[206:207]
	buffer_store_dword v3, off, s[0:3], 0 offset:148
	buffer_store_dword v2, off, s[0:3], 0 offset:144
	;; [unrolled: 1-line block ×4, first 2 shown]
	s_and_saveexec_b64 s[6:7], vcc
	s_cbranch_execz .LBB26_159
; %bb.158:
	v_accvgpr_read_b32 v5, a37
	buffer_load_dword v2, v5, s[0:3], 0 offen
	buffer_load_dword v3, v5, s[0:3], 0 offen offset:4
	buffer_load_dword v4, v5, s[0:3], 0 offen offset:8
	s_nop 0
	buffer_load_dword v5, v5, s[0:3], 0 offen offset:12
	s_nop 0
	buffer_store_dword v100, off, s[0:3], 0 offset:128
	buffer_store_dword v100, off, s[0:3], 0 offset:132
	;; [unrolled: 1-line block ×4, first 2 shown]
	s_waitcnt vmcnt(4)
	ds_write_b128 v1, v[2:5]
.LBB26_159:
	s_or_b64 exec, exec, s[6:7]
	s_waitcnt lgkmcnt(0)
	; wave barrier
	s_waitcnt lgkmcnt(0)
	buffer_load_dword v2, off, s[0:3], 0 offset:144
	buffer_load_dword v3, off, s[0:3], 0 offset:148
	;; [unrolled: 1-line block ×72, first 2 shown]
	ds_read_b128 v[102:105], v100 offset:576
	buffer_load_dword v210, off, s[0:3], 0 offset:128
	buffer_load_dword v211, off, s[0:3], 0 offset:132
	;; [unrolled: 1-line block ×4, first 2 shown]
	ds_read_b128 v[106:109], v100 offset:592
	ds_read_b128 v[110:113], v100 offset:608
	;; [unrolled: 1-line block ×3, first 2 shown]
	v_cmp_lt_u32_e32 vcc, 7, v193
	ds_read_b128 v[202:205], v100 offset:848
	s_waitcnt vmcnt(62) lgkmcnt(4)
	v_mul_f64 v[118:119], v[102:103], v[8:9]
	v_fmac_f64_e32 v[118:119], v[104:105], v[2:3]
	v_add_f64 v[118:119], v[118:119], 0
	v_mul_f64 v[8:9], v[104:105], v[8:9]
	s_waitcnt lgkmcnt(3)
	v_mul_f64 v[120:121], v[106:107], v[10:11]
	v_fmac_f64_e32 v[120:121], v[108:109], v[4:5]
	v_add_f64 v[118:119], v[118:119], v[120:121]
	v_fma_f64 v[2:3], v[102:103], v[2:3], -v[8:9]
	s_waitcnt lgkmcnt(2)
	v_mul_f64 v[120:121], v[110:111], v[12:13]
	v_fmac_f64_e32 v[120:121], v[112:113], v[6:7]
	v_add_f64 v[122:123], v[118:119], v[120:121]
	ds_read_b128 v[118:121], v100 offset:640
	s_waitcnt vmcnt(60) lgkmcnt(2)
	v_mul_f64 v[124:125], v[114:115], v[18:19]
	v_mul_f64 v[8:9], v[108:109], v[10:11]
	s_waitcnt vmcnt(58)
	v_fmac_f64_e32 v[124:125], v[116:117], v[20:21]
	v_add_f64 v[126:127], v[122:123], v[124:125]
	ds_read_b128 v[122:125], v100 offset:656
	s_waitcnt vmcnt(56) lgkmcnt(1)
	v_mul_f64 v[128:129], v[118:119], v[14:15]
	v_fmac_f64_e32 v[128:129], v[120:121], v[16:17]
	v_add_f64 v[130:131], v[126:127], v[128:129]
	ds_read_b128 v[126:129], v100 offset:672
	s_waitcnt vmcnt(52) lgkmcnt(1)
	v_mul_f64 v[132:133], v[122:123], v[26:27]
	s_waitcnt vmcnt(50)
	v_fmac_f64_e32 v[132:133], v[124:125], v[28:29]
	v_add_f64 v[134:135], v[130:131], v[132:133]
	ds_read_b128 v[130:133], v100 offset:688
	s_waitcnt vmcnt(48) lgkmcnt(1)
	v_mul_f64 v[136:137], v[126:127], v[22:23]
	v_fmac_f64_e32 v[136:137], v[128:129], v[24:25]
	v_add_f64 v[138:139], v[134:135], v[136:137]
	ds_read_b128 v[134:137], v100 offset:704
	s_waitcnt vmcnt(44) lgkmcnt(1)
	v_mul_f64 v[140:141], v[130:131], v[34:35]
	s_waitcnt vmcnt(42)
	v_fmac_f64_e32 v[140:141], v[132:133], v[36:37]
	v_add_f64 v[2:3], v[2:3], 0
	v_fma_f64 v[4:5], v[106:107], v[4:5], -v[8:9]
	v_add_f64 v[142:143], v[138:139], v[140:141]
	ds_read_b128 v[138:141], v100 offset:720
	s_waitcnt vmcnt(40) lgkmcnt(1)
	v_mul_f64 v[144:145], v[134:135], v[30:31]
	v_add_f64 v[2:3], v[2:3], v[4:5]
	v_mul_f64 v[4:5], v[112:113], v[12:13]
	v_fmac_f64_e32 v[144:145], v[136:137], v[32:33]
	v_fma_f64 v[4:5], v[110:111], v[6:7], -v[4:5]
	v_add_f64 v[146:147], v[142:143], v[144:145]
	ds_read_b128 v[142:145], v100 offset:736
	v_add_f64 v[2:3], v[2:3], v[4:5]
	v_mul_f64 v[4:5], v[116:117], v[18:19]
	v_fma_f64 v[4:5], v[114:115], v[20:21], -v[4:5]
	v_add_f64 v[2:3], v[2:3], v[4:5]
	v_mul_f64 v[4:5], v[120:121], v[14:15]
	s_waitcnt vmcnt(36) lgkmcnt(1)
	v_mul_f64 v[148:149], v[138:139], v[42:43]
	v_fma_f64 v[4:5], v[118:119], v[16:17], -v[4:5]
	s_waitcnt vmcnt(34)
	v_fmac_f64_e32 v[148:149], v[140:141], v[44:45]
	v_add_f64 v[2:3], v[2:3], v[4:5]
	v_mul_f64 v[4:5], v[124:125], v[26:27]
	v_add_f64 v[150:151], v[146:147], v[148:149]
	ds_read_b128 v[146:149], v100 offset:752
	s_waitcnt vmcnt(32) lgkmcnt(1)
	v_mul_f64 v[152:153], v[142:143], v[38:39]
	v_fma_f64 v[4:5], v[122:123], v[28:29], -v[4:5]
	v_fmac_f64_e32 v[152:153], v[144:145], v[40:41]
	v_add_f64 v[2:3], v[2:3], v[4:5]
	v_mul_f64 v[4:5], v[128:129], v[22:23]
	v_add_f64 v[158:159], v[150:151], v[152:153]
	ds_read_b128 v[150:153], v100 offset:768
	v_fma_f64 v[4:5], v[126:127], v[24:25], -v[4:5]
	v_add_f64 v[2:3], v[2:3], v[4:5]
	v_mul_f64 v[4:5], v[132:133], v[34:35]
	v_fma_f64 v[4:5], v[130:131], v[36:37], -v[4:5]
	s_waitcnt vmcnt(28) lgkmcnt(1)
	v_mul_f64 v[160:161], v[146:147], v[168:169]
	v_add_f64 v[2:3], v[2:3], v[4:5]
	v_mul_f64 v[4:5], v[136:137], v[30:31]
	s_waitcnt vmcnt(26)
	v_fmac_f64_e32 v[160:161], v[148:149], v[170:171]
	v_fma_f64 v[4:5], v[134:135], v[32:33], -v[4:5]
	v_add_f64 v[162:163], v[158:159], v[160:161]
	ds_read_b128 v[158:161], v100 offset:784
	s_waitcnt vmcnt(24) lgkmcnt(1)
	v_mul_f64 v[164:165], v[150:151], v[154:155]
	v_add_f64 v[2:3], v[2:3], v[4:5]
	v_mul_f64 v[4:5], v[140:141], v[42:43]
	v_fmac_f64_e32 v[164:165], v[152:153], v[166:167]
	v_fma_f64 v[4:5], v[138:139], v[44:45], -v[4:5]
	v_add_f64 v[194:195], v[162:163], v[164:165]
	ds_read_b128 v[162:165], v100 offset:800
	v_add_f64 v[2:3], v[2:3], v[4:5]
	v_mul_f64 v[4:5], v[144:145], v[38:39]
	v_fma_f64 v[4:5], v[142:143], v[40:41], -v[4:5]
	v_add_f64 v[2:3], v[2:3], v[4:5]
	v_mul_f64 v[4:5], v[148:149], v[168:169]
	s_waitcnt vmcnt(20) lgkmcnt(1)
	v_mul_f64 v[196:197], v[158:159], v[176:177]
	v_fma_f64 v[4:5], v[146:147], v[170:171], -v[4:5]
	s_waitcnt vmcnt(18)
	v_fmac_f64_e32 v[196:197], v[160:161], v[178:179]
	v_add_f64 v[2:3], v[2:3], v[4:5]
	v_mul_f64 v[4:5], v[152:153], v[154:155]
	v_add_f64 v[198:199], v[194:195], v[196:197]
	ds_read_b128 v[194:197], v100 offset:816
	s_waitcnt vmcnt(16) lgkmcnt(1)
	v_mul_f64 v[200:201], v[162:163], v[172:173]
	v_fma_f64 v[4:5], v[150:151], v[166:167], -v[4:5]
	v_fmac_f64_e32 v[200:201], v[164:165], v[174:175]
	v_add_f64 v[2:3], v[2:3], v[4:5]
	v_mul_f64 v[4:5], v[160:161], v[176:177]
	v_add_f64 v[214:215], v[198:199], v[200:201]
	ds_read_b128 v[198:201], v100 offset:832
	v_fma_f64 v[4:5], v[158:159], v[178:179], -v[4:5]
	v_add_f64 v[2:3], v[2:3], v[4:5]
	v_mul_f64 v[4:5], v[164:165], v[172:173]
	v_fma_f64 v[4:5], v[162:163], v[174:175], -v[4:5]
	v_add_f64 v[2:3], v[2:3], v[4:5]
	s_waitcnt vmcnt(12) lgkmcnt(1)
	v_mul_f64 v[4:5], v[196:197], v[184:185]
	v_mul_f64 v[216:217], v[194:195], v[184:185]
	s_waitcnt vmcnt(10)
	v_fma_f64 v[4:5], v[194:195], v[186:187], -v[4:5]
	v_fmac_f64_e32 v[216:217], v[196:197], v[186:187]
	v_add_f64 v[2:3], v[2:3], v[4:5]
	s_waitcnt vmcnt(8) lgkmcnt(0)
	v_mul_f64 v[4:5], v[200:201], v[180:181]
	v_add_f64 v[100:101], v[214:215], v[216:217]
	v_mul_f64 v[214:215], v[198:199], v[180:181]
	v_fma_f64 v[4:5], v[198:199], v[182:183], -v[4:5]
	v_fmac_f64_e32 v[214:215], v[200:201], v[182:183]
	v_add_f64 v[2:3], v[2:3], v[4:5]
	s_waitcnt vmcnt(6)
	v_mul_f64 v[4:5], v[204:205], v[206:207]
	v_add_f64 v[100:101], v[100:101], v[214:215]
	v_mul_f64 v[214:215], v[202:203], v[206:207]
	s_waitcnt vmcnt(4)
	v_fma_f64 v[4:5], v[202:203], v[208:209], -v[4:5]
	v_fmac_f64_e32 v[214:215], v[204:205], v[208:209]
	v_add_f64 v[2:3], v[2:3], v[4:5]
	v_add_f64 v[100:101], v[100:101], v[214:215]
	s_waitcnt vmcnt(2)
	v_add_f64 v[2:3], v[210:211], -v[2:3]
	s_waitcnt vmcnt(0)
	v_add_f64 v[4:5], v[212:213], -v[100:101]
	buffer_store_dword v3, off, s[0:3], 0 offset:132
	buffer_store_dword v2, off, s[0:3], 0 offset:128
	;; [unrolled: 1-line block ×4, first 2 shown]
	s_and_saveexec_b64 s[6:7], vcc
	s_cbranch_execz .LBB26_161
; %bb.160:
	v_accvgpr_read_b32 v5, a41
	buffer_load_dword v2, v5, s[0:3], 0 offen
	buffer_load_dword v3, v5, s[0:3], 0 offen offset:4
	buffer_load_dword v4, v5, s[0:3], 0 offen offset:8
	s_nop 0
	buffer_load_dword v5, v5, s[0:3], 0 offen offset:12
	v_mov_b32_e32 v6, 0
	buffer_store_dword v6, off, s[0:3], 0 offset:112
	buffer_store_dword v6, off, s[0:3], 0 offset:116
	;; [unrolled: 1-line block ×4, first 2 shown]
	s_waitcnt vmcnt(4)
	ds_write_b128 v1, v[2:5]
.LBB26_161:
	s_or_b64 exec, exec, s[6:7]
	s_waitcnt lgkmcnt(0)
	; wave barrier
	s_waitcnt lgkmcnt(0)
	buffer_load_dword v2, off, s[0:3], 0 offset:128
	buffer_load_dword v3, off, s[0:3], 0 offset:132
	;; [unrolled: 1-line block ×76, first 2 shown]
	v_mov_b32_e32 v108, 0
	ds_read_b128 v[110:113], v108 offset:560
	buffer_load_dword v218, off, s[0:3], 0 offset:112
	buffer_load_dword v219, off, s[0:3], 0 offset:116
	;; [unrolled: 1-line block ×4, first 2 shown]
	ds_read_b128 v[114:117], v108 offset:576
	ds_read_b128 v[118:121], v108 offset:592
	ds_read_b128 v[122:125], v108 offset:608
	ds_read_b128 v[214:217], v108 offset:848
	v_cmp_lt_u32_e32 vcc, 6, v193
	s_waitcnt vmcnt(62) lgkmcnt(4)
	v_mul_f64 v[126:127], v[110:111], v[8:9]
	v_fmac_f64_e32 v[126:127], v[112:113], v[2:3]
	v_add_f64 v[126:127], v[126:127], 0
	v_mul_f64 v[8:9], v[112:113], v[8:9]
	s_waitcnt lgkmcnt(3)
	v_mul_f64 v[128:129], v[114:115], v[10:11]
	v_fmac_f64_e32 v[128:129], v[116:117], v[4:5]
	v_add_f64 v[126:127], v[126:127], v[128:129]
	v_fma_f64 v[2:3], v[110:111], v[2:3], -v[8:9]
	s_waitcnt lgkmcnt(2)
	v_mul_f64 v[128:129], v[118:119], v[12:13]
	v_fmac_f64_e32 v[128:129], v[120:121], v[6:7]
	v_add_f64 v[130:131], v[126:127], v[128:129]
	ds_read_b128 v[126:129], v108 offset:624
	s_waitcnt lgkmcnt(2)
	v_mul_f64 v[132:133], v[122:123], v[18:19]
	v_mul_f64 v[8:9], v[116:117], v[10:11]
	v_fmac_f64_e32 v[132:133], v[124:125], v[20:21]
	v_add_f64 v[134:135], v[130:131], v[132:133]
	ds_read_b128 v[130:133], v108 offset:640
	s_waitcnt vmcnt(60) lgkmcnt(1)
	v_mul_f64 v[136:137], v[126:127], v[14:15]
	v_fmac_f64_e32 v[136:137], v[128:129], v[16:17]
	v_add_f64 v[138:139], v[134:135], v[136:137]
	ds_read_b128 v[134:137], v108 offset:656
	s_waitcnt vmcnt(56) lgkmcnt(1)
	v_mul_f64 v[140:141], v[130:131], v[26:27]
	s_waitcnt vmcnt(54)
	v_fmac_f64_e32 v[140:141], v[132:133], v[28:29]
	v_add_f64 v[142:143], v[138:139], v[140:141]
	ds_read_b128 v[138:141], v108 offset:672
	s_waitcnt vmcnt(52) lgkmcnt(1)
	v_mul_f64 v[144:145], v[134:135], v[22:23]
	v_fmac_f64_e32 v[144:145], v[136:137], v[24:25]
	v_add_f64 v[146:147], v[142:143], v[144:145]
	ds_read_b128 v[142:145], v108 offset:688
	s_waitcnt vmcnt(48) lgkmcnt(1)
	v_mul_f64 v[148:149], v[138:139], v[34:35]
	s_waitcnt vmcnt(46)
	v_fmac_f64_e32 v[148:149], v[140:141], v[36:37]
	v_add_f64 v[150:151], v[146:147], v[148:149]
	ds_read_b128 v[146:149], v108 offset:704
	v_add_f64 v[2:3], v[2:3], 0
	v_fma_f64 v[4:5], v[114:115], v[4:5], -v[8:9]
	s_waitcnt vmcnt(44) lgkmcnt(1)
	v_mul_f64 v[152:153], v[142:143], v[30:31]
	v_add_f64 v[2:3], v[2:3], v[4:5]
	v_mul_f64 v[4:5], v[120:121], v[12:13]
	v_fmac_f64_e32 v[152:153], v[144:145], v[32:33]
	v_fma_f64 v[4:5], v[118:119], v[6:7], -v[4:5]
	v_add_f64 v[158:159], v[150:151], v[152:153]
	ds_read_b128 v[150:153], v108 offset:720
	s_waitcnt vmcnt(40) lgkmcnt(1)
	v_mul_f64 v[160:161], v[146:147], v[42:43]
	v_add_f64 v[2:3], v[2:3], v[4:5]
	v_mul_f64 v[4:5], v[124:125], v[18:19]
	s_waitcnt vmcnt(38)
	v_fmac_f64_e32 v[160:161], v[148:149], v[44:45]
	v_fma_f64 v[4:5], v[122:123], v[20:21], -v[4:5]
	v_add_f64 v[162:163], v[158:159], v[160:161]
	ds_read_b128 v[158:161], v108 offset:736
	v_add_f64 v[2:3], v[2:3], v[4:5]
	v_mul_f64 v[4:5], v[128:129], v[14:15]
	v_fma_f64 v[4:5], v[126:127], v[16:17], -v[4:5]
	v_add_f64 v[2:3], v[2:3], v[4:5]
	v_mul_f64 v[4:5], v[132:133], v[26:27]
	s_waitcnt vmcnt(36) lgkmcnt(1)
	v_mul_f64 v[164:165], v[150:151], v[38:39]
	v_fma_f64 v[4:5], v[130:131], v[28:29], -v[4:5]
	v_fmac_f64_e32 v[164:165], v[152:153], v[40:41]
	v_add_f64 v[2:3], v[2:3], v[4:5]
	v_mul_f64 v[4:5], v[136:137], v[22:23]
	v_add_f64 v[194:195], v[162:163], v[164:165]
	ds_read_b128 v[162:165], v108 offset:752
	s_waitcnt vmcnt(32) lgkmcnt(1)
	v_mul_f64 v[196:197], v[158:159], v[104:105]
	v_fma_f64 v[4:5], v[134:135], v[24:25], -v[4:5]
	s_waitcnt vmcnt(30)
	v_fmac_f64_e32 v[196:197], v[160:161], v[106:107]
	v_add_f64 v[2:3], v[2:3], v[4:5]
	v_mul_f64 v[4:5], v[140:141], v[34:35]
	v_add_f64 v[198:199], v[194:195], v[196:197]
	ds_read_b128 v[194:197], v108 offset:768
	v_fma_f64 v[4:5], v[138:139], v[36:37], -v[4:5]
	v_add_f64 v[2:3], v[2:3], v[4:5]
	v_mul_f64 v[4:5], v[144:145], v[30:31]
	v_fma_f64 v[4:5], v[142:143], v[32:33], -v[4:5]
	s_waitcnt vmcnt(28) lgkmcnt(1)
	v_mul_f64 v[200:201], v[162:163], v[100:101]
	v_add_f64 v[2:3], v[2:3], v[4:5]
	v_mul_f64 v[4:5], v[148:149], v[42:43]
	v_fmac_f64_e32 v[200:201], v[164:165], v[102:103]
	v_fma_f64 v[4:5], v[146:147], v[44:45], -v[4:5]
	v_add_f64 v[202:203], v[198:199], v[200:201]
	ds_read_b128 v[198:201], v108 offset:784
	s_waitcnt vmcnt(24) lgkmcnt(1)
	v_mul_f64 v[204:205], v[194:195], v[168:169]
	v_add_f64 v[2:3], v[2:3], v[4:5]
	v_mul_f64 v[4:5], v[152:153], v[38:39]
	s_waitcnt vmcnt(22)
	v_fmac_f64_e32 v[204:205], v[196:197], v[170:171]
	v_fma_f64 v[4:5], v[150:151], v[40:41], -v[4:5]
	v_add_f64 v[206:207], v[202:203], v[204:205]
	ds_read_b128 v[202:205], v108 offset:800
	v_add_f64 v[2:3], v[2:3], v[4:5]
	v_mul_f64 v[4:5], v[160:161], v[104:105]
	v_fma_f64 v[4:5], v[158:159], v[106:107], -v[4:5]
	v_add_f64 v[2:3], v[2:3], v[4:5]
	v_mul_f64 v[4:5], v[164:165], v[100:101]
	s_waitcnt vmcnt(20) lgkmcnt(1)
	v_mul_f64 v[208:209], v[198:199], v[154:155]
	v_fma_f64 v[4:5], v[162:163], v[102:103], -v[4:5]
	v_fmac_f64_e32 v[208:209], v[200:201], v[166:167]
	v_add_f64 v[2:3], v[2:3], v[4:5]
	v_mul_f64 v[4:5], v[196:197], v[168:169]
	v_add_f64 v[210:211], v[206:207], v[208:209]
	ds_read_b128 v[206:209], v108 offset:816
	s_waitcnt vmcnt(16) lgkmcnt(1)
	v_mul_f64 v[212:213], v[202:203], v[176:177]
	v_fma_f64 v[4:5], v[194:195], v[170:171], -v[4:5]
	s_waitcnt vmcnt(14)
	v_fmac_f64_e32 v[212:213], v[204:205], v[178:179]
	v_add_f64 v[2:3], v[2:3], v[4:5]
	v_mul_f64 v[4:5], v[200:201], v[154:155]
	v_add_f64 v[222:223], v[210:211], v[212:213]
	ds_read_b128 v[210:213], v108 offset:832
	v_fma_f64 v[4:5], v[198:199], v[166:167], -v[4:5]
	v_add_f64 v[2:3], v[2:3], v[4:5]
	v_mul_f64 v[4:5], v[204:205], v[176:177]
	v_fma_f64 v[4:5], v[202:203], v[178:179], -v[4:5]
	v_add_f64 v[2:3], v[2:3], v[4:5]
	s_waitcnt vmcnt(12) lgkmcnt(1)
	v_mul_f64 v[4:5], v[208:209], v[172:173]
	v_mul_f64 v[224:225], v[206:207], v[172:173]
	v_fma_f64 v[4:5], v[206:207], v[174:175], -v[4:5]
	v_fmac_f64_e32 v[224:225], v[208:209], v[174:175]
	v_add_f64 v[2:3], v[2:3], v[4:5]
	s_waitcnt vmcnt(8) lgkmcnt(0)
	v_mul_f64 v[4:5], v[212:213], v[184:185]
	v_add_f64 v[222:223], v[222:223], v[224:225]
	v_mul_f64 v[224:225], v[210:211], v[184:185]
	s_waitcnt vmcnt(6)
	v_fma_f64 v[4:5], v[210:211], v[186:187], -v[4:5]
	v_fmac_f64_e32 v[224:225], v[212:213], v[186:187]
	v_add_f64 v[2:3], v[2:3], v[4:5]
	s_waitcnt vmcnt(5)
	v_mul_f64 v[4:5], v[216:217], v[180:181]
	v_add_f64 v[222:223], v[222:223], v[224:225]
	v_mul_f64 v[224:225], v[214:215], v[180:181]
	s_waitcnt vmcnt(4)
	v_fma_f64 v[4:5], v[214:215], v[182:183], -v[4:5]
	v_fmac_f64_e32 v[224:225], v[216:217], v[182:183]
	v_add_f64 v[2:3], v[2:3], v[4:5]
	v_add_f64 v[222:223], v[222:223], v[224:225]
	s_waitcnt vmcnt(2)
	v_add_f64 v[2:3], v[218:219], -v[2:3]
	s_waitcnt vmcnt(0)
	v_add_f64 v[4:5], v[220:221], -v[222:223]
	buffer_store_dword v3, off, s[0:3], 0 offset:116
	buffer_store_dword v2, off, s[0:3], 0 offset:112
	;; [unrolled: 1-line block ×4, first 2 shown]
	s_and_saveexec_b64 s[6:7], vcc
	s_cbranch_execz .LBB26_163
; %bb.162:
	v_accvgpr_read_b32 v5, a42
	buffer_load_dword v2, v5, s[0:3], 0 offen
	buffer_load_dword v3, v5, s[0:3], 0 offen offset:4
	buffer_load_dword v4, v5, s[0:3], 0 offen offset:8
	s_nop 0
	buffer_load_dword v5, v5, s[0:3], 0 offen offset:12
	s_nop 0
	buffer_store_dword v108, off, s[0:3], 0 offset:96
	buffer_store_dword v108, off, s[0:3], 0 offset:100
	;; [unrolled: 1-line block ×4, first 2 shown]
	s_waitcnt vmcnt(4)
	ds_write_b128 v1, v[2:5]
.LBB26_163:
	s_or_b64 exec, exec, s[6:7]
	s_waitcnt lgkmcnt(0)
	; wave barrier
	s_waitcnt lgkmcnt(0)
	buffer_load_dword v2, off, s[0:3], 0 offset:112
	buffer_load_dword v3, off, s[0:3], 0 offset:116
	;; [unrolled: 1-line block ×76, first 2 shown]
	ds_read_b128 v[110:113], v108 offset:544
	buffer_load_dword v223, off, s[0:3], 0 offset:428
	buffer_load_dword v222, off, s[0:3], 0 offset:424
	;; [unrolled: 1-line block ×8, first 2 shown]
	ds_read_b128 v[114:117], v108 offset:560
	ds_read_b128 v[118:121], v108 offset:576
	;; [unrolled: 1-line block ×3, first 2 shown]
	v_cmp_lt_u32_e32 vcc, 5, v193
	ds_read_b128 v[218:221], v108 offset:848
	s_waitcnt vmcnt(62) lgkmcnt(4)
	v_mul_f64 v[126:127], v[110:111], v[8:9]
	v_fmac_f64_e32 v[126:127], v[112:113], v[2:3]
	v_add_f64 v[126:127], v[126:127], 0
	v_mul_f64 v[8:9], v[112:113], v[8:9]
	s_waitcnt lgkmcnt(3)
	v_mul_f64 v[128:129], v[114:115], v[10:11]
	v_fmac_f64_e32 v[128:129], v[116:117], v[4:5]
	v_add_f64 v[126:127], v[126:127], v[128:129]
	v_fma_f64 v[2:3], v[110:111], v[2:3], -v[8:9]
	s_waitcnt lgkmcnt(2)
	v_mul_f64 v[128:129], v[118:119], v[12:13]
	v_fmac_f64_e32 v[128:129], v[120:121], v[6:7]
	v_add_f64 v[130:131], v[126:127], v[128:129]
	ds_read_b128 v[126:129], v108 offset:608
	v_mul_f64 v[8:9], v[116:117], v[10:11]
	v_add_f64 v[2:3], v[2:3], 0
	s_waitcnt lgkmcnt(2)
	v_mul_f64 v[132:133], v[122:123], v[18:19]
	v_fma_f64 v[4:5], v[114:115], v[4:5], -v[8:9]
	v_fmac_f64_e32 v[132:133], v[124:125], v[20:21]
	v_add_f64 v[134:135], v[130:131], v[132:133]
	ds_read_b128 v[130:133], v108 offset:624
	s_waitcnt lgkmcnt(1)
	v_mul_f64 v[136:137], v[126:127], v[14:15]
	v_fmac_f64_e32 v[136:137], v[128:129], v[16:17]
	v_add_f64 v[138:139], v[134:135], v[136:137]
	ds_read_b128 v[134:137], v108 offset:640
	s_waitcnt vmcnt(58) lgkmcnt(1)
	v_mul_f64 v[140:141], v[130:131], v[26:27]
	s_waitcnt vmcnt(56)
	v_fmac_f64_e32 v[140:141], v[132:133], v[28:29]
	v_add_f64 v[142:143], v[138:139], v[140:141]
	ds_read_b128 v[138:141], v108 offset:656
	s_waitcnt lgkmcnt(1)
	v_mul_f64 v[144:145], v[134:135], v[22:23]
	v_fmac_f64_e32 v[144:145], v[136:137], v[24:25]
	v_add_f64 v[146:147], v[142:143], v[144:145]
	ds_read_b128 v[142:145], v108 offset:672
	s_waitcnt vmcnt(50) lgkmcnt(1)
	v_mul_f64 v[148:149], v[138:139], v[34:35]
	s_waitcnt vmcnt(48)
	v_fmac_f64_e32 v[148:149], v[140:141], v[36:37]
	v_add_f64 v[150:151], v[146:147], v[148:149]
	ds_read_b128 v[146:149], v108 offset:688
	s_waitcnt lgkmcnt(1)
	v_mul_f64 v[152:153], v[142:143], v[30:31]
	v_fmac_f64_e32 v[152:153], v[144:145], v[32:33]
	v_add_f64 v[158:159], v[150:151], v[152:153]
	ds_read_b128 v[150:153], v108 offset:704
	v_add_f64 v[2:3], v[2:3], v[4:5]
	v_mul_f64 v[4:5], v[120:121], v[12:13]
	v_fma_f64 v[4:5], v[118:119], v[6:7], -v[4:5]
	s_waitcnt vmcnt(42) lgkmcnt(1)
	v_mul_f64 v[160:161], v[146:147], v[42:43]
	v_add_f64 v[2:3], v[2:3], v[4:5]
	v_mul_f64 v[4:5], v[124:125], v[18:19]
	s_waitcnt vmcnt(40)
	v_fmac_f64_e32 v[160:161], v[148:149], v[44:45]
	v_fma_f64 v[4:5], v[122:123], v[20:21], -v[4:5]
	v_add_f64 v[162:163], v[158:159], v[160:161]
	ds_read_b128 v[158:161], v108 offset:720
	s_waitcnt lgkmcnt(1)
	v_mul_f64 v[164:165], v[150:151], v[38:39]
	v_add_f64 v[2:3], v[2:3], v[4:5]
	v_mul_f64 v[4:5], v[128:129], v[14:15]
	v_fmac_f64_e32 v[164:165], v[152:153], v[40:41]
	v_fma_f64 v[4:5], v[126:127], v[16:17], -v[4:5]
	v_add_f64 v[194:195], v[162:163], v[164:165]
	ds_read_b128 v[162:165], v108 offset:736
	v_add_f64 v[2:3], v[2:3], v[4:5]
	v_mul_f64 v[4:5], v[132:133], v[26:27]
	v_fma_f64 v[4:5], v[130:131], v[28:29], -v[4:5]
	v_add_f64 v[2:3], v[2:3], v[4:5]
	v_mul_f64 v[4:5], v[136:137], v[22:23]
	s_waitcnt vmcnt(34) lgkmcnt(1)
	v_mul_f64 v[196:197], v[158:159], v[104:105]
	v_fma_f64 v[4:5], v[134:135], v[24:25], -v[4:5]
	s_waitcnt vmcnt(32)
	v_fmac_f64_e32 v[196:197], v[160:161], v[106:107]
	v_add_f64 v[2:3], v[2:3], v[4:5]
	v_mul_f64 v[4:5], v[140:141], v[34:35]
	v_add_f64 v[198:199], v[194:195], v[196:197]
	ds_read_b128 v[194:197], v108 offset:752
	s_waitcnt lgkmcnt(1)
	v_mul_f64 v[200:201], v[162:163], v[100:101]
	v_fma_f64 v[4:5], v[138:139], v[36:37], -v[4:5]
	v_fmac_f64_e32 v[200:201], v[164:165], v[102:103]
	v_add_f64 v[2:3], v[2:3], v[4:5]
	v_mul_f64 v[4:5], v[144:145], v[30:31]
	v_add_f64 v[202:203], v[198:199], v[200:201]
	ds_read_b128 v[198:201], v108 offset:768
	v_fma_f64 v[4:5], v[142:143], v[32:33], -v[4:5]
	v_add_f64 v[2:3], v[2:3], v[4:5]
	v_mul_f64 v[4:5], v[148:149], v[42:43]
	v_fma_f64 v[4:5], v[146:147], v[44:45], -v[4:5]
	s_waitcnt vmcnt(26) lgkmcnt(1)
	v_mul_f64 v[204:205], v[194:195], v[168:169]
	v_add_f64 v[2:3], v[2:3], v[4:5]
	v_mul_f64 v[4:5], v[152:153], v[38:39]
	s_waitcnt vmcnt(24)
	v_fmac_f64_e32 v[204:205], v[196:197], v[170:171]
	v_fma_f64 v[4:5], v[150:151], v[40:41], -v[4:5]
	v_add_f64 v[206:207], v[202:203], v[204:205]
	ds_read_b128 v[202:205], v108 offset:784
	s_waitcnt lgkmcnt(1)
	v_mul_f64 v[208:209], v[198:199], v[154:155]
	v_add_f64 v[2:3], v[2:3], v[4:5]
	v_mul_f64 v[4:5], v[160:161], v[104:105]
	v_fmac_f64_e32 v[208:209], v[200:201], v[166:167]
	v_fma_f64 v[4:5], v[158:159], v[106:107], -v[4:5]
	v_add_f64 v[210:211], v[206:207], v[208:209]
	ds_read_b128 v[206:209], v108 offset:800
	v_add_f64 v[2:3], v[2:3], v[4:5]
	v_mul_f64 v[4:5], v[164:165], v[100:101]
	v_fma_f64 v[4:5], v[162:163], v[102:103], -v[4:5]
	v_add_f64 v[2:3], v[2:3], v[4:5]
	v_mul_f64 v[4:5], v[196:197], v[168:169]
	s_waitcnt vmcnt(18) lgkmcnt(1)
	v_mul_f64 v[212:213], v[202:203], v[176:177]
	v_fma_f64 v[4:5], v[194:195], v[170:171], -v[4:5]
	s_waitcnt vmcnt(16)
	v_fmac_f64_e32 v[212:213], v[204:205], v[178:179]
	v_add_f64 v[2:3], v[2:3], v[4:5]
	v_mul_f64 v[4:5], v[200:201], v[154:155]
	v_add_f64 v[214:215], v[210:211], v[212:213]
	ds_read_b128 v[210:213], v108 offset:816
	s_waitcnt lgkmcnt(1)
	v_mul_f64 v[216:217], v[206:207], v[172:173]
	v_fma_f64 v[4:5], v[198:199], v[166:167], -v[4:5]
	v_fmac_f64_e32 v[216:217], v[208:209], v[174:175]
	v_add_f64 v[2:3], v[2:3], v[4:5]
	v_mul_f64 v[4:5], v[204:205], v[176:177]
	v_add_f64 v[230:231], v[214:215], v[216:217]
	ds_read_b128 v[214:217], v108 offset:832
	v_fma_f64 v[4:5], v[202:203], v[178:179], -v[4:5]
	v_add_f64 v[2:3], v[2:3], v[4:5]
	v_mul_f64 v[4:5], v[208:209], v[172:173]
	v_fma_f64 v[4:5], v[206:207], v[174:175], -v[4:5]
	v_add_f64 v[2:3], v[2:3], v[4:5]
	s_waitcnt vmcnt(10) lgkmcnt(1)
	v_mul_f64 v[4:5], v[212:213], v[184:185]
	v_mul_f64 v[232:233], v[210:211], v[184:185]
	s_waitcnt vmcnt(8)
	v_fma_f64 v[4:5], v[210:211], v[186:187], -v[4:5]
	v_fmac_f64_e32 v[232:233], v[212:213], v[186:187]
	v_add_f64 v[2:3], v[2:3], v[4:5]
	s_waitcnt lgkmcnt(0)
	v_mul_f64 v[4:5], v[216:217], v[180:181]
	v_add_f64 v[108:109], v[230:231], v[232:233]
	v_mul_f64 v[230:231], v[214:215], v[180:181]
	v_fma_f64 v[4:5], v[214:215], v[182:183], -v[4:5]
	v_fmac_f64_e32 v[230:231], v[216:217], v[182:183]
	v_add_f64 v[2:3], v[2:3], v[4:5]
	s_waitcnt vmcnt(6)
	v_mul_f64 v[4:5], v[220:221], v[222:223]
	v_add_f64 v[108:109], v[108:109], v[230:231]
	v_mul_f64 v[230:231], v[218:219], v[222:223]
	s_waitcnt vmcnt(4)
	v_fma_f64 v[4:5], v[218:219], v[224:225], -v[4:5]
	v_fmac_f64_e32 v[230:231], v[220:221], v[224:225]
	v_add_f64 v[2:3], v[2:3], v[4:5]
	v_add_f64 v[108:109], v[108:109], v[230:231]
	s_waitcnt vmcnt(2)
	v_add_f64 v[2:3], v[226:227], -v[2:3]
	s_waitcnt vmcnt(0)
	v_add_f64 v[4:5], v[228:229], -v[108:109]
	buffer_store_dword v3, off, s[0:3], 0 offset:100
	buffer_store_dword v2, off, s[0:3], 0 offset:96
	;; [unrolled: 1-line block ×4, first 2 shown]
	s_and_saveexec_b64 s[6:7], vcc
	s_cbranch_execz .LBB26_165
; %bb.164:
	v_accvgpr_read_b32 v5, a40
	buffer_load_dword v2, v5, s[0:3], 0 offen
	buffer_load_dword v3, v5, s[0:3], 0 offen offset:4
	buffer_load_dword v4, v5, s[0:3], 0 offen offset:8
	s_nop 0
	buffer_load_dword v5, v5, s[0:3], 0 offen offset:12
	v_mov_b32_e32 v6, 0
	buffer_store_dword v6, off, s[0:3], 0 offset:80
	buffer_store_dword v6, off, s[0:3], 0 offset:84
	;; [unrolled: 1-line block ×4, first 2 shown]
	s_waitcnt vmcnt(4)
	ds_write_b128 v1, v[2:5]
.LBB26_165:
	s_or_b64 exec, exec, s[6:7]
	s_waitcnt lgkmcnt(0)
	; wave barrier
	s_waitcnt lgkmcnt(0)
	buffer_load_dword v4, off, s[0:3], 0 offset:80
	buffer_load_dword v5, off, s[0:3], 0 offset:84
	;; [unrolled: 1-line block ×84, first 2 shown]
	v_mov_b32_e32 v140, 0
	ds_read_b128 v[120:123], v140 offset:528
	buffer_load_dword v185, off, s[0:3], 0 offset:428
	buffer_load_dword v184, off, s[0:3], 0 offset:424
	;; [unrolled: 1-line block ×4, first 2 shown]
	ds_read_b128 v[124:127], v140 offset:544
	ds_read_b128 v[128:131], v140 offset:560
	;; [unrolled: 1-line block ×4, first 2 shown]
	v_cmp_lt_u32_e32 vcc, 4, v193
	s_waitcnt vmcnt(62) lgkmcnt(4)
	v_mul_f64 v[136:137], v[120:121], v[12:13]
	v_fmac_f64_e32 v[136:137], v[122:123], v[6:7]
	s_waitcnt lgkmcnt(3)
	v_mul_f64 v[138:139], v[124:125], v[14:15]
	v_add_f64 v[136:137], v[136:137], 0
	v_fmac_f64_e32 v[138:139], v[126:127], v[8:9]
	v_add_f64 v[136:137], v[136:137], v[138:139]
	s_waitcnt lgkmcnt(2)
	v_mul_f64 v[138:139], v[128:129], v[16:17]
	v_fmac_f64_e32 v[138:139], v[130:131], v[10:11]
	v_add_f64 v[142:143], v[136:137], v[138:139]
	ds_read_b128 v[136:139], v140 offset:592
	v_mul_f64 v[12:13], v[122:123], v[12:13]
	s_waitcnt lgkmcnt(2)
	v_mul_f64 v[144:145], v[132:133], v[22:23]
	v_fma_f64 v[6:7], v[120:121], v[6:7], -v[12:13]
	v_fmac_f64_e32 v[144:145], v[134:135], v[24:25]
	v_add_f64 v[146:147], v[142:143], v[144:145]
	ds_read_b128 v[142:145], v140 offset:608
	s_waitcnt lgkmcnt(1)
	v_mul_f64 v[148:149], v[136:137], v[18:19]
	v_fmac_f64_e32 v[148:149], v[138:139], v[20:21]
	v_add_f64 v[150:151], v[146:147], v[148:149]
	ds_read_b128 v[146:149], v140 offset:624
	s_waitcnt vmcnt(58) lgkmcnt(1)
	v_mul_f64 v[152:153], v[142:143], v[30:31]
	s_waitcnt vmcnt(56)
	v_fmac_f64_e32 v[152:153], v[144:145], v[32:33]
	v_add_f64 v[158:159], v[150:151], v[152:153]
	ds_read_b128 v[150:153], v140 offset:640
	s_waitcnt lgkmcnt(1)
	v_mul_f64 v[160:161], v[146:147], v[26:27]
	v_fmac_f64_e32 v[160:161], v[148:149], v[28:29]
	v_add_f64 v[162:163], v[158:159], v[160:161]
	ds_read_b128 v[158:161], v140 offset:656
	s_waitcnt vmcnt(50) lgkmcnt(1)
	v_mul_f64 v[164:165], v[150:151], v[38:39]
	s_waitcnt vmcnt(48)
	v_fmac_f64_e32 v[164:165], v[152:153], v[40:41]
	v_add_f64 v[194:195], v[162:163], v[164:165]
	ds_read_b128 v[162:165], v140 offset:672
	s_waitcnt lgkmcnt(1)
	v_mul_f64 v[196:197], v[158:159], v[34:35]
	v_fmac_f64_e32 v[196:197], v[160:161], v[36:37]
	v_mul_f64 v[12:13], v[126:127], v[14:15]
	v_add_f64 v[198:199], v[194:195], v[196:197]
	ds_read_b128 v[194:197], v140 offset:688
	s_waitcnt vmcnt(42) lgkmcnt(1)
	v_mul_f64 v[200:201], v[162:163], v[100:101]
	v_add_f64 v[6:7], v[6:7], 0
	v_fma_f64 v[8:9], v[124:125], v[8:9], -v[12:13]
	s_waitcnt vmcnt(40)
	v_fmac_f64_e32 v[200:201], v[164:165], v[102:103]
	v_add_f64 v[6:7], v[6:7], v[8:9]
	v_mul_f64 v[8:9], v[130:131], v[16:17]
	v_add_f64 v[202:203], v[198:199], v[200:201]
	ds_read_b128 v[198:201], v140 offset:704
	v_fma_f64 v[8:9], v[128:129], v[10:11], -v[8:9]
	v_add_f64 v[6:7], v[6:7], v[8:9]
	v_mul_f64 v[8:9], v[134:135], v[22:23]
	v_fma_f64 v[8:9], v[132:133], v[24:25], -v[8:9]
	s_waitcnt lgkmcnt(1)
	v_mul_f64 v[204:205], v[194:195], v[42:43]
	v_add_f64 v[6:7], v[6:7], v[8:9]
	v_mul_f64 v[8:9], v[138:139], v[18:19]
	v_fmac_f64_e32 v[204:205], v[196:197], v[44:45]
	v_fma_f64 v[8:9], v[136:137], v[20:21], -v[8:9]
	v_add_f64 v[206:207], v[202:203], v[204:205]
	ds_read_b128 v[202:205], v140 offset:720
	s_waitcnt vmcnt(34) lgkmcnt(1)
	v_mul_f64 v[208:209], v[198:199], v[108:109]
	v_add_f64 v[6:7], v[6:7], v[8:9]
	v_mul_f64 v[8:9], v[144:145], v[30:31]
	s_waitcnt vmcnt(32)
	v_fmac_f64_e32 v[208:209], v[200:201], v[110:111]
	v_fma_f64 v[8:9], v[142:143], v[32:33], -v[8:9]
	v_add_f64 v[210:211], v[206:207], v[208:209]
	ds_read_b128 v[206:209], v140 offset:736
	v_add_f64 v[6:7], v[6:7], v[8:9]
	v_mul_f64 v[8:9], v[148:149], v[26:27]
	v_fma_f64 v[8:9], v[146:147], v[28:29], -v[8:9]
	v_add_f64 v[6:7], v[6:7], v[8:9]
	v_mul_f64 v[8:9], v[152:153], v[38:39]
	s_waitcnt lgkmcnt(1)
	v_mul_f64 v[212:213], v[202:203], v[104:105]
	v_fma_f64 v[8:9], v[150:151], v[40:41], -v[8:9]
	v_fmac_f64_e32 v[212:213], v[204:205], v[106:107]
	v_add_f64 v[6:7], v[6:7], v[8:9]
	v_mul_f64 v[8:9], v[160:161], v[34:35]
	v_add_f64 v[214:215], v[210:211], v[212:213]
	ds_read_b128 v[210:213], v140 offset:752
	s_waitcnt vmcnt(26) lgkmcnt(1)
	v_mul_f64 v[216:217], v[206:207], v[116:117]
	v_fma_f64 v[8:9], v[158:159], v[36:37], -v[8:9]
	s_waitcnt vmcnt(24)
	v_fmac_f64_e32 v[216:217], v[208:209], v[118:119]
	v_add_f64 v[6:7], v[6:7], v[8:9]
	v_mul_f64 v[8:9], v[164:165], v[100:101]
	v_add_f64 v[218:219], v[214:215], v[216:217]
	ds_read_b128 v[214:217], v140 offset:768
	v_fma_f64 v[8:9], v[162:163], v[102:103], -v[8:9]
	v_add_f64 v[6:7], v[6:7], v[8:9]
	v_mul_f64 v[8:9], v[196:197], v[42:43]
	v_fma_f64 v[8:9], v[194:195], v[44:45], -v[8:9]
	s_waitcnt lgkmcnt(1)
	v_mul_f64 v[220:221], v[210:211], v[112:113]
	v_add_f64 v[6:7], v[6:7], v[8:9]
	v_mul_f64 v[8:9], v[200:201], v[108:109]
	v_fmac_f64_e32 v[220:221], v[212:213], v[114:115]
	v_fma_f64 v[8:9], v[198:199], v[110:111], -v[8:9]
	v_add_f64 v[222:223], v[218:219], v[220:221]
	ds_read_b128 v[218:221], v140 offset:784
	s_waitcnt vmcnt(18) lgkmcnt(1)
	v_mul_f64 v[224:225], v[214:215], v[168:169]
	v_add_f64 v[6:7], v[6:7], v[8:9]
	v_mul_f64 v[8:9], v[204:205], v[104:105]
	s_waitcnt vmcnt(16)
	v_fmac_f64_e32 v[224:225], v[216:217], v[170:171]
	v_fma_f64 v[8:9], v[202:203], v[106:107], -v[8:9]
	v_add_f64 v[226:227], v[222:223], v[224:225]
	ds_read_b128 v[222:225], v140 offset:800
	v_add_f64 v[6:7], v[6:7], v[8:9]
	v_mul_f64 v[8:9], v[208:209], v[116:117]
	v_fma_f64 v[8:9], v[206:207], v[118:119], -v[8:9]
	v_add_f64 v[6:7], v[6:7], v[8:9]
	v_mul_f64 v[8:9], v[212:213], v[112:113]
	s_waitcnt lgkmcnt(1)
	v_mul_f64 v[228:229], v[218:219], v[154:155]
	v_fma_f64 v[8:9], v[210:211], v[114:115], -v[8:9]
	v_fmac_f64_e32 v[228:229], v[220:221], v[166:167]
	v_add_f64 v[6:7], v[6:7], v[8:9]
	v_mul_f64 v[8:9], v[216:217], v[168:169]
	v_add_f64 v[230:231], v[226:227], v[228:229]
	ds_read_b128 v[226:229], v140 offset:816
	s_waitcnt vmcnt(10) lgkmcnt(1)
	v_mul_f64 v[232:233], v[222:223], v[176:177]
	v_fma_f64 v[8:9], v[214:215], v[170:171], -v[8:9]
	s_waitcnt vmcnt(8)
	v_fmac_f64_e32 v[232:233], v[224:225], v[178:179]
	v_add_f64 v[6:7], v[6:7], v[8:9]
	v_mul_f64 v[8:9], v[220:221], v[154:155]
	v_add_f64 v[238:239], v[230:231], v[232:233]
	ds_read_b128 v[230:233], v140 offset:832
	v_fma_f64 v[8:9], v[218:219], v[166:167], -v[8:9]
	v_add_f64 v[6:7], v[6:7], v[8:9]
	v_mul_f64 v[8:9], v[224:225], v[176:177]
	v_fma_f64 v[8:9], v[222:223], v[178:179], -v[8:9]
	v_add_f64 v[6:7], v[6:7], v[8:9]
	s_waitcnt lgkmcnt(1)
	v_mul_f64 v[8:9], v[228:229], v[172:173]
	v_mul_f64 v[240:241], v[226:227], v[172:173]
	v_fma_f64 v[8:9], v[226:227], v[174:175], -v[8:9]
	v_fmac_f64_e32 v[240:241], v[228:229], v[174:175]
	v_add_f64 v[6:7], v[6:7], v[8:9]
	s_waitcnt vmcnt(6) lgkmcnt(0)
	v_mul_f64 v[8:9], v[232:233], v[180:181]
	v_add_f64 v[238:239], v[238:239], v[240:241]
	v_mul_f64 v[240:241], v[230:231], v[180:181]
	s_waitcnt vmcnt(4)
	v_fma_f64 v[8:9], v[230:231], v[182:183], -v[8:9]
	v_fmac_f64_e32 v[240:241], v[232:233], v[182:183]
	v_add_f64 v[6:7], v[6:7], v[8:9]
	s_waitcnt vmcnt(2)
	v_mul_f64 v[8:9], v[236:237], v[184:185]
	v_add_f64 v[238:239], v[238:239], v[240:241]
	v_mul_f64 v[240:241], v[234:235], v[184:185]
	s_waitcnt vmcnt(0)
	v_fma_f64 v[8:9], v[234:235], v[186:187], -v[8:9]
	v_fmac_f64_e32 v[240:241], v[236:237], v[186:187]
	v_add_f64 v[6:7], v[6:7], v[8:9]
	v_add_f64 v[238:239], v[238:239], v[240:241]
	v_add_f64 v[4:5], v[4:5], -v[6:7]
	v_add_f64 v[2:3], v[2:3], -v[238:239]
	buffer_store_dword v5, off, s[0:3], 0 offset:84
	buffer_store_dword v4, off, s[0:3], 0 offset:80
	;; [unrolled: 1-line block ×4, first 2 shown]
	s_and_saveexec_b64 s[6:7], vcc
	s_cbranch_execz .LBB26_167
; %bb.166:
	v_accvgpr_read_b32 v5, a39
	buffer_load_dword v2, v5, s[0:3], 0 offen
	buffer_load_dword v3, v5, s[0:3], 0 offen offset:4
	buffer_load_dword v4, v5, s[0:3], 0 offen offset:8
	s_nop 0
	buffer_load_dword v5, v5, s[0:3], 0 offen offset:12
	s_nop 0
	buffer_store_dword v140, off, s[0:3], 0 offset:64
	buffer_store_dword v140, off, s[0:3], 0 offset:68
	;; [unrolled: 1-line block ×4, first 2 shown]
	s_waitcnt vmcnt(4)
	ds_write_b128 v1, v[2:5]
.LBB26_167:
	s_or_b64 exec, exec, s[6:7]
	s_waitcnt lgkmcnt(0)
	; wave barrier
	s_waitcnt lgkmcnt(0)
	ds_read_b128 v[14:17], v140 offset:512
	ds_read_b128 v[10:13], v140 offset:528
	;; [unrolled: 1-line block ×4, first 2 shown]
	buffer_load_dword v20, off, s[0:3], 0 offset:64
	buffer_load_dword v21, off, s[0:3], 0 offset:68
	;; [unrolled: 1-line block ×92, first 2 shown]
	s_waitcnt vmcnt(62) lgkmcnt(3)
	v_mul_f64 v[142:143], v[14:15], v[28:29]
	v_fmac_f64_e32 v[142:143], v[16:17], v[22:23]
	s_waitcnt lgkmcnt(2)
	v_mul_f64 v[144:145], v[10:11], v[30:31]
	v_add_f64 v[142:143], v[142:143], 0
	v_fmac_f64_e32 v[144:145], v[12:13], v[24:25]
	v_add_f64 v[142:143], v[142:143], v[144:145]
	s_waitcnt lgkmcnt(1)
	v_mul_f64 v[144:145], v[6:7], v[32:33]
	v_fmac_f64_e32 v[144:145], v[8:9], v[26:27]
	v_add_f64 v[146:147], v[142:143], v[144:145]
	ds_read_b128 v[142:145], v140 offset:576
	v_mul_f64 v[16:17], v[16:17], v[28:29]
	v_fma_f64 v[14:15], v[14:15], v[22:23], -v[16:17]
	s_waitcnt lgkmcnt(1)
	v_mul_f64 v[148:149], v[2:3], v[38:39]
	v_mul_f64 v[12:13], v[12:13], v[30:31]
	v_fmac_f64_e32 v[148:149], v[4:5], v[40:41]
	v_add_f64 v[150:151], v[146:147], v[148:149]
	ds_read_b128 v[146:149], v140 offset:592
	s_waitcnt lgkmcnt(1)
	v_mul_f64 v[152:153], v[142:143], v[34:35]
	v_fmac_f64_e32 v[152:153], v[144:145], v[36:37]
	v_add_f64 v[158:159], v[150:151], v[152:153]
	ds_read_b128 v[150:153], v140 offset:608
	s_waitcnt lgkmcnt(1)
	v_mul_f64 v[160:161], v[146:147], v[100:101]
	s_waitcnt vmcnt(60)
	v_fmac_f64_e32 v[160:161], v[148:149], v[102:103]
	v_add_f64 v[162:163], v[158:159], v[160:161]
	ds_read_b128 v[158:161], v140 offset:624
	s_waitcnt lgkmcnt(1)
	v_mul_f64 v[164:165], v[150:151], v[42:43]
	v_fmac_f64_e32 v[164:165], v[152:153], v[44:45]
	v_add_f64 v[194:195], v[162:163], v[164:165]
	ds_read_b128 v[162:165], v140 offset:640
	s_waitcnt vmcnt(54) lgkmcnt(1)
	v_mul_f64 v[196:197], v[158:159], v[108:109]
	s_waitcnt vmcnt(52)
	v_fmac_f64_e32 v[196:197], v[160:161], v[110:111]
	v_add_f64 v[198:199], v[194:195], v[196:197]
	ds_read_b128 v[194:197], v140 offset:656
	s_waitcnt lgkmcnt(1)
	v_mul_f64 v[200:201], v[162:163], v[104:105]
	v_fmac_f64_e32 v[200:201], v[164:165], v[106:107]
	v_add_f64 v[202:203], v[198:199], v[200:201]
	ds_read_b128 v[198:201], v140 offset:672
	s_waitcnt vmcnt(46) lgkmcnt(1)
	v_mul_f64 v[204:205], v[194:195], v[116:117]
	s_waitcnt vmcnt(44)
	v_fmac_f64_e32 v[204:205], v[196:197], v[118:119]
	v_add_f64 v[206:207], v[202:203], v[204:205]
	ds_read_b128 v[202:205], v140 offset:688
	s_waitcnt lgkmcnt(1)
	v_mul_f64 v[208:209], v[198:199], v[112:113]
	v_fmac_f64_e32 v[208:209], v[200:201], v[114:115]
	v_add_f64 v[14:15], v[14:15], 0
	v_fma_f64 v[10:11], v[10:11], v[24:25], -v[12:13]
	v_mul_f64 v[8:9], v[8:9], v[32:33]
	v_add_f64 v[210:211], v[206:207], v[208:209]
	ds_read_b128 v[206:209], v140 offset:704
	v_add_f64 v[10:11], v[14:15], v[10:11]
	v_fma_f64 v[6:7], v[6:7], v[26:27], -v[8:9]
	v_mul_f64 v[4:5], v[4:5], v[38:39]
	v_add_f64 v[6:7], v[10:11], v[6:7]
	v_fma_f64 v[2:3], v[2:3], v[40:41], -v[4:5]
	v_mul_f64 v[4:5], v[144:145], v[34:35]
	v_add_f64 v[2:3], v[6:7], v[2:3]
	v_fma_f64 v[4:5], v[142:143], v[36:37], -v[4:5]
	s_waitcnt vmcnt(38) lgkmcnt(1)
	v_mul_f64 v[212:213], v[202:203], v[124:125]
	v_add_f64 v[2:3], v[2:3], v[4:5]
	v_mul_f64 v[4:5], v[148:149], v[100:101]
	s_waitcnt vmcnt(36)
	v_fmac_f64_e32 v[212:213], v[204:205], v[126:127]
	v_fma_f64 v[4:5], v[146:147], v[102:103], -v[4:5]
	v_add_f64 v[214:215], v[210:211], v[212:213]
	ds_read_b128 v[210:213], v140 offset:720
	s_waitcnt lgkmcnt(1)
	v_mul_f64 v[216:217], v[206:207], v[120:121]
	v_add_f64 v[2:3], v[2:3], v[4:5]
	v_mul_f64 v[4:5], v[152:153], v[42:43]
	v_fmac_f64_e32 v[216:217], v[208:209], v[122:123]
	v_fma_f64 v[4:5], v[150:151], v[44:45], -v[4:5]
	v_add_f64 v[218:219], v[214:215], v[216:217]
	ds_read_b128 v[214:217], v140 offset:736
	v_add_f64 v[2:3], v[2:3], v[4:5]
	v_mul_f64 v[4:5], v[160:161], v[108:109]
	v_fma_f64 v[4:5], v[158:159], v[110:111], -v[4:5]
	v_add_f64 v[2:3], v[2:3], v[4:5]
	v_mul_f64 v[4:5], v[164:165], v[104:105]
	s_waitcnt vmcnt(30) lgkmcnt(1)
	v_mul_f64 v[220:221], v[210:211], v[132:133]
	v_fma_f64 v[4:5], v[162:163], v[106:107], -v[4:5]
	s_waitcnt vmcnt(28)
	v_fmac_f64_e32 v[220:221], v[212:213], v[134:135]
	v_add_f64 v[2:3], v[2:3], v[4:5]
	v_mul_f64 v[4:5], v[196:197], v[116:117]
	v_add_f64 v[222:223], v[218:219], v[220:221]
	ds_read_b128 v[218:221], v140 offset:752
	s_waitcnt lgkmcnt(1)
	v_mul_f64 v[224:225], v[214:215], v[128:129]
	v_fma_f64 v[4:5], v[194:195], v[118:119], -v[4:5]
	v_fmac_f64_e32 v[224:225], v[216:217], v[130:131]
	v_add_f64 v[2:3], v[2:3], v[4:5]
	v_mul_f64 v[4:5], v[200:201], v[112:113]
	v_add_f64 v[226:227], v[222:223], v[224:225]
	ds_read_b128 v[222:225], v140 offset:768
	v_fma_f64 v[4:5], v[198:199], v[114:115], -v[4:5]
	v_add_f64 v[2:3], v[2:3], v[4:5]
	v_mul_f64 v[4:5], v[204:205], v[124:125]
	v_fma_f64 v[4:5], v[202:203], v[126:127], -v[4:5]
	s_waitcnt vmcnt(22) lgkmcnt(1)
	v_mul_f64 v[228:229], v[218:219], v[154:155]
	v_add_f64 v[2:3], v[2:3], v[4:5]
	v_mul_f64 v[4:5], v[208:209], v[120:121]
	s_waitcnt vmcnt(20)
	v_fmac_f64_e32 v[228:229], v[220:221], v[166:167]
	v_fma_f64 v[4:5], v[206:207], v[122:123], -v[4:5]
	v_add_f64 v[230:231], v[226:227], v[228:229]
	ds_read_b128 v[226:229], v140 offset:784
	s_waitcnt lgkmcnt(1)
	v_mul_f64 v[232:233], v[222:223], v[136:137]
	v_add_f64 v[2:3], v[2:3], v[4:5]
	v_mul_f64 v[4:5], v[212:213], v[132:133]
	v_fmac_f64_e32 v[232:233], v[224:225], v[138:139]
	v_fma_f64 v[4:5], v[210:211], v[134:135], -v[4:5]
	v_add_f64 v[234:235], v[230:231], v[232:233]
	ds_read_b128 v[230:233], v140 offset:800
	v_add_f64 v[2:3], v[2:3], v[4:5]
	v_mul_f64 v[4:5], v[216:217], v[128:129]
	v_fma_f64 v[4:5], v[214:215], v[130:131], -v[4:5]
	v_add_f64 v[2:3], v[2:3], v[4:5]
	v_mul_f64 v[4:5], v[220:221], v[154:155]
	s_waitcnt vmcnt(14) lgkmcnt(1)
	v_mul_f64 v[236:237], v[226:227], v[172:173]
	v_fma_f64 v[4:5], v[218:219], v[166:167], -v[4:5]
	s_waitcnt vmcnt(12)
	v_fmac_f64_e32 v[236:237], v[228:229], v[174:175]
	v_add_f64 v[2:3], v[2:3], v[4:5]
	v_mul_f64 v[4:5], v[224:225], v[136:137]
	v_add_f64 v[238:239], v[234:235], v[236:237]
	ds_read_b128 v[234:237], v140 offset:816
	s_waitcnt lgkmcnt(1)
	v_mul_f64 v[240:241], v[230:231], v[168:169]
	v_fma_f64 v[4:5], v[222:223], v[138:139], -v[4:5]
	v_fmac_f64_e32 v[240:241], v[232:233], v[170:171]
	v_add_f64 v[2:3], v[2:3], v[4:5]
	v_mul_f64 v[4:5], v[228:229], v[172:173]
	v_add_f64 v[246:247], v[238:239], v[240:241]
	ds_read_b128 v[238:241], v140 offset:832
	ds_read_b128 v[242:245], v140 offset:848
	v_fma_f64 v[4:5], v[226:227], v[174:175], -v[4:5]
	v_add_f64 v[2:3], v[2:3], v[4:5]
	v_mul_f64 v[4:5], v[232:233], v[168:169]
	v_fma_f64 v[4:5], v[230:231], v[170:171], -v[4:5]
	v_add_f64 v[2:3], v[2:3], v[4:5]
	s_waitcnt vmcnt(6) lgkmcnt(2)
	v_mul_f64 v[4:5], v[236:237], v[180:181]
	v_mul_f64 v[248:249], v[234:235], v[180:181]
	s_waitcnt vmcnt(4)
	v_fma_f64 v[4:5], v[234:235], v[182:183], -v[4:5]
	v_fmac_f64_e32 v[248:249], v[236:237], v[182:183]
	v_add_f64 v[2:3], v[2:3], v[4:5]
	s_waitcnt lgkmcnt(1)
	v_mul_f64 v[4:5], v[240:241], v[176:177]
	v_add_f64 v[140:141], v[246:247], v[248:249]
	v_mul_f64 v[246:247], v[238:239], v[176:177]
	v_fma_f64 v[4:5], v[238:239], v[178:179], -v[4:5]
	v_fmac_f64_e32 v[246:247], v[240:241], v[178:179]
	v_add_f64 v[2:3], v[2:3], v[4:5]
	s_waitcnt vmcnt(2) lgkmcnt(0)
	v_mul_f64 v[4:5], v[244:245], v[184:185]
	v_add_f64 v[140:141], v[140:141], v[246:247]
	v_mul_f64 v[246:247], v[242:243], v[184:185]
	s_waitcnt vmcnt(0)
	v_fma_f64 v[4:5], v[242:243], v[186:187], -v[4:5]
	v_fmac_f64_e32 v[246:247], v[244:245], v[186:187]
	v_add_f64 v[2:3], v[2:3], v[4:5]
	v_add_f64 v[140:141], v[140:141], v[246:247]
	v_add_f64 v[2:3], v[20:21], -v[2:3]
	v_cmp_lt_u32_e32 vcc, 3, v193
	v_add_f64 v[4:5], v[18:19], -v[140:141]
	buffer_store_dword v3, off, s[0:3], 0 offset:68
	buffer_store_dword v2, off, s[0:3], 0 offset:64
	;; [unrolled: 1-line block ×4, first 2 shown]
	s_and_saveexec_b64 s[6:7], vcc
	s_cbranch_execz .LBB26_169
; %bb.168:
	buffer_load_dword v2, v192, s[0:3], 0 offen
	buffer_load_dword v3, v192, s[0:3], 0 offen offset:4
	buffer_load_dword v4, v192, s[0:3], 0 offen offset:8
	buffer_load_dword v5, v192, s[0:3], 0 offen offset:12
	v_mov_b32_e32 v6, 0
	buffer_store_dword v6, off, s[0:3], 0 offset:48
	buffer_store_dword v6, off, s[0:3], 0 offset:52
	;; [unrolled: 1-line block ×4, first 2 shown]
	s_waitcnt vmcnt(4)
	ds_write_b128 v1, v[2:5]
.LBB26_169:
	s_or_b64 exec, exec, s[6:7]
	s_waitcnt lgkmcnt(0)
	; wave barrier
	s_waitcnt lgkmcnt(0)
	buffer_load_dword v9, off, s[0:3], 0 offset:76
	buffer_load_dword v6, off, s[0:3], 0 offset:88
	;; [unrolled: 1-line block ×64, first 2 shown]
	v_mov_b32_e32 v152, 0
	ds_read_b128 v[128:131], v152 offset:496
	ds_read_b128 v[132:135], v152 offset:512
	buffer_load_dword v121, off, s[0:3], 0 offset:332
	buffer_load_dword v120, off, s[0:3], 0 offset:328
	buffer_load_dword v123, off, s[0:3], 0 offset:324
	buffer_load_dword v122, off, s[0:3], 0 offset:320
	buffer_load_dword v125, off, s[0:3], 0 offset:316
	buffer_load_dword v124, off, s[0:3], 0 offset:312
	buffer_load_dword v127, off, s[0:3], 0 offset:308
	buffer_load_dword v126, off, s[0:3], 0 offset:304
	ds_read_b128 v[136:139], v152 offset:528
	ds_read_b128 v[140:143], v152 offset:544
	buffer_load_dword v155, off, s[0:3], 0 offset:364
	buffer_load_dword v154, off, s[0:3], 0 offset:360
	;; [unrolled: 1-line block ×24, first 2 shown]
	ds_read_b128 v[250:253], v152 offset:848
	v_cmp_lt_u32_e32 vcc, 2, v193
	s_waitcnt vmcnt(62) lgkmcnt(1)
	v_mul_f64 v[150:151], v[140:141], v[22:23]
	v_fmac_f64_e32 v[150:151], v[142:143], v[24:25]
	v_mul_f64 v[146:147], v[132:133], v[6:7]
	v_mul_f64 v[144:145], v[128:129], v[8:9]
	;; [unrolled: 1-line block ×3, first 2 shown]
	v_fmac_f64_e32 v[144:145], v[130:131], v[10:11]
	v_add_f64 v[144:145], v[144:145], 0
	v_fma_f64 v[8:9], v[128:129], v[10:11], -v[8:9]
	v_mul_f64 v[6:7], v[134:135], v[6:7]
	v_add_f64 v[8:9], v[8:9], 0
	v_fmac_f64_e32 v[146:147], v[134:135], v[14:15]
	v_add_f64 v[144:145], v[144:145], v[146:147]
	v_mul_f64 v[146:147], v[136:137], v[16:17]
	v_fmac_f64_e32 v[146:147], v[138:139], v[12:13]
	v_add_f64 v[148:149], v[144:145], v[146:147]
	ds_read_b128 v[144:147], v152 offset:560
	v_add_f64 v[158:159], v[148:149], v[150:151]
	ds_read_b128 v[148:151], v152 offset:576
	v_fma_f64 v[6:7], v[132:133], v[14:15], -v[6:7]
	v_add_f64 v[6:7], v[8:9], v[6:7]
	s_waitcnt lgkmcnt(1)
	v_mul_f64 v[160:161], v[144:145], v[18:19]
	v_fmac_f64_e32 v[160:161], v[146:147], v[20:21]
	v_add_f64 v[162:163], v[158:159], v[160:161]
	ds_read_b128 v[158:161], v152 offset:592
	s_waitcnt lgkmcnt(1)
	v_mul_f64 v[164:165], v[148:149], v[30:31]
	v_fmac_f64_e32 v[164:165], v[150:151], v[32:33]
	v_add_f64 v[194:195], v[162:163], v[164:165]
	ds_read_b128 v[162:165], v152 offset:608
	;; [unrolled: 5-line block ×3, first 2 shown]
	s_waitcnt vmcnt(58) lgkmcnt(1)
	v_mul_f64 v[200:201], v[162:163], v[38:39]
	s_waitcnt vmcnt(56)
	v_fmac_f64_e32 v[200:201], v[164:165], v[40:41]
	v_add_f64 v[202:203], v[198:199], v[200:201]
	ds_read_b128 v[198:201], v152 offset:640
	s_waitcnt lgkmcnt(1)
	v_mul_f64 v[204:205], v[194:195], v[34:35]
	v_fmac_f64_e32 v[204:205], v[196:197], v[36:37]
	v_add_f64 v[206:207], v[202:203], v[204:205]
	ds_read_b128 v[202:205], v152 offset:656
	s_waitcnt vmcnt(50) lgkmcnt(1)
	v_mul_f64 v[208:209], v[198:199], v[100:101]
	s_waitcnt vmcnt(48)
	v_fmac_f64_e32 v[208:209], v[200:201], v[102:103]
	v_add_f64 v[210:211], v[206:207], v[208:209]
	ds_read_b128 v[206:209], v152 offset:672
	v_mul_f64 v[8:9], v[138:139], v[16:17]
	s_waitcnt lgkmcnt(1)
	v_mul_f64 v[212:213], v[202:203], v[42:43]
	v_fma_f64 v[8:9], v[136:137], v[12:13], -v[8:9]
	v_fmac_f64_e32 v[212:213], v[204:205], v[44:45]
	v_add_f64 v[6:7], v[6:7], v[8:9]
	v_mul_f64 v[8:9], v[142:143], v[22:23]
	v_add_f64 v[214:215], v[210:211], v[212:213]
	ds_read_b128 v[210:213], v152 offset:688
	s_waitcnt vmcnt(42) lgkmcnt(1)
	v_mul_f64 v[216:217], v[206:207], v[108:109]
	v_fma_f64 v[8:9], v[140:141], v[24:25], -v[8:9]
	s_waitcnt vmcnt(40)
	v_fmac_f64_e32 v[216:217], v[208:209], v[110:111]
	v_add_f64 v[6:7], v[6:7], v[8:9]
	v_mul_f64 v[8:9], v[146:147], v[18:19]
	v_add_f64 v[218:219], v[214:215], v[216:217]
	ds_read_b128 v[214:217], v152 offset:704
	v_fma_f64 v[8:9], v[144:145], v[20:21], -v[8:9]
	v_add_f64 v[6:7], v[6:7], v[8:9]
	v_mul_f64 v[8:9], v[150:151], v[30:31]
	v_fma_f64 v[8:9], v[148:149], v[32:33], -v[8:9]
	s_waitcnt lgkmcnt(1)
	v_mul_f64 v[220:221], v[210:211], v[104:105]
	v_add_f64 v[6:7], v[6:7], v[8:9]
	v_mul_f64 v[8:9], v[160:161], v[26:27]
	v_fmac_f64_e32 v[220:221], v[212:213], v[106:107]
	v_fma_f64 v[8:9], v[158:159], v[28:29], -v[8:9]
	v_add_f64 v[222:223], v[218:219], v[220:221]
	ds_read_b128 v[218:221], v152 offset:720
	s_waitcnt vmcnt(34) lgkmcnt(1)
	v_mul_f64 v[224:225], v[214:215], v[116:117]
	v_add_f64 v[6:7], v[6:7], v[8:9]
	v_mul_f64 v[8:9], v[164:165], v[38:39]
	s_waitcnt vmcnt(32)
	v_fmac_f64_e32 v[224:225], v[216:217], v[118:119]
	v_fma_f64 v[8:9], v[162:163], v[40:41], -v[8:9]
	v_add_f64 v[226:227], v[222:223], v[224:225]
	ds_read_b128 v[222:225], v152 offset:736
	v_add_f64 v[6:7], v[6:7], v[8:9]
	v_mul_f64 v[8:9], v[196:197], v[34:35]
	v_fma_f64 v[8:9], v[194:195], v[36:37], -v[8:9]
	v_add_f64 v[6:7], v[6:7], v[8:9]
	v_mul_f64 v[8:9], v[200:201], v[100:101]
	s_waitcnt lgkmcnt(1)
	v_mul_f64 v[228:229], v[218:219], v[112:113]
	v_fma_f64 v[8:9], v[198:199], v[102:103], -v[8:9]
	v_fmac_f64_e32 v[228:229], v[220:221], v[114:115]
	v_add_f64 v[6:7], v[6:7], v[8:9]
	v_mul_f64 v[8:9], v[204:205], v[42:43]
	v_add_f64 v[230:231], v[226:227], v[228:229]
	ds_read_b128 v[226:229], v152 offset:752
	s_waitcnt vmcnt(26) lgkmcnt(1)
	v_mul_f64 v[232:233], v[222:223], v[124:125]
	v_fma_f64 v[8:9], v[202:203], v[44:45], -v[8:9]
	s_waitcnt vmcnt(24)
	v_fmac_f64_e32 v[232:233], v[224:225], v[126:127]
	v_add_f64 v[6:7], v[6:7], v[8:9]
	v_mul_f64 v[8:9], v[208:209], v[108:109]
	v_add_f64 v[234:235], v[230:231], v[232:233]
	ds_read_b128 v[230:233], v152 offset:768
	v_fma_f64 v[8:9], v[206:207], v[110:111], -v[8:9]
	v_add_f64 v[6:7], v[6:7], v[8:9]
	v_mul_f64 v[8:9], v[212:213], v[104:105]
	v_fma_f64 v[8:9], v[210:211], v[106:107], -v[8:9]
	s_waitcnt lgkmcnt(1)
	v_mul_f64 v[236:237], v[226:227], v[120:121]
	v_add_f64 v[6:7], v[6:7], v[8:9]
	v_mul_f64 v[8:9], v[216:217], v[116:117]
	v_fmac_f64_e32 v[236:237], v[228:229], v[122:123]
	v_fma_f64 v[8:9], v[214:215], v[118:119], -v[8:9]
	v_add_f64 v[238:239], v[234:235], v[236:237]
	ds_read_b128 v[234:237], v152 offset:784
	s_waitcnt vmcnt(18) lgkmcnt(1)
	v_mul_f64 v[240:241], v[230:231], v[168:169]
	v_add_f64 v[6:7], v[6:7], v[8:9]
	v_mul_f64 v[8:9], v[220:221], v[112:113]
	s_waitcnt vmcnt(16)
	v_fmac_f64_e32 v[240:241], v[232:233], v[170:171]
	v_fma_f64 v[8:9], v[218:219], v[114:115], -v[8:9]
	v_add_f64 v[242:243], v[238:239], v[240:241]
	ds_read_b128 v[238:241], v152 offset:800
	v_add_f64 v[6:7], v[6:7], v[8:9]
	v_mul_f64 v[8:9], v[224:225], v[124:125]
	v_fma_f64 v[8:9], v[222:223], v[126:127], -v[8:9]
	v_add_f64 v[6:7], v[6:7], v[8:9]
	v_mul_f64 v[8:9], v[228:229], v[120:121]
	s_waitcnt lgkmcnt(1)
	v_mul_f64 v[244:245], v[234:235], v[154:155]
	v_fma_f64 v[8:9], v[226:227], v[122:123], -v[8:9]
	v_fmac_f64_e32 v[244:245], v[236:237], v[166:167]
	v_add_f64 v[6:7], v[6:7], v[8:9]
	v_mul_f64 v[8:9], v[232:233], v[168:169]
	v_add_f64 v[246:247], v[242:243], v[244:245]
	ds_read_b128 v[242:245], v152 offset:816
	s_waitcnt vmcnt(10) lgkmcnt(1)
	v_mul_f64 v[248:249], v[238:239], v[176:177]
	v_fma_f64 v[8:9], v[230:231], v[170:171], -v[8:9]
	s_waitcnt vmcnt(8)
	v_fmac_f64_e32 v[248:249], v[240:241], v[178:179]
	v_add_f64 v[6:7], v[6:7], v[8:9]
	v_mul_f64 v[8:9], v[236:237], v[154:155]
	v_add_f64 v[254:255], v[246:247], v[248:249]
	ds_read_b128 v[246:249], v152 offset:832
	v_fma_f64 v[8:9], v[234:235], v[166:167], -v[8:9]
	v_add_f64 v[6:7], v[6:7], v[8:9]
	v_mul_f64 v[8:9], v[240:241], v[176:177]
	v_fma_f64 v[8:9], v[238:239], v[178:179], -v[8:9]
	v_add_f64 v[6:7], v[6:7], v[8:9]
	s_waitcnt lgkmcnt(1)
	v_mul_f64 v[8:9], v[244:245], v[172:173]
	v_mul_f64 v[188:189], v[242:243], v[172:173]
	v_fma_f64 v[8:9], v[242:243], v[174:175], -v[8:9]
	v_fmac_f64_e32 v[188:189], v[244:245], v[174:175]
	v_add_f64 v[6:7], v[6:7], v[8:9]
	s_waitcnt vmcnt(2) lgkmcnt(0)
	v_mul_f64 v[8:9], v[248:249], v[184:185]
	v_add_f64 v[188:189], v[254:255], v[188:189]
	v_mul_f64 v[254:255], v[246:247], v[184:185]
	s_waitcnt vmcnt(0)
	v_fma_f64 v[8:9], v[246:247], v[186:187], -v[8:9]
	v_fmac_f64_e32 v[254:255], v[248:249], v[186:187]
	v_add_f64 v[6:7], v[6:7], v[8:9]
	v_mul_f64 v[8:9], v[252:253], v[180:181]
	v_add_f64 v[188:189], v[188:189], v[254:255]
	v_mul_f64 v[254:255], v[250:251], v[180:181]
	v_fma_f64 v[8:9], v[250:251], v[182:183], -v[8:9]
	v_fmac_f64_e32 v[254:255], v[252:253], v[182:183]
	v_add_f64 v[6:7], v[6:7], v[8:9]
	v_add_f64 v[188:189], v[188:189], v[254:255]
	v_add_f64 v[4:5], v[4:5], -v[6:7]
	v_add_f64 v[2:3], v[2:3], -v[188:189]
	buffer_store_dword v5, off, s[0:3], 0 offset:52
	buffer_store_dword v4, off, s[0:3], 0 offset:48
	;; [unrolled: 1-line block ×4, first 2 shown]
	s_and_saveexec_b64 s[6:7], vcc
	s_cbranch_execz .LBB26_171
; %bb.170:
	v_accvgpr_read_b32 v5, a43
	buffer_load_dword v2, v5, s[0:3], 0 offen
	buffer_load_dword v3, v5, s[0:3], 0 offen offset:4
	buffer_load_dword v4, v5, s[0:3], 0 offen offset:8
	s_nop 0
	buffer_load_dword v5, v5, s[0:3], 0 offen offset:12
	s_nop 0
	buffer_store_dword v152, off, s[0:3], 0 offset:32
	buffer_store_dword v152, off, s[0:3], 0 offset:36
	;; [unrolled: 1-line block ×4, first 2 shown]
	s_waitcnt vmcnt(4)
	ds_write_b128 v1, v[2:5]
.LBB26_171:
	s_or_b64 exec, exec, s[6:7]
	s_waitcnt lgkmcnt(0)
	; wave barrier
	s_waitcnt lgkmcnt(0)
	buffer_load_dword v22, off, s[0:3], 0 offset:48
	buffer_load_dword v23, off, s[0:3], 0 offset:52
	;; [unrolled: 1-line block ×16, first 2 shown]
	ds_read_b128 v[2:5], v152 offset:480
	ds_read_b128 v[6:9], v152 offset:496
	;; [unrolled: 1-line block ×4, first 2 shown]
	buffer_load_dword v35, off, s[0:3], 0 offset:124
	buffer_load_dword v34, off, s[0:3], 0 offset:120
	;; [unrolled: 1-line block ×48, first 2 shown]
	v_cmp_lt_u32_e32 vcc, 1, v193
	s_waitcnt vmcnt(42) lgkmcnt(0)
	v_mul_f64 v[162:163], v[14:15], v[38:39]
	s_waitcnt vmcnt(40)
	v_fmac_f64_e32 v[162:163], v[16:17], v[40:41]
	v_mul_f64 v[136:137], v[2:3], v[24:25]
	v_fmac_f64_e32 v[136:137], v[4:5], v[22:23]
	v_add_f64 v[136:137], v[136:137], 0
	v_mul_f64 v[4:5], v[4:5], v[24:25]
	v_mul_f64 v[138:139], v[6:7], v[32:33]
	v_fma_f64 v[2:3], v[2:3], v[22:23], -v[4:5]
	v_mul_f64 v[154:155], v[10:11], v[26:27]
	v_fmac_f64_e32 v[154:155], v[12:13], v[30:31]
	v_fmac_f64_e32 v[138:139], v[8:9], v[28:29]
	v_add_f64 v[158:159], v[136:137], v[138:139]
	buffer_load_dword v137, off, s[0:3], 0 offset:316
	buffer_load_dword v136, off, s[0:3], 0 offset:312
	;; [unrolled: 1-line block ×32, first 2 shown]
	v_add_f64 v[154:155], v[158:159], v[154:155]
	ds_read_b128 v[158:161], v152 offset:544
	buffer_load_dword v255, off, s[0:3], 0 offset:428
	buffer_load_dword v254, off, s[0:3], 0 offset:424
	;; [unrolled: 1-line block ×4, first 2 shown]
	v_add_f64 v[154:155], v[154:155], v[162:163]
	ds_read_b128 v[162:165], v152 offset:560
	ds_read_b128 v[194:197], v152 offset:576
	v_mul_f64 v[4:5], v[8:9], v[32:33]
	v_add_f64 v[2:3], v[2:3], 0
	v_fma_f64 v[4:5], v[6:7], v[28:29], -v[4:5]
	v_add_f64 v[2:3], v[2:3], v[4:5]
	v_mul_f64 v[4:5], v[12:13], v[26:27]
	s_waitcnt lgkmcnt(2)
	v_mul_f64 v[166:167], v[158:159], v[34:35]
	v_fma_f64 v[4:5], v[10:11], v[30:31], -v[4:5]
	v_fmac_f64_e32 v[166:167], v[160:161], v[36:37]
	ds_read_b128 v[198:201], v152 offset:592
	ds_read_b128 v[202:205], v152 offset:608
	v_add_f64 v[2:3], v[2:3], v[4:5]
	v_mul_f64 v[4:5], v[16:17], v[38:39]
	v_add_f64 v[154:155], v[154:155], v[166:167]
	s_waitcnt vmcnt(62) lgkmcnt(3)
	v_mul_f64 v[166:167], v[162:163], v[100:101]
	v_fma_f64 v[4:5], v[14:15], v[40:41], -v[4:5]
	v_fmac_f64_e32 v[166:167], v[164:165], v[102:103]
	v_add_f64 v[2:3], v[2:3], v[4:5]
	v_mul_f64 v[4:5], v[160:161], v[34:35]
	v_add_f64 v[154:155], v[154:155], v[166:167]
	s_waitcnt lgkmcnt(2)
	v_mul_f64 v[166:167], v[194:195], v[42:43]
	v_fma_f64 v[4:5], v[158:159], v[36:37], -v[4:5]
	v_fmac_f64_e32 v[166:167], v[196:197], v[44:45]
	ds_read_b128 v[206:209], v152 offset:624
	ds_read_b128 v[210:213], v152 offset:640
	v_add_f64 v[2:3], v[2:3], v[4:5]
	v_mul_f64 v[4:5], v[164:165], v[100:101]
	v_add_f64 v[154:155], v[154:155], v[166:167]
	s_waitcnt lgkmcnt(3)
	v_mul_f64 v[166:167], v[198:199], v[108:109]
	v_fma_f64 v[4:5], v[162:163], v[102:103], -v[4:5]
	s_waitcnt vmcnt(60)
	v_fmac_f64_e32 v[166:167], v[200:201], v[110:111]
	v_add_f64 v[2:3], v[2:3], v[4:5]
	v_mul_f64 v[4:5], v[196:197], v[42:43]
	v_add_f64 v[154:155], v[154:155], v[166:167]
	s_waitcnt lgkmcnt(2)
	v_mul_f64 v[166:167], v[202:203], v[104:105]
	v_fma_f64 v[4:5], v[194:195], v[44:45], -v[4:5]
	v_fmac_f64_e32 v[166:167], v[204:205], v[106:107]
	ds_read_b128 v[214:217], v152 offset:656
	ds_read_b128 v[218:221], v152 offset:672
	v_add_f64 v[2:3], v[2:3], v[4:5]
	v_mul_f64 v[4:5], v[200:201], v[108:109]
	v_add_f64 v[154:155], v[154:155], v[166:167]
	s_waitcnt vmcnt(54) lgkmcnt(3)
	v_mul_f64 v[166:167], v[206:207], v[116:117]
	v_fma_f64 v[4:5], v[198:199], v[110:111], -v[4:5]
	s_waitcnt vmcnt(52)
	v_fmac_f64_e32 v[166:167], v[208:209], v[118:119]
	v_add_f64 v[2:3], v[2:3], v[4:5]
	v_mul_f64 v[4:5], v[204:205], v[104:105]
	v_add_f64 v[154:155], v[154:155], v[166:167]
	s_waitcnt lgkmcnt(2)
	v_mul_f64 v[166:167], v[210:211], v[112:113]
	v_fma_f64 v[4:5], v[202:203], v[106:107], -v[4:5]
	v_fmac_f64_e32 v[166:167], v[212:213], v[114:115]
	ds_read_b128 v[222:225], v152 offset:688
	ds_read_b128 v[226:229], v152 offset:704
	v_add_f64 v[2:3], v[2:3], v[4:5]
	v_mul_f64 v[4:5], v[208:209], v[116:117]
	v_add_f64 v[154:155], v[154:155], v[166:167]
	s_waitcnt vmcnt(46) lgkmcnt(3)
	;; [unrolled: 17-line block ×5, first 2 shown]
	v_mul_f64 v[166:167], v[238:239], v[148:149]
	v_fma_f64 v[4:5], v[230:231], v[142:143], -v[4:5]
	s_waitcnt vmcnt(20)
	v_fmac_f64_e32 v[166:167], v[240:241], v[150:151]
	v_add_f64 v[2:3], v[2:3], v[4:5]
	v_mul_f64 v[4:5], v[236:237], v[136:137]
	v_add_f64 v[154:155], v[154:155], v[166:167]
	s_waitcnt lgkmcnt(2)
	v_mul_f64 v[166:167], v[242:243], v[144:145]
	v_fma_f64 v[4:5], v[234:235], v[138:139], -v[4:5]
	v_fmac_f64_e32 v[166:167], v[244:245], v[146:147]
	v_add_f64 v[2:3], v[2:3], v[4:5]
	v_mul_f64 v[4:5], v[240:241], v[148:149]
	v_add_f64 v[154:155], v[154:155], v[166:167]
	s_waitcnt vmcnt(14) lgkmcnt(1)
	v_mul_f64 v[166:167], v[246:247], v[178:179]
	v_fma_f64 v[4:5], v[238:239], v[150:151], -v[4:5]
	s_waitcnt vmcnt(12)
	v_fmac_f64_e32 v[166:167], v[248:249], v[180:181]
	v_add_f64 v[2:3], v[2:3], v[4:5]
	v_mul_f64 v[4:5], v[244:245], v[144:145]
	v_add_f64 v[154:155], v[154:155], v[166:167]
	ds_read_b128 v[166:169], v152 offset:816
	s_waitcnt lgkmcnt(1)
	v_mul_f64 v[170:171], v[250:251], v[174:175]
	v_fma_f64 v[4:5], v[242:243], v[146:147], -v[4:5]
	v_fmac_f64_e32 v[170:171], v[252:253], v[176:177]
	v_add_f64 v[2:3], v[2:3], v[4:5]
	v_mul_f64 v[4:5], v[248:249], v[178:179]
	v_add_f64 v[156:157], v[154:155], v[170:171]
	ds_read_b128 v[170:173], v152 offset:832
	v_fma_f64 v[4:5], v[246:247], v[180:181], -v[4:5]
	v_add_f64 v[2:3], v[2:3], v[4:5]
	v_mul_f64 v[4:5], v[252:253], v[174:175]
	ds_read_b128 v[152:155], v152 offset:848
	v_fma_f64 v[4:5], v[250:251], v[176:177], -v[4:5]
	v_add_f64 v[2:3], v[2:3], v[4:5]
	s_waitcnt vmcnt(6) lgkmcnt(2)
	v_mul_f64 v[4:5], v[168:169], v[186:187]
	v_mul_f64 v[48:49], v[166:167], v[186:187]
	s_waitcnt vmcnt(4)
	v_fma_f64 v[4:5], v[166:167], v[188:189], -v[4:5]
	v_fmac_f64_e32 v[48:49], v[168:169], v[188:189]
	v_add_f64 v[2:3], v[2:3], v[4:5]
	s_waitcnt lgkmcnt(1)
	v_mul_f64 v[4:5], v[172:173], v[182:183]
	v_add_f64 v[48:49], v[156:157], v[48:49]
	v_mul_f64 v[156:157], v[170:171], v[182:183]
	v_fma_f64 v[4:5], v[170:171], v[184:185], -v[4:5]
	v_fmac_f64_e32 v[156:157], v[172:173], v[184:185]
	v_add_f64 v[2:3], v[2:3], v[4:5]
	s_waitcnt vmcnt(2) lgkmcnt(0)
	v_mul_f64 v[4:5], v[154:155], v[254:255]
	v_add_f64 v[48:49], v[48:49], v[156:157]
	v_mul_f64 v[156:157], v[152:153], v[254:255]
	s_waitcnt vmcnt(0)
	v_fma_f64 v[4:5], v[152:153], v[190:191], -v[4:5]
	v_fmac_f64_e32 v[156:157], v[154:155], v[190:191]
	v_add_f64 v[2:3], v[2:3], v[4:5]
	v_add_f64 v[48:49], v[48:49], v[156:157]
	v_add_f64 v[2:3], v[20:21], -v[2:3]
	v_add_f64 v[4:5], v[18:19], -v[48:49]
	buffer_store_dword v3, off, s[0:3], 0 offset:36
	buffer_store_dword v2, off, s[0:3], 0 offset:32
	;; [unrolled: 1-line block ×4, first 2 shown]
	s_and_saveexec_b64 s[6:7], vcc
	s_cbranch_execz .LBB26_173
; %bb.172:
	v_accvgpr_read_b32 v5, a44
	buffer_load_dword v2, v5, s[0:3], 0 offen
	buffer_load_dword v3, v5, s[0:3], 0 offen offset:4
	buffer_load_dword v4, v5, s[0:3], 0 offen offset:8
	s_nop 0
	buffer_load_dword v5, v5, s[0:3], 0 offen offset:12
	v_mov_b32_e32 v6, 0
	buffer_store_dword v6, off, s[0:3], 0 offset:16
	buffer_store_dword v6, off, s[0:3], 0 offset:20
	;; [unrolled: 1-line block ×4, first 2 shown]
	s_waitcnt vmcnt(4)
	ds_write_b128 v1, v[2:5]
.LBB26_173:
	s_or_b64 exec, exec, s[6:7]
	s_waitcnt lgkmcnt(0)
	; wave barrier
	s_waitcnt lgkmcnt(0)
	buffer_load_dword v22, off, s[0:3], 0 offset:32
	buffer_load_dword v23, off, s[0:3], 0 offset:36
	;; [unrolled: 1-line block ×64, first 2 shown]
	v_mov_b32_e32 v194, 0
	ds_read_b128 v[18:21], v194 offset:464
	ds_read_b128 v[14:17], v194 offset:480
	;; [unrolled: 1-line block ×5, first 2 shown]
	v_cmp_ne_u32_e32 vcc, 0, v193
	s_waitcnt vmcnt(60) lgkmcnt(4)
	v_mul_f64 v[48:49], v[18:19], v[26:27]
	v_fmac_f64_e32 v[48:49], v[20:21], v[22:23]
	v_add_f64 v[48:49], v[48:49], 0
	v_mul_f64 v[20:21], v[20:21], v[26:27]
	s_waitcnt vmcnt(56) lgkmcnt(3)
	v_mul_f64 v[140:141], v[14:15], v[28:29]
	v_fmac_f64_e32 v[140:141], v[16:17], v[24:25]
	s_waitcnt vmcnt(54) lgkmcnt(2)
	v_mul_f64 v[142:143], v[10:11], v[30:31]
	v_add_f64 v[48:49], v[48:49], v[140:141]
	v_fma_f64 v[18:19], v[18:19], v[22:23], -v[20:21]
	v_mul_f64 v[16:17], v[16:17], v[28:29]
	s_waitcnt vmcnt(50) lgkmcnt(1)
	v_mul_f64 v[156:157], v[6:7], v[40:41]
	v_add_f64 v[18:19], v[18:19], 0
	s_waitcnt vmcnt(48)
	v_fmac_f64_e32 v[142:143], v[12:13], v[44:45]
	v_add_f64 v[48:49], v[48:49], v[142:143]
	buffer_load_dword v141, off, s[0:3], 0 offset:300
	buffer_load_dword v140, off, s[0:3], 0 offset:296
	;; [unrolled: 1-line block ×40, first 2 shown]
	ds_read_b128 v[158:161], v194 offset:544
	ds_read_b128 v[162:165], v194 offset:560
	s_waitcnt vmcnt(62)
	v_fmac_f64_e32 v[156:157], v[8:9], v[42:43]
	v_fma_f64 v[14:15], v[14:15], v[24:25], -v[16:17]
	v_mul_f64 v[12:13], v[12:13], v[30:31]
	v_add_f64 v[48:49], v[48:49], v[156:157]
	s_waitcnt lgkmcnt(2)
	v_mul_f64 v[156:157], v[2:3], v[36:37]
	v_add_f64 v[14:15], v[18:19], v[14:15]
	v_fma_f64 v[10:11], v[10:11], v[44:45], -v[12:13]
	v_mul_f64 v[8:9], v[8:9], v[40:41]
	v_fmac_f64_e32 v[156:157], v[4:5], v[38:39]
	ds_read_b128 v[166:169], v194 offset:576
	ds_read_b128 v[170:173], v194 offset:592
	v_add_f64 v[10:11], v[14:15], v[10:11]
	v_fma_f64 v[6:7], v[6:7], v[42:43], -v[8:9]
	v_mul_f64 v[4:5], v[4:5], v[36:37]
	v_add_f64 v[6:7], v[10:11], v[6:7]
	v_fma_f64 v[2:3], v[2:3], v[38:39], -v[4:5]
	s_waitcnt lgkmcnt(3)
	v_mul_f64 v[4:5], v[160:161], v[104:105]
	v_add_f64 v[48:49], v[48:49], v[156:157]
	v_mul_f64 v[156:157], v[158:159], v[104:105]
	v_add_f64 v[2:3], v[6:7], v[2:3]
	v_fma_f64 v[4:5], v[158:159], v[106:107], -v[4:5]
	v_fmac_f64_e32 v[156:157], v[160:161], v[106:107]
	v_add_f64 v[2:3], v[2:3], v[4:5]
	s_waitcnt lgkmcnt(2)
	v_mul_f64 v[4:5], v[164:165], v[100:101]
	v_add_f64 v[48:49], v[48:49], v[156:157]
	v_mul_f64 v[156:157], v[162:163], v[100:101]
	ds_read_b128 v[196:199], v194 offset:608
	ds_read_b128 v[200:203], v194 offset:624
	v_fma_f64 v[4:5], v[162:163], v[102:103], -v[4:5]
	v_fmac_f64_e32 v[156:157], v[164:165], v[102:103]
	v_add_f64 v[2:3], v[2:3], v[4:5]
	s_waitcnt lgkmcnt(3)
	v_mul_f64 v[4:5], v[168:169], v[112:113]
	v_add_f64 v[48:49], v[48:49], v[156:157]
	v_mul_f64 v[156:157], v[166:167], v[112:113]
	v_fma_f64 v[4:5], v[166:167], v[114:115], -v[4:5]
	v_fmac_f64_e32 v[156:157], v[168:169], v[114:115]
	v_add_f64 v[2:3], v[2:3], v[4:5]
	s_waitcnt lgkmcnt(2)
	v_mul_f64 v[4:5], v[172:173], v[108:109]
	v_add_f64 v[48:49], v[48:49], v[156:157]
	v_mul_f64 v[156:157], v[170:171], v[108:109]
	ds_read_b128 v[204:207], v194 offset:640
	ds_read_b128 v[208:211], v194 offset:656
	v_fma_f64 v[4:5], v[170:171], v[110:111], -v[4:5]
	v_fmac_f64_e32 v[156:157], v[172:173], v[110:111]
	v_add_f64 v[2:3], v[2:3], v[4:5]
	s_waitcnt vmcnt(58) lgkmcnt(3)
	v_mul_f64 v[4:5], v[198:199], v[120:121]
	v_add_f64 v[48:49], v[48:49], v[156:157]
	v_mul_f64 v[156:157], v[196:197], v[120:121]
	s_waitcnt vmcnt(56)
	v_fma_f64 v[4:5], v[196:197], v[122:123], -v[4:5]
	v_fmac_f64_e32 v[156:157], v[198:199], v[122:123]
	v_add_f64 v[2:3], v[2:3], v[4:5]
	s_waitcnt lgkmcnt(2)
	v_mul_f64 v[4:5], v[202:203], v[116:117]
	v_add_f64 v[48:49], v[48:49], v[156:157]
	v_mul_f64 v[156:157], v[200:201], v[116:117]
	ds_read_b128 v[212:215], v194 offset:672
	ds_read_b128 v[216:219], v194 offset:688
	v_fma_f64 v[4:5], v[200:201], v[118:119], -v[4:5]
	v_fmac_f64_e32 v[156:157], v[202:203], v[118:119]
	v_add_f64 v[2:3], v[2:3], v[4:5]
	s_waitcnt vmcnt(50) lgkmcnt(3)
	v_mul_f64 v[4:5], v[206:207], v[128:129]
	v_add_f64 v[48:49], v[48:49], v[156:157]
	v_mul_f64 v[156:157], v[204:205], v[128:129]
	s_waitcnt vmcnt(48)
	;; [unrolled: 17-line block ×7, first 2 shown]
	v_fma_f64 v[4:5], v[244:245], v[50:51], -v[4:5]
	v_fmac_f64_e32 v[156:157], v[246:247], v[50:51]
	v_add_f64 v[2:3], v[2:3], v[4:5]
	s_waitcnt lgkmcnt(2)
	v_mul_f64 v[4:5], v[250:251], v[186:187]
	v_add_f64 v[48:49], v[48:49], v[156:157]
	v_mul_f64 v[156:157], v[248:249], v[186:187]
	v_fma_f64 v[4:5], v[248:249], v[188:189], -v[4:5]
	v_fmac_f64_e32 v[156:157], v[250:251], v[188:189]
	v_add_f64 v[2:3], v[2:3], v[4:5]
	s_waitcnt vmcnt(2) lgkmcnt(1)
	v_mul_f64 v[4:5], v[254:255], v[56:57]
	v_add_f64 v[48:49], v[48:49], v[156:157]
	v_mul_f64 v[156:157], v[252:253], v[56:57]
	s_waitcnt vmcnt(0)
	v_fma_f64 v[4:5], v[252:253], v[58:59], -v[4:5]
	v_fmac_f64_e32 v[156:157], v[254:255], v[58:59]
	v_add_f64 v[2:3], v[2:3], v[4:5]
	s_waitcnt lgkmcnt(0)
	v_mul_f64 v[4:5], v[176:177], v[52:53]
	v_add_f64 v[48:49], v[48:49], v[156:157]
	v_mul_f64 v[156:157], v[174:175], v[52:53]
	v_fma_f64 v[4:5], v[174:175], v[54:55], -v[4:5]
	v_fmac_f64_e32 v[156:157], v[176:177], v[54:55]
	v_add_f64 v[2:3], v[2:3], v[4:5]
	v_add_f64 v[48:49], v[48:49], v[156:157]
	v_add_f64 v[2:3], v[34:35], -v[2:3]
	v_add_f64 v[4:5], v[32:33], -v[48:49]
	buffer_store_dword v3, off, s[0:3], 0 offset:20
	buffer_store_dword v2, off, s[0:3], 0 offset:16
	;; [unrolled: 1-line block ×4, first 2 shown]
	s_and_saveexec_b64 s[6:7], vcc
	s_cbranch_execz .LBB26_175
; %bb.174:
	buffer_load_dword v2, off, s[0:3], 0
	buffer_load_dword v3, off, s[0:3], 0 offset:4
	buffer_load_dword v4, off, s[0:3], 0 offset:8
	;; [unrolled: 1-line block ×3, first 2 shown]
	s_nop 0
	buffer_store_dword v194, off, s[0:3], 0
	buffer_store_dword v194, off, s[0:3], 0 offset:4
	buffer_store_dword v194, off, s[0:3], 0 offset:8
	buffer_store_dword v194, off, s[0:3], 0 offset:12
	s_waitcnt vmcnt(4)
	ds_write_b128 v1, v[2:5]
.LBB26_175:
	s_or_b64 exec, exec, s[6:7]
	s_waitcnt lgkmcnt(0)
	; wave barrier
	s_waitcnt lgkmcnt(0)
	buffer_load_dword v26, off, s[0:3], 0 offset:16
	buffer_load_dword v27, off, s[0:3], 0 offset:20
	;; [unrolled: 1-line block ×20, first 2 shown]
	buffer_load_dword v36, off, s[0:3], 0
	buffer_load_dword v37, off, s[0:3], 0 offset:4
	buffer_load_dword v34, off, s[0:3], 0 offset:8
	;; [unrolled: 1-line block ×3, first 2 shown]
	ds_read_b128 v[22:25], v194 offset:448
	ds_read_b128 v[18:21], v194 offset:464
	;; [unrolled: 1-line block ×6, first 2 shown]
	buffer_load_dword v105, off, s[0:3], 0 offset:124
	buffer_load_dword v104, off, s[0:3], 0 offset:120
	;; [unrolled: 1-line block ×40, first 2 shown]
	s_and_b64 vcc, exec, s[26:27]
	s_waitcnt vmcnt(60) lgkmcnt(5)
	v_mul_f64 v[48:49], v[22:23], v[28:29]
	v_fmac_f64_e32 v[48:49], v[24:25], v[26:27]
	s_waitcnt vmcnt(58) lgkmcnt(4)
	v_mul_f64 v[50:51], v[18:19], v[30:31]
	v_add_f64 v[48:49], v[48:49], 0
	s_waitcnt vmcnt(56) lgkmcnt(3)
	v_mul_f64 v[52:53], v[10:11], v[32:33]
	v_mul_f64 v[24:25], v[24:25], v[28:29]
	v_fma_f64 v[22:23], v[22:23], v[26:27], -v[24:25]
	v_add_f64 v[22:23], v[22:23], 0
	s_waitcnt vmcnt(54) lgkmcnt(1)
	v_mul_f64 v[56:57], v[2:3], v[38:39]
	s_waitcnt vmcnt(51)
	v_mul_f64 v[54:55], v[6:7], v[42:43]
	s_waitcnt vmcnt(49)
	v_fmac_f64_e32 v[50:51], v[20:21], v[102:103]
	v_add_f64 v[48:49], v[48:49], v[50:51]
	s_waitcnt vmcnt(47)
	v_fmac_f64_e32 v[52:53], v[12:13], v[100:101]
	v_add_f64 v[48:49], v[48:49], v[52:53]
	;; [unrolled: 3-line block ×3, first 2 shown]
	buffer_load_dword v145, off, s[0:3], 0 offset:284
	buffer_load_dword v144, off, s[0:3], 0 offset:280
	buffer_load_dword v147, off, s[0:3], 0 offset:276
	buffer_load_dword v146, off, s[0:3], 0 offset:272
	buffer_load_dword v149, off, s[0:3], 0 offset:268
	buffer_load_dword v148, off, s[0:3], 0 offset:264
	buffer_load_dword v151, off, s[0:3], 0 offset:260
	buffer_load_dword v150, off, s[0:3], 0 offset:256
	buffer_load_dword v153, off, s[0:3], 0 offset:316
	buffer_load_dword v152, off, s[0:3], 0 offset:312
	buffer_load_dword v155, off, s[0:3], 0 offset:308
	buffer_load_dword v154, off, s[0:3], 0 offset:304
	buffer_load_dword v157, off, s[0:3], 0 offset:300
	buffer_load_dword v156, off, s[0:3], 0 offset:296
	buffer_load_dword v159, off, s[0:3], 0 offset:292
	buffer_load_dword v158, off, s[0:3], 0 offset:288
	buffer_load_dword v161, off, s[0:3], 0 offset:348
	buffer_load_dword v160, off, s[0:3], 0 offset:344
	buffer_load_dword v163, off, s[0:3], 0 offset:340
	buffer_load_dword v162, off, s[0:3], 0 offset:336
	buffer_load_dword v165, off, s[0:3], 0 offset:332
	buffer_load_dword v164, off, s[0:3], 0 offset:328
	buffer_load_dword v167, off, s[0:3], 0 offset:324
	buffer_load_dword v166, off, s[0:3], 0 offset:320
	buffer_load_dword v51, off, s[0:3], 0 offset:380
	buffer_load_dword v50, off, s[0:3], 0 offset:376
	buffer_load_dword v53, off, s[0:3], 0 offset:372
	buffer_load_dword v52, off, s[0:3], 0 offset:368
	buffer_load_dword v55, off, s[0:3], 0 offset:364
	buffer_load_dword v54, off, s[0:3], 0 offset:360
	buffer_load_dword v59, off, s[0:3], 0 offset:356
	buffer_load_dword v58, off, s[0:3], 0 offset:352
	buffer_load_dword v189, off, s[0:3], 0 offset:412
	buffer_load_dword v188, off, s[0:3], 0 offset:408
	buffer_load_dword v191, off, s[0:3], 0 offset:404
	buffer_load_dword v190, off, s[0:3], 0 offset:400
	buffer_load_dword v61, off, s[0:3], 0 offset:396
	buffer_load_dword v60, off, s[0:3], 0 offset:392
	buffer_load_dword v63, off, s[0:3], 0 offset:388
	buffer_load_dword v62, off, s[0:3], 0 offset:384
	ds_read_b128 v[168:171], v194 offset:544
	buffer_load_dword v65, off, s[0:3], 0 offset:428
	buffer_load_dword v64, off, s[0:3], 0 offset:424
	;; [unrolled: 1-line block ×4, first 2 shown]
	v_mul_f64 v[20:21], v[20:21], v[30:31]
	v_fma_f64 v[18:19], v[18:19], v[102:103], -v[20:21]
	v_mul_f64 v[12:13], v[12:13], v[32:33]
	v_add_f64 v[18:19], v[22:23], v[18:19]
	v_fma_f64 v[10:11], v[10:11], v[100:101], -v[12:13]
	v_mul_f64 v[8:9], v[8:9], v[42:43]
	s_waitcnt vmcnt(62)
	v_fmac_f64_e32 v[56:57], v[4:5], v[40:41]
	ds_read_b128 v[172:175], v194 offset:560
	ds_read_b128 v[196:199], v194 offset:576
	v_add_f64 v[10:11], v[18:19], v[10:11]
	v_fma_f64 v[6:7], v[6:7], v[44:45], -v[8:9]
	v_mul_f64 v[4:5], v[4:5], v[38:39]
	v_add_f64 v[6:7], v[10:11], v[6:7]
	v_fma_f64 v[2:3], v[2:3], v[40:41], -v[4:5]
	s_waitcnt lgkmcnt(3)
	v_mul_f64 v[4:5], v[16:17], v[108:109]
	v_add_f64 v[48:49], v[48:49], v[56:57]
	v_mul_f64 v[56:57], v[14:15], v[108:109]
	v_add_f64 v[2:3], v[6:7], v[2:3]
	v_fma_f64 v[4:5], v[14:15], v[110:111], -v[4:5]
	v_fmac_f64_e32 v[56:57], v[16:17], v[110:111]
	v_add_f64 v[2:3], v[2:3], v[4:5]
	s_waitcnt lgkmcnt(2)
	v_mul_f64 v[4:5], v[170:171], v[104:105]
	v_add_f64 v[48:49], v[48:49], v[56:57]
	v_mul_f64 v[56:57], v[168:169], v[104:105]
	ds_read_b128 v[200:203], v194 offset:592
	ds_read_b128 v[204:207], v194 offset:608
	v_fma_f64 v[4:5], v[168:169], v[106:107], -v[4:5]
	v_fmac_f64_e32 v[56:57], v[170:171], v[106:107]
	v_add_f64 v[2:3], v[2:3], v[4:5]
	s_waitcnt lgkmcnt(3)
	v_mul_f64 v[4:5], v[174:175], v[116:117]
	v_add_f64 v[48:49], v[48:49], v[56:57]
	v_mul_f64 v[56:57], v[172:173], v[116:117]
	v_fma_f64 v[4:5], v[172:173], v[118:119], -v[4:5]
	v_fmac_f64_e32 v[56:57], v[174:175], v[118:119]
	v_add_f64 v[2:3], v[2:3], v[4:5]
	s_waitcnt lgkmcnt(2)
	v_mul_f64 v[4:5], v[198:199], v[112:113]
	v_add_f64 v[48:49], v[48:49], v[56:57]
	v_mul_f64 v[56:57], v[196:197], v[112:113]
	ds_read_b128 v[208:211], v194 offset:624
	ds_read_b128 v[212:215], v194 offset:640
	v_fma_f64 v[4:5], v[196:197], v[114:115], -v[4:5]
	v_fmac_f64_e32 v[56:57], v[198:199], v[114:115]
	v_add_f64 v[2:3], v[2:3], v[4:5]
	s_waitcnt lgkmcnt(3)
	v_mul_f64 v[4:5], v[202:203], v[124:125]
	v_add_f64 v[48:49], v[48:49], v[56:57]
	v_mul_f64 v[56:57], v[200:201], v[124:125]
	s_waitcnt vmcnt(60)
	v_fma_f64 v[4:5], v[200:201], v[126:127], -v[4:5]
	v_fmac_f64_e32 v[56:57], v[202:203], v[126:127]
	v_add_f64 v[2:3], v[2:3], v[4:5]
	s_waitcnt lgkmcnt(2)
	v_mul_f64 v[4:5], v[206:207], v[120:121]
	v_add_f64 v[48:49], v[48:49], v[56:57]
	v_mul_f64 v[56:57], v[204:205], v[120:121]
	ds_read_b128 v[216:219], v194 offset:656
	ds_read_b128 v[220:223], v194 offset:672
	v_fma_f64 v[4:5], v[204:205], v[122:123], -v[4:5]
	v_fmac_f64_e32 v[56:57], v[206:207], v[122:123]
	v_add_f64 v[2:3], v[2:3], v[4:5]
	s_waitcnt vmcnt(54) lgkmcnt(3)
	v_mul_f64 v[4:5], v[210:211], v[132:133]
	v_add_f64 v[48:49], v[48:49], v[56:57]
	v_mul_f64 v[56:57], v[208:209], v[132:133]
	s_waitcnt vmcnt(52)
	v_fma_f64 v[4:5], v[208:209], v[134:135], -v[4:5]
	v_fmac_f64_e32 v[56:57], v[210:211], v[134:135]
	v_add_f64 v[2:3], v[2:3], v[4:5]
	s_waitcnt lgkmcnt(2)
	v_mul_f64 v[4:5], v[214:215], v[128:129]
	v_add_f64 v[48:49], v[48:49], v[56:57]
	v_mul_f64 v[56:57], v[212:213], v[128:129]
	ds_read_b128 v[224:227], v194 offset:688
	ds_read_b128 v[228:231], v194 offset:704
	v_fma_f64 v[4:5], v[212:213], v[130:131], -v[4:5]
	v_fmac_f64_e32 v[56:57], v[214:215], v[130:131]
	v_add_f64 v[2:3], v[2:3], v[4:5]
	s_waitcnt vmcnt(46) lgkmcnt(3)
	;; [unrolled: 17-line block ×6, first 2 shown]
	v_mul_f64 v[4:5], v[250:251], v[54:55]
	v_add_f64 v[48:49], v[48:49], v[56:57]
	v_mul_f64 v[56:57], v[248:249], v[54:55]
	s_waitcnt vmcnt(12)
	v_fma_f64 v[4:5], v[248:249], v[58:59], -v[4:5]
	v_fmac_f64_e32 v[56:57], v[250:251], v[58:59]
	v_add_f64 v[2:3], v[2:3], v[4:5]
	s_waitcnt lgkmcnt(2)
	v_mul_f64 v[4:5], v[254:255], v[50:51]
	v_add_f64 v[48:49], v[48:49], v[56:57]
	v_mul_f64 v[56:57], v[252:253], v[50:51]
	ds_read_b128 v[184:187], v194 offset:848
	v_fma_f64 v[4:5], v[252:253], v[52:53], -v[4:5]
	v_fmac_f64_e32 v[56:57], v[254:255], v[52:53]
	v_add_f64 v[2:3], v[2:3], v[4:5]
	s_waitcnt vmcnt(6) lgkmcnt(2)
	v_mul_f64 v[4:5], v[178:179], v[60:61]
	v_add_f64 v[48:49], v[48:49], v[56:57]
	v_mul_f64 v[56:57], v[176:177], v[60:61]
	s_waitcnt vmcnt(4)
	v_fma_f64 v[4:5], v[176:177], v[62:63], -v[4:5]
	v_fmac_f64_e32 v[56:57], v[178:179], v[62:63]
	v_add_f64 v[2:3], v[2:3], v[4:5]
	s_waitcnt lgkmcnt(1)
	v_mul_f64 v[4:5], v[182:183], v[188:189]
	v_add_f64 v[48:49], v[48:49], v[56:57]
	v_mul_f64 v[56:57], v[180:181], v[188:189]
	v_fma_f64 v[4:5], v[180:181], v[190:191], -v[4:5]
	v_fmac_f64_e32 v[56:57], v[182:183], v[190:191]
	v_add_f64 v[2:3], v[2:3], v[4:5]
	s_waitcnt vmcnt(2) lgkmcnt(0)
	v_mul_f64 v[4:5], v[186:187], v[64:65]
	v_add_f64 v[48:49], v[48:49], v[56:57]
	v_mul_f64 v[56:57], v[184:185], v[64:65]
	s_waitcnt vmcnt(0)
	v_fma_f64 v[4:5], v[184:185], v[66:67], -v[4:5]
	v_fmac_f64_e32 v[56:57], v[186:187], v[66:67]
	v_add_f64 v[2:3], v[2:3], v[4:5]
	v_add_f64 v[48:49], v[48:49], v[56:57]
	v_add_f64 v[2:3], v[36:37], -v[2:3]
	v_add_f64 v[4:5], v[34:35], -v[48:49]
	buffer_store_dword v3, off, s[0:3], 0 offset:4
	buffer_store_dword v2, off, s[0:3], 0
	buffer_store_dword v5, off, s[0:3], 0 offset:12
	buffer_store_dword v4, off, s[0:3], 0 offset:8
	s_cbranch_vccz .LBB26_229
; %bb.176:
	v_pk_mov_b32 v[2:3], s[24:25], s[24:25] op_sel:[0,1]
	flat_load_dword v1, v[2:3] offset:100
	s_load_dwordx2 s[4:5], s[4:5], 0x4
	v_bfe_u32 v3, v0, 10, 10
	v_bfe_u32 v0, v0, 20, 10
	s_waitcnt lgkmcnt(0)
	s_lshr_b32 s4, s4, 16
	s_mul_i32 s4, s4, s5
	v_mul_u32_u24_e32 v2, s4, v193
	v_mul_u32_u24_e32 v3, s5, v3
	v_add3_u32 v0, v2, v3, v0
	v_mov_b32_e32 v2, 0x368
	v_lshl_add_u32 v0, v0, 4, v2
	s_waitcnt vmcnt(0)
	v_add_u32_e32 v2, -1, v1
	v_cmp_ne_u32_e32 vcc, 25, v2
	s_and_saveexec_b64 s[4:5], vcc
	s_cbranch_execz .LBB26_178
; %bb.177:
	v_mov_b32_e32 v1, 0
	v_accvgpr_read_b32 v10, a21
	v_lshl_add_u32 v1, v2, 4, v1
	buffer_load_dword v2, v10, s[0:3], 0 offen
	buffer_load_dword v3, v10, s[0:3], 0 offen offset:4
	buffer_load_dword v4, v10, s[0:3], 0 offen offset:8
	buffer_load_dword v5, v10, s[0:3], 0 offen offset:12
	buffer_load_dword v6, v1, s[0:3], 0 offen
	buffer_load_dword v7, v1, s[0:3], 0 offen offset:4
	buffer_load_dword v8, v1, s[0:3], 0 offen offset:8
	buffer_load_dword v9, v1, s[0:3], 0 offen offset:12
	s_waitcnt vmcnt(4)
	ds_write2_b64 v0, v[2:3], v[4:5] offset1:1
	s_waitcnt vmcnt(3)
	buffer_store_dword v6, v10, s[0:3], 0 offen
	s_waitcnt vmcnt(3)
	buffer_store_dword v7, v10, s[0:3], 0 offen offset:4
	s_waitcnt vmcnt(3)
	buffer_store_dword v8, v10, s[0:3], 0 offen offset:8
	s_waitcnt vmcnt(3)
	buffer_store_dword v9, v10, s[0:3], 0 offen offset:12
	buffer_store_dword v5, v1, s[0:3], 0 offen offset:12
	buffer_store_dword v4, v1, s[0:3], 0 offen offset:8
	buffer_store_dword v3, v1, s[0:3], 0 offen offset:4
	buffer_store_dword v2, v1, s[0:3], 0 offen
.LBB26_178:
	s_or_b64 exec, exec, s[4:5]
	v_pk_mov_b32 v[2:3], s[24:25], s[24:25] op_sel:[0,1]
	flat_load_dword v1, v[2:3] offset:96
	s_waitcnt vmcnt(0) lgkmcnt(0)
	v_add_u32_e32 v2, -1, v1
	v_cmp_ne_u32_e32 vcc, 24, v2
	s_and_saveexec_b64 s[4:5], vcc
	s_cbranch_execz .LBB26_180
; %bb.179:
	v_mov_b32_e32 v1, 0
	v_accvgpr_read_b32 v10, a22
	v_lshl_add_u32 v1, v2, 4, v1
	buffer_load_dword v2, v10, s[0:3], 0 offen
	buffer_load_dword v3, v10, s[0:3], 0 offen offset:4
	buffer_load_dword v4, v10, s[0:3], 0 offen offset:8
	buffer_load_dword v5, v10, s[0:3], 0 offen offset:12
	buffer_load_dword v6, v1, s[0:3], 0 offen
	buffer_load_dword v7, v1, s[0:3], 0 offen offset:4
	buffer_load_dword v8, v1, s[0:3], 0 offen offset:8
	buffer_load_dword v9, v1, s[0:3], 0 offen offset:12
	s_waitcnt vmcnt(4)
	ds_write2_b64 v0, v[2:3], v[4:5] offset1:1
	s_waitcnt vmcnt(3)
	buffer_store_dword v6, v10, s[0:3], 0 offen
	s_waitcnt vmcnt(3)
	buffer_store_dword v7, v10, s[0:3], 0 offen offset:4
	s_waitcnt vmcnt(3)
	buffer_store_dword v8, v10, s[0:3], 0 offen offset:8
	s_waitcnt vmcnt(3)
	buffer_store_dword v9, v10, s[0:3], 0 offen offset:12
	buffer_store_dword v5, v1, s[0:3], 0 offen offset:12
	buffer_store_dword v4, v1, s[0:3], 0 offen offset:8
	buffer_store_dword v3, v1, s[0:3], 0 offen offset:4
	buffer_store_dword v2, v1, s[0:3], 0 offen
.LBB26_180:
	s_or_b64 exec, exec, s[4:5]
	v_pk_mov_b32 v[2:3], s[24:25], s[24:25] op_sel:[0,1]
	flat_load_dword v1, v[2:3] offset:92
	s_waitcnt vmcnt(0) lgkmcnt(0)
	;; [unrolled: 35-line block ×22, first 2 shown]
	v_add_u32_e32 v2, -1, v1
	v_cmp_ne_u32_e32 vcc, 3, v2
	s_and_saveexec_b64 s[4:5], vcc
	s_cbranch_execz .LBB26_222
; %bb.221:
	v_mov_b32_e32 v1, 0
	v_lshl_add_u32 v1, v2, 4, v1
	buffer_load_dword v2, v192, s[0:3], 0 offen
	buffer_load_dword v3, v192, s[0:3], 0 offen offset:4
	buffer_load_dword v4, v192, s[0:3], 0 offen offset:8
	;; [unrolled: 1-line block ×3, first 2 shown]
	buffer_load_dword v6, v1, s[0:3], 0 offen
	buffer_load_dword v7, v1, s[0:3], 0 offen offset:4
	buffer_load_dword v8, v1, s[0:3], 0 offen offset:8
	;; [unrolled: 1-line block ×3, first 2 shown]
	s_waitcnt vmcnt(4)
	ds_write2_b64 v0, v[2:3], v[4:5] offset1:1
	s_waitcnt vmcnt(3)
	buffer_store_dword v6, v192, s[0:3], 0 offen
	s_waitcnt vmcnt(3)
	buffer_store_dword v7, v192, s[0:3], 0 offen offset:4
	s_waitcnt vmcnt(3)
	buffer_store_dword v8, v192, s[0:3], 0 offen offset:8
	;; [unrolled: 2-line block ×3, first 2 shown]
	buffer_store_dword v5, v1, s[0:3], 0 offen offset:12
	buffer_store_dword v4, v1, s[0:3], 0 offen offset:8
	;; [unrolled: 1-line block ×3, first 2 shown]
	buffer_store_dword v2, v1, s[0:3], 0 offen
.LBB26_222:
	s_or_b64 exec, exec, s[4:5]
	v_pk_mov_b32 v[2:3], s[24:25], s[24:25] op_sel:[0,1]
	flat_load_dword v1, v[2:3] offset:8
	s_waitcnt vmcnt(0) lgkmcnt(0)
	v_add_u32_e32 v2, -1, v1
	v_cmp_ne_u32_e32 vcc, 2, v2
	s_and_saveexec_b64 s[4:5], vcc
	s_cbranch_execz .LBB26_224
; %bb.223:
	v_mov_b32_e32 v1, 0
	v_accvgpr_read_b32 v10, a43
	v_lshl_add_u32 v1, v2, 4, v1
	buffer_load_dword v2, v10, s[0:3], 0 offen
	buffer_load_dword v3, v10, s[0:3], 0 offen offset:4
	buffer_load_dword v4, v10, s[0:3], 0 offen offset:8
	;; [unrolled: 1-line block ×3, first 2 shown]
	buffer_load_dword v6, v1, s[0:3], 0 offen
	buffer_load_dword v7, v1, s[0:3], 0 offen offset:4
	buffer_load_dword v8, v1, s[0:3], 0 offen offset:8
	;; [unrolled: 1-line block ×3, first 2 shown]
	s_waitcnt vmcnt(4)
	ds_write2_b64 v0, v[2:3], v[4:5] offset1:1
	s_waitcnt vmcnt(3)
	buffer_store_dword v6, v10, s[0:3], 0 offen
	s_waitcnt vmcnt(3)
	buffer_store_dword v7, v10, s[0:3], 0 offen offset:4
	s_waitcnt vmcnt(3)
	buffer_store_dword v8, v10, s[0:3], 0 offen offset:8
	;; [unrolled: 2-line block ×3, first 2 shown]
	buffer_store_dword v5, v1, s[0:3], 0 offen offset:12
	buffer_store_dword v4, v1, s[0:3], 0 offen offset:8
	;; [unrolled: 1-line block ×3, first 2 shown]
	buffer_store_dword v2, v1, s[0:3], 0 offen
.LBB26_224:
	s_or_b64 exec, exec, s[4:5]
	v_pk_mov_b32 v[2:3], s[24:25], s[24:25] op_sel:[0,1]
	flat_load_dword v1, v[2:3] offset:4
	s_waitcnt vmcnt(0) lgkmcnt(0)
	v_add_u32_e32 v2, -1, v1
	v_cmp_ne_u32_e32 vcc, 1, v2
	s_and_saveexec_b64 s[4:5], vcc
	s_cbranch_execz .LBB26_226
; %bb.225:
	v_mov_b32_e32 v1, 0
	v_accvgpr_read_b32 v10, a44
	v_lshl_add_u32 v1, v2, 4, v1
	buffer_load_dword v2, v10, s[0:3], 0 offen
	buffer_load_dword v3, v10, s[0:3], 0 offen offset:4
	buffer_load_dword v4, v10, s[0:3], 0 offen offset:8
	buffer_load_dword v5, v10, s[0:3], 0 offen offset:12
	buffer_load_dword v6, v1, s[0:3], 0 offen
	buffer_load_dword v7, v1, s[0:3], 0 offen offset:4
	buffer_load_dword v8, v1, s[0:3], 0 offen offset:8
	;; [unrolled: 1-line block ×3, first 2 shown]
	s_waitcnt vmcnt(4)
	ds_write2_b64 v0, v[2:3], v[4:5] offset1:1
	s_waitcnt vmcnt(3)
	buffer_store_dword v6, v10, s[0:3], 0 offen
	s_waitcnt vmcnt(3)
	buffer_store_dword v7, v10, s[0:3], 0 offen offset:4
	s_waitcnt vmcnt(3)
	buffer_store_dword v8, v10, s[0:3], 0 offen offset:8
	;; [unrolled: 2-line block ×3, first 2 shown]
	buffer_store_dword v5, v1, s[0:3], 0 offen offset:12
	buffer_store_dword v4, v1, s[0:3], 0 offen offset:8
	;; [unrolled: 1-line block ×3, first 2 shown]
	buffer_store_dword v2, v1, s[0:3], 0 offen
.LBB26_226:
	s_or_b64 exec, exec, s[4:5]
	v_pk_mov_b32 v[2:3], s[24:25], s[24:25] op_sel:[0,1]
	flat_load_dword v1, v[2:3]
	s_waitcnt vmcnt(0) lgkmcnt(0)
	v_add_u32_e32 v2, -1, v1
	v_cmp_ne_u32_e32 vcc, 0, v2
	s_and_saveexec_b64 s[4:5], vcc
	s_cbranch_execz .LBB26_228
; %bb.227:
	v_mov_b32_e32 v1, 0
	v_lshl_add_u32 v1, v2, 4, v1
	buffer_load_dword v2, off, s[0:3], 0
	buffer_load_dword v3, off, s[0:3], 0 offset:4
	buffer_load_dword v4, off, s[0:3], 0 offset:8
	;; [unrolled: 1-line block ×3, first 2 shown]
	buffer_load_dword v6, v1, s[0:3], 0 offen
	buffer_load_dword v7, v1, s[0:3], 0 offen offset:4
	buffer_load_dword v8, v1, s[0:3], 0 offen offset:8
	;; [unrolled: 1-line block ×3, first 2 shown]
	s_waitcnt vmcnt(4)
	ds_write2_b64 v0, v[2:3], v[4:5] offset1:1
	s_waitcnt vmcnt(3)
	buffer_store_dword v6, off, s[0:3], 0
	s_waitcnt vmcnt(3)
	buffer_store_dword v7, off, s[0:3], 0 offset:4
	s_waitcnt vmcnt(3)
	buffer_store_dword v8, off, s[0:3], 0 offset:8
	s_waitcnt vmcnt(3)
	buffer_store_dword v9, off, s[0:3], 0 offset:12
	buffer_store_dword v5, v1, s[0:3], 0 offen offset:12
	buffer_store_dword v4, v1, s[0:3], 0 offen offset:8
	;; [unrolled: 1-line block ×3, first 2 shown]
	buffer_store_dword v2, v1, s[0:3], 0 offen
.LBB26_228:
	s_or_b64 exec, exec, s[4:5]
.LBB26_229:
	v_accvgpr_read_b32 v18, a44
	buffer_load_dword v2, off, s[0:3], 0
	buffer_load_dword v3, off, s[0:3], 0 offset:4
	buffer_load_dword v4, off, s[0:3], 0 offset:8
	;; [unrolled: 1-line block ×3, first 2 shown]
	buffer_load_dword v6, v18, s[0:3], 0 offen
	buffer_load_dword v7, v18, s[0:3], 0 offen offset:4
	buffer_load_dword v8, v18, s[0:3], 0 offen offset:8
	;; [unrolled: 1-line block ×3, first 2 shown]
	v_accvgpr_read_b32 v1, a43
	buffer_load_dword v11, v1, s[0:3], 0 offen offset:4
	buffer_load_dword v12, v1, s[0:3], 0 offen offset:8
	;; [unrolled: 1-line block ×3, first 2 shown]
	buffer_load_dword v14, v192, s[0:3], 0 offen
	buffer_load_dword v15, v192, s[0:3], 0 offen offset:4
	buffer_load_dword v16, v192, s[0:3], 0 offen offset:8
	buffer_load_dword v10, v1, s[0:3], 0 offen
	buffer_load_dword v17, v192, s[0:3], 0 offen offset:12
	v_accvgpr_read_b32 v0, a39
	buffer_load_dword v19, v0, s[0:3], 0 offen offset:4
	buffer_load_dword v20, v0, s[0:3], 0 offen offset:8
	;; [unrolled: 1-line block ×3, first 2 shown]
                                        ; kill: killed $vgpr1
	v_accvgpr_read_b32 v1, a40
                                        ; kill: killed $vgpr18
	buffer_load_dword v22, v1, s[0:3], 0 offen
	buffer_load_dword v23, v1, s[0:3], 0 offen offset:4
	buffer_load_dword v24, v1, s[0:3], 0 offen offset:8
	buffer_load_dword v18, v0, s[0:3], 0 offen
	buffer_load_dword v25, v1, s[0:3], 0 offen offset:12
	v_accvgpr_read_b32 v37, a42
	v_accvgpr_read_b32 v34, a41
	;; [unrolled: 1-line block ×3, first 2 shown]
	buffer_load_dword v27, v37, s[0:3], 0 offen offset:4
	buffer_load_dword v28, v37, s[0:3], 0 offen offset:8
	;; [unrolled: 1-line block ×3, first 2 shown]
	buffer_load_dword v30, v34, s[0:3], 0 offen
	buffer_load_dword v31, v34, s[0:3], 0 offen offset:4
	buffer_load_dword v32, v34, s[0:3], 0 offen offset:8
	buffer_load_dword v26, v37, s[0:3], 0 offen
	buffer_load_dword v33, v34, s[0:3], 0 offen offset:12
	buffer_load_dword v35, v49, s[0:3], 0 offen offset:4
	;; [unrolled: 1-line block ×3, first 2 shown]
                                        ; kill: killed $vgpr37
                                        ; kill: killed $vgpr1
                                        ; kill: killed $vgpr34
                                        ; kill: killed $vgpr0
	s_nop 0
	buffer_load_dword v37, v49, s[0:3], 0 offen offset:12
	v_accvgpr_read_b32 v1, a35
	v_accvgpr_read_b32 v50, a38
	;; [unrolled: 1-line block ×4, first 2 shown]
	buffer_load_dword v38, v1, s[0:3], 0 offen
	buffer_load_dword v39, v1, s[0:3], 0 offen offset:4
	buffer_load_dword v40, v1, s[0:3], 0 offen offset:8
	buffer_load_dword v34, v49, s[0:3], 0 offen
	buffer_load_dword v41, v1, s[0:3], 0 offen offset:12
	buffer_load_dword v43, v50, s[0:3], 0 offen offset:4
	;; [unrolled: 1-line block ×4, first 2 shown]
	buffer_load_dword v100, v48, s[0:3], 0 offen
	buffer_load_dword v101, v48, s[0:3], 0 offen offset:4
	buffer_load_dword v102, v48, s[0:3], 0 offen offset:8
	buffer_load_dword v42, v50, s[0:3], 0 offen
	buffer_load_dword v103, v48, s[0:3], 0 offen offset:12
	buffer_load_dword v105, v0, s[0:3], 0 offen offset:4
                                        ; kill: killed $vgpr49
                                        ; kill: killed $vgpr50
                                        ; kill: killed $vgpr1
                                        ; kill: killed $vgpr48
	buffer_load_dword v106, v0, s[0:3], 0 offen offset:8
	buffer_load_dword v107, v0, s[0:3], 0 offen offset:12
	v_accvgpr_read_b32 v48, a34
	buffer_load_dword v108, v48, s[0:3], 0 offen
	buffer_load_dword v109, v48, s[0:3], 0 offen offset:4
	buffer_load_dword v110, v48, s[0:3], 0 offen offset:8
	buffer_load_dword v104, v0, s[0:3], 0 offen
	buffer_load_dword v111, v48, s[0:3], 0 offen offset:12
	v_accvgpr_read_b32 v1, a32
                                        ; kill: killed $vgpr0
	v_accvgpr_read_b32 v0, a31
	buffer_load_dword v113, v1, s[0:3], 0 offen offset:4
	buffer_load_dword v114, v1, s[0:3], 0 offen offset:8
	buffer_load_dword v115, v1, s[0:3], 0 offen offset:12
	buffer_load_dword v116, v0, s[0:3], 0 offen
	buffer_load_dword v117, v0, s[0:3], 0 offen offset:4
	buffer_load_dword v118, v0, s[0:3], 0 offen offset:8
	buffer_load_dword v112, v1, s[0:3], 0 offen
	buffer_load_dword v119, v0, s[0:3], 0 offen offset:12
	v_accvgpr_read_b32 v1, a30
	v_accvgpr_read_b32 v0, a29
	buffer_load_dword v121, v1, s[0:3], 0 offen offset:4
	buffer_load_dword v122, v1, s[0:3], 0 offen offset:8
	buffer_load_dword v123, v1, s[0:3], 0 offen offset:12
	buffer_load_dword v124, v0, s[0:3], 0 offen
	buffer_load_dword v125, v0, s[0:3], 0 offen offset:4
	buffer_load_dword v126, v0, s[0:3], 0 offen offset:8
	buffer_load_dword v120, v1, s[0:3], 0 offen
	buffer_load_dword v127, v0, s[0:3], 0 offen offset:12
	v_accvgpr_read_b32 v1, a28
	;; [unrolled: 10-line block ×6, first 2 shown]
	buffer_load_dword v160, v0, s[0:3], 0 offen
	buffer_load_dword v161, v0, s[0:3], 0 offen offset:4
	buffer_load_dword v162, v0, s[0:3], 0 offen offset:8
	;; [unrolled: 1-line block ×3, first 2 shown]
	v_accvgpr_read_b32 v0, a0
	v_accvgpr_read_b32 v1, a1
                                        ; kill: killed $vgpr192
                                        ; kill: killed $vgpr48
	s_waitcnt vmcnt(62)
	global_store_dwordx4 v[46:47], v[2:5], off
	global_store_dwordx4 v[0:1], v[6:9], off
	v_accvgpr_read_b32 v0, a2
	v_accvgpr_read_b32 v1, a3
	global_store_dwordx4 v[0:1], v[10:13], off
	v_accvgpr_read_b32 v0, a4
	v_accvgpr_read_b32 v1, a5
	;; [unrolled: 3-line block ×9, first 2 shown]
	s_waitcnt vmcnt(62)
	global_store_dwordx4 v[0:1], v[42:45], off
	global_store_dwordx4 v[68:69], v[100:103], off
	;; [unrolled: 1-line block ×4, first 2 shown]
	s_waitcnt vmcnt(59)
	global_store_dwordx4 v[74:75], v[112:115], off
	s_waitcnt vmcnt(59)
	global_store_dwordx4 v[76:77], v[116:119], off
	s_waitcnt vmcnt(53)
	global_store_dwordx4 v[78:79], v[120:123], off
	s_waitcnt vmcnt(53)
	global_store_dwordx4 v[80:81], v[124:127], off
	s_waitcnt vmcnt(47)
	global_store_dwordx4 v[82:83], v[128:131], off
	s_waitcnt vmcnt(47)
	global_store_dwordx4 v[84:85], v[132:135], off
	s_waitcnt vmcnt(41)
	global_store_dwordx4 v[86:87], v[136:139], off
	s_waitcnt vmcnt(41)
	global_store_dwordx4 v[88:89], v[140:143], off
	s_waitcnt vmcnt(35)
	global_store_dwordx4 v[90:91], v[144:147], off
	s_waitcnt vmcnt(35)
	global_store_dwordx4 v[92:93], v[148:151], off
	s_waitcnt vmcnt(29)
	global_store_dwordx4 v[94:95], v[152:155], off
	s_waitcnt vmcnt(29)
	global_store_dwordx4 v[96:97], v[156:159], off
	s_waitcnt vmcnt(26)
	global_store_dwordx4 v[98:99], v[160:163], off
	s_endpgm
	.section	.rodata,"a",@progbits
	.p2align	6, 0x0
	.amdhsa_kernel _ZN9rocsolver6v33100L18getri_kernel_smallILi27E19rocblas_complex_numIdEPS3_EEvT1_iilPiilS6_bb
		.amdhsa_group_segment_fixed_size 1896
		.amdhsa_private_segment_fixed_size 448
		.amdhsa_kernarg_size 60
		.amdhsa_user_sgpr_count 10
		.amdhsa_user_sgpr_private_segment_buffer 1
		.amdhsa_user_sgpr_dispatch_ptr 1
		.amdhsa_user_sgpr_queue_ptr 0
		.amdhsa_user_sgpr_kernarg_segment_ptr 1
		.amdhsa_user_sgpr_dispatch_id 0
		.amdhsa_user_sgpr_flat_scratch_init 1
		.amdhsa_user_sgpr_kernarg_preload_length 0
		.amdhsa_user_sgpr_kernarg_preload_offset 0
		.amdhsa_user_sgpr_private_segment_size 0
		.amdhsa_uses_dynamic_stack 0
		.amdhsa_system_sgpr_private_segment_wavefront_offset 1
		.amdhsa_system_sgpr_workgroup_id_x 1
		.amdhsa_system_sgpr_workgroup_id_y 0
		.amdhsa_system_sgpr_workgroup_id_z 0
		.amdhsa_system_sgpr_workgroup_info 0
		.amdhsa_system_vgpr_workitem_id 2
		.amdhsa_next_free_vgpr 301
		.amdhsa_next_free_sgpr 28
		.amdhsa_accum_offset 256
		.amdhsa_reserve_vcc 1
		.amdhsa_reserve_flat_scratch 1
		.amdhsa_float_round_mode_32 0
		.amdhsa_float_round_mode_16_64 0
		.amdhsa_float_denorm_mode_32 3
		.amdhsa_float_denorm_mode_16_64 3
		.amdhsa_dx10_clamp 1
		.amdhsa_ieee_mode 1
		.amdhsa_fp16_overflow 0
		.amdhsa_tg_split 0
		.amdhsa_exception_fp_ieee_invalid_op 0
		.amdhsa_exception_fp_denorm_src 0
		.amdhsa_exception_fp_ieee_div_zero 0
		.amdhsa_exception_fp_ieee_overflow 0
		.amdhsa_exception_fp_ieee_underflow 0
		.amdhsa_exception_fp_ieee_inexact 0
		.amdhsa_exception_int_div_zero 0
	.end_amdhsa_kernel
	.section	.text._ZN9rocsolver6v33100L18getri_kernel_smallILi27E19rocblas_complex_numIdEPS3_EEvT1_iilPiilS6_bb,"axG",@progbits,_ZN9rocsolver6v33100L18getri_kernel_smallILi27E19rocblas_complex_numIdEPS3_EEvT1_iilPiilS6_bb,comdat
.Lfunc_end26:
	.size	_ZN9rocsolver6v33100L18getri_kernel_smallILi27E19rocblas_complex_numIdEPS3_EEvT1_iilPiilS6_bb, .Lfunc_end26-_ZN9rocsolver6v33100L18getri_kernel_smallILi27E19rocblas_complex_numIdEPS3_EEvT1_iilPiilS6_bb
                                        ; -- End function
	.section	.AMDGPU.csdata,"",@progbits
; Kernel info:
; codeLenInByte = 55660
; NumSgprs: 34
; NumVgprs: 256
; NumAgprs: 45
; TotalNumVgprs: 301
; ScratchSize: 448
; MemoryBound: 0
; FloatMode: 240
; IeeeMode: 1
; LDSByteSize: 1896 bytes/workgroup (compile time only)
; SGPRBlocks: 4
; VGPRBlocks: 37
; NumSGPRsForWavesPerEU: 34
; NumVGPRsForWavesPerEU: 301
; AccumOffset: 256
; Occupancy: 1
; WaveLimiterHint : 1
; COMPUTE_PGM_RSRC2:SCRATCH_EN: 1
; COMPUTE_PGM_RSRC2:USER_SGPR: 10
; COMPUTE_PGM_RSRC2:TRAP_HANDLER: 0
; COMPUTE_PGM_RSRC2:TGID_X_EN: 1
; COMPUTE_PGM_RSRC2:TGID_Y_EN: 0
; COMPUTE_PGM_RSRC2:TGID_Z_EN: 0
; COMPUTE_PGM_RSRC2:TIDIG_COMP_CNT: 2
; COMPUTE_PGM_RSRC3_GFX90A:ACCUM_OFFSET: 63
; COMPUTE_PGM_RSRC3_GFX90A:TG_SPLIT: 0
	.section	.text._ZN9rocsolver6v33100L18getri_kernel_smallILi28E19rocblas_complex_numIdEPS3_EEvT1_iilPiilS6_bb,"axG",@progbits,_ZN9rocsolver6v33100L18getri_kernel_smallILi28E19rocblas_complex_numIdEPS3_EEvT1_iilPiilS6_bb,comdat
	.globl	_ZN9rocsolver6v33100L18getri_kernel_smallILi28E19rocblas_complex_numIdEPS3_EEvT1_iilPiilS6_bb ; -- Begin function _ZN9rocsolver6v33100L18getri_kernel_smallILi28E19rocblas_complex_numIdEPS3_EEvT1_iilPiilS6_bb
	.p2align	8
	.type	_ZN9rocsolver6v33100L18getri_kernel_smallILi28E19rocblas_complex_numIdEPS3_EEvT1_iilPiilS6_bb,@function
_ZN9rocsolver6v33100L18getri_kernel_smallILi28E19rocblas_complex_numIdEPS3_EEvT1_iilPiilS6_bb: ; @_ZN9rocsolver6v33100L18getri_kernel_smallILi28E19rocblas_complex_numIdEPS3_EEvT1_iilPiilS6_bb
; %bb.0:
	s_add_u32 flat_scratch_lo, s8, s11
	s_addc_u32 flat_scratch_hi, s9, 0
	s_add_u32 s0, s0, s11
	v_and_b32_e32 v206, 0x3ff, v0
	s_addc_u32 s1, s1, 0
	v_cmp_gt_u32_e32 vcc, 28, v206
	s_and_saveexec_b64 s[8:9], vcc
	s_cbranch_execz .LBB27_126
; %bb.1:
	s_load_dword s8, s[6:7], 0x38
	s_load_dwordx4 s[20:23], s[6:7], 0x10
	s_load_dwordx4 s[12:15], s[6:7], 0x28
                                        ; implicit-def: $sgpr24_sgpr25
	s_waitcnt lgkmcnt(0)
	s_bitcmp1_b32 s8, 8
	s_cselect_b64 s[26:27], -1, 0
	s_ashr_i32 s11, s10, 31
	s_bfe_u32 s9, s8, 0x10008
	s_cmp_eq_u32 s9, 0
	s_cbranch_scc1 .LBB27_3
; %bb.2:
	s_load_dword s16, s[6:7], 0x20
	s_mul_i32 s9, s10, s13
	s_mul_hi_u32 s13, s10, s12
	s_mul_i32 s18, s11, s12
	s_add_i32 s9, s13, s9
	s_add_i32 s13, s9, s18
	s_mul_i32 s12, s10, s12
	s_waitcnt lgkmcnt(0)
	s_ashr_i32 s17, s16, 31
	s_lshl_b64 s[12:13], s[12:13], 2
	s_add_u32 s9, s22, s12
	s_addc_u32 s18, s23, s13
	s_lshl_b64 s[12:13], s[16:17], 2
	s_add_u32 s24, s9, s12
	s_addc_u32 s25, s18, s13
.LBB27_3:
	s_load_dwordx4 s[16:19], s[6:7], 0x0
	s_mul_i32 s6, s10, s21
	s_mul_hi_u32 s7, s10, s20
	s_add_i32 s9, s7, s6
	s_mul_i32 s12, s11, s20
	s_add_i32 s13, s9, s12
	s_mul_i32 s12, s10, s20
	s_waitcnt lgkmcnt(0)
	s_ashr_i32 s7, s18, 31
	s_lshl_b64 s[12:13], s[12:13], 4
	s_mov_b32 s6, s18
	s_add_u32 s9, s16, s12
	s_addc_u32 s12, s17, s13
	s_lshl_b64 s[6:7], s[6:7], 4
	s_add_u32 s6, s9, s6
	s_addc_u32 s7, s12, s7
	s_add_i32 s9, s19, s19
	v_add_u32_e32 v4, s9, v206
	v_ashrrev_i32_e32 v5, 31, v4
	v_add_u32_e32 v2, s19, v4
	v_lshlrev_b64 v[4:5], 4, v[4:5]
	v_mov_b32_e32 v1, s7
	v_add_co_u32_e32 v4, vcc, s6, v4
	v_lshlrev_b32_e32 v12, 4, v206
	v_addc_co_u32_e32 v5, vcc, v1, v5, vcc
	global_load_dwordx4 v[14:17], v12, s[6:7]
	v_add_co_u32_e32 v32, vcc, s6, v12
	s_mov_b32 s12, s19
	s_ashr_i32 s13, s19, 31
	v_addc_co_u32_e32 v33, vcc, 0, v1, vcc
	s_lshl_b64 s[12:13], s[12:13], 4
	v_mov_b32_e32 v1, s13
	v_add_co_u32_e32 v18, vcc, s12, v32
	v_addc_co_u32_e32 v19, vcc, v33, v1, vcc
	v_accvgpr_write_b32 a2, v18
	v_accvgpr_write_b32 a3, v19
	global_load_dwordx4 v[18:21], v[18:19], off
	v_ashrrev_i32_e32 v3, 31, v2
	global_load_dwordx4 v[22:25], v[4:5], off
	v_add_u32_e32 v6, s19, v2
	v_accvgpr_write_b32 a0, v4
	v_lshlrev_b64 v[2:3], 4, v[2:3]
	v_accvgpr_write_b32 a1, v5
	v_mov_b32_e32 v1, s7
	v_add_co_u32_e32 v4, vcc, s6, v2
	v_addc_co_u32_e32 v5, vcc, v1, v3, vcc
	v_ashrrev_i32_e32 v7, 31, v6
	global_load_dwordx4 v[26:29], v[4:5], off
	v_lshlrev_b64 v[2:3], 4, v[6:7]
	v_add_co_u32_e32 v2, vcc, s6, v2
	v_add_u32_e32 v8, s19, v6
	v_addc_co_u32_e32 v3, vcc, v1, v3, vcc
	v_accvgpr_write_b32 a7, v3
	global_load_dwordx4 v[46:49], v[2:3], off
	v_ashrrev_i32_e32 v9, 31, v8
	v_accvgpr_write_b32 a4, v4
	v_accvgpr_write_b32 a6, v2
	v_lshlrev_b64 v[2:3], 4, v[8:9]
	v_accvgpr_write_b32 a5, v5
	v_add_co_u32_e32 v4, vcc, s6, v2
	v_add_u32_e32 v10, s19, v8
	v_addc_co_u32_e32 v5, vcc, v1, v3, vcc
	v_ashrrev_i32_e32 v11, 31, v10
	global_load_dwordx4 v[6:9], v[4:5], off
	v_lshlrev_b64 v[2:3], 4, v[10:11]
	v_add_co_u32_e32 v2, vcc, s6, v2
	v_addc_co_u32_e32 v3, vcc, v1, v3, vcc
	global_load_dwordx4 v[86:89], v[2:3], off
	v_add_u32_e32 v10, s19, v10
	v_add_u32_e32 v34, s19, v10
	;; [unrolled: 1-line block ×19, first 2 shown]
	v_accvgpr_write_b32 a11, v3
	v_add_u32_e32 v84, s19, v82
	v_accvgpr_write_b32 a10, v2
	v_add_u32_e32 v2, s19, v84
	v_ashrrev_i32_e32 v3, 31, v2
	v_lshlrev_b64 v[2:3], 4, v[2:3]
	v_add_co_u32_e32 v2, vcc, s6, v2
	v_addc_co_u32_e32 v3, vcc, v1, v3, vcc
	v_accvgpr_write_b32 a9, v5
	v_accvgpr_write_b32 a13, v3
	v_ashrrev_i32_e32 v11, 31, v10
	v_accvgpr_write_b32 a8, v4
	v_accvgpr_write_b32 a12, v2
	global_load_dwordx4 v[2:5], v[2:3], off
	s_waitcnt vmcnt(7)
	buffer_store_dword v17, off, s[0:3], 0 offset:12
	buffer_store_dword v16, off, s[0:3], 0 offset:8
	;; [unrolled: 1-line block ×3, first 2 shown]
	buffer_store_dword v14, off, s[0:3], 0
	s_waitcnt vmcnt(10)
	buffer_store_dword v21, off, s[0:3], 0 offset:28
	buffer_store_dword v20, off, s[0:3], 0 offset:24
	buffer_store_dword v19, off, s[0:3], 0 offset:20
	buffer_store_dword v18, off, s[0:3], 0 offset:16
	s_waitcnt vmcnt(13)
	buffer_store_dword v25, off, s[0:3], 0 offset:44
	buffer_store_dword v24, off, s[0:3], 0 offset:40
	buffer_store_dword v23, off, s[0:3], 0 offset:36
	buffer_store_dword v22, off, s[0:3], 0 offset:32
	;; [unrolled: 5-line block ×5, first 2 shown]
	s_waitcnt vmcnt(25)
	buffer_store_dword v89, off, s[0:3], 0 offset:108
	v_lshlrev_b64 v[6:7], 4, v[10:11]
	v_add_co_u32_e32 v8, vcc, s6, v6
	v_ashrrev_i32_e32 v35, 31, v34
	v_addc_co_u32_e32 v9, vcc, v1, v7, vcc
	v_lshlrev_b64 v[6:7], 4, v[34:35]
	v_add_co_u32_e32 v10, vcc, s6, v6
	v_addc_co_u32_e32 v11, vcc, v1, v7, vcc
	v_accvgpr_write_b32 a15, v9
	v_accvgpr_write_b32 a17, v11
	v_ashrrev_i32_e32 v37, 31, v36
	v_accvgpr_write_b32 a14, v8
	global_load_dwordx4 v[6:9], v[8:9], off
	v_accvgpr_write_b32 a16, v10
	global_load_dwordx4 v[14:17], v[10:11], off
	v_lshlrev_b64 v[10:11], 4, v[36:37]
	v_add_co_u32_e32 v18, vcc, s6, v10
	v_ashrrev_i32_e32 v39, 31, v38
	v_addc_co_u32_e32 v19, vcc, v1, v11, vcc
	v_lshlrev_b64 v[10:11], 4, v[38:39]
	v_add_co_u32_e32 v10, vcc, s6, v10
	v_addc_co_u32_e32 v11, vcc, v1, v11, vcc
	v_accvgpr_write_b32 a18, v18
	v_accvgpr_write_b32 a21, v11
	v_ashrrev_i32_e32 v41, 31, v40
	v_accvgpr_write_b32 a19, v19
	global_load_dwordx4 v[18:21], v[18:19], off
	v_accvgpr_write_b32 a20, v10
	global_load_dwordx4 v[22:25], v[10:11], off
	;; [unrolled: 14-line block ×3, first 2 shown]
	v_lshlrev_b64 v[10:11], 4, v[58:59]
	v_add_co_u32_e32 v30, vcc, s6, v10
	v_ashrrev_i32_e32 v61, 31, v60
	v_addc_co_u32_e32 v31, vcc, v1, v11, vcc
	v_lshlrev_b64 v[10:11], 4, v[60:61]
	v_add_co_u32_e32 v60, vcc, s6, v10
	v_ashrrev_i32_e32 v63, 31, v62
	v_addc_co_u32_e32 v61, vcc, v1, v11, vcc
	;; [unrolled: 4-line block ×11, first 2 shown]
	v_lshlrev_b64 v[10:11], 4, v[80:81]
	v_add_co_u32_e32 v80, vcc, s6, v10
	global_load_dwordx4 v[94:97], v[30:31], off
	global_load_dwordx4 v[98:101], v[60:61], off
	;; [unrolled: 1-line block ×10, first 2 shown]
	v_addc_co_u32_e32 v81, vcc, v1, v11, vcc
	global_load_dwordx4 v[134:137], v[78:79], off
	global_load_dwordx4 v[138:141], v[80:81], off
	v_ashrrev_i32_e32 v83, 31, v82
	v_lshlrev_b64 v[10:11], 4, v[82:83]
	v_add_co_u32_e32 v82, vcc, s6, v10
	v_addc_co_u32_e32 v83, vcc, v1, v11, vcc
	v_ashrrev_i32_e32 v85, 31, v84
	global_load_dwordx4 v[142:145], v[82:83], off
	v_lshlrev_b64 v[10:11], 4, v[84:85]
	v_add_co_u32_e32 v84, vcc, s6, v10
	v_addc_co_u32_e32 v85, vcc, v1, v11, vcc
	global_load_dwordx4 v[146:149], v[84:85], off
	s_nop 0
	buffer_store_dword v88, off, s[0:3], 0 offset:104
	buffer_store_dword v87, off, s[0:3], 0 offset:100
	buffer_store_dword v86, off, s[0:3], 0 offset:96
	s_waitcnt vmcnt(22)
	buffer_store_dword v9, off, s[0:3], 0 offset:124
	buffer_store_dword v8, off, s[0:3], 0 offset:120
	buffer_store_dword v7, off, s[0:3], 0 offset:116
	buffer_store_dword v6, off, s[0:3], 0 offset:112
	s_waitcnt vmcnt(25)
	buffer_store_dword v17, off, s[0:3], 0 offset:140
	;; [unrolled: 5-line block ×15, first 2 shown]
	buffer_store_dword v128, off, s[0:3], 0 offset:344
	buffer_store_dword v127, off, s[0:3], 0 offset:340
	;; [unrolled: 1-line block ×11, first 2 shown]
	s_waitcnt vmcnt(62)
	buffer_store_dword v141, off, s[0:3], 0 offset:396
	buffer_store_dword v140, off, s[0:3], 0 offset:392
	;; [unrolled: 1-line block ×16, first 2 shown]
	v_mov_b32_e32 v2, 0
	v_add_u32_e32 v3, 32, v2
	v_accvgpr_write_b32 a52, v3
	v_add_u32_e32 v3, 48, v2
	v_accvgpr_write_b32 a53, v3
	;; [unrolled: 2-line block ×25, first 2 shown]
	v_add_u32_e32 v3, 0x1a0, v2
	v_add_u32_e32 v2, 0x1b0, v2
	v_accvgpr_write_b32 a27, v31
	v_accvgpr_write_b32 a29, v3
	;; [unrolled: 1-line block ×3, first 2 shown]
	s_bitcmp0_b32 s8, 0
	s_mov_b64 s[8:9], -1
	s_cbranch_scc1 .LBB27_124
; %bb.4:
	v_cmp_eq_u32_e64 s[6:7], 0, v206
	s_and_saveexec_b64 s[8:9], s[6:7]
	s_cbranch_execz .LBB27_6
; %bb.5:
	v_mov_b32_e32 v2, 0
	ds_write_b32 v2, v2 offset:896
.LBB27_6:
	s_or_b64 exec, exec, s[8:9]
	v_mov_b32_e32 v2, 0
	v_lshl_add_u32 v13, v206, 4, v2
	s_waitcnt lgkmcnt(0)
	; wave barrier
	s_waitcnt lgkmcnt(0)
	buffer_load_dword v2, v13, s[0:3], 0 offen
	buffer_load_dword v3, v13, s[0:3], 0 offen offset:4
	buffer_load_dword v4, v13, s[0:3], 0 offen offset:8
	;; [unrolled: 1-line block ×3, first 2 shown]
	s_waitcnt vmcnt(2)
	v_cmp_eq_f64_e32 vcc, 0, v[2:3]
	s_waitcnt vmcnt(0)
	v_cmp_eq_f64_e64 s[8:9], 0, v[4:5]
	s_and_b64 s[8:9], vcc, s[8:9]
	s_and_saveexec_b64 s[12:13], s[8:9]
	s_cbranch_execz .LBB27_10
; %bb.7:
	v_mov_b32_e32 v2, 0
	ds_read_b32 v4, v2 offset:896
	v_add_u32_e32 v3, 1, v206
	s_waitcnt lgkmcnt(0)
	v_readfirstlane_b32 s8, v4
	s_cmp_eq_u32 s8, 0
	s_cselect_b64 s[16:17], -1, 0
	v_cmp_gt_i32_e32 vcc, s8, v3
	s_or_b64 s[16:17], s[16:17], vcc
	s_and_b64 exec, exec, s[16:17]
	s_cbranch_execz .LBB27_10
; %bb.8:
	s_mov_b64 s[16:17], 0
	v_mov_b32_e32 v4, s8
.LBB27_9:                               ; =>This Inner Loop Header: Depth=1
	ds_cmpst_rtn_b32 v4, v2, v4, v3 offset:896
	s_waitcnt lgkmcnt(0)
	v_cmp_ne_u32_e32 vcc, 0, v4
	v_cmp_le_i32_e64 s[8:9], v4, v3
	s_and_b64 s[8:9], vcc, s[8:9]
	s_and_b64 s[8:9], exec, s[8:9]
	s_or_b64 s[16:17], s[8:9], s[16:17]
	s_andn2_b64 exec, exec, s[16:17]
	s_cbranch_execnz .LBB27_9
.LBB27_10:
	s_or_b64 exec, exec, s[12:13]
	v_mov_b32_e32 v3, 0
	s_waitcnt lgkmcnt(0)
	; wave barrier
	ds_read_b32 v2, v3 offset:896
	s_and_saveexec_b64 s[8:9], s[6:7]
	s_cbranch_execz .LBB27_12
; %bb.11:
	s_lshl_b64 s[12:13], s[10:11], 2
	s_add_u32 s12, s14, s12
	s_addc_u32 s13, s15, s13
	s_waitcnt lgkmcnt(0)
	global_store_dword v3, v2, s[12:13]
.LBB27_12:
	s_or_b64 exec, exec, s[8:9]
	s_waitcnt lgkmcnt(0)
	v_cmp_ne_u32_e32 vcc, 0, v2
	s_mov_b64 s[8:9], 0
	s_cbranch_vccnz .LBB27_124
; %bb.13:
	buffer_load_dword v7, v13, s[0:3], 0 offen offset:4
	buffer_load_dword v6, v13, s[0:3], 0 offen
	buffer_load_dword v9, v13, s[0:3], 0 offen offset:12
	buffer_load_dword v8, v13, s[0:3], 0 offen offset:8
                                        ; implicit-def: $vgpr10_vgpr11
	s_waitcnt vmcnt(3)
	v_xor_b32_e32 v3, 0x80000000, v7
	s_waitcnt vmcnt(2)
	v_cmp_gt_f64_e32 vcc, 0, v[6:7]
	s_waitcnt vmcnt(1)
	v_xor_b32_e32 v4, 0x80000000, v9
	v_cndmask_b32_e32 v3, v7, v3, vcc
	s_waitcnt vmcnt(0)
	v_cmp_gt_f64_e32 vcc, 0, v[8:9]
	v_mov_b32_e32 v2, v6
	v_cndmask_b32_e32 v5, v9, v4, vcc
	v_mov_b32_e32 v4, v8
	v_cmp_ngt_f64_e32 vcc, v[2:3], v[4:5]
                                        ; implicit-def: $vgpr4_vgpr5
	s_and_saveexec_b64 s[8:9], vcc
	s_xor_b64 s[8:9], exec, s[8:9]
	s_cbranch_execz .LBB27_15
; %bb.14:
	v_div_scale_f64 v[2:3], s[12:13], v[8:9], v[8:9], v[6:7]
	v_rcp_f64_e32 v[4:5], v[2:3]
	v_div_scale_f64 v[10:11], vcc, v[6:7], v[8:9], v[6:7]
	v_fma_f64 v[14:15], -v[2:3], v[4:5], 1.0
	v_fmac_f64_e32 v[4:5], v[4:5], v[14:15]
	v_fma_f64 v[14:15], -v[2:3], v[4:5], 1.0
	v_fmac_f64_e32 v[4:5], v[4:5], v[14:15]
	v_mul_f64 v[14:15], v[10:11], v[4:5]
	v_fma_f64 v[2:3], -v[2:3], v[14:15], v[10:11]
	v_div_fmas_f64 v[2:3], v[2:3], v[4:5], v[14:15]
	v_div_fixup_f64 v[2:3], v[2:3], v[8:9], v[6:7]
	v_fmac_f64_e32 v[8:9], v[6:7], v[2:3]
	v_div_scale_f64 v[4:5], s[12:13], v[8:9], v[8:9], 1.0
	v_rcp_f64_e32 v[6:7], v[4:5]
	v_fma_f64 v[10:11], -v[4:5], v[6:7], 1.0
	v_fmac_f64_e32 v[6:7], v[6:7], v[10:11]
	v_fma_f64 v[10:11], -v[4:5], v[6:7], 1.0
	v_fmac_f64_e32 v[6:7], v[6:7], v[10:11]
	v_div_scale_f64 v[10:11], vcc, 1.0, v[8:9], 1.0
	v_mul_f64 v[14:15], v[10:11], v[6:7]
	v_fma_f64 v[4:5], -v[4:5], v[14:15], v[10:11]
	s_nop 1
	v_div_fmas_f64 v[4:5], v[4:5], v[6:7], v[14:15]
	v_div_fixup_f64 v[4:5], v[4:5], v[8:9], 1.0
	v_mul_f64 v[10:11], v[2:3], v[4:5]
	v_xor_b32_e32 v5, 0x80000000, v5
	v_xor_b32_e32 v3, 0x80000000, v11
	v_mov_b32_e32 v2, v10
                                        ; implicit-def: $vgpr6_vgpr7
                                        ; implicit-def: $vgpr8_vgpr9
.LBB27_15:
	s_andn2_saveexec_b64 s[8:9], s[8:9]
	s_cbranch_execz .LBB27_17
; %bb.16:
	v_div_scale_f64 v[2:3], s[12:13], v[6:7], v[6:7], v[8:9]
	v_rcp_f64_e32 v[4:5], v[2:3]
	v_div_scale_f64 v[10:11], vcc, v[8:9], v[6:7], v[8:9]
	v_fma_f64 v[14:15], -v[2:3], v[4:5], 1.0
	v_fmac_f64_e32 v[4:5], v[4:5], v[14:15]
	v_fma_f64 v[14:15], -v[2:3], v[4:5], 1.0
	v_fmac_f64_e32 v[4:5], v[4:5], v[14:15]
	v_mul_f64 v[14:15], v[10:11], v[4:5]
	v_fma_f64 v[2:3], -v[2:3], v[14:15], v[10:11]
	v_div_fmas_f64 v[2:3], v[2:3], v[4:5], v[14:15]
	v_div_fixup_f64 v[4:5], v[2:3], v[6:7], v[8:9]
	v_fmac_f64_e32 v[6:7], v[8:9], v[4:5]
	v_div_scale_f64 v[2:3], s[12:13], v[6:7], v[6:7], 1.0
	v_rcp_f64_e32 v[8:9], v[2:3]
	v_fma_f64 v[10:11], -v[2:3], v[8:9], 1.0
	v_fmac_f64_e32 v[8:9], v[8:9], v[10:11]
	v_fma_f64 v[10:11], -v[2:3], v[8:9], 1.0
	v_fmac_f64_e32 v[8:9], v[8:9], v[10:11]
	v_div_scale_f64 v[10:11], vcc, 1.0, v[6:7], 1.0
	v_mul_f64 v[14:15], v[10:11], v[8:9]
	v_fma_f64 v[2:3], -v[2:3], v[14:15], v[10:11]
	s_nop 1
	v_div_fmas_f64 v[2:3], v[2:3], v[8:9], v[14:15]
	v_div_fixup_f64 v[10:11], v[2:3], v[6:7], 1.0
	v_xor_b32_e32 v3, 0x80000000, v11
	v_mov_b32_e32 v2, v10
	v_mul_f64 v[4:5], v[4:5], -v[10:11]
.LBB27_17:
	s_or_b64 exec, exec, s[8:9]
	buffer_store_dword v11, v13, s[0:3], 0 offen offset:4
	buffer_store_dword v10, v13, s[0:3], 0 offen
	buffer_store_dword v5, v13, s[0:3], 0 offen offset:12
	buffer_store_dword v4, v13, s[0:3], 0 offen offset:8
	buffer_load_dword v11, v1, s[0:3], 0 offen offset:12
	s_nop 0
	buffer_load_dword v10, v1, s[0:3], 0 offen offset:8
	buffer_load_dword v9, v1, s[0:3], 0 offen offset:4
	buffer_load_dword v8, v1, s[0:3], 0 offen
	v_xor_b32_e32 v5, 0x80000000, v5
	v_add_u32_e32 v6, 0x1c0, v12
	ds_write_b128 v12, v[2:5]
	s_waitcnt vmcnt(0)
	ds_write_b128 v12, v[8:11] offset:448
	s_waitcnt lgkmcnt(0)
	; wave barrier
	s_waitcnt lgkmcnt(0)
	s_and_saveexec_b64 s[8:9], s[6:7]
	s_cbranch_execz .LBB27_19
; %bb.18:
	buffer_load_dword v14, v13, s[0:3], 0 offen offset:8
	buffer_load_dword v15, v13, s[0:3], 0 offen offset:12
	buffer_load_dword v16, v13, s[0:3], 0 offen
	buffer_load_dword v17, v13, s[0:3], 0 offen offset:4
	ds_read_b128 v[2:5], v6
	v_mov_b32_e32 v7, 0
	ds_read_b128 v[8:11], v7 offset:16
	s_waitcnt vmcnt(2) lgkmcnt(1)
	v_mul_f64 v[18:19], v[4:5], v[14:15]
	v_mul_f64 v[14:15], v[2:3], v[14:15]
	s_waitcnt vmcnt(0)
	v_fmac_f64_e32 v[14:15], v[4:5], v[16:17]
	v_fma_f64 v[2:3], v[2:3], v[16:17], -v[18:19]
	v_add_f64 v[4:5], v[14:15], 0
	v_add_f64 v[2:3], v[2:3], 0
	s_waitcnt lgkmcnt(0)
	v_mul_f64 v[14:15], v[4:5], v[10:11]
	v_mul_f64 v[10:11], v[2:3], v[10:11]
	v_fma_f64 v[2:3], v[2:3], v[8:9], -v[14:15]
	v_fmac_f64_e32 v[10:11], v[4:5], v[8:9]
	buffer_store_dword v2, off, s[0:3], 0 offset:16
	buffer_store_dword v3, off, s[0:3], 0 offset:20
	;; [unrolled: 1-line block ×4, first 2 shown]
.LBB27_19:
	s_or_b64 exec, exec, s[8:9]
	v_accvgpr_read_b32 v5, a52
	s_waitcnt lgkmcnt(0)
	; wave barrier
	buffer_load_dword v2, v5, s[0:3], 0 offen
	buffer_load_dword v3, v5, s[0:3], 0 offen offset:4
	buffer_load_dword v4, v5, s[0:3], 0 offen offset:8
	s_nop 0
	buffer_load_dword v5, v5, s[0:3], 0 offen offset:12
	v_cmp_gt_u32_e32 vcc, 2, v206
	s_waitcnt vmcnt(0)
	ds_write_b128 v6, v[2:5]
	s_waitcnt lgkmcnt(0)
	; wave barrier
	s_waitcnt lgkmcnt(0)
	s_and_saveexec_b64 s[8:9], vcc
	s_cbranch_execz .LBB27_23
; %bb.20:
	buffer_load_dword v8, v13, s[0:3], 0 offen offset:8
	buffer_load_dword v9, v13, s[0:3], 0 offen offset:12
	buffer_load_dword v10, v13, s[0:3], 0 offen
	buffer_load_dword v11, v13, s[0:3], 0 offen offset:4
	ds_read_b128 v[2:5], v6
	s_waitcnt vmcnt(2) lgkmcnt(0)
	v_mul_f64 v[14:15], v[4:5], v[8:9]
	v_mul_f64 v[8:9], v[2:3], v[8:9]
	s_waitcnt vmcnt(0)
	v_fma_f64 v[2:3], v[2:3], v[10:11], -v[14:15]
	v_fmac_f64_e32 v[8:9], v[4:5], v[10:11]
	v_add_f64 v[4:5], v[2:3], 0
	v_add_f64 v[2:3], v[8:9], 0
	s_and_saveexec_b64 s[12:13], s[6:7]
	s_cbranch_execz .LBB27_22
; %bb.21:
	buffer_load_dword v14, off, s[0:3], 0 offset:24
	buffer_load_dword v15, off, s[0:3], 0 offset:28
	buffer_load_dword v16, off, s[0:3], 0 offset:16
	buffer_load_dword v17, off, s[0:3], 0 offset:20
	v_mov_b32_e32 v7, 0
	ds_read_b128 v[8:11], v7 offset:464
	s_waitcnt vmcnt(2) lgkmcnt(0)
	v_mul_f64 v[18:19], v[8:9], v[14:15]
	v_mul_f64 v[14:15], v[10:11], v[14:15]
	s_waitcnt vmcnt(0)
	v_fmac_f64_e32 v[18:19], v[10:11], v[16:17]
	v_fma_f64 v[8:9], v[8:9], v[16:17], -v[14:15]
	v_add_f64 v[2:3], v[2:3], v[18:19]
	v_add_f64 v[4:5], v[4:5], v[8:9]
.LBB27_22:
	s_or_b64 exec, exec, s[12:13]
	v_mov_b32_e32 v7, 0
	ds_read_b128 v[8:11], v7 offset:32
	s_waitcnt lgkmcnt(0)
	v_mul_f64 v[14:15], v[2:3], v[10:11]
	v_mul_f64 v[10:11], v[4:5], v[10:11]
	v_fma_f64 v[4:5], v[4:5], v[8:9], -v[14:15]
	v_fmac_f64_e32 v[10:11], v[2:3], v[8:9]
	buffer_store_dword v5, off, s[0:3], 0 offset:36
	buffer_store_dword v4, off, s[0:3], 0 offset:32
	;; [unrolled: 1-line block ×4, first 2 shown]
.LBB27_23:
	s_or_b64 exec, exec, s[8:9]
	v_accvgpr_read_b32 v5, a53
	s_waitcnt lgkmcnt(0)
	; wave barrier
	buffer_load_dword v2, v5, s[0:3], 0 offen
	buffer_load_dword v3, v5, s[0:3], 0 offen offset:4
	buffer_load_dword v4, v5, s[0:3], 0 offen offset:8
	s_nop 0
	buffer_load_dword v5, v5, s[0:3], 0 offen offset:12
	v_cmp_gt_u32_e32 vcc, 3, v206
	v_add_u32_e32 v7, -1, v206
	s_waitcnt vmcnt(0)
	ds_write_b128 v6, v[2:5]
	s_waitcnt lgkmcnt(0)
	; wave barrier
	s_waitcnt lgkmcnt(0)
	s_and_saveexec_b64 s[6:7], vcc
	s_cbranch_execz .LBB27_27
; %bb.24:
	v_pk_mov_b32 v[2:3], 0, 0
	v_add_u32_e32 v8, -1, v206
	v_add_u32_e32 v9, 0x1c0, v12
	v_add_u32_e32 v10, 0, v12
	s_mov_b64 s[8:9], 0
	v_pk_mov_b32 v[4:5], v[2:3], v[2:3] op_sel:[0,1]
.LBB27_25:                              ; =>This Inner Loop Header: Depth=1
	buffer_load_dword v18, v10, s[0:3], 0 offen offset:8
	buffer_load_dword v19, v10, s[0:3], 0 offen offset:12
	buffer_load_dword v20, v10, s[0:3], 0 offen
	buffer_load_dword v21, v10, s[0:3], 0 offen offset:4
	ds_read_b128 v[14:17], v9
	v_add_u32_e32 v8, 1, v8
	v_cmp_lt_u32_e32 vcc, 1, v8
	v_add_u32_e32 v9, 16, v9
	v_add_u32_e32 v10, 16, v10
	s_or_b64 s[8:9], vcc, s[8:9]
	s_waitcnt vmcnt(2) lgkmcnt(0)
	v_mul_f64 v[22:23], v[16:17], v[18:19]
	v_mul_f64 v[18:19], v[14:15], v[18:19]
	s_waitcnt vmcnt(0)
	v_fma_f64 v[14:15], v[14:15], v[20:21], -v[22:23]
	v_fmac_f64_e32 v[18:19], v[16:17], v[20:21]
	v_add_f64 v[4:5], v[4:5], v[14:15]
	v_add_f64 v[2:3], v[2:3], v[18:19]
	s_andn2_b64 exec, exec, s[8:9]
	s_cbranch_execnz .LBB27_25
; %bb.26:
	s_or_b64 exec, exec, s[8:9]
	v_mov_b32_e32 v8, 0
	ds_read_b128 v[8:11], v8 offset:48
	s_waitcnt lgkmcnt(0)
	v_mul_f64 v[14:15], v[2:3], v[10:11]
	v_mul_f64 v[10:11], v[4:5], v[10:11]
	v_fma_f64 v[4:5], v[4:5], v[8:9], -v[14:15]
	v_fmac_f64_e32 v[10:11], v[2:3], v[8:9]
	buffer_store_dword v5, off, s[0:3], 0 offset:52
	buffer_store_dword v4, off, s[0:3], 0 offset:48
	buffer_store_dword v11, off, s[0:3], 0 offset:60
	buffer_store_dword v10, off, s[0:3], 0 offset:56
.LBB27_27:
	s_or_b64 exec, exec, s[6:7]
	v_accvgpr_read_b32 v5, a50
	s_waitcnt lgkmcnt(0)
	; wave barrier
	buffer_load_dword v2, v5, s[0:3], 0 offen
	buffer_load_dword v3, v5, s[0:3], 0 offen offset:4
	buffer_load_dword v4, v5, s[0:3], 0 offen offset:8
	s_nop 0
	buffer_load_dword v5, v5, s[0:3], 0 offen offset:12
	v_cmp_gt_u32_e32 vcc, 4, v206
	s_waitcnt vmcnt(0)
	ds_write_b128 v6, v[2:5]
	s_waitcnt lgkmcnt(0)
	; wave barrier
	s_waitcnt lgkmcnt(0)
	s_and_saveexec_b64 s[6:7], vcc
	s_cbranch_execz .LBB27_31
; %bb.28:
	v_pk_mov_b32 v[2:3], 0, 0
	v_add_u32_e32 v8, -1, v206
	v_add_u32_e32 v9, 0x1c0, v12
	v_add_u32_e32 v10, 0, v12
	s_mov_b64 s[8:9], 0
	v_pk_mov_b32 v[4:5], v[2:3], v[2:3] op_sel:[0,1]
.LBB27_29:                              ; =>This Inner Loop Header: Depth=1
	buffer_load_dword v18, v10, s[0:3], 0 offen offset:8
	buffer_load_dword v19, v10, s[0:3], 0 offen offset:12
	buffer_load_dword v20, v10, s[0:3], 0 offen
	buffer_load_dword v21, v10, s[0:3], 0 offen offset:4
	ds_read_b128 v[14:17], v9
	v_add_u32_e32 v8, 1, v8
	v_cmp_lt_u32_e32 vcc, 2, v8
	v_add_u32_e32 v9, 16, v9
	v_add_u32_e32 v10, 16, v10
	s_or_b64 s[8:9], vcc, s[8:9]
	s_waitcnt vmcnt(2) lgkmcnt(0)
	v_mul_f64 v[22:23], v[16:17], v[18:19]
	v_mul_f64 v[18:19], v[14:15], v[18:19]
	s_waitcnt vmcnt(0)
	v_fma_f64 v[14:15], v[14:15], v[20:21], -v[22:23]
	v_fmac_f64_e32 v[18:19], v[16:17], v[20:21]
	v_add_f64 v[4:5], v[4:5], v[14:15]
	v_add_f64 v[2:3], v[2:3], v[18:19]
	s_andn2_b64 exec, exec, s[8:9]
	s_cbranch_execnz .LBB27_29
; %bb.30:
	s_or_b64 exec, exec, s[8:9]
	v_mov_b32_e32 v8, 0
	ds_read_b128 v[8:11], v8 offset:64
	s_waitcnt lgkmcnt(0)
	v_mul_f64 v[14:15], v[2:3], v[10:11]
	v_mul_f64 v[10:11], v[4:5], v[10:11]
	v_fma_f64 v[4:5], v[4:5], v[8:9], -v[14:15]
	v_fmac_f64_e32 v[10:11], v[2:3], v[8:9]
	buffer_store_dword v5, off, s[0:3], 0 offset:68
	buffer_store_dword v4, off, s[0:3], 0 offset:64
	buffer_store_dword v11, off, s[0:3], 0 offset:76
	buffer_store_dword v10, off, s[0:3], 0 offset:72
.LBB27_31:
	s_or_b64 exec, exec, s[6:7]
	v_accvgpr_read_b32 v5, a49
	s_waitcnt lgkmcnt(0)
	; wave barrier
	buffer_load_dword v2, v5, s[0:3], 0 offen
	buffer_load_dword v3, v5, s[0:3], 0 offen offset:4
	buffer_load_dword v4, v5, s[0:3], 0 offen offset:8
	s_nop 0
	buffer_load_dword v5, v5, s[0:3], 0 offen offset:12
	v_cmp_gt_u32_e32 vcc, 5, v206
	;; [unrolled: 59-line block ×19, first 2 shown]
	s_waitcnt vmcnt(0)
	ds_write_b128 v6, v[2:5]
	s_waitcnt lgkmcnt(0)
	; wave barrier
	s_waitcnt lgkmcnt(0)
	s_and_saveexec_b64 s[6:7], vcc
	s_cbranch_execz .LBB27_103
; %bb.100:
	v_pk_mov_b32 v[2:3], 0, 0
	v_add_u32_e32 v8, -1, v206
	v_add_u32_e32 v9, 0x1c0, v12
	v_add_u32_e32 v10, 0, v12
	s_mov_b64 s[8:9], 0
	v_pk_mov_b32 v[4:5], v[2:3], v[2:3] op_sel:[0,1]
.LBB27_101:                             ; =>This Inner Loop Header: Depth=1
	buffer_load_dword v18, v10, s[0:3], 0 offen offset:8
	buffer_load_dword v19, v10, s[0:3], 0 offen offset:12
	buffer_load_dword v20, v10, s[0:3], 0 offen
	buffer_load_dword v21, v10, s[0:3], 0 offen offset:4
	ds_read_b128 v[14:17], v9
	v_add_u32_e32 v8, 1, v8
	v_cmp_lt_u32_e32 vcc, 20, v8
	v_add_u32_e32 v9, 16, v9
	v_add_u32_e32 v10, 16, v10
	s_or_b64 s[8:9], vcc, s[8:9]
	s_waitcnt vmcnt(2) lgkmcnt(0)
	v_mul_f64 v[22:23], v[16:17], v[18:19]
	v_mul_f64 v[18:19], v[14:15], v[18:19]
	s_waitcnt vmcnt(0)
	v_fma_f64 v[14:15], v[14:15], v[20:21], -v[22:23]
	v_fmac_f64_e32 v[18:19], v[16:17], v[20:21]
	v_add_f64 v[4:5], v[4:5], v[14:15]
	v_add_f64 v[2:3], v[2:3], v[18:19]
	s_andn2_b64 exec, exec, s[8:9]
	s_cbranch_execnz .LBB27_101
; %bb.102:
	s_or_b64 exec, exec, s[8:9]
	v_mov_b32_e32 v8, 0
	ds_read_b128 v[8:11], v8 offset:352
	s_waitcnt lgkmcnt(0)
	v_mul_f64 v[14:15], v[2:3], v[10:11]
	v_mul_f64 v[10:11], v[4:5], v[10:11]
	v_fma_f64 v[4:5], v[4:5], v[8:9], -v[14:15]
	v_fmac_f64_e32 v[10:11], v[2:3], v[8:9]
	buffer_store_dword v5, off, s[0:3], 0 offset:356
	buffer_store_dword v4, off, s[0:3], 0 offset:352
	buffer_store_dword v11, off, s[0:3], 0 offset:364
	buffer_store_dword v10, off, s[0:3], 0 offset:360
.LBB27_103:
	s_or_b64 exec, exec, s[6:7]
	v_accvgpr_read_b32 v5, a32
	s_waitcnt lgkmcnt(0)
	; wave barrier
	buffer_load_dword v2, v5, s[0:3], 0 offen
	buffer_load_dword v3, v5, s[0:3], 0 offen offset:4
	buffer_load_dword v4, v5, s[0:3], 0 offen offset:8
	s_nop 0
	buffer_load_dword v5, v5, s[0:3], 0 offen offset:12
	v_cmp_gt_u32_e32 vcc, 23, v206
	s_waitcnt vmcnt(0)
	ds_write_b128 v6, v[2:5]
	s_waitcnt lgkmcnt(0)
	; wave barrier
	s_waitcnt lgkmcnt(0)
	s_and_saveexec_b64 s[6:7], vcc
	s_cbranch_execz .LBB27_107
; %bb.104:
	v_pk_mov_b32 v[2:3], 0, 0
	v_add_u32_e32 v8, -1, v206
	v_add_u32_e32 v9, 0x1c0, v12
	v_add_u32_e32 v10, 0, v12
	s_mov_b64 s[8:9], 0
	v_pk_mov_b32 v[4:5], v[2:3], v[2:3] op_sel:[0,1]
.LBB27_105:                             ; =>This Inner Loop Header: Depth=1
	buffer_load_dword v18, v10, s[0:3], 0 offen offset:8
	buffer_load_dword v19, v10, s[0:3], 0 offen offset:12
	buffer_load_dword v20, v10, s[0:3], 0 offen
	buffer_load_dword v21, v10, s[0:3], 0 offen offset:4
	ds_read_b128 v[14:17], v9
	v_add_u32_e32 v8, 1, v8
	v_cmp_lt_u32_e32 vcc, 21, v8
	v_add_u32_e32 v9, 16, v9
	v_add_u32_e32 v10, 16, v10
	s_or_b64 s[8:9], vcc, s[8:9]
	s_waitcnt vmcnt(2) lgkmcnt(0)
	v_mul_f64 v[22:23], v[16:17], v[18:19]
	v_mul_f64 v[18:19], v[14:15], v[18:19]
	s_waitcnt vmcnt(0)
	v_fma_f64 v[14:15], v[14:15], v[20:21], -v[22:23]
	v_fmac_f64_e32 v[18:19], v[16:17], v[20:21]
	v_add_f64 v[4:5], v[4:5], v[14:15]
	v_add_f64 v[2:3], v[2:3], v[18:19]
	s_andn2_b64 exec, exec, s[8:9]
	s_cbranch_execnz .LBB27_105
; %bb.106:
	s_or_b64 exec, exec, s[8:9]
	v_mov_b32_e32 v8, 0
	ds_read_b128 v[8:11], v8 offset:368
	s_waitcnt lgkmcnt(0)
	v_mul_f64 v[14:15], v[2:3], v[10:11]
	v_mul_f64 v[10:11], v[4:5], v[10:11]
	v_fma_f64 v[4:5], v[4:5], v[8:9], -v[14:15]
	v_fmac_f64_e32 v[10:11], v[2:3], v[8:9]
	buffer_store_dword v5, off, s[0:3], 0 offset:372
	buffer_store_dword v4, off, s[0:3], 0 offset:368
	buffer_store_dword v11, off, s[0:3], 0 offset:380
	buffer_store_dword v10, off, s[0:3], 0 offset:376
.LBB27_107:
	s_or_b64 exec, exec, s[6:7]
	v_accvgpr_read_b32 v5, a31
	s_waitcnt lgkmcnt(0)
	; wave barrier
	buffer_load_dword v2, v5, s[0:3], 0 offen
	buffer_load_dword v3, v5, s[0:3], 0 offen offset:4
	buffer_load_dword v4, v5, s[0:3], 0 offen offset:8
	s_nop 0
	buffer_load_dword v5, v5, s[0:3], 0 offen offset:12
	v_cmp_gt_u32_e32 vcc, 24, v206
	;; [unrolled: 59-line block ×4, first 2 shown]
	s_waitcnt vmcnt(0)
	ds_write_b128 v6, v[2:5]
	s_waitcnt lgkmcnt(0)
	; wave barrier
	s_waitcnt lgkmcnt(0)
	s_and_saveexec_b64 s[6:7], vcc
	s_cbranch_execz .LBB27_119
; %bb.116:
	v_pk_mov_b32 v[2:3], 0, 0
	v_add_u32_e32 v8, -1, v206
	v_add_u32_e32 v9, 0x1c0, v12
	v_add_u32_e32 v10, 0, v12
	s_mov_b64 s[8:9], 0
	v_pk_mov_b32 v[4:5], v[2:3], v[2:3] op_sel:[0,1]
.LBB27_117:                             ; =>This Inner Loop Header: Depth=1
	buffer_load_dword v18, v10, s[0:3], 0 offen offset:8
	buffer_load_dword v19, v10, s[0:3], 0 offen offset:12
	buffer_load_dword v20, v10, s[0:3], 0 offen
	buffer_load_dword v21, v10, s[0:3], 0 offen offset:4
	ds_read_b128 v[14:17], v9
	v_add_u32_e32 v8, 1, v8
	v_cmp_lt_u32_e32 vcc, 24, v8
	v_add_u32_e32 v9, 16, v9
	v_add_u32_e32 v10, 16, v10
	s_or_b64 s[8:9], vcc, s[8:9]
	s_waitcnt vmcnt(2) lgkmcnt(0)
	v_mul_f64 v[22:23], v[16:17], v[18:19]
	v_mul_f64 v[18:19], v[14:15], v[18:19]
	s_waitcnt vmcnt(0)
	v_fma_f64 v[14:15], v[14:15], v[20:21], -v[22:23]
	v_fmac_f64_e32 v[18:19], v[16:17], v[20:21]
	v_add_f64 v[4:5], v[4:5], v[14:15]
	v_add_f64 v[2:3], v[2:3], v[18:19]
	s_andn2_b64 exec, exec, s[8:9]
	s_cbranch_execnz .LBB27_117
; %bb.118:
	s_or_b64 exec, exec, s[8:9]
	v_mov_b32_e32 v8, 0
	ds_read_b128 v[8:11], v8 offset:416
	s_waitcnt lgkmcnt(0)
	v_mul_f64 v[14:15], v[2:3], v[10:11]
	v_mul_f64 v[10:11], v[4:5], v[10:11]
	v_fma_f64 v[4:5], v[4:5], v[8:9], -v[14:15]
	v_fmac_f64_e32 v[10:11], v[2:3], v[8:9]
	buffer_store_dword v5, off, s[0:3], 0 offset:420
	buffer_store_dword v4, off, s[0:3], 0 offset:416
	;; [unrolled: 1-line block ×4, first 2 shown]
.LBB27_119:
	s_or_b64 exec, exec, s[6:7]
	v_accvgpr_read_b32 v5, a28
	s_waitcnt lgkmcnt(0)
	; wave barrier
	buffer_load_dword v2, v5, s[0:3], 0 offen
	buffer_load_dword v3, v5, s[0:3], 0 offen offset:4
	buffer_load_dword v4, v5, s[0:3], 0 offen offset:8
	s_nop 0
	buffer_load_dword v5, v5, s[0:3], 0 offen offset:12
	v_cmp_ne_u32_e32 vcc, 27, v206
	s_waitcnt vmcnt(0)
	ds_write_b128 v6, v[2:5]
	s_waitcnt lgkmcnt(0)
	; wave barrier
	s_waitcnt lgkmcnt(0)
	s_and_saveexec_b64 s[6:7], vcc
	s_cbranch_execz .LBB27_123
; %bb.120:
	v_pk_mov_b32 v[2:3], 0, 0
	v_add_u32_e32 v6, 0x1c0, v12
	v_add_u32_e32 v8, 0, v12
	s_mov_b64 s[8:9], 0
	v_pk_mov_b32 v[4:5], v[2:3], v[2:3] op_sel:[0,1]
.LBB27_121:                             ; =>This Inner Loop Header: Depth=1
	buffer_load_dword v14, v8, s[0:3], 0 offen offset:8
	buffer_load_dword v15, v8, s[0:3], 0 offen offset:12
	buffer_load_dword v16, v8, s[0:3], 0 offen
	buffer_load_dword v17, v8, s[0:3], 0 offen offset:4
	ds_read_b128 v[10:13], v6
	v_add_u32_e32 v7, 1, v7
	v_cmp_lt_u32_e32 vcc, 25, v7
	v_add_u32_e32 v6, 16, v6
	v_add_u32_e32 v8, 16, v8
	s_or_b64 s[8:9], vcc, s[8:9]
	s_waitcnt vmcnt(2) lgkmcnt(0)
	v_mul_f64 v[18:19], v[12:13], v[14:15]
	v_mul_f64 v[14:15], v[10:11], v[14:15]
	s_waitcnt vmcnt(0)
	v_fma_f64 v[10:11], v[10:11], v[16:17], -v[18:19]
	v_fmac_f64_e32 v[14:15], v[12:13], v[16:17]
	v_add_f64 v[4:5], v[4:5], v[10:11]
	v_add_f64 v[2:3], v[2:3], v[14:15]
	s_andn2_b64 exec, exec, s[8:9]
	s_cbranch_execnz .LBB27_121
; %bb.122:
	s_or_b64 exec, exec, s[8:9]
	v_mov_b32_e32 v6, 0
	ds_read_b128 v[6:9], v6 offset:432
	s_waitcnt lgkmcnt(0)
	v_mul_f64 v[10:11], v[2:3], v[8:9]
	v_mul_f64 v[8:9], v[4:5], v[8:9]
	v_fma_f64 v[4:5], v[4:5], v[6:7], -v[10:11]
	v_fmac_f64_e32 v[8:9], v[2:3], v[6:7]
	buffer_store_dword v5, off, s[0:3], 0 offset:436
	buffer_store_dword v4, off, s[0:3], 0 offset:432
	;; [unrolled: 1-line block ×4, first 2 shown]
.LBB27_123:
	s_or_b64 exec, exec, s[6:7]
	s_mov_b64 s[8:9], -1
	s_waitcnt lgkmcnt(0)
	; wave barrier
.LBB27_124:
	s_and_b64 vcc, exec, s[8:9]
	s_cbranch_vccz .LBB27_126
; %bb.125:
	s_lshl_b64 s[6:7], s[10:11], 2
	s_add_u32 s6, s14, s6
	s_addc_u32 s7, s15, s7
	v_mov_b32_e32 v2, 0
	global_load_dword v2, v2, s[6:7]
	s_waitcnt vmcnt(0)
	v_cmp_ne_u32_e32 vcc, 0, v2
	s_cbranch_vccz .LBB27_127
.LBB27_126:
	s_endpgm
.LBB27_127:
	v_mov_b32_e32 v2, 0x1c0
	v_lshl_add_u32 v207, v206, 4, v2
	v_cmp_eq_u32_e32 vcc, 27, v206
	s_and_saveexec_b64 s[6:7], vcc
	s_cbranch_execz .LBB27_129
; %bb.128:
	v_accvgpr_read_b32 v5, a29
	buffer_load_dword v2, v5, s[0:3], 0 offen
	buffer_load_dword v3, v5, s[0:3], 0 offen offset:4
	buffer_load_dword v4, v5, s[0:3], 0 offen offset:8
	s_nop 0
	buffer_load_dword v5, v5, s[0:3], 0 offen offset:12
	v_mov_b32_e32 v6, 0
	buffer_store_dword v6, off, s[0:3], 0 offset:416
	buffer_store_dword v6, off, s[0:3], 0 offset:420
	;; [unrolled: 1-line block ×4, first 2 shown]
	s_waitcnt vmcnt(4)
	ds_write_b128 v207, v[2:5]
.LBB27_129:
	s_or_b64 exec, exec, s[6:7]
	s_waitcnt lgkmcnt(0)
	; wave barrier
	s_waitcnt lgkmcnt(0)
	buffer_load_dword v8, off, s[0:3], 0 offset:440
	buffer_load_dword v9, off, s[0:3], 0 offset:444
	;; [unrolled: 1-line block ×8, first 2 shown]
	v_mov_b32_e32 v2, 0
	ds_read_b128 v[4:7], v2 offset:880
	v_cmp_lt_u32_e32 vcc, 25, v206
	s_waitcnt vmcnt(6) lgkmcnt(0)
	v_mul_f64 v[16:17], v[4:5], v[8:9]
	v_mul_f64 v[8:9], v[6:7], v[8:9]
	s_waitcnt vmcnt(4)
	v_fma_f64 v[4:5], v[4:5], v[10:11], -v[8:9]
	v_fmac_f64_e32 v[16:17], v[6:7], v[10:11]
	v_add_f64 v[4:5], v[4:5], 0
	v_add_f64 v[6:7], v[16:17], 0
	s_waitcnt vmcnt(2)
	v_add_f64 v[4:5], v[12:13], -v[4:5]
	s_waitcnt vmcnt(0)
	v_add_f64 v[6:7], v[14:15], -v[6:7]
	buffer_store_dword v4, off, s[0:3], 0 offset:416
	buffer_store_dword v5, off, s[0:3], 0 offset:420
	;; [unrolled: 1-line block ×4, first 2 shown]
	s_and_saveexec_b64 s[6:7], vcc
	s_cbranch_execz .LBB27_131
; %bb.130:
	v_accvgpr_read_b32 v3, a30
	buffer_load_dword v4, v3, s[0:3], 0 offen
	buffer_load_dword v5, v3, s[0:3], 0 offen offset:4
	buffer_load_dword v6, v3, s[0:3], 0 offen offset:8
	;; [unrolled: 1-line block ×3, first 2 shown]
	s_nop 0
	buffer_store_dword v2, off, s[0:3], 0 offset:400
	buffer_store_dword v2, off, s[0:3], 0 offset:404
	;; [unrolled: 1-line block ×4, first 2 shown]
	s_waitcnt vmcnt(4)
	ds_write_b128 v207, v[4:7]
.LBB27_131:
	s_or_b64 exec, exec, s[6:7]
	s_waitcnt lgkmcnt(0)
	; wave barrier
	s_waitcnt lgkmcnt(0)
	buffer_load_dword v12, off, s[0:3], 0 offset:424
	buffer_load_dword v13, off, s[0:3], 0 offset:428
	;; [unrolled: 1-line block ×12, first 2 shown]
	ds_read_b128 v[4:7], v2 offset:864
	ds_read_b128 v[8:11], v2 offset:880
	v_cmp_lt_u32_e32 vcc, 24, v206
	s_waitcnt vmcnt(10) lgkmcnt(1)
	v_mul_f64 v[2:3], v[4:5], v[12:13]
	v_mul_f64 v[12:13], v[6:7], v[12:13]
	s_waitcnt vmcnt(8) lgkmcnt(0)
	v_mul_f64 v[24:25], v[8:9], v[14:15]
	v_mul_f64 v[14:15], v[10:11], v[14:15]
	s_waitcnt vmcnt(6)
	v_fma_f64 v[4:5], v[4:5], v[16:17], -v[12:13]
	v_fmac_f64_e32 v[2:3], v[6:7], v[16:17]
	s_waitcnt vmcnt(4)
	v_fma_f64 v[6:7], v[8:9], v[18:19], -v[14:15]
	v_add_f64 v[4:5], v[4:5], 0
	v_fmac_f64_e32 v[24:25], v[10:11], v[18:19]
	v_add_f64 v[2:3], v[2:3], 0
	v_add_f64 v[4:5], v[4:5], v[6:7]
	;; [unrolled: 1-line block ×3, first 2 shown]
	s_waitcnt vmcnt(2)
	v_add_f64 v[4:5], v[20:21], -v[4:5]
	s_waitcnt vmcnt(0)
	v_add_f64 v[2:3], v[22:23], -v[2:3]
	buffer_store_dword v4, off, s[0:3], 0 offset:400
	buffer_store_dword v5, off, s[0:3], 0 offset:404
	;; [unrolled: 1-line block ×4, first 2 shown]
	s_and_saveexec_b64 s[6:7], vcc
	s_cbranch_execz .LBB27_133
; %bb.132:
	v_accvgpr_read_b32 v5, a31
	buffer_load_dword v2, v5, s[0:3], 0 offen
	buffer_load_dword v3, v5, s[0:3], 0 offen offset:4
	buffer_load_dword v4, v5, s[0:3], 0 offen offset:8
	s_nop 0
	buffer_load_dword v5, v5, s[0:3], 0 offen offset:12
	v_mov_b32_e32 v6, 0
	buffer_store_dword v6, off, s[0:3], 0 offset:384
	buffer_store_dword v6, off, s[0:3], 0 offset:388
	buffer_store_dword v6, off, s[0:3], 0 offset:392
	buffer_store_dword v6, off, s[0:3], 0 offset:396
	s_waitcnt vmcnt(4)
	ds_write_b128 v207, v[2:5]
.LBB27_133:
	s_or_b64 exec, exec, s[6:7]
	s_waitcnt lgkmcnt(0)
	; wave barrier
	s_waitcnt lgkmcnt(0)
	buffer_load_dword v16, off, s[0:3], 0 offset:408
	buffer_load_dword v17, off, s[0:3], 0 offset:412
	;; [unrolled: 1-line block ×16, first 2 shown]
	v_mov_b32_e32 v2, 0
	ds_read_b128 v[4:7], v2 offset:848
	ds_read_b128 v[8:11], v2 offset:864
	ds_read_b128 v[12:15], v2 offset:880
	v_cmp_lt_u32_e32 vcc, 23, v206
	s_waitcnt vmcnt(14) lgkmcnt(2)
	v_mul_f64 v[36:37], v[4:5], v[16:17]
	v_mul_f64 v[16:17], v[6:7], v[16:17]
	s_waitcnt vmcnt(12) lgkmcnt(1)
	v_mul_f64 v[38:39], v[8:9], v[18:19]
	v_mul_f64 v[18:19], v[10:11], v[18:19]
	;; [unrolled: 3-line block ×3, first 2 shown]
	s_waitcnt vmcnt(8)
	v_fma_f64 v[4:5], v[4:5], v[22:23], -v[16:17]
	v_fmac_f64_e32 v[36:37], v[6:7], v[22:23]
	s_waitcnt vmcnt(6)
	v_fma_f64 v[6:7], v[8:9], v[24:25], -v[18:19]
	v_add_f64 v[4:5], v[4:5], 0
	v_fmac_f64_e32 v[38:39], v[10:11], v[24:25]
	s_waitcnt vmcnt(4)
	v_fma_f64 v[8:9], v[12:13], v[26:27], -v[20:21]
	v_add_f64 v[10:11], v[36:37], 0
	v_add_f64 v[4:5], v[4:5], v[6:7]
	v_fmac_f64_e32 v[40:41], v[14:15], v[26:27]
	v_add_f64 v[10:11], v[10:11], v[38:39]
	v_add_f64 v[4:5], v[4:5], v[8:9]
	;; [unrolled: 1-line block ×3, first 2 shown]
	s_waitcnt vmcnt(2)
	v_add_f64 v[4:5], v[28:29], -v[4:5]
	s_waitcnt vmcnt(0)
	v_add_f64 v[6:7], v[34:35], -v[6:7]
	buffer_store_dword v4, off, s[0:3], 0 offset:384
	buffer_store_dword v5, off, s[0:3], 0 offset:388
	buffer_store_dword v6, off, s[0:3], 0 offset:392
	buffer_store_dword v7, off, s[0:3], 0 offset:396
	s_and_saveexec_b64 s[6:7], vcc
	s_cbranch_execz .LBB27_135
; %bb.134:
	v_accvgpr_read_b32 v3, a32
	buffer_load_dword v4, v3, s[0:3], 0 offen
	buffer_load_dword v5, v3, s[0:3], 0 offen offset:4
	buffer_load_dword v6, v3, s[0:3], 0 offen offset:8
	;; [unrolled: 1-line block ×3, first 2 shown]
	s_nop 0
	buffer_store_dword v2, off, s[0:3], 0 offset:368
	buffer_store_dword v2, off, s[0:3], 0 offset:372
	;; [unrolled: 1-line block ×4, first 2 shown]
	s_waitcnt vmcnt(4)
	ds_write_b128 v207, v[4:7]
.LBB27_135:
	s_or_b64 exec, exec, s[6:7]
	s_waitcnt lgkmcnt(0)
	; wave barrier
	s_waitcnt lgkmcnt(0)
	ds_read_b128 v[4:7], v2 offset:832
	ds_read_b128 v[8:11], v2 offset:848
	;; [unrolled: 1-line block ×4, first 2 shown]
	buffer_load_dword v2, off, s[0:3], 0 offset:368
	buffer_load_dword v3, off, s[0:3], 0 offset:372
	;; [unrolled: 1-line block ×16, first 2 shown]
	v_cmp_lt_u32_e32 vcc, 22, v206
	s_waitcnt vmcnt(8) lgkmcnt(3)
	v_mul_f64 v[38:39], v[4:5], v[24:25]
	v_fmac_f64_e32 v[38:39], v[6:7], v[22:23]
	v_add_f64 v[38:39], v[38:39], 0
	v_mul_f64 v[6:7], v[6:7], v[24:25]
	s_waitcnt vmcnt(4) lgkmcnt(2)
	v_mul_f64 v[40:41], v[8:9], v[28:29]
	v_fmac_f64_e32 v[40:41], v[10:11], v[26:27]
	v_add_f64 v[38:39], v[38:39], v[40:41]
	v_fma_f64 v[4:5], v[4:5], v[22:23], -v[6:7]
	s_waitcnt vmcnt(0) lgkmcnt(1)
	v_mul_f64 v[40:41], v[12:13], v[36:37]
	v_fmac_f64_e32 v[40:41], v[14:15], v[34:35]
	v_add_f64 v[38:39], v[38:39], v[40:41]
	buffer_load_dword v41, off, s[0:3], 0 offset:436
	buffer_load_dword v40, off, s[0:3], 0 offset:432
	;; [unrolled: 1-line block ×4, first 2 shown]
	v_mul_f64 v[6:7], v[10:11], v[28:29]
	v_add_f64 v[4:5], v[4:5], 0
	v_fma_f64 v[6:7], v[8:9], v[26:27], -v[6:7]
	v_add_f64 v[4:5], v[4:5], v[6:7]
	v_mul_f64 v[6:7], v[14:15], v[36:37]
	v_fma_f64 v[6:7], v[12:13], v[34:35], -v[6:7]
	v_add_f64 v[4:5], v[4:5], v[6:7]
	s_waitcnt vmcnt(0) lgkmcnt(0)
	v_mul_f64 v[6:7], v[18:19], v[86:87]
	v_mul_f64 v[88:89], v[16:17], v[86:87]
	v_fma_f64 v[6:7], v[16:17], v[40:41], -v[6:7]
	v_fmac_f64_e32 v[88:89], v[18:19], v[40:41]
	v_add_f64 v[4:5], v[4:5], v[6:7]
	v_add_f64 v[38:39], v[38:39], v[88:89]
	v_add_f64 v[2:3], v[2:3], -v[4:5]
	v_add_f64 v[4:5], v[20:21], -v[38:39]
	buffer_store_dword v2, off, s[0:3], 0 offset:368
	buffer_store_dword v3, off, s[0:3], 0 offset:372
	;; [unrolled: 1-line block ×4, first 2 shown]
	s_and_saveexec_b64 s[6:7], vcc
	s_cbranch_execz .LBB27_137
; %bb.136:
	v_accvgpr_read_b32 v5, a33
	buffer_load_dword v2, v5, s[0:3], 0 offen
	buffer_load_dword v3, v5, s[0:3], 0 offen offset:4
	buffer_load_dword v4, v5, s[0:3], 0 offen offset:8
	s_nop 0
	buffer_load_dword v5, v5, s[0:3], 0 offen offset:12
	v_mov_b32_e32 v6, 0
	buffer_store_dword v6, off, s[0:3], 0 offset:352
	buffer_store_dword v6, off, s[0:3], 0 offset:356
	;; [unrolled: 1-line block ×4, first 2 shown]
	s_waitcnt vmcnt(4)
	ds_write_b128 v207, v[2:5]
.LBB27_137:
	s_or_b64 exec, exec, s[6:7]
	s_waitcnt lgkmcnt(0)
	; wave barrier
	s_waitcnt lgkmcnt(0)
	buffer_load_dword v24, off, s[0:3], 0 offset:376
	buffer_load_dword v25, off, s[0:3], 0 offset:380
	;; [unrolled: 1-line block ×24, first 2 shown]
	v_mov_b32_e32 v2, 0
	ds_read_b128 v[4:7], v2 offset:816
	ds_read_b128 v[8:11], v2 offset:832
	;; [unrolled: 1-line block ×5, first 2 shown]
	v_cmp_lt_u32_e32 vcc, 21, v206
	s_waitcnt vmcnt(22) lgkmcnt(4)
	v_mul_f64 v[96:97], v[4:5], v[24:25]
	v_mul_f64 v[24:25], v[6:7], v[24:25]
	s_waitcnt vmcnt(20) lgkmcnt(3)
	v_mul_f64 v[98:99], v[8:9], v[26:27]
	v_mul_f64 v[26:27], v[10:11], v[26:27]
	;; [unrolled: 3-line block ×4, first 2 shown]
	s_waitcnt vmcnt(13) lgkmcnt(0)
	v_mul_f64 v[104:105], v[20:21], v[34:35]
	s_waitcnt vmcnt(11)
	v_fma_f64 v[4:5], v[4:5], v[40:41], -v[24:25]
	v_fmac_f64_e32 v[96:97], v[6:7], v[40:41]
	s_waitcnt vmcnt(9)
	v_fma_f64 v[6:7], v[8:9], v[86:87], -v[26:27]
	v_add_f64 v[4:5], v[4:5], 0
	v_fmac_f64_e32 v[98:99], v[10:11], v[86:87]
	s_waitcnt vmcnt(7)
	v_fmac_f64_e32 v[100:101], v[14:15], v[88:89]
	v_fma_f64 v[8:9], v[12:13], v[88:89], -v[28:29]
	v_add_f64 v[14:15], v[96:97], 0
	v_add_f64 v[4:5], v[4:5], v[6:7]
	v_mul_f64 v[34:35], v[22:23], v[34:35]
	s_waitcnt vmcnt(5)
	v_fma_f64 v[10:11], v[16:17], v[90:91], -v[38:39]
	v_add_f64 v[14:15], v[14:15], v[98:99]
	v_add_f64 v[4:5], v[4:5], v[8:9]
	v_fmac_f64_e32 v[102:103], v[18:19], v[90:91]
	s_waitcnt vmcnt(4)
	v_fma_f64 v[12:13], v[20:21], v[36:37], -v[34:35]
	v_add_f64 v[6:7], v[14:15], v[100:101]
	v_add_f64 v[4:5], v[4:5], v[10:11]
	v_fmac_f64_e32 v[104:105], v[22:23], v[36:37]
	v_add_f64 v[6:7], v[6:7], v[102:103]
	v_add_f64 v[4:5], v[4:5], v[12:13]
	;; [unrolled: 1-line block ×3, first 2 shown]
	s_waitcnt vmcnt(2)
	v_add_f64 v[4:5], v[92:93], -v[4:5]
	s_waitcnt vmcnt(0)
	v_add_f64 v[6:7], v[94:95], -v[6:7]
	buffer_store_dword v5, off, s[0:3], 0 offset:356
	buffer_store_dword v4, off, s[0:3], 0 offset:352
	;; [unrolled: 1-line block ×4, first 2 shown]
	s_and_saveexec_b64 s[6:7], vcc
	s_cbranch_execz .LBB27_139
; %bb.138:
	v_accvgpr_read_b32 v3, a34
	buffer_load_dword v4, v3, s[0:3], 0 offen
	buffer_load_dword v5, v3, s[0:3], 0 offen offset:4
	buffer_load_dword v6, v3, s[0:3], 0 offen offset:8
	;; [unrolled: 1-line block ×3, first 2 shown]
	s_nop 0
	buffer_store_dword v2, off, s[0:3], 0 offset:336
	buffer_store_dword v2, off, s[0:3], 0 offset:340
	;; [unrolled: 1-line block ×4, first 2 shown]
	s_waitcnt vmcnt(4)
	ds_write_b128 v207, v[4:7]
.LBB27_139:
	s_or_b64 exec, exec, s[6:7]
	s_waitcnt lgkmcnt(0)
	; wave barrier
	s_waitcnt lgkmcnt(0)
	buffer_load_dword v28, off, s[0:3], 0 offset:360
	buffer_load_dword v29, off, s[0:3], 0 offset:364
	;; [unrolled: 1-line block ×28, first 2 shown]
	ds_read_b128 v[4:7], v2 offset:800
	ds_read_b128 v[8:11], v2 offset:816
	ds_read_b128 v[12:15], v2 offset:832
	ds_read_b128 v[16:19], v2 offset:848
	ds_read_b128 v[20:23], v2 offset:864
	ds_read_b128 v[24:27], v2 offset:880
	v_cmp_lt_u32_e32 vcc, 20, v206
	s_waitcnt vmcnt(26) lgkmcnt(5)
	v_mul_f64 v[2:3], v[4:5], v[28:29]
	v_mul_f64 v[28:29], v[6:7], v[28:29]
	s_waitcnt vmcnt(24) lgkmcnt(4)
	v_mul_f64 v[104:105], v[8:9], v[34:35]
	v_mul_f64 v[34:35], v[10:11], v[34:35]
	;; [unrolled: 3-line block ×4, first 2 shown]
	s_waitcnt vmcnt(17)
	v_mul_f64 v[108:109], v[16:17], v[86:87]
	v_mul_f64 v[86:87], v[18:19], v[86:87]
	s_waitcnt vmcnt(15) lgkmcnt(0)
	v_mul_f64 v[112:113], v[24:25], v[88:89]
	v_mul_f64 v[88:89], v[26:27], v[88:89]
	s_waitcnt vmcnt(14)
	v_fmac_f64_e32 v[110:111], v[22:23], v[40:41]
	s_waitcnt vmcnt(12)
	v_fma_f64 v[4:5], v[4:5], v[90:91], -v[28:29]
	v_fmac_f64_e32 v[2:3], v[6:7], v[90:91]
	s_waitcnt vmcnt(10)
	v_fma_f64 v[6:7], v[8:9], v[92:93], -v[34:35]
	v_add_f64 v[4:5], v[4:5], 0
	v_fmac_f64_e32 v[104:105], v[10:11], v[92:93]
	s_waitcnt vmcnt(8)
	v_fma_f64 v[8:9], v[12:13], v[94:95], -v[36:37]
	v_add_f64 v[2:3], v[2:3], 0
	v_add_f64 v[4:5], v[4:5], v[6:7]
	v_fmac_f64_e32 v[106:107], v[14:15], v[94:95]
	s_waitcnt vmcnt(6)
	v_fma_f64 v[10:11], v[16:17], v[96:97], -v[86:87]
	v_add_f64 v[2:3], v[2:3], v[104:105]
	v_add_f64 v[4:5], v[4:5], v[8:9]
	v_fmac_f64_e32 v[108:109], v[18:19], v[96:97]
	v_fma_f64 v[12:13], v[20:21], v[40:41], -v[38:39]
	v_add_f64 v[2:3], v[2:3], v[106:107]
	v_add_f64 v[4:5], v[4:5], v[10:11]
	s_waitcnt vmcnt(4)
	v_fma_f64 v[14:15], v[24:25], v[98:99], -v[88:89]
	v_add_f64 v[2:3], v[2:3], v[108:109]
	v_add_f64 v[4:5], v[4:5], v[12:13]
	v_fmac_f64_e32 v[112:113], v[26:27], v[98:99]
	v_add_f64 v[2:3], v[2:3], v[110:111]
	v_add_f64 v[4:5], v[4:5], v[14:15]
	;; [unrolled: 1-line block ×3, first 2 shown]
	s_waitcnt vmcnt(2)
	v_add_f64 v[4:5], v[100:101], -v[4:5]
	s_waitcnt vmcnt(0)
	v_add_f64 v[2:3], v[102:103], -v[2:3]
	buffer_store_dword v5, off, s[0:3], 0 offset:340
	buffer_store_dword v4, off, s[0:3], 0 offset:336
	;; [unrolled: 1-line block ×4, first 2 shown]
	s_and_saveexec_b64 s[6:7], vcc
	s_cbranch_execz .LBB27_141
; %bb.140:
	v_accvgpr_read_b32 v5, a35
	buffer_load_dword v2, v5, s[0:3], 0 offen
	buffer_load_dword v3, v5, s[0:3], 0 offen offset:4
	buffer_load_dword v4, v5, s[0:3], 0 offen offset:8
	s_nop 0
	buffer_load_dword v5, v5, s[0:3], 0 offen offset:12
	v_mov_b32_e32 v6, 0
	buffer_store_dword v6, off, s[0:3], 0 offset:320
	buffer_store_dword v6, off, s[0:3], 0 offset:324
	;; [unrolled: 1-line block ×4, first 2 shown]
	s_waitcnt vmcnt(4)
	ds_write_b128 v207, v[2:5]
.LBB27_141:
	s_or_b64 exec, exec, s[6:7]
	s_waitcnt lgkmcnt(0)
	; wave barrier
	s_waitcnt lgkmcnt(0)
	buffer_load_dword v22, off, s[0:3], 0 offset:344
	buffer_load_dword v23, off, s[0:3], 0 offset:348
	;; [unrolled: 1-line block ×32, first 2 shown]
	v_mov_b32_e32 v24, 0
	ds_read_b128 v[2:5], v24 offset:784
	ds_read_b128 v[6:9], v24 offset:800
	;; [unrolled: 1-line block ×7, first 2 shown]
	v_cmp_lt_u32_e32 vcc, 19, v206
	s_waitcnt vmcnt(30) lgkmcnt(6)
	v_mul_f64 v[112:113], v[2:3], v[22:23]
	v_mul_f64 v[22:23], v[4:5], v[22:23]
	s_waitcnt vmcnt(28) lgkmcnt(5)
	v_mul_f64 v[114:115], v[6:7], v[34:35]
	v_mul_f64 v[34:35], v[8:9], v[34:35]
	;; [unrolled: 3-line block ×4, first 2 shown]
	s_waitcnt vmcnt(21)
	v_mul_f64 v[118:119], v[14:15], v[90:91]
	v_mul_f64 v[90:91], v[16:17], v[90:91]
	s_waitcnt vmcnt(17) lgkmcnt(1)
	v_mul_f64 v[122:123], v[26:27], v[96:97]
	v_mul_f64 v[96:97], v[28:29], v[96:97]
	s_waitcnt vmcnt(16) lgkmcnt(0)
	v_mul_f64 v[124:125], v[86:87], v[92:93]
	v_mul_f64 v[92:93], v[88:89], v[92:93]
	s_waitcnt vmcnt(13)
	v_fma_f64 v[2:3], v[2:3], v[98:99], -v[22:23]
	v_fmac_f64_e32 v[112:113], v[4:5], v[98:99]
	s_waitcnt vmcnt(11)
	v_fma_f64 v[4:5], v[6:7], v[100:101], -v[34:35]
	v_add_f64 v[2:3], v[2:3], 0
	v_fmac_f64_e32 v[114:115], v[8:9], v[100:101]
	s_waitcnt vmcnt(9)
	v_fma_f64 v[6:7], v[10:11], v[102:103], -v[36:37]
	s_waitcnt vmcnt(7)
	v_fmac_f64_e32 v[118:119], v[16:17], v[104:105]
	v_add_f64 v[16:17], v[112:113], 0
	v_add_f64 v[2:3], v[2:3], v[4:5]
	v_fmac_f64_e32 v[116:117], v[12:13], v[102:103]
	v_fma_f64 v[8:9], v[14:15], v[104:105], -v[90:91]
	v_add_f64 v[16:17], v[16:17], v[114:115]
	v_add_f64 v[2:3], v[2:3], v[6:7]
	v_fma_f64 v[10:11], v[18:19], v[40:41], -v[38:39]
	v_add_f64 v[4:5], v[16:17], v[116:117]
	v_add_f64 v[2:3], v[2:3], v[8:9]
	v_fmac_f64_e32 v[120:121], v[20:21], v[40:41]
	s_waitcnt vmcnt(5)
	v_fma_f64 v[12:13], v[26:27], v[106:107], -v[96:97]
	v_add_f64 v[4:5], v[4:5], v[118:119]
	v_add_f64 v[2:3], v[2:3], v[10:11]
	v_fmac_f64_e32 v[122:123], v[28:29], v[106:107]
	s_waitcnt vmcnt(4)
	v_fma_f64 v[14:15], v[86:87], v[94:95], -v[92:93]
	v_add_f64 v[4:5], v[4:5], v[120:121]
	v_add_f64 v[2:3], v[2:3], v[12:13]
	v_fmac_f64_e32 v[124:125], v[88:89], v[94:95]
	v_add_f64 v[4:5], v[4:5], v[122:123]
	v_add_f64 v[2:3], v[2:3], v[14:15]
	;; [unrolled: 1-line block ×3, first 2 shown]
	s_waitcnt vmcnt(2)
	v_add_f64 v[2:3], v[108:109], -v[2:3]
	s_waitcnt vmcnt(0)
	v_add_f64 v[4:5], v[110:111], -v[4:5]
	buffer_store_dword v3, off, s[0:3], 0 offset:324
	buffer_store_dword v2, off, s[0:3], 0 offset:320
	;; [unrolled: 1-line block ×4, first 2 shown]
	s_and_saveexec_b64 s[6:7], vcc
	s_cbranch_execz .LBB27_143
; %bb.142:
	v_accvgpr_read_b32 v5, a36
	buffer_load_dword v2, v5, s[0:3], 0 offen
	buffer_load_dword v3, v5, s[0:3], 0 offen offset:4
	buffer_load_dword v4, v5, s[0:3], 0 offen offset:8
	s_nop 0
	buffer_load_dword v5, v5, s[0:3], 0 offen offset:12
	s_nop 0
	buffer_store_dword v24, off, s[0:3], 0 offset:304
	buffer_store_dword v24, off, s[0:3], 0 offset:308
	;; [unrolled: 1-line block ×4, first 2 shown]
	s_waitcnt vmcnt(4)
	ds_write_b128 v207, v[2:5]
.LBB27_143:
	s_or_b64 exec, exec, s[6:7]
	s_waitcnt lgkmcnt(0)
	; wave barrier
	s_waitcnt lgkmcnt(0)
	ds_read_b128 v[14:17], v24 offset:768
	ds_read_b128 v[10:13], v24 offset:784
	;; [unrolled: 1-line block ×4, first 2 shown]
	buffer_load_dword v20, off, s[0:3], 0 offset:304
	buffer_load_dword v21, off, s[0:3], 0 offset:308
	;; [unrolled: 1-line block ×20, first 2 shown]
	v_cmp_lt_u32_e32 vcc, 18, v206
	s_waitcnt vmcnt(12) lgkmcnt(3)
	v_mul_f64 v[26:27], v[14:15], v[34:35]
	v_fmac_f64_e32 v[26:27], v[16:17], v[22:23]
	v_add_f64 v[26:27], v[26:27], 0
	v_mul_f64 v[16:17], v[16:17], v[34:35]
	s_waitcnt vmcnt(8) lgkmcnt(2)
	v_mul_f64 v[28:29], v[10:11], v[38:39]
	v_fmac_f64_e32 v[28:29], v[12:13], v[36:37]
	v_add_f64 v[26:27], v[26:27], v[28:29]
	v_fma_f64 v[14:15], v[14:15], v[22:23], -v[16:17]
	s_waitcnt vmcnt(4) lgkmcnt(1)
	v_mul_f64 v[28:29], v[6:7], v[98:99]
	v_fmac_f64_e32 v[28:29], v[8:9], v[40:41]
	v_add_f64 v[26:27], v[26:27], v[28:29]
	s_waitcnt vmcnt(0) lgkmcnt(0)
	v_mul_f64 v[28:29], v[2:3], v[102:103]
	v_fmac_f64_e32 v[28:29], v[4:5], v[100:101]
	v_add_f64 v[86:87], v[26:27], v[28:29]
	ds_read_b128 v[26:29], v24 offset:832
	buffer_load_dword v105, off, s[0:3], 0 offset:388
	buffer_load_dword v104, off, s[0:3], 0 offset:384
	;; [unrolled: 1-line block ×4, first 2 shown]
	v_mul_f64 v[12:13], v[12:13], v[38:39]
	v_add_f64 v[14:15], v[14:15], 0
	v_fma_f64 v[10:11], v[10:11], v[36:37], -v[12:13]
	v_mul_f64 v[8:9], v[8:9], v[98:99]
	v_add_f64 v[10:11], v[14:15], v[10:11]
	v_fma_f64 v[6:7], v[6:7], v[40:41], -v[8:9]
	;; [unrolled: 3-line block ×3, first 2 shown]
	v_add_f64 v[2:3], v[6:7], v[2:3]
	s_waitcnt vmcnt(0) lgkmcnt(0)
	v_mul_f64 v[88:89], v[26:27], v[106:107]
	v_fmac_f64_e32 v[88:89], v[28:29], v[104:105]
	v_add_f64 v[90:91], v[86:87], v[88:89]
	ds_read_b128 v[86:89], v24 offset:848
	buffer_load_dword v109, off, s[0:3], 0 offset:404
	buffer_load_dword v108, off, s[0:3], 0 offset:400
	buffer_load_dword v111, off, s[0:3], 0 offset:412
	buffer_load_dword v110, off, s[0:3], 0 offset:408
	v_mul_f64 v[4:5], v[28:29], v[106:107]
	v_fma_f64 v[4:5], v[26:27], v[104:105], -v[4:5]
	v_add_f64 v[2:3], v[2:3], v[4:5]
	s_waitcnt vmcnt(0) lgkmcnt(0)
	v_mul_f64 v[92:93], v[86:87], v[110:111]
	v_fmac_f64_e32 v[92:93], v[88:89], v[108:109]
	v_add_f64 v[94:95], v[90:91], v[92:93]
	ds_read_b128 v[90:93], v24 offset:864
	buffer_load_dword v113, off, s[0:3], 0 offset:420
	buffer_load_dword v112, off, s[0:3], 0 offset:416
	buffer_load_dword v115, off, s[0:3], 0 offset:428
	buffer_load_dword v114, off, s[0:3], 0 offset:424
	v_mul_f64 v[4:5], v[88:89], v[110:111]
	v_fma_f64 v[4:5], v[86:87], v[108:109], -v[4:5]
	;; [unrolled: 12-line block ×3, first 2 shown]
	v_add_f64 v[2:3], v[2:3], v[4:5]
	s_waitcnt vmcnt(0) lgkmcnt(0)
	v_mul_f64 v[4:5], v[96:97], v[118:119]
	v_mul_f64 v[120:121], v[94:95], v[118:119]
	v_fma_f64 v[4:5], v[94:95], v[24:25], -v[4:5]
	v_fmac_f64_e32 v[120:121], v[96:97], v[24:25]
	v_add_f64 v[2:3], v[2:3], v[4:5]
	v_add_f64 v[116:117], v[116:117], v[120:121]
	v_add_f64 v[2:3], v[20:21], -v[2:3]
	v_add_f64 v[4:5], v[18:19], -v[116:117]
	buffer_store_dword v3, off, s[0:3], 0 offset:308
	buffer_store_dword v2, off, s[0:3], 0 offset:304
	;; [unrolled: 1-line block ×4, first 2 shown]
	s_and_saveexec_b64 s[6:7], vcc
	s_cbranch_execz .LBB27_145
; %bb.144:
	v_accvgpr_read_b32 v5, a37
	buffer_load_dword v2, v5, s[0:3], 0 offen
	buffer_load_dword v3, v5, s[0:3], 0 offen offset:4
	buffer_load_dword v4, v5, s[0:3], 0 offen offset:8
	s_nop 0
	buffer_load_dword v5, v5, s[0:3], 0 offen offset:12
	v_mov_b32_e32 v6, 0
	buffer_store_dword v6, off, s[0:3], 0 offset:288
	buffer_store_dword v6, off, s[0:3], 0 offset:292
	;; [unrolled: 1-line block ×4, first 2 shown]
	s_waitcnt vmcnt(4)
	ds_write_b128 v207, v[2:5]
.LBB27_145:
	s_or_b64 exec, exec, s[6:7]
	s_waitcnt lgkmcnt(0)
	; wave barrier
	s_waitcnt lgkmcnt(0)
	buffer_load_dword v28, off, s[0:3], 0 offset:312
	buffer_load_dword v29, off, s[0:3], 0 offset:316
	;; [unrolled: 1-line block ×40, first 2 shown]
	v_mov_b32_e32 v6, 0
	ds_read_b128 v[2:5], v6 offset:752
	ds_read_b128 v[8:11], v6 offset:768
	;; [unrolled: 1-line block ×9, first 2 shown]
	v_cmp_lt_u32_e32 vcc, 17, v206
	s_waitcnt vmcnt(38) lgkmcnt(8)
	v_mul_f64 v[128:129], v[2:3], v[28:29]
	v_mul_f64 v[28:29], v[4:5], v[28:29]
	s_waitcnt vmcnt(36) lgkmcnt(7)
	v_mul_f64 v[130:131], v[8:9], v[34:35]
	v_mul_f64 v[34:35], v[10:11], v[34:35]
	;; [unrolled: 3-line block ×3, first 2 shown]
	s_waitcnt vmcnt(32) lgkmcnt(4)
	v_mul_f64 v[136:137], v[20:21], v[38:39]
	s_waitcnt vmcnt(30)
	v_fmac_f64_e32 v[136:137], v[22:23], v[40:41]
	s_waitcnt vmcnt(28)
	v_mul_f64 v[134:135], v[16:17], v[98:99]
	v_mul_f64 v[98:99], v[18:19], v[98:99]
	s_waitcnt vmcnt(26) lgkmcnt(2)
	v_mul_f64 v[140:141], v[86:87], v[100:101]
	s_waitcnt vmcnt(24)
	v_fmac_f64_e32 v[140:141], v[88:89], v[102:103]
	s_waitcnt vmcnt(22)
	v_mul_f64 v[138:139], v[24:25], v[104:105]
	s_waitcnt vmcnt(18) lgkmcnt(1)
	v_mul_f64 v[142:143], v[90:91], v[110:111]
	s_waitcnt vmcnt(17) lgkmcnt(0)
	v_mul_f64 v[144:145], v[94:95], v[106:107]
	s_waitcnt vmcnt(15)
	v_fma_f64 v[2:3], v[2:3], v[112:113], -v[28:29]
	v_fmac_f64_e32 v[128:129], v[4:5], v[112:113]
	s_waitcnt vmcnt(13)
	v_fma_f64 v[4:5], v[8:9], v[114:115], -v[34:35]
	v_add_f64 v[2:3], v[2:3], 0
	s_waitcnt vmcnt(11)
	v_fma_f64 v[8:9], v[12:13], v[116:117], -v[36:37]
	v_add_f64 v[2:3], v[2:3], v[4:5]
	v_fmac_f64_e32 v[130:131], v[10:11], v[114:115]
	s_waitcnt vmcnt(9)
	v_fma_f64 v[10:11], v[16:17], v[118:119], -v[98:99]
	v_add_f64 v[2:3], v[2:3], v[8:9]
	v_mul_f64 v[8:9], v[22:23], v[38:39]
	v_add_f64 v[2:3], v[2:3], v[10:11]
	v_fma_f64 v[8:9], v[20:21], v[40:41], -v[8:9]
	v_add_f64 v[2:3], v[2:3], v[8:9]
	v_mul_f64 v[8:9], v[26:27], v[104:105]
	v_add_f64 v[12:13], v[128:129], 0
	s_waitcnt vmcnt(7)
	v_fma_f64 v[8:9], v[24:25], v[120:121], -v[8:9]
	v_fmac_f64_e32 v[132:133], v[14:15], v[116:117]
	v_add_f64 v[12:13], v[12:13], v[130:131]
	v_add_f64 v[2:3], v[2:3], v[8:9]
	v_mul_f64 v[8:9], v[88:89], v[100:101]
	v_fmac_f64_e32 v[134:135], v[18:19], v[118:119]
	v_add_f64 v[4:5], v[12:13], v[132:133]
	v_fma_f64 v[8:9], v[86:87], v[102:103], -v[8:9]
	v_add_f64 v[4:5], v[4:5], v[134:135]
	v_add_f64 v[2:3], v[2:3], v[8:9]
	v_mul_f64 v[8:9], v[92:93], v[110:111]
	v_fmac_f64_e32 v[138:139], v[26:27], v[120:121]
	v_add_f64 v[4:5], v[4:5], v[136:137]
	s_waitcnt vmcnt(5)
	v_fma_f64 v[8:9], v[90:91], v[122:123], -v[8:9]
	v_add_f64 v[4:5], v[4:5], v[138:139]
	v_add_f64 v[2:3], v[2:3], v[8:9]
	v_mul_f64 v[8:9], v[96:97], v[106:107]
	v_fmac_f64_e32 v[142:143], v[92:93], v[122:123]
	v_add_f64 v[4:5], v[4:5], v[140:141]
	s_waitcnt vmcnt(4)
	v_fma_f64 v[8:9], v[94:95], v[108:109], -v[8:9]
	v_fmac_f64_e32 v[144:145], v[96:97], v[108:109]
	v_add_f64 v[4:5], v[4:5], v[142:143]
	v_add_f64 v[2:3], v[2:3], v[8:9]
	v_add_f64 v[4:5], v[4:5], v[144:145]
	s_waitcnt vmcnt(2)
	v_add_f64 v[2:3], v[124:125], -v[2:3]
	s_waitcnt vmcnt(0)
	v_add_f64 v[4:5], v[126:127], -v[4:5]
	buffer_store_dword v3, off, s[0:3], 0 offset:292
	buffer_store_dword v2, off, s[0:3], 0 offset:288
	;; [unrolled: 1-line block ×4, first 2 shown]
	s_and_saveexec_b64 s[6:7], vcc
	s_cbranch_execz .LBB27_147
; %bb.146:
	v_accvgpr_read_b32 v5, a38
	buffer_load_dword v2, v5, s[0:3], 0 offen
	buffer_load_dword v3, v5, s[0:3], 0 offen offset:4
	buffer_load_dword v4, v5, s[0:3], 0 offen offset:8
	s_nop 0
	buffer_load_dword v5, v5, s[0:3], 0 offen offset:12
	s_nop 0
	buffer_store_dword v6, off, s[0:3], 0 offset:272
	buffer_store_dword v6, off, s[0:3], 0 offset:276
	;; [unrolled: 1-line block ×4, first 2 shown]
	s_waitcnt vmcnt(4)
	ds_write_b128 v207, v[2:5]
.LBB27_147:
	s_or_b64 exec, exec, s[6:7]
	s_waitcnt lgkmcnt(0)
	; wave barrier
	s_waitcnt lgkmcnt(0)
	buffer_load_dword v4, off, s[0:3], 0 offset:288
	buffer_load_dword v5, off, s[0:3], 0 offset:292
	;; [unrolled: 1-line block ×44, first 2 shown]
	ds_read_b128 v[8:11], v6 offset:736
	ds_read_b128 v[12:15], v6 offset:752
	;; [unrolled: 1-line block ×10, first 2 shown]
	v_cmp_lt_u32_e32 vcc, 16, v206
	s_waitcnt vmcnt(40) lgkmcnt(9)
	v_mul_f64 v[6:7], v[8:9], v[28:29]
	v_mul_f64 v[28:29], v[10:11], v[28:29]
	s_waitcnt vmcnt(38) lgkmcnt(8)
	v_mul_f64 v[136:137], v[12:13], v[34:35]
	v_mul_f64 v[34:35], v[14:15], v[34:35]
	v_fmac_f64_e32 v[6:7], v[10:11], v[4:5]
	v_fma_f64 v[4:5], v[8:9], v[4:5], -v[28:29]
	s_waitcnt vmcnt(36) lgkmcnt(7)
	v_mul_f64 v[138:139], v[16:17], v[2:3]
	v_add_f64 v[4:5], v[4:5], 0
	v_mul_f64 v[2:3], v[18:19], v[2:3]
	v_add_f64 v[6:7], v[6:7], 0
	s_waitcnt vmcnt(30) lgkmcnt(6)
	v_mul_f64 v[140:141], v[20:21], v[40:41]
	s_waitcnt lgkmcnt(5)
	v_mul_f64 v[142:143], v[24:25], v[36:37]
	v_fmac_f64_e32 v[142:143], v[26:27], v[38:39]
	s_waitcnt vmcnt(28) lgkmcnt(3)
	v_mul_f64 v[146:147], v[90:91], v[106:107]
	s_waitcnt vmcnt(26)
	v_fmac_f64_e32 v[146:147], v[92:93], v[108:109]
	s_waitcnt vmcnt(24)
	v_mul_f64 v[144:145], v[86:87], v[110:111]
	s_waitcnt vmcnt(22) lgkmcnt(1)
	v_mul_f64 v[150:151], v[98:99], v[112:113]
	s_waitcnt vmcnt(20)
	v_fmac_f64_e32 v[150:151], v[100:101], v[114:115]
	s_waitcnt vmcnt(18)
	v_mul_f64 v[148:149], v[94:95], v[116:117]
	s_waitcnt vmcnt(16) lgkmcnt(0)
	v_mul_f64 v[152:153], v[102:103], v[118:119]
	s_waitcnt vmcnt(14)
	v_fma_f64 v[8:9], v[12:13], v[120:121], -v[34:35]
	v_add_f64 v[4:5], v[4:5], v[8:9]
	s_waitcnt vmcnt(12)
	v_fma_f64 v[2:3], v[16:17], v[122:123], -v[2:3]
	v_add_f64 v[2:3], v[4:5], v[2:3]
	v_mul_f64 v[4:5], v[22:23], v[40:41]
	s_waitcnt vmcnt(10)
	v_fma_f64 v[4:5], v[20:21], v[124:125], -v[4:5]
	v_add_f64 v[2:3], v[2:3], v[4:5]
	v_mul_f64 v[4:5], v[26:27], v[36:37]
	v_fma_f64 v[4:5], v[24:25], v[38:39], -v[4:5]
	v_add_f64 v[2:3], v[2:3], v[4:5]
	v_mul_f64 v[4:5], v[88:89], v[110:111]
	s_waitcnt vmcnt(8)
	v_fma_f64 v[4:5], v[86:87], v[126:127], -v[4:5]
	v_fmac_f64_e32 v[136:137], v[14:15], v[120:121]
	v_add_f64 v[2:3], v[2:3], v[4:5]
	v_mul_f64 v[4:5], v[92:93], v[106:107]
	v_fmac_f64_e32 v[138:139], v[18:19], v[122:123]
	v_add_f64 v[6:7], v[6:7], v[136:137]
	v_fma_f64 v[4:5], v[90:91], v[108:109], -v[4:5]
	v_fmac_f64_e32 v[140:141], v[22:23], v[124:125]
	v_add_f64 v[6:7], v[6:7], v[138:139]
	v_add_f64 v[2:3], v[2:3], v[4:5]
	v_mul_f64 v[4:5], v[96:97], v[116:117]
	v_add_f64 v[6:7], v[6:7], v[140:141]
	s_waitcnt vmcnt(6)
	v_fma_f64 v[4:5], v[94:95], v[128:129], -v[4:5]
	v_fmac_f64_e32 v[144:145], v[88:89], v[126:127]
	v_add_f64 v[6:7], v[6:7], v[142:143]
	v_add_f64 v[2:3], v[2:3], v[4:5]
	v_mul_f64 v[4:5], v[100:101], v[112:113]
	v_add_f64 v[6:7], v[6:7], v[144:145]
	v_fma_f64 v[4:5], v[98:99], v[114:115], -v[4:5]
	v_fmac_f64_e32 v[148:149], v[96:97], v[128:129]
	v_add_f64 v[6:7], v[6:7], v[146:147]
	v_add_f64 v[2:3], v[2:3], v[4:5]
	v_mul_f64 v[4:5], v[104:105], v[118:119]
	v_add_f64 v[6:7], v[6:7], v[148:149]
	s_waitcnt vmcnt(4)
	v_fma_f64 v[4:5], v[102:103], v[130:131], -v[4:5]
	v_fmac_f64_e32 v[152:153], v[104:105], v[130:131]
	v_add_f64 v[6:7], v[6:7], v[150:151]
	v_add_f64 v[2:3], v[2:3], v[4:5]
	;; [unrolled: 1-line block ×3, first 2 shown]
	s_waitcnt vmcnt(2)
	v_add_f64 v[2:3], v[132:133], -v[2:3]
	s_waitcnt vmcnt(0)
	v_add_f64 v[4:5], v[134:135], -v[6:7]
	buffer_store_dword v3, off, s[0:3], 0 offset:276
	buffer_store_dword v2, off, s[0:3], 0 offset:272
	;; [unrolled: 1-line block ×4, first 2 shown]
	s_and_saveexec_b64 s[6:7], vcc
	s_cbranch_execz .LBB27_149
; %bb.148:
	v_accvgpr_read_b32 v5, a39
	buffer_load_dword v2, v5, s[0:3], 0 offen
	buffer_load_dword v3, v5, s[0:3], 0 offen offset:4
	buffer_load_dword v4, v5, s[0:3], 0 offen offset:8
	s_nop 0
	buffer_load_dword v5, v5, s[0:3], 0 offen offset:12
	v_mov_b32_e32 v6, 0
	buffer_store_dword v6, off, s[0:3], 0 offset:256
	buffer_store_dword v6, off, s[0:3], 0 offset:260
	;; [unrolled: 1-line block ×4, first 2 shown]
	s_waitcnt vmcnt(4)
	ds_write_b128 v207, v[2:5]
.LBB27_149:
	s_or_b64 exec, exec, s[6:7]
	s_waitcnt lgkmcnt(0)
	; wave barrier
	s_waitcnt lgkmcnt(0)
	buffer_load_dword v2, off, s[0:3], 0 offset:272
	buffer_load_dword v3, off, s[0:3], 0 offset:276
	buffer_load_dword v6, off, s[0:3], 0 offset:280
	buffer_load_dword v7, off, s[0:3], 0 offset:284
	buffer_load_dword v4, off, s[0:3], 0 offset:288
	buffer_load_dword v5, off, s[0:3], 0 offset:292
	buffer_load_dword v8, off, s[0:3], 0 offset:296
	buffer_load_dword v9, off, s[0:3], 0 offset:300
	buffer_load_dword v10, off, s[0:3], 0 offset:312
	buffer_load_dword v11, off, s[0:3], 0 offset:316
	buffer_load_dword v35, off, s[0:3], 0 offset:348
	buffer_load_dword v34, off, s[0:3], 0 offset:344
	buffer_load_dword v37, off, s[0:3], 0 offset:340
	buffer_load_dword v36, off, s[0:3], 0 offset:336
	buffer_load_dword v39, off, s[0:3], 0 offset:332
	buffer_load_dword v38, off, s[0:3], 0 offset:328
	buffer_load_dword v41, off, s[0:3], 0 offset:380
	buffer_load_dword v40, off, s[0:3], 0 offset:376
	buffer_load_dword v115, off, s[0:3], 0 offset:372
	buffer_load_dword v114, off, s[0:3], 0 offset:368
	buffer_load_dword v117, off, s[0:3], 0 offset:364
	buffer_load_dword v116, off, s[0:3], 0 offset:360
	buffer_load_dword v119, off, s[0:3], 0 offset:412
	buffer_load_dword v118, off, s[0:3], 0 offset:408
	buffer_load_dword v121, off, s[0:3], 0 offset:404
	buffer_load_dword v120, off, s[0:3], 0 offset:400
	buffer_load_dword v123, off, s[0:3], 0 offset:396
	buffer_load_dword v122, off, s[0:3], 0 offset:392
	buffer_load_dword v124, off, s[0:3], 0 offset:440
	buffer_load_dword v126, off, s[0:3], 0 offset:432
	buffer_load_dword v129, off, s[0:3], 0 offset:428
	buffer_load_dword v128, off, s[0:3], 0 offset:424
	buffer_load_dword v130, off, s[0:3], 0 offset:304
	buffer_load_dword v131, off, s[0:3], 0 offset:308
	buffer_load_dword v133, off, s[0:3], 0 offset:324
	buffer_load_dword v132, off, s[0:3], 0 offset:320
	buffer_load_dword v135, off, s[0:3], 0 offset:356
	buffer_load_dword v134, off, s[0:3], 0 offset:352
	buffer_load_dword v137, off, s[0:3], 0 offset:388
	buffer_load_dword v136, off, s[0:3], 0 offset:384
	buffer_load_dword v139, off, s[0:3], 0 offset:420
	buffer_load_dword v138, off, s[0:3], 0 offset:416
	buffer_load_dword v125, off, s[0:3], 0 offset:444
	buffer_load_dword v127, off, s[0:3], 0 offset:436
	buffer_load_dword v140, off, s[0:3], 0 offset:256
	buffer_load_dword v141, off, s[0:3], 0 offset:260
	buffer_load_dword v142, off, s[0:3], 0 offset:264
	buffer_load_dword v143, off, s[0:3], 0 offset:268
	v_mov_b32_e32 v12, 0
	ds_read_b128 v[14:17], v12 offset:720
	ds_read_b128 v[18:21], v12 offset:736
	;; [unrolled: 1-line block ×11, first 2 shown]
	v_cmp_lt_u32_e32 vcc, 15, v206
	s_waitcnt vmcnt(44) lgkmcnt(10)
	v_mul_f64 v[144:145], v[14:15], v[6:7]
	v_mul_f64 v[6:7], v[16:17], v[6:7]
	v_fmac_f64_e32 v[144:145], v[16:17], v[2:3]
	v_fma_f64 v[2:3], v[14:15], v[2:3], -v[6:7]
	s_waitcnt vmcnt(40) lgkmcnt(9)
	v_mul_f64 v[146:147], v[18:19], v[8:9]
	v_mul_f64 v[6:7], v[20:21], v[8:9]
	v_fmac_f64_e32 v[146:147], v[20:21], v[4:5]
	v_add_f64 v[2:3], v[2:3], 0
	v_fma_f64 v[4:5], v[18:19], v[4:5], -v[6:7]
	v_add_f64 v[2:3], v[2:3], v[4:5]
	s_waitcnt vmcnt(38) lgkmcnt(8)
	v_mul_f64 v[4:5], v[24:25], v[10:11]
	v_mul_f64 v[148:149], v[22:23], v[10:11]
	v_add_f64 v[144:145], v[144:145], 0
	s_waitcnt vmcnt(32) lgkmcnt(7)
	v_mul_f64 v[150:151], v[26:27], v[38:39]
	v_add_f64 v[144:145], v[144:145], v[146:147]
	s_waitcnt lgkmcnt(6)
	v_mul_f64 v[152:153], v[86:87], v[34:35]
	v_fmac_f64_e32 v[152:153], v[88:89], v[36:37]
	s_waitcnt vmcnt(30) lgkmcnt(4)
	v_mul_f64 v[156:157], v[94:95], v[40:41]
	s_waitcnt vmcnt(26)
	v_mul_f64 v[154:155], v[90:91], v[116:117]
	v_fmac_f64_e32 v[156:157], v[96:97], v[114:115]
	s_waitcnt vmcnt(24) lgkmcnt(2)
	v_mul_f64 v[160:161], v[102:103], v[118:119]
	s_waitcnt vmcnt(22)
	v_fmac_f64_e32 v[160:161], v[104:105], v[120:121]
	s_waitcnt vmcnt(20)
	v_mul_f64 v[158:159], v[98:99], v[122:123]
	s_waitcnt vmcnt(16) lgkmcnt(1)
	v_mul_f64 v[162:163], v[106:107], v[128:129]
	s_waitcnt vmcnt(14)
	v_fma_f64 v[4:5], v[22:23], v[130:131], -v[4:5]
	v_add_f64 v[2:3], v[2:3], v[4:5]
	v_mul_f64 v[4:5], v[28:29], v[38:39]
	s_waitcnt vmcnt(12)
	v_fma_f64 v[4:5], v[26:27], v[132:133], -v[4:5]
	v_add_f64 v[2:3], v[2:3], v[4:5]
	v_mul_f64 v[4:5], v[88:89], v[34:35]
	v_fma_f64 v[4:5], v[86:87], v[36:37], -v[4:5]
	v_add_f64 v[2:3], v[2:3], v[4:5]
	v_mul_f64 v[4:5], v[92:93], v[116:117]
	s_waitcnt vmcnt(10)
	v_fma_f64 v[4:5], v[90:91], v[134:135], -v[4:5]
	v_add_f64 v[2:3], v[2:3], v[4:5]
	v_mul_f64 v[4:5], v[96:97], v[40:41]
	v_fma_f64 v[4:5], v[94:95], v[114:115], -v[4:5]
	v_fmac_f64_e32 v[148:149], v[24:25], v[130:131]
	v_add_f64 v[2:3], v[2:3], v[4:5]
	v_mul_f64 v[4:5], v[100:101], v[122:123]
	v_fmac_f64_e32 v[150:151], v[28:29], v[132:133]
	v_add_f64 v[144:145], v[144:145], v[148:149]
	s_waitcnt vmcnt(8)
	v_fma_f64 v[4:5], v[98:99], v[136:137], -v[4:5]
	v_add_f64 v[144:145], v[144:145], v[150:151]
	v_add_f64 v[2:3], v[2:3], v[4:5]
	v_mul_f64 v[4:5], v[104:105], v[118:119]
	v_fmac_f64_e32 v[154:155], v[92:93], v[134:135]
	v_add_f64 v[144:145], v[144:145], v[152:153]
	v_fma_f64 v[4:5], v[102:103], v[120:121], -v[4:5]
	v_add_f64 v[144:145], v[144:145], v[154:155]
	v_add_f64 v[2:3], v[2:3], v[4:5]
	v_mul_f64 v[4:5], v[108:109], v[128:129]
	v_fmac_f64_e32 v[158:159], v[100:101], v[136:137]
	v_add_f64 v[144:145], v[144:145], v[156:157]
	s_waitcnt vmcnt(6)
	v_fma_f64 v[4:5], v[106:107], v[138:139], -v[4:5]
	v_add_f64 v[144:145], v[144:145], v[158:159]
	v_add_f64 v[2:3], v[2:3], v[4:5]
	s_waitcnt vmcnt(5) lgkmcnt(0)
	v_mul_f64 v[4:5], v[112:113], v[124:125]
	v_fmac_f64_e32 v[162:163], v[108:109], v[138:139]
	v_add_f64 v[144:145], v[144:145], v[160:161]
	v_mul_f64 v[146:147], v[110:111], v[124:125]
	s_waitcnt vmcnt(4)
	v_fma_f64 v[4:5], v[110:111], v[126:127], -v[4:5]
	v_add_f64 v[144:145], v[144:145], v[162:163]
	v_fmac_f64_e32 v[146:147], v[112:113], v[126:127]
	v_add_f64 v[2:3], v[2:3], v[4:5]
	v_add_f64 v[144:145], v[144:145], v[146:147]
	s_waitcnt vmcnt(2)
	v_add_f64 v[2:3], v[140:141], -v[2:3]
	s_waitcnt vmcnt(0)
	v_add_f64 v[4:5], v[142:143], -v[144:145]
	buffer_store_dword v3, off, s[0:3], 0 offset:260
	buffer_store_dword v2, off, s[0:3], 0 offset:256
	;; [unrolled: 1-line block ×4, first 2 shown]
	s_and_saveexec_b64 s[6:7], vcc
	s_cbranch_execz .LBB27_151
; %bb.150:
	v_accvgpr_read_b32 v5, a40
	buffer_load_dword v2, v5, s[0:3], 0 offen
	buffer_load_dword v3, v5, s[0:3], 0 offen offset:4
	buffer_load_dword v4, v5, s[0:3], 0 offen offset:8
	s_nop 0
	buffer_load_dword v5, v5, s[0:3], 0 offen offset:12
	s_nop 0
	buffer_store_dword v12, off, s[0:3], 0 offset:240
	buffer_store_dword v12, off, s[0:3], 0 offset:244
	;; [unrolled: 1-line block ×4, first 2 shown]
	s_waitcnt vmcnt(4)
	ds_write_b128 v207, v[2:5]
.LBB27_151:
	s_or_b64 exec, exec, s[6:7]
	s_waitcnt lgkmcnt(0)
	; wave barrier
	s_waitcnt lgkmcnt(0)
	buffer_load_dword v2, off, s[0:3], 0 offset:256
	buffer_load_dword v3, off, s[0:3], 0 offset:260
	;; [unrolled: 1-line block ×52, first 2 shown]
	ds_read_b128 v[14:17], v12 offset:704
	ds_read_b128 v[18:21], v12 offset:720
	;; [unrolled: 1-line block ×10, first 2 shown]
	v_cmp_lt_u32_e32 vcc, 14, v206
	s_waitcnt vmcnt(48) lgkmcnt(9)
	v_mul_f64 v[110:111], v[14:15], v[6:7]
	v_mul_f64 v[6:7], v[16:17], v[6:7]
	v_fmac_f64_e32 v[110:111], v[16:17], v[2:3]
	v_fma_f64 v[2:3], v[14:15], v[2:3], -v[6:7]
	s_waitcnt vmcnt(44) lgkmcnt(8)
	v_mul_f64 v[112:113], v[18:19], v[8:9]
	v_mul_f64 v[6:7], v[20:21], v[8:9]
	v_fmac_f64_e32 v[112:113], v[20:21], v[4:5]
	v_add_f64 v[2:3], v[2:3], 0
	v_fma_f64 v[4:5], v[18:19], v[4:5], -v[6:7]
	v_add_f64 v[2:3], v[2:3], v[4:5]
	s_waitcnt vmcnt(42) lgkmcnt(7)
	v_mul_f64 v[4:5], v[24:25], v[10:11]
	v_mul_f64 v[114:115], v[22:23], v[10:11]
	v_add_f64 v[110:111], v[110:111], 0
	s_waitcnt vmcnt(36) lgkmcnt(6)
	v_mul_f64 v[116:117], v[26:27], v[38:39]
	v_add_f64 v[110:111], v[110:111], v[112:113]
	s_waitcnt lgkmcnt(5)
	v_mul_f64 v[152:153], v[86:87], v[34:35]
	v_fmac_f64_e32 v[152:153], v[88:89], v[36:37]
	s_waitcnt vmcnt(34) lgkmcnt(3)
	v_mul_f64 v[156:157], v[94:95], v[40:41]
	s_waitcnt vmcnt(30)
	v_mul_f64 v[154:155], v[90:91], v[120:121]
	v_fmac_f64_e32 v[156:157], v[96:97], v[118:119]
	s_waitcnt vmcnt(26) lgkmcnt(2)
	v_mul_f64 v[158:159], v[98:99], v[126:127]
	s_waitcnt vmcnt(25) lgkmcnt(1)
	v_mul_f64 v[160:161], v[102:103], v[122:123]
	s_waitcnt vmcnt(23)
	v_fma_f64 v[4:5], v[22:23], v[128:129], -v[4:5]
	v_add_f64 v[2:3], v[2:3], v[4:5]
	v_mul_f64 v[4:5], v[28:29], v[38:39]
	s_waitcnt vmcnt(21)
	v_fma_f64 v[4:5], v[26:27], v[130:131], -v[4:5]
	v_fmac_f64_e32 v[114:115], v[24:25], v[128:129]
	v_add_f64 v[2:3], v[2:3], v[4:5]
	v_mul_f64 v[4:5], v[88:89], v[34:35]
	v_fmac_f64_e32 v[116:117], v[28:29], v[130:131]
	v_add_f64 v[110:111], v[110:111], v[114:115]
	v_fma_f64 v[4:5], v[86:87], v[36:37], -v[4:5]
	v_add_f64 v[110:111], v[110:111], v[116:117]
	v_add_f64 v[2:3], v[2:3], v[4:5]
	v_mul_f64 v[4:5], v[92:93], v[120:121]
	s_waitcnt vmcnt(19)
	v_fmac_f64_e32 v[154:155], v[92:93], v[132:133]
	v_add_f64 v[110:111], v[110:111], v[152:153]
	v_fma_f64 v[4:5], v[90:91], v[132:133], -v[4:5]
	v_add_f64 v[110:111], v[110:111], v[154:155]
	v_add_f64 v[2:3], v[2:3], v[4:5]
	v_mul_f64 v[4:5], v[96:97], v[40:41]
	s_waitcnt vmcnt(17)
	v_fmac_f64_e32 v[158:159], v[100:101], v[134:135]
	v_add_f64 v[110:111], v[110:111], v[156:157]
	v_fma_f64 v[4:5], v[94:95], v[118:119], -v[4:5]
	s_waitcnt vmcnt(16)
	v_fmac_f64_e32 v[160:161], v[104:105], v[124:125]
	v_add_f64 v[110:111], v[110:111], v[158:159]
	v_add_f64 v[2:3], v[2:3], v[4:5]
	v_mul_f64 v[4:5], v[100:101], v[126:127]
	v_add_f64 v[152:153], v[110:111], v[160:161]
	ds_read_b128 v[110:113], v12 offset:864
	ds_read_b128 v[114:117], v12 offset:880
	v_fma_f64 v[4:5], v[98:99], v[134:135], -v[4:5]
	v_add_f64 v[2:3], v[2:3], v[4:5]
	v_mul_f64 v[4:5], v[104:105], v[122:123]
	v_fma_f64 v[4:5], v[102:103], v[124:125], -v[4:5]
	v_add_f64 v[2:3], v[2:3], v[4:5]
	s_waitcnt vmcnt(12) lgkmcnt(2)
	v_mul_f64 v[4:5], v[108:109], v[140:141]
	v_mul_f64 v[154:155], v[106:107], v[140:141]
	s_waitcnt vmcnt(10)
	v_fma_f64 v[4:5], v[106:107], v[142:143], -v[4:5]
	v_fmac_f64_e32 v[154:155], v[108:109], v[142:143]
	v_add_f64 v[2:3], v[2:3], v[4:5]
	s_waitcnt vmcnt(8) lgkmcnt(1)
	v_mul_f64 v[4:5], v[112:113], v[136:137]
	v_add_f64 v[12:13], v[152:153], v[154:155]
	v_mul_f64 v[152:153], v[110:111], v[136:137]
	v_fma_f64 v[4:5], v[110:111], v[138:139], -v[4:5]
	v_fmac_f64_e32 v[152:153], v[112:113], v[138:139]
	v_add_f64 v[2:3], v[2:3], v[4:5]
	s_waitcnt vmcnt(6) lgkmcnt(0)
	v_mul_f64 v[4:5], v[116:117], v[144:145]
	v_add_f64 v[12:13], v[12:13], v[152:153]
	v_mul_f64 v[152:153], v[114:115], v[144:145]
	s_waitcnt vmcnt(4)
	v_fma_f64 v[4:5], v[114:115], v[146:147], -v[4:5]
	v_fmac_f64_e32 v[152:153], v[116:117], v[146:147]
	v_add_f64 v[2:3], v[2:3], v[4:5]
	v_add_f64 v[12:13], v[12:13], v[152:153]
	s_waitcnt vmcnt(2)
	v_add_f64 v[2:3], v[148:149], -v[2:3]
	s_waitcnt vmcnt(0)
	v_add_f64 v[4:5], v[150:151], -v[12:13]
	buffer_store_dword v3, off, s[0:3], 0 offset:244
	buffer_store_dword v2, off, s[0:3], 0 offset:240
	;; [unrolled: 1-line block ×4, first 2 shown]
	s_and_saveexec_b64 s[6:7], vcc
	s_cbranch_execz .LBB27_153
; %bb.152:
	v_accvgpr_read_b32 v5, a41
	buffer_load_dword v2, v5, s[0:3], 0 offen
	buffer_load_dword v3, v5, s[0:3], 0 offen offset:4
	buffer_load_dword v4, v5, s[0:3], 0 offen offset:8
	s_nop 0
	buffer_load_dword v5, v5, s[0:3], 0 offen offset:12
	v_mov_b32_e32 v6, 0
	buffer_store_dword v6, off, s[0:3], 0 offset:224
	buffer_store_dword v6, off, s[0:3], 0 offset:228
	buffer_store_dword v6, off, s[0:3], 0 offset:232
	buffer_store_dword v6, off, s[0:3], 0 offset:236
	s_waitcnt vmcnt(4)
	ds_write_b128 v207, v[2:5]
.LBB27_153:
	s_or_b64 exec, exec, s[6:7]
	s_waitcnt lgkmcnt(0)
	; wave barrier
	s_waitcnt lgkmcnt(0)
	buffer_load_dword v2, off, s[0:3], 0 offset:240
	buffer_load_dword v3, off, s[0:3], 0 offset:244
	buffer_load_dword v6, off, s[0:3], 0 offset:248
	buffer_load_dword v7, off, s[0:3], 0 offset:252
	buffer_load_dword v4, off, s[0:3], 0 offset:256
	buffer_load_dword v5, off, s[0:3], 0 offset:260
	buffer_load_dword v8, off, s[0:3], 0 offset:264
	buffer_load_dword v9, off, s[0:3], 0 offset:268
	buffer_load_dword v10, off, s[0:3], 0 offset:280
	buffer_load_dword v11, off, s[0:3], 0 offset:284
	buffer_load_dword v13, off, s[0:3], 0 offset:316
	buffer_load_dword v12, off, s[0:3], 0 offset:312
	buffer_load_dword v15, off, s[0:3], 0 offset:308
	buffer_load_dword v14, off, s[0:3], 0 offset:304
	buffer_load_dword v17, off, s[0:3], 0 offset:300
	buffer_load_dword v16, off, s[0:3], 0 offset:296
	buffer_load_dword v22, off, s[0:3], 0 offset:344
	buffer_load_dword v34, off, s[0:3], 0 offset:336
	buffer_load_dword v37, off, s[0:3], 0 offset:332
	buffer_load_dword v36, off, s[0:3], 0 offset:328
	buffer_load_dword v23, off, s[0:3], 0 offset:348
	buffer_load_dword v38, off, s[0:3], 0 offset:272
	buffer_load_dword v39, off, s[0:3], 0 offset:276
	buffer_load_dword v41, off, s[0:3], 0 offset:292
	buffer_load_dword v40, off, s[0:3], 0 offset:288
	buffer_load_dword v131, off, s[0:3], 0 offset:324
	buffer_load_dword v130, off, s[0:3], 0 offset:320
	buffer_load_dword v35, off, s[0:3], 0 offset:340
	buffer_load_dword v132, off, s[0:3], 0 offset:376
	buffer_load_dword v134, off, s[0:3], 0 offset:368
	buffer_load_dword v137, off, s[0:3], 0 offset:364
	buffer_load_dword v136, off, s[0:3], 0 offset:360
	buffer_load_dword v139, off, s[0:3], 0 offset:356
	buffer_load_dword v138, off, s[0:3], 0 offset:352
	buffer_load_dword v135, off, s[0:3], 0 offset:372
	buffer_load_dword v133, off, s[0:3], 0 offset:380
	buffer_load_dword v140, off, s[0:3], 0 offset:408
	buffer_load_dword v142, off, s[0:3], 0 offset:400
	buffer_load_dword v145, off, s[0:3], 0 offset:396
	buffer_load_dword v144, off, s[0:3], 0 offset:392
	buffer_load_dword v147, off, s[0:3], 0 offset:388
	buffer_load_dword v146, off, s[0:3], 0 offset:384
	buffer_load_dword v143, off, s[0:3], 0 offset:404
	buffer_load_dword v141, off, s[0:3], 0 offset:412
	buffer_load_dword v148, off, s[0:3], 0 offset:440
	buffer_load_dword v150, off, s[0:3], 0 offset:432
	buffer_load_dword v153, off, s[0:3], 0 offset:428
	buffer_load_dword v152, off, s[0:3], 0 offset:424
	buffer_load_dword v155, off, s[0:3], 0 offset:420
	buffer_load_dword v154, off, s[0:3], 0 offset:416
	buffer_load_dword v149, off, s[0:3], 0 offset:444
	buffer_load_dword v151, off, s[0:3], 0 offset:436
	buffer_load_dword v156, off, s[0:3], 0 offset:224
	buffer_load_dword v157, off, s[0:3], 0 offset:228
	buffer_load_dword v158, off, s[0:3], 0 offset:232
	buffer_load_dword v159, off, s[0:3], 0 offset:236
	v_mov_b32_e32 v24, 0
	ds_read_b128 v[18:21], v24 offset:688
	ds_read_b128 v[26:29], v24 offset:704
	;; [unrolled: 1-line block ×9, first 2 shown]
	v_cmp_lt_u32_e32 vcc, 13, v206
	s_waitcnt vmcnt(52) lgkmcnt(8)
	v_mul_f64 v[110:111], v[18:19], v[6:7]
	v_fmac_f64_e32 v[110:111], v[20:21], v[2:3]
	v_mul_f64 v[6:7], v[20:21], v[6:7]
	v_add_f64 v[110:111], v[110:111], 0
	s_waitcnt vmcnt(48) lgkmcnt(7)
	v_mul_f64 v[112:113], v[26:27], v[8:9]
	v_fmac_f64_e32 v[112:113], v[28:29], v[4:5]
	s_waitcnt vmcnt(46) lgkmcnt(6)
	v_mul_f64 v[114:115], v[86:87], v[10:11]
	v_fma_f64 v[2:3], v[18:19], v[2:3], -v[6:7]
	v_mul_f64 v[6:7], v[28:29], v[8:9]
	v_add_f64 v[110:111], v[110:111], v[112:113]
	v_add_f64 v[2:3], v[2:3], 0
	v_fma_f64 v[4:5], v[26:27], v[4:5], -v[6:7]
	s_waitcnt vmcnt(40) lgkmcnt(5)
	v_mul_f64 v[116:117], v[90:91], v[16:17]
	s_waitcnt lgkmcnt(4)
	v_mul_f64 v[118:119], v[94:95], v[12:13]
	v_add_f64 v[2:3], v[2:3], v[4:5]
	v_mul_f64 v[4:5], v[88:89], v[10:11]
	s_waitcnt vmcnt(36) lgkmcnt(3)
	v_mul_f64 v[120:121], v[98:99], v[36:37]
	v_fmac_f64_e32 v[118:119], v[96:97], v[14:15]
	s_waitcnt vmcnt(35) lgkmcnt(2)
	v_mul_f64 v[122:123], v[102:103], v[22:23]
	s_waitcnt vmcnt(33)
	v_fmac_f64_e32 v[114:115], v[88:89], v[38:39]
	v_add_f64 v[110:111], v[110:111], v[114:115]
	s_waitcnt vmcnt(31)
	v_fmac_f64_e32 v[116:117], v[92:93], v[40:41]
	v_add_f64 v[110:111], v[110:111], v[116:117]
	v_fma_f64 v[4:5], v[86:87], v[38:39], -v[4:5]
	s_waitcnt vmcnt(29)
	v_fmac_f64_e32 v[120:121], v[100:101], v[130:131]
	v_add_f64 v[110:111], v[110:111], v[118:119]
	v_add_f64 v[2:3], v[2:3], v[4:5]
	v_mul_f64 v[4:5], v[92:93], v[16:17]
	s_waitcnt vmcnt(28)
	v_fmac_f64_e32 v[122:123], v[104:105], v[34:35]
	v_add_f64 v[110:111], v[110:111], v[120:121]
	v_fma_f64 v[4:5], v[90:91], v[40:41], -v[4:5]
	v_add_f64 v[114:115], v[110:111], v[122:123]
	ds_read_b128 v[110:113], v24 offset:816
	s_waitcnt vmcnt(24) lgkmcnt(2)
	v_mul_f64 v[116:117], v[106:107], v[136:137]
	v_add_f64 v[2:3], v[2:3], v[4:5]
	v_mul_f64 v[4:5], v[96:97], v[12:13]
	s_waitcnt vmcnt(22)
	v_fmac_f64_e32 v[116:117], v[108:109], v[138:139]
	v_fma_f64 v[4:5], v[94:95], v[14:15], -v[4:5]
	v_add_f64 v[118:119], v[114:115], v[116:117]
	ds_read_b128 v[114:117], v24 offset:832
	v_add_f64 v[2:3], v[2:3], v[4:5]
	v_mul_f64 v[4:5], v[100:101], v[36:37]
	v_fma_f64 v[4:5], v[98:99], v[130:131], -v[4:5]
	v_add_f64 v[2:3], v[2:3], v[4:5]
	v_mul_f64 v[4:5], v[104:105], v[22:23]
	s_waitcnt vmcnt(20) lgkmcnt(1)
	v_mul_f64 v[120:121], v[110:111], v[132:133]
	v_fma_f64 v[4:5], v[102:103], v[34:35], -v[4:5]
	v_fmac_f64_e32 v[120:121], v[112:113], v[134:135]
	v_add_f64 v[2:3], v[2:3], v[4:5]
	v_mul_f64 v[4:5], v[108:109], v[136:137]
	v_add_f64 v[122:123], v[118:119], v[120:121]
	ds_read_b128 v[118:121], v24 offset:848
	s_waitcnt vmcnt(16) lgkmcnt(1)
	v_mul_f64 v[124:125], v[114:115], v[144:145]
	v_fma_f64 v[4:5], v[106:107], v[138:139], -v[4:5]
	s_waitcnt vmcnt(14)
	v_fmac_f64_e32 v[124:125], v[116:117], v[146:147]
	v_add_f64 v[2:3], v[2:3], v[4:5]
	v_mul_f64 v[4:5], v[112:113], v[132:133]
	v_add_f64 v[160:161], v[122:123], v[124:125]
	ds_read_b128 v[122:125], v24 offset:864
	v_fma_f64 v[4:5], v[110:111], v[134:135], -v[4:5]
	v_add_f64 v[2:3], v[2:3], v[4:5]
	v_mul_f64 v[4:5], v[116:117], v[144:145]
	v_fma_f64 v[4:5], v[114:115], v[146:147], -v[4:5]
	v_add_f64 v[2:3], v[2:3], v[4:5]
	s_waitcnt vmcnt(12) lgkmcnt(1)
	v_mul_f64 v[4:5], v[120:121], v[140:141]
	v_mul_f64 v[162:163], v[118:119], v[140:141]
	v_fma_f64 v[4:5], v[118:119], v[142:143], -v[4:5]
	v_fmac_f64_e32 v[162:163], v[120:121], v[142:143]
	v_add_f64 v[2:3], v[2:3], v[4:5]
	s_waitcnt vmcnt(8) lgkmcnt(0)
	v_mul_f64 v[4:5], v[124:125], v[152:153]
	v_add_f64 v[160:161], v[160:161], v[162:163]
	v_mul_f64 v[162:163], v[122:123], v[152:153]
	s_waitcnt vmcnt(6)
	v_fma_f64 v[4:5], v[122:123], v[154:155], -v[4:5]
	v_fmac_f64_e32 v[162:163], v[124:125], v[154:155]
	v_add_f64 v[2:3], v[2:3], v[4:5]
	s_waitcnt vmcnt(5)
	v_mul_f64 v[4:5], v[128:129], v[148:149]
	v_add_f64 v[160:161], v[160:161], v[162:163]
	v_mul_f64 v[162:163], v[126:127], v[148:149]
	s_waitcnt vmcnt(4)
	v_fma_f64 v[4:5], v[126:127], v[150:151], -v[4:5]
	v_fmac_f64_e32 v[162:163], v[128:129], v[150:151]
	v_add_f64 v[2:3], v[2:3], v[4:5]
	v_add_f64 v[160:161], v[160:161], v[162:163]
	s_waitcnt vmcnt(2)
	v_add_f64 v[2:3], v[156:157], -v[2:3]
	s_waitcnt vmcnt(0)
	v_add_f64 v[4:5], v[158:159], -v[160:161]
	buffer_store_dword v3, off, s[0:3], 0 offset:228
	buffer_store_dword v2, off, s[0:3], 0 offset:224
	;; [unrolled: 1-line block ×4, first 2 shown]
	s_and_saveexec_b64 s[6:7], vcc
	s_cbranch_execz .LBB27_155
; %bb.154:
	v_accvgpr_read_b32 v5, a42
	buffer_load_dword v2, v5, s[0:3], 0 offen
	buffer_load_dword v3, v5, s[0:3], 0 offen offset:4
	buffer_load_dword v4, v5, s[0:3], 0 offen offset:8
	s_nop 0
	buffer_load_dword v5, v5, s[0:3], 0 offen offset:12
	s_nop 0
	buffer_store_dword v24, off, s[0:3], 0 offset:208
	buffer_store_dword v24, off, s[0:3], 0 offset:212
	;; [unrolled: 1-line block ×4, first 2 shown]
	s_waitcnt vmcnt(4)
	ds_write_b128 v207, v[2:5]
.LBB27_155:
	s_or_b64 exec, exec, s[6:7]
	s_waitcnt lgkmcnt(0)
	; wave barrier
	s_waitcnt lgkmcnt(0)
	buffer_load_dword v2, off, s[0:3], 0 offset:224
	buffer_load_dword v3, off, s[0:3], 0 offset:228
	;; [unrolled: 1-line block ×60, first 2 shown]
	ds_read_b128 v[26:29], v24 offset:672
	ds_read_b128 v[86:89], v24 offset:688
	;; [unrolled: 1-line block ×8, first 2 shown]
	v_cmp_lt_u32_e32 vcc, 12, v206
	ds_read_b128 v[134:137], v24 offset:880
	s_waitcnt vmcnt(56) lgkmcnt(8)
	v_mul_f64 v[114:115], v[26:27], v[6:7]
	v_fmac_f64_e32 v[114:115], v[28:29], v[2:3]
	v_add_f64 v[114:115], v[114:115], 0
	v_mul_f64 v[6:7], v[28:29], v[6:7]
	s_waitcnt vmcnt(52) lgkmcnt(7)
	v_mul_f64 v[116:117], v[86:87], v[8:9]
	v_fmac_f64_e32 v[116:117], v[88:89], v[4:5]
	s_waitcnt vmcnt(50) lgkmcnt(6)
	v_mul_f64 v[118:119], v[90:91], v[10:11]
	v_add_f64 v[114:115], v[114:115], v[116:117]
	s_waitcnt vmcnt(48) lgkmcnt(4)
	v_mul_f64 v[122:123], v[98:99], v[12:13]
	v_fma_f64 v[2:3], v[26:27], v[2:3], -v[6:7]
	s_waitcnt vmcnt(46)
	v_fmac_f64_e32 v[122:123], v[100:101], v[14:15]
	v_mul_f64 v[6:7], v[88:89], v[8:9]
	s_waitcnt vmcnt(44)
	v_mul_f64 v[120:121], v[94:95], v[16:17]
	v_add_f64 v[2:3], v[2:3], 0
	v_fma_f64 v[4:5], v[86:87], v[4:5], -v[6:7]
	v_add_f64 v[2:3], v[2:3], v[4:5]
	s_waitcnt vmcnt(40) lgkmcnt(3)
	v_mul_f64 v[124:125], v[102:103], v[22:23]
	v_mul_f64 v[4:5], v[92:93], v[10:11]
	s_waitcnt vmcnt(38)
	v_fmac_f64_e32 v[118:119], v[92:93], v[34:35]
	v_add_f64 v[114:115], v[114:115], v[118:119]
	s_waitcnt vmcnt(36)
	v_fmac_f64_e32 v[120:121], v[96:97], v[36:37]
	v_add_f64 v[114:115], v[114:115], v[120:121]
	;; [unrolled: 3-line block ×3, first 2 shown]
	s_waitcnt vmcnt(32) lgkmcnt(2)
	v_mul_f64 v[116:117], v[106:107], v[18:19]
	v_add_f64 v[114:115], v[114:115], v[124:125]
	v_fmac_f64_e32 v[116:117], v[108:109], v[20:21]
	v_add_f64 v[118:119], v[114:115], v[116:117]
	ds_read_b128 v[114:117], v24 offset:800
	v_fma_f64 v[4:5], v[90:91], v[34:35], -v[4:5]
	v_add_f64 v[2:3], v[2:3], v[4:5]
	v_mul_f64 v[4:5], v[96:97], v[16:17]
	v_fma_f64 v[4:5], v[94:95], v[36:37], -v[4:5]
	s_waitcnt vmcnt(28) lgkmcnt(2)
	v_mul_f64 v[120:121], v[110:111], v[140:141]
	v_add_f64 v[2:3], v[2:3], v[4:5]
	v_mul_f64 v[4:5], v[100:101], v[12:13]
	s_waitcnt vmcnt(26)
	v_fmac_f64_e32 v[120:121], v[112:113], v[142:143]
	v_fma_f64 v[4:5], v[98:99], v[14:15], -v[4:5]
	v_add_f64 v[122:123], v[118:119], v[120:121]
	ds_read_b128 v[118:121], v24 offset:816
	s_waitcnt vmcnt(24) lgkmcnt(1)
	v_mul_f64 v[124:125], v[114:115], v[40:41]
	v_add_f64 v[2:3], v[2:3], v[4:5]
	v_mul_f64 v[4:5], v[104:105], v[22:23]
	v_fmac_f64_e32 v[124:125], v[116:117], v[138:139]
	v_fma_f64 v[4:5], v[102:103], v[38:39], -v[4:5]
	v_add_f64 v[126:127], v[122:123], v[124:125]
	ds_read_b128 v[122:125], v24 offset:832
	v_add_f64 v[2:3], v[2:3], v[4:5]
	v_mul_f64 v[4:5], v[108:109], v[18:19]
	v_fma_f64 v[4:5], v[106:107], v[20:21], -v[4:5]
	v_add_f64 v[2:3], v[2:3], v[4:5]
	v_mul_f64 v[4:5], v[112:113], v[140:141]
	s_waitcnt vmcnt(20) lgkmcnt(1)
	v_mul_f64 v[128:129], v[118:119], v[148:149]
	v_fma_f64 v[4:5], v[110:111], v[142:143], -v[4:5]
	s_waitcnt vmcnt(18)
	v_fmac_f64_e32 v[128:129], v[120:121], v[150:151]
	v_add_f64 v[2:3], v[2:3], v[4:5]
	v_mul_f64 v[4:5], v[116:117], v[40:41]
	v_add_f64 v[130:131], v[126:127], v[128:129]
	ds_read_b128 v[126:129], v24 offset:848
	s_waitcnt vmcnt(16) lgkmcnt(1)
	v_mul_f64 v[132:133], v[122:123], v[144:145]
	v_fma_f64 v[4:5], v[114:115], v[138:139], -v[4:5]
	v_fmac_f64_e32 v[132:133], v[124:125], v[146:147]
	v_add_f64 v[2:3], v[2:3], v[4:5]
	v_mul_f64 v[4:5], v[120:121], v[148:149]
	v_add_f64 v[168:169], v[130:131], v[132:133]
	ds_read_b128 v[130:133], v24 offset:864
	v_fma_f64 v[4:5], v[118:119], v[150:151], -v[4:5]
	v_add_f64 v[2:3], v[2:3], v[4:5]
	v_mul_f64 v[4:5], v[124:125], v[144:145]
	v_fma_f64 v[4:5], v[122:123], v[146:147], -v[4:5]
	v_add_f64 v[2:3], v[2:3], v[4:5]
	s_waitcnt vmcnt(12) lgkmcnt(1)
	v_mul_f64 v[4:5], v[128:129], v[156:157]
	v_mul_f64 v[172:173], v[126:127], v[156:157]
	s_waitcnt vmcnt(10)
	v_fma_f64 v[4:5], v[126:127], v[158:159], -v[4:5]
	v_fmac_f64_e32 v[172:173], v[128:129], v[158:159]
	v_add_f64 v[2:3], v[2:3], v[4:5]
	s_waitcnt vmcnt(8) lgkmcnt(0)
	v_mul_f64 v[4:5], v[132:133], v[152:153]
	v_add_f64 v[24:25], v[168:169], v[172:173]
	v_mul_f64 v[168:169], v[130:131], v[152:153]
	v_fma_f64 v[4:5], v[130:131], v[154:155], -v[4:5]
	v_fmac_f64_e32 v[168:169], v[132:133], v[154:155]
	v_add_f64 v[2:3], v[2:3], v[4:5]
	s_waitcnt vmcnt(6)
	v_mul_f64 v[4:5], v[136:137], v[160:161]
	v_add_f64 v[24:25], v[24:25], v[168:169]
	v_mul_f64 v[168:169], v[134:135], v[160:161]
	s_waitcnt vmcnt(4)
	v_fma_f64 v[4:5], v[134:135], v[162:163], -v[4:5]
	v_fmac_f64_e32 v[168:169], v[136:137], v[162:163]
	v_add_f64 v[2:3], v[2:3], v[4:5]
	v_add_f64 v[24:25], v[24:25], v[168:169]
	s_waitcnt vmcnt(2)
	v_add_f64 v[2:3], v[164:165], -v[2:3]
	s_waitcnt vmcnt(0)
	v_add_f64 v[4:5], v[166:167], -v[24:25]
	buffer_store_dword v3, off, s[0:3], 0 offset:212
	buffer_store_dword v2, off, s[0:3], 0 offset:208
	;; [unrolled: 1-line block ×4, first 2 shown]
	s_and_saveexec_b64 s[6:7], vcc
	s_cbranch_execz .LBB27_157
; %bb.156:
	v_accvgpr_read_b32 v5, a43
	buffer_load_dword v2, v5, s[0:3], 0 offen
	buffer_load_dword v3, v5, s[0:3], 0 offen offset:4
	buffer_load_dword v4, v5, s[0:3], 0 offen offset:8
	s_nop 0
	buffer_load_dword v5, v5, s[0:3], 0 offen offset:12
	v_mov_b32_e32 v6, 0
	buffer_store_dword v6, off, s[0:3], 0 offset:192
	buffer_store_dword v6, off, s[0:3], 0 offset:196
	;; [unrolled: 1-line block ×4, first 2 shown]
	s_waitcnt vmcnt(4)
	ds_write_b128 v207, v[2:5]
.LBB27_157:
	s_or_b64 exec, exec, s[6:7]
	s_waitcnt lgkmcnt(0)
	; wave barrier
	s_waitcnt lgkmcnt(0)
	buffer_load_dword v2, off, s[0:3], 0 offset:208
	buffer_load_dword v3, off, s[0:3], 0 offset:212
	;; [unrolled: 1-line block ×64, first 2 shown]
	v_mov_b32_e32 v94, 0
	ds_read_b128 v[86:89], v94 offset:656
	ds_read_b128 v[90:93], v94 offset:672
	;; [unrolled: 1-line block ×7, first 2 shown]
	v_cmp_lt_u32_e32 vcc, 11, v206
	s_waitcnt vmcnt(60) lgkmcnt(6)
	v_mul_f64 v[112:113], v[86:87], v[6:7]
	v_fmac_f64_e32 v[112:113], v[88:89], v[2:3]
	v_add_f64 v[112:113], v[112:113], 0
	v_mul_f64 v[6:7], v[88:89], v[6:7]
	s_waitcnt vmcnt(56) lgkmcnt(5)
	v_mul_f64 v[114:115], v[90:91], v[8:9]
	v_fmac_f64_e32 v[114:115], v[92:93], v[4:5]
	s_waitcnt vmcnt(54) lgkmcnt(4)
	v_mul_f64 v[116:117], v[96:97], v[10:11]
	v_add_f64 v[112:113], v[112:113], v[114:115]
	v_fma_f64 v[2:3], v[86:87], v[2:3], -v[6:7]
	v_mul_f64 v[6:7], v[92:93], v[8:9]
	s_waitcnt vmcnt(50) lgkmcnt(3)
	v_mul_f64 v[118:119], v[100:101], v[16:17]
	s_waitcnt vmcnt(49) lgkmcnt(2)
	v_mul_f64 v[120:121], v[104:105], v[12:13]
	v_add_f64 v[2:3], v[2:3], 0
	s_waitcnt vmcnt(47)
	v_fmac_f64_e32 v[116:117], v[98:99], v[20:21]
	v_add_f64 v[112:113], v[112:113], v[116:117]
	s_waitcnt vmcnt(45)
	v_fmac_f64_e32 v[118:119], v[102:103], v[18:19]
	v_add_f64 v[112:113], v[112:113], v[118:119]
	s_waitcnt vmcnt(44)
	v_fmac_f64_e32 v[120:121], v[106:107], v[14:15]
	v_add_f64 v[116:117], v[112:113], v[120:121]
	ds_read_b128 v[112:115], v94 offset:752
	s_waitcnt vmcnt(40) lgkmcnt(2)
	v_mul_f64 v[118:119], v[108:109], v[26:27]
	v_fma_f64 v[4:5], v[90:91], v[4:5], -v[6:7]
	s_waitcnt vmcnt(38)
	v_fmac_f64_e32 v[118:119], v[110:111], v[28:29]
	v_add_f64 v[120:121], v[116:117], v[118:119]
	ds_read_b128 v[116:119], v94 offset:768
	s_waitcnt vmcnt(36) lgkmcnt(1)
	v_mul_f64 v[122:123], v[112:113], v[22:23]
	v_fmac_f64_e32 v[122:123], v[114:115], v[24:25]
	v_add_f64 v[2:3], v[2:3], v[4:5]
	v_mul_f64 v[4:5], v[98:99], v[10:11]
	v_add_f64 v[124:125], v[120:121], v[122:123]
	ds_read_b128 v[120:123], v94 offset:784
	s_waitcnt vmcnt(32) lgkmcnt(1)
	v_mul_f64 v[126:127], v[116:117], v[38:39]
	v_fma_f64 v[4:5], v[96:97], v[20:21], -v[4:5]
	s_waitcnt vmcnt(30)
	v_fmac_f64_e32 v[126:127], v[118:119], v[40:41]
	v_add_f64 v[2:3], v[2:3], v[4:5]
	v_mul_f64 v[4:5], v[102:103], v[16:17]
	v_add_f64 v[128:129], v[124:125], v[126:127]
	ds_read_b128 v[124:127], v94 offset:800
	v_fma_f64 v[4:5], v[100:101], v[18:19], -v[4:5]
	v_add_f64 v[2:3], v[2:3], v[4:5]
	v_mul_f64 v[4:5], v[106:107], v[12:13]
	v_fma_f64 v[4:5], v[104:105], v[14:15], -v[4:5]
	s_waitcnt vmcnt(28) lgkmcnt(1)
	v_mul_f64 v[130:131], v[120:121], v[34:35]
	v_add_f64 v[2:3], v[2:3], v[4:5]
	v_mul_f64 v[4:5], v[110:111], v[26:27]
	v_fmac_f64_e32 v[130:131], v[122:123], v[36:37]
	v_fma_f64 v[4:5], v[108:109], v[28:29], -v[4:5]
	v_add_f64 v[132:133], v[128:129], v[130:131]
	ds_read_b128 v[128:131], v94 offset:816
	s_waitcnt vmcnt(24) lgkmcnt(1)
	v_mul_f64 v[134:135], v[124:125], v[152:153]
	v_add_f64 v[2:3], v[2:3], v[4:5]
	v_mul_f64 v[4:5], v[114:115], v[22:23]
	s_waitcnt vmcnt(22)
	v_fmac_f64_e32 v[134:135], v[126:127], v[154:155]
	v_fma_f64 v[4:5], v[112:113], v[24:25], -v[4:5]
	v_add_f64 v[136:137], v[132:133], v[134:135]
	ds_read_b128 v[132:135], v94 offset:832
	v_add_f64 v[2:3], v[2:3], v[4:5]
	v_mul_f64 v[4:5], v[118:119], v[38:39]
	v_fma_f64 v[4:5], v[116:117], v[40:41], -v[4:5]
	v_add_f64 v[2:3], v[2:3], v[4:5]
	v_mul_f64 v[4:5], v[122:123], v[34:35]
	s_waitcnt vmcnt(20) lgkmcnt(1)
	v_mul_f64 v[138:139], v[128:129], v[148:149]
	v_fma_f64 v[4:5], v[120:121], v[36:37], -v[4:5]
	v_fmac_f64_e32 v[138:139], v[130:131], v[150:151]
	v_add_f64 v[2:3], v[2:3], v[4:5]
	v_mul_f64 v[4:5], v[126:127], v[152:153]
	v_add_f64 v[140:141], v[136:137], v[138:139]
	ds_read_b128 v[136:139], v94 offset:848
	s_waitcnt vmcnt(16) lgkmcnt(1)
	v_mul_f64 v[142:143], v[132:133], v[160:161]
	v_fma_f64 v[4:5], v[124:125], v[154:155], -v[4:5]
	s_waitcnt vmcnt(14)
	v_fmac_f64_e32 v[142:143], v[134:135], v[162:163]
	v_add_f64 v[2:3], v[2:3], v[4:5]
	v_mul_f64 v[4:5], v[130:131], v[148:149]
	v_add_f64 v[178:179], v[140:141], v[142:143]
	ds_read_b128 v[140:143], v94 offset:864
	v_fma_f64 v[4:5], v[128:129], v[150:151], -v[4:5]
	v_add_f64 v[2:3], v[2:3], v[4:5]
	v_mul_f64 v[4:5], v[134:135], v[160:161]
	v_fma_f64 v[4:5], v[132:133], v[162:163], -v[4:5]
	v_add_f64 v[2:3], v[2:3], v[4:5]
	s_waitcnt vmcnt(12) lgkmcnt(1)
	v_mul_f64 v[4:5], v[138:139], v[156:157]
	v_mul_f64 v[180:181], v[136:137], v[156:157]
	v_fma_f64 v[4:5], v[136:137], v[158:159], -v[4:5]
	v_fmac_f64_e32 v[180:181], v[138:139], v[158:159]
	v_add_f64 v[2:3], v[2:3], v[4:5]
	s_waitcnt vmcnt(8) lgkmcnt(0)
	v_mul_f64 v[4:5], v[142:143], v[168:169]
	v_add_f64 v[178:179], v[178:179], v[180:181]
	v_mul_f64 v[180:181], v[140:141], v[168:169]
	s_waitcnt vmcnt(6)
	v_fma_f64 v[4:5], v[140:141], v[172:173], -v[4:5]
	v_fmac_f64_e32 v[180:181], v[142:143], v[172:173]
	v_add_f64 v[2:3], v[2:3], v[4:5]
	s_waitcnt vmcnt(5)
	v_mul_f64 v[4:5], v[146:147], v[164:165]
	v_add_f64 v[178:179], v[178:179], v[180:181]
	v_mul_f64 v[180:181], v[144:145], v[164:165]
	s_waitcnt vmcnt(4)
	v_fma_f64 v[4:5], v[144:145], v[166:167], -v[4:5]
	v_fmac_f64_e32 v[180:181], v[146:147], v[166:167]
	v_add_f64 v[2:3], v[2:3], v[4:5]
	v_add_f64 v[178:179], v[178:179], v[180:181]
	s_waitcnt vmcnt(2)
	v_add_f64 v[2:3], v[174:175], -v[2:3]
	s_waitcnt vmcnt(0)
	v_add_f64 v[4:5], v[176:177], -v[178:179]
	buffer_store_dword v3, off, s[0:3], 0 offset:196
	buffer_store_dword v2, off, s[0:3], 0 offset:192
	;; [unrolled: 1-line block ×4, first 2 shown]
	s_and_saveexec_b64 s[6:7], vcc
	s_cbranch_execz .LBB27_159
; %bb.158:
	v_accvgpr_read_b32 v5, a44
	buffer_load_dword v2, v5, s[0:3], 0 offen
	buffer_load_dword v3, v5, s[0:3], 0 offen offset:4
	buffer_load_dword v4, v5, s[0:3], 0 offen offset:8
	s_nop 0
	buffer_load_dword v5, v5, s[0:3], 0 offen offset:12
	s_nop 0
	buffer_store_dword v94, off, s[0:3], 0 offset:176
	buffer_store_dword v94, off, s[0:3], 0 offset:180
	;; [unrolled: 1-line block ×4, first 2 shown]
	s_waitcnt vmcnt(4)
	ds_write_b128 v207, v[2:5]
.LBB27_159:
	s_or_b64 exec, exec, s[6:7]
	s_waitcnt lgkmcnt(0)
	; wave barrier
	s_waitcnt lgkmcnt(0)
	buffer_load_dword v2, off, s[0:3], 0 offset:192
	buffer_load_dword v3, off, s[0:3], 0 offset:196
	buffer_load_dword v4, off, s[0:3], 0 offset:200
	buffer_load_dword v5, off, s[0:3], 0 offset:204
	buffer_load_dword v6, off, s[0:3], 0 offset:216
	buffer_load_dword v7, off, s[0:3], 0 offset:220
	buffer_load_dword v8, off, s[0:3], 0 offset:232
	buffer_load_dword v9, off, s[0:3], 0 offset:236
	buffer_load_dword v10, off, s[0:3], 0 offset:264
	buffer_load_dword v12, off, s[0:3], 0 offset:256
	buffer_load_dword v15, off, s[0:3], 0 offset:252
	buffer_load_dword v14, off, s[0:3], 0 offset:248
	buffer_load_dword v20, off, s[0:3], 0 offset:208
	buffer_load_dword v21, off, s[0:3], 0 offset:212
	buffer_load_dword v18, off, s[0:3], 0 offset:224
	buffer_load_dword v19, off, s[0:3], 0 offset:228
	buffer_load_dword v17, off, s[0:3], 0 offset:244
	buffer_load_dword v16, off, s[0:3], 0 offset:240
	buffer_load_dword v13, off, s[0:3], 0 offset:260
	buffer_load_dword v11, off, s[0:3], 0 offset:268
	buffer_load_dword v22, off, s[0:3], 0 offset:296
	buffer_load_dword v24, off, s[0:3], 0 offset:288
	buffer_load_dword v27, off, s[0:3], 0 offset:284
	buffer_load_dword v26, off, s[0:3], 0 offset:280
	buffer_load_dword v29, off, s[0:3], 0 offset:276
	buffer_load_dword v28, off, s[0:3], 0 offset:272
	buffer_load_dword v25, off, s[0:3], 0 offset:292
	buffer_load_dword v23, off, s[0:3], 0 offset:300
	buffer_load_dword v86, off, s[0:3], 0 offset:328
	buffer_load_dword v88, off, s[0:3], 0 offset:320
	buffer_load_dword v91, off, s[0:3], 0 offset:316
	buffer_load_dword v90, off, s[0:3], 0 offset:312
	buffer_load_dword v93, off, s[0:3], 0 offset:308
	buffer_load_dword v92, off, s[0:3], 0 offset:304
	buffer_load_dword v89, off, s[0:3], 0 offset:324
	buffer_load_dword v87, off, s[0:3], 0 offset:332
	buffer_load_dword v34, off, s[0:3], 0 offset:360
	buffer_load_dword v36, off, s[0:3], 0 offset:352
	buffer_load_dword v39, off, s[0:3], 0 offset:348
	buffer_load_dword v38, off, s[0:3], 0 offset:344
	buffer_load_dword v41, off, s[0:3], 0 offset:340
	buffer_load_dword v40, off, s[0:3], 0 offset:336
	buffer_load_dword v37, off, s[0:3], 0 offset:356
	buffer_load_dword v35, off, s[0:3], 0 offset:364
	buffer_load_dword v160, off, s[0:3], 0 offset:392
	buffer_load_dword v162, off, s[0:3], 0 offset:384
	buffer_load_dword v165, off, s[0:3], 0 offset:380
	buffer_load_dword v164, off, s[0:3], 0 offset:376
	buffer_load_dword v167, off, s[0:3], 0 offset:372
	buffer_load_dword v166, off, s[0:3], 0 offset:368
	buffer_load_dword v163, off, s[0:3], 0 offset:388
	buffer_load_dword v161, off, s[0:3], 0 offset:396
	buffer_load_dword v168, off, s[0:3], 0 offset:424
	buffer_load_dword v172, off, s[0:3], 0 offset:416
	buffer_load_dword v175, off, s[0:3], 0 offset:412
	buffer_load_dword v174, off, s[0:3], 0 offset:408
	buffer_load_dword v177, off, s[0:3], 0 offset:404
	buffer_load_dword v176, off, s[0:3], 0 offset:400
	buffer_load_dword v173, off, s[0:3], 0 offset:420
	buffer_load_dword v169, off, s[0:3], 0 offset:428
	buffer_load_dword v179, off, s[0:3], 0 offset:444
	buffer_load_dword v178, off, s[0:3], 0 offset:440
	buffer_load_dword v181, off, s[0:3], 0 offset:436
	buffer_load_dword v180, off, s[0:3], 0 offset:432
	ds_read_b128 v[96:99], v94 offset:640
	ds_read_b128 v[100:103], v94 offset:656
	;; [unrolled: 1-line block ×4, first 2 shown]
	buffer_load_dword v182, off, s[0:3], 0 offset:176
	buffer_load_dword v183, off, s[0:3], 0 offset:180
	;; [unrolled: 1-line block ×4, first 2 shown]
	v_cmp_lt_u32_e32 vcc, 10, v206
	ds_read_b128 v[156:159], v94 offset:880
	s_waitcnt vmcnt(62) lgkmcnt(4)
	v_mul_f64 v[112:113], v[96:97], v[4:5]
	v_fmac_f64_e32 v[112:113], v[98:99], v[2:3]
	s_waitcnt lgkmcnt(3)
	v_mul_f64 v[114:115], v[100:101], v[6:7]
	v_add_f64 v[112:113], v[112:113], 0
	s_waitcnt vmcnt(60) lgkmcnt(2)
	v_mul_f64 v[116:117], v[104:105], v[8:9]
	v_mul_f64 v[4:5], v[98:99], v[4:5]
	v_fma_f64 v[2:3], v[96:97], v[2:3], -v[4:5]
	v_mul_f64 v[4:5], v[102:103], v[6:7]
	s_waitcnt vmcnt(56) lgkmcnt(1)
	v_mul_f64 v[118:119], v[108:109], v[14:15]
	v_add_f64 v[2:3], v[2:3], 0
	s_waitcnt vmcnt(54)
	v_fmac_f64_e32 v[114:115], v[102:103], v[20:21]
	v_add_f64 v[120:121], v[112:113], v[114:115]
	ds_read_b128 v[112:115], v94 offset:704
	s_waitcnt vmcnt(52)
	v_fmac_f64_e32 v[116:117], v[106:107], v[18:19]
	v_add_f64 v[116:117], v[120:121], v[116:117]
	s_waitcnt vmcnt(50)
	v_fmac_f64_e32 v[118:119], v[110:111], v[16:17]
	v_add_f64 v[120:121], v[116:117], v[118:119]
	ds_read_b128 v[116:119], v94 offset:720
	s_waitcnt vmcnt(48) lgkmcnt(1)
	v_mul_f64 v[122:123], v[112:113], v[10:11]
	v_fmac_f64_e32 v[122:123], v[114:115], v[12:13]
	v_add_f64 v[124:125], v[120:121], v[122:123]
	ds_read_b128 v[120:123], v94 offset:736
	s_waitcnt vmcnt(44) lgkmcnt(1)
	v_mul_f64 v[126:127], v[116:117], v[26:27]
	s_waitcnt vmcnt(42)
	v_fmac_f64_e32 v[126:127], v[118:119], v[28:29]
	v_add_f64 v[128:129], v[124:125], v[126:127]
	ds_read_b128 v[124:127], v94 offset:752
	s_waitcnt vmcnt(40) lgkmcnt(1)
	v_mul_f64 v[130:131], v[120:121], v[22:23]
	v_fmac_f64_e32 v[130:131], v[122:123], v[24:25]
	v_add_f64 v[132:133], v[128:129], v[130:131]
	ds_read_b128 v[128:131], v94 offset:768
	v_fma_f64 v[4:5], v[100:101], v[20:21], -v[4:5]
	v_add_f64 v[2:3], v[2:3], v[4:5]
	v_mul_f64 v[4:5], v[106:107], v[8:9]
	s_waitcnt vmcnt(36) lgkmcnt(1)
	v_mul_f64 v[134:135], v[124:125], v[90:91]
	v_fma_f64 v[4:5], v[104:105], v[18:19], -v[4:5]
	s_waitcnt vmcnt(34)
	v_fmac_f64_e32 v[134:135], v[126:127], v[92:93]
	v_add_f64 v[2:3], v[2:3], v[4:5]
	v_mul_f64 v[4:5], v[110:111], v[14:15]
	v_add_f64 v[136:137], v[132:133], v[134:135]
	ds_read_b128 v[132:135], v94 offset:784
	s_waitcnt vmcnt(32) lgkmcnt(1)
	v_mul_f64 v[138:139], v[128:129], v[86:87]
	v_fma_f64 v[4:5], v[108:109], v[16:17], -v[4:5]
	v_fmac_f64_e32 v[138:139], v[130:131], v[88:89]
	v_add_f64 v[2:3], v[2:3], v[4:5]
	v_mul_f64 v[4:5], v[114:115], v[10:11]
	v_add_f64 v[140:141], v[136:137], v[138:139]
	ds_read_b128 v[136:139], v94 offset:800
	v_fma_f64 v[4:5], v[112:113], v[12:13], -v[4:5]
	v_add_f64 v[2:3], v[2:3], v[4:5]
	v_mul_f64 v[4:5], v[118:119], v[26:27]
	v_fma_f64 v[4:5], v[116:117], v[28:29], -v[4:5]
	s_waitcnt vmcnt(28) lgkmcnt(1)
	v_mul_f64 v[142:143], v[132:133], v[38:39]
	v_add_f64 v[2:3], v[2:3], v[4:5]
	v_mul_f64 v[4:5], v[122:123], v[22:23]
	s_waitcnt vmcnt(26)
	v_fmac_f64_e32 v[142:143], v[134:135], v[40:41]
	v_fma_f64 v[4:5], v[120:121], v[24:25], -v[4:5]
	v_add_f64 v[144:145], v[140:141], v[142:143]
	ds_read_b128 v[140:143], v94 offset:816
	s_waitcnt vmcnt(24) lgkmcnt(1)
	v_mul_f64 v[146:147], v[136:137], v[34:35]
	v_add_f64 v[2:3], v[2:3], v[4:5]
	v_mul_f64 v[4:5], v[126:127], v[90:91]
	v_fmac_f64_e32 v[146:147], v[138:139], v[36:37]
	v_fma_f64 v[4:5], v[124:125], v[92:93], -v[4:5]
	v_add_f64 v[148:149], v[144:145], v[146:147]
	ds_read_b128 v[144:147], v94 offset:832
	v_add_f64 v[2:3], v[2:3], v[4:5]
	v_mul_f64 v[4:5], v[130:131], v[86:87]
	v_fma_f64 v[4:5], v[128:129], v[88:89], -v[4:5]
	v_add_f64 v[2:3], v[2:3], v[4:5]
	v_mul_f64 v[4:5], v[134:135], v[38:39]
	s_waitcnt vmcnt(20) lgkmcnt(1)
	v_mul_f64 v[150:151], v[140:141], v[164:165]
	v_fma_f64 v[4:5], v[132:133], v[40:41], -v[4:5]
	s_waitcnt vmcnt(18)
	v_fmac_f64_e32 v[150:151], v[142:143], v[166:167]
	v_add_f64 v[2:3], v[2:3], v[4:5]
	v_mul_f64 v[4:5], v[138:139], v[34:35]
	v_add_f64 v[152:153], v[148:149], v[150:151]
	ds_read_b128 v[148:151], v94 offset:848
	s_waitcnt vmcnt(16) lgkmcnt(1)
	v_mul_f64 v[154:155], v[144:145], v[160:161]
	v_fma_f64 v[4:5], v[136:137], v[36:37], -v[4:5]
	v_fmac_f64_e32 v[154:155], v[146:147], v[162:163]
	v_add_f64 v[2:3], v[2:3], v[4:5]
	v_mul_f64 v[4:5], v[142:143], v[164:165]
	v_add_f64 v[186:187], v[152:153], v[154:155]
	ds_read_b128 v[152:155], v94 offset:864
	v_fma_f64 v[4:5], v[140:141], v[166:167], -v[4:5]
	v_add_f64 v[2:3], v[2:3], v[4:5]
	v_mul_f64 v[4:5], v[146:147], v[160:161]
	v_fma_f64 v[4:5], v[144:145], v[162:163], -v[4:5]
	v_add_f64 v[2:3], v[2:3], v[4:5]
	s_waitcnt vmcnt(12) lgkmcnt(1)
	v_mul_f64 v[4:5], v[150:151], v[174:175]
	v_mul_f64 v[188:189], v[148:149], v[174:175]
	s_waitcnt vmcnt(10)
	v_fma_f64 v[4:5], v[148:149], v[176:177], -v[4:5]
	v_fmac_f64_e32 v[188:189], v[150:151], v[176:177]
	v_add_f64 v[2:3], v[2:3], v[4:5]
	s_waitcnt vmcnt(8) lgkmcnt(0)
	v_mul_f64 v[4:5], v[154:155], v[168:169]
	v_add_f64 v[94:95], v[186:187], v[188:189]
	v_mul_f64 v[186:187], v[152:153], v[168:169]
	v_fma_f64 v[4:5], v[152:153], v[172:173], -v[4:5]
	v_fmac_f64_e32 v[186:187], v[154:155], v[172:173]
	v_add_f64 v[2:3], v[2:3], v[4:5]
	s_waitcnt vmcnt(6)
	v_mul_f64 v[4:5], v[158:159], v[178:179]
	v_add_f64 v[94:95], v[94:95], v[186:187]
	v_mul_f64 v[186:187], v[156:157], v[178:179]
	s_waitcnt vmcnt(4)
	v_fma_f64 v[4:5], v[156:157], v[180:181], -v[4:5]
	v_fmac_f64_e32 v[186:187], v[158:159], v[180:181]
	v_add_f64 v[2:3], v[2:3], v[4:5]
	v_add_f64 v[94:95], v[94:95], v[186:187]
	s_waitcnt vmcnt(2)
	v_add_f64 v[2:3], v[182:183], -v[2:3]
	s_waitcnt vmcnt(0)
	v_add_f64 v[4:5], v[184:185], -v[94:95]
	buffer_store_dword v3, off, s[0:3], 0 offset:180
	buffer_store_dword v2, off, s[0:3], 0 offset:176
	buffer_store_dword v5, off, s[0:3], 0 offset:188
	buffer_store_dword v4, off, s[0:3], 0 offset:184
	s_and_saveexec_b64 s[6:7], vcc
	s_cbranch_execz .LBB27_161
; %bb.160:
	v_accvgpr_read_b32 v5, a48
	buffer_load_dword v2, v5, s[0:3], 0 offen
	buffer_load_dword v3, v5, s[0:3], 0 offen offset:4
	buffer_load_dword v4, v5, s[0:3], 0 offen offset:8
	s_nop 0
	buffer_load_dword v5, v5, s[0:3], 0 offen offset:12
	v_mov_b32_e32 v6, 0
	buffer_store_dword v6, off, s[0:3], 0 offset:160
	buffer_store_dword v6, off, s[0:3], 0 offset:164
	;; [unrolled: 1-line block ×4, first 2 shown]
	s_waitcnt vmcnt(4)
	ds_write_b128 v207, v[2:5]
.LBB27_161:
	s_or_b64 exec, exec, s[6:7]
	s_waitcnt lgkmcnt(0)
	; wave barrier
	s_waitcnt lgkmcnt(0)
	buffer_load_dword v2, off, s[0:3], 0 offset:176
	buffer_load_dword v3, off, s[0:3], 0 offset:180
	;; [unrolled: 1-line block ×68, first 2 shown]
	v_mov_b32_e32 v102, 0
	ds_read_b128 v[98:101], v102 offset:624
	ds_read_b128 v[104:107], v102 offset:640
	buffer_load_dword v190, off, s[0:3], 0 offset:160
	buffer_load_dword v191, off, s[0:3], 0 offset:164
	;; [unrolled: 1-line block ×4, first 2 shown]
	ds_read_b128 v[108:111], v102 offset:656
	ds_read_b128 v[112:115], v102 offset:672
	;; [unrolled: 1-line block ×3, first 2 shown]
	v_cmp_lt_u32_e32 vcc, 9, v206
	s_waitcnt vmcnt(62) lgkmcnt(4)
	v_mul_f64 v[116:117], v[98:99], v[8:9]
	v_fmac_f64_e32 v[116:117], v[100:101], v[2:3]
	v_add_f64 v[116:117], v[116:117], 0
	v_mul_f64 v[8:9], v[100:101], v[8:9]
	s_waitcnt lgkmcnt(3)
	v_mul_f64 v[118:119], v[104:105], v[10:11]
	v_fmac_f64_e32 v[118:119], v[106:107], v[4:5]
	v_add_f64 v[116:117], v[116:117], v[118:119]
	v_fma_f64 v[2:3], v[98:99], v[2:3], -v[8:9]
	s_waitcnt vmcnt(60) lgkmcnt(2)
	v_mul_f64 v[118:119], v[108:109], v[12:13]
	v_fmac_f64_e32 v[118:119], v[110:111], v[6:7]
	v_add_f64 v[120:121], v[116:117], v[118:119]
	ds_read_b128 v[116:119], v102 offset:688
	s_waitcnt vmcnt(56) lgkmcnt(2)
	v_mul_f64 v[122:123], v[112:113], v[18:19]
	v_mul_f64 v[8:9], v[106:107], v[10:11]
	s_waitcnt vmcnt(54)
	v_fmac_f64_e32 v[122:123], v[114:115], v[20:21]
	v_add_f64 v[124:125], v[120:121], v[122:123]
	ds_read_b128 v[120:123], v102 offset:704
	s_waitcnt vmcnt(52) lgkmcnt(1)
	v_mul_f64 v[126:127], v[116:117], v[14:15]
	v_fmac_f64_e32 v[126:127], v[118:119], v[16:17]
	v_add_f64 v[128:129], v[124:125], v[126:127]
	ds_read_b128 v[124:127], v102 offset:720
	s_waitcnt vmcnt(48) lgkmcnt(1)
	v_mul_f64 v[130:131], v[120:121], v[26:27]
	s_waitcnt vmcnt(46)
	v_fmac_f64_e32 v[130:131], v[122:123], v[28:29]
	v_add_f64 v[132:133], v[128:129], v[130:131]
	ds_read_b128 v[128:131], v102 offset:736
	s_waitcnt vmcnt(44) lgkmcnt(1)
	v_mul_f64 v[134:135], v[124:125], v[22:23]
	v_fmac_f64_e32 v[134:135], v[126:127], v[24:25]
	v_add_f64 v[136:137], v[132:133], v[134:135]
	ds_read_b128 v[132:135], v102 offset:752
	s_waitcnt vmcnt(40) lgkmcnt(1)
	v_mul_f64 v[138:139], v[128:129], v[90:91]
	s_waitcnt vmcnt(38)
	v_fmac_f64_e32 v[138:139], v[130:131], v[92:93]
	v_add_f64 v[2:3], v[2:3], 0
	v_fma_f64 v[4:5], v[104:105], v[4:5], -v[8:9]
	v_add_f64 v[140:141], v[136:137], v[138:139]
	ds_read_b128 v[136:139], v102 offset:768
	v_add_f64 v[2:3], v[2:3], v[4:5]
	v_mul_f64 v[4:5], v[110:111], v[12:13]
	v_fma_f64 v[4:5], v[108:109], v[6:7], -v[4:5]
	v_add_f64 v[2:3], v[2:3], v[4:5]
	v_mul_f64 v[4:5], v[114:115], v[18:19]
	s_waitcnt vmcnt(36) lgkmcnt(1)
	v_mul_f64 v[142:143], v[132:133], v[86:87]
	v_fma_f64 v[4:5], v[112:113], v[20:21], -v[4:5]
	v_fmac_f64_e32 v[142:143], v[134:135], v[88:89]
	v_add_f64 v[2:3], v[2:3], v[4:5]
	v_mul_f64 v[4:5], v[118:119], v[14:15]
	v_add_f64 v[144:145], v[140:141], v[142:143]
	ds_read_b128 v[140:143], v102 offset:784
	s_waitcnt vmcnt(32) lgkmcnt(1)
	v_mul_f64 v[146:147], v[136:137], v[34:35]
	v_fma_f64 v[4:5], v[116:117], v[16:17], -v[4:5]
	s_waitcnt vmcnt(30)
	v_fmac_f64_e32 v[146:147], v[138:139], v[36:37]
	v_add_f64 v[2:3], v[2:3], v[4:5]
	v_mul_f64 v[4:5], v[122:123], v[26:27]
	v_add_f64 v[148:149], v[144:145], v[146:147]
	ds_read_b128 v[144:147], v102 offset:800
	v_fma_f64 v[4:5], v[120:121], v[28:29], -v[4:5]
	v_add_f64 v[2:3], v[2:3], v[4:5]
	v_mul_f64 v[4:5], v[126:127], v[22:23]
	v_fma_f64 v[4:5], v[124:125], v[24:25], -v[4:5]
	s_waitcnt vmcnt(28) lgkmcnt(1)
	v_mul_f64 v[150:151], v[140:141], v[94:95]
	v_add_f64 v[2:3], v[2:3], v[4:5]
	v_mul_f64 v[4:5], v[130:131], v[90:91]
	v_fmac_f64_e32 v[150:151], v[142:143], v[96:97]
	v_fma_f64 v[4:5], v[128:129], v[92:93], -v[4:5]
	v_add_f64 v[152:153], v[148:149], v[150:151]
	ds_read_b128 v[148:151], v102 offset:816
	s_waitcnt vmcnt(24) lgkmcnt(1)
	v_mul_f64 v[154:155], v[144:145], v[168:169]
	v_add_f64 v[2:3], v[2:3], v[4:5]
	v_mul_f64 v[4:5], v[134:135], v[86:87]
	s_waitcnt vmcnt(22)
	v_fmac_f64_e32 v[154:155], v[146:147], v[172:173]
	v_fma_f64 v[4:5], v[132:133], v[88:89], -v[4:5]
	v_add_f64 v[156:157], v[152:153], v[154:155]
	ds_read_b128 v[152:155], v102 offset:832
	v_add_f64 v[2:3], v[2:3], v[4:5]
	v_mul_f64 v[4:5], v[138:139], v[34:35]
	v_fma_f64 v[4:5], v[136:137], v[36:37], -v[4:5]
	v_add_f64 v[2:3], v[2:3], v[4:5]
	v_mul_f64 v[4:5], v[142:143], v[94:95]
	s_waitcnt vmcnt(20) lgkmcnt(1)
	v_mul_f64 v[158:159], v[148:149], v[38:39]
	v_fma_f64 v[4:5], v[140:141], v[96:97], -v[4:5]
	v_fmac_f64_e32 v[158:159], v[150:151], v[40:41]
	v_add_f64 v[2:3], v[2:3], v[4:5]
	v_mul_f64 v[4:5], v[146:147], v[168:169]
	v_add_f64 v[160:161], v[156:157], v[158:159]
	ds_read_b128 v[156:159], v102 offset:848
	s_waitcnt vmcnt(16) lgkmcnt(1)
	v_mul_f64 v[162:163], v[152:153], v[178:179]
	v_fma_f64 v[4:5], v[144:145], v[172:173], -v[4:5]
	s_waitcnt vmcnt(14)
	v_fmac_f64_e32 v[162:163], v[154:155], v[180:181]
	v_add_f64 v[2:3], v[2:3], v[4:5]
	v_mul_f64 v[4:5], v[150:151], v[38:39]
	v_add_f64 v[194:195], v[160:161], v[162:163]
	ds_read_b128 v[160:163], v102 offset:864
	v_fma_f64 v[4:5], v[148:149], v[40:41], -v[4:5]
	v_add_f64 v[2:3], v[2:3], v[4:5]
	v_mul_f64 v[4:5], v[154:155], v[178:179]
	v_fma_f64 v[4:5], v[152:153], v[180:181], -v[4:5]
	v_add_f64 v[2:3], v[2:3], v[4:5]
	s_waitcnt vmcnt(12) lgkmcnt(1)
	v_mul_f64 v[4:5], v[158:159], v[174:175]
	v_mul_f64 v[196:197], v[156:157], v[174:175]
	v_fma_f64 v[4:5], v[156:157], v[176:177], -v[4:5]
	v_fmac_f64_e32 v[196:197], v[158:159], v[176:177]
	v_add_f64 v[2:3], v[2:3], v[4:5]
	s_waitcnt vmcnt(8) lgkmcnt(0)
	v_mul_f64 v[4:5], v[162:163], v[186:187]
	v_add_f64 v[194:195], v[194:195], v[196:197]
	v_mul_f64 v[196:197], v[160:161], v[186:187]
	s_waitcnt vmcnt(6)
	v_fma_f64 v[4:5], v[160:161], v[188:189], -v[4:5]
	v_fmac_f64_e32 v[196:197], v[162:163], v[188:189]
	v_add_f64 v[2:3], v[2:3], v[4:5]
	s_waitcnt vmcnt(5)
	v_mul_f64 v[4:5], v[166:167], v[182:183]
	v_add_f64 v[194:195], v[194:195], v[196:197]
	v_mul_f64 v[196:197], v[164:165], v[182:183]
	s_waitcnt vmcnt(4)
	v_fma_f64 v[4:5], v[164:165], v[184:185], -v[4:5]
	v_fmac_f64_e32 v[196:197], v[166:167], v[184:185]
	v_add_f64 v[2:3], v[2:3], v[4:5]
	v_add_f64 v[194:195], v[194:195], v[196:197]
	s_waitcnt vmcnt(2)
	v_add_f64 v[2:3], v[190:191], -v[2:3]
	s_waitcnt vmcnt(0)
	v_add_f64 v[4:5], v[192:193], -v[194:195]
	buffer_store_dword v3, off, s[0:3], 0 offset:164
	buffer_store_dword v2, off, s[0:3], 0 offset:160
	;; [unrolled: 1-line block ×4, first 2 shown]
	s_and_saveexec_b64 s[6:7], vcc
	s_cbranch_execz .LBB27_163
; %bb.162:
	v_accvgpr_read_b32 v5, a46
	buffer_load_dword v2, v5, s[0:3], 0 offen
	buffer_load_dword v3, v5, s[0:3], 0 offen offset:4
	buffer_load_dword v4, v5, s[0:3], 0 offen offset:8
	s_nop 0
	buffer_load_dword v5, v5, s[0:3], 0 offen offset:12
	s_nop 0
	buffer_store_dword v102, off, s[0:3], 0 offset:144
	buffer_store_dword v102, off, s[0:3], 0 offset:148
	;; [unrolled: 1-line block ×4, first 2 shown]
	s_waitcnt vmcnt(4)
	ds_write_b128 v207, v[2:5]
.LBB27_163:
	s_or_b64 exec, exec, s[6:7]
	s_waitcnt lgkmcnt(0)
	; wave barrier
	s_waitcnt lgkmcnt(0)
	buffer_load_dword v2, off, s[0:3], 0 offset:160
	buffer_load_dword v3, off, s[0:3], 0 offset:164
	;; [unrolled: 1-line block ×72, first 2 shown]
	ds_read_b128 v[104:107], v102 offset:608
	buffer_load_dword v198, off, s[0:3], 0 offset:144
	buffer_load_dword v199, off, s[0:3], 0 offset:148
	;; [unrolled: 1-line block ×4, first 2 shown]
	ds_read_b128 v[108:111], v102 offset:624
	ds_read_b128 v[112:115], v102 offset:640
	;; [unrolled: 1-line block ×3, first 2 shown]
	v_cmp_lt_u32_e32 vcc, 8, v206
	ds_read_b128 v[176:179], v102 offset:880
	s_waitcnt vmcnt(62) lgkmcnt(4)
	v_mul_f64 v[120:121], v[104:105], v[8:9]
	v_fmac_f64_e32 v[120:121], v[106:107], v[2:3]
	v_add_f64 v[120:121], v[120:121], 0
	v_mul_f64 v[8:9], v[106:107], v[8:9]
	s_waitcnt lgkmcnt(3)
	v_mul_f64 v[122:123], v[108:109], v[10:11]
	v_fmac_f64_e32 v[122:123], v[110:111], v[4:5]
	v_add_f64 v[120:121], v[120:121], v[122:123]
	v_fma_f64 v[2:3], v[104:105], v[2:3], -v[8:9]
	s_waitcnt lgkmcnt(2)
	v_mul_f64 v[122:123], v[112:113], v[12:13]
	v_fmac_f64_e32 v[122:123], v[114:115], v[6:7]
	v_add_f64 v[124:125], v[120:121], v[122:123]
	ds_read_b128 v[120:123], v102 offset:672
	s_waitcnt vmcnt(60) lgkmcnt(2)
	v_mul_f64 v[126:127], v[116:117], v[18:19]
	v_mul_f64 v[8:9], v[110:111], v[10:11]
	s_waitcnt vmcnt(58)
	v_fmac_f64_e32 v[126:127], v[118:119], v[20:21]
	v_add_f64 v[128:129], v[124:125], v[126:127]
	ds_read_b128 v[124:127], v102 offset:688
	s_waitcnt vmcnt(56) lgkmcnt(1)
	v_mul_f64 v[130:131], v[120:121], v[14:15]
	v_fmac_f64_e32 v[130:131], v[122:123], v[16:17]
	v_add_f64 v[132:133], v[128:129], v[130:131]
	ds_read_b128 v[128:131], v102 offset:704
	s_waitcnt vmcnt(52) lgkmcnt(1)
	v_mul_f64 v[134:135], v[124:125], v[26:27]
	s_waitcnt vmcnt(50)
	v_fmac_f64_e32 v[134:135], v[126:127], v[28:29]
	v_add_f64 v[136:137], v[132:133], v[134:135]
	ds_read_b128 v[132:135], v102 offset:720
	s_waitcnt vmcnt(48) lgkmcnt(1)
	v_mul_f64 v[138:139], v[128:129], v[22:23]
	v_fmac_f64_e32 v[138:139], v[130:131], v[24:25]
	v_add_f64 v[140:141], v[136:137], v[138:139]
	ds_read_b128 v[136:139], v102 offset:736
	s_waitcnt vmcnt(44) lgkmcnt(1)
	v_mul_f64 v[142:143], v[132:133], v[90:91]
	s_waitcnt vmcnt(42)
	v_fmac_f64_e32 v[142:143], v[134:135], v[92:93]
	v_add_f64 v[2:3], v[2:3], 0
	v_fma_f64 v[4:5], v[108:109], v[4:5], -v[8:9]
	v_add_f64 v[144:145], v[140:141], v[142:143]
	ds_read_b128 v[140:143], v102 offset:752
	s_waitcnt vmcnt(40) lgkmcnt(1)
	v_mul_f64 v[146:147], v[136:137], v[86:87]
	v_add_f64 v[2:3], v[2:3], v[4:5]
	v_mul_f64 v[4:5], v[114:115], v[12:13]
	v_fmac_f64_e32 v[146:147], v[138:139], v[88:89]
	v_fma_f64 v[4:5], v[112:113], v[6:7], -v[4:5]
	v_add_f64 v[148:149], v[144:145], v[146:147]
	ds_read_b128 v[144:147], v102 offset:768
	v_add_f64 v[2:3], v[2:3], v[4:5]
	v_mul_f64 v[4:5], v[118:119], v[18:19]
	v_fma_f64 v[4:5], v[116:117], v[20:21], -v[4:5]
	v_add_f64 v[2:3], v[2:3], v[4:5]
	v_mul_f64 v[4:5], v[122:123], v[14:15]
	s_waitcnt vmcnt(36) lgkmcnt(1)
	v_mul_f64 v[150:151], v[140:141], v[98:99]
	v_fma_f64 v[4:5], v[120:121], v[16:17], -v[4:5]
	s_waitcnt vmcnt(34)
	v_fmac_f64_e32 v[150:151], v[142:143], v[100:101]
	v_add_f64 v[2:3], v[2:3], v[4:5]
	v_mul_f64 v[4:5], v[126:127], v[26:27]
	v_add_f64 v[152:153], v[148:149], v[150:151]
	ds_read_b128 v[148:151], v102 offset:784
	s_waitcnt vmcnt(32) lgkmcnt(1)
	v_mul_f64 v[154:155], v[144:145], v[94:95]
	v_fma_f64 v[4:5], v[124:125], v[28:29], -v[4:5]
	v_fmac_f64_e32 v[154:155], v[146:147], v[96:97]
	v_add_f64 v[2:3], v[2:3], v[4:5]
	v_mul_f64 v[4:5], v[130:131], v[22:23]
	v_add_f64 v[156:157], v[152:153], v[154:155]
	ds_read_b128 v[152:155], v102 offset:800
	v_fma_f64 v[4:5], v[128:129], v[24:25], -v[4:5]
	v_add_f64 v[2:3], v[2:3], v[4:5]
	v_mul_f64 v[4:5], v[134:135], v[90:91]
	v_fma_f64 v[4:5], v[132:133], v[92:93], -v[4:5]
	s_waitcnt vmcnt(28) lgkmcnt(1)
	v_mul_f64 v[158:159], v[148:149], v[38:39]
	v_add_f64 v[2:3], v[2:3], v[4:5]
	v_mul_f64 v[4:5], v[138:139], v[86:87]
	s_waitcnt vmcnt(26)
	v_fmac_f64_e32 v[158:159], v[150:151], v[40:41]
	v_fma_f64 v[4:5], v[136:137], v[88:89], -v[4:5]
	v_add_f64 v[160:161], v[156:157], v[158:159]
	ds_read_b128 v[156:159], v102 offset:816
	s_waitcnt vmcnt(24) lgkmcnt(1)
	v_mul_f64 v[162:163], v[152:153], v[34:35]
	v_add_f64 v[2:3], v[2:3], v[4:5]
	v_mul_f64 v[4:5], v[142:143], v[98:99]
	v_fmac_f64_e32 v[162:163], v[154:155], v[36:37]
	v_fma_f64 v[4:5], v[140:141], v[100:101], -v[4:5]
	v_add_f64 v[164:165], v[160:161], v[162:163]
	ds_read_b128 v[160:163], v102 offset:832
	v_add_f64 v[2:3], v[2:3], v[4:5]
	v_mul_f64 v[4:5], v[146:147], v[94:95]
	v_fma_f64 v[4:5], v[144:145], v[96:97], -v[4:5]
	v_add_f64 v[2:3], v[2:3], v[4:5]
	v_mul_f64 v[4:5], v[150:151], v[38:39]
	s_waitcnt vmcnt(20) lgkmcnt(1)
	v_mul_f64 v[166:167], v[156:157], v[182:183]
	v_fma_f64 v[4:5], v[148:149], v[40:41], -v[4:5]
	s_waitcnt vmcnt(18)
	v_fmac_f64_e32 v[166:167], v[158:159], v[184:185]
	v_add_f64 v[2:3], v[2:3], v[4:5]
	v_mul_f64 v[4:5], v[154:155], v[34:35]
	v_add_f64 v[172:173], v[164:165], v[166:167]
	ds_read_b128 v[164:167], v102 offset:848
	s_waitcnt vmcnt(16) lgkmcnt(1)
	v_mul_f64 v[174:175], v[160:161], v[168:169]
	v_fma_f64 v[4:5], v[152:153], v[36:37], -v[4:5]
	v_fmac_f64_e32 v[174:175], v[162:163], v[180:181]
	v_add_f64 v[2:3], v[2:3], v[4:5]
	v_mul_f64 v[4:5], v[158:159], v[182:183]
	v_add_f64 v[202:203], v[172:173], v[174:175]
	ds_read_b128 v[172:175], v102 offset:864
	v_fma_f64 v[4:5], v[156:157], v[184:185], -v[4:5]
	v_add_f64 v[2:3], v[2:3], v[4:5]
	v_mul_f64 v[4:5], v[162:163], v[168:169]
	v_fma_f64 v[4:5], v[160:161], v[180:181], -v[4:5]
	v_add_f64 v[2:3], v[2:3], v[4:5]
	s_waitcnt vmcnt(12) lgkmcnt(1)
	v_mul_f64 v[4:5], v[166:167], v[190:191]
	v_mul_f64 v[208:209], v[164:165], v[190:191]
	s_waitcnt vmcnt(10)
	v_fma_f64 v[4:5], v[164:165], v[192:193], -v[4:5]
	v_fmac_f64_e32 v[208:209], v[166:167], v[192:193]
	v_add_f64 v[2:3], v[2:3], v[4:5]
	s_waitcnt vmcnt(8) lgkmcnt(0)
	v_mul_f64 v[4:5], v[174:175], v[186:187]
	v_add_f64 v[102:103], v[202:203], v[208:209]
	v_mul_f64 v[202:203], v[172:173], v[186:187]
	v_fma_f64 v[4:5], v[172:173], v[188:189], -v[4:5]
	v_fmac_f64_e32 v[202:203], v[174:175], v[188:189]
	v_add_f64 v[2:3], v[2:3], v[4:5]
	s_waitcnt vmcnt(6)
	v_mul_f64 v[4:5], v[178:179], v[194:195]
	v_add_f64 v[102:103], v[102:103], v[202:203]
	v_mul_f64 v[202:203], v[176:177], v[194:195]
	s_waitcnt vmcnt(4)
	v_fma_f64 v[4:5], v[176:177], v[196:197], -v[4:5]
	v_fmac_f64_e32 v[202:203], v[178:179], v[196:197]
	v_add_f64 v[2:3], v[2:3], v[4:5]
	v_add_f64 v[102:103], v[102:103], v[202:203]
	s_waitcnt vmcnt(2)
	v_add_f64 v[2:3], v[198:199], -v[2:3]
	s_waitcnt vmcnt(0)
	v_add_f64 v[4:5], v[200:201], -v[102:103]
	buffer_store_dword v3, off, s[0:3], 0 offset:148
	buffer_store_dword v2, off, s[0:3], 0 offset:144
	;; [unrolled: 1-line block ×4, first 2 shown]
	s_and_saveexec_b64 s[6:7], vcc
	s_cbranch_execz .LBB27_165
; %bb.164:
	v_accvgpr_read_b32 v5, a47
	buffer_load_dword v2, v5, s[0:3], 0 offen
	buffer_load_dword v3, v5, s[0:3], 0 offen offset:4
	buffer_load_dword v4, v5, s[0:3], 0 offen offset:8
	s_nop 0
	buffer_load_dword v5, v5, s[0:3], 0 offen offset:12
	v_mov_b32_e32 v6, 0
	buffer_store_dword v6, off, s[0:3], 0 offset:128
	buffer_store_dword v6, off, s[0:3], 0 offset:132
	;; [unrolled: 1-line block ×4, first 2 shown]
	s_waitcnt vmcnt(4)
	ds_write_b128 v207, v[2:5]
.LBB27_165:
	s_or_b64 exec, exec, s[6:7]
	s_waitcnt lgkmcnt(0)
	; wave barrier
	s_waitcnt lgkmcnt(0)
	buffer_load_dword v2, off, s[0:3], 0 offset:144
	buffer_load_dword v3, off, s[0:3], 0 offset:148
	;; [unrolled: 1-line block ×76, first 2 shown]
	v_mov_b32_e32 v110, 0
	ds_read_b128 v[112:115], v110 offset:592
	buffer_load_dword v194, off, s[0:3], 0 offset:128
	buffer_load_dword v195, off, s[0:3], 0 offset:132
	;; [unrolled: 1-line block ×4, first 2 shown]
	ds_read_b128 v[116:119], v110 offset:608
	ds_read_b128 v[120:123], v110 offset:624
	;; [unrolled: 1-line block ×6, first 2 shown]
	s_waitcnt vmcnt(62) lgkmcnt(6)
	v_mul_f64 v[128:129], v[112:113], v[8:9]
	v_fmac_f64_e32 v[128:129], v[114:115], v[2:3]
	v_add_f64 v[128:129], v[128:129], 0
	v_mul_f64 v[8:9], v[114:115], v[8:9]
	s_waitcnt lgkmcnt(5)
	v_mul_f64 v[130:131], v[116:117], v[10:11]
	v_fmac_f64_e32 v[130:131], v[118:119], v[4:5]
	v_add_f64 v[128:129], v[128:129], v[130:131]
	v_fma_f64 v[2:3], v[112:113], v[2:3], -v[8:9]
	s_waitcnt lgkmcnt(4)
	v_mul_f64 v[130:131], v[120:121], v[12:13]
	v_fmac_f64_e32 v[130:131], v[122:123], v[6:7]
	v_add_f64 v[132:133], v[128:129], v[130:131]
	ds_read_b128 v[128:131], v110 offset:656
	s_waitcnt lgkmcnt(4)
	v_mul_f64 v[134:135], v[124:125], v[18:19]
	v_mul_f64 v[8:9], v[118:119], v[10:11]
	v_fmac_f64_e32 v[134:135], v[126:127], v[20:21]
	v_add_f64 v[136:137], v[132:133], v[134:135]
	ds_read_b128 v[132:135], v110 offset:672
	s_waitcnt vmcnt(60) lgkmcnt(1)
	v_mul_f64 v[138:139], v[128:129], v[14:15]
	v_fmac_f64_e32 v[138:139], v[130:131], v[16:17]
	v_add_f64 v[140:141], v[136:137], v[138:139]
	ds_read_b128 v[136:139], v110 offset:688
	s_waitcnt vmcnt(56) lgkmcnt(1)
	v_mul_f64 v[142:143], v[132:133], v[26:27]
	s_waitcnt vmcnt(54)
	v_fmac_f64_e32 v[142:143], v[134:135], v[28:29]
	v_add_f64 v[144:145], v[140:141], v[142:143]
	ds_read_b128 v[140:143], v110 offset:704
	s_waitcnt vmcnt(52) lgkmcnt(1)
	v_mul_f64 v[146:147], v[136:137], v[22:23]
	v_fmac_f64_e32 v[146:147], v[138:139], v[24:25]
	v_add_f64 v[148:149], v[144:145], v[146:147]
	ds_read_b128 v[144:147], v110 offset:720
	s_waitcnt vmcnt(48) lgkmcnt(1)
	v_mul_f64 v[150:151], v[140:141], v[90:91]
	s_waitcnt vmcnt(46)
	v_fmac_f64_e32 v[150:151], v[142:143], v[92:93]
	v_add_f64 v[2:3], v[2:3], 0
	v_fma_f64 v[4:5], v[116:117], v[4:5], -v[8:9]
	v_add_f64 v[152:153], v[148:149], v[150:151]
	ds_read_b128 v[148:151], v110 offset:736
	v_add_f64 v[2:3], v[2:3], v[4:5]
	v_mul_f64 v[4:5], v[122:123], v[12:13]
	v_fma_f64 v[4:5], v[120:121], v[6:7], -v[4:5]
	v_add_f64 v[2:3], v[2:3], v[4:5]
	v_mul_f64 v[4:5], v[126:127], v[18:19]
	s_waitcnt vmcnt(44) lgkmcnt(1)
	v_mul_f64 v[154:155], v[144:145], v[86:87]
	v_fma_f64 v[4:5], v[124:125], v[20:21], -v[4:5]
	v_fmac_f64_e32 v[154:155], v[146:147], v[88:89]
	v_add_f64 v[2:3], v[2:3], v[4:5]
	v_mul_f64 v[4:5], v[130:131], v[14:15]
	v_add_f64 v[156:157], v[152:153], v[154:155]
	ds_read_b128 v[152:155], v110 offset:752
	s_waitcnt vmcnt(40) lgkmcnt(1)
	v_mul_f64 v[158:159], v[148:149], v[98:99]
	v_fma_f64 v[4:5], v[128:129], v[16:17], -v[4:5]
	s_waitcnt vmcnt(38)
	v_fmac_f64_e32 v[158:159], v[150:151], v[100:101]
	v_add_f64 v[2:3], v[2:3], v[4:5]
	v_mul_f64 v[4:5], v[134:135], v[26:27]
	v_add_f64 v[160:161], v[156:157], v[158:159]
	ds_read_b128 v[156:159], v110 offset:768
	v_fma_f64 v[4:5], v[132:133], v[28:29], -v[4:5]
	v_add_f64 v[2:3], v[2:3], v[4:5]
	v_mul_f64 v[4:5], v[138:139], v[22:23]
	v_fma_f64 v[4:5], v[136:137], v[24:25], -v[4:5]
	s_waitcnt vmcnt(36) lgkmcnt(1)
	v_mul_f64 v[162:163], v[152:153], v[94:95]
	v_add_f64 v[2:3], v[2:3], v[4:5]
	v_mul_f64 v[4:5], v[142:143], v[90:91]
	v_fmac_f64_e32 v[162:163], v[154:155], v[96:97]
	v_fma_f64 v[4:5], v[140:141], v[92:93], -v[4:5]
	v_add_f64 v[164:165], v[160:161], v[162:163]
	ds_read_b128 v[160:163], v110 offset:784
	s_waitcnt vmcnt(32) lgkmcnt(1)
	v_mul_f64 v[166:167], v[156:157], v[106:107]
	v_add_f64 v[2:3], v[2:3], v[4:5]
	v_mul_f64 v[4:5], v[146:147], v[86:87]
	s_waitcnt vmcnt(30)
	v_fmac_f64_e32 v[166:167], v[158:159], v[108:109]
	v_fma_f64 v[4:5], v[144:145], v[88:89], -v[4:5]
	v_add_f64 v[172:173], v[164:165], v[166:167]
	ds_read_b128 v[164:167], v110 offset:800
	v_add_f64 v[2:3], v[2:3], v[4:5]
	v_mul_f64 v[4:5], v[150:151], v[98:99]
	v_fma_f64 v[4:5], v[148:149], v[100:101], -v[4:5]
	v_add_f64 v[2:3], v[2:3], v[4:5]
	v_mul_f64 v[4:5], v[154:155], v[94:95]
	s_waitcnt vmcnt(28) lgkmcnt(1)
	v_mul_f64 v[174:175], v[160:161], v[102:103]
	v_fma_f64 v[4:5], v[152:153], v[96:97], -v[4:5]
	v_fmac_f64_e32 v[174:175], v[162:163], v[104:105]
	v_add_f64 v[2:3], v[2:3], v[4:5]
	v_mul_f64 v[4:5], v[158:159], v[106:107]
	v_add_f64 v[176:177], v[172:173], v[174:175]
	ds_read_b128 v[172:175], v110 offset:816
	s_waitcnt vmcnt(24) lgkmcnt(1)
	v_mul_f64 v[178:179], v[164:165], v[38:39]
	v_fma_f64 v[4:5], v[156:157], v[108:109], -v[4:5]
	s_waitcnt vmcnt(22)
	v_fmac_f64_e32 v[178:179], v[166:167], v[40:41]
	v_add_f64 v[2:3], v[2:3], v[4:5]
	v_mul_f64 v[4:5], v[162:163], v[102:103]
	v_add_f64 v[198:199], v[176:177], v[178:179]
	ds_read_b128 v[176:179], v110 offset:832
	v_fma_f64 v[4:5], v[160:161], v[104:105], -v[4:5]
	v_add_f64 v[2:3], v[2:3], v[4:5]
	v_mul_f64 v[4:5], v[166:167], v[38:39]
	v_fma_f64 v[4:5], v[164:165], v[40:41], -v[4:5]
	v_add_f64 v[2:3], v[2:3], v[4:5]
	s_waitcnt vmcnt(20) lgkmcnt(1)
	v_mul_f64 v[4:5], v[174:175], v[34:35]
	v_mul_f64 v[200:201], v[172:173], v[34:35]
	v_fma_f64 v[4:5], v[172:173], v[36:37], -v[4:5]
	v_fmac_f64_e32 v[200:201], v[174:175], v[36:37]
	v_add_f64 v[2:3], v[2:3], v[4:5]
	s_waitcnt vmcnt(16) lgkmcnt(0)
	v_mul_f64 v[4:5], v[178:179], v[182:183]
	v_add_f64 v[198:199], v[198:199], v[200:201]
	v_mul_f64 v[200:201], v[176:177], v[182:183]
	s_waitcnt vmcnt(14)
	v_fma_f64 v[4:5], v[176:177], v[184:185], -v[4:5]
	v_fmac_f64_e32 v[200:201], v[178:179], v[184:185]
	v_add_f64 v[2:3], v[2:3], v[4:5]
	s_waitcnt vmcnt(12)
	v_mul_f64 v[4:5], v[210:211], v[168:169]
	v_add_f64 v[198:199], v[198:199], v[200:201]
	v_mul_f64 v[200:201], v[208:209], v[168:169]
	v_fma_f64 v[4:5], v[208:209], v[180:181], -v[4:5]
	v_fmac_f64_e32 v[200:201], v[210:211], v[180:181]
	v_add_f64 v[2:3], v[2:3], v[4:5]
	s_waitcnt vmcnt(8)
	v_mul_f64 v[4:5], v[214:215], v[190:191]
	v_add_f64 v[198:199], v[198:199], v[200:201]
	v_mul_f64 v[200:201], v[212:213], v[190:191]
	s_waitcnt vmcnt(6)
	v_fma_f64 v[4:5], v[212:213], v[192:193], -v[4:5]
	v_fmac_f64_e32 v[200:201], v[214:215], v[192:193]
	v_add_f64 v[2:3], v[2:3], v[4:5]
	s_waitcnt vmcnt(5)
	v_mul_f64 v[4:5], v[218:219], v[186:187]
	v_add_f64 v[198:199], v[198:199], v[200:201]
	v_mul_f64 v[200:201], v[216:217], v[186:187]
	s_waitcnt vmcnt(4)
	v_fma_f64 v[4:5], v[216:217], v[188:189], -v[4:5]
	v_fmac_f64_e32 v[200:201], v[218:219], v[188:189]
	v_add_f64 v[2:3], v[2:3], v[4:5]
	v_add_f64 v[198:199], v[198:199], v[200:201]
	s_waitcnt vmcnt(2)
	v_add_f64 v[2:3], v[194:195], -v[2:3]
	v_cmp_lt_u32_e32 vcc, 7, v206
	s_waitcnt vmcnt(0)
	v_add_f64 v[4:5], v[196:197], -v[198:199]
	buffer_store_dword v3, off, s[0:3], 0 offset:132
	buffer_store_dword v2, off, s[0:3], 0 offset:128
	buffer_store_dword v5, off, s[0:3], 0 offset:140
	buffer_store_dword v4, off, s[0:3], 0 offset:136
	s_and_saveexec_b64 s[6:7], vcc
	s_cbranch_execz .LBB27_167
; %bb.166:
	v_accvgpr_read_b32 v5, a45
	buffer_load_dword v2, v5, s[0:3], 0 offen
	buffer_load_dword v3, v5, s[0:3], 0 offen offset:4
	buffer_load_dword v4, v5, s[0:3], 0 offen offset:8
	s_nop 0
	buffer_load_dword v5, v5, s[0:3], 0 offen offset:12
	s_nop 0
	buffer_store_dword v110, off, s[0:3], 0 offset:112
	buffer_store_dword v110, off, s[0:3], 0 offset:116
	;; [unrolled: 1-line block ×4, first 2 shown]
	s_waitcnt vmcnt(4)
	ds_write_b128 v207, v[2:5]
.LBB27_167:
	s_or_b64 exec, exec, s[6:7]
	s_waitcnt lgkmcnt(0)
	; wave barrier
	s_waitcnt lgkmcnt(0)
	buffer_load_dword v2, off, s[0:3], 0 offset:128
	buffer_load_dword v3, off, s[0:3], 0 offset:132
	;; [unrolled: 1-line block ×76, first 2 shown]
	ds_read_b128 v[112:115], v110 offset:576
	buffer_load_dword v195, off, s[0:3], 0 offset:444
	buffer_load_dword v194, off, s[0:3], 0 offset:440
	;; [unrolled: 1-line block ×8, first 2 shown]
	ds_read_b128 v[116:119], v110 offset:592
	ds_read_b128 v[120:123], v110 offset:608
	;; [unrolled: 1-line block ×3, first 2 shown]
	v_cmp_lt_u32_e32 vcc, 6, v206
	ds_read_b128 v[220:223], v110 offset:880
	s_waitcnt vmcnt(62) lgkmcnt(4)
	v_mul_f64 v[128:129], v[112:113], v[8:9]
	v_fmac_f64_e32 v[128:129], v[114:115], v[2:3]
	v_add_f64 v[128:129], v[128:129], 0
	v_mul_f64 v[8:9], v[114:115], v[8:9]
	s_waitcnt lgkmcnt(3)
	v_mul_f64 v[130:131], v[116:117], v[10:11]
	v_fmac_f64_e32 v[130:131], v[118:119], v[4:5]
	v_add_f64 v[128:129], v[128:129], v[130:131]
	v_fma_f64 v[2:3], v[112:113], v[2:3], -v[8:9]
	s_waitcnt lgkmcnt(2)
	v_mul_f64 v[130:131], v[120:121], v[12:13]
	v_fmac_f64_e32 v[130:131], v[122:123], v[6:7]
	v_add_f64 v[132:133], v[128:129], v[130:131]
	ds_read_b128 v[128:131], v110 offset:640
	v_mul_f64 v[8:9], v[118:119], v[10:11]
	v_add_f64 v[2:3], v[2:3], 0
	s_waitcnt lgkmcnt(2)
	v_mul_f64 v[134:135], v[124:125], v[18:19]
	v_fma_f64 v[4:5], v[116:117], v[4:5], -v[8:9]
	v_fmac_f64_e32 v[134:135], v[126:127], v[20:21]
	v_add_f64 v[136:137], v[132:133], v[134:135]
	ds_read_b128 v[132:135], v110 offset:656
	s_waitcnt lgkmcnt(1)
	v_mul_f64 v[138:139], v[128:129], v[14:15]
	v_fmac_f64_e32 v[138:139], v[130:131], v[16:17]
	v_add_f64 v[140:141], v[136:137], v[138:139]
	ds_read_b128 v[136:139], v110 offset:672
	s_waitcnt vmcnt(58) lgkmcnt(1)
	v_mul_f64 v[142:143], v[132:133], v[26:27]
	s_waitcnt vmcnt(56)
	v_fmac_f64_e32 v[142:143], v[134:135], v[28:29]
	v_add_f64 v[144:145], v[140:141], v[142:143]
	ds_read_b128 v[140:143], v110 offset:688
	s_waitcnt lgkmcnt(1)
	v_mul_f64 v[146:147], v[136:137], v[22:23]
	v_fmac_f64_e32 v[146:147], v[138:139], v[24:25]
	v_add_f64 v[148:149], v[144:145], v[146:147]
	ds_read_b128 v[144:147], v110 offset:704
	s_waitcnt vmcnt(50) lgkmcnt(1)
	v_mul_f64 v[150:151], v[140:141], v[90:91]
	s_waitcnt vmcnt(48)
	v_fmac_f64_e32 v[150:151], v[142:143], v[92:93]
	v_add_f64 v[152:153], v[148:149], v[150:151]
	ds_read_b128 v[148:151], v110 offset:720
	s_waitcnt lgkmcnt(1)
	v_mul_f64 v[154:155], v[144:145], v[86:87]
	v_fmac_f64_e32 v[154:155], v[146:147], v[88:89]
	v_add_f64 v[156:157], v[152:153], v[154:155]
	ds_read_b128 v[152:155], v110 offset:736
	v_add_f64 v[2:3], v[2:3], v[4:5]
	v_mul_f64 v[4:5], v[122:123], v[12:13]
	v_fma_f64 v[4:5], v[120:121], v[6:7], -v[4:5]
	s_waitcnt vmcnt(42) lgkmcnt(1)
	v_mul_f64 v[158:159], v[148:149], v[98:99]
	v_add_f64 v[2:3], v[2:3], v[4:5]
	v_mul_f64 v[4:5], v[126:127], v[18:19]
	s_waitcnt vmcnt(40)
	v_fmac_f64_e32 v[158:159], v[150:151], v[100:101]
	v_fma_f64 v[4:5], v[124:125], v[20:21], -v[4:5]
	v_add_f64 v[160:161], v[156:157], v[158:159]
	ds_read_b128 v[156:159], v110 offset:752
	s_waitcnt lgkmcnt(1)
	v_mul_f64 v[162:163], v[152:153], v[94:95]
	v_add_f64 v[2:3], v[2:3], v[4:5]
	v_mul_f64 v[4:5], v[130:131], v[14:15]
	v_fmac_f64_e32 v[162:163], v[154:155], v[96:97]
	v_fma_f64 v[4:5], v[128:129], v[16:17], -v[4:5]
	v_add_f64 v[164:165], v[160:161], v[162:163]
	ds_read_b128 v[160:163], v110 offset:768
	v_add_f64 v[2:3], v[2:3], v[4:5]
	v_mul_f64 v[4:5], v[134:135], v[26:27]
	v_fma_f64 v[4:5], v[132:133], v[28:29], -v[4:5]
	v_add_f64 v[2:3], v[2:3], v[4:5]
	v_mul_f64 v[4:5], v[138:139], v[22:23]
	s_waitcnt vmcnt(34) lgkmcnt(1)
	v_mul_f64 v[166:167], v[156:157], v[106:107]
	v_fma_f64 v[4:5], v[136:137], v[24:25], -v[4:5]
	s_waitcnt vmcnt(32)
	v_fmac_f64_e32 v[166:167], v[158:159], v[108:109]
	v_add_f64 v[2:3], v[2:3], v[4:5]
	v_mul_f64 v[4:5], v[142:143], v[90:91]
	v_add_f64 v[172:173], v[164:165], v[166:167]
	ds_read_b128 v[164:167], v110 offset:784
	s_waitcnt lgkmcnt(1)
	v_mul_f64 v[174:175], v[160:161], v[102:103]
	v_fma_f64 v[4:5], v[140:141], v[92:93], -v[4:5]
	v_fmac_f64_e32 v[174:175], v[162:163], v[104:105]
	v_add_f64 v[2:3], v[2:3], v[4:5]
	v_mul_f64 v[4:5], v[146:147], v[86:87]
	v_add_f64 v[176:177], v[172:173], v[174:175]
	ds_read_b128 v[172:175], v110 offset:800
	v_fma_f64 v[4:5], v[144:145], v[88:89], -v[4:5]
	v_add_f64 v[2:3], v[2:3], v[4:5]
	v_mul_f64 v[4:5], v[150:151], v[98:99]
	v_fma_f64 v[4:5], v[148:149], v[100:101], -v[4:5]
	s_waitcnt vmcnt(26) lgkmcnt(1)
	v_mul_f64 v[178:179], v[164:165], v[38:39]
	v_add_f64 v[2:3], v[2:3], v[4:5]
	v_mul_f64 v[4:5], v[154:155], v[94:95]
	s_waitcnt vmcnt(24)
	v_fmac_f64_e32 v[178:179], v[166:167], v[40:41]
	v_fma_f64 v[4:5], v[152:153], v[96:97], -v[4:5]
	v_add_f64 v[202:203], v[176:177], v[178:179]
	ds_read_b128 v[176:179], v110 offset:816
	s_waitcnt lgkmcnt(1)
	v_mul_f64 v[208:209], v[172:173], v[34:35]
	v_add_f64 v[2:3], v[2:3], v[4:5]
	v_mul_f64 v[4:5], v[158:159], v[106:107]
	v_fmac_f64_e32 v[208:209], v[174:175], v[36:37]
	v_fma_f64 v[4:5], v[156:157], v[108:109], -v[4:5]
	v_add_f64 v[202:203], v[202:203], v[208:209]
	ds_read_b128 v[208:211], v110 offset:832
	v_add_f64 v[2:3], v[2:3], v[4:5]
	v_mul_f64 v[4:5], v[162:163], v[102:103]
	v_fma_f64 v[4:5], v[160:161], v[104:105], -v[4:5]
	v_add_f64 v[2:3], v[2:3], v[4:5]
	v_mul_f64 v[4:5], v[166:167], v[38:39]
	s_waitcnt vmcnt(18) lgkmcnt(1)
	v_mul_f64 v[212:213], v[176:177], v[182:183]
	v_fma_f64 v[4:5], v[164:165], v[40:41], -v[4:5]
	s_waitcnt vmcnt(16)
	v_fmac_f64_e32 v[212:213], v[178:179], v[184:185]
	v_add_f64 v[2:3], v[2:3], v[4:5]
	v_mul_f64 v[4:5], v[174:175], v[34:35]
	v_add_f64 v[202:203], v[202:203], v[212:213]
	ds_read_b128 v[212:215], v110 offset:848
	s_waitcnt lgkmcnt(1)
	v_mul_f64 v[216:217], v[208:209], v[168:169]
	v_fma_f64 v[4:5], v[172:173], v[36:37], -v[4:5]
	v_fmac_f64_e32 v[216:217], v[210:211], v[180:181]
	v_add_f64 v[2:3], v[2:3], v[4:5]
	v_mul_f64 v[4:5], v[178:179], v[182:183]
	v_add_f64 v[202:203], v[202:203], v[216:217]
	ds_read_b128 v[216:219], v110 offset:864
	v_fma_f64 v[4:5], v[176:177], v[184:185], -v[4:5]
	v_add_f64 v[2:3], v[2:3], v[4:5]
	v_mul_f64 v[4:5], v[210:211], v[168:169]
	v_fma_f64 v[4:5], v[208:209], v[180:181], -v[4:5]
	v_add_f64 v[2:3], v[2:3], v[4:5]
	s_waitcnt vmcnt(10) lgkmcnt(1)
	v_mul_f64 v[4:5], v[214:215], v[190:191]
	v_mul_f64 v[224:225], v[212:213], v[190:191]
	s_waitcnt vmcnt(8)
	v_fma_f64 v[4:5], v[212:213], v[192:193], -v[4:5]
	v_fmac_f64_e32 v[224:225], v[214:215], v[192:193]
	v_add_f64 v[2:3], v[2:3], v[4:5]
	s_waitcnt lgkmcnt(0)
	v_mul_f64 v[4:5], v[218:219], v[186:187]
	v_add_f64 v[110:111], v[202:203], v[224:225]
	v_mul_f64 v[202:203], v[216:217], v[186:187]
	v_fma_f64 v[4:5], v[216:217], v[188:189], -v[4:5]
	v_fmac_f64_e32 v[202:203], v[218:219], v[188:189]
	v_add_f64 v[2:3], v[2:3], v[4:5]
	s_waitcnt vmcnt(6)
	v_mul_f64 v[4:5], v[222:223], v[194:195]
	v_add_f64 v[110:111], v[110:111], v[202:203]
	v_mul_f64 v[202:203], v[220:221], v[194:195]
	s_waitcnt vmcnt(4)
	v_fma_f64 v[4:5], v[220:221], v[196:197], -v[4:5]
	v_fmac_f64_e32 v[202:203], v[222:223], v[196:197]
	v_add_f64 v[2:3], v[2:3], v[4:5]
	v_add_f64 v[110:111], v[110:111], v[202:203]
	s_waitcnt vmcnt(2)
	v_add_f64 v[2:3], v[198:199], -v[2:3]
	s_waitcnt vmcnt(0)
	v_add_f64 v[4:5], v[200:201], -v[110:111]
	buffer_store_dword v3, off, s[0:3], 0 offset:116
	buffer_store_dword v2, off, s[0:3], 0 offset:112
	buffer_store_dword v5, off, s[0:3], 0 offset:124
	buffer_store_dword v4, off, s[0:3], 0 offset:120
	s_and_saveexec_b64 s[6:7], vcc
	s_cbranch_execz .LBB27_169
; %bb.168:
	v_accvgpr_read_b32 v5, a51
	buffer_load_dword v2, v5, s[0:3], 0 offen
	buffer_load_dword v3, v5, s[0:3], 0 offen offset:4
	buffer_load_dword v4, v5, s[0:3], 0 offen offset:8
	s_nop 0
	buffer_load_dword v5, v5, s[0:3], 0 offen offset:12
	v_mov_b32_e32 v6, 0
	buffer_store_dword v6, off, s[0:3], 0 offset:96
	buffer_store_dword v6, off, s[0:3], 0 offset:100
	;; [unrolled: 1-line block ×4, first 2 shown]
	s_waitcnt vmcnt(4)
	ds_write_b128 v207, v[2:5]
.LBB27_169:
	s_or_b64 exec, exec, s[6:7]
	s_waitcnt lgkmcnt(0)
	; wave barrier
	s_waitcnt lgkmcnt(0)
	buffer_load_dword v4, off, s[0:3], 0 offset:96
	buffer_load_dword v5, off, s[0:3], 0 offset:100
	;; [unrolled: 1-line block ×84, first 2 shown]
	v_mov_b32_e32 v142, 0
	ds_read_b128 v[122:125], v142 offset:560
	buffer_load_dword v191, off, s[0:3], 0 offset:444
	buffer_load_dword v190, off, s[0:3], 0 offset:440
	;; [unrolled: 1-line block ×4, first 2 shown]
	ds_read_b128 v[126:129], v142 offset:576
	ds_read_b128 v[130:133], v142 offset:592
	;; [unrolled: 1-line block ×5, first 2 shown]
	s_waitcnt vmcnt(62) lgkmcnt(5)
	v_mul_f64 v[138:139], v[122:123], v[12:13]
	v_fmac_f64_e32 v[138:139], v[124:125], v[6:7]
	s_waitcnt lgkmcnt(4)
	v_mul_f64 v[140:141], v[126:127], v[14:15]
	v_add_f64 v[138:139], v[138:139], 0
	v_fmac_f64_e32 v[140:141], v[128:129], v[8:9]
	v_add_f64 v[138:139], v[138:139], v[140:141]
	s_waitcnt lgkmcnt(3)
	v_mul_f64 v[140:141], v[130:131], v[16:17]
	v_fmac_f64_e32 v[140:141], v[132:133], v[10:11]
	v_add_f64 v[144:145], v[138:139], v[140:141]
	ds_read_b128 v[138:141], v142 offset:624
	v_mul_f64 v[12:13], v[124:125], v[12:13]
	s_waitcnt lgkmcnt(3)
	v_mul_f64 v[146:147], v[134:135], v[22:23]
	v_fma_f64 v[6:7], v[122:123], v[6:7], -v[12:13]
	v_fmac_f64_e32 v[146:147], v[136:137], v[24:25]
	v_add_f64 v[148:149], v[144:145], v[146:147]
	ds_read_b128 v[144:147], v142 offset:640
	s_waitcnt lgkmcnt(1)
	v_mul_f64 v[150:151], v[138:139], v[18:19]
	v_fmac_f64_e32 v[150:151], v[140:141], v[20:21]
	v_add_f64 v[152:153], v[148:149], v[150:151]
	ds_read_b128 v[148:151], v142 offset:656
	s_waitcnt vmcnt(58) lgkmcnt(1)
	v_mul_f64 v[154:155], v[144:145], v[86:87]
	s_waitcnt vmcnt(56)
	v_fmac_f64_e32 v[154:155], v[146:147], v[88:89]
	v_mul_f64 v[12:13], v[128:129], v[14:15]
	v_add_f64 v[156:157], v[152:153], v[154:155]
	ds_read_b128 v[152:155], v142 offset:672
	s_waitcnt lgkmcnt(1)
	v_mul_f64 v[158:159], v[148:149], v[26:27]
	v_add_f64 v[6:7], v[6:7], 0
	v_fma_f64 v[8:9], v[126:127], v[8:9], -v[12:13]
	v_fmac_f64_e32 v[158:159], v[150:151], v[28:29]
	v_add_f64 v[6:7], v[6:7], v[8:9]
	v_mul_f64 v[8:9], v[132:133], v[16:17]
	v_add_f64 v[160:161], v[156:157], v[158:159]
	ds_read_b128 v[156:159], v142 offset:688
	v_fma_f64 v[8:9], v[130:131], v[10:11], -v[8:9]
	v_add_f64 v[6:7], v[6:7], v[8:9]
	v_mul_f64 v[8:9], v[136:137], v[22:23]
	v_fma_f64 v[8:9], v[134:135], v[24:25], -v[8:9]
	s_waitcnt vmcnt(50) lgkmcnt(1)
	v_mul_f64 v[162:163], v[152:153], v[94:95]
	v_add_f64 v[6:7], v[6:7], v[8:9]
	v_mul_f64 v[8:9], v[140:141], v[18:19]
	s_waitcnt vmcnt(48)
	v_fmac_f64_e32 v[162:163], v[154:155], v[96:97]
	v_fma_f64 v[8:9], v[138:139], v[20:21], -v[8:9]
	v_add_f64 v[164:165], v[160:161], v[162:163]
	ds_read_b128 v[160:163], v142 offset:704
	s_waitcnt lgkmcnt(1)
	v_mul_f64 v[166:167], v[156:157], v[90:91]
	v_add_f64 v[6:7], v[6:7], v[8:9]
	v_mul_f64 v[8:9], v[146:147], v[86:87]
	v_fmac_f64_e32 v[166:167], v[158:159], v[92:93]
	v_fma_f64 v[8:9], v[144:145], v[88:89], -v[8:9]
	v_add_f64 v[172:173], v[164:165], v[166:167]
	ds_read_b128 v[164:167], v142 offset:720
	v_add_f64 v[6:7], v[6:7], v[8:9]
	v_mul_f64 v[8:9], v[150:151], v[26:27]
	v_fma_f64 v[8:9], v[148:149], v[28:29], -v[8:9]
	v_add_f64 v[6:7], v[6:7], v[8:9]
	v_mul_f64 v[8:9], v[154:155], v[94:95]
	s_waitcnt vmcnt(42) lgkmcnt(1)
	v_mul_f64 v[174:175], v[160:161], v[102:103]
	v_fma_f64 v[8:9], v[152:153], v[96:97], -v[8:9]
	s_waitcnt vmcnt(40)
	v_fmac_f64_e32 v[174:175], v[162:163], v[104:105]
	v_add_f64 v[6:7], v[6:7], v[8:9]
	v_mul_f64 v[8:9], v[158:159], v[90:91]
	v_add_f64 v[176:177], v[172:173], v[174:175]
	ds_read_b128 v[172:175], v142 offset:736
	s_waitcnt lgkmcnt(1)
	v_mul_f64 v[178:179], v[164:165], v[98:99]
	v_fma_f64 v[8:9], v[156:157], v[92:93], -v[8:9]
	v_fmac_f64_e32 v[178:179], v[166:167], v[100:101]
	v_add_f64 v[6:7], v[6:7], v[8:9]
	v_mul_f64 v[8:9], v[162:163], v[102:103]
	v_add_f64 v[194:195], v[176:177], v[178:179]
	ds_read_b128 v[176:179], v142 offset:752
	ds_read_b128 v[208:211], v142 offset:768
	v_fma_f64 v[8:9], v[160:161], v[104:105], -v[8:9]
	v_add_f64 v[6:7], v[6:7], v[8:9]
	v_mul_f64 v[8:9], v[166:167], v[98:99]
	v_fma_f64 v[8:9], v[164:165], v[100:101], -v[8:9]
	v_add_f64 v[6:7], v[6:7], v[8:9]
	s_waitcnt vmcnt(34) lgkmcnt(2)
	v_mul_f64 v[8:9], v[174:175], v[110:111]
	v_mul_f64 v[196:197], v[172:173], v[110:111]
	s_waitcnt vmcnt(32)
	v_fma_f64 v[8:9], v[172:173], v[112:113], -v[8:9]
	v_fmac_f64_e32 v[196:197], v[174:175], v[112:113]
	v_add_f64 v[6:7], v[6:7], v[8:9]
	s_waitcnt lgkmcnt(1)
	v_mul_f64 v[8:9], v[178:179], v[106:107]
	v_add_f64 v[194:195], v[194:195], v[196:197]
	v_mul_f64 v[196:197], v[176:177], v[106:107]
	v_fma_f64 v[8:9], v[176:177], v[108:109], -v[8:9]
	v_fmac_f64_e32 v[196:197], v[178:179], v[108:109]
	v_add_f64 v[6:7], v[6:7], v[8:9]
	s_waitcnt vmcnt(26) lgkmcnt(0)
	v_mul_f64 v[8:9], v[210:211], v[118:119]
	v_add_f64 v[194:195], v[194:195], v[196:197]
	v_mul_f64 v[196:197], v[208:209], v[118:119]
	ds_read_b128 v[220:223], v142 offset:816
	ds_read_b128 v[224:227], v142 offset:832
	s_waitcnt vmcnt(24)
	v_fma_f64 v[8:9], v[208:209], v[120:121], -v[8:9]
	v_fmac_f64_e32 v[196:197], v[210:211], v[120:121]
	v_add_f64 v[6:7], v[6:7], v[8:9]
	v_mul_f64 v[8:9], v[214:215], v[114:115]
	v_add_f64 v[194:195], v[194:195], v[196:197]
	v_mul_f64 v[196:197], v[212:213], v[114:115]
	v_fma_f64 v[8:9], v[212:213], v[116:117], -v[8:9]
	v_fmac_f64_e32 v[196:197], v[214:215], v[116:117]
	v_add_f64 v[6:7], v[6:7], v[8:9]
	s_waitcnt vmcnt(18)
	v_mul_f64 v[8:9], v[218:219], v[38:39]
	v_add_f64 v[194:195], v[194:195], v[196:197]
	v_mul_f64 v[196:197], v[216:217], v[38:39]
	ds_read_b128 v[228:231], v142 offset:848
	ds_read_b128 v[232:235], v142 offset:864
	s_waitcnt vmcnt(16)
	v_fma_f64 v[8:9], v[216:217], v[40:41], -v[8:9]
	v_fmac_f64_e32 v[196:197], v[218:219], v[40:41]
	v_add_f64 v[6:7], v[6:7], v[8:9]
	s_waitcnt lgkmcnt(3)
	v_mul_f64 v[8:9], v[222:223], v[34:35]
	v_add_f64 v[194:195], v[194:195], v[196:197]
	v_mul_f64 v[196:197], v[220:221], v[34:35]
	v_fma_f64 v[8:9], v[220:221], v[36:37], -v[8:9]
	v_fmac_f64_e32 v[196:197], v[222:223], v[36:37]
	v_add_f64 v[6:7], v[6:7], v[8:9]
	s_waitcnt vmcnt(10) lgkmcnt(2)
	v_mul_f64 v[8:9], v[226:227], v[182:183]
	v_add_f64 v[194:195], v[194:195], v[196:197]
	v_mul_f64 v[196:197], v[224:225], v[182:183]
	ds_read_b128 v[236:239], v142 offset:880
	s_waitcnt vmcnt(8)
	v_fma_f64 v[8:9], v[224:225], v[184:185], -v[8:9]
	v_fmac_f64_e32 v[196:197], v[226:227], v[184:185]
	v_add_f64 v[6:7], v[6:7], v[8:9]
	s_waitcnt lgkmcnt(2)
	v_mul_f64 v[8:9], v[230:231], v[168:169]
	v_add_f64 v[194:195], v[194:195], v[196:197]
	v_mul_f64 v[196:197], v[228:229], v[168:169]
	v_fma_f64 v[8:9], v[228:229], v[180:181], -v[8:9]
	v_fmac_f64_e32 v[196:197], v[230:231], v[180:181]
	v_add_f64 v[6:7], v[6:7], v[8:9]
	s_waitcnt vmcnt(6) lgkmcnt(1)
	v_mul_f64 v[8:9], v[234:235], v[186:187]
	v_add_f64 v[194:195], v[194:195], v[196:197]
	v_mul_f64 v[196:197], v[232:233], v[186:187]
	s_waitcnt vmcnt(4)
	v_fma_f64 v[8:9], v[232:233], v[188:189], -v[8:9]
	v_fmac_f64_e32 v[196:197], v[234:235], v[188:189]
	v_add_f64 v[6:7], v[6:7], v[8:9]
	s_waitcnt vmcnt(2) lgkmcnt(0)
	v_mul_f64 v[8:9], v[238:239], v[190:191]
	v_add_f64 v[194:195], v[194:195], v[196:197]
	v_mul_f64 v[196:197], v[236:237], v[190:191]
	s_waitcnt vmcnt(0)
	v_fma_f64 v[8:9], v[236:237], v[192:193], -v[8:9]
	v_fmac_f64_e32 v[196:197], v[238:239], v[192:193]
	v_add_f64 v[6:7], v[6:7], v[8:9]
	v_add_f64 v[194:195], v[194:195], v[196:197]
	v_add_f64 v[4:5], v[4:5], -v[6:7]
	v_cmp_lt_u32_e32 vcc, 5, v206
	v_add_f64 v[2:3], v[2:3], -v[194:195]
	buffer_store_dword v5, off, s[0:3], 0 offset:100
	buffer_store_dword v4, off, s[0:3], 0 offset:96
	;; [unrolled: 1-line block ×4, first 2 shown]
	s_and_saveexec_b64 s[6:7], vcc
	s_cbranch_execz .LBB27_171
; %bb.170:
	v_accvgpr_read_b32 v5, a49
	buffer_load_dword v2, v5, s[0:3], 0 offen
	buffer_load_dword v3, v5, s[0:3], 0 offen offset:4
	buffer_load_dword v4, v5, s[0:3], 0 offen offset:8
	s_nop 0
	buffer_load_dword v5, v5, s[0:3], 0 offen offset:12
	s_nop 0
	buffer_store_dword v142, off, s[0:3], 0 offset:80
	buffer_store_dword v142, off, s[0:3], 0 offset:84
	;; [unrolled: 1-line block ×4, first 2 shown]
	s_waitcnt vmcnt(4)
	ds_write_b128 v207, v[2:5]
.LBB27_171:
	s_or_b64 exec, exec, s[6:7]
	s_waitcnt lgkmcnt(0)
	; wave barrier
	s_waitcnt lgkmcnt(0)
	ds_read_b128 v[14:17], v142 offset:544
	ds_read_b128 v[10:13], v142 offset:560
	;; [unrolled: 1-line block ×4, first 2 shown]
	buffer_load_dword v20, off, s[0:3], 0 offset:80
	buffer_load_dword v21, off, s[0:3], 0 offset:84
	;; [unrolled: 1-line block ×92, first 2 shown]
	s_waitcnt vmcnt(62) lgkmcnt(3)
	v_mul_f64 v[144:145], v[14:15], v[28:29]
	v_fmac_f64_e32 v[144:145], v[16:17], v[22:23]
	s_waitcnt lgkmcnt(2)
	v_mul_f64 v[146:147], v[10:11], v[86:87]
	v_add_f64 v[144:145], v[144:145], 0
	v_fmac_f64_e32 v[146:147], v[12:13], v[24:25]
	v_add_f64 v[144:145], v[144:145], v[146:147]
	s_waitcnt lgkmcnt(1)
	v_mul_f64 v[146:147], v[6:7], v[88:89]
	v_fmac_f64_e32 v[146:147], v[8:9], v[26:27]
	v_add_f64 v[148:149], v[144:145], v[146:147]
	ds_read_b128 v[144:147], v142 offset:608
	v_mul_f64 v[16:17], v[16:17], v[28:29]
	v_fma_f64 v[14:15], v[14:15], v[22:23], -v[16:17]
	s_waitcnt lgkmcnt(1)
	v_mul_f64 v[150:151], v[2:3], v[94:95]
	v_mul_f64 v[12:13], v[12:13], v[86:87]
	v_fmac_f64_e32 v[150:151], v[4:5], v[96:97]
	v_add_f64 v[152:153], v[148:149], v[150:151]
	ds_read_b128 v[148:151], v142 offset:624
	s_waitcnt lgkmcnt(1)
	v_mul_f64 v[154:155], v[144:145], v[90:91]
	v_fmac_f64_e32 v[154:155], v[146:147], v[92:93]
	v_add_f64 v[156:157], v[152:153], v[154:155]
	ds_read_b128 v[152:155], v142 offset:640
	s_waitcnt lgkmcnt(1)
	v_mul_f64 v[158:159], v[148:149], v[102:103]
	s_waitcnt vmcnt(60)
	v_fmac_f64_e32 v[158:159], v[150:151], v[104:105]
	v_add_f64 v[160:161], v[156:157], v[158:159]
	ds_read_b128 v[156:159], v142 offset:656
	s_waitcnt lgkmcnt(1)
	v_mul_f64 v[162:163], v[152:153], v[98:99]
	v_add_f64 v[14:15], v[14:15], 0
	v_fma_f64 v[10:11], v[10:11], v[24:25], -v[12:13]
	v_mul_f64 v[8:9], v[8:9], v[88:89]
	v_fmac_f64_e32 v[162:163], v[154:155], v[100:101]
	v_add_f64 v[10:11], v[14:15], v[10:11]
	v_fma_f64 v[6:7], v[6:7], v[26:27], -v[8:9]
	v_mul_f64 v[4:5], v[4:5], v[94:95]
	v_add_f64 v[164:165], v[160:161], v[162:163]
	ds_read_b128 v[160:163], v142 offset:672
	s_waitcnt vmcnt(54) lgkmcnt(1)
	v_mul_f64 v[166:167], v[156:157], v[110:111]
	v_add_f64 v[6:7], v[10:11], v[6:7]
	v_fma_f64 v[2:3], v[2:3], v[96:97], -v[4:5]
	v_mul_f64 v[4:5], v[146:147], v[90:91]
	s_waitcnt vmcnt(52)
	v_fmac_f64_e32 v[166:167], v[158:159], v[112:113]
	v_add_f64 v[2:3], v[6:7], v[2:3]
	v_fma_f64 v[4:5], v[144:145], v[92:93], -v[4:5]
	v_add_f64 v[172:173], v[164:165], v[166:167]
	ds_read_b128 v[164:167], v142 offset:688
	v_add_f64 v[2:3], v[2:3], v[4:5]
	v_mul_f64 v[4:5], v[150:151], v[102:103]
	v_fma_f64 v[4:5], v[148:149], v[104:105], -v[4:5]
	v_add_f64 v[2:3], v[2:3], v[4:5]
	v_mul_f64 v[4:5], v[154:155], v[98:99]
	s_waitcnt lgkmcnt(1)
	v_mul_f64 v[174:175], v[160:161], v[106:107]
	v_fma_f64 v[4:5], v[152:153], v[100:101], -v[4:5]
	v_fmac_f64_e32 v[174:175], v[162:163], v[108:109]
	v_add_f64 v[2:3], v[2:3], v[4:5]
	v_mul_f64 v[4:5], v[158:159], v[110:111]
	v_add_f64 v[176:177], v[172:173], v[174:175]
	ds_read_b128 v[172:175], v142 offset:704
	s_waitcnt vmcnt(46) lgkmcnt(1)
	v_mul_f64 v[178:179], v[164:165], v[118:119]
	v_fma_f64 v[4:5], v[156:157], v[112:113], -v[4:5]
	s_waitcnt vmcnt(44)
	v_fmac_f64_e32 v[178:179], v[166:167], v[120:121]
	v_add_f64 v[2:3], v[2:3], v[4:5]
	v_mul_f64 v[4:5], v[162:163], v[106:107]
	v_add_f64 v[194:195], v[176:177], v[178:179]
	ds_read_b128 v[176:179], v142 offset:720
	v_fma_f64 v[4:5], v[160:161], v[108:109], -v[4:5]
	v_add_f64 v[2:3], v[2:3], v[4:5]
	v_mul_f64 v[4:5], v[166:167], v[118:119]
	ds_read_b128 v[208:211], v142 offset:736
	ds_read_b128 v[212:215], v142 offset:752
	v_fma_f64 v[4:5], v[164:165], v[120:121], -v[4:5]
	v_add_f64 v[2:3], v[2:3], v[4:5]
	s_waitcnt lgkmcnt(3)
	v_mul_f64 v[4:5], v[174:175], v[114:115]
	v_mul_f64 v[196:197], v[172:173], v[114:115]
	v_fma_f64 v[4:5], v[172:173], v[116:117], -v[4:5]
	v_fmac_f64_e32 v[196:197], v[174:175], v[116:117]
	v_add_f64 v[2:3], v[2:3], v[4:5]
	s_waitcnt vmcnt(38) lgkmcnt(2)
	v_mul_f64 v[4:5], v[178:179], v[126:127]
	v_add_f64 v[194:195], v[194:195], v[196:197]
	v_mul_f64 v[196:197], v[176:177], v[126:127]
	ds_read_b128 v[216:219], v142 offset:768
	ds_read_b128 v[220:223], v142 offset:784
	s_waitcnt vmcnt(36)
	v_fma_f64 v[4:5], v[176:177], v[128:129], -v[4:5]
	v_fmac_f64_e32 v[196:197], v[178:179], v[128:129]
	v_add_f64 v[2:3], v[2:3], v[4:5]
	s_waitcnt lgkmcnt(3)
	v_mul_f64 v[4:5], v[210:211], v[122:123]
	v_add_f64 v[194:195], v[194:195], v[196:197]
	v_mul_f64 v[196:197], v[208:209], v[122:123]
	v_fma_f64 v[4:5], v[208:209], v[124:125], -v[4:5]
	v_fmac_f64_e32 v[196:197], v[210:211], v[124:125]
	v_add_f64 v[2:3], v[2:3], v[4:5]
	s_waitcnt vmcnt(30) lgkmcnt(2)
	v_mul_f64 v[4:5], v[214:215], v[134:135]
	v_add_f64 v[194:195], v[194:195], v[196:197]
	v_mul_f64 v[196:197], v[212:213], v[134:135]
	ds_read_b128 v[224:227], v142 offset:800
	ds_read_b128 v[228:231], v142 offset:816
	s_waitcnt vmcnt(28)
	v_fma_f64 v[4:5], v[212:213], v[136:137], -v[4:5]
	v_fmac_f64_e32 v[196:197], v[214:215], v[136:137]
	v_add_f64 v[2:3], v[2:3], v[4:5]
	s_waitcnt lgkmcnt(3)
	v_mul_f64 v[4:5], v[218:219], v[130:131]
	v_add_f64 v[194:195], v[194:195], v[196:197]
	;; [unrolled: 17-line block ×4, first 2 shown]
	v_mul_f64 v[196:197], v[232:233], v[38:39]
	v_fma_f64 v[4:5], v[232:233], v[40:41], -v[4:5]
	v_fmac_f64_e32 v[196:197], v[234:235], v[40:41]
	v_add_f64 v[2:3], v[2:3], v[4:5]
	s_waitcnt vmcnt(6) lgkmcnt(2)
	v_mul_f64 v[4:5], v[238:239], v[186:187]
	v_add_f64 v[194:195], v[194:195], v[196:197]
	v_mul_f64 v[196:197], v[236:237], v[186:187]
	s_waitcnt vmcnt(4)
	v_fma_f64 v[4:5], v[236:237], v[188:189], -v[4:5]
	v_fmac_f64_e32 v[196:197], v[238:239], v[188:189]
	v_add_f64 v[2:3], v[2:3], v[4:5]
	s_waitcnt lgkmcnt(1)
	v_mul_f64 v[4:5], v[242:243], v[182:183]
	v_add_f64 v[142:143], v[194:195], v[196:197]
	v_mul_f64 v[194:195], v[240:241], v[182:183]
	v_fma_f64 v[4:5], v[240:241], v[184:185], -v[4:5]
	v_fmac_f64_e32 v[194:195], v[242:243], v[184:185]
	v_add_f64 v[2:3], v[2:3], v[4:5]
	s_waitcnt vmcnt(2) lgkmcnt(0)
	v_mul_f64 v[4:5], v[246:247], v[190:191]
	v_add_f64 v[142:143], v[142:143], v[194:195]
	v_mul_f64 v[194:195], v[244:245], v[190:191]
	s_waitcnt vmcnt(0)
	v_fma_f64 v[4:5], v[244:245], v[192:193], -v[4:5]
	v_fmac_f64_e32 v[194:195], v[246:247], v[192:193]
	v_add_f64 v[2:3], v[2:3], v[4:5]
	v_add_f64 v[142:143], v[142:143], v[194:195]
	v_add_f64 v[2:3], v[20:21], -v[2:3]
	v_cmp_lt_u32_e32 vcc, 4, v206
	v_add_f64 v[4:5], v[18:19], -v[142:143]
	buffer_store_dword v3, off, s[0:3], 0 offset:84
	buffer_store_dword v2, off, s[0:3], 0 offset:80
	;; [unrolled: 1-line block ×4, first 2 shown]
	s_and_saveexec_b64 s[6:7], vcc
	s_cbranch_execz .LBB27_173
; %bb.172:
	v_accvgpr_read_b32 v5, a50
	buffer_load_dword v2, v5, s[0:3], 0 offen
	buffer_load_dword v3, v5, s[0:3], 0 offen offset:4
	buffer_load_dword v4, v5, s[0:3], 0 offen offset:8
	s_nop 0
	buffer_load_dword v5, v5, s[0:3], 0 offen offset:12
	v_mov_b32_e32 v6, 0
	buffer_store_dword v6, off, s[0:3], 0 offset:64
	buffer_store_dword v6, off, s[0:3], 0 offset:68
	;; [unrolled: 1-line block ×4, first 2 shown]
	s_waitcnt vmcnt(4)
	ds_write_b128 v207, v[2:5]
.LBB27_173:
	s_or_b64 exec, exec, s[6:7]
	s_waitcnt lgkmcnt(0)
	; wave barrier
	s_waitcnt lgkmcnt(0)
	buffer_load_dword v9, off, s[0:3], 0 offset:92
	buffer_load_dword v6, off, s[0:3], 0 offset:104
	;; [unrolled: 1-line block ×64, first 2 shown]
	v_mov_b32_e32 v154, 0
	ds_read_b128 v[130:133], v154 offset:528
	ds_read_b128 v[134:137], v154 offset:544
	buffer_load_dword v123, off, s[0:3], 0 offset:348
	buffer_load_dword v122, off, s[0:3], 0 offset:344
	;; [unrolled: 1-line block ×8, first 2 shown]
	ds_read_b128 v[138:141], v154 offset:560
	ds_read_b128 v[142:145], v154 offset:576
	buffer_load_dword v39, off, s[0:3], 0 offset:380
	buffer_load_dword v38, off, s[0:3], 0 offset:376
	;; [unrolled: 1-line block ×24, first 2 shown]
	ds_read_b128 v[146:149], v154 offset:592
	ds_read_b128 v[150:153], v154 offset:608
	;; [unrolled: 1-line block ×19, first 2 shown]
	v_cmp_lt_u32_e32 vcc, 3, v206
	s_waitcnt vmcnt(62) lgkmcnt(14)
	v_mul_f64 v[36:37], v[134:135], v[6:7]
	v_mul_f64 v[34:35], v[130:131], v[8:9]
	;; [unrolled: 1-line block ×3, first 2 shown]
	v_fma_f64 v[8:9], v[130:131], v[10:11], -v[8:9]
	v_mul_f64 v[6:7], v[136:137], v[6:7]
	v_fmac_f64_e32 v[34:35], v[132:133], v[10:11]
	v_add_f64 v[8:9], v[8:9], 0
	v_add_f64 v[34:35], v[34:35], 0
	v_fma_f64 v[6:7], v[134:135], v[14:15], -v[6:7]
	v_fmac_f64_e32 v[36:37], v[136:137], v[14:15]
	v_add_f64 v[6:7], v[8:9], v[6:7]
	v_mul_f64 v[8:9], v[140:141], v[16:17]
	v_add_f64 v[34:35], v[34:35], v[36:37]
	v_mul_f64 v[36:37], v[138:139], v[16:17]
	v_fma_f64 v[8:9], v[138:139], v[12:13], -v[8:9]
	v_fmac_f64_e32 v[36:37], v[140:141], v[12:13]
	v_add_f64 v[6:7], v[6:7], v[8:9]
	v_mul_f64 v[8:9], v[144:145], v[22:23]
	v_add_f64 v[34:35], v[34:35], v[36:37]
	v_mul_f64 v[36:37], v[142:143], v[22:23]
	;; [unrolled: 6-line block ×5, first 2 shown]
	v_fma_f64 v[8:9], v[156:157], v[28:29], -v[8:9]
	v_fmac_f64_e32 v[36:37], v[158:159], v[28:29]
	v_add_f64 v[6:7], v[6:7], v[8:9]
	s_waitcnt vmcnt(58)
	v_mul_f64 v[8:9], v[162:163], v[94:95]
	v_add_f64 v[34:35], v[34:35], v[36:37]
	v_mul_f64 v[36:37], v[160:161], v[94:95]
	s_waitcnt vmcnt(56)
	v_fma_f64 v[8:9], v[160:161], v[96:97], -v[8:9]
	v_fmac_f64_e32 v[36:37], v[162:163], v[96:97]
	v_add_f64 v[6:7], v[6:7], v[8:9]
	v_mul_f64 v[8:9], v[166:167], v[90:91]
	v_add_f64 v[34:35], v[34:35], v[36:37]
	v_mul_f64 v[36:37], v[164:165], v[90:91]
	v_fma_f64 v[8:9], v[164:165], v[92:93], -v[8:9]
	v_fmac_f64_e32 v[36:37], v[166:167], v[92:93]
	v_add_f64 v[6:7], v[6:7], v[8:9]
	s_waitcnt vmcnt(50) lgkmcnt(13)
	v_mul_f64 v[8:9], v[174:175], v[102:103]
	v_add_f64 v[34:35], v[34:35], v[36:37]
	v_mul_f64 v[36:37], v[172:173], v[102:103]
	s_waitcnt vmcnt(48)
	v_fma_f64 v[8:9], v[172:173], v[104:105], -v[8:9]
	v_fmac_f64_e32 v[36:37], v[174:175], v[104:105]
	v_add_f64 v[6:7], v[6:7], v[8:9]
	s_waitcnt lgkmcnt(12)
	v_mul_f64 v[8:9], v[178:179], v[98:99]
	v_add_f64 v[34:35], v[34:35], v[36:37]
	v_mul_f64 v[36:37], v[176:177], v[98:99]
	v_fma_f64 v[8:9], v[176:177], v[100:101], -v[8:9]
	v_fmac_f64_e32 v[36:37], v[178:179], v[100:101]
	v_add_f64 v[6:7], v[6:7], v[8:9]
	s_waitcnt vmcnt(42) lgkmcnt(11)
	v_mul_f64 v[8:9], v[210:211], v[110:111]
	v_add_f64 v[34:35], v[34:35], v[36:37]
	v_mul_f64 v[36:37], v[208:209], v[110:111]
	s_waitcnt vmcnt(40)
	v_fma_f64 v[8:9], v[208:209], v[112:113], -v[8:9]
	v_fmac_f64_e32 v[36:37], v[210:211], v[112:113]
	v_add_f64 v[6:7], v[6:7], v[8:9]
	s_waitcnt lgkmcnt(10)
	;; [unrolled: 15-line block ×7, first 2 shown]
	v_mul_f64 v[8:9], v[254:255], v[190:191]
	v_add_f64 v[34:35], v[34:35], v[36:37]
	v_mul_f64 v[36:37], v[252:253], v[190:191]
	v_fma_f64 v[8:9], v[252:253], v[192:193], -v[8:9]
	v_fmac_f64_e32 v[36:37], v[254:255], v[192:193]
	v_add_f64 v[6:7], v[6:7], v[8:9]
	v_add_f64 v[34:35], v[34:35], v[36:37]
	v_add_f64 v[4:5], v[4:5], -v[6:7]
	v_add_f64 v[2:3], v[2:3], -v[34:35]
	buffer_store_dword v5, off, s[0:3], 0 offset:68
	buffer_store_dword v4, off, s[0:3], 0 offset:64
	;; [unrolled: 1-line block ×4, first 2 shown]
	s_and_saveexec_b64 s[6:7], vcc
	s_cbranch_execz .LBB27_175
; %bb.174:
	v_accvgpr_read_b32 v5, a53
	buffer_load_dword v2, v5, s[0:3], 0 offen
	buffer_load_dword v3, v5, s[0:3], 0 offen offset:4
	buffer_load_dword v4, v5, s[0:3], 0 offen offset:8
	s_nop 0
	buffer_load_dword v5, v5, s[0:3], 0 offen offset:12
	s_nop 0
	buffer_store_dword v154, off, s[0:3], 0 offset:48
	buffer_store_dword v154, off, s[0:3], 0 offset:52
	;; [unrolled: 1-line block ×4, first 2 shown]
	s_waitcnt vmcnt(4)
	ds_write_b128 v207, v[2:5]
.LBB27_175:
	s_or_b64 exec, exec, s[6:7]
	s_waitcnt lgkmcnt(0)
	; wave barrier
	s_waitcnt lgkmcnt(0)
	buffer_load_dword v22, off, s[0:3], 0 offset:64
	buffer_load_dword v23, off, s[0:3], 0 offset:68
	;; [unrolled: 1-line block ×16, first 2 shown]
	ds_read_b128 v[2:5], v154 offset:512
	ds_read_b128 v[6:9], v154 offset:528
	;; [unrolled: 1-line block ×4, first 2 shown]
	buffer_load_dword v91, off, s[0:3], 0 offset:140
	buffer_load_dword v90, off, s[0:3], 0 offset:136
	;; [unrolled: 1-line block ×48, first 2 shown]
	v_cmp_lt_u32_e32 vcc, 2, v206
	s_waitcnt vmcnt(60) lgkmcnt(3)
	v_mul_f64 v[34:35], v[2:3], v[24:25]
	v_fmac_f64_e32 v[34:35], v[4:5], v[22:23]
	v_add_f64 v[34:35], v[34:35], 0
	v_mul_f64 v[4:5], v[4:5], v[24:25]
	s_waitcnt vmcnt(56) lgkmcnt(2)
	v_mul_f64 v[36:37], v[6:7], v[88:89]
	v_fma_f64 v[2:3], v[2:3], v[22:23], -v[4:5]
	v_mul_f64 v[4:5], v[8:9], v[88:89]
	v_add_f64 v[2:3], v[2:3], 0
	s_waitcnt vmcnt(52)
	v_fmac_f64_e32 v[36:37], v[8:9], v[28:29]
	v_add_f64 v[34:35], v[34:35], v[36:37]
	buffer_load_dword v139, off, s[0:3], 0 offset:332
	buffer_load_dword v138, off, s[0:3], 0 offset:328
	;; [unrolled: 1-line block ×32, first 2 shown]
	ds_read_b128 v[156:159], v154 offset:576
	buffer_load_dword v203, off, s[0:3], 0 offset:444
	buffer_load_dword v202, off, s[0:3], 0 offset:440
	buffer_load_dword v171, off, s[0:3], 0 offset:436
	buffer_load_dword v170, off, s[0:3], 0 offset:432
	v_fma_f64 v[4:5], v[6:7], v[28:29], -v[4:5]
	v_add_f64 v[2:3], v[2:3], v[4:5]
	s_waitcnt lgkmcnt(2)
	v_mul_f64 v[4:5], v[12:13], v[26:27]
	v_mul_f64 v[38:39], v[10:11], v[26:27]
	ds_read_b128 v[160:163], v154 offset:592
	ds_read_b128 v[164:167], v154 offset:608
	v_fma_f64 v[4:5], v[10:11], v[86:87], -v[4:5]
	v_fmac_f64_e32 v[38:39], v[12:13], v[86:87]
	v_add_f64 v[2:3], v[2:3], v[4:5]
	s_waitcnt vmcnt(62) lgkmcnt(3)
	v_mul_f64 v[4:5], v[16:17], v[94:95]
	v_add_f64 v[34:35], v[34:35], v[38:39]
	v_mul_f64 v[38:39], v[14:15], v[94:95]
	v_fma_f64 v[4:5], v[14:15], v[96:97], -v[4:5]
	v_fmac_f64_e32 v[38:39], v[16:17], v[96:97]
	v_add_f64 v[2:3], v[2:3], v[4:5]
	s_waitcnt lgkmcnt(2)
	v_mul_f64 v[4:5], v[158:159], v[90:91]
	v_add_f64 v[34:35], v[34:35], v[38:39]
	v_mul_f64 v[38:39], v[156:157], v[90:91]
	ds_read_b128 v[172:175], v154 offset:624
	ds_read_b128 v[176:179], v154 offset:640
	v_fma_f64 v[4:5], v[156:157], v[92:93], -v[4:5]
	v_fmac_f64_e32 v[38:39], v[158:159], v[92:93]
	v_add_f64 v[2:3], v[2:3], v[4:5]
	s_waitcnt lgkmcnt(3)
	v_mul_f64 v[4:5], v[162:163], v[102:103]
	v_add_f64 v[34:35], v[34:35], v[38:39]
	v_mul_f64 v[38:39], v[160:161], v[102:103]
	v_fma_f64 v[4:5], v[160:161], v[104:105], -v[4:5]
	v_fmac_f64_e32 v[38:39], v[162:163], v[104:105]
	v_add_f64 v[2:3], v[2:3], v[4:5]
	s_waitcnt lgkmcnt(2)
	v_mul_f64 v[4:5], v[166:167], v[98:99]
	v_add_f64 v[34:35], v[34:35], v[38:39]
	v_mul_f64 v[38:39], v[164:165], v[98:99]
	ds_read_b128 v[208:211], v154 offset:656
	ds_read_b128 v[212:215], v154 offset:672
	v_fma_f64 v[4:5], v[164:165], v[100:101], -v[4:5]
	v_fmac_f64_e32 v[38:39], v[166:167], v[100:101]
	v_add_f64 v[2:3], v[2:3], v[4:5]
	s_waitcnt lgkmcnt(3)
	v_mul_f64 v[4:5], v[174:175], v[110:111]
	v_add_f64 v[34:35], v[34:35], v[38:39]
	v_mul_f64 v[38:39], v[172:173], v[110:111]
	s_waitcnt vmcnt(60)
	v_fma_f64 v[4:5], v[172:173], v[112:113], -v[4:5]
	v_fmac_f64_e32 v[38:39], v[174:175], v[112:113]
	v_add_f64 v[2:3], v[2:3], v[4:5]
	s_waitcnt lgkmcnt(2)
	v_mul_f64 v[4:5], v[178:179], v[106:107]
	v_add_f64 v[34:35], v[34:35], v[38:39]
	v_mul_f64 v[38:39], v[176:177], v[106:107]
	ds_read_b128 v[216:219], v154 offset:688
	ds_read_b128 v[220:223], v154 offset:704
	v_fma_f64 v[4:5], v[176:177], v[108:109], -v[4:5]
	v_fmac_f64_e32 v[38:39], v[178:179], v[108:109]
	v_add_f64 v[2:3], v[2:3], v[4:5]
	s_waitcnt vmcnt(54) lgkmcnt(3)
	v_mul_f64 v[4:5], v[210:211], v[118:119]
	v_add_f64 v[34:35], v[34:35], v[38:39]
	v_mul_f64 v[38:39], v[208:209], v[118:119]
	s_waitcnt vmcnt(52)
	v_fma_f64 v[4:5], v[208:209], v[120:121], -v[4:5]
	v_fmac_f64_e32 v[38:39], v[210:211], v[120:121]
	v_add_f64 v[2:3], v[2:3], v[4:5]
	s_waitcnt lgkmcnt(2)
	v_mul_f64 v[4:5], v[214:215], v[114:115]
	v_add_f64 v[34:35], v[34:35], v[38:39]
	v_mul_f64 v[38:39], v[212:213], v[114:115]
	ds_read_b128 v[224:227], v154 offset:720
	ds_read_b128 v[228:231], v154 offset:736
	v_fma_f64 v[4:5], v[212:213], v[116:117], -v[4:5]
	v_fmac_f64_e32 v[38:39], v[214:215], v[116:117]
	v_add_f64 v[2:3], v[2:3], v[4:5]
	s_waitcnt vmcnt(46) lgkmcnt(3)
	;; [unrolled: 17-line block ×6, first 2 shown]
	v_mul_f64 v[4:5], v[250:251], v[168:169]
	v_add_f64 v[34:35], v[34:35], v[38:39]
	v_mul_f64 v[38:39], v[248:249], v[168:169]
	s_waitcnt vmcnt(12)
	v_fma_f64 v[4:5], v[248:249], v[192:193], -v[4:5]
	v_fmac_f64_e32 v[38:39], v[250:251], v[192:193]
	v_add_f64 v[2:3], v[2:3], v[4:5]
	s_waitcnt lgkmcnt(2)
	v_mul_f64 v[4:5], v[254:255], v[36:37]
	v_add_f64 v[34:35], v[34:35], v[38:39]
	v_mul_f64 v[38:39], v[252:253], v[36:37]
	ds_read_b128 v[188:191], v154 offset:880
	v_fma_f64 v[4:5], v[252:253], v[40:41], -v[4:5]
	v_fmac_f64_e32 v[38:39], v[254:255], v[40:41]
	v_add_f64 v[2:3], v[2:3], v[4:5]
	s_waitcnt vmcnt(6) lgkmcnt(2)
	v_mul_f64 v[4:5], v[182:183], v[198:199]
	v_add_f64 v[34:35], v[34:35], v[38:39]
	v_mul_f64 v[38:39], v[180:181], v[198:199]
	s_waitcnt vmcnt(4)
	v_fma_f64 v[4:5], v[180:181], v[200:201], -v[4:5]
	v_fmac_f64_e32 v[38:39], v[182:183], v[200:201]
	v_add_f64 v[2:3], v[2:3], v[4:5]
	s_waitcnt lgkmcnt(1)
	v_mul_f64 v[4:5], v[186:187], v[194:195]
	v_add_f64 v[34:35], v[34:35], v[38:39]
	v_mul_f64 v[38:39], v[184:185], v[194:195]
	v_fma_f64 v[4:5], v[184:185], v[196:197], -v[4:5]
	v_fmac_f64_e32 v[38:39], v[186:187], v[196:197]
	v_add_f64 v[2:3], v[2:3], v[4:5]
	s_waitcnt vmcnt(2) lgkmcnt(0)
	v_mul_f64 v[4:5], v[190:191], v[202:203]
	v_add_f64 v[34:35], v[34:35], v[38:39]
	v_mul_f64 v[38:39], v[188:189], v[202:203]
	s_waitcnt vmcnt(0)
	v_fma_f64 v[4:5], v[188:189], v[170:171], -v[4:5]
	v_fmac_f64_e32 v[38:39], v[190:191], v[170:171]
	v_add_f64 v[2:3], v[2:3], v[4:5]
	v_add_f64 v[34:35], v[34:35], v[38:39]
	v_add_f64 v[2:3], v[20:21], -v[2:3]
	v_add_f64 v[4:5], v[18:19], -v[34:35]
	buffer_store_dword v3, off, s[0:3], 0 offset:52
	buffer_store_dword v2, off, s[0:3], 0 offset:48
	;; [unrolled: 1-line block ×4, first 2 shown]
	s_and_saveexec_b64 s[6:7], vcc
	s_cbranch_execz .LBB27_177
; %bb.176:
	v_accvgpr_read_b32 v5, a52
	buffer_load_dword v2, v5, s[0:3], 0 offen
	buffer_load_dword v3, v5, s[0:3], 0 offen offset:4
	buffer_load_dword v4, v5, s[0:3], 0 offen offset:8
	s_nop 0
	buffer_load_dword v5, v5, s[0:3], 0 offen offset:12
	v_mov_b32_e32 v6, 0
	buffer_store_dword v6, off, s[0:3], 0 offset:32
	buffer_store_dword v6, off, s[0:3], 0 offset:36
	;; [unrolled: 1-line block ×4, first 2 shown]
	s_waitcnt vmcnt(4)
	ds_write_b128 v207, v[2:5]
.LBB27_177:
	s_or_b64 exec, exec, s[6:7]
	s_waitcnt lgkmcnt(0)
	; wave barrier
	s_waitcnt lgkmcnt(0)
	buffer_load_dword v22, off, s[0:3], 0 offset:48
	buffer_load_dword v23, off, s[0:3], 0 offset:52
	;; [unrolled: 1-line block ×64, first 2 shown]
	v_mov_b32_e32 v171, 0
	ds_read_b128 v[18:21], v171 offset:496
	ds_read_b128 v[14:17], v171 offset:512
	;; [unrolled: 1-line block ×5, first 2 shown]
	v_cmp_lt_u32_e32 vcc, 1, v206
	s_waitcnt vmcnt(60) lgkmcnt(4)
	v_mul_f64 v[34:35], v[18:19], v[26:27]
	v_fmac_f64_e32 v[34:35], v[20:21], v[22:23]
	v_add_f64 v[34:35], v[34:35], 0
	v_mul_f64 v[20:21], v[20:21], v[26:27]
	s_waitcnt vmcnt(56) lgkmcnt(3)
	v_mul_f64 v[36:37], v[14:15], v[28:29]
	v_fmac_f64_e32 v[36:37], v[16:17], v[24:25]
	s_waitcnt vmcnt(54) lgkmcnt(2)
	v_mul_f64 v[38:39], v[10:11], v[86:87]
	v_add_f64 v[34:35], v[34:35], v[36:37]
	v_fma_f64 v[18:19], v[18:19], v[22:23], -v[20:21]
	v_mul_f64 v[16:17], v[16:17], v[28:29]
	s_waitcnt vmcnt(50) lgkmcnt(1)
	v_mul_f64 v[40:41], v[6:7], v[96:97]
	v_add_f64 v[18:19], v[18:19], 0
	s_waitcnt vmcnt(48)
	v_fmac_f64_e32 v[38:39], v[12:13], v[100:101]
	v_add_f64 v[34:35], v[34:35], v[38:39]
	buffer_load_dword v143, off, s[0:3], 0 offset:316
	buffer_load_dword v142, off, s[0:3], 0 offset:312
	;; [unrolled: 1-line block ×40, first 2 shown]
	ds_read_b128 v[158:161], v171 offset:576
	ds_read_b128 v[162:165], v171 offset:592
	s_waitcnt vmcnt(62)
	v_fmac_f64_e32 v[40:41], v[8:9], v[98:99]
	v_fma_f64 v[14:15], v[14:15], v[24:25], -v[16:17]
	v_mul_f64 v[12:13], v[12:13], v[86:87]
	v_add_f64 v[34:35], v[34:35], v[40:41]
	s_waitcnt lgkmcnt(2)
	v_mul_f64 v[40:41], v[2:3], v[92:93]
	v_add_f64 v[14:15], v[18:19], v[14:15]
	v_fma_f64 v[10:11], v[10:11], v[100:101], -v[12:13]
	v_mul_f64 v[8:9], v[8:9], v[96:97]
	v_fmac_f64_e32 v[40:41], v[4:5], v[94:95]
	ds_read_b128 v[166:169], v171 offset:608
	ds_read_b128 v[172:175], v171 offset:624
	v_add_f64 v[10:11], v[14:15], v[10:11]
	v_fma_f64 v[6:7], v[6:7], v[98:99], -v[8:9]
	v_mul_f64 v[4:5], v[4:5], v[92:93]
	v_add_f64 v[6:7], v[10:11], v[6:7]
	v_fma_f64 v[2:3], v[2:3], v[94:95], -v[4:5]
	s_waitcnt lgkmcnt(3)
	v_mul_f64 v[4:5], v[160:161], v[106:107]
	v_add_f64 v[34:35], v[34:35], v[40:41]
	v_mul_f64 v[40:41], v[158:159], v[106:107]
	v_add_f64 v[2:3], v[6:7], v[2:3]
	v_fma_f64 v[4:5], v[158:159], v[108:109], -v[4:5]
	v_fmac_f64_e32 v[40:41], v[160:161], v[108:109]
	v_add_f64 v[2:3], v[2:3], v[4:5]
	s_waitcnt lgkmcnt(2)
	v_mul_f64 v[4:5], v[164:165], v[102:103]
	v_add_f64 v[34:35], v[34:35], v[40:41]
	v_mul_f64 v[40:41], v[162:163], v[102:103]
	ds_read_b128 v[176:179], v171 offset:640
	ds_read_b128 v[180:183], v171 offset:656
	v_fma_f64 v[4:5], v[162:163], v[104:105], -v[4:5]
	v_fmac_f64_e32 v[40:41], v[164:165], v[104:105]
	v_add_f64 v[2:3], v[2:3], v[4:5]
	s_waitcnt lgkmcnt(3)
	v_mul_f64 v[4:5], v[168:169], v[114:115]
	v_add_f64 v[34:35], v[34:35], v[40:41]
	v_mul_f64 v[40:41], v[166:167], v[114:115]
	v_fma_f64 v[4:5], v[166:167], v[116:117], -v[4:5]
	v_fmac_f64_e32 v[40:41], v[168:169], v[116:117]
	v_add_f64 v[2:3], v[2:3], v[4:5]
	s_waitcnt lgkmcnt(2)
	v_mul_f64 v[4:5], v[174:175], v[110:111]
	v_add_f64 v[34:35], v[34:35], v[40:41]
	v_mul_f64 v[40:41], v[172:173], v[110:111]
	ds_read_b128 v[184:187], v171 offset:672
	ds_read_b128 v[188:191], v171 offset:688
	v_fma_f64 v[4:5], v[172:173], v[112:113], -v[4:5]
	v_fmac_f64_e32 v[40:41], v[174:175], v[112:113]
	v_add_f64 v[2:3], v[2:3], v[4:5]
	s_waitcnt vmcnt(58) lgkmcnt(3)
	v_mul_f64 v[4:5], v[178:179], v[122:123]
	v_add_f64 v[34:35], v[34:35], v[40:41]
	v_mul_f64 v[40:41], v[176:177], v[122:123]
	s_waitcnt vmcnt(56)
	v_fma_f64 v[4:5], v[176:177], v[124:125], -v[4:5]
	v_fmac_f64_e32 v[40:41], v[178:179], v[124:125]
	v_add_f64 v[2:3], v[2:3], v[4:5]
	s_waitcnt lgkmcnt(2)
	v_mul_f64 v[4:5], v[182:183], v[118:119]
	v_add_f64 v[34:35], v[34:35], v[40:41]
	v_mul_f64 v[40:41], v[180:181], v[118:119]
	ds_read_b128 v[208:211], v171 offset:704
	ds_read_b128 v[212:215], v171 offset:720
	v_fma_f64 v[4:5], v[180:181], v[120:121], -v[4:5]
	v_fmac_f64_e32 v[40:41], v[182:183], v[120:121]
	v_add_f64 v[2:3], v[2:3], v[4:5]
	s_waitcnt vmcnt(50) lgkmcnt(3)
	v_mul_f64 v[4:5], v[186:187], v[130:131]
	v_add_f64 v[34:35], v[34:35], v[40:41]
	v_mul_f64 v[40:41], v[184:185], v[130:131]
	s_waitcnt vmcnt(48)
	;; [unrolled: 17-line block ×7, first 2 shown]
	v_fma_f64 v[4:5], v[240:241], v[202:203], -v[4:5]
	v_fmac_f64_e32 v[40:41], v[242:243], v[202:203]
	v_add_f64 v[2:3], v[2:3], v[4:5]
	s_waitcnt lgkmcnt(2)
	v_mul_f64 v[4:5], v[246:247], v[196:197]
	v_add_f64 v[34:35], v[34:35], v[40:41]
	v_mul_f64 v[40:41], v[244:245], v[196:197]
	v_fma_f64 v[4:5], v[244:245], v[198:199], -v[4:5]
	v_fmac_f64_e32 v[40:41], v[246:247], v[198:199]
	v_add_f64 v[2:3], v[2:3], v[4:5]
	s_waitcnt vmcnt(2) lgkmcnt(1)
	v_mul_f64 v[4:5], v[250:251], v[42:43]
	v_add_f64 v[34:35], v[34:35], v[40:41]
	v_mul_f64 v[40:41], v[248:249], v[42:43]
	s_waitcnt vmcnt(0)
	v_fma_f64 v[4:5], v[248:249], v[44:45], -v[4:5]
	v_fmac_f64_e32 v[40:41], v[250:251], v[44:45]
	v_add_f64 v[2:3], v[2:3], v[4:5]
	s_waitcnt lgkmcnt(0)
	v_mul_f64 v[4:5], v[254:255], v[204:205]
	v_add_f64 v[34:35], v[34:35], v[40:41]
	v_mul_f64 v[40:41], v[252:253], v[204:205]
	v_fma_f64 v[4:5], v[252:253], v[30:31], -v[4:5]
	v_fmac_f64_e32 v[40:41], v[254:255], v[30:31]
	v_add_f64 v[2:3], v[2:3], v[4:5]
	v_add_f64 v[34:35], v[34:35], v[40:41]
	v_add_f64 v[2:3], v[90:91], -v[2:3]
	v_add_f64 v[4:5], v[88:89], -v[34:35]
	buffer_store_dword v3, off, s[0:3], 0 offset:36
	buffer_store_dword v2, off, s[0:3], 0 offset:32
	;; [unrolled: 1-line block ×4, first 2 shown]
	s_and_saveexec_b64 s[6:7], vcc
	s_cbranch_execz .LBB27_179
; %bb.178:
	buffer_load_dword v2, v1, s[0:3], 0 offen
	buffer_load_dword v3, v1, s[0:3], 0 offen offset:4
	buffer_load_dword v4, v1, s[0:3], 0 offen offset:8
	;; [unrolled: 1-line block ×3, first 2 shown]
	s_nop 0
	buffer_store_dword v171, off, s[0:3], 0 offset:16
	buffer_store_dword v171, off, s[0:3], 0 offset:20
	;; [unrolled: 1-line block ×4, first 2 shown]
	s_waitcnt vmcnt(4)
	ds_write_b128 v207, v[2:5]
.LBB27_179:
	s_or_b64 exec, exec, s[6:7]
	s_waitcnt lgkmcnt(0)
	; wave barrier
	s_waitcnt lgkmcnt(0)
	buffer_load_dword v26, off, s[0:3], 0 offset:32
	buffer_load_dword v27, off, s[0:3], 0 offset:36
	;; [unrolled: 1-line block ×24, first 2 shown]
	ds_read_b128 v[22:25], v171 offset:480
	ds_read_b128 v[18:21], v171 offset:496
	;; [unrolled: 1-line block ×6, first 2 shown]
	buffer_load_dword v107, off, s[0:3], 0 offset:140
	buffer_load_dword v106, off, s[0:3], 0 offset:136
	;; [unrolled: 1-line block ×40, first 2 shown]
	v_cmp_ne_u32_e32 vcc, 0, v206
	s_waitcnt vmcnt(60) lgkmcnt(5)
	v_mul_f64 v[30:31], v[22:23], v[28:29]
	v_fmac_f64_e32 v[30:31], v[24:25], v[26:27]
	s_waitcnt vmcnt(58) lgkmcnt(4)
	v_mul_f64 v[34:35], v[18:19], v[86:87]
	v_add_f64 v[30:31], v[30:31], 0
	s_waitcnt vmcnt(56) lgkmcnt(3)
	v_mul_f64 v[36:37], v[10:11], v[88:89]
	v_mul_f64 v[24:25], v[24:25], v[28:29]
	v_fma_f64 v[22:23], v[22:23], v[26:27], -v[24:25]
	v_add_f64 v[22:23], v[22:23], 0
	s_waitcnt vmcnt(54) lgkmcnt(1)
	v_mul_f64 v[40:41], v[2:3], v[94:95]
	s_waitcnt vmcnt(51)
	v_mul_f64 v[38:39], v[6:7], v[98:99]
	s_waitcnt vmcnt(49)
	v_fmac_f64_e32 v[34:35], v[20:21], v[104:105]
	v_add_f64 v[30:31], v[30:31], v[34:35]
	s_waitcnt vmcnt(47)
	v_fmac_f64_e32 v[36:37], v[12:13], v[102:103]
	v_add_f64 v[30:31], v[30:31], v[36:37]
	s_waitcnt vmcnt(45)
	v_fmac_f64_e32 v[38:39], v[8:9], v[100:101]
	v_add_f64 v[30:31], v[30:31], v[38:39]
	buffer_load_dword v147, off, s[0:3], 0 offset:300
	buffer_load_dword v146, off, s[0:3], 0 offset:296
	;; [unrolled: 1-line block ×40, first 2 shown]
	ds_read_b128 v[172:175], v171 offset:576
	buffer_load_dword v51, off, s[0:3], 0 offset:444
	buffer_load_dword v50, off, s[0:3], 0 offset:440
	;; [unrolled: 1-line block ×4, first 2 shown]
	v_mul_f64 v[20:21], v[20:21], v[86:87]
	v_fma_f64 v[18:19], v[18:19], v[104:105], -v[20:21]
	v_mul_f64 v[12:13], v[12:13], v[88:89]
	v_add_f64 v[18:19], v[22:23], v[18:19]
	v_fma_f64 v[10:11], v[10:11], v[102:103], -v[12:13]
	v_mul_f64 v[8:9], v[8:9], v[98:99]
	s_waitcnt vmcnt(62)
	v_fmac_f64_e32 v[40:41], v[4:5], v[96:97]
	ds_read_b128 v[176:179], v171 offset:592
	ds_read_b128 v[180:183], v171 offset:608
	v_add_f64 v[10:11], v[18:19], v[10:11]
	v_fma_f64 v[6:7], v[6:7], v[100:101], -v[8:9]
	v_mul_f64 v[4:5], v[4:5], v[94:95]
	v_add_f64 v[6:7], v[10:11], v[6:7]
	v_fma_f64 v[2:3], v[2:3], v[96:97], -v[4:5]
	s_waitcnt lgkmcnt(3)
	v_mul_f64 v[4:5], v[16:17], v[110:111]
	v_add_f64 v[30:31], v[30:31], v[40:41]
	v_mul_f64 v[40:41], v[14:15], v[110:111]
	v_add_f64 v[2:3], v[6:7], v[2:3]
	v_fma_f64 v[4:5], v[14:15], v[112:113], -v[4:5]
	v_fmac_f64_e32 v[40:41], v[16:17], v[112:113]
	v_add_f64 v[2:3], v[2:3], v[4:5]
	s_waitcnt lgkmcnt(2)
	v_mul_f64 v[4:5], v[174:175], v[106:107]
	v_add_f64 v[30:31], v[30:31], v[40:41]
	v_mul_f64 v[40:41], v[172:173], v[106:107]
	ds_read_b128 v[184:187], v171 offset:624
	ds_read_b128 v[188:191], v171 offset:640
	v_fma_f64 v[4:5], v[172:173], v[108:109], -v[4:5]
	v_fmac_f64_e32 v[40:41], v[174:175], v[108:109]
	v_add_f64 v[2:3], v[2:3], v[4:5]
	s_waitcnt lgkmcnt(3)
	v_mul_f64 v[4:5], v[178:179], v[118:119]
	v_add_f64 v[30:31], v[30:31], v[40:41]
	v_mul_f64 v[40:41], v[176:177], v[118:119]
	v_fma_f64 v[4:5], v[176:177], v[120:121], -v[4:5]
	v_fmac_f64_e32 v[40:41], v[178:179], v[120:121]
	v_add_f64 v[2:3], v[2:3], v[4:5]
	s_waitcnt lgkmcnt(2)
	v_mul_f64 v[4:5], v[182:183], v[114:115]
	v_add_f64 v[30:31], v[30:31], v[40:41]
	v_mul_f64 v[40:41], v[180:181], v[114:115]
	ds_read_b128 v[208:211], v171 offset:656
	ds_read_b128 v[212:215], v171 offset:672
	v_fma_f64 v[4:5], v[180:181], v[116:117], -v[4:5]
	v_fmac_f64_e32 v[40:41], v[182:183], v[116:117]
	v_add_f64 v[2:3], v[2:3], v[4:5]
	s_waitcnt lgkmcnt(3)
	v_mul_f64 v[4:5], v[186:187], v[126:127]
	v_add_f64 v[30:31], v[30:31], v[40:41]
	v_mul_f64 v[40:41], v[184:185], v[126:127]
	s_waitcnt vmcnt(60)
	v_fma_f64 v[4:5], v[184:185], v[128:129], -v[4:5]
	v_fmac_f64_e32 v[40:41], v[186:187], v[128:129]
	v_add_f64 v[2:3], v[2:3], v[4:5]
	s_waitcnt lgkmcnt(2)
	v_mul_f64 v[4:5], v[190:191], v[122:123]
	v_add_f64 v[30:31], v[30:31], v[40:41]
	v_mul_f64 v[40:41], v[188:189], v[122:123]
	ds_read_b128 v[216:219], v171 offset:688
	ds_read_b128 v[220:223], v171 offset:704
	v_fma_f64 v[4:5], v[188:189], v[124:125], -v[4:5]
	v_fmac_f64_e32 v[40:41], v[190:191], v[124:125]
	v_add_f64 v[2:3], v[2:3], v[4:5]
	s_waitcnt vmcnt(54) lgkmcnt(3)
	v_mul_f64 v[4:5], v[210:211], v[134:135]
	v_add_f64 v[30:31], v[30:31], v[40:41]
	v_mul_f64 v[40:41], v[208:209], v[134:135]
	s_waitcnt vmcnt(52)
	v_fma_f64 v[4:5], v[208:209], v[136:137], -v[4:5]
	v_fmac_f64_e32 v[40:41], v[210:211], v[136:137]
	v_add_f64 v[2:3], v[2:3], v[4:5]
	s_waitcnt lgkmcnt(2)
	v_mul_f64 v[4:5], v[214:215], v[130:131]
	v_add_f64 v[30:31], v[30:31], v[40:41]
	v_mul_f64 v[40:41], v[212:213], v[130:131]
	ds_read_b128 v[224:227], v171 offset:720
	ds_read_b128 v[228:231], v171 offset:736
	v_fma_f64 v[4:5], v[212:213], v[132:133], -v[4:5]
	v_fmac_f64_e32 v[40:41], v[214:215], v[132:133]
	v_add_f64 v[2:3], v[2:3], v[4:5]
	s_waitcnt vmcnt(46) lgkmcnt(3)
	;; [unrolled: 17-line block ×6, first 2 shown]
	v_mul_f64 v[4:5], v[250:251], v[38:39]
	v_add_f64 v[30:31], v[30:31], v[40:41]
	v_mul_f64 v[40:41], v[248:249], v[38:39]
	s_waitcnt vmcnt(12)
	v_fma_f64 v[4:5], v[248:249], v[42:43], -v[4:5]
	v_fmac_f64_e32 v[40:41], v[250:251], v[42:43]
	v_add_f64 v[2:3], v[2:3], v[4:5]
	s_waitcnt lgkmcnt(2)
	v_mul_f64 v[4:5], v[254:255], v[34:35]
	v_add_f64 v[30:31], v[30:31], v[40:41]
	v_mul_f64 v[40:41], v[252:253], v[34:35]
	ds_read_b128 v[200:203], v171 offset:880
	v_fma_f64 v[4:5], v[252:253], v[36:37], -v[4:5]
	v_fmac_f64_e32 v[40:41], v[254:255], v[36:37]
	v_add_f64 v[2:3], v[2:3], v[4:5]
	s_waitcnt vmcnt(6) lgkmcnt(2)
	v_mul_f64 v[4:5], v[194:195], v[46:47]
	v_add_f64 v[30:31], v[30:31], v[40:41]
	v_mul_f64 v[40:41], v[192:193], v[46:47]
	s_waitcnt vmcnt(4)
	v_fma_f64 v[4:5], v[192:193], v[48:49], -v[4:5]
	v_fmac_f64_e32 v[40:41], v[194:195], v[48:49]
	v_add_f64 v[2:3], v[2:3], v[4:5]
	s_waitcnt lgkmcnt(1)
	v_mul_f64 v[4:5], v[198:199], v[44:45]
	v_add_f64 v[30:31], v[30:31], v[40:41]
	v_mul_f64 v[40:41], v[196:197], v[44:45]
	v_fma_f64 v[4:5], v[196:197], v[204:205], -v[4:5]
	v_fmac_f64_e32 v[40:41], v[198:199], v[204:205]
	v_add_f64 v[2:3], v[2:3], v[4:5]
	s_waitcnt vmcnt(2) lgkmcnt(0)
	v_mul_f64 v[4:5], v[202:203], v[50:51]
	v_add_f64 v[30:31], v[30:31], v[40:41]
	v_mul_f64 v[40:41], v[200:201], v[50:51]
	s_waitcnt vmcnt(0)
	v_fma_f64 v[4:5], v[200:201], v[52:53], -v[4:5]
	v_fmac_f64_e32 v[40:41], v[202:203], v[52:53]
	v_add_f64 v[2:3], v[2:3], v[4:5]
	v_add_f64 v[30:31], v[30:31], v[40:41]
	v_add_f64 v[2:3], v[92:93], -v[2:3]
	v_add_f64 v[4:5], v[90:91], -v[30:31]
	buffer_store_dword v3, off, s[0:3], 0 offset:20
	buffer_store_dword v2, off, s[0:3], 0 offset:16
	;; [unrolled: 1-line block ×4, first 2 shown]
	s_and_saveexec_b64 s[6:7], vcc
	s_cbranch_execz .LBB27_181
; %bb.180:
	buffer_load_dword v2, off, s[0:3], 0
	buffer_load_dword v3, off, s[0:3], 0 offset:4
	buffer_load_dword v4, off, s[0:3], 0 offset:8
	;; [unrolled: 1-line block ×3, first 2 shown]
	v_mov_b32_e32 v6, 0
	buffer_store_dword v6, off, s[0:3], 0
	buffer_store_dword v6, off, s[0:3], 0 offset:4
	buffer_store_dword v6, off, s[0:3], 0 offset:8
	;; [unrolled: 1-line block ×3, first 2 shown]
	s_waitcnt vmcnt(4)
	ds_write_b128 v207, v[2:5]
.LBB27_181:
	s_or_b64 exec, exec, s[6:7]
	s_waitcnt lgkmcnt(0)
	; wave barrier
	s_waitcnt lgkmcnt(0)
	buffer_load_dword v86, off, s[0:3], 0 offset:16
	buffer_load_dword v87, off, s[0:3], 0 offset:20
	;; [unrolled: 1-line block ×28, first 2 shown]
	buffer_load_dword v102, off, s[0:3], 0
	buffer_load_dword v103, off, s[0:3], 0 offset:4
	buffer_load_dword v100, off, s[0:3], 0 offset:8
	;; [unrolled: 1-line block ×27, first 2 shown]
	v_mov_b32_e32 v207, 0
	ds_read_b128 v[26:29], v207 offset:464
	ds_read_b128 v[22:25], v207 offset:480
	;; [unrolled: 1-line block ×7, first 2 shown]
	s_and_b64 vcc, exec, s[26:27]
	s_waitcnt vmcnt(52) lgkmcnt(6)
	v_mul_f64 v[30:31], v[26:27], v[90:91]
	v_fmac_f64_e32 v[30:31], v[28:29], v[86:87]
	v_add_f64 v[30:31], v[30:31], 0
	v_mul_f64 v[28:29], v[28:29], v[90:91]
	s_waitcnt vmcnt(48) lgkmcnt(5)
	v_mul_f64 v[34:35], v[22:23], v[92:93]
	v_fmac_f64_e32 v[34:35], v[24:25], v[88:89]
	s_waitcnt vmcnt(46) lgkmcnt(4)
	v_mul_f64 v[36:37], v[18:19], v[94:95]
	v_add_f64 v[30:31], v[30:31], v[34:35]
	s_waitcnt vmcnt(44) lgkmcnt(2)
	v_mul_f64 v[40:41], v[10:11], v[96:97]
	v_fma_f64 v[26:27], v[26:27], v[86:87], -v[28:29]
	s_waitcnt vmcnt(42)
	v_fmac_f64_e32 v[40:41], v[12:13], v[98:99]
	v_mul_f64 v[24:25], v[24:25], v[92:93]
	s_waitcnt vmcnt(40)
	v_mul_f64 v[38:39], v[14:15], v[104:105]
	v_add_f64 v[26:27], v[26:27], 0
	v_fma_f64 v[22:23], v[22:23], v[88:89], -v[24:25]
	v_add_f64 v[22:23], v[26:27], v[22:23]
	s_waitcnt vmcnt(36) lgkmcnt(1)
	v_mul_f64 v[166:167], v[6:7], v[110:111]
	v_mul_f64 v[12:13], v[12:13], v[96:97]
	s_waitcnt vmcnt(34)
	v_fmac_f64_e32 v[36:37], v[20:21], v[116:117]
	v_add_f64 v[30:31], v[30:31], v[36:37]
	s_waitcnt vmcnt(32)
	v_fmac_f64_e32 v[38:39], v[16:17], v[114:115]
	v_add_f64 v[30:31], v[30:31], v[38:39]
	v_add_f64 v[172:173], v[30:31], v[40:41]
	buffer_load_dword v143, off, s[0:3], 0 offset:252
	buffer_load_dword v142, off, s[0:3], 0 offset:248
	buffer_load_dword v145, off, s[0:3], 0 offset:244
	buffer_load_dword v144, off, s[0:3], 0 offset:240
	buffer_load_dword v147, off, s[0:3], 0 offset:236
	buffer_load_dword v146, off, s[0:3], 0 offset:232
	buffer_load_dword v149, off, s[0:3], 0 offset:228
	buffer_load_dword v148, off, s[0:3], 0 offset:224
	buffer_load_dword v151, off, s[0:3], 0 offset:284
	buffer_load_dword v150, off, s[0:3], 0 offset:280
	buffer_load_dword v153, off, s[0:3], 0 offset:276
	buffer_load_dword v152, off, s[0:3], 0 offset:272
	buffer_load_dword v155, off, s[0:3], 0 offset:268
	buffer_load_dword v154, off, s[0:3], 0 offset:264
	buffer_load_dword v157, off, s[0:3], 0 offset:260
	buffer_load_dword v156, off, s[0:3], 0 offset:256
	buffer_load_dword v159, off, s[0:3], 0 offset:316
	buffer_load_dword v158, off, s[0:3], 0 offset:312
	buffer_load_dword v161, off, s[0:3], 0 offset:308
	buffer_load_dword v160, off, s[0:3], 0 offset:304
	buffer_load_dword v163, off, s[0:3], 0 offset:300
	buffer_load_dword v162, off, s[0:3], 0 offset:296
	buffer_load_dword v165, off, s[0:3], 0 offset:292
	buffer_load_dword v164, off, s[0:3], 0 offset:288
	buffer_load_dword v169, off, s[0:3], 0 offset:348
	buffer_load_dword v168, off, s[0:3], 0 offset:344
	buffer_load_dword v171, off, s[0:3], 0 offset:340
	buffer_load_dword v170, off, s[0:3], 0 offset:336
	buffer_load_dword v175, off, s[0:3], 0 offset:332
	buffer_load_dword v174, off, s[0:3], 0 offset:328
	buffer_load_dword v177, off, s[0:3], 0 offset:324
	buffer_load_dword v176, off, s[0:3], 0 offset:320
	buffer_load_dword v179, off, s[0:3], 0 offset:380
	buffer_load_dword v178, off, s[0:3], 0 offset:376
	buffer_load_dword v31, off, s[0:3], 0 offset:372
	buffer_load_dword v30, off, s[0:3], 0 offset:368
	buffer_load_dword v43, off, s[0:3], 0 offset:364
	buffer_load_dword v42, off, s[0:3], 0 offset:360
	buffer_load_dword v45, off, s[0:3], 0 offset:356
	buffer_load_dword v44, off, s[0:3], 0 offset:352
	buffer_load_dword v47, off, s[0:3], 0 offset:412
	buffer_load_dword v46, off, s[0:3], 0 offset:408
	buffer_load_dword v49, off, s[0:3], 0 offset:404
	buffer_load_dword v48, off, s[0:3], 0 offset:400
	buffer_load_dword v51, off, s[0:3], 0 offset:396
	buffer_load_dword v50, off, s[0:3], 0 offset:392
	buffer_load_dword v53, off, s[0:3], 0 offset:388
	buffer_load_dword v52, off, s[0:3], 0 offset:384
	buffer_load_dword v205, off, s[0:3], 0 offset:444
	buffer_load_dword v204, off, s[0:3], 0 offset:440
	buffer_load_dword v55, off, s[0:3], 0 offset:436
	buffer_load_dword v54, off, s[0:3], 0 offset:432
	buffer_load_dword v57, off, s[0:3], 0 offset:428
	buffer_load_dword v56, off, s[0:3], 0 offset:424
	buffer_load_dword v59, off, s[0:3], 0 offset:420
	buffer_load_dword v58, off, s[0:3], 0 offset:416
	ds_read_b128 v[180:183], v207 offset:576
	ds_read_b128 v[184:187], v207 offset:592
	s_waitcnt vmcnt(62)
	v_fmac_f64_e32 v[166:167], v[8:9], v[112:113]
	s_waitcnt lgkmcnt(2)
	v_mul_f64 v[36:37], v[2:3], v[106:107]
	v_mul_f64 v[20:21], v[20:21], v[94:95]
	v_add_f64 v[34:35], v[172:173], v[166:167]
	v_fmac_f64_e32 v[36:37], v[4:5], v[108:109]
	ds_read_b128 v[188:191], v207 offset:608
	ds_read_b128 v[192:195], v207 offset:624
	v_fma_f64 v[18:19], v[18:19], v[116:117], -v[20:21]
	v_mul_f64 v[16:17], v[16:17], v[104:105]
	v_add_f64 v[34:35], v[34:35], v[36:37]
	s_waitcnt lgkmcnt(3)
	v_mul_f64 v[36:37], v[180:181], v[122:123]
	v_add_f64 v[18:19], v[22:23], v[18:19]
	v_fma_f64 v[14:15], v[14:15], v[114:115], -v[16:17]
	v_fmac_f64_e32 v[36:37], v[182:183], v[124:125]
	v_add_f64 v[14:15], v[18:19], v[14:15]
	v_fma_f64 v[10:11], v[10:11], v[98:99], -v[12:13]
	v_mul_f64 v[8:9], v[8:9], v[110:111]
	v_add_f64 v[34:35], v[34:35], v[36:37]
	s_waitcnt lgkmcnt(2)
	v_mul_f64 v[36:37], v[184:185], v[118:119]
	v_add_f64 v[10:11], v[14:15], v[10:11]
	v_fma_f64 v[6:7], v[6:7], v[112:113], -v[8:9]
	v_mul_f64 v[4:5], v[4:5], v[106:107]
	v_fmac_f64_e32 v[36:37], v[186:187], v[120:121]
	ds_read_b128 v[196:199], v207 offset:640
	ds_read_b128 v[200:203], v207 offset:656
	v_add_f64 v[6:7], v[10:11], v[6:7]
	v_fma_f64 v[2:3], v[2:3], v[108:109], -v[4:5]
	v_mul_f64 v[4:5], v[182:183], v[122:123]
	v_add_f64 v[34:35], v[34:35], v[36:37]
	s_waitcnt lgkmcnt(3)
	v_mul_f64 v[36:37], v[188:189], v[130:131]
	v_add_f64 v[2:3], v[6:7], v[2:3]
	v_fma_f64 v[4:5], v[180:181], v[124:125], -v[4:5]
	v_fmac_f64_e32 v[36:37], v[190:191], v[132:133]
	v_add_f64 v[2:3], v[2:3], v[4:5]
	v_mul_f64 v[4:5], v[186:187], v[118:119]
	v_add_f64 v[34:35], v[34:35], v[36:37]
	s_waitcnt lgkmcnt(2)
	v_mul_f64 v[36:37], v[192:193], v[126:127]
	v_fma_f64 v[4:5], v[184:185], v[120:121], -v[4:5]
	v_fmac_f64_e32 v[36:37], v[194:195], v[128:129]
	ds_read_b128 v[208:211], v207 offset:672
	ds_read_b128 v[212:215], v207 offset:688
	v_add_f64 v[2:3], v[2:3], v[4:5]
	v_mul_f64 v[4:5], v[190:191], v[130:131]
	v_add_f64 v[34:35], v[34:35], v[36:37]
	s_waitcnt vmcnt(58) lgkmcnt(3)
	v_mul_f64 v[36:37], v[196:197], v[138:139]
	v_fma_f64 v[4:5], v[188:189], v[132:133], -v[4:5]
	s_waitcnt vmcnt(56)
	v_fmac_f64_e32 v[36:37], v[198:199], v[140:141]
	v_add_f64 v[2:3], v[2:3], v[4:5]
	v_mul_f64 v[4:5], v[194:195], v[126:127]
	v_add_f64 v[34:35], v[34:35], v[36:37]
	s_waitcnt lgkmcnt(2)
	v_mul_f64 v[36:37], v[200:201], v[134:135]
	v_fma_f64 v[4:5], v[192:193], v[128:129], -v[4:5]
	v_fmac_f64_e32 v[36:37], v[202:203], v[136:137]
	ds_read_b128 v[216:219], v207 offset:704
	ds_read_b128 v[220:223], v207 offset:720
	v_add_f64 v[2:3], v[2:3], v[4:5]
	v_mul_f64 v[4:5], v[198:199], v[138:139]
	v_add_f64 v[34:35], v[34:35], v[36:37]
	s_waitcnt vmcnt(50) lgkmcnt(3)
	v_mul_f64 v[36:37], v[208:209], v[146:147]
	v_fma_f64 v[4:5], v[196:197], v[140:141], -v[4:5]
	s_waitcnt vmcnt(48)
	;; [unrolled: 17-line block ×6, first 2 shown]
	v_fmac_f64_e32 v[36:37], v[242:243], v[44:45]
	v_add_f64 v[2:3], v[2:3], v[4:5]
	v_mul_f64 v[4:5], v[238:239], v[168:169]
	v_add_f64 v[34:35], v[34:35], v[36:37]
	s_waitcnt lgkmcnt(2)
	v_mul_f64 v[36:37], v[244:245], v[178:179]
	v_fma_f64 v[4:5], v[236:237], v[170:171], -v[4:5]
	v_fmac_f64_e32 v[36:37], v[246:247], v[30:31]
	v_add_f64 v[2:3], v[2:3], v[4:5]
	v_mul_f64 v[4:5], v[242:243], v[42:43]
	v_add_f64 v[34:35], v[34:35], v[36:37]
	s_waitcnt vmcnt(10) lgkmcnt(1)
	v_mul_f64 v[36:37], v[248:249], v[50:51]
	v_fma_f64 v[4:5], v[240:241], v[44:45], -v[4:5]
	s_waitcnt vmcnt(8)
	v_fmac_f64_e32 v[36:37], v[250:251], v[52:53]
	v_add_f64 v[2:3], v[2:3], v[4:5]
	v_mul_f64 v[4:5], v[246:247], v[178:179]
	v_add_f64 v[166:167], v[34:35], v[36:37]
	ds_read_b128 v[34:37], v207 offset:864
	ds_read_b128 v[38:41], v207 offset:880
	v_fma_f64 v[4:5], v[244:245], v[30:31], -v[4:5]
	v_add_f64 v[2:3], v[2:3], v[4:5]
	v_mul_f64 v[4:5], v[250:251], v[50:51]
	v_fma_f64 v[4:5], v[248:249], v[52:53], -v[4:5]
	v_add_f64 v[2:3], v[2:3], v[4:5]
	s_waitcnt lgkmcnt(2)
	v_mul_f64 v[4:5], v[254:255], v[46:47]
	v_mul_f64 v[172:173], v[252:253], v[46:47]
	v_fma_f64 v[4:5], v[252:253], v[48:49], -v[4:5]
	v_fmac_f64_e32 v[172:173], v[254:255], v[48:49]
	v_add_f64 v[2:3], v[2:3], v[4:5]
	s_waitcnt vmcnt(2) lgkmcnt(1)
	v_mul_f64 v[4:5], v[36:37], v[56:57]
	v_add_f64 v[166:167], v[166:167], v[172:173]
	v_mul_f64 v[172:173], v[34:35], v[56:57]
	s_waitcnt vmcnt(0)
	v_fma_f64 v[4:5], v[34:35], v[58:59], -v[4:5]
	v_fmac_f64_e32 v[172:173], v[36:37], v[58:59]
	v_add_f64 v[2:3], v[2:3], v[4:5]
	s_waitcnt lgkmcnt(0)
	v_mul_f64 v[4:5], v[40:41], v[204:205]
	v_add_f64 v[166:167], v[166:167], v[172:173]
	v_mul_f64 v[172:173], v[38:39], v[204:205]
	v_fma_f64 v[4:5], v[38:39], v[54:55], -v[4:5]
	v_fmac_f64_e32 v[172:173], v[40:41], v[54:55]
	v_add_f64 v[2:3], v[2:3], v[4:5]
	v_add_f64 v[166:167], v[166:167], v[172:173]
	v_add_f64 v[2:3], v[102:103], -v[2:3]
	v_add_f64 v[4:5], v[100:101], -v[166:167]
	buffer_store_dword v3, off, s[0:3], 0 offset:4
	buffer_store_dword v2, off, s[0:3], 0
	buffer_store_dword v5, off, s[0:3], 0 offset:12
	buffer_store_dword v4, off, s[0:3], 0 offset:8
	s_cbranch_vccz .LBB27_237
; %bb.182:
	v_pk_mov_b32 v[2:3], s[24:25], s[24:25] op_sel:[0,1]
	flat_load_dword v2, v[2:3] offset:104
	s_load_dwordx2 s[4:5], s[4:5], 0x4
	v_bfe_u32 v4, v0, 10, 10
	v_bfe_u32 v0, v0, 20, 10
	s_waitcnt lgkmcnt(0)
	s_lshr_b32 s4, s4, 16
	s_mul_i32 s4, s4, s5
	v_mul_u32_u24_e32 v3, s4, v206
	v_mul_u32_u24_e32 v4, s5, v4
	v_add3_u32 v0, v3, v4, v0
	v_mov_b32_e32 v3, 0x388
	v_lshl_add_u32 v0, v0, 4, v3
	s_waitcnt vmcnt(0)
	v_add_u32_e32 v2, -1, v2
	v_cmp_ne_u32_e32 vcc, 26, v2
	s_and_saveexec_b64 s[4:5], vcc
	s_cbranch_execz .LBB27_184
; %bb.183:
	v_mov_b32_e32 v3, 0
	v_accvgpr_read_b32 v11, a29
	v_lshl_add_u32 v6, v2, 4, v3
	buffer_load_dword v2, v11, s[0:3], 0 offen
	buffer_load_dword v3, v11, s[0:3], 0 offen offset:4
	buffer_load_dword v4, v11, s[0:3], 0 offen offset:8
	buffer_load_dword v5, v11, s[0:3], 0 offen offset:12
	buffer_load_dword v7, v6, s[0:3], 0 offen
	buffer_load_dword v8, v6, s[0:3], 0 offen offset:4
	buffer_load_dword v9, v6, s[0:3], 0 offen offset:8
	buffer_load_dword v10, v6, s[0:3], 0 offen offset:12
	s_waitcnt vmcnt(4)
	ds_write2_b64 v0, v[2:3], v[4:5] offset1:1
	s_waitcnt vmcnt(3)
	buffer_store_dword v7, v11, s[0:3], 0 offen
	s_waitcnt vmcnt(3)
	buffer_store_dword v8, v11, s[0:3], 0 offen offset:4
	s_waitcnt vmcnt(3)
	buffer_store_dword v9, v11, s[0:3], 0 offen offset:8
	s_waitcnt vmcnt(3)
	buffer_store_dword v10, v11, s[0:3], 0 offen offset:12
	buffer_store_dword v5, v6, s[0:3], 0 offen offset:12
	buffer_store_dword v4, v6, s[0:3], 0 offen offset:8
	buffer_store_dword v3, v6, s[0:3], 0 offen offset:4
	buffer_store_dword v2, v6, s[0:3], 0 offen
.LBB27_184:
	s_or_b64 exec, exec, s[4:5]
	v_pk_mov_b32 v[2:3], s[24:25], s[24:25] op_sel:[0,1]
	flat_load_dword v2, v[2:3] offset:100
	s_waitcnt vmcnt(0) lgkmcnt(0)
	v_add_u32_e32 v2, -1, v2
	v_cmp_ne_u32_e32 vcc, 25, v2
	s_and_saveexec_b64 s[4:5], vcc
	s_cbranch_execz .LBB27_186
; %bb.185:
	v_mov_b32_e32 v3, 0
	v_accvgpr_read_b32 v11, a30
	v_lshl_add_u32 v6, v2, 4, v3
	buffer_load_dword v2, v11, s[0:3], 0 offen
	buffer_load_dword v3, v11, s[0:3], 0 offen offset:4
	buffer_load_dword v4, v11, s[0:3], 0 offen offset:8
	buffer_load_dword v5, v11, s[0:3], 0 offen offset:12
	buffer_load_dword v7, v6, s[0:3], 0 offen
	buffer_load_dword v8, v6, s[0:3], 0 offen offset:4
	buffer_load_dword v9, v6, s[0:3], 0 offen offset:8
	buffer_load_dword v10, v6, s[0:3], 0 offen offset:12
	s_waitcnt vmcnt(4)
	ds_write2_b64 v0, v[2:3], v[4:5] offset1:1
	s_waitcnt vmcnt(3)
	buffer_store_dword v7, v11, s[0:3], 0 offen
	s_waitcnt vmcnt(3)
	buffer_store_dword v8, v11, s[0:3], 0 offen offset:4
	s_waitcnt vmcnt(3)
	buffer_store_dword v9, v11, s[0:3], 0 offen offset:8
	s_waitcnt vmcnt(3)
	buffer_store_dword v10, v11, s[0:3], 0 offen offset:12
	buffer_store_dword v5, v6, s[0:3], 0 offen offset:12
	buffer_store_dword v4, v6, s[0:3], 0 offen offset:8
	buffer_store_dword v3, v6, s[0:3], 0 offen offset:4
	buffer_store_dword v2, v6, s[0:3], 0 offen
.LBB27_186:
	s_or_b64 exec, exec, s[4:5]
	v_pk_mov_b32 v[2:3], s[24:25], s[24:25] op_sel:[0,1]
	flat_load_dword v2, v[2:3] offset:96
	s_waitcnt vmcnt(0) lgkmcnt(0)
	;; [unrolled: 35-line block ×25, first 2 shown]
	v_add_u32_e32 v2, -1, v2
	v_cmp_ne_u32_e32 vcc, 1, v2
	s_and_saveexec_b64 s[4:5], vcc
	s_cbranch_execz .LBB27_234
; %bb.233:
	v_mov_b32_e32 v3, 0
	v_lshl_add_u32 v6, v2, 4, v3
	buffer_load_dword v2, v1, s[0:3], 0 offen
	buffer_load_dword v3, v1, s[0:3], 0 offen offset:4
	buffer_load_dword v4, v1, s[0:3], 0 offen offset:8
	;; [unrolled: 1-line block ×3, first 2 shown]
	buffer_load_dword v7, v6, s[0:3], 0 offen
	buffer_load_dword v8, v6, s[0:3], 0 offen offset:4
	buffer_load_dword v9, v6, s[0:3], 0 offen offset:8
	;; [unrolled: 1-line block ×3, first 2 shown]
	s_waitcnt vmcnt(4)
	ds_write2_b64 v0, v[2:3], v[4:5] offset1:1
	s_waitcnt vmcnt(3)
	buffer_store_dword v7, v1, s[0:3], 0 offen
	s_waitcnt vmcnt(3)
	buffer_store_dword v8, v1, s[0:3], 0 offen offset:4
	s_waitcnt vmcnt(3)
	buffer_store_dword v9, v1, s[0:3], 0 offen offset:8
	;; [unrolled: 2-line block ×3, first 2 shown]
	buffer_store_dword v5, v6, s[0:3], 0 offen offset:12
	buffer_store_dword v4, v6, s[0:3], 0 offen offset:8
	;; [unrolled: 1-line block ×3, first 2 shown]
	buffer_store_dword v2, v6, s[0:3], 0 offen
.LBB27_234:
	s_or_b64 exec, exec, s[4:5]
	v_pk_mov_b32 v[2:3], s[24:25], s[24:25] op_sel:[0,1]
	flat_load_dword v2, v[2:3]
	s_waitcnt vmcnt(0) lgkmcnt(0)
	v_add_u32_e32 v2, -1, v2
	v_cmp_ne_u32_e32 vcc, 0, v2
	s_and_saveexec_b64 s[4:5], vcc
	s_cbranch_execz .LBB27_236
; %bb.235:
	v_mov_b32_e32 v3, 0
	v_lshl_add_u32 v6, v2, 4, v3
	buffer_load_dword v2, off, s[0:3], 0
	buffer_load_dword v3, off, s[0:3], 0 offset:4
	buffer_load_dword v4, off, s[0:3], 0 offset:8
	;; [unrolled: 1-line block ×3, first 2 shown]
	buffer_load_dword v7, v6, s[0:3], 0 offen
	buffer_load_dword v8, v6, s[0:3], 0 offen offset:4
	buffer_load_dword v9, v6, s[0:3], 0 offen offset:8
	;; [unrolled: 1-line block ×3, first 2 shown]
	s_waitcnt vmcnt(4)
	ds_write2_b64 v0, v[2:3], v[4:5] offset1:1
	s_waitcnt vmcnt(3)
	buffer_store_dword v7, off, s[0:3], 0
	s_waitcnt vmcnt(3)
	buffer_store_dword v8, off, s[0:3], 0 offset:4
	s_waitcnt vmcnt(3)
	buffer_store_dword v9, off, s[0:3], 0 offset:8
	;; [unrolled: 2-line block ×3, first 2 shown]
	buffer_store_dword v5, v6, s[0:3], 0 offen offset:12
	buffer_store_dword v4, v6, s[0:3], 0 offen offset:8
	;; [unrolled: 1-line block ×3, first 2 shown]
	buffer_store_dword v2, v6, s[0:3], 0 offen
.LBB27_236:
	s_or_b64 exec, exec, s[4:5]
.LBB27_237:
	buffer_load_dword v2, off, s[0:3], 0
	buffer_load_dword v3, off, s[0:3], 0 offset:4
	buffer_load_dword v4, off, s[0:3], 0 offset:8
	;; [unrolled: 1-line block ×3, first 2 shown]
	buffer_load_dword v7, v1, s[0:3], 0 offen offset:4
	buffer_load_dword v8, v1, s[0:3], 0 offen offset:8
	;; [unrolled: 1-line block ×3, first 2 shown]
	v_accvgpr_read_b32 v0, a52
	buffer_load_dword v10, v0, s[0:3], 0 offen
	buffer_load_dword v11, v0, s[0:3], 0 offen offset:4
	buffer_load_dword v12, v0, s[0:3], 0 offen offset:8
	buffer_load_dword v6, v1, s[0:3], 0 offen
	buffer_load_dword v13, v0, s[0:3], 0 offen offset:12
	v_accvgpr_read_b32 v21, a53
	buffer_load_dword v15, v21, s[0:3], 0 offen offset:4
	buffer_load_dword v16, v21, s[0:3], 0 offen offset:8
	;; [unrolled: 1-line block ×3, first 2 shown]
	v_accvgpr_read_b32 v30, a50
	buffer_load_dword v18, v30, s[0:3], 0 offen
	buffer_load_dword v19, v30, s[0:3], 0 offen offset:4
	buffer_load_dword v20, v30, s[0:3], 0 offen offset:8
	buffer_load_dword v14, v21, s[0:3], 0 offen
                                        ; kill: killed $vgpr1
                                        ; kill: killed $vgpr21
                                        ; kill: killed $vgpr0
	s_nop 0
	buffer_load_dword v21, v30, s[0:3], 0 offen offset:12
	v_accvgpr_read_b32 v0, a49
	buffer_load_dword v23, v0, s[0:3], 0 offen offset:4
	buffer_load_dword v24, v0, s[0:3], 0 offen offset:8
	;; [unrolled: 1-line block ×3, first 2 shown]
	v_accvgpr_read_b32 v31, a51
	buffer_load_dword v26, v31, s[0:3], 0 offen
	buffer_load_dword v27, v31, s[0:3], 0 offen offset:4
	buffer_load_dword v28, v31, s[0:3], 0 offen offset:8
	buffer_load_dword v22, v0, s[0:3], 0 offen
	buffer_load_dword v29, v31, s[0:3], 0 offen offset:12
	v_accvgpr_read_b32 v1, a45
	buffer_load_dword v35, v1, s[0:3], 0 offen offset:4
	buffer_load_dword v36, v1, s[0:3], 0 offen offset:8
	;; [unrolled: 1-line block ×3, first 2 shown]
	v_accvgpr_read_b32 v42, a47
	buffer_load_dword v38, v42, s[0:3], 0 offen
	buffer_load_dword v39, v42, s[0:3], 0 offen offset:4
	buffer_load_dword v40, v42, s[0:3], 0 offen offset:8
                                        ; kill: killed $vgpr30
                                        ; kill: killed $vgpr31
                                        ; kill: killed $vgpr0
	buffer_load_dword v34, v1, s[0:3], 0 offen
	buffer_load_dword v41, v42, s[0:3], 0 offen offset:12
	v_accvgpr_read_b32 v31, a46
	buffer_load_dword v87, v31, s[0:3], 0 offen offset:4
	buffer_load_dword v88, v31, s[0:3], 0 offen offset:8
	;; [unrolled: 1-line block ×3, first 2 shown]
	v_accvgpr_read_b32 v43, a48
	v_accvgpr_read_b32 v30, a44
	;; [unrolled: 1-line block ×3, first 2 shown]
	buffer_load_dword v90, v43, s[0:3], 0 offen
	buffer_load_dword v91, v43, s[0:3], 0 offen offset:4
	buffer_load_dword v92, v43, s[0:3], 0 offen offset:8
	buffer_load_dword v86, v31, s[0:3], 0 offen
	buffer_load_dword v93, v43, s[0:3], 0 offen offset:12
	buffer_load_dword v95, v30, s[0:3], 0 offen offset:4
	;; [unrolled: 1-line block ×4, first 2 shown]
	buffer_load_dword v98, v0, s[0:3], 0 offen
	buffer_load_dword v99, v0, s[0:3], 0 offen offset:4
                                        ; kill: killed $vgpr42
                                        ; kill: killed $vgpr43
                                        ; kill: killed $vgpr1
                                        ; kill: killed $vgpr31
	buffer_load_dword v100, v0, s[0:3], 0 offen offset:8
	buffer_load_dword v94, v30, s[0:3], 0 offen
	buffer_load_dword v101, v0, s[0:3], 0 offen offset:12
	v_accvgpr_read_b32 v1, a42
                                        ; kill: killed $vgpr0
	v_accvgpr_read_b32 v0, a41
	buffer_load_dword v103, v1, s[0:3], 0 offen offset:4
	buffer_load_dword v104, v1, s[0:3], 0 offen offset:8
	buffer_load_dword v105, v1, s[0:3], 0 offen offset:12
	buffer_load_dword v106, v0, s[0:3], 0 offen
	buffer_load_dword v107, v0, s[0:3], 0 offen offset:4
	buffer_load_dword v108, v0, s[0:3], 0 offen offset:8
	buffer_load_dword v102, v1, s[0:3], 0 offen
	buffer_load_dword v109, v0, s[0:3], 0 offen offset:12
	v_accvgpr_read_b32 v1, a40
	v_accvgpr_read_b32 v0, a39
	buffer_load_dword v111, v1, s[0:3], 0 offen offset:4
	buffer_load_dword v112, v1, s[0:3], 0 offen offset:8
	buffer_load_dword v113, v1, s[0:3], 0 offen offset:12
	buffer_load_dword v114, v0, s[0:3], 0 offen
	buffer_load_dword v115, v0, s[0:3], 0 offen offset:4
	buffer_load_dword v116, v0, s[0:3], 0 offen offset:8
	buffer_load_dword v110, v1, s[0:3], 0 offen
	buffer_load_dword v117, v0, s[0:3], 0 offen offset:12
	v_accvgpr_read_b32 v1, a38
	;; [unrolled: 10-line block ×7, first 2 shown]
	buffer_load_dword v158, v0, s[0:3], 0 offen
	buffer_load_dword v159, v0, s[0:3], 0 offen offset:4
	buffer_load_dword v160, v0, s[0:3], 0 offen offset:8
	;; [unrolled: 1-line block ×3, first 2 shown]
	v_accvgpr_read_b32 v0, a2
	v_accvgpr_read_b32 v1, a3
                                        ; kill: killed $vgpr30
	s_waitcnt vmcnt(62)
	global_store_dwordx4 v[32:33], v[2:5], off
	global_store_dwordx4 v[0:1], v[6:9], off
	v_accvgpr_read_b32 v0, a0
	v_accvgpr_read_b32 v1, a1
	global_store_dwordx4 v[0:1], v[10:13], off
	v_accvgpr_read_b32 v0, a4
	v_accvgpr_read_b32 v1, a5
	;; [unrolled: 3-line block ×10, first 2 shown]
	s_waitcnt vmcnt(62)
	global_store_dwordx4 v[0:1], v[94:97], off
	v_accvgpr_read_b32 v0, a24
	v_accvgpr_read_b32 v1, a25
	global_store_dwordx4 v[0:1], v[98:101], off
	v_accvgpr_read_b32 v0, a26
	v_accvgpr_read_b32 v1, a27
	global_store_dwordx4 v[0:1], v[102:105], off
	global_store_dwordx4 v[60:61], v[106:109], off
	s_waitcnt vmcnt(60)
	global_store_dwordx4 v[62:63], v[110:113], off
	s_waitcnt vmcnt(60)
	;; [unrolled: 2-line block ×12, first 2 shown]
	global_store_dwordx4 v[84:85], v[154:157], off
	v_accvgpr_read_b32 v0, a12
	v_accvgpr_read_b32 v1, a13
	s_waitcnt vmcnt(27)
	global_store_dwordx4 v[0:1], v[158:161], off
	s_endpgm
	.section	.rodata,"a",@progbits
	.p2align	6, 0x0
	.amdhsa_kernel _ZN9rocsolver6v33100L18getri_kernel_smallILi28E19rocblas_complex_numIdEPS3_EEvT1_iilPiilS6_bb
		.amdhsa_group_segment_fixed_size 1928
		.amdhsa_private_segment_fixed_size 464
		.amdhsa_kernarg_size 60
		.amdhsa_user_sgpr_count 10
		.amdhsa_user_sgpr_private_segment_buffer 1
		.amdhsa_user_sgpr_dispatch_ptr 1
		.amdhsa_user_sgpr_queue_ptr 0
		.amdhsa_user_sgpr_kernarg_segment_ptr 1
		.amdhsa_user_sgpr_dispatch_id 0
		.amdhsa_user_sgpr_flat_scratch_init 1
		.amdhsa_user_sgpr_kernarg_preload_length 0
		.amdhsa_user_sgpr_kernarg_preload_offset 0
		.amdhsa_user_sgpr_private_segment_size 0
		.amdhsa_uses_dynamic_stack 0
		.amdhsa_system_sgpr_private_segment_wavefront_offset 1
		.amdhsa_system_sgpr_workgroup_id_x 1
		.amdhsa_system_sgpr_workgroup_id_y 0
		.amdhsa_system_sgpr_workgroup_id_z 0
		.amdhsa_system_sgpr_workgroup_info 0
		.amdhsa_system_vgpr_workitem_id 2
		.amdhsa_next_free_vgpr 310
		.amdhsa_next_free_sgpr 28
		.amdhsa_accum_offset 256
		.amdhsa_reserve_vcc 1
		.amdhsa_reserve_flat_scratch 1
		.amdhsa_float_round_mode_32 0
		.amdhsa_float_round_mode_16_64 0
		.amdhsa_float_denorm_mode_32 3
		.amdhsa_float_denorm_mode_16_64 3
		.amdhsa_dx10_clamp 1
		.amdhsa_ieee_mode 1
		.amdhsa_fp16_overflow 0
		.amdhsa_tg_split 0
		.amdhsa_exception_fp_ieee_invalid_op 0
		.amdhsa_exception_fp_denorm_src 0
		.amdhsa_exception_fp_ieee_div_zero 0
		.amdhsa_exception_fp_ieee_overflow 0
		.amdhsa_exception_fp_ieee_underflow 0
		.amdhsa_exception_fp_ieee_inexact 0
		.amdhsa_exception_int_div_zero 0
	.end_amdhsa_kernel
	.section	.text._ZN9rocsolver6v33100L18getri_kernel_smallILi28E19rocblas_complex_numIdEPS3_EEvT1_iilPiilS6_bb,"axG",@progbits,_ZN9rocsolver6v33100L18getri_kernel_smallILi28E19rocblas_complex_numIdEPS3_EEvT1_iilPiilS6_bb,comdat
.Lfunc_end27:
	.size	_ZN9rocsolver6v33100L18getri_kernel_smallILi28E19rocblas_complex_numIdEPS3_EEvT1_iilPiilS6_bb, .Lfunc_end27-_ZN9rocsolver6v33100L18getri_kernel_smallILi28E19rocblas_complex_numIdEPS3_EEvT1_iilPiilS6_bb
                                        ; -- End function
	.section	.AMDGPU.csdata,"",@progbits
; Kernel info:
; codeLenInByte = 59220
; NumSgprs: 34
; NumVgprs: 256
; NumAgprs: 54
; TotalNumVgprs: 310
; ScratchSize: 464
; MemoryBound: 0
; FloatMode: 240
; IeeeMode: 1
; LDSByteSize: 1928 bytes/workgroup (compile time only)
; SGPRBlocks: 4
; VGPRBlocks: 38
; NumSGPRsForWavesPerEU: 34
; NumVGPRsForWavesPerEU: 310
; AccumOffset: 256
; Occupancy: 1
; WaveLimiterHint : 1
; COMPUTE_PGM_RSRC2:SCRATCH_EN: 1
; COMPUTE_PGM_RSRC2:USER_SGPR: 10
; COMPUTE_PGM_RSRC2:TRAP_HANDLER: 0
; COMPUTE_PGM_RSRC2:TGID_X_EN: 1
; COMPUTE_PGM_RSRC2:TGID_Y_EN: 0
; COMPUTE_PGM_RSRC2:TGID_Z_EN: 0
; COMPUTE_PGM_RSRC2:TIDIG_COMP_CNT: 2
; COMPUTE_PGM_RSRC3_GFX90A:ACCUM_OFFSET: 63
; COMPUTE_PGM_RSRC3_GFX90A:TG_SPLIT: 0
	.section	.text._ZN9rocsolver6v33100L18getri_kernel_smallILi29E19rocblas_complex_numIdEPS3_EEvT1_iilPiilS6_bb,"axG",@progbits,_ZN9rocsolver6v33100L18getri_kernel_smallILi29E19rocblas_complex_numIdEPS3_EEvT1_iilPiilS6_bb,comdat
	.globl	_ZN9rocsolver6v33100L18getri_kernel_smallILi29E19rocblas_complex_numIdEPS3_EEvT1_iilPiilS6_bb ; -- Begin function _ZN9rocsolver6v33100L18getri_kernel_smallILi29E19rocblas_complex_numIdEPS3_EEvT1_iilPiilS6_bb
	.p2align	8
	.type	_ZN9rocsolver6v33100L18getri_kernel_smallILi29E19rocblas_complex_numIdEPS3_EEvT1_iilPiilS6_bb,@function
_ZN9rocsolver6v33100L18getri_kernel_smallILi29E19rocblas_complex_numIdEPS3_EEvT1_iilPiilS6_bb: ; @_ZN9rocsolver6v33100L18getri_kernel_smallILi29E19rocblas_complex_numIdEPS3_EEvT1_iilPiilS6_bb
; %bb.0:
	s_add_u32 flat_scratch_lo, s8, s11
	s_addc_u32 flat_scratch_hi, s9, 0
	s_add_u32 s0, s0, s11
	v_and_b32_e32 v219, 0x3ff, v0
	s_addc_u32 s1, s1, 0
	v_cmp_gt_u32_e32 vcc, 29, v219
	s_and_saveexec_b64 s[8:9], vcc
	s_cbranch_execz .LBB28_130
; %bb.1:
	s_load_dword s8, s[6:7], 0x38
	s_load_dwordx4 s[20:23], s[6:7], 0x10
	s_load_dwordx4 s[12:15], s[6:7], 0x28
                                        ; implicit-def: $sgpr24_sgpr25
	s_waitcnt lgkmcnt(0)
	s_bitcmp1_b32 s8, 8
	s_cselect_b64 s[26:27], -1, 0
	s_ashr_i32 s11, s10, 31
	s_bfe_u32 s9, s8, 0x10008
	s_cmp_eq_u32 s9, 0
	s_cbranch_scc1 .LBB28_3
; %bb.2:
	s_load_dword s16, s[6:7], 0x20
	s_mul_i32 s9, s10, s13
	s_mul_hi_u32 s13, s10, s12
	s_mul_i32 s18, s11, s12
	s_add_i32 s9, s13, s9
	s_add_i32 s13, s9, s18
	s_mul_i32 s12, s10, s12
	s_waitcnt lgkmcnt(0)
	s_ashr_i32 s17, s16, 31
	s_lshl_b64 s[12:13], s[12:13], 2
	s_add_u32 s9, s22, s12
	s_addc_u32 s18, s23, s13
	s_lshl_b64 s[12:13], s[16:17], 2
	s_add_u32 s24, s9, s12
	s_addc_u32 s25, s18, s13
.LBB28_3:
	s_load_dwordx4 s[16:19], s[6:7], 0x0
	s_mul_i32 s6, s10, s21
	s_mul_hi_u32 s7, s10, s20
	s_add_i32 s9, s7, s6
	s_mul_i32 s12, s11, s20
	s_add_i32 s13, s9, s12
	s_mul_i32 s12, s10, s20
	s_waitcnt lgkmcnt(0)
	s_ashr_i32 s7, s18, 31
	s_lshl_b64 s[12:13], s[12:13], 4
	s_mov_b32 s6, s18
	s_add_u32 s9, s16, s12
	s_addc_u32 s12, s17, s13
	s_lshl_b64 s[6:7], s[6:7], 4
	s_add_u32 s6, s9, s6
	s_addc_u32 s7, s12, s7
	v_lshlrev_b32_e32 v96, 4, v219
	v_mov_b32_e32 v1, s7
	v_add_co_u32_e32 v38, vcc, s6, v96
	s_ashr_i32 s13, s19, 31
	s_mov_b32 s12, s19
	s_add_i32 s9, s19, s19
	v_addc_co_u32_e32 v39, vcc, 0, v1, vcc
	s_lshl_b64 s[12:13], s[12:13], 4
	v_add_u32_e32 v2, s9, v219
	v_mov_b32_e32 v1, s13
	v_add_co_u32_e32 v10, vcc, s12, v38
	v_ashrrev_i32_e32 v3, 31, v2
	v_addc_co_u32_e32 v11, vcc, v39, v1, vcc
	v_lshlrev_b64 v[4:5], 4, v[2:3]
	global_load_dwordx4 v[6:9], v96, s[6:7]
	v_mov_b32_e32 v1, s7
	v_add_co_u32_e32 v4, vcc, s6, v4
	v_add_u32_e32 v2, s19, v2
	v_addc_co_u32_e32 v5, vcc, v1, v5, vcc
	v_accvgpr_write_b32 a0, v10
	v_accvgpr_write_b32 a2, v4
	v_ashrrev_i32_e32 v3, 31, v2
	v_accvgpr_write_b32 a1, v11
	global_load_dwordx4 v[10:13], v[10:11], off
	v_accvgpr_write_b32 a3, v5
	global_load_dwordx4 v[14:17], v[4:5], off
	v_lshlrev_b64 v[4:5], 4, v[2:3]
	v_add_co_u32_e32 v4, vcc, s6, v4
	v_add_u32_e32 v2, s19, v2
	v_addc_co_u32_e32 v5, vcc, v1, v5, vcc
	v_accvgpr_write_b32 a4, v4
	v_ashrrev_i32_e32 v3, 31, v2
	v_accvgpr_write_b32 a5, v5
	global_load_dwordx4 v[18:21], v[4:5], off
	v_add_u32_e32 v4, s19, v2
	v_lshlrev_b64 v[2:3], 4, v[2:3]
	v_add_co_u32_e32 v22, vcc, s6, v2
	v_addc_co_u32_e32 v23, vcc, v1, v3, vcc
	v_accvgpr_write_b32 a6, v22
	v_ashrrev_i32_e32 v5, 31, v4
	v_accvgpr_write_b32 a7, v23
	global_load_dwordx4 v[22:25], v[22:23], off
	v_add_u32_e32 v26, s19, v4
	v_lshlrev_b64 v[2:3], 4, v[4:5]
	v_mov_b32_e32 v28, s7
	v_ashrrev_i32_e32 v27, 31, v26
	v_add_co_u32_e32 v32, vcc, s6, v2
	v_addc_co_u32_e32 v33, vcc, v28, v3, vcc
	v_lshlrev_b64 v[2:3], 4, v[26:27]
	v_accvgpr_write_b32 a8, v32
	v_mov_b32_e32 v30, s7
	v_add_u32_e32 v4, s19, v26
	global_load_dwordx4 v[26:29], v[32:33], off
	v_accvgpr_write_b32 a9, v33
	v_add_co_u32_e32 v32, vcc, s6, v2
	v_addc_co_u32_e32 v33, vcc, v30, v3, vcc
	v_accvgpr_write_b32 a10, v32
	v_ashrrev_i32_e32 v5, 31, v4
	v_accvgpr_write_b32 a11, v33
	global_load_dwordx4 v[30:33], v[32:33], off
	v_lshlrev_b64 v[2:3], 4, v[4:5]
	v_add_co_u32_e32 v34, vcc, s6, v2
	v_add_u32_e32 v40, s19, v4
	v_addc_co_u32_e32 v35, vcc, v1, v3, vcc
	v_ashrrev_i32_e32 v41, 31, v40
	v_accvgpr_write_b32 a12, v34
	v_lshlrev_b64 v[2:3], 4, v[40:41]
	v_accvgpr_write_b32 a13, v35
	global_load_dwordx4 v[34:37], v[34:35], off
	v_add_co_u32_e32 v2, vcc, s6, v2
	v_addc_co_u32_e32 v3, vcc, v1, v3, vcc
	v_accvgpr_write_b32 a15, v3
	v_accvgpr_write_b32 a14, v2
	global_load_dwordx4 v[2:5], v[2:3], off
	s_waitcnt vmcnt(8)
	buffer_store_dword v9, off, s[0:3], 0 offset:12
	buffer_store_dword v8, off, s[0:3], 0 offset:8
	;; [unrolled: 1-line block ×3, first 2 shown]
	buffer_store_dword v6, off, s[0:3], 0
	s_waitcnt vmcnt(11)
	buffer_store_dword v13, off, s[0:3], 0 offset:28
	buffer_store_dword v12, off, s[0:3], 0 offset:24
	buffer_store_dword v11, off, s[0:3], 0 offset:20
	buffer_store_dword v10, off, s[0:3], 0 offset:16
	s_waitcnt vmcnt(14)
	buffer_store_dword v17, off, s[0:3], 0 offset:44
	buffer_store_dword v16, off, s[0:3], 0 offset:40
	buffer_store_dword v15, off, s[0:3], 0 offset:36
	buffer_store_dword v14, off, s[0:3], 0 offset:32
	;; [unrolled: 5-line block ×3, first 2 shown]
	v_add_u32_e32 v6, s19, v40
	v_ashrrev_i32_e32 v7, 31, v6
	v_lshlrev_b64 v[8:9], 4, v[6:7]
	v_add_u32_e32 v14, s19, v6
	v_add_co_u32_e32 v8, vcc, s6, v8
	v_ashrrev_i32_e32 v15, 31, v14
	v_addc_co_u32_e32 v9, vcc, v1, v9, vcc
	v_lshlrev_b64 v[6:7], 4, v[14:15]
	v_add_co_u32_e32 v10, vcc, s6, v6
	v_addc_co_u32_e32 v11, vcc, v1, v7, vcc
	v_add_u32_e32 v14, s19, v14
	v_accvgpr_write_b32 a17, v9
	v_accvgpr_write_b32 a19, v11
	v_ashrrev_i32_e32 v15, 31, v14
	v_accvgpr_write_b32 a16, v8
	global_load_dwordx4 v[6:9], v[8:9], off
	v_accvgpr_write_b32 a18, v10
	global_load_dwordx4 v[10:13], v[10:11], off
	v_lshlrev_b64 v[16:17], 4, v[14:15]
	s_waitcnt vmcnt(22)
	buffer_store_dword v25, off, s[0:3], 0 offset:76
	buffer_store_dword v24, off, s[0:3], 0 offset:72
	;; [unrolled: 1-line block ×4, first 2 shown]
	s_waitcnt vmcnt(25)
	buffer_store_dword v29, off, s[0:3], 0 offset:92
	buffer_store_dword v28, off, s[0:3], 0 offset:88
	;; [unrolled: 1-line block ×4, first 2 shown]
	v_add_u32_e32 v22, s19, v14
	v_add_co_u32_e32 v16, vcc, s6, v16
	v_ashrrev_i32_e32 v23, 31, v22
	v_addc_co_u32_e32 v17, vcc, v1, v17, vcc
	v_lshlrev_b64 v[14:15], 4, v[22:23]
	v_add_co_u32_e32 v18, vcc, s6, v14
	v_addc_co_u32_e32 v19, vcc, v1, v15, vcc
	v_add_u32_e32 v22, s19, v22
	v_accvgpr_write_b32 a21, v17
	v_accvgpr_write_b32 a23, v19
	v_ashrrev_i32_e32 v23, 31, v22
	v_accvgpr_write_b32 a20, v16
	global_load_dwordx4 v[14:17], v[16:17], off
	v_accvgpr_write_b32 a22, v18
	global_load_dwordx4 v[18:21], v[18:19], off
	s_waitcnt vmcnt(30)
	buffer_store_dword v33, off, s[0:3], 0 offset:108
	buffer_store_dword v32, off, s[0:3], 0 offset:104
	;; [unrolled: 1-line block ×4, first 2 shown]
	s_waitcnt vmcnt(33)
	buffer_store_dword v37, off, s[0:3], 0 offset:124
	buffer_store_dword v36, off, s[0:3], 0 offset:120
	;; [unrolled: 1-line block ×4, first 2 shown]
	s_waitcnt vmcnt(36)
	buffer_store_dword v5, off, s[0:3], 0 offset:140
	v_lshlrev_b64 v[24:25], 4, v[22:23]
	v_add_u32_e32 v30, s19, v22
	v_add_co_u32_e32 v24, vcc, s6, v24
	v_ashrrev_i32_e32 v31, 31, v30
	v_addc_co_u32_e32 v25, vcc, v1, v25, vcc
	v_lshlrev_b64 v[22:23], 4, v[30:31]
	v_add_u32_e32 v30, s19, v30
	v_add_co_u32_e32 v26, vcc, s6, v22
	v_ashrrev_i32_e32 v31, 31, v30
	v_addc_co_u32_e32 v27, vcc, v1, v23, vcc
	;; [unrolled: 5-line block ×5, first 2 shown]
	v_lshlrev_b64 v[42:43], 4, v[40:41]
	v_add_co_u32_e32 v42, vcc, s6, v42
	v_add_u32_e32 v40, s19, v40
	v_addc_co_u32_e32 v43, vcc, v1, v43, vcc
	v_accvgpr_write_b32 a34, v42
	v_ashrrev_i32_e32 v41, 31, v40
	v_accvgpr_write_b32 a32, v44
	global_load_dwordx4 v[98:101], v[44:45], off
	global_load_dwordx4 v[102:105], v[42:43], off
	v_accvgpr_write_b32 a35, v43
	v_lshlrev_b64 v[42:43], 4, v[40:41]
	v_add_u32_e32 v40, s19, v40
	v_accvgpr_write_b32 a33, v45
	v_add_co_u32_e32 v44, vcc, s6, v42
	v_ashrrev_i32_e32 v41, 31, v40
	v_addc_co_u32_e32 v45, vcc, v1, v43, vcc
	v_lshlrev_b64 v[42:43], 4, v[40:41]
	v_add_co_u32_e32 v42, vcc, s6, v42
	v_add_u32_e32 v40, s19, v40
	v_addc_co_u32_e32 v43, vcc, v1, v43, vcc
	v_accvgpr_write_b32 a38, v42
	v_ashrrev_i32_e32 v41, 31, v40
	global_load_dwordx4 v[106:109], v[44:45], off
	global_load_dwordx4 v[110:113], v[42:43], off
	v_accvgpr_write_b32 a39, v43
	v_lshlrev_b64 v[42:43], 4, v[40:41]
	v_add_u32_e32 v40, s19, v40
	v_add_co_u32_e32 v80, vcc, s6, v42
	v_ashrrev_i32_e32 v41, 31, v40
	v_addc_co_u32_e32 v81, vcc, v1, v43, vcc
	v_lshlrev_b64 v[42:43], 4, v[40:41]
	v_add_u32_e32 v40, s19, v40
	v_add_co_u32_e32 v82, vcc, s6, v42
	v_ashrrev_i32_e32 v41, 31, v40
	v_addc_co_u32_e32 v83, vcc, v1, v43, vcc
	;; [unrolled: 5-line block ×5, first 2 shown]
	v_lshlrev_b64 v[42:43], 4, v[40:41]
	v_accvgpr_write_b32 a24, v24
	v_accvgpr_write_b32 a26, v26
	;; [unrolled: 1-line block ×4, first 2 shown]
	v_add_co_u32_e32 v90, vcc, s6, v42
	v_accvgpr_write_b32 a25, v25
	global_load_dwordx4 v[22:25], v[24:25], off
	v_accvgpr_write_b32 a27, v27
	global_load_dwordx4 v[26:29], v[26:27], off
	;; [unrolled: 2-line block ×4, first 2 shown]
	s_nop 0
	global_load_dwordx4 v[114:117], v[80:81], off
	global_load_dwordx4 v[118:121], v[82:83], off
	;; [unrolled: 1-line block ×4, first 2 shown]
	v_addc_co_u32_e32 v91, vcc, v1, v43, vcc
	global_load_dwordx4 v[130:133], v[88:89], off
	global_load_dwordx4 v[134:137], v[90:91], off
	v_add_u32_e32 v40, s19, v40
	v_ashrrev_i32_e32 v41, 31, v40
	v_lshlrev_b64 v[42:43], 4, v[40:41]
	v_add_co_u32_e32 v92, vcc, s6, v42
	v_addc_co_u32_e32 v93, vcc, v1, v43, vcc
	v_add_u32_e32 v40, s19, v40
	v_ashrrev_i32_e32 v41, 31, v40
	global_load_dwordx4 v[138:141], v[92:93], off
	v_lshlrev_b64 v[40:41], 4, v[40:41]
	v_add_co_u32_e32 v94, vcc, s6, v40
	v_addc_co_u32_e32 v95, vcc, v1, v41, vcc
	global_load_dwordx4 v[142:145], v[94:95], off
	v_mov_b32_e32 v1, 0
	buffer_store_dword v4, off, s[0:3], 0 offset:136
	buffer_store_dword v3, off, s[0:3], 0 offset:132
	buffer_store_dword v2, off, s[0:3], 0 offset:128
	s_waitcnt vmcnt(39)
	buffer_store_dword v6, off, s[0:3], 0 offset:144
	buffer_store_dword v7, off, s[0:3], 0 offset:148
	buffer_store_dword v8, off, s[0:3], 0 offset:152
	buffer_store_dword v9, off, s[0:3], 0 offset:156
	s_waitcnt vmcnt(42)
	buffer_store_dword v10, off, s[0:3], 0 offset:160
	buffer_store_dword v11, off, s[0:3], 0 offset:164
	buffer_store_dword v12, off, s[0:3], 0 offset:168
	buffer_store_dword v13, off, s[0:3], 0 offset:172
	s_waitcnt vmcnt(37)
	buffer_store_dword v14, off, s[0:3], 0 offset:176
	buffer_store_dword v15, off, s[0:3], 0 offset:180
	buffer_store_dword v16, off, s[0:3], 0 offset:184
	buffer_store_dword v17, off, s[0:3], 0 offset:188
	s_waitcnt vmcnt(40)
	buffer_store_dword v21, off, s[0:3], 0 offset:204
	buffer_store_dword v20, off, s[0:3], 0 offset:200
	buffer_store_dword v19, off, s[0:3], 0 offset:196
	buffer_store_dword v18, off, s[0:3], 0 offset:192
	s_waitcnt vmcnt(30)
	buffer_store_dword v25, off, s[0:3], 0 offset:220
	buffer_store_dword v24, off, s[0:3], 0 offset:216
	buffer_store_dword v23, off, s[0:3], 0 offset:212
	buffer_store_dword v22, off, s[0:3], 0 offset:208
	s_waitcnt vmcnt(33)
	buffer_store_dword v29, off, s[0:3], 0 offset:236
	buffer_store_dword v28, off, s[0:3], 0 offset:232
	buffer_store_dword v27, off, s[0:3], 0 offset:228
	buffer_store_dword v26, off, s[0:3], 0 offset:224
	s_waitcnt vmcnt(36)
	buffer_store_dword v33, off, s[0:3], 0 offset:252
	buffer_store_dword v32, off, s[0:3], 0 offset:248
	buffer_store_dword v31, off, s[0:3], 0 offset:244
	buffer_store_dword v30, off, s[0:3], 0 offset:240
	s_waitcnt vmcnt(39)
	buffer_store_dword v37, off, s[0:3], 0 offset:268
	buffer_store_dword v36, off, s[0:3], 0 offset:264
	buffer_store_dword v35, off, s[0:3], 0 offset:260
	;; [unrolled: 1-line block ×19, first 2 shown]
	s_waitcnt vmcnt(58)
	buffer_store_dword v117, off, s[0:3], 0 offset:348
	buffer_store_dword v116, off, s[0:3], 0 offset:344
	buffer_store_dword v115, off, s[0:3], 0 offset:340
	buffer_store_dword v114, off, s[0:3], 0 offset:336
	s_waitcnt vmcnt(61)
	buffer_store_dword v121, off, s[0:3], 0 offset:364
	buffer_store_dword v120, off, s[0:3], 0 offset:360
	buffer_store_dword v119, off, s[0:3], 0 offset:356
	buffer_store_dword v118, off, s[0:3], 0 offset:352
	;; [unrolled: 5-line block ×3, first 2 shown]
	buffer_store_dword v129, off, s[0:3], 0 offset:396
	buffer_store_dword v128, off, s[0:3], 0 offset:392
	;; [unrolled: 1-line block ×8, first 2 shown]
	s_waitcnt vmcnt(62)
	buffer_store_dword v137, off, s[0:3], 0 offset:428
	buffer_store_dword v136, off, s[0:3], 0 offset:424
	;; [unrolled: 1-line block ×12, first 2 shown]
	v_add_u32_e32 v2, 16, v1
	v_accvgpr_write_b32 a66, v2
	v_add_u32_e32 v2, 32, v1
	v_accvgpr_write_b32 a65, v2
	;; [unrolled: 2-line block ×26, first 2 shown]
	v_add_u32_e32 v2, 0x1b0, v1
	v_add_u32_e32 v1, 0x1c0, v1
	v_accvgpr_write_b32 a37, v45
	v_accvgpr_write_b32 a41, v2
	;; [unrolled: 1-line block ×3, first 2 shown]
	s_bitcmp0_b32 s8, 0
	s_mov_b64 s[8:9], -1
	s_cbranch_scc1 .LBB28_128
; %bb.4:
	v_cmp_eq_u32_e64 s[6:7], 0, v219
	s_and_saveexec_b64 s[8:9], s[6:7]
	s_cbranch_execz .LBB28_6
; %bb.5:
	v_mov_b32_e32 v1, 0
	ds_write_b32 v1, v1 offset:928
.LBB28_6:
	s_or_b64 exec, exec, s[8:9]
	v_mov_b32_e32 v1, 0
	v_lshl_add_u32 v12, v219, 4, v1
	s_waitcnt lgkmcnt(0)
	; wave barrier
	s_waitcnt lgkmcnt(0)
	buffer_load_dword v2, v12, s[0:3], 0 offen
	buffer_load_dword v3, v12, s[0:3], 0 offen offset:4
	buffer_load_dword v4, v12, s[0:3], 0 offen offset:8
	;; [unrolled: 1-line block ×3, first 2 shown]
	s_waitcnt vmcnt(2)
	v_cmp_eq_f64_e32 vcc, 0, v[2:3]
	s_waitcnt vmcnt(0)
	v_cmp_eq_f64_e64 s[8:9], 0, v[4:5]
	s_and_b64 s[8:9], vcc, s[8:9]
	s_and_saveexec_b64 s[12:13], s[8:9]
	s_cbranch_execz .LBB28_10
; %bb.7:
	v_mov_b32_e32 v2, 0
	ds_read_b32 v1, v2 offset:928
	v_add_u32_e32 v3, 1, v219
	s_waitcnt lgkmcnt(0)
	v_readfirstlane_b32 s8, v1
	s_cmp_eq_u32 s8, 0
	s_cselect_b64 s[16:17], -1, 0
	v_cmp_gt_i32_e32 vcc, s8, v3
	s_or_b64 s[16:17], s[16:17], vcc
	s_and_b64 exec, exec, s[16:17]
	s_cbranch_execz .LBB28_10
; %bb.8:
	s_mov_b64 s[16:17], 0
	v_mov_b32_e32 v4, s8
.LBB28_9:                               ; =>This Inner Loop Header: Depth=1
	ds_cmpst_rtn_b32 v4, v2, v4, v3 offset:928
	s_waitcnt lgkmcnt(0)
	v_cmp_ne_u32_e32 vcc, 0, v4
	v_cmp_le_i32_e64 s[8:9], v4, v3
	s_and_b64 s[8:9], vcc, s[8:9]
	s_and_b64 s[8:9], exec, s[8:9]
	s_or_b64 s[16:17], s[8:9], s[16:17]
	s_andn2_b64 exec, exec, s[16:17]
	s_cbranch_execnz .LBB28_9
.LBB28_10:
	s_or_b64 exec, exec, s[12:13]
	v_mov_b32_e32 v3, 0
	s_waitcnt lgkmcnt(0)
	; wave barrier
	ds_read_b32 v2, v3 offset:928
	s_and_saveexec_b64 s[8:9], s[6:7]
	s_cbranch_execz .LBB28_12
; %bb.11:
	s_lshl_b64 s[12:13], s[10:11], 2
	s_add_u32 s12, s14, s12
	s_addc_u32 s13, s15, s13
	s_waitcnt lgkmcnt(0)
	global_store_dword v3, v2, s[12:13]
.LBB28_12:
	s_or_b64 exec, exec, s[8:9]
	s_waitcnt lgkmcnt(0)
	v_cmp_ne_u32_e32 vcc, 0, v2
	s_mov_b64 s[8:9], 0
	s_cbranch_vccnz .LBB28_128
; %bb.13:
	buffer_load_dword v7, v12, s[0:3], 0 offen offset:4
	buffer_load_dword v6, v12, s[0:3], 0 offen
	buffer_load_dword v9, v12, s[0:3], 0 offen offset:12
	buffer_load_dword v8, v12, s[0:3], 0 offen offset:8
                                        ; implicit-def: $vgpr10_vgpr11
	s_waitcnt vmcnt(3)
	v_xor_b32_e32 v1, 0x80000000, v7
	s_waitcnt vmcnt(2)
	v_cmp_gt_f64_e32 vcc, 0, v[6:7]
	s_waitcnt vmcnt(1)
	v_xor_b32_e32 v4, 0x80000000, v9
	v_cndmask_b32_e32 v3, v7, v1, vcc
	s_waitcnt vmcnt(0)
	v_cmp_gt_f64_e32 vcc, 0, v[8:9]
	v_mov_b32_e32 v2, v6
	v_cndmask_b32_e32 v5, v9, v4, vcc
	v_mov_b32_e32 v4, v8
	v_cmp_ngt_f64_e32 vcc, v[2:3], v[4:5]
                                        ; implicit-def: $vgpr4_vgpr5
	s_and_saveexec_b64 s[8:9], vcc
	s_xor_b64 s[8:9], exec, s[8:9]
	s_cbranch_execz .LBB28_15
; %bb.14:
	v_div_scale_f64 v[2:3], s[12:13], v[8:9], v[8:9], v[6:7]
	v_rcp_f64_e32 v[4:5], v[2:3]
	v_div_scale_f64 v[10:11], vcc, v[6:7], v[8:9], v[6:7]
	v_fma_f64 v[14:15], -v[2:3], v[4:5], 1.0
	v_fmac_f64_e32 v[4:5], v[4:5], v[14:15]
	v_fma_f64 v[14:15], -v[2:3], v[4:5], 1.0
	v_fmac_f64_e32 v[4:5], v[4:5], v[14:15]
	v_mul_f64 v[14:15], v[10:11], v[4:5]
	v_fma_f64 v[2:3], -v[2:3], v[14:15], v[10:11]
	v_div_fmas_f64 v[2:3], v[2:3], v[4:5], v[14:15]
	v_div_fixup_f64 v[2:3], v[2:3], v[8:9], v[6:7]
	v_fmac_f64_e32 v[8:9], v[6:7], v[2:3]
	v_div_scale_f64 v[4:5], s[12:13], v[8:9], v[8:9], 1.0
	v_rcp_f64_e32 v[6:7], v[4:5]
	v_fma_f64 v[10:11], -v[4:5], v[6:7], 1.0
	v_fmac_f64_e32 v[6:7], v[6:7], v[10:11]
	v_fma_f64 v[10:11], -v[4:5], v[6:7], 1.0
	v_fmac_f64_e32 v[6:7], v[6:7], v[10:11]
	v_div_scale_f64 v[10:11], vcc, 1.0, v[8:9], 1.0
	v_mul_f64 v[14:15], v[10:11], v[6:7]
	v_fma_f64 v[4:5], -v[4:5], v[14:15], v[10:11]
	s_nop 1
	v_div_fmas_f64 v[4:5], v[4:5], v[6:7], v[14:15]
	v_div_fixup_f64 v[4:5], v[4:5], v[8:9], 1.0
	v_mul_f64 v[10:11], v[2:3], v[4:5]
	v_xor_b32_e32 v5, 0x80000000, v5
	v_xor_b32_e32 v3, 0x80000000, v11
	v_mov_b32_e32 v2, v10
                                        ; implicit-def: $vgpr6_vgpr7
                                        ; implicit-def: $vgpr8_vgpr9
.LBB28_15:
	s_andn2_saveexec_b64 s[8:9], s[8:9]
	s_cbranch_execz .LBB28_17
; %bb.16:
	v_div_scale_f64 v[2:3], s[12:13], v[6:7], v[6:7], v[8:9]
	v_rcp_f64_e32 v[4:5], v[2:3]
	v_div_scale_f64 v[10:11], vcc, v[8:9], v[6:7], v[8:9]
	v_fma_f64 v[14:15], -v[2:3], v[4:5], 1.0
	v_fmac_f64_e32 v[4:5], v[4:5], v[14:15]
	v_fma_f64 v[14:15], -v[2:3], v[4:5], 1.0
	v_fmac_f64_e32 v[4:5], v[4:5], v[14:15]
	v_mul_f64 v[14:15], v[10:11], v[4:5]
	v_fma_f64 v[2:3], -v[2:3], v[14:15], v[10:11]
	v_div_fmas_f64 v[2:3], v[2:3], v[4:5], v[14:15]
	v_div_fixup_f64 v[4:5], v[2:3], v[6:7], v[8:9]
	v_fmac_f64_e32 v[6:7], v[8:9], v[4:5]
	v_div_scale_f64 v[2:3], s[12:13], v[6:7], v[6:7], 1.0
	v_rcp_f64_e32 v[8:9], v[2:3]
	v_fma_f64 v[10:11], -v[2:3], v[8:9], 1.0
	v_fmac_f64_e32 v[8:9], v[8:9], v[10:11]
	v_fma_f64 v[10:11], -v[2:3], v[8:9], 1.0
	v_fmac_f64_e32 v[8:9], v[8:9], v[10:11]
	v_div_scale_f64 v[10:11], vcc, 1.0, v[6:7], 1.0
	v_mul_f64 v[14:15], v[10:11], v[8:9]
	v_fma_f64 v[2:3], -v[2:3], v[14:15], v[10:11]
	s_nop 1
	v_div_fmas_f64 v[2:3], v[2:3], v[8:9], v[14:15]
	v_div_fixup_f64 v[10:11], v[2:3], v[6:7], 1.0
	v_xor_b32_e32 v3, 0x80000000, v11
	v_mov_b32_e32 v2, v10
	v_mul_f64 v[4:5], v[4:5], -v[10:11]
.LBB28_17:
	s_or_b64 exec, exec, s[8:9]
	buffer_store_dword v11, v12, s[0:3], 0 offen offset:4
	buffer_store_dword v10, v12, s[0:3], 0 offen
	buffer_store_dword v5, v12, s[0:3], 0 offen offset:12
	buffer_store_dword v4, v12, s[0:3], 0 offen offset:8
	v_accvgpr_read_b32 v1, a66
	buffer_load_dword v11, v1, s[0:3], 0 offen offset:12
	buffer_load_dword v10, v1, s[0:3], 0 offen offset:8
	;; [unrolled: 1-line block ×3, first 2 shown]
	buffer_load_dword v8, v1, s[0:3], 0 offen
	v_xor_b32_e32 v5, 0x80000000, v5
	v_add_u32_e32 v6, 0x1d0, v96
	ds_write_b128 v96, v[2:5]
	s_waitcnt vmcnt(0)
	ds_write_b128 v96, v[8:11] offset:464
	s_waitcnt lgkmcnt(0)
	; wave barrier
	s_waitcnt lgkmcnt(0)
	s_and_saveexec_b64 s[8:9], s[6:7]
	s_cbranch_execz .LBB28_19
; %bb.18:
	buffer_load_dword v14, v12, s[0:3], 0 offen offset:8
	buffer_load_dword v15, v12, s[0:3], 0 offen offset:12
	buffer_load_dword v16, v12, s[0:3], 0 offen
	buffer_load_dword v17, v12, s[0:3], 0 offen offset:4
	ds_read_b128 v[2:5], v6
	v_mov_b32_e32 v1, 0
	ds_read_b128 v[8:11], v1 offset:16
	s_waitcnt vmcnt(2) lgkmcnt(1)
	v_mul_f64 v[18:19], v[4:5], v[14:15]
	v_mul_f64 v[14:15], v[2:3], v[14:15]
	s_waitcnt vmcnt(0)
	v_fmac_f64_e32 v[14:15], v[4:5], v[16:17]
	v_fma_f64 v[2:3], v[2:3], v[16:17], -v[18:19]
	v_add_f64 v[4:5], v[14:15], 0
	v_add_f64 v[2:3], v[2:3], 0
	s_waitcnt lgkmcnt(0)
	v_mul_f64 v[14:15], v[4:5], v[10:11]
	v_mul_f64 v[10:11], v[2:3], v[10:11]
	v_fma_f64 v[2:3], v[2:3], v[8:9], -v[14:15]
	v_fmac_f64_e32 v[10:11], v[4:5], v[8:9]
	buffer_store_dword v2, off, s[0:3], 0 offset:16
	buffer_store_dword v3, off, s[0:3], 0 offset:20
	;; [unrolled: 1-line block ×4, first 2 shown]
.LBB28_19:
	s_or_b64 exec, exec, s[8:9]
	v_accvgpr_read_b32 v1, a65
	s_waitcnt lgkmcnt(0)
	; wave barrier
	buffer_load_dword v2, v1, s[0:3], 0 offen
	buffer_load_dword v3, v1, s[0:3], 0 offen offset:4
	buffer_load_dword v4, v1, s[0:3], 0 offen offset:8
	buffer_load_dword v5, v1, s[0:3], 0 offen offset:12
	v_cmp_gt_u32_e32 vcc, 2, v219
	s_waitcnt vmcnt(0)
	ds_write_b128 v6, v[2:5]
	s_waitcnt lgkmcnt(0)
	; wave barrier
	s_waitcnt lgkmcnt(0)
	s_and_saveexec_b64 s[8:9], vcc
	s_cbranch_execz .LBB28_23
; %bb.20:
	buffer_load_dword v8, v12, s[0:3], 0 offen offset:8
	buffer_load_dword v9, v12, s[0:3], 0 offen offset:12
	buffer_load_dword v10, v12, s[0:3], 0 offen
	buffer_load_dword v11, v12, s[0:3], 0 offen offset:4
	ds_read_b128 v[2:5], v6
	s_waitcnt vmcnt(2) lgkmcnt(0)
	v_mul_f64 v[12:13], v[4:5], v[8:9]
	v_mul_f64 v[8:9], v[2:3], v[8:9]
	s_waitcnt vmcnt(0)
	v_fma_f64 v[2:3], v[2:3], v[10:11], -v[12:13]
	v_fmac_f64_e32 v[8:9], v[4:5], v[10:11]
	v_add_f64 v[4:5], v[2:3], 0
	v_add_f64 v[2:3], v[8:9], 0
	s_and_saveexec_b64 s[12:13], s[6:7]
	s_cbranch_execz .LBB28_22
; %bb.21:
	buffer_load_dword v12, off, s[0:3], 0 offset:24
	buffer_load_dword v13, off, s[0:3], 0 offset:28
	;; [unrolled: 1-line block ×4, first 2 shown]
	v_mov_b32_e32 v1, 0
	ds_read_b128 v[8:11], v1 offset:480
	s_waitcnt vmcnt(2) lgkmcnt(0)
	v_mul_f64 v[16:17], v[8:9], v[12:13]
	v_mul_f64 v[12:13], v[10:11], v[12:13]
	s_waitcnt vmcnt(0)
	v_fmac_f64_e32 v[16:17], v[10:11], v[14:15]
	v_fma_f64 v[8:9], v[8:9], v[14:15], -v[12:13]
	v_add_f64 v[2:3], v[2:3], v[16:17]
	v_add_f64 v[4:5], v[4:5], v[8:9]
.LBB28_22:
	s_or_b64 exec, exec, s[12:13]
	v_mov_b32_e32 v1, 0
	ds_read_b128 v[8:11], v1 offset:32
	s_waitcnt lgkmcnt(0)
	v_mul_f64 v[12:13], v[2:3], v[10:11]
	v_mul_f64 v[10:11], v[4:5], v[10:11]
	v_fma_f64 v[4:5], v[4:5], v[8:9], -v[12:13]
	v_fmac_f64_e32 v[10:11], v[2:3], v[8:9]
	buffer_store_dword v5, off, s[0:3], 0 offset:36
	buffer_store_dword v4, off, s[0:3], 0 offset:32
	;; [unrolled: 1-line block ×4, first 2 shown]
.LBB28_23:
	s_or_b64 exec, exec, s[8:9]
	s_waitcnt lgkmcnt(0)
	; wave barrier
	buffer_load_dword v2, v218, s[0:3], 0 offen
	buffer_load_dword v3, v218, s[0:3], 0 offen offset:4
	buffer_load_dword v4, v218, s[0:3], 0 offen offset:8
	;; [unrolled: 1-line block ×3, first 2 shown]
	v_cmp_gt_u32_e32 vcc, 3, v219
	v_add_u32_e32 v7, -1, v219
	s_waitcnt vmcnt(0)
	ds_write_b128 v6, v[2:5]
	s_waitcnt lgkmcnt(0)
	; wave barrier
	s_waitcnt lgkmcnt(0)
	s_and_saveexec_b64 s[6:7], vcc
	s_cbranch_execz .LBB28_27
; %bb.24:
	v_pk_mov_b32 v[2:3], 0, 0
	v_add_u32_e32 v8, -1, v219
	v_add_u32_e32 v9, 0x1d0, v96
	v_add_u32_e32 v10, 0, v96
	s_mov_b64 s[8:9], 0
	v_pk_mov_b32 v[4:5], v[2:3], v[2:3] op_sel:[0,1]
.LBB28_25:                              ; =>This Inner Loop Header: Depth=1
	buffer_load_dword v16, v10, s[0:3], 0 offen offset:8
	buffer_load_dword v17, v10, s[0:3], 0 offen offset:12
	buffer_load_dword v18, v10, s[0:3], 0 offen
	buffer_load_dword v19, v10, s[0:3], 0 offen offset:4
	ds_read_b128 v[12:15], v9
	v_add_u32_e32 v8, 1, v8
	v_cmp_lt_u32_e32 vcc, 1, v8
	v_add_u32_e32 v9, 16, v9
	v_add_u32_e32 v10, 16, v10
	s_or_b64 s[8:9], vcc, s[8:9]
	s_waitcnt vmcnt(2) lgkmcnt(0)
	v_mul_f64 v[20:21], v[14:15], v[16:17]
	v_mul_f64 v[16:17], v[12:13], v[16:17]
	s_waitcnt vmcnt(0)
	v_fma_f64 v[12:13], v[12:13], v[18:19], -v[20:21]
	v_fmac_f64_e32 v[16:17], v[14:15], v[18:19]
	v_add_f64 v[4:5], v[4:5], v[12:13]
	v_add_f64 v[2:3], v[2:3], v[16:17]
	s_andn2_b64 exec, exec, s[8:9]
	s_cbranch_execnz .LBB28_25
; %bb.26:
	s_or_b64 exec, exec, s[8:9]
	v_mov_b32_e32 v1, 0
	ds_read_b128 v[8:11], v1 offset:48
	s_waitcnt lgkmcnt(0)
	v_mul_f64 v[12:13], v[2:3], v[10:11]
	v_mul_f64 v[10:11], v[4:5], v[10:11]
	v_fma_f64 v[4:5], v[4:5], v[8:9], -v[12:13]
	v_fmac_f64_e32 v[10:11], v[2:3], v[8:9]
	buffer_store_dword v5, off, s[0:3], 0 offset:52
	buffer_store_dword v4, off, s[0:3], 0 offset:48
	buffer_store_dword v11, off, s[0:3], 0 offset:60
	buffer_store_dword v10, off, s[0:3], 0 offset:56
.LBB28_27:
	s_or_b64 exec, exec, s[6:7]
	v_accvgpr_read_b32 v1, a61
	s_waitcnt lgkmcnt(0)
	; wave barrier
	buffer_load_dword v2, v1, s[0:3], 0 offen
	buffer_load_dword v3, v1, s[0:3], 0 offen offset:4
	buffer_load_dword v4, v1, s[0:3], 0 offen offset:8
	buffer_load_dword v5, v1, s[0:3], 0 offen offset:12
	v_cmp_gt_u32_e32 vcc, 4, v219
	s_waitcnt vmcnt(0)
	ds_write_b128 v6, v[2:5]
	s_waitcnt lgkmcnt(0)
	; wave barrier
	s_waitcnt lgkmcnt(0)
	s_and_saveexec_b64 s[6:7], vcc
	s_cbranch_execz .LBB28_31
; %bb.28:
	v_pk_mov_b32 v[2:3], 0, 0
	v_add_u32_e32 v8, -1, v219
	v_add_u32_e32 v9, 0x1d0, v96
	v_add_u32_e32 v10, 0, v96
	s_mov_b64 s[8:9], 0
	v_pk_mov_b32 v[4:5], v[2:3], v[2:3] op_sel:[0,1]
.LBB28_29:                              ; =>This Inner Loop Header: Depth=1
	buffer_load_dword v16, v10, s[0:3], 0 offen offset:8
	buffer_load_dword v17, v10, s[0:3], 0 offen offset:12
	buffer_load_dword v18, v10, s[0:3], 0 offen
	buffer_load_dword v19, v10, s[0:3], 0 offen offset:4
	ds_read_b128 v[12:15], v9
	v_add_u32_e32 v8, 1, v8
	v_cmp_lt_u32_e32 vcc, 2, v8
	v_add_u32_e32 v9, 16, v9
	v_add_u32_e32 v10, 16, v10
	s_or_b64 s[8:9], vcc, s[8:9]
	s_waitcnt vmcnt(2) lgkmcnt(0)
	v_mul_f64 v[20:21], v[14:15], v[16:17]
	v_mul_f64 v[16:17], v[12:13], v[16:17]
	s_waitcnt vmcnt(0)
	v_fma_f64 v[12:13], v[12:13], v[18:19], -v[20:21]
	v_fmac_f64_e32 v[16:17], v[14:15], v[18:19]
	v_add_f64 v[4:5], v[4:5], v[12:13]
	v_add_f64 v[2:3], v[2:3], v[16:17]
	s_andn2_b64 exec, exec, s[8:9]
	s_cbranch_execnz .LBB28_29
; %bb.30:
	s_or_b64 exec, exec, s[8:9]
	v_mov_b32_e32 v1, 0
	ds_read_b128 v[8:11], v1 offset:64
	s_waitcnt lgkmcnt(0)
	v_mul_f64 v[12:13], v[2:3], v[10:11]
	v_mul_f64 v[10:11], v[4:5], v[10:11]
	v_fma_f64 v[4:5], v[4:5], v[8:9], -v[12:13]
	v_fmac_f64_e32 v[10:11], v[2:3], v[8:9]
	buffer_store_dword v5, off, s[0:3], 0 offset:68
	buffer_store_dword v4, off, s[0:3], 0 offset:64
	buffer_store_dword v11, off, s[0:3], 0 offset:76
	buffer_store_dword v10, off, s[0:3], 0 offset:72
.LBB28_31:
	s_or_b64 exec, exec, s[6:7]
	v_accvgpr_read_b32 v1, a62
	s_waitcnt lgkmcnt(0)
	; wave barrier
	buffer_load_dword v2, v1, s[0:3], 0 offen
	buffer_load_dword v3, v1, s[0:3], 0 offen offset:4
	buffer_load_dword v4, v1, s[0:3], 0 offen offset:8
	buffer_load_dword v5, v1, s[0:3], 0 offen offset:12
	v_cmp_gt_u32_e32 vcc, 5, v219
	s_waitcnt vmcnt(0)
	ds_write_b128 v6, v[2:5]
	s_waitcnt lgkmcnt(0)
	; wave barrier
	s_waitcnt lgkmcnt(0)
	s_and_saveexec_b64 s[6:7], vcc
	s_cbranch_execz .LBB28_35
; %bb.32:
	v_pk_mov_b32 v[2:3], 0, 0
	v_add_u32_e32 v8, -1, v219
	v_add_u32_e32 v9, 0x1d0, v96
	v_add_u32_e32 v10, 0, v96
	s_mov_b64 s[8:9], 0
	v_pk_mov_b32 v[4:5], v[2:3], v[2:3] op_sel:[0,1]
.LBB28_33:                              ; =>This Inner Loop Header: Depth=1
	buffer_load_dword v16, v10, s[0:3], 0 offen offset:8
	buffer_load_dword v17, v10, s[0:3], 0 offen offset:12
	buffer_load_dword v18, v10, s[0:3], 0 offen
	buffer_load_dword v19, v10, s[0:3], 0 offen offset:4
	ds_read_b128 v[12:15], v9
	v_add_u32_e32 v8, 1, v8
	v_cmp_lt_u32_e32 vcc, 3, v8
	v_add_u32_e32 v9, 16, v9
	v_add_u32_e32 v10, 16, v10
	s_or_b64 s[8:9], vcc, s[8:9]
	s_waitcnt vmcnt(2) lgkmcnt(0)
	v_mul_f64 v[20:21], v[14:15], v[16:17]
	v_mul_f64 v[16:17], v[12:13], v[16:17]
	s_waitcnt vmcnt(0)
	v_fma_f64 v[12:13], v[12:13], v[18:19], -v[20:21]
	v_fmac_f64_e32 v[16:17], v[14:15], v[18:19]
	v_add_f64 v[4:5], v[4:5], v[12:13]
	v_add_f64 v[2:3], v[2:3], v[16:17]
	s_andn2_b64 exec, exec, s[8:9]
	s_cbranch_execnz .LBB28_33
; %bb.34:
	s_or_b64 exec, exec, s[8:9]
	v_mov_b32_e32 v1, 0
	ds_read_b128 v[8:11], v1 offset:80
	s_waitcnt lgkmcnt(0)
	v_mul_f64 v[12:13], v[2:3], v[10:11]
	v_mul_f64 v[10:11], v[4:5], v[10:11]
	v_fma_f64 v[4:5], v[4:5], v[8:9], -v[12:13]
	v_fmac_f64_e32 v[10:11], v[2:3], v[8:9]
	buffer_store_dword v5, off, s[0:3], 0 offset:84
	buffer_store_dword v4, off, s[0:3], 0 offset:80
	buffer_store_dword v11, off, s[0:3], 0 offset:92
	buffer_store_dword v10, off, s[0:3], 0 offset:88
.LBB28_35:
	s_or_b64 exec, exec, s[6:7]
	v_accvgpr_read_b32 v1, a64
	s_waitcnt lgkmcnt(0)
	; wave barrier
	buffer_load_dword v2, v1, s[0:3], 0 offen
	buffer_load_dword v3, v1, s[0:3], 0 offen offset:4
	buffer_load_dword v4, v1, s[0:3], 0 offen offset:8
	buffer_load_dword v5, v1, s[0:3], 0 offen offset:12
	v_cmp_gt_u32_e32 vcc, 6, v219
	s_waitcnt vmcnt(0)
	ds_write_b128 v6, v[2:5]
	s_waitcnt lgkmcnt(0)
	; wave barrier
	s_waitcnt lgkmcnt(0)
	s_and_saveexec_b64 s[6:7], vcc
	s_cbranch_execz .LBB28_39
; %bb.36:
	v_pk_mov_b32 v[2:3], 0, 0
	v_add_u32_e32 v8, -1, v219
	v_add_u32_e32 v9, 0x1d0, v96
	v_add_u32_e32 v10, 0, v96
	s_mov_b64 s[8:9], 0
	v_pk_mov_b32 v[4:5], v[2:3], v[2:3] op_sel:[0,1]
.LBB28_37:                              ; =>This Inner Loop Header: Depth=1
	buffer_load_dword v16, v10, s[0:3], 0 offen offset:8
	buffer_load_dword v17, v10, s[0:3], 0 offen offset:12
	buffer_load_dword v18, v10, s[0:3], 0 offen
	buffer_load_dword v19, v10, s[0:3], 0 offen offset:4
	ds_read_b128 v[12:15], v9
	v_add_u32_e32 v8, 1, v8
	v_cmp_lt_u32_e32 vcc, 4, v8
	v_add_u32_e32 v9, 16, v9
	v_add_u32_e32 v10, 16, v10
	s_or_b64 s[8:9], vcc, s[8:9]
	s_waitcnt vmcnt(2) lgkmcnt(0)
	v_mul_f64 v[20:21], v[14:15], v[16:17]
	v_mul_f64 v[16:17], v[12:13], v[16:17]
	s_waitcnt vmcnt(0)
	v_fma_f64 v[12:13], v[12:13], v[18:19], -v[20:21]
	v_fmac_f64_e32 v[16:17], v[14:15], v[18:19]
	v_add_f64 v[4:5], v[4:5], v[12:13]
	v_add_f64 v[2:3], v[2:3], v[16:17]
	s_andn2_b64 exec, exec, s[8:9]
	s_cbranch_execnz .LBB28_37
; %bb.38:
	s_or_b64 exec, exec, s[8:9]
	v_mov_b32_e32 v1, 0
	ds_read_b128 v[8:11], v1 offset:96
	s_waitcnt lgkmcnt(0)
	v_mul_f64 v[12:13], v[2:3], v[10:11]
	v_mul_f64 v[10:11], v[4:5], v[10:11]
	v_fma_f64 v[4:5], v[4:5], v[8:9], -v[12:13]
	v_fmac_f64_e32 v[10:11], v[2:3], v[8:9]
	buffer_store_dword v5, off, s[0:3], 0 offset:100
	buffer_store_dword v4, off, s[0:3], 0 offset:96
	buffer_store_dword v11, off, s[0:3], 0 offset:108
	buffer_store_dword v10, off, s[0:3], 0 offset:104
.LBB28_39:
	s_or_b64 exec, exec, s[6:7]
	v_accvgpr_read_b32 v1, a63
	s_waitcnt lgkmcnt(0)
	; wave barrier
	buffer_load_dword v2, v1, s[0:3], 0 offen
	buffer_load_dword v3, v1, s[0:3], 0 offen offset:4
	buffer_load_dword v4, v1, s[0:3], 0 offen offset:8
	buffer_load_dword v5, v1, s[0:3], 0 offen offset:12
	v_cmp_gt_u32_e32 vcc, 7, v219
	s_waitcnt vmcnt(0)
	ds_write_b128 v6, v[2:5]
	s_waitcnt lgkmcnt(0)
	; wave barrier
	s_waitcnt lgkmcnt(0)
	s_and_saveexec_b64 s[6:7], vcc
	s_cbranch_execz .LBB28_43
; %bb.40:
	v_pk_mov_b32 v[2:3], 0, 0
	v_add_u32_e32 v8, -1, v219
	v_add_u32_e32 v9, 0x1d0, v96
	v_add_u32_e32 v10, 0, v96
	s_mov_b64 s[8:9], 0
	v_pk_mov_b32 v[4:5], v[2:3], v[2:3] op_sel:[0,1]
.LBB28_41:                              ; =>This Inner Loop Header: Depth=1
	buffer_load_dword v16, v10, s[0:3], 0 offen offset:8
	buffer_load_dword v17, v10, s[0:3], 0 offen offset:12
	buffer_load_dword v18, v10, s[0:3], 0 offen
	buffer_load_dword v19, v10, s[0:3], 0 offen offset:4
	ds_read_b128 v[12:15], v9
	v_add_u32_e32 v8, 1, v8
	v_cmp_lt_u32_e32 vcc, 5, v8
	v_add_u32_e32 v9, 16, v9
	v_add_u32_e32 v10, 16, v10
	s_or_b64 s[8:9], vcc, s[8:9]
	s_waitcnt vmcnt(2) lgkmcnt(0)
	v_mul_f64 v[20:21], v[14:15], v[16:17]
	v_mul_f64 v[16:17], v[12:13], v[16:17]
	s_waitcnt vmcnt(0)
	v_fma_f64 v[12:13], v[12:13], v[18:19], -v[20:21]
	v_fmac_f64_e32 v[16:17], v[14:15], v[18:19]
	v_add_f64 v[4:5], v[4:5], v[12:13]
	v_add_f64 v[2:3], v[2:3], v[16:17]
	s_andn2_b64 exec, exec, s[8:9]
	s_cbranch_execnz .LBB28_41
; %bb.42:
	s_or_b64 exec, exec, s[8:9]
	v_mov_b32_e32 v1, 0
	ds_read_b128 v[8:11], v1 offset:112
	s_waitcnt lgkmcnt(0)
	v_mul_f64 v[12:13], v[2:3], v[10:11]
	v_mul_f64 v[10:11], v[4:5], v[10:11]
	v_fma_f64 v[4:5], v[4:5], v[8:9], -v[12:13]
	v_fmac_f64_e32 v[10:11], v[2:3], v[8:9]
	buffer_store_dword v5, off, s[0:3], 0 offset:116
	buffer_store_dword v4, off, s[0:3], 0 offset:112
	buffer_store_dword v11, off, s[0:3], 0 offset:124
	buffer_store_dword v10, off, s[0:3], 0 offset:120
.LBB28_43:
	s_or_b64 exec, exec, s[6:7]
	v_accvgpr_read_b32 v1, a59
	s_waitcnt lgkmcnt(0)
	; wave barrier
	buffer_load_dword v2, v1, s[0:3], 0 offen
	buffer_load_dword v3, v1, s[0:3], 0 offen offset:4
	buffer_load_dword v4, v1, s[0:3], 0 offen offset:8
	buffer_load_dword v5, v1, s[0:3], 0 offen offset:12
	v_cmp_gt_u32_e32 vcc, 8, v219
	s_waitcnt vmcnt(0)
	ds_write_b128 v6, v[2:5]
	s_waitcnt lgkmcnt(0)
	; wave barrier
	s_waitcnt lgkmcnt(0)
	s_and_saveexec_b64 s[6:7], vcc
	s_cbranch_execz .LBB28_47
; %bb.44:
	v_pk_mov_b32 v[2:3], 0, 0
	v_add_u32_e32 v8, -1, v219
	v_add_u32_e32 v9, 0x1d0, v96
	v_add_u32_e32 v10, 0, v96
	s_mov_b64 s[8:9], 0
	v_pk_mov_b32 v[4:5], v[2:3], v[2:3] op_sel:[0,1]
.LBB28_45:                              ; =>This Inner Loop Header: Depth=1
	buffer_load_dword v16, v10, s[0:3], 0 offen offset:8
	buffer_load_dword v17, v10, s[0:3], 0 offen offset:12
	buffer_load_dword v18, v10, s[0:3], 0 offen
	buffer_load_dword v19, v10, s[0:3], 0 offen offset:4
	ds_read_b128 v[12:15], v9
	v_add_u32_e32 v8, 1, v8
	v_cmp_lt_u32_e32 vcc, 6, v8
	v_add_u32_e32 v9, 16, v9
	v_add_u32_e32 v10, 16, v10
	s_or_b64 s[8:9], vcc, s[8:9]
	s_waitcnt vmcnt(2) lgkmcnt(0)
	v_mul_f64 v[20:21], v[14:15], v[16:17]
	v_mul_f64 v[16:17], v[12:13], v[16:17]
	s_waitcnt vmcnt(0)
	v_fma_f64 v[12:13], v[12:13], v[18:19], -v[20:21]
	v_fmac_f64_e32 v[16:17], v[14:15], v[18:19]
	v_add_f64 v[4:5], v[4:5], v[12:13]
	v_add_f64 v[2:3], v[2:3], v[16:17]
	s_andn2_b64 exec, exec, s[8:9]
	s_cbranch_execnz .LBB28_45
; %bb.46:
	s_or_b64 exec, exec, s[8:9]
	v_mov_b32_e32 v1, 0
	ds_read_b128 v[8:11], v1 offset:128
	s_waitcnt lgkmcnt(0)
	v_mul_f64 v[12:13], v[2:3], v[10:11]
	v_mul_f64 v[10:11], v[4:5], v[10:11]
	v_fma_f64 v[4:5], v[4:5], v[8:9], -v[12:13]
	v_fmac_f64_e32 v[10:11], v[2:3], v[8:9]
	buffer_store_dword v5, off, s[0:3], 0 offset:132
	buffer_store_dword v4, off, s[0:3], 0 offset:128
	buffer_store_dword v11, off, s[0:3], 0 offset:140
	buffer_store_dword v10, off, s[0:3], 0 offset:136
.LBB28_47:
	s_or_b64 exec, exec, s[6:7]
	v_accvgpr_read_b32 v1, a57
	s_waitcnt lgkmcnt(0)
	; wave barrier
	buffer_load_dword v2, v1, s[0:3], 0 offen
	buffer_load_dword v3, v1, s[0:3], 0 offen offset:4
	buffer_load_dword v4, v1, s[0:3], 0 offen offset:8
	buffer_load_dword v5, v1, s[0:3], 0 offen offset:12
	v_cmp_gt_u32_e32 vcc, 9, v219
	s_waitcnt vmcnt(0)
	ds_write_b128 v6, v[2:5]
	s_waitcnt lgkmcnt(0)
	; wave barrier
	s_waitcnt lgkmcnt(0)
	s_and_saveexec_b64 s[6:7], vcc
	s_cbranch_execz .LBB28_51
; %bb.48:
	v_pk_mov_b32 v[2:3], 0, 0
	v_add_u32_e32 v8, -1, v219
	v_add_u32_e32 v9, 0x1d0, v96
	v_add_u32_e32 v10, 0, v96
	s_mov_b64 s[8:9], 0
	v_pk_mov_b32 v[4:5], v[2:3], v[2:3] op_sel:[0,1]
.LBB28_49:                              ; =>This Inner Loop Header: Depth=1
	buffer_load_dword v16, v10, s[0:3], 0 offen offset:8
	buffer_load_dword v17, v10, s[0:3], 0 offen offset:12
	buffer_load_dword v18, v10, s[0:3], 0 offen
	buffer_load_dword v19, v10, s[0:3], 0 offen offset:4
	ds_read_b128 v[12:15], v9
	v_add_u32_e32 v8, 1, v8
	v_cmp_lt_u32_e32 vcc, 7, v8
	v_add_u32_e32 v9, 16, v9
	v_add_u32_e32 v10, 16, v10
	s_or_b64 s[8:9], vcc, s[8:9]
	s_waitcnt vmcnt(2) lgkmcnt(0)
	v_mul_f64 v[20:21], v[14:15], v[16:17]
	v_mul_f64 v[16:17], v[12:13], v[16:17]
	s_waitcnt vmcnt(0)
	v_fma_f64 v[12:13], v[12:13], v[18:19], -v[20:21]
	v_fmac_f64_e32 v[16:17], v[14:15], v[18:19]
	v_add_f64 v[4:5], v[4:5], v[12:13]
	v_add_f64 v[2:3], v[2:3], v[16:17]
	s_andn2_b64 exec, exec, s[8:9]
	s_cbranch_execnz .LBB28_49
; %bb.50:
	s_or_b64 exec, exec, s[8:9]
	v_mov_b32_e32 v1, 0
	ds_read_b128 v[8:11], v1 offset:144
	s_waitcnt lgkmcnt(0)
	v_mul_f64 v[12:13], v[2:3], v[10:11]
	v_mul_f64 v[10:11], v[4:5], v[10:11]
	v_fma_f64 v[4:5], v[4:5], v[8:9], -v[12:13]
	v_fmac_f64_e32 v[10:11], v[2:3], v[8:9]
	buffer_store_dword v5, off, s[0:3], 0 offset:148
	buffer_store_dword v4, off, s[0:3], 0 offset:144
	buffer_store_dword v11, off, s[0:3], 0 offset:156
	buffer_store_dword v10, off, s[0:3], 0 offset:152
.LBB28_51:
	s_or_b64 exec, exec, s[6:7]
	v_accvgpr_read_b32 v1, a60
	s_waitcnt lgkmcnt(0)
	; wave barrier
	buffer_load_dword v2, v1, s[0:3], 0 offen
	buffer_load_dword v3, v1, s[0:3], 0 offen offset:4
	buffer_load_dword v4, v1, s[0:3], 0 offen offset:8
	buffer_load_dword v5, v1, s[0:3], 0 offen offset:12
	v_cmp_gt_u32_e32 vcc, 10, v219
	s_waitcnt vmcnt(0)
	ds_write_b128 v6, v[2:5]
	s_waitcnt lgkmcnt(0)
	; wave barrier
	s_waitcnt lgkmcnt(0)
	s_and_saveexec_b64 s[6:7], vcc
	s_cbranch_execz .LBB28_55
; %bb.52:
	v_pk_mov_b32 v[2:3], 0, 0
	v_add_u32_e32 v8, -1, v219
	v_add_u32_e32 v9, 0x1d0, v96
	v_add_u32_e32 v10, 0, v96
	s_mov_b64 s[8:9], 0
	v_pk_mov_b32 v[4:5], v[2:3], v[2:3] op_sel:[0,1]
.LBB28_53:                              ; =>This Inner Loop Header: Depth=1
	buffer_load_dword v16, v10, s[0:3], 0 offen offset:8
	buffer_load_dword v17, v10, s[0:3], 0 offen offset:12
	buffer_load_dword v18, v10, s[0:3], 0 offen
	buffer_load_dword v19, v10, s[0:3], 0 offen offset:4
	ds_read_b128 v[12:15], v9
	v_add_u32_e32 v8, 1, v8
	v_cmp_lt_u32_e32 vcc, 8, v8
	v_add_u32_e32 v9, 16, v9
	v_add_u32_e32 v10, 16, v10
	s_or_b64 s[8:9], vcc, s[8:9]
	s_waitcnt vmcnt(2) lgkmcnt(0)
	v_mul_f64 v[20:21], v[14:15], v[16:17]
	v_mul_f64 v[16:17], v[12:13], v[16:17]
	s_waitcnt vmcnt(0)
	v_fma_f64 v[12:13], v[12:13], v[18:19], -v[20:21]
	v_fmac_f64_e32 v[16:17], v[14:15], v[18:19]
	v_add_f64 v[4:5], v[4:5], v[12:13]
	v_add_f64 v[2:3], v[2:3], v[16:17]
	s_andn2_b64 exec, exec, s[8:9]
	s_cbranch_execnz .LBB28_53
; %bb.54:
	s_or_b64 exec, exec, s[8:9]
	v_mov_b32_e32 v1, 0
	ds_read_b128 v[8:11], v1 offset:160
	s_waitcnt lgkmcnt(0)
	v_mul_f64 v[12:13], v[2:3], v[10:11]
	v_mul_f64 v[10:11], v[4:5], v[10:11]
	v_fma_f64 v[4:5], v[4:5], v[8:9], -v[12:13]
	v_fmac_f64_e32 v[10:11], v[2:3], v[8:9]
	buffer_store_dword v5, off, s[0:3], 0 offset:164
	buffer_store_dword v4, off, s[0:3], 0 offset:160
	buffer_store_dword v11, off, s[0:3], 0 offset:172
	buffer_store_dword v10, off, s[0:3], 0 offset:168
.LBB28_55:
	s_or_b64 exec, exec, s[6:7]
	v_accvgpr_read_b32 v1, a58
	s_waitcnt lgkmcnt(0)
	; wave barrier
	buffer_load_dword v2, v1, s[0:3], 0 offen
	buffer_load_dword v3, v1, s[0:3], 0 offen offset:4
	buffer_load_dword v4, v1, s[0:3], 0 offen offset:8
	buffer_load_dword v5, v1, s[0:3], 0 offen offset:12
	v_cmp_gt_u32_e32 vcc, 11, v219
	s_waitcnt vmcnt(0)
	ds_write_b128 v6, v[2:5]
	s_waitcnt lgkmcnt(0)
	; wave barrier
	s_waitcnt lgkmcnt(0)
	s_and_saveexec_b64 s[6:7], vcc
	s_cbranch_execz .LBB28_59
; %bb.56:
	v_pk_mov_b32 v[2:3], 0, 0
	v_add_u32_e32 v8, -1, v219
	v_add_u32_e32 v9, 0x1d0, v96
	v_add_u32_e32 v10, 0, v96
	s_mov_b64 s[8:9], 0
	v_pk_mov_b32 v[4:5], v[2:3], v[2:3] op_sel:[0,1]
.LBB28_57:                              ; =>This Inner Loop Header: Depth=1
	buffer_load_dword v16, v10, s[0:3], 0 offen offset:8
	buffer_load_dword v17, v10, s[0:3], 0 offen offset:12
	buffer_load_dword v18, v10, s[0:3], 0 offen
	buffer_load_dword v19, v10, s[0:3], 0 offen offset:4
	ds_read_b128 v[12:15], v9
	v_add_u32_e32 v8, 1, v8
	v_cmp_lt_u32_e32 vcc, 9, v8
	v_add_u32_e32 v9, 16, v9
	v_add_u32_e32 v10, 16, v10
	s_or_b64 s[8:9], vcc, s[8:9]
	s_waitcnt vmcnt(2) lgkmcnt(0)
	v_mul_f64 v[20:21], v[14:15], v[16:17]
	v_mul_f64 v[16:17], v[12:13], v[16:17]
	s_waitcnt vmcnt(0)
	v_fma_f64 v[12:13], v[12:13], v[18:19], -v[20:21]
	v_fmac_f64_e32 v[16:17], v[14:15], v[18:19]
	v_add_f64 v[4:5], v[4:5], v[12:13]
	v_add_f64 v[2:3], v[2:3], v[16:17]
	s_andn2_b64 exec, exec, s[8:9]
	s_cbranch_execnz .LBB28_57
; %bb.58:
	s_or_b64 exec, exec, s[8:9]
	v_mov_b32_e32 v1, 0
	ds_read_b128 v[8:11], v1 offset:176
	s_waitcnt lgkmcnt(0)
	v_mul_f64 v[12:13], v[2:3], v[10:11]
	v_mul_f64 v[10:11], v[4:5], v[10:11]
	v_fma_f64 v[4:5], v[4:5], v[8:9], -v[12:13]
	v_fmac_f64_e32 v[10:11], v[2:3], v[8:9]
	buffer_store_dword v5, off, s[0:3], 0 offset:180
	buffer_store_dword v4, off, s[0:3], 0 offset:176
	buffer_store_dword v11, off, s[0:3], 0 offset:188
	buffer_store_dword v10, off, s[0:3], 0 offset:184
.LBB28_59:
	s_or_b64 exec, exec, s[6:7]
	v_accvgpr_read_b32 v1, a56
	s_waitcnt lgkmcnt(0)
	; wave barrier
	buffer_load_dword v2, v1, s[0:3], 0 offen
	buffer_load_dword v3, v1, s[0:3], 0 offen offset:4
	buffer_load_dword v4, v1, s[0:3], 0 offen offset:8
	buffer_load_dword v5, v1, s[0:3], 0 offen offset:12
	v_cmp_gt_u32_e32 vcc, 12, v219
	s_waitcnt vmcnt(0)
	ds_write_b128 v6, v[2:5]
	s_waitcnt lgkmcnt(0)
	; wave barrier
	s_waitcnt lgkmcnt(0)
	s_and_saveexec_b64 s[6:7], vcc
	s_cbranch_execz .LBB28_63
; %bb.60:
	v_pk_mov_b32 v[2:3], 0, 0
	v_add_u32_e32 v8, -1, v219
	v_add_u32_e32 v9, 0x1d0, v96
	v_add_u32_e32 v10, 0, v96
	s_mov_b64 s[8:9], 0
	v_pk_mov_b32 v[4:5], v[2:3], v[2:3] op_sel:[0,1]
.LBB28_61:                              ; =>This Inner Loop Header: Depth=1
	buffer_load_dword v16, v10, s[0:3], 0 offen offset:8
	buffer_load_dword v17, v10, s[0:3], 0 offen offset:12
	buffer_load_dword v18, v10, s[0:3], 0 offen
	buffer_load_dword v19, v10, s[0:3], 0 offen offset:4
	ds_read_b128 v[12:15], v9
	v_add_u32_e32 v8, 1, v8
	v_cmp_lt_u32_e32 vcc, 10, v8
	v_add_u32_e32 v9, 16, v9
	v_add_u32_e32 v10, 16, v10
	s_or_b64 s[8:9], vcc, s[8:9]
	s_waitcnt vmcnt(2) lgkmcnt(0)
	v_mul_f64 v[20:21], v[14:15], v[16:17]
	v_mul_f64 v[16:17], v[12:13], v[16:17]
	s_waitcnt vmcnt(0)
	v_fma_f64 v[12:13], v[12:13], v[18:19], -v[20:21]
	v_fmac_f64_e32 v[16:17], v[14:15], v[18:19]
	v_add_f64 v[4:5], v[4:5], v[12:13]
	v_add_f64 v[2:3], v[2:3], v[16:17]
	s_andn2_b64 exec, exec, s[8:9]
	s_cbranch_execnz .LBB28_61
; %bb.62:
	s_or_b64 exec, exec, s[8:9]
	v_mov_b32_e32 v1, 0
	ds_read_b128 v[8:11], v1 offset:192
	s_waitcnt lgkmcnt(0)
	v_mul_f64 v[12:13], v[2:3], v[10:11]
	v_mul_f64 v[10:11], v[4:5], v[10:11]
	v_fma_f64 v[4:5], v[4:5], v[8:9], -v[12:13]
	v_fmac_f64_e32 v[10:11], v[2:3], v[8:9]
	buffer_store_dword v5, off, s[0:3], 0 offset:196
	buffer_store_dword v4, off, s[0:3], 0 offset:192
	buffer_store_dword v11, off, s[0:3], 0 offset:204
	buffer_store_dword v10, off, s[0:3], 0 offset:200
.LBB28_63:
	s_or_b64 exec, exec, s[6:7]
	v_accvgpr_read_b32 v1, a55
	s_waitcnt lgkmcnt(0)
	; wave barrier
	buffer_load_dword v2, v1, s[0:3], 0 offen
	buffer_load_dword v3, v1, s[0:3], 0 offen offset:4
	buffer_load_dword v4, v1, s[0:3], 0 offen offset:8
	buffer_load_dword v5, v1, s[0:3], 0 offen offset:12
	v_cmp_gt_u32_e32 vcc, 13, v219
	s_waitcnt vmcnt(0)
	ds_write_b128 v6, v[2:5]
	s_waitcnt lgkmcnt(0)
	; wave barrier
	s_waitcnt lgkmcnt(0)
	s_and_saveexec_b64 s[6:7], vcc
	s_cbranch_execz .LBB28_67
; %bb.64:
	v_pk_mov_b32 v[2:3], 0, 0
	v_add_u32_e32 v8, -1, v219
	v_add_u32_e32 v9, 0x1d0, v96
	v_add_u32_e32 v10, 0, v96
	s_mov_b64 s[8:9], 0
	v_pk_mov_b32 v[4:5], v[2:3], v[2:3] op_sel:[0,1]
.LBB28_65:                              ; =>This Inner Loop Header: Depth=1
	buffer_load_dword v16, v10, s[0:3], 0 offen offset:8
	buffer_load_dword v17, v10, s[0:3], 0 offen offset:12
	buffer_load_dword v18, v10, s[0:3], 0 offen
	buffer_load_dword v19, v10, s[0:3], 0 offen offset:4
	ds_read_b128 v[12:15], v9
	v_add_u32_e32 v8, 1, v8
	v_cmp_lt_u32_e32 vcc, 11, v8
	v_add_u32_e32 v9, 16, v9
	v_add_u32_e32 v10, 16, v10
	s_or_b64 s[8:9], vcc, s[8:9]
	s_waitcnt vmcnt(2) lgkmcnt(0)
	v_mul_f64 v[20:21], v[14:15], v[16:17]
	v_mul_f64 v[16:17], v[12:13], v[16:17]
	s_waitcnt vmcnt(0)
	v_fma_f64 v[12:13], v[12:13], v[18:19], -v[20:21]
	v_fmac_f64_e32 v[16:17], v[14:15], v[18:19]
	v_add_f64 v[4:5], v[4:5], v[12:13]
	v_add_f64 v[2:3], v[2:3], v[16:17]
	s_andn2_b64 exec, exec, s[8:9]
	s_cbranch_execnz .LBB28_65
; %bb.66:
	s_or_b64 exec, exec, s[8:9]
	v_mov_b32_e32 v1, 0
	ds_read_b128 v[8:11], v1 offset:208
	s_waitcnt lgkmcnt(0)
	v_mul_f64 v[12:13], v[2:3], v[10:11]
	v_mul_f64 v[10:11], v[4:5], v[10:11]
	v_fma_f64 v[4:5], v[4:5], v[8:9], -v[12:13]
	v_fmac_f64_e32 v[10:11], v[2:3], v[8:9]
	buffer_store_dword v5, off, s[0:3], 0 offset:212
	buffer_store_dword v4, off, s[0:3], 0 offset:208
	buffer_store_dword v11, off, s[0:3], 0 offset:220
	buffer_store_dword v10, off, s[0:3], 0 offset:216
.LBB28_67:
	s_or_b64 exec, exec, s[6:7]
	v_accvgpr_read_b32 v1, a54
	s_waitcnt lgkmcnt(0)
	; wave barrier
	buffer_load_dword v2, v1, s[0:3], 0 offen
	buffer_load_dword v3, v1, s[0:3], 0 offen offset:4
	buffer_load_dword v4, v1, s[0:3], 0 offen offset:8
	buffer_load_dword v5, v1, s[0:3], 0 offen offset:12
	v_cmp_gt_u32_e32 vcc, 14, v219
	s_waitcnt vmcnt(0)
	ds_write_b128 v6, v[2:5]
	s_waitcnt lgkmcnt(0)
	; wave barrier
	s_waitcnt lgkmcnt(0)
	s_and_saveexec_b64 s[6:7], vcc
	s_cbranch_execz .LBB28_71
; %bb.68:
	v_pk_mov_b32 v[2:3], 0, 0
	v_add_u32_e32 v8, -1, v219
	v_add_u32_e32 v9, 0x1d0, v96
	v_add_u32_e32 v10, 0, v96
	s_mov_b64 s[8:9], 0
	v_pk_mov_b32 v[4:5], v[2:3], v[2:3] op_sel:[0,1]
.LBB28_69:                              ; =>This Inner Loop Header: Depth=1
	buffer_load_dword v16, v10, s[0:3], 0 offen offset:8
	buffer_load_dword v17, v10, s[0:3], 0 offen offset:12
	buffer_load_dword v18, v10, s[0:3], 0 offen
	buffer_load_dword v19, v10, s[0:3], 0 offen offset:4
	ds_read_b128 v[12:15], v9
	v_add_u32_e32 v8, 1, v8
	v_cmp_lt_u32_e32 vcc, 12, v8
	v_add_u32_e32 v9, 16, v9
	v_add_u32_e32 v10, 16, v10
	s_or_b64 s[8:9], vcc, s[8:9]
	s_waitcnt vmcnt(2) lgkmcnt(0)
	v_mul_f64 v[20:21], v[14:15], v[16:17]
	v_mul_f64 v[16:17], v[12:13], v[16:17]
	s_waitcnt vmcnt(0)
	v_fma_f64 v[12:13], v[12:13], v[18:19], -v[20:21]
	v_fmac_f64_e32 v[16:17], v[14:15], v[18:19]
	v_add_f64 v[4:5], v[4:5], v[12:13]
	v_add_f64 v[2:3], v[2:3], v[16:17]
	s_andn2_b64 exec, exec, s[8:9]
	s_cbranch_execnz .LBB28_69
; %bb.70:
	s_or_b64 exec, exec, s[8:9]
	v_mov_b32_e32 v1, 0
	ds_read_b128 v[8:11], v1 offset:224
	s_waitcnt lgkmcnt(0)
	v_mul_f64 v[12:13], v[2:3], v[10:11]
	v_mul_f64 v[10:11], v[4:5], v[10:11]
	v_fma_f64 v[4:5], v[4:5], v[8:9], -v[12:13]
	v_fmac_f64_e32 v[10:11], v[2:3], v[8:9]
	buffer_store_dword v5, off, s[0:3], 0 offset:228
	buffer_store_dword v4, off, s[0:3], 0 offset:224
	buffer_store_dword v11, off, s[0:3], 0 offset:236
	buffer_store_dword v10, off, s[0:3], 0 offset:232
.LBB28_71:
	s_or_b64 exec, exec, s[6:7]
	v_accvgpr_read_b32 v1, a53
	s_waitcnt lgkmcnt(0)
	; wave barrier
	buffer_load_dword v2, v1, s[0:3], 0 offen
	buffer_load_dword v3, v1, s[0:3], 0 offen offset:4
	buffer_load_dword v4, v1, s[0:3], 0 offen offset:8
	buffer_load_dword v5, v1, s[0:3], 0 offen offset:12
	v_cmp_gt_u32_e32 vcc, 15, v219
	s_waitcnt vmcnt(0)
	ds_write_b128 v6, v[2:5]
	s_waitcnt lgkmcnt(0)
	; wave barrier
	s_waitcnt lgkmcnt(0)
	s_and_saveexec_b64 s[6:7], vcc
	s_cbranch_execz .LBB28_75
; %bb.72:
	v_pk_mov_b32 v[2:3], 0, 0
	v_add_u32_e32 v8, -1, v219
	v_add_u32_e32 v9, 0x1d0, v96
	v_add_u32_e32 v10, 0, v96
	s_mov_b64 s[8:9], 0
	v_pk_mov_b32 v[4:5], v[2:3], v[2:3] op_sel:[0,1]
.LBB28_73:                              ; =>This Inner Loop Header: Depth=1
	buffer_load_dword v16, v10, s[0:3], 0 offen offset:8
	buffer_load_dword v17, v10, s[0:3], 0 offen offset:12
	buffer_load_dword v18, v10, s[0:3], 0 offen
	buffer_load_dword v19, v10, s[0:3], 0 offen offset:4
	ds_read_b128 v[12:15], v9
	v_add_u32_e32 v8, 1, v8
	v_cmp_lt_u32_e32 vcc, 13, v8
	v_add_u32_e32 v9, 16, v9
	v_add_u32_e32 v10, 16, v10
	s_or_b64 s[8:9], vcc, s[8:9]
	s_waitcnt vmcnt(2) lgkmcnt(0)
	v_mul_f64 v[20:21], v[14:15], v[16:17]
	v_mul_f64 v[16:17], v[12:13], v[16:17]
	s_waitcnt vmcnt(0)
	v_fma_f64 v[12:13], v[12:13], v[18:19], -v[20:21]
	v_fmac_f64_e32 v[16:17], v[14:15], v[18:19]
	v_add_f64 v[4:5], v[4:5], v[12:13]
	v_add_f64 v[2:3], v[2:3], v[16:17]
	s_andn2_b64 exec, exec, s[8:9]
	s_cbranch_execnz .LBB28_73
; %bb.74:
	s_or_b64 exec, exec, s[8:9]
	v_mov_b32_e32 v1, 0
	ds_read_b128 v[8:11], v1 offset:240
	s_waitcnt lgkmcnt(0)
	v_mul_f64 v[12:13], v[2:3], v[10:11]
	v_mul_f64 v[10:11], v[4:5], v[10:11]
	v_fma_f64 v[4:5], v[4:5], v[8:9], -v[12:13]
	v_fmac_f64_e32 v[10:11], v[2:3], v[8:9]
	buffer_store_dword v5, off, s[0:3], 0 offset:244
	buffer_store_dword v4, off, s[0:3], 0 offset:240
	buffer_store_dword v11, off, s[0:3], 0 offset:252
	buffer_store_dword v10, off, s[0:3], 0 offset:248
.LBB28_75:
	s_or_b64 exec, exec, s[6:7]
	v_accvgpr_read_b32 v1, a52
	s_waitcnt lgkmcnt(0)
	; wave barrier
	buffer_load_dword v2, v1, s[0:3], 0 offen
	buffer_load_dword v3, v1, s[0:3], 0 offen offset:4
	buffer_load_dword v4, v1, s[0:3], 0 offen offset:8
	buffer_load_dword v5, v1, s[0:3], 0 offen offset:12
	v_cmp_gt_u32_e32 vcc, 16, v219
	s_waitcnt vmcnt(0)
	ds_write_b128 v6, v[2:5]
	s_waitcnt lgkmcnt(0)
	; wave barrier
	s_waitcnt lgkmcnt(0)
	s_and_saveexec_b64 s[6:7], vcc
	s_cbranch_execz .LBB28_79
; %bb.76:
	v_pk_mov_b32 v[2:3], 0, 0
	v_add_u32_e32 v8, -1, v219
	v_add_u32_e32 v9, 0x1d0, v96
	v_add_u32_e32 v10, 0, v96
	s_mov_b64 s[8:9], 0
	v_pk_mov_b32 v[4:5], v[2:3], v[2:3] op_sel:[0,1]
.LBB28_77:                              ; =>This Inner Loop Header: Depth=1
	buffer_load_dword v16, v10, s[0:3], 0 offen offset:8
	buffer_load_dword v17, v10, s[0:3], 0 offen offset:12
	buffer_load_dword v18, v10, s[0:3], 0 offen
	buffer_load_dword v19, v10, s[0:3], 0 offen offset:4
	ds_read_b128 v[12:15], v9
	v_add_u32_e32 v8, 1, v8
	v_cmp_lt_u32_e32 vcc, 14, v8
	v_add_u32_e32 v9, 16, v9
	v_add_u32_e32 v10, 16, v10
	s_or_b64 s[8:9], vcc, s[8:9]
	s_waitcnt vmcnt(2) lgkmcnt(0)
	v_mul_f64 v[20:21], v[14:15], v[16:17]
	v_mul_f64 v[16:17], v[12:13], v[16:17]
	s_waitcnt vmcnt(0)
	v_fma_f64 v[12:13], v[12:13], v[18:19], -v[20:21]
	v_fmac_f64_e32 v[16:17], v[14:15], v[18:19]
	v_add_f64 v[4:5], v[4:5], v[12:13]
	v_add_f64 v[2:3], v[2:3], v[16:17]
	s_andn2_b64 exec, exec, s[8:9]
	s_cbranch_execnz .LBB28_77
; %bb.78:
	s_or_b64 exec, exec, s[8:9]
	v_mov_b32_e32 v1, 0
	ds_read_b128 v[8:11], v1 offset:256
	s_waitcnt lgkmcnt(0)
	v_mul_f64 v[12:13], v[2:3], v[10:11]
	v_mul_f64 v[10:11], v[4:5], v[10:11]
	v_fma_f64 v[4:5], v[4:5], v[8:9], -v[12:13]
	v_fmac_f64_e32 v[10:11], v[2:3], v[8:9]
	buffer_store_dword v5, off, s[0:3], 0 offset:260
	buffer_store_dword v4, off, s[0:3], 0 offset:256
	buffer_store_dword v11, off, s[0:3], 0 offset:268
	buffer_store_dword v10, off, s[0:3], 0 offset:264
.LBB28_79:
	s_or_b64 exec, exec, s[6:7]
	v_accvgpr_read_b32 v1, a51
	s_waitcnt lgkmcnt(0)
	; wave barrier
	buffer_load_dword v2, v1, s[0:3], 0 offen
	buffer_load_dword v3, v1, s[0:3], 0 offen offset:4
	buffer_load_dword v4, v1, s[0:3], 0 offen offset:8
	buffer_load_dword v5, v1, s[0:3], 0 offen offset:12
	v_cmp_gt_u32_e32 vcc, 17, v219
	s_waitcnt vmcnt(0)
	ds_write_b128 v6, v[2:5]
	s_waitcnt lgkmcnt(0)
	; wave barrier
	s_waitcnt lgkmcnt(0)
	s_and_saveexec_b64 s[6:7], vcc
	s_cbranch_execz .LBB28_83
; %bb.80:
	v_pk_mov_b32 v[2:3], 0, 0
	v_add_u32_e32 v8, -1, v219
	v_add_u32_e32 v9, 0x1d0, v96
	v_add_u32_e32 v10, 0, v96
	s_mov_b64 s[8:9], 0
	v_pk_mov_b32 v[4:5], v[2:3], v[2:3] op_sel:[0,1]
.LBB28_81:                              ; =>This Inner Loop Header: Depth=1
	buffer_load_dword v16, v10, s[0:3], 0 offen offset:8
	buffer_load_dword v17, v10, s[0:3], 0 offen offset:12
	buffer_load_dword v18, v10, s[0:3], 0 offen
	buffer_load_dword v19, v10, s[0:3], 0 offen offset:4
	ds_read_b128 v[12:15], v9
	v_add_u32_e32 v8, 1, v8
	v_cmp_lt_u32_e32 vcc, 15, v8
	v_add_u32_e32 v9, 16, v9
	v_add_u32_e32 v10, 16, v10
	s_or_b64 s[8:9], vcc, s[8:9]
	s_waitcnt vmcnt(2) lgkmcnt(0)
	v_mul_f64 v[20:21], v[14:15], v[16:17]
	v_mul_f64 v[16:17], v[12:13], v[16:17]
	s_waitcnt vmcnt(0)
	v_fma_f64 v[12:13], v[12:13], v[18:19], -v[20:21]
	v_fmac_f64_e32 v[16:17], v[14:15], v[18:19]
	v_add_f64 v[4:5], v[4:5], v[12:13]
	v_add_f64 v[2:3], v[2:3], v[16:17]
	s_andn2_b64 exec, exec, s[8:9]
	s_cbranch_execnz .LBB28_81
; %bb.82:
	s_or_b64 exec, exec, s[8:9]
	v_mov_b32_e32 v1, 0
	ds_read_b128 v[8:11], v1 offset:272
	s_waitcnt lgkmcnt(0)
	v_mul_f64 v[12:13], v[2:3], v[10:11]
	v_mul_f64 v[10:11], v[4:5], v[10:11]
	v_fma_f64 v[4:5], v[4:5], v[8:9], -v[12:13]
	v_fmac_f64_e32 v[10:11], v[2:3], v[8:9]
	buffer_store_dword v5, off, s[0:3], 0 offset:276
	buffer_store_dword v4, off, s[0:3], 0 offset:272
	buffer_store_dword v11, off, s[0:3], 0 offset:284
	buffer_store_dword v10, off, s[0:3], 0 offset:280
.LBB28_83:
	s_or_b64 exec, exec, s[6:7]
	v_accvgpr_read_b32 v1, a50
	s_waitcnt lgkmcnt(0)
	; wave barrier
	buffer_load_dword v2, v1, s[0:3], 0 offen
	buffer_load_dword v3, v1, s[0:3], 0 offen offset:4
	buffer_load_dword v4, v1, s[0:3], 0 offen offset:8
	buffer_load_dword v5, v1, s[0:3], 0 offen offset:12
	v_cmp_gt_u32_e32 vcc, 18, v219
	s_waitcnt vmcnt(0)
	ds_write_b128 v6, v[2:5]
	s_waitcnt lgkmcnt(0)
	; wave barrier
	s_waitcnt lgkmcnt(0)
	s_and_saveexec_b64 s[6:7], vcc
	s_cbranch_execz .LBB28_87
; %bb.84:
	v_pk_mov_b32 v[2:3], 0, 0
	v_add_u32_e32 v8, -1, v219
	v_add_u32_e32 v9, 0x1d0, v96
	v_add_u32_e32 v10, 0, v96
	s_mov_b64 s[8:9], 0
	v_pk_mov_b32 v[4:5], v[2:3], v[2:3] op_sel:[0,1]
.LBB28_85:                              ; =>This Inner Loop Header: Depth=1
	buffer_load_dword v16, v10, s[0:3], 0 offen offset:8
	buffer_load_dword v17, v10, s[0:3], 0 offen offset:12
	buffer_load_dword v18, v10, s[0:3], 0 offen
	buffer_load_dword v19, v10, s[0:3], 0 offen offset:4
	ds_read_b128 v[12:15], v9
	v_add_u32_e32 v8, 1, v8
	v_cmp_lt_u32_e32 vcc, 16, v8
	v_add_u32_e32 v9, 16, v9
	v_add_u32_e32 v10, 16, v10
	s_or_b64 s[8:9], vcc, s[8:9]
	s_waitcnt vmcnt(2) lgkmcnt(0)
	v_mul_f64 v[20:21], v[14:15], v[16:17]
	v_mul_f64 v[16:17], v[12:13], v[16:17]
	s_waitcnt vmcnt(0)
	v_fma_f64 v[12:13], v[12:13], v[18:19], -v[20:21]
	v_fmac_f64_e32 v[16:17], v[14:15], v[18:19]
	v_add_f64 v[4:5], v[4:5], v[12:13]
	v_add_f64 v[2:3], v[2:3], v[16:17]
	s_andn2_b64 exec, exec, s[8:9]
	s_cbranch_execnz .LBB28_85
; %bb.86:
	s_or_b64 exec, exec, s[8:9]
	v_mov_b32_e32 v1, 0
	ds_read_b128 v[8:11], v1 offset:288
	s_waitcnt lgkmcnt(0)
	v_mul_f64 v[12:13], v[2:3], v[10:11]
	v_mul_f64 v[10:11], v[4:5], v[10:11]
	v_fma_f64 v[4:5], v[4:5], v[8:9], -v[12:13]
	v_fmac_f64_e32 v[10:11], v[2:3], v[8:9]
	buffer_store_dword v5, off, s[0:3], 0 offset:292
	buffer_store_dword v4, off, s[0:3], 0 offset:288
	buffer_store_dword v11, off, s[0:3], 0 offset:300
	buffer_store_dword v10, off, s[0:3], 0 offset:296
.LBB28_87:
	s_or_b64 exec, exec, s[6:7]
	v_accvgpr_read_b32 v1, a49
	s_waitcnt lgkmcnt(0)
	; wave barrier
	buffer_load_dword v2, v1, s[0:3], 0 offen
	buffer_load_dword v3, v1, s[0:3], 0 offen offset:4
	buffer_load_dword v4, v1, s[0:3], 0 offen offset:8
	buffer_load_dword v5, v1, s[0:3], 0 offen offset:12
	v_cmp_gt_u32_e32 vcc, 19, v219
	s_waitcnt vmcnt(0)
	ds_write_b128 v6, v[2:5]
	s_waitcnt lgkmcnt(0)
	; wave barrier
	s_waitcnt lgkmcnt(0)
	s_and_saveexec_b64 s[6:7], vcc
	s_cbranch_execz .LBB28_91
; %bb.88:
	v_pk_mov_b32 v[2:3], 0, 0
	v_add_u32_e32 v8, -1, v219
	v_add_u32_e32 v9, 0x1d0, v96
	v_add_u32_e32 v10, 0, v96
	s_mov_b64 s[8:9], 0
	v_pk_mov_b32 v[4:5], v[2:3], v[2:3] op_sel:[0,1]
.LBB28_89:                              ; =>This Inner Loop Header: Depth=1
	buffer_load_dword v16, v10, s[0:3], 0 offen offset:8
	buffer_load_dword v17, v10, s[0:3], 0 offen offset:12
	buffer_load_dword v18, v10, s[0:3], 0 offen
	buffer_load_dword v19, v10, s[0:3], 0 offen offset:4
	ds_read_b128 v[12:15], v9
	v_add_u32_e32 v8, 1, v8
	v_cmp_lt_u32_e32 vcc, 17, v8
	v_add_u32_e32 v9, 16, v9
	v_add_u32_e32 v10, 16, v10
	s_or_b64 s[8:9], vcc, s[8:9]
	s_waitcnt vmcnt(2) lgkmcnt(0)
	v_mul_f64 v[20:21], v[14:15], v[16:17]
	v_mul_f64 v[16:17], v[12:13], v[16:17]
	s_waitcnt vmcnt(0)
	v_fma_f64 v[12:13], v[12:13], v[18:19], -v[20:21]
	v_fmac_f64_e32 v[16:17], v[14:15], v[18:19]
	v_add_f64 v[4:5], v[4:5], v[12:13]
	v_add_f64 v[2:3], v[2:3], v[16:17]
	s_andn2_b64 exec, exec, s[8:9]
	s_cbranch_execnz .LBB28_89
; %bb.90:
	s_or_b64 exec, exec, s[8:9]
	v_mov_b32_e32 v1, 0
	ds_read_b128 v[8:11], v1 offset:304
	s_waitcnt lgkmcnt(0)
	v_mul_f64 v[12:13], v[2:3], v[10:11]
	v_mul_f64 v[10:11], v[4:5], v[10:11]
	v_fma_f64 v[4:5], v[4:5], v[8:9], -v[12:13]
	v_fmac_f64_e32 v[10:11], v[2:3], v[8:9]
	buffer_store_dword v5, off, s[0:3], 0 offset:308
	buffer_store_dword v4, off, s[0:3], 0 offset:304
	buffer_store_dword v11, off, s[0:3], 0 offset:316
	buffer_store_dword v10, off, s[0:3], 0 offset:312
.LBB28_91:
	s_or_b64 exec, exec, s[6:7]
	v_accvgpr_read_b32 v1, a48
	s_waitcnt lgkmcnt(0)
	; wave barrier
	buffer_load_dword v2, v1, s[0:3], 0 offen
	buffer_load_dword v3, v1, s[0:3], 0 offen offset:4
	buffer_load_dword v4, v1, s[0:3], 0 offen offset:8
	buffer_load_dword v5, v1, s[0:3], 0 offen offset:12
	v_cmp_gt_u32_e32 vcc, 20, v219
	s_waitcnt vmcnt(0)
	ds_write_b128 v6, v[2:5]
	s_waitcnt lgkmcnt(0)
	; wave barrier
	s_waitcnt lgkmcnt(0)
	s_and_saveexec_b64 s[6:7], vcc
	s_cbranch_execz .LBB28_95
; %bb.92:
	v_pk_mov_b32 v[2:3], 0, 0
	v_add_u32_e32 v8, -1, v219
	v_add_u32_e32 v9, 0x1d0, v96
	v_add_u32_e32 v10, 0, v96
	s_mov_b64 s[8:9], 0
	v_pk_mov_b32 v[4:5], v[2:3], v[2:3] op_sel:[0,1]
.LBB28_93:                              ; =>This Inner Loop Header: Depth=1
	buffer_load_dword v16, v10, s[0:3], 0 offen offset:8
	buffer_load_dword v17, v10, s[0:3], 0 offen offset:12
	buffer_load_dword v18, v10, s[0:3], 0 offen
	buffer_load_dword v19, v10, s[0:3], 0 offen offset:4
	ds_read_b128 v[12:15], v9
	v_add_u32_e32 v8, 1, v8
	v_cmp_lt_u32_e32 vcc, 18, v8
	v_add_u32_e32 v9, 16, v9
	v_add_u32_e32 v10, 16, v10
	s_or_b64 s[8:9], vcc, s[8:9]
	s_waitcnt vmcnt(2) lgkmcnt(0)
	v_mul_f64 v[20:21], v[14:15], v[16:17]
	v_mul_f64 v[16:17], v[12:13], v[16:17]
	s_waitcnt vmcnt(0)
	v_fma_f64 v[12:13], v[12:13], v[18:19], -v[20:21]
	v_fmac_f64_e32 v[16:17], v[14:15], v[18:19]
	v_add_f64 v[4:5], v[4:5], v[12:13]
	v_add_f64 v[2:3], v[2:3], v[16:17]
	s_andn2_b64 exec, exec, s[8:9]
	s_cbranch_execnz .LBB28_93
; %bb.94:
	s_or_b64 exec, exec, s[8:9]
	v_mov_b32_e32 v1, 0
	ds_read_b128 v[8:11], v1 offset:320
	s_waitcnt lgkmcnt(0)
	v_mul_f64 v[12:13], v[2:3], v[10:11]
	v_mul_f64 v[10:11], v[4:5], v[10:11]
	v_fma_f64 v[4:5], v[4:5], v[8:9], -v[12:13]
	v_fmac_f64_e32 v[10:11], v[2:3], v[8:9]
	buffer_store_dword v5, off, s[0:3], 0 offset:324
	buffer_store_dword v4, off, s[0:3], 0 offset:320
	buffer_store_dword v11, off, s[0:3], 0 offset:332
	buffer_store_dword v10, off, s[0:3], 0 offset:328
.LBB28_95:
	s_or_b64 exec, exec, s[6:7]
	v_accvgpr_read_b32 v1, a47
	s_waitcnt lgkmcnt(0)
	; wave barrier
	buffer_load_dword v2, v1, s[0:3], 0 offen
	buffer_load_dword v3, v1, s[0:3], 0 offen offset:4
	buffer_load_dword v4, v1, s[0:3], 0 offen offset:8
	buffer_load_dword v5, v1, s[0:3], 0 offen offset:12
	v_cmp_gt_u32_e32 vcc, 21, v219
	s_waitcnt vmcnt(0)
	ds_write_b128 v6, v[2:5]
	s_waitcnt lgkmcnt(0)
	; wave barrier
	s_waitcnt lgkmcnt(0)
	s_and_saveexec_b64 s[6:7], vcc
	s_cbranch_execz .LBB28_99
; %bb.96:
	v_pk_mov_b32 v[2:3], 0, 0
	v_add_u32_e32 v8, -1, v219
	v_add_u32_e32 v9, 0x1d0, v96
	v_add_u32_e32 v10, 0, v96
	s_mov_b64 s[8:9], 0
	v_pk_mov_b32 v[4:5], v[2:3], v[2:3] op_sel:[0,1]
.LBB28_97:                              ; =>This Inner Loop Header: Depth=1
	buffer_load_dword v16, v10, s[0:3], 0 offen offset:8
	buffer_load_dword v17, v10, s[0:3], 0 offen offset:12
	buffer_load_dword v18, v10, s[0:3], 0 offen
	buffer_load_dword v19, v10, s[0:3], 0 offen offset:4
	ds_read_b128 v[12:15], v9
	v_add_u32_e32 v8, 1, v8
	v_cmp_lt_u32_e32 vcc, 19, v8
	v_add_u32_e32 v9, 16, v9
	v_add_u32_e32 v10, 16, v10
	s_or_b64 s[8:9], vcc, s[8:9]
	s_waitcnt vmcnt(2) lgkmcnt(0)
	v_mul_f64 v[20:21], v[14:15], v[16:17]
	v_mul_f64 v[16:17], v[12:13], v[16:17]
	s_waitcnt vmcnt(0)
	v_fma_f64 v[12:13], v[12:13], v[18:19], -v[20:21]
	v_fmac_f64_e32 v[16:17], v[14:15], v[18:19]
	v_add_f64 v[4:5], v[4:5], v[12:13]
	v_add_f64 v[2:3], v[2:3], v[16:17]
	s_andn2_b64 exec, exec, s[8:9]
	s_cbranch_execnz .LBB28_97
; %bb.98:
	s_or_b64 exec, exec, s[8:9]
	v_mov_b32_e32 v1, 0
	ds_read_b128 v[8:11], v1 offset:336
	s_waitcnt lgkmcnt(0)
	v_mul_f64 v[12:13], v[2:3], v[10:11]
	v_mul_f64 v[10:11], v[4:5], v[10:11]
	v_fma_f64 v[4:5], v[4:5], v[8:9], -v[12:13]
	v_fmac_f64_e32 v[10:11], v[2:3], v[8:9]
	buffer_store_dword v5, off, s[0:3], 0 offset:340
	buffer_store_dword v4, off, s[0:3], 0 offset:336
	buffer_store_dword v11, off, s[0:3], 0 offset:348
	buffer_store_dword v10, off, s[0:3], 0 offset:344
.LBB28_99:
	s_or_b64 exec, exec, s[6:7]
	v_accvgpr_read_b32 v1, a46
	s_waitcnt lgkmcnt(0)
	; wave barrier
	buffer_load_dword v2, v1, s[0:3], 0 offen
	buffer_load_dword v3, v1, s[0:3], 0 offen offset:4
	buffer_load_dword v4, v1, s[0:3], 0 offen offset:8
	buffer_load_dword v5, v1, s[0:3], 0 offen offset:12
	v_cmp_gt_u32_e32 vcc, 22, v219
	s_waitcnt vmcnt(0)
	ds_write_b128 v6, v[2:5]
	s_waitcnt lgkmcnt(0)
	; wave barrier
	s_waitcnt lgkmcnt(0)
	s_and_saveexec_b64 s[6:7], vcc
	s_cbranch_execz .LBB28_103
; %bb.100:
	v_pk_mov_b32 v[2:3], 0, 0
	v_add_u32_e32 v8, -1, v219
	v_add_u32_e32 v9, 0x1d0, v96
	v_add_u32_e32 v10, 0, v96
	s_mov_b64 s[8:9], 0
	v_pk_mov_b32 v[4:5], v[2:3], v[2:3] op_sel:[0,1]
.LBB28_101:                             ; =>This Inner Loop Header: Depth=1
	buffer_load_dword v16, v10, s[0:3], 0 offen offset:8
	buffer_load_dword v17, v10, s[0:3], 0 offen offset:12
	buffer_load_dword v18, v10, s[0:3], 0 offen
	buffer_load_dword v19, v10, s[0:3], 0 offen offset:4
	ds_read_b128 v[12:15], v9
	v_add_u32_e32 v8, 1, v8
	v_cmp_lt_u32_e32 vcc, 20, v8
	v_add_u32_e32 v9, 16, v9
	v_add_u32_e32 v10, 16, v10
	s_or_b64 s[8:9], vcc, s[8:9]
	s_waitcnt vmcnt(2) lgkmcnt(0)
	v_mul_f64 v[20:21], v[14:15], v[16:17]
	v_mul_f64 v[16:17], v[12:13], v[16:17]
	s_waitcnt vmcnt(0)
	v_fma_f64 v[12:13], v[12:13], v[18:19], -v[20:21]
	v_fmac_f64_e32 v[16:17], v[14:15], v[18:19]
	v_add_f64 v[4:5], v[4:5], v[12:13]
	v_add_f64 v[2:3], v[2:3], v[16:17]
	s_andn2_b64 exec, exec, s[8:9]
	s_cbranch_execnz .LBB28_101
; %bb.102:
	s_or_b64 exec, exec, s[8:9]
	v_mov_b32_e32 v1, 0
	ds_read_b128 v[8:11], v1 offset:352
	s_waitcnt lgkmcnt(0)
	v_mul_f64 v[12:13], v[2:3], v[10:11]
	v_mul_f64 v[10:11], v[4:5], v[10:11]
	v_fma_f64 v[4:5], v[4:5], v[8:9], -v[12:13]
	v_fmac_f64_e32 v[10:11], v[2:3], v[8:9]
	buffer_store_dword v5, off, s[0:3], 0 offset:356
	buffer_store_dword v4, off, s[0:3], 0 offset:352
	buffer_store_dword v11, off, s[0:3], 0 offset:364
	buffer_store_dword v10, off, s[0:3], 0 offset:360
.LBB28_103:
	s_or_b64 exec, exec, s[6:7]
	v_accvgpr_read_b32 v1, a45
	s_waitcnt lgkmcnt(0)
	; wave barrier
	buffer_load_dword v2, v1, s[0:3], 0 offen
	buffer_load_dword v3, v1, s[0:3], 0 offen offset:4
	buffer_load_dword v4, v1, s[0:3], 0 offen offset:8
	buffer_load_dword v5, v1, s[0:3], 0 offen offset:12
	v_cmp_gt_u32_e32 vcc, 23, v219
	s_waitcnt vmcnt(0)
	ds_write_b128 v6, v[2:5]
	s_waitcnt lgkmcnt(0)
	; wave barrier
	s_waitcnt lgkmcnt(0)
	s_and_saveexec_b64 s[6:7], vcc
	s_cbranch_execz .LBB28_107
; %bb.104:
	v_pk_mov_b32 v[2:3], 0, 0
	v_add_u32_e32 v8, -1, v219
	v_add_u32_e32 v9, 0x1d0, v96
	v_add_u32_e32 v10, 0, v96
	s_mov_b64 s[8:9], 0
	v_pk_mov_b32 v[4:5], v[2:3], v[2:3] op_sel:[0,1]
.LBB28_105:                             ; =>This Inner Loop Header: Depth=1
	buffer_load_dword v16, v10, s[0:3], 0 offen offset:8
	buffer_load_dword v17, v10, s[0:3], 0 offen offset:12
	buffer_load_dword v18, v10, s[0:3], 0 offen
	buffer_load_dword v19, v10, s[0:3], 0 offen offset:4
	ds_read_b128 v[12:15], v9
	v_add_u32_e32 v8, 1, v8
	v_cmp_lt_u32_e32 vcc, 21, v8
	v_add_u32_e32 v9, 16, v9
	v_add_u32_e32 v10, 16, v10
	s_or_b64 s[8:9], vcc, s[8:9]
	s_waitcnt vmcnt(2) lgkmcnt(0)
	v_mul_f64 v[20:21], v[14:15], v[16:17]
	v_mul_f64 v[16:17], v[12:13], v[16:17]
	s_waitcnt vmcnt(0)
	v_fma_f64 v[12:13], v[12:13], v[18:19], -v[20:21]
	v_fmac_f64_e32 v[16:17], v[14:15], v[18:19]
	v_add_f64 v[4:5], v[4:5], v[12:13]
	v_add_f64 v[2:3], v[2:3], v[16:17]
	s_andn2_b64 exec, exec, s[8:9]
	s_cbranch_execnz .LBB28_105
; %bb.106:
	s_or_b64 exec, exec, s[8:9]
	v_mov_b32_e32 v1, 0
	ds_read_b128 v[8:11], v1 offset:368
	s_waitcnt lgkmcnt(0)
	v_mul_f64 v[12:13], v[2:3], v[10:11]
	v_mul_f64 v[10:11], v[4:5], v[10:11]
	v_fma_f64 v[4:5], v[4:5], v[8:9], -v[12:13]
	v_fmac_f64_e32 v[10:11], v[2:3], v[8:9]
	buffer_store_dword v5, off, s[0:3], 0 offset:372
	buffer_store_dword v4, off, s[0:3], 0 offset:368
	buffer_store_dword v11, off, s[0:3], 0 offset:380
	buffer_store_dword v10, off, s[0:3], 0 offset:376
.LBB28_107:
	s_or_b64 exec, exec, s[6:7]
	v_accvgpr_read_b32 v1, a44
	s_waitcnt lgkmcnt(0)
	; wave barrier
	buffer_load_dword v2, v1, s[0:3], 0 offen
	buffer_load_dword v3, v1, s[0:3], 0 offen offset:4
	buffer_load_dword v4, v1, s[0:3], 0 offen offset:8
	buffer_load_dword v5, v1, s[0:3], 0 offen offset:12
	v_cmp_gt_u32_e32 vcc, 24, v219
	;; [unrolled: 58-line block ×5, first 2 shown]
	s_waitcnt vmcnt(0)
	ds_write_b128 v6, v[2:5]
	s_waitcnt lgkmcnt(0)
	; wave barrier
	s_waitcnt lgkmcnt(0)
	s_and_saveexec_b64 s[6:7], vcc
	s_cbranch_execz .LBB28_123
; %bb.120:
	v_pk_mov_b32 v[2:3], 0, 0
	v_add_u32_e32 v8, -1, v219
	v_add_u32_e32 v9, 0x1d0, v96
	v_add_u32_e32 v10, 0, v96
	s_mov_b64 s[8:9], 0
	v_pk_mov_b32 v[4:5], v[2:3], v[2:3] op_sel:[0,1]
.LBB28_121:                             ; =>This Inner Loop Header: Depth=1
	buffer_load_dword v16, v10, s[0:3], 0 offen offset:8
	buffer_load_dword v17, v10, s[0:3], 0 offen offset:12
	buffer_load_dword v18, v10, s[0:3], 0 offen
	buffer_load_dword v19, v10, s[0:3], 0 offen offset:4
	ds_read_b128 v[12:15], v9
	v_add_u32_e32 v8, 1, v8
	v_cmp_lt_u32_e32 vcc, 25, v8
	v_add_u32_e32 v9, 16, v9
	v_add_u32_e32 v10, 16, v10
	s_or_b64 s[8:9], vcc, s[8:9]
	s_waitcnt vmcnt(2) lgkmcnt(0)
	v_mul_f64 v[20:21], v[14:15], v[16:17]
	v_mul_f64 v[16:17], v[12:13], v[16:17]
	s_waitcnt vmcnt(0)
	v_fma_f64 v[12:13], v[12:13], v[18:19], -v[20:21]
	v_fmac_f64_e32 v[16:17], v[14:15], v[18:19]
	v_add_f64 v[4:5], v[4:5], v[12:13]
	v_add_f64 v[2:3], v[2:3], v[16:17]
	s_andn2_b64 exec, exec, s[8:9]
	s_cbranch_execnz .LBB28_121
; %bb.122:
	s_or_b64 exec, exec, s[8:9]
	v_mov_b32_e32 v1, 0
	ds_read_b128 v[8:11], v1 offset:432
	s_waitcnt lgkmcnt(0)
	v_mul_f64 v[12:13], v[2:3], v[10:11]
	v_mul_f64 v[10:11], v[4:5], v[10:11]
	v_fma_f64 v[4:5], v[4:5], v[8:9], -v[12:13]
	v_fmac_f64_e32 v[10:11], v[2:3], v[8:9]
	buffer_store_dword v5, off, s[0:3], 0 offset:436
	buffer_store_dword v4, off, s[0:3], 0 offset:432
	buffer_store_dword v11, off, s[0:3], 0 offset:444
	buffer_store_dword v10, off, s[0:3], 0 offset:440
.LBB28_123:
	s_or_b64 exec, exec, s[6:7]
	v_accvgpr_read_b32 v1, a40
	s_waitcnt lgkmcnt(0)
	; wave barrier
	buffer_load_dword v2, v1, s[0:3], 0 offen
	buffer_load_dword v3, v1, s[0:3], 0 offen offset:4
	buffer_load_dword v4, v1, s[0:3], 0 offen offset:8
	;; [unrolled: 1-line block ×3, first 2 shown]
	v_cmp_ne_u32_e32 vcc, 28, v219
	s_waitcnt vmcnt(0)
	ds_write_b128 v6, v[2:5]
	s_waitcnt lgkmcnt(0)
	; wave barrier
	s_waitcnt lgkmcnt(0)
	s_and_saveexec_b64 s[6:7], vcc
	s_cbranch_execz .LBB28_127
; %bb.124:
	v_pk_mov_b32 v[2:3], 0, 0
	v_add_u32_e32 v6, 0x1d0, v96
	v_add_u32_e32 v8, 0, v96
	s_mov_b64 s[8:9], 0
	v_pk_mov_b32 v[4:5], v[2:3], v[2:3] op_sel:[0,1]
.LBB28_125:                             ; =>This Inner Loop Header: Depth=1
	buffer_load_dword v14, v8, s[0:3], 0 offen offset:8
	buffer_load_dword v15, v8, s[0:3], 0 offen offset:12
	buffer_load_dword v16, v8, s[0:3], 0 offen
	buffer_load_dword v17, v8, s[0:3], 0 offen offset:4
	ds_read_b128 v[10:13], v6
	v_add_u32_e32 v7, 1, v7
	v_cmp_lt_u32_e32 vcc, 26, v7
	v_add_u32_e32 v6, 16, v6
	v_add_u32_e32 v8, 16, v8
	s_or_b64 s[8:9], vcc, s[8:9]
	s_waitcnt vmcnt(2) lgkmcnt(0)
	v_mul_f64 v[18:19], v[12:13], v[14:15]
	v_mul_f64 v[14:15], v[10:11], v[14:15]
	s_waitcnt vmcnt(0)
	v_fma_f64 v[10:11], v[10:11], v[16:17], -v[18:19]
	v_fmac_f64_e32 v[14:15], v[12:13], v[16:17]
	v_add_f64 v[4:5], v[4:5], v[10:11]
	v_add_f64 v[2:3], v[2:3], v[14:15]
	s_andn2_b64 exec, exec, s[8:9]
	s_cbranch_execnz .LBB28_125
; %bb.126:
	s_or_b64 exec, exec, s[8:9]
	v_mov_b32_e32 v1, 0
	ds_read_b128 v[6:9], v1 offset:448
	s_waitcnt lgkmcnt(0)
	v_mul_f64 v[10:11], v[2:3], v[8:9]
	v_mul_f64 v[8:9], v[4:5], v[8:9]
	v_fma_f64 v[4:5], v[4:5], v[6:7], -v[10:11]
	v_fmac_f64_e32 v[8:9], v[2:3], v[6:7]
	buffer_store_dword v5, off, s[0:3], 0 offset:452
	buffer_store_dword v4, off, s[0:3], 0 offset:448
	;; [unrolled: 1-line block ×4, first 2 shown]
.LBB28_127:
	s_or_b64 exec, exec, s[6:7]
	s_mov_b64 s[8:9], -1
	s_waitcnt lgkmcnt(0)
	; wave barrier
.LBB28_128:
	s_and_b64 vcc, exec, s[8:9]
	s_cbranch_vccz .LBB28_130
; %bb.129:
	s_lshl_b64 s[6:7], s[10:11], 2
	s_add_u32 s6, s14, s6
	s_addc_u32 s7, s15, s7
	v_mov_b32_e32 v1, 0
	global_load_dword v1, v1, s[6:7]
	s_waitcnt vmcnt(0)
	v_cmp_ne_u32_e32 vcc, 0, v1
	s_cbranch_vccz .LBB28_131
.LBB28_130:
	s_endpgm
.LBB28_131:
	v_mov_b32_e32 v1, 0x1d0
	v_lshl_add_u32 v1, v219, 4, v1
	v_cmp_eq_u32_e32 vcc, 28, v219
	s_and_saveexec_b64 s[6:7], vcc
	s_cbranch_execz .LBB28_133
; %bb.132:
	v_accvgpr_read_b32 v5, a41
	buffer_load_dword v2, v5, s[0:3], 0 offen
	buffer_load_dword v3, v5, s[0:3], 0 offen offset:4
	buffer_load_dword v4, v5, s[0:3], 0 offen offset:8
	s_nop 0
	buffer_load_dword v5, v5, s[0:3], 0 offen offset:12
	v_mov_b32_e32 v6, 0
	buffer_store_dword v6, off, s[0:3], 0 offset:432
	buffer_store_dword v6, off, s[0:3], 0 offset:436
	;; [unrolled: 1-line block ×4, first 2 shown]
	s_waitcnt vmcnt(4)
	ds_write_b128 v1, v[2:5]
.LBB28_133:
	s_or_b64 exec, exec, s[6:7]
	s_waitcnt lgkmcnt(0)
	; wave barrier
	s_waitcnt lgkmcnt(0)
	buffer_load_dword v8, off, s[0:3], 0 offset:456
	buffer_load_dword v9, off, s[0:3], 0 offset:460
	;; [unrolled: 1-line block ×8, first 2 shown]
	v_mov_b32_e32 v2, 0
	ds_read_b128 v[4:7], v2 offset:912
	v_cmp_lt_u32_e32 vcc, 26, v219
	s_waitcnt vmcnt(6) lgkmcnt(0)
	v_mul_f64 v[16:17], v[4:5], v[8:9]
	v_mul_f64 v[8:9], v[6:7], v[8:9]
	s_waitcnt vmcnt(4)
	v_fma_f64 v[4:5], v[4:5], v[10:11], -v[8:9]
	v_fmac_f64_e32 v[16:17], v[6:7], v[10:11]
	v_add_f64 v[4:5], v[4:5], 0
	v_add_f64 v[6:7], v[16:17], 0
	s_waitcnt vmcnt(2)
	v_add_f64 v[4:5], v[12:13], -v[4:5]
	s_waitcnt vmcnt(0)
	v_add_f64 v[6:7], v[14:15], -v[6:7]
	buffer_store_dword v4, off, s[0:3], 0 offset:432
	buffer_store_dword v5, off, s[0:3], 0 offset:436
	;; [unrolled: 1-line block ×4, first 2 shown]
	s_and_saveexec_b64 s[6:7], vcc
	s_cbranch_execz .LBB28_135
; %bb.134:
	v_accvgpr_read_b32 v3, a42
	buffer_load_dword v4, v3, s[0:3], 0 offen
	buffer_load_dword v5, v3, s[0:3], 0 offen offset:4
	buffer_load_dword v6, v3, s[0:3], 0 offen offset:8
	;; [unrolled: 1-line block ×3, first 2 shown]
	s_nop 0
	buffer_store_dword v2, off, s[0:3], 0 offset:416
	buffer_store_dword v2, off, s[0:3], 0 offset:420
	;; [unrolled: 1-line block ×4, first 2 shown]
	s_waitcnt vmcnt(4)
	ds_write_b128 v1, v[4:7]
.LBB28_135:
	s_or_b64 exec, exec, s[6:7]
	s_waitcnt lgkmcnt(0)
	; wave barrier
	s_waitcnt lgkmcnt(0)
	buffer_load_dword v12, off, s[0:3], 0 offset:440
	buffer_load_dword v13, off, s[0:3], 0 offset:444
	;; [unrolled: 1-line block ×12, first 2 shown]
	ds_read_b128 v[4:7], v2 offset:896
	ds_read_b128 v[8:11], v2 offset:912
	v_cmp_lt_u32_e32 vcc, 25, v219
	s_waitcnt vmcnt(10) lgkmcnt(1)
	v_mul_f64 v[2:3], v[4:5], v[12:13]
	v_mul_f64 v[12:13], v[6:7], v[12:13]
	s_waitcnt vmcnt(8) lgkmcnt(0)
	v_mul_f64 v[24:25], v[8:9], v[14:15]
	v_mul_f64 v[14:15], v[10:11], v[14:15]
	s_waitcnt vmcnt(6)
	v_fma_f64 v[4:5], v[4:5], v[16:17], -v[12:13]
	v_fmac_f64_e32 v[2:3], v[6:7], v[16:17]
	s_waitcnt vmcnt(4)
	v_fma_f64 v[6:7], v[8:9], v[18:19], -v[14:15]
	v_add_f64 v[4:5], v[4:5], 0
	v_fmac_f64_e32 v[24:25], v[10:11], v[18:19]
	v_add_f64 v[2:3], v[2:3], 0
	v_add_f64 v[4:5], v[4:5], v[6:7]
	;; [unrolled: 1-line block ×3, first 2 shown]
	s_waitcnt vmcnt(2)
	v_add_f64 v[4:5], v[20:21], -v[4:5]
	s_waitcnt vmcnt(0)
	v_add_f64 v[2:3], v[22:23], -v[2:3]
	buffer_store_dword v4, off, s[0:3], 0 offset:416
	buffer_store_dword v5, off, s[0:3], 0 offset:420
	;; [unrolled: 1-line block ×4, first 2 shown]
	s_and_saveexec_b64 s[6:7], vcc
	s_cbranch_execz .LBB28_137
; %bb.136:
	v_accvgpr_read_b32 v5, a43
	buffer_load_dword v2, v5, s[0:3], 0 offen
	buffer_load_dword v3, v5, s[0:3], 0 offen offset:4
	buffer_load_dword v4, v5, s[0:3], 0 offen offset:8
	s_nop 0
	buffer_load_dword v5, v5, s[0:3], 0 offen offset:12
	v_mov_b32_e32 v6, 0
	buffer_store_dword v6, off, s[0:3], 0 offset:400
	buffer_store_dword v6, off, s[0:3], 0 offset:404
	;; [unrolled: 1-line block ×4, first 2 shown]
	s_waitcnt vmcnt(4)
	ds_write_b128 v1, v[2:5]
.LBB28_137:
	s_or_b64 exec, exec, s[6:7]
	s_waitcnt lgkmcnt(0)
	; wave barrier
	s_waitcnt lgkmcnt(0)
	buffer_load_dword v16, off, s[0:3], 0 offset:424
	buffer_load_dword v17, off, s[0:3], 0 offset:428
	;; [unrolled: 1-line block ×16, first 2 shown]
	v_mov_b32_e32 v2, 0
	ds_read_b128 v[4:7], v2 offset:880
	ds_read_b128 v[8:11], v2 offset:896
	;; [unrolled: 1-line block ×3, first 2 shown]
	v_cmp_lt_u32_e32 vcc, 24, v219
	s_waitcnt vmcnt(14) lgkmcnt(2)
	v_mul_f64 v[32:33], v[4:5], v[16:17]
	v_mul_f64 v[16:17], v[6:7], v[16:17]
	s_waitcnt vmcnt(12) lgkmcnt(1)
	v_mul_f64 v[34:35], v[8:9], v[18:19]
	v_mul_f64 v[18:19], v[10:11], v[18:19]
	;; [unrolled: 3-line block ×3, first 2 shown]
	s_waitcnt vmcnt(8)
	v_fma_f64 v[4:5], v[4:5], v[22:23], -v[16:17]
	v_fmac_f64_e32 v[32:33], v[6:7], v[22:23]
	s_waitcnt vmcnt(6)
	v_fma_f64 v[6:7], v[8:9], v[24:25], -v[18:19]
	v_add_f64 v[4:5], v[4:5], 0
	v_fmac_f64_e32 v[34:35], v[10:11], v[24:25]
	s_waitcnt vmcnt(4)
	v_fma_f64 v[8:9], v[12:13], v[26:27], -v[20:21]
	v_add_f64 v[10:11], v[32:33], 0
	v_add_f64 v[4:5], v[4:5], v[6:7]
	v_fmac_f64_e32 v[36:37], v[14:15], v[26:27]
	v_add_f64 v[10:11], v[10:11], v[34:35]
	v_add_f64 v[4:5], v[4:5], v[8:9]
	v_add_f64 v[6:7], v[10:11], v[36:37]
	s_waitcnt vmcnt(2)
	v_add_f64 v[4:5], v[28:29], -v[4:5]
	s_waitcnt vmcnt(0)
	v_add_f64 v[6:7], v[30:31], -v[6:7]
	buffer_store_dword v4, off, s[0:3], 0 offset:400
	buffer_store_dword v5, off, s[0:3], 0 offset:404
	;; [unrolled: 1-line block ×4, first 2 shown]
	s_and_saveexec_b64 s[6:7], vcc
	s_cbranch_execz .LBB28_139
; %bb.138:
	v_accvgpr_read_b32 v3, a44
	buffer_load_dword v4, v3, s[0:3], 0 offen
	buffer_load_dword v5, v3, s[0:3], 0 offen offset:4
	buffer_load_dword v6, v3, s[0:3], 0 offen offset:8
	;; [unrolled: 1-line block ×3, first 2 shown]
	s_nop 0
	buffer_store_dword v2, off, s[0:3], 0 offset:384
	buffer_store_dword v2, off, s[0:3], 0 offset:388
	;; [unrolled: 1-line block ×4, first 2 shown]
	s_waitcnt vmcnt(4)
	ds_write_b128 v1, v[4:7]
.LBB28_139:
	s_or_b64 exec, exec, s[6:7]
	s_waitcnt lgkmcnt(0)
	; wave barrier
	s_waitcnt lgkmcnt(0)
	buffer_load_dword v20, off, s[0:3], 0 offset:408
	buffer_load_dword v21, off, s[0:3], 0 offset:412
	;; [unrolled: 1-line block ×20, first 2 shown]
	ds_read_b128 v[4:7], v2 offset:864
	ds_read_b128 v[8:11], v2 offset:880
	;; [unrolled: 1-line block ×4, first 2 shown]
	v_cmp_lt_u32_e32 vcc, 23, v219
	s_waitcnt vmcnt(18) lgkmcnt(3)
	v_mul_f64 v[2:3], v[4:5], v[20:21]
	v_mul_f64 v[20:21], v[6:7], v[20:21]
	s_waitcnt vmcnt(16) lgkmcnt(2)
	v_mul_f64 v[42:43], v[8:9], v[22:23]
	v_mul_f64 v[22:23], v[10:11], v[22:23]
	;; [unrolled: 3-line block ×4, first 2 shown]
	s_waitcnt vmcnt(10)
	v_fma_f64 v[4:5], v[4:5], v[28:29], -v[20:21]
	v_fmac_f64_e32 v[2:3], v[6:7], v[28:29]
	s_waitcnt vmcnt(8)
	v_fma_f64 v[6:7], v[8:9], v[30:31], -v[22:23]
	v_add_f64 v[4:5], v[4:5], 0
	v_fmac_f64_e32 v[42:43], v[10:11], v[30:31]
	s_waitcnt vmcnt(6)
	v_fma_f64 v[8:9], v[12:13], v[32:33], -v[24:25]
	v_add_f64 v[2:3], v[2:3], 0
	v_add_f64 v[4:5], v[4:5], v[6:7]
	v_fmac_f64_e32 v[44:45], v[14:15], v[32:33]
	s_waitcnt vmcnt(4)
	v_fma_f64 v[10:11], v[16:17], v[34:35], -v[26:27]
	v_add_f64 v[2:3], v[2:3], v[42:43]
	v_add_f64 v[4:5], v[4:5], v[8:9]
	v_fmac_f64_e32 v[46:47], v[18:19], v[34:35]
	v_add_f64 v[2:3], v[2:3], v[44:45]
	v_add_f64 v[4:5], v[4:5], v[10:11]
	;; [unrolled: 1-line block ×3, first 2 shown]
	s_waitcnt vmcnt(2)
	v_add_f64 v[4:5], v[36:37], -v[4:5]
	s_waitcnt vmcnt(0)
	v_add_f64 v[2:3], v[40:41], -v[2:3]
	buffer_store_dword v4, off, s[0:3], 0 offset:384
	buffer_store_dword v5, off, s[0:3], 0 offset:388
	;; [unrolled: 1-line block ×4, first 2 shown]
	s_and_saveexec_b64 s[6:7], vcc
	s_cbranch_execz .LBB28_141
; %bb.140:
	v_accvgpr_read_b32 v5, a45
	buffer_load_dword v2, v5, s[0:3], 0 offen
	buffer_load_dword v3, v5, s[0:3], 0 offen offset:4
	buffer_load_dword v4, v5, s[0:3], 0 offen offset:8
	s_nop 0
	buffer_load_dword v5, v5, s[0:3], 0 offen offset:12
	v_mov_b32_e32 v6, 0
	buffer_store_dword v6, off, s[0:3], 0 offset:368
	buffer_store_dword v6, off, s[0:3], 0 offset:372
	buffer_store_dword v6, off, s[0:3], 0 offset:376
	buffer_store_dword v6, off, s[0:3], 0 offset:380
	s_waitcnt vmcnt(4)
	ds_write_b128 v1, v[2:5]
.LBB28_141:
	s_or_b64 exec, exec, s[6:7]
	s_waitcnt lgkmcnt(0)
	; wave barrier
	s_waitcnt lgkmcnt(0)
	buffer_load_dword v24, off, s[0:3], 0 offset:392
	buffer_load_dword v25, off, s[0:3], 0 offset:396
	;; [unrolled: 1-line block ×24, first 2 shown]
	v_mov_b32_e32 v2, 0
	ds_read_b128 v[4:7], v2 offset:848
	ds_read_b128 v[8:11], v2 offset:864
	;; [unrolled: 1-line block ×5, first 2 shown]
	v_cmp_lt_u32_e32 vcc, 22, v219
	s_waitcnt vmcnt(22) lgkmcnt(4)
	v_mul_f64 v[50:51], v[4:5], v[24:25]
	v_mul_f64 v[24:25], v[6:7], v[24:25]
	s_waitcnt vmcnt(20) lgkmcnt(3)
	v_mul_f64 v[52:53], v[8:9], v[26:27]
	v_mul_f64 v[26:27], v[10:11], v[26:27]
	;; [unrolled: 3-line block ×4, first 2 shown]
	s_waitcnt vmcnt(13) lgkmcnt(0)
	v_mul_f64 v[58:59], v[20:21], v[30:31]
	s_waitcnt vmcnt(11)
	v_fma_f64 v[4:5], v[4:5], v[36:37], -v[24:25]
	v_fmac_f64_e32 v[50:51], v[6:7], v[36:37]
	s_waitcnt vmcnt(9)
	v_fma_f64 v[6:7], v[8:9], v[40:41], -v[26:27]
	v_add_f64 v[4:5], v[4:5], 0
	v_fmac_f64_e32 v[52:53], v[10:11], v[40:41]
	s_waitcnt vmcnt(7)
	v_fmac_f64_e32 v[54:55], v[14:15], v[42:43]
	v_fma_f64 v[8:9], v[12:13], v[42:43], -v[28:29]
	v_add_f64 v[14:15], v[50:51], 0
	v_add_f64 v[4:5], v[4:5], v[6:7]
	v_mul_f64 v[30:31], v[22:23], v[30:31]
	s_waitcnt vmcnt(5)
	v_fma_f64 v[10:11], v[16:17], v[44:45], -v[34:35]
	v_add_f64 v[14:15], v[14:15], v[52:53]
	v_add_f64 v[4:5], v[4:5], v[8:9]
	v_fmac_f64_e32 v[56:57], v[18:19], v[44:45]
	s_waitcnt vmcnt(4)
	v_fma_f64 v[12:13], v[20:21], v[32:33], -v[30:31]
	v_add_f64 v[6:7], v[14:15], v[54:55]
	v_add_f64 v[4:5], v[4:5], v[10:11]
	v_fmac_f64_e32 v[58:59], v[22:23], v[32:33]
	v_add_f64 v[6:7], v[6:7], v[56:57]
	v_add_f64 v[4:5], v[4:5], v[12:13]
	;; [unrolled: 1-line block ×3, first 2 shown]
	s_waitcnt vmcnt(2)
	v_add_f64 v[4:5], v[46:47], -v[4:5]
	s_waitcnt vmcnt(0)
	v_add_f64 v[6:7], v[48:49], -v[6:7]
	buffer_store_dword v5, off, s[0:3], 0 offset:372
	buffer_store_dword v4, off, s[0:3], 0 offset:368
	;; [unrolled: 1-line block ×4, first 2 shown]
	s_and_saveexec_b64 s[6:7], vcc
	s_cbranch_execz .LBB28_143
; %bb.142:
	v_accvgpr_read_b32 v3, a46
	buffer_load_dword v4, v3, s[0:3], 0 offen
	buffer_load_dword v5, v3, s[0:3], 0 offen offset:4
	buffer_load_dword v6, v3, s[0:3], 0 offen offset:8
	;; [unrolled: 1-line block ×3, first 2 shown]
	s_nop 0
	buffer_store_dword v2, off, s[0:3], 0 offset:352
	buffer_store_dword v2, off, s[0:3], 0 offset:356
	;; [unrolled: 1-line block ×4, first 2 shown]
	s_waitcnt vmcnt(4)
	ds_write_b128 v1, v[4:7]
.LBB28_143:
	s_or_b64 exec, exec, s[6:7]
	s_waitcnt lgkmcnt(0)
	; wave barrier
	s_waitcnt lgkmcnt(0)
	buffer_load_dword v28, off, s[0:3], 0 offset:376
	buffer_load_dword v29, off, s[0:3], 0 offset:380
	;; [unrolled: 1-line block ×28, first 2 shown]
	ds_read_b128 v[4:7], v2 offset:832
	ds_read_b128 v[8:11], v2 offset:848
	;; [unrolled: 1-line block ×6, first 2 shown]
	v_cmp_lt_u32_e32 vcc, 21, v219
	s_waitcnt vmcnt(26) lgkmcnt(5)
	v_mul_f64 v[2:3], v[4:5], v[28:29]
	v_mul_f64 v[28:29], v[6:7], v[28:29]
	s_waitcnt vmcnt(24) lgkmcnt(4)
	v_mul_f64 v[58:59], v[8:9], v[30:31]
	v_mul_f64 v[30:31], v[10:11], v[30:31]
	;; [unrolled: 3-line block ×4, first 2 shown]
	s_waitcnt vmcnt(17)
	v_mul_f64 v[98:99], v[16:17], v[40:41]
	v_mul_f64 v[40:41], v[18:19], v[40:41]
	s_waitcnt vmcnt(15) lgkmcnt(0)
	v_mul_f64 v[102:103], v[24:25], v[42:43]
	v_mul_f64 v[42:43], v[26:27], v[42:43]
	s_waitcnt vmcnt(14)
	v_fmac_f64_e32 v[100:101], v[22:23], v[36:37]
	s_waitcnt vmcnt(12)
	v_fma_f64 v[4:5], v[4:5], v[44:45], -v[28:29]
	v_fmac_f64_e32 v[2:3], v[6:7], v[44:45]
	s_waitcnt vmcnt(10)
	v_fma_f64 v[6:7], v[8:9], v[46:47], -v[30:31]
	v_add_f64 v[4:5], v[4:5], 0
	v_fmac_f64_e32 v[58:59], v[10:11], v[46:47]
	s_waitcnt vmcnt(8)
	v_fma_f64 v[8:9], v[12:13], v[48:49], -v[32:33]
	v_add_f64 v[2:3], v[2:3], 0
	v_add_f64 v[4:5], v[4:5], v[6:7]
	v_fmac_f64_e32 v[96:97], v[14:15], v[48:49]
	s_waitcnt vmcnt(6)
	v_fma_f64 v[10:11], v[16:17], v[50:51], -v[40:41]
	v_add_f64 v[2:3], v[2:3], v[58:59]
	v_add_f64 v[4:5], v[4:5], v[8:9]
	v_fmac_f64_e32 v[98:99], v[18:19], v[50:51]
	v_fma_f64 v[12:13], v[20:21], v[36:37], -v[34:35]
	v_add_f64 v[2:3], v[2:3], v[96:97]
	v_add_f64 v[4:5], v[4:5], v[10:11]
	s_waitcnt vmcnt(4)
	v_fma_f64 v[14:15], v[24:25], v[52:53], -v[42:43]
	v_add_f64 v[2:3], v[2:3], v[98:99]
	v_add_f64 v[4:5], v[4:5], v[12:13]
	v_fmac_f64_e32 v[102:103], v[26:27], v[52:53]
	v_add_f64 v[2:3], v[2:3], v[100:101]
	v_add_f64 v[4:5], v[4:5], v[14:15]
	;; [unrolled: 1-line block ×3, first 2 shown]
	s_waitcnt vmcnt(2)
	v_add_f64 v[4:5], v[54:55], -v[4:5]
	s_waitcnt vmcnt(0)
	v_add_f64 v[2:3], v[56:57], -v[2:3]
	buffer_store_dword v5, off, s[0:3], 0 offset:356
	buffer_store_dword v4, off, s[0:3], 0 offset:352
	;; [unrolled: 1-line block ×4, first 2 shown]
	s_and_saveexec_b64 s[6:7], vcc
	s_cbranch_execz .LBB28_145
; %bb.144:
	v_accvgpr_read_b32 v5, a47
	buffer_load_dword v2, v5, s[0:3], 0 offen
	buffer_load_dword v3, v5, s[0:3], 0 offen offset:4
	buffer_load_dword v4, v5, s[0:3], 0 offen offset:8
	s_nop 0
	buffer_load_dword v5, v5, s[0:3], 0 offen offset:12
	v_mov_b32_e32 v6, 0
	buffer_store_dword v6, off, s[0:3], 0 offset:336
	buffer_store_dword v6, off, s[0:3], 0 offset:340
	;; [unrolled: 1-line block ×4, first 2 shown]
	s_waitcnt vmcnt(4)
	ds_write_b128 v1, v[2:5]
.LBB28_145:
	s_or_b64 exec, exec, s[6:7]
	s_waitcnt lgkmcnt(0)
	; wave barrier
	s_waitcnt lgkmcnt(0)
	buffer_load_dword v22, off, s[0:3], 0 offset:360
	buffer_load_dword v23, off, s[0:3], 0 offset:364
	;; [unrolled: 1-line block ×32, first 2 shown]
	v_mov_b32_e32 v24, 0
	ds_read_b128 v[2:5], v24 offset:816
	ds_read_b128 v[6:9], v24 offset:832
	;; [unrolled: 1-line block ×7, first 2 shown]
	v_cmp_lt_u32_e32 vcc, 20, v219
	s_waitcnt vmcnt(30) lgkmcnt(6)
	v_mul_f64 v[102:103], v[2:3], v[22:23]
	v_mul_f64 v[22:23], v[4:5], v[22:23]
	s_waitcnt vmcnt(28) lgkmcnt(5)
	v_mul_f64 v[104:105], v[6:7], v[34:35]
	v_mul_f64 v[34:35], v[8:9], v[34:35]
	;; [unrolled: 3-line block ×4, first 2 shown]
	s_waitcnt vmcnt(21)
	v_mul_f64 v[108:109], v[14:15], v[44:45]
	v_mul_f64 v[44:45], v[16:17], v[44:45]
	s_waitcnt vmcnt(17) lgkmcnt(1)
	v_mul_f64 v[112:113], v[26:27], v[50:51]
	v_mul_f64 v[50:51], v[28:29], v[50:51]
	s_waitcnt vmcnt(16) lgkmcnt(0)
	v_mul_f64 v[114:115], v[30:31], v[46:47]
	v_mul_f64 v[46:47], v[32:33], v[46:47]
	s_waitcnt vmcnt(13)
	v_fma_f64 v[2:3], v[2:3], v[52:53], -v[22:23]
	v_fmac_f64_e32 v[102:103], v[4:5], v[52:53]
	s_waitcnt vmcnt(11)
	v_fma_f64 v[4:5], v[6:7], v[54:55], -v[34:35]
	v_add_f64 v[2:3], v[2:3], 0
	v_fmac_f64_e32 v[104:105], v[8:9], v[54:55]
	s_waitcnt vmcnt(9)
	v_fma_f64 v[6:7], v[10:11], v[56:57], -v[36:37]
	s_waitcnt vmcnt(7)
	v_fmac_f64_e32 v[108:109], v[16:17], v[58:59]
	v_add_f64 v[16:17], v[102:103], 0
	v_add_f64 v[2:3], v[2:3], v[4:5]
	v_fmac_f64_e32 v[106:107], v[12:13], v[56:57]
	v_fma_f64 v[8:9], v[14:15], v[58:59], -v[44:45]
	v_add_f64 v[16:17], v[16:17], v[104:105]
	v_add_f64 v[2:3], v[2:3], v[6:7]
	v_fma_f64 v[10:11], v[18:19], v[42:43], -v[40:41]
	v_add_f64 v[4:5], v[16:17], v[106:107]
	v_add_f64 v[2:3], v[2:3], v[8:9]
	v_fmac_f64_e32 v[110:111], v[20:21], v[42:43]
	s_waitcnt vmcnt(5)
	v_fma_f64 v[12:13], v[26:27], v[96:97], -v[50:51]
	v_add_f64 v[4:5], v[4:5], v[108:109]
	v_add_f64 v[2:3], v[2:3], v[10:11]
	v_fmac_f64_e32 v[112:113], v[28:29], v[96:97]
	s_waitcnt vmcnt(4)
	v_fma_f64 v[14:15], v[30:31], v[48:49], -v[46:47]
	v_add_f64 v[4:5], v[4:5], v[110:111]
	v_add_f64 v[2:3], v[2:3], v[12:13]
	v_fmac_f64_e32 v[114:115], v[32:33], v[48:49]
	v_add_f64 v[4:5], v[4:5], v[112:113]
	v_add_f64 v[2:3], v[2:3], v[14:15]
	;; [unrolled: 1-line block ×3, first 2 shown]
	s_waitcnt vmcnt(2)
	v_add_f64 v[2:3], v[98:99], -v[2:3]
	s_waitcnt vmcnt(0)
	v_add_f64 v[4:5], v[100:101], -v[4:5]
	buffer_store_dword v3, off, s[0:3], 0 offset:340
	buffer_store_dword v2, off, s[0:3], 0 offset:336
	;; [unrolled: 1-line block ×4, first 2 shown]
	s_and_saveexec_b64 s[6:7], vcc
	s_cbranch_execz .LBB28_147
; %bb.146:
	v_accvgpr_read_b32 v5, a48
	buffer_load_dword v2, v5, s[0:3], 0 offen
	buffer_load_dword v3, v5, s[0:3], 0 offen offset:4
	buffer_load_dword v4, v5, s[0:3], 0 offen offset:8
	s_nop 0
	buffer_load_dword v5, v5, s[0:3], 0 offen offset:12
	s_nop 0
	buffer_store_dword v24, off, s[0:3], 0 offset:320
	buffer_store_dword v24, off, s[0:3], 0 offset:324
	buffer_store_dword v24, off, s[0:3], 0 offset:328
	buffer_store_dword v24, off, s[0:3], 0 offset:332
	s_waitcnt vmcnt(4)
	ds_write_b128 v1, v[2:5]
.LBB28_147:
	s_or_b64 exec, exec, s[6:7]
	s_waitcnt lgkmcnt(0)
	; wave barrier
	s_waitcnt lgkmcnt(0)
	ds_read_b128 v[14:17], v24 offset:800
	ds_read_b128 v[10:13], v24 offset:816
	;; [unrolled: 1-line block ×4, first 2 shown]
	buffer_load_dword v20, off, s[0:3], 0 offset:320
	buffer_load_dword v21, off, s[0:3], 0 offset:324
	;; [unrolled: 1-line block ×20, first 2 shown]
	v_cmp_lt_u32_e32 vcc, 19, v219
	s_waitcnt vmcnt(12) lgkmcnt(3)
	v_mul_f64 v[26:27], v[14:15], v[40:41]
	v_fmac_f64_e32 v[26:27], v[16:17], v[22:23]
	v_add_f64 v[26:27], v[26:27], 0
	v_mul_f64 v[16:17], v[16:17], v[40:41]
	s_waitcnt vmcnt(8) lgkmcnt(2)
	v_mul_f64 v[28:29], v[10:11], v[44:45]
	v_fmac_f64_e32 v[28:29], v[12:13], v[42:43]
	v_add_f64 v[26:27], v[26:27], v[28:29]
	v_fma_f64 v[14:15], v[14:15], v[22:23], -v[16:17]
	s_waitcnt vmcnt(4) lgkmcnt(1)
	v_mul_f64 v[28:29], v[6:7], v[48:49]
	v_fmac_f64_e32 v[28:29], v[8:9], v[46:47]
	v_add_f64 v[26:27], v[26:27], v[28:29]
	s_waitcnt vmcnt(0) lgkmcnt(0)
	v_mul_f64 v[28:29], v[2:3], v[52:53]
	v_fmac_f64_e32 v[28:29], v[4:5], v[50:51]
	v_add_f64 v[30:31], v[26:27], v[28:29]
	ds_read_b128 v[26:29], v24 offset:864
	buffer_load_dword v55, off, s[0:3], 0 offset:404
	buffer_load_dword v54, off, s[0:3], 0 offset:400
	;; [unrolled: 1-line block ×4, first 2 shown]
	v_mul_f64 v[12:13], v[12:13], v[44:45]
	v_add_f64 v[14:15], v[14:15], 0
	v_fma_f64 v[10:11], v[10:11], v[42:43], -v[12:13]
	v_mul_f64 v[8:9], v[8:9], v[48:49]
	v_add_f64 v[10:11], v[14:15], v[10:11]
	v_fma_f64 v[6:7], v[6:7], v[46:47], -v[8:9]
	;; [unrolled: 3-line block ×3, first 2 shown]
	v_add_f64 v[2:3], v[6:7], v[2:3]
	s_waitcnt vmcnt(0) lgkmcnt(0)
	v_mul_f64 v[32:33], v[26:27], v[56:57]
	v_fmac_f64_e32 v[32:33], v[28:29], v[54:55]
	v_add_f64 v[34:35], v[30:31], v[32:33]
	ds_read_b128 v[30:33], v24 offset:880
	buffer_load_dword v59, off, s[0:3], 0 offset:420
	buffer_load_dword v58, off, s[0:3], 0 offset:416
	buffer_load_dword v101, off, s[0:3], 0 offset:428
	buffer_load_dword v100, off, s[0:3], 0 offset:424
	v_mul_f64 v[4:5], v[28:29], v[56:57]
	v_fma_f64 v[4:5], v[26:27], v[54:55], -v[4:5]
	v_add_f64 v[2:3], v[2:3], v[4:5]
	s_waitcnt vmcnt(0) lgkmcnt(0)
	v_mul_f64 v[36:37], v[30:31], v[100:101]
	v_fmac_f64_e32 v[36:37], v[32:33], v[58:59]
	v_add_f64 v[96:97], v[34:35], v[36:37]
	ds_read_b128 v[34:37], v24 offset:896
	buffer_load_dword v103, off, s[0:3], 0 offset:436
	buffer_load_dword v102, off, s[0:3], 0 offset:432
	buffer_load_dword v105, off, s[0:3], 0 offset:444
	buffer_load_dword v104, off, s[0:3], 0 offset:440
	v_mul_f64 v[4:5], v[32:33], v[100:101]
	v_fma_f64 v[4:5], v[30:31], v[58:59], -v[4:5]
	;; [unrolled: 12-line block ×3, first 2 shown]
	v_add_f64 v[2:3], v[2:3], v[4:5]
	s_waitcnt vmcnt(0) lgkmcnt(0)
	v_mul_f64 v[4:5], v[98:99], v[108:109]
	v_mul_f64 v[110:111], v[96:97], v[108:109]
	v_fma_f64 v[4:5], v[96:97], v[24:25], -v[4:5]
	v_fmac_f64_e32 v[110:111], v[98:99], v[24:25]
	v_add_f64 v[2:3], v[2:3], v[4:5]
	v_add_f64 v[106:107], v[106:107], v[110:111]
	v_add_f64 v[2:3], v[20:21], -v[2:3]
	v_add_f64 v[4:5], v[18:19], -v[106:107]
	buffer_store_dword v3, off, s[0:3], 0 offset:324
	buffer_store_dword v2, off, s[0:3], 0 offset:320
	;; [unrolled: 1-line block ×4, first 2 shown]
	s_and_saveexec_b64 s[6:7], vcc
	s_cbranch_execz .LBB28_149
; %bb.148:
	v_accvgpr_read_b32 v5, a49
	buffer_load_dword v2, v5, s[0:3], 0 offen
	buffer_load_dword v3, v5, s[0:3], 0 offen offset:4
	buffer_load_dword v4, v5, s[0:3], 0 offen offset:8
	s_nop 0
	buffer_load_dword v5, v5, s[0:3], 0 offen offset:12
	v_mov_b32_e32 v6, 0
	buffer_store_dword v6, off, s[0:3], 0 offset:304
	buffer_store_dword v6, off, s[0:3], 0 offset:308
	;; [unrolled: 1-line block ×4, first 2 shown]
	s_waitcnt vmcnt(4)
	ds_write_b128 v1, v[2:5]
.LBB28_149:
	s_or_b64 exec, exec, s[6:7]
	s_waitcnt lgkmcnt(0)
	; wave barrier
	s_waitcnt lgkmcnt(0)
	buffer_load_dword v36, off, s[0:3], 0 offset:328
	buffer_load_dword v37, off, s[0:3], 0 offset:332
	;; [unrolled: 1-line block ×40, first 2 shown]
	v_mov_b32_e32 v6, 0
	ds_read_b128 v[2:5], v6 offset:784
	ds_read_b128 v[8:11], v6 offset:800
	;; [unrolled: 1-line block ×9, first 2 shown]
	v_cmp_lt_u32_e32 vcc, 18, v219
	s_waitcnt vmcnt(38) lgkmcnt(8)
	v_mul_f64 v[118:119], v[2:3], v[36:37]
	v_mul_f64 v[36:37], v[4:5], v[36:37]
	s_waitcnt vmcnt(36) lgkmcnt(7)
	v_mul_f64 v[120:121], v[8:9], v[40:41]
	v_mul_f64 v[40:41], v[10:11], v[40:41]
	;; [unrolled: 3-line block ×3, first 2 shown]
	s_waitcnt vmcnt(32) lgkmcnt(4)
	v_mul_f64 v[126:127], v[20:21], v[44:45]
	s_waitcnt vmcnt(30)
	v_fmac_f64_e32 v[126:127], v[22:23], v[46:47]
	s_waitcnt vmcnt(28)
	v_mul_f64 v[124:125], v[16:17], v[48:49]
	v_mul_f64 v[48:49], v[18:19], v[48:49]
	s_waitcnt vmcnt(26) lgkmcnt(2)
	v_mul_f64 v[130:131], v[28:29], v[50:51]
	s_waitcnt vmcnt(24)
	v_fmac_f64_e32 v[130:131], v[30:31], v[52:53]
	s_waitcnt vmcnt(22)
	v_mul_f64 v[128:129], v[24:25], v[54:55]
	s_waitcnt vmcnt(18) lgkmcnt(1)
	v_mul_f64 v[132:133], v[32:33], v[100:101]
	s_waitcnt vmcnt(17) lgkmcnt(0)
	v_mul_f64 v[134:135], v[96:97], v[56:57]
	s_waitcnt vmcnt(15)
	v_fma_f64 v[2:3], v[2:3], v[102:103], -v[36:37]
	v_fmac_f64_e32 v[118:119], v[4:5], v[102:103]
	s_waitcnt vmcnt(13)
	v_fma_f64 v[4:5], v[8:9], v[104:105], -v[40:41]
	v_add_f64 v[2:3], v[2:3], 0
	s_waitcnt vmcnt(11)
	v_fma_f64 v[8:9], v[12:13], v[106:107], -v[42:43]
	v_add_f64 v[2:3], v[2:3], v[4:5]
	v_fmac_f64_e32 v[120:121], v[10:11], v[104:105]
	s_waitcnt vmcnt(9)
	v_fma_f64 v[10:11], v[16:17], v[108:109], -v[48:49]
	v_add_f64 v[2:3], v[2:3], v[8:9]
	v_mul_f64 v[8:9], v[22:23], v[44:45]
	v_add_f64 v[2:3], v[2:3], v[10:11]
	v_fma_f64 v[8:9], v[20:21], v[46:47], -v[8:9]
	v_add_f64 v[2:3], v[2:3], v[8:9]
	v_mul_f64 v[8:9], v[26:27], v[54:55]
	v_add_f64 v[12:13], v[118:119], 0
	s_waitcnt vmcnt(7)
	v_fma_f64 v[8:9], v[24:25], v[110:111], -v[8:9]
	v_fmac_f64_e32 v[122:123], v[14:15], v[106:107]
	v_add_f64 v[12:13], v[12:13], v[120:121]
	v_add_f64 v[2:3], v[2:3], v[8:9]
	v_mul_f64 v[8:9], v[30:31], v[50:51]
	v_fmac_f64_e32 v[124:125], v[18:19], v[108:109]
	v_add_f64 v[4:5], v[12:13], v[122:123]
	v_fma_f64 v[8:9], v[28:29], v[52:53], -v[8:9]
	v_add_f64 v[4:5], v[4:5], v[124:125]
	v_add_f64 v[2:3], v[2:3], v[8:9]
	v_mul_f64 v[8:9], v[34:35], v[100:101]
	v_fmac_f64_e32 v[128:129], v[26:27], v[110:111]
	v_add_f64 v[4:5], v[4:5], v[126:127]
	s_waitcnt vmcnt(5)
	v_fma_f64 v[8:9], v[32:33], v[112:113], -v[8:9]
	v_add_f64 v[4:5], v[4:5], v[128:129]
	v_add_f64 v[2:3], v[2:3], v[8:9]
	v_mul_f64 v[8:9], v[98:99], v[56:57]
	v_fmac_f64_e32 v[132:133], v[34:35], v[112:113]
	v_add_f64 v[4:5], v[4:5], v[130:131]
	s_waitcnt vmcnt(4)
	v_fma_f64 v[8:9], v[96:97], v[58:59], -v[8:9]
	v_fmac_f64_e32 v[134:135], v[98:99], v[58:59]
	v_add_f64 v[4:5], v[4:5], v[132:133]
	v_add_f64 v[2:3], v[2:3], v[8:9]
	;; [unrolled: 1-line block ×3, first 2 shown]
	s_waitcnt vmcnt(2)
	v_add_f64 v[2:3], v[114:115], -v[2:3]
	s_waitcnt vmcnt(0)
	v_add_f64 v[4:5], v[116:117], -v[4:5]
	buffer_store_dword v3, off, s[0:3], 0 offset:308
	buffer_store_dword v2, off, s[0:3], 0 offset:304
	buffer_store_dword v5, off, s[0:3], 0 offset:316
	buffer_store_dword v4, off, s[0:3], 0 offset:312
	s_and_saveexec_b64 s[6:7], vcc
	s_cbranch_execz .LBB28_151
; %bb.150:
	v_accvgpr_read_b32 v5, a50
	buffer_load_dword v2, v5, s[0:3], 0 offen
	buffer_load_dword v3, v5, s[0:3], 0 offen offset:4
	buffer_load_dword v4, v5, s[0:3], 0 offen offset:8
	s_nop 0
	buffer_load_dword v5, v5, s[0:3], 0 offen offset:12
	s_nop 0
	buffer_store_dword v6, off, s[0:3], 0 offset:288
	buffer_store_dword v6, off, s[0:3], 0 offset:292
	;; [unrolled: 1-line block ×4, first 2 shown]
	s_waitcnt vmcnt(4)
	ds_write_b128 v1, v[2:5]
.LBB28_151:
	s_or_b64 exec, exec, s[6:7]
	s_waitcnt lgkmcnt(0)
	; wave barrier
	s_waitcnt lgkmcnt(0)
	buffer_load_dword v4, off, s[0:3], 0 offset:304
	buffer_load_dword v5, off, s[0:3], 0 offset:308
	;; [unrolled: 1-line block ×44, first 2 shown]
	ds_read_b128 v[8:11], v6 offset:768
	ds_read_b128 v[12:15], v6 offset:784
	;; [unrolled: 1-line block ×10, first 2 shown]
	v_cmp_lt_u32_e32 vcc, 17, v219
	s_waitcnt vmcnt(40) lgkmcnt(9)
	v_mul_f64 v[6:7], v[8:9], v[36:37]
	v_mul_f64 v[36:37], v[10:11], v[36:37]
	s_waitcnt vmcnt(38) lgkmcnt(8)
	v_mul_f64 v[126:127], v[12:13], v[40:41]
	v_mul_f64 v[40:41], v[14:15], v[40:41]
	v_fmac_f64_e32 v[6:7], v[10:11], v[4:5]
	v_fma_f64 v[4:5], v[8:9], v[4:5], -v[36:37]
	s_waitcnt vmcnt(36) lgkmcnt(7)
	v_mul_f64 v[128:129], v[16:17], v[2:3]
	v_add_f64 v[4:5], v[4:5], 0
	v_mul_f64 v[2:3], v[18:19], v[2:3]
	v_add_f64 v[6:7], v[6:7], 0
	s_waitcnt vmcnt(30) lgkmcnt(6)
	v_mul_f64 v[130:131], v[20:21], v[46:47]
	s_waitcnt lgkmcnt(5)
	v_mul_f64 v[132:133], v[24:25], v[42:43]
	v_fmac_f64_e32 v[132:133], v[26:27], v[44:45]
	s_waitcnt vmcnt(28) lgkmcnt(3)
	v_mul_f64 v[136:137], v[32:33], v[48:49]
	s_waitcnt vmcnt(26)
	v_fmac_f64_e32 v[136:137], v[34:35], v[50:51]
	s_waitcnt vmcnt(24)
	v_mul_f64 v[134:135], v[28:29], v[52:53]
	s_waitcnt vmcnt(22) lgkmcnt(1)
	v_mul_f64 v[140:141], v[100:101], v[54:55]
	s_waitcnt vmcnt(20)
	v_fmac_f64_e32 v[140:141], v[102:103], v[56:57]
	s_waitcnt vmcnt(18)
	v_mul_f64 v[138:139], v[96:97], v[58:59]
	s_waitcnt vmcnt(16) lgkmcnt(0)
	v_mul_f64 v[142:143], v[104:105], v[108:109]
	s_waitcnt vmcnt(14)
	v_fma_f64 v[8:9], v[12:13], v[110:111], -v[40:41]
	v_add_f64 v[4:5], v[4:5], v[8:9]
	s_waitcnt vmcnt(12)
	v_fma_f64 v[2:3], v[16:17], v[112:113], -v[2:3]
	v_add_f64 v[2:3], v[4:5], v[2:3]
	v_mul_f64 v[4:5], v[22:23], v[46:47]
	s_waitcnt vmcnt(10)
	v_fma_f64 v[4:5], v[20:21], v[114:115], -v[4:5]
	v_add_f64 v[2:3], v[2:3], v[4:5]
	v_mul_f64 v[4:5], v[26:27], v[42:43]
	v_fma_f64 v[4:5], v[24:25], v[44:45], -v[4:5]
	v_add_f64 v[2:3], v[2:3], v[4:5]
	v_mul_f64 v[4:5], v[30:31], v[52:53]
	s_waitcnt vmcnt(8)
	v_fma_f64 v[4:5], v[28:29], v[116:117], -v[4:5]
	v_fmac_f64_e32 v[126:127], v[14:15], v[110:111]
	v_add_f64 v[2:3], v[2:3], v[4:5]
	v_mul_f64 v[4:5], v[34:35], v[48:49]
	v_fmac_f64_e32 v[128:129], v[18:19], v[112:113]
	v_add_f64 v[6:7], v[6:7], v[126:127]
	v_fma_f64 v[4:5], v[32:33], v[50:51], -v[4:5]
	v_fmac_f64_e32 v[130:131], v[22:23], v[114:115]
	v_add_f64 v[6:7], v[6:7], v[128:129]
	v_add_f64 v[2:3], v[2:3], v[4:5]
	v_mul_f64 v[4:5], v[98:99], v[58:59]
	v_add_f64 v[6:7], v[6:7], v[130:131]
	s_waitcnt vmcnt(6)
	v_fma_f64 v[4:5], v[96:97], v[118:119], -v[4:5]
	v_fmac_f64_e32 v[134:135], v[30:31], v[116:117]
	v_add_f64 v[6:7], v[6:7], v[132:133]
	v_add_f64 v[2:3], v[2:3], v[4:5]
	v_mul_f64 v[4:5], v[102:103], v[54:55]
	v_add_f64 v[6:7], v[6:7], v[134:135]
	v_fma_f64 v[4:5], v[100:101], v[56:57], -v[4:5]
	v_fmac_f64_e32 v[138:139], v[98:99], v[118:119]
	v_add_f64 v[6:7], v[6:7], v[136:137]
	v_add_f64 v[2:3], v[2:3], v[4:5]
	v_mul_f64 v[4:5], v[106:107], v[108:109]
	v_add_f64 v[6:7], v[6:7], v[138:139]
	s_waitcnt vmcnt(4)
	v_fma_f64 v[4:5], v[104:105], v[120:121], -v[4:5]
	v_fmac_f64_e32 v[142:143], v[106:107], v[120:121]
	v_add_f64 v[6:7], v[6:7], v[140:141]
	v_add_f64 v[2:3], v[2:3], v[4:5]
	;; [unrolled: 1-line block ×3, first 2 shown]
	s_waitcnt vmcnt(2)
	v_add_f64 v[2:3], v[122:123], -v[2:3]
	s_waitcnt vmcnt(0)
	v_add_f64 v[4:5], v[124:125], -v[6:7]
	buffer_store_dword v3, off, s[0:3], 0 offset:292
	buffer_store_dword v2, off, s[0:3], 0 offset:288
	buffer_store_dword v5, off, s[0:3], 0 offset:300
	buffer_store_dword v4, off, s[0:3], 0 offset:296
	s_and_saveexec_b64 s[6:7], vcc
	s_cbranch_execz .LBB28_153
; %bb.152:
	v_accvgpr_read_b32 v5, a51
	buffer_load_dword v2, v5, s[0:3], 0 offen
	buffer_load_dword v3, v5, s[0:3], 0 offen offset:4
	buffer_load_dword v4, v5, s[0:3], 0 offen offset:8
	s_nop 0
	buffer_load_dword v5, v5, s[0:3], 0 offen offset:12
	v_mov_b32_e32 v6, 0
	buffer_store_dword v6, off, s[0:3], 0 offset:272
	buffer_store_dword v6, off, s[0:3], 0 offset:276
	;; [unrolled: 1-line block ×4, first 2 shown]
	s_waitcnt vmcnt(4)
	ds_write_b128 v1, v[2:5]
.LBB28_153:
	s_or_b64 exec, exec, s[6:7]
	s_waitcnt lgkmcnt(0)
	; wave barrier
	s_waitcnt lgkmcnt(0)
	buffer_load_dword v2, off, s[0:3], 0 offset:288
	buffer_load_dword v3, off, s[0:3], 0 offset:292
	;; [unrolled: 1-line block ×48, first 2 shown]
	v_mov_b32_e32 v12, 0
	ds_read_b128 v[14:17], v12 offset:752
	ds_read_b128 v[18:21], v12 offset:768
	;; [unrolled: 1-line block ×11, first 2 shown]
	v_cmp_lt_u32_e32 vcc, 16, v219
	s_waitcnt vmcnt(44) lgkmcnt(10)
	v_mul_f64 v[134:135], v[14:15], v[6:7]
	v_mul_f64 v[6:7], v[16:17], v[6:7]
	v_fmac_f64_e32 v[134:135], v[16:17], v[2:3]
	v_fma_f64 v[2:3], v[14:15], v[2:3], -v[6:7]
	s_waitcnt vmcnt(40) lgkmcnt(9)
	v_mul_f64 v[136:137], v[18:19], v[8:9]
	v_mul_f64 v[6:7], v[20:21], v[8:9]
	v_fmac_f64_e32 v[136:137], v[20:21], v[4:5]
	v_add_f64 v[2:3], v[2:3], 0
	v_fma_f64 v[4:5], v[18:19], v[4:5], -v[6:7]
	v_add_f64 v[2:3], v[2:3], v[4:5]
	s_waitcnt vmcnt(38) lgkmcnt(8)
	v_mul_f64 v[4:5], v[24:25], v[10:11]
	v_mul_f64 v[138:139], v[22:23], v[10:11]
	v_add_f64 v[134:135], v[134:135], 0
	s_waitcnt vmcnt(32) lgkmcnt(7)
	v_mul_f64 v[140:141], v[26:27], v[44:45]
	v_add_f64 v[134:135], v[134:135], v[136:137]
	s_waitcnt lgkmcnt(6)
	v_mul_f64 v[142:143], v[30:31], v[40:41]
	v_fmac_f64_e32 v[142:143], v[32:33], v[42:43]
	s_waitcnt vmcnt(30) lgkmcnt(4)
	v_mul_f64 v[146:147], v[96:97], v[46:47]
	s_waitcnt vmcnt(26)
	v_mul_f64 v[144:145], v[34:35], v[50:51]
	v_fmac_f64_e32 v[146:147], v[98:99], v[48:49]
	s_waitcnt vmcnt(24) lgkmcnt(2)
	v_mul_f64 v[150:151], v[104:105], v[52:53]
	s_waitcnt vmcnt(22)
	v_fmac_f64_e32 v[150:151], v[106:107], v[54:55]
	s_waitcnt vmcnt(20)
	v_mul_f64 v[148:149], v[100:101], v[56:57]
	s_waitcnt vmcnt(16) lgkmcnt(1)
	v_mul_f64 v[152:153], v[108:109], v[118:119]
	s_waitcnt vmcnt(14)
	v_fma_f64 v[4:5], v[22:23], v[120:121], -v[4:5]
	v_add_f64 v[2:3], v[2:3], v[4:5]
	v_mul_f64 v[4:5], v[28:29], v[44:45]
	s_waitcnt vmcnt(12)
	v_fma_f64 v[4:5], v[26:27], v[122:123], -v[4:5]
	v_add_f64 v[2:3], v[2:3], v[4:5]
	v_mul_f64 v[4:5], v[32:33], v[40:41]
	v_fma_f64 v[4:5], v[30:31], v[42:43], -v[4:5]
	v_add_f64 v[2:3], v[2:3], v[4:5]
	v_mul_f64 v[4:5], v[36:37], v[50:51]
	s_waitcnt vmcnt(10)
	v_fma_f64 v[4:5], v[34:35], v[124:125], -v[4:5]
	v_add_f64 v[2:3], v[2:3], v[4:5]
	v_mul_f64 v[4:5], v[98:99], v[46:47]
	v_fma_f64 v[4:5], v[96:97], v[48:49], -v[4:5]
	v_fmac_f64_e32 v[138:139], v[24:25], v[120:121]
	v_add_f64 v[2:3], v[2:3], v[4:5]
	v_mul_f64 v[4:5], v[102:103], v[56:57]
	v_fmac_f64_e32 v[140:141], v[28:29], v[122:123]
	v_add_f64 v[134:135], v[134:135], v[138:139]
	s_waitcnt vmcnt(8)
	v_fma_f64 v[4:5], v[100:101], v[126:127], -v[4:5]
	v_add_f64 v[134:135], v[134:135], v[140:141]
	v_add_f64 v[2:3], v[2:3], v[4:5]
	v_mul_f64 v[4:5], v[106:107], v[52:53]
	v_fmac_f64_e32 v[144:145], v[36:37], v[124:125]
	v_add_f64 v[134:135], v[134:135], v[142:143]
	v_fma_f64 v[4:5], v[104:105], v[54:55], -v[4:5]
	v_add_f64 v[134:135], v[134:135], v[144:145]
	v_add_f64 v[2:3], v[2:3], v[4:5]
	v_mul_f64 v[4:5], v[110:111], v[118:119]
	v_fmac_f64_e32 v[148:149], v[102:103], v[126:127]
	v_add_f64 v[134:135], v[134:135], v[146:147]
	s_waitcnt vmcnt(6)
	v_fma_f64 v[4:5], v[108:109], v[128:129], -v[4:5]
	v_add_f64 v[134:135], v[134:135], v[148:149]
	v_add_f64 v[2:3], v[2:3], v[4:5]
	s_waitcnt vmcnt(5) lgkmcnt(0)
	v_mul_f64 v[4:5], v[114:115], v[58:59]
	v_fmac_f64_e32 v[152:153], v[110:111], v[128:129]
	v_add_f64 v[134:135], v[134:135], v[150:151]
	v_mul_f64 v[136:137], v[112:113], v[58:59]
	s_waitcnt vmcnt(4)
	v_fma_f64 v[4:5], v[112:113], v[116:117], -v[4:5]
	v_add_f64 v[134:135], v[134:135], v[152:153]
	v_fmac_f64_e32 v[136:137], v[114:115], v[116:117]
	v_add_f64 v[2:3], v[2:3], v[4:5]
	v_add_f64 v[134:135], v[134:135], v[136:137]
	s_waitcnt vmcnt(2)
	v_add_f64 v[2:3], v[130:131], -v[2:3]
	s_waitcnt vmcnt(0)
	v_add_f64 v[4:5], v[132:133], -v[134:135]
	buffer_store_dword v3, off, s[0:3], 0 offset:276
	buffer_store_dword v2, off, s[0:3], 0 offset:272
	;; [unrolled: 1-line block ×4, first 2 shown]
	s_and_saveexec_b64 s[6:7], vcc
	s_cbranch_execz .LBB28_155
; %bb.154:
	v_accvgpr_read_b32 v5, a52
	buffer_load_dword v2, v5, s[0:3], 0 offen
	buffer_load_dword v3, v5, s[0:3], 0 offen offset:4
	buffer_load_dword v4, v5, s[0:3], 0 offen offset:8
	s_nop 0
	buffer_load_dword v5, v5, s[0:3], 0 offen offset:12
	s_nop 0
	buffer_store_dword v12, off, s[0:3], 0 offset:256
	buffer_store_dword v12, off, s[0:3], 0 offset:260
	;; [unrolled: 1-line block ×4, first 2 shown]
	s_waitcnt vmcnt(4)
	ds_write_b128 v1, v[2:5]
.LBB28_155:
	s_or_b64 exec, exec, s[6:7]
	s_waitcnt lgkmcnt(0)
	; wave barrier
	s_waitcnt lgkmcnt(0)
	buffer_load_dword v2, off, s[0:3], 0 offset:272
	buffer_load_dword v3, off, s[0:3], 0 offset:276
	;; [unrolled: 1-line block ×52, first 2 shown]
	ds_read_b128 v[14:17], v12 offset:736
	ds_read_b128 v[18:21], v12 offset:752
	;; [unrolled: 1-line block ×10, first 2 shown]
	v_cmp_lt_u32_e32 vcc, 15, v219
	s_waitcnt vmcnt(48) lgkmcnt(9)
	v_mul_f64 v[112:113], v[14:15], v[6:7]
	v_mul_f64 v[6:7], v[16:17], v[6:7]
	v_fmac_f64_e32 v[112:113], v[16:17], v[2:3]
	v_fma_f64 v[2:3], v[14:15], v[2:3], -v[6:7]
	s_waitcnt vmcnt(44) lgkmcnt(8)
	v_mul_f64 v[114:115], v[18:19], v[8:9]
	v_mul_f64 v[6:7], v[20:21], v[8:9]
	v_fmac_f64_e32 v[114:115], v[20:21], v[4:5]
	v_add_f64 v[2:3], v[2:3], 0
	v_fma_f64 v[4:5], v[18:19], v[4:5], -v[6:7]
	v_add_f64 v[2:3], v[2:3], v[4:5]
	s_waitcnt vmcnt(42) lgkmcnt(7)
	v_mul_f64 v[4:5], v[24:25], v[10:11]
	v_mul_f64 v[116:117], v[22:23], v[10:11]
	v_add_f64 v[112:113], v[112:113], 0
	s_waitcnt vmcnt(36) lgkmcnt(6)
	v_mul_f64 v[118:119], v[26:27], v[44:45]
	v_add_f64 v[112:113], v[112:113], v[114:115]
	s_waitcnt lgkmcnt(5)
	v_mul_f64 v[142:143], v[30:31], v[40:41]
	v_fmac_f64_e32 v[142:143], v[32:33], v[42:43]
	s_waitcnt vmcnt(34) lgkmcnt(3)
	v_mul_f64 v[146:147], v[96:97], v[46:47]
	s_waitcnt vmcnt(30)
	v_mul_f64 v[144:145], v[34:35], v[50:51]
	v_fmac_f64_e32 v[146:147], v[98:99], v[48:49]
	s_waitcnt vmcnt(26) lgkmcnt(2)
	v_mul_f64 v[148:149], v[100:101], v[56:57]
	s_waitcnt vmcnt(25) lgkmcnt(1)
	v_mul_f64 v[150:151], v[104:105], v[52:53]
	s_waitcnt vmcnt(23)
	v_fma_f64 v[4:5], v[22:23], v[58:59], -v[4:5]
	v_add_f64 v[2:3], v[2:3], v[4:5]
	v_mul_f64 v[4:5], v[28:29], v[44:45]
	s_waitcnt vmcnt(21)
	v_fma_f64 v[4:5], v[26:27], v[120:121], -v[4:5]
	v_fmac_f64_e32 v[116:117], v[24:25], v[58:59]
	v_add_f64 v[2:3], v[2:3], v[4:5]
	v_mul_f64 v[4:5], v[32:33], v[40:41]
	v_fmac_f64_e32 v[118:119], v[28:29], v[120:121]
	v_add_f64 v[112:113], v[112:113], v[116:117]
	v_fma_f64 v[4:5], v[30:31], v[42:43], -v[4:5]
	v_add_f64 v[112:113], v[112:113], v[118:119]
	v_add_f64 v[2:3], v[2:3], v[4:5]
	v_mul_f64 v[4:5], v[36:37], v[50:51]
	s_waitcnt vmcnt(19)
	v_fmac_f64_e32 v[144:145], v[36:37], v[122:123]
	v_add_f64 v[112:113], v[112:113], v[142:143]
	v_fma_f64 v[4:5], v[34:35], v[122:123], -v[4:5]
	v_add_f64 v[112:113], v[112:113], v[144:145]
	v_add_f64 v[2:3], v[2:3], v[4:5]
	v_mul_f64 v[4:5], v[98:99], v[46:47]
	s_waitcnt vmcnt(17)
	v_fmac_f64_e32 v[148:149], v[102:103], v[124:125]
	v_add_f64 v[112:113], v[112:113], v[146:147]
	v_fma_f64 v[4:5], v[96:97], v[48:49], -v[4:5]
	s_waitcnt vmcnt(16)
	v_fmac_f64_e32 v[150:151], v[106:107], v[54:55]
	v_add_f64 v[112:113], v[112:113], v[148:149]
	v_add_f64 v[2:3], v[2:3], v[4:5]
	v_mul_f64 v[4:5], v[102:103], v[56:57]
	v_add_f64 v[142:143], v[112:113], v[150:151]
	ds_read_b128 v[112:115], v12 offset:896
	ds_read_b128 v[116:119], v12 offset:912
	v_fma_f64 v[4:5], v[100:101], v[124:125], -v[4:5]
	v_add_f64 v[2:3], v[2:3], v[4:5]
	v_mul_f64 v[4:5], v[106:107], v[52:53]
	v_fma_f64 v[4:5], v[104:105], v[54:55], -v[4:5]
	v_add_f64 v[2:3], v[2:3], v[4:5]
	s_waitcnt vmcnt(12) lgkmcnt(2)
	v_mul_f64 v[4:5], v[110:111], v[130:131]
	v_mul_f64 v[144:145], v[108:109], v[130:131]
	s_waitcnt vmcnt(10)
	v_fma_f64 v[4:5], v[108:109], v[132:133], -v[4:5]
	v_fmac_f64_e32 v[144:145], v[110:111], v[132:133]
	v_add_f64 v[2:3], v[2:3], v[4:5]
	s_waitcnt vmcnt(8) lgkmcnt(1)
	v_mul_f64 v[4:5], v[114:115], v[126:127]
	v_add_f64 v[12:13], v[142:143], v[144:145]
	v_mul_f64 v[142:143], v[112:113], v[126:127]
	v_fma_f64 v[4:5], v[112:113], v[128:129], -v[4:5]
	v_fmac_f64_e32 v[142:143], v[114:115], v[128:129]
	v_add_f64 v[2:3], v[2:3], v[4:5]
	s_waitcnt vmcnt(6) lgkmcnt(0)
	v_mul_f64 v[4:5], v[118:119], v[134:135]
	v_add_f64 v[12:13], v[12:13], v[142:143]
	v_mul_f64 v[142:143], v[116:117], v[134:135]
	s_waitcnt vmcnt(4)
	v_fma_f64 v[4:5], v[116:117], v[136:137], -v[4:5]
	v_fmac_f64_e32 v[142:143], v[118:119], v[136:137]
	v_add_f64 v[2:3], v[2:3], v[4:5]
	v_add_f64 v[12:13], v[12:13], v[142:143]
	s_waitcnt vmcnt(2)
	v_add_f64 v[2:3], v[138:139], -v[2:3]
	s_waitcnt vmcnt(0)
	v_add_f64 v[4:5], v[140:141], -v[12:13]
	buffer_store_dword v3, off, s[0:3], 0 offset:260
	buffer_store_dword v2, off, s[0:3], 0 offset:256
	;; [unrolled: 1-line block ×4, first 2 shown]
	s_and_saveexec_b64 s[6:7], vcc
	s_cbranch_execz .LBB28_157
; %bb.156:
	v_accvgpr_read_b32 v5, a53
	buffer_load_dword v2, v5, s[0:3], 0 offen
	buffer_load_dword v3, v5, s[0:3], 0 offen offset:4
	buffer_load_dword v4, v5, s[0:3], 0 offen offset:8
	s_nop 0
	buffer_load_dword v5, v5, s[0:3], 0 offen offset:12
	v_mov_b32_e32 v6, 0
	buffer_store_dword v6, off, s[0:3], 0 offset:240
	buffer_store_dword v6, off, s[0:3], 0 offset:244
	;; [unrolled: 1-line block ×4, first 2 shown]
	s_waitcnt vmcnt(4)
	ds_write_b128 v1, v[2:5]
.LBB28_157:
	s_or_b64 exec, exec, s[6:7]
	s_waitcnt lgkmcnt(0)
	; wave barrier
	s_waitcnt lgkmcnt(0)
	buffer_load_dword v2, off, s[0:3], 0 offset:256
	buffer_load_dword v3, off, s[0:3], 0 offset:260
	;; [unrolled: 1-line block ×56, first 2 shown]
	v_mov_b32_e32 v24, 0
	ds_read_b128 v[18:21], v24 offset:720
	ds_read_b128 v[26:29], v24 offset:736
	;; [unrolled: 1-line block ×9, first 2 shown]
	v_cmp_lt_u32_e32 vcc, 14, v219
	s_waitcnt vmcnt(52) lgkmcnt(8)
	v_mul_f64 v[112:113], v[18:19], v[6:7]
	v_fmac_f64_e32 v[112:113], v[20:21], v[2:3]
	v_mul_f64 v[6:7], v[20:21], v[6:7]
	v_add_f64 v[112:113], v[112:113], 0
	s_waitcnt vmcnt(48) lgkmcnt(7)
	v_mul_f64 v[114:115], v[26:27], v[8:9]
	v_fmac_f64_e32 v[114:115], v[28:29], v[4:5]
	s_waitcnt vmcnt(46) lgkmcnt(6)
	v_mul_f64 v[116:117], v[30:31], v[10:11]
	v_fma_f64 v[2:3], v[18:19], v[2:3], -v[6:7]
	v_mul_f64 v[6:7], v[28:29], v[8:9]
	v_add_f64 v[112:113], v[112:113], v[114:115]
	v_add_f64 v[2:3], v[2:3], 0
	v_fma_f64 v[4:5], v[26:27], v[4:5], -v[6:7]
	s_waitcnt vmcnt(40) lgkmcnt(5)
	v_mul_f64 v[118:119], v[34:35], v[16:17]
	s_waitcnt lgkmcnt(4)
	v_mul_f64 v[120:121], v[96:97], v[12:13]
	v_add_f64 v[2:3], v[2:3], v[4:5]
	v_mul_f64 v[4:5], v[32:33], v[10:11]
	s_waitcnt vmcnt(36) lgkmcnt(3)
	v_mul_f64 v[122:123], v[100:101], v[42:43]
	v_fmac_f64_e32 v[120:121], v[98:99], v[14:15]
	s_waitcnt vmcnt(35) lgkmcnt(2)
	v_mul_f64 v[124:125], v[104:105], v[22:23]
	s_waitcnt vmcnt(33)
	v_fmac_f64_e32 v[116:117], v[32:33], v[44:45]
	v_add_f64 v[112:113], v[112:113], v[116:117]
	s_waitcnt vmcnt(31)
	v_fmac_f64_e32 v[118:119], v[36:37], v[46:47]
	v_add_f64 v[112:113], v[112:113], v[118:119]
	v_fma_f64 v[4:5], v[30:31], v[44:45], -v[4:5]
	s_waitcnt vmcnt(29)
	v_fmac_f64_e32 v[122:123], v[102:103], v[48:49]
	v_add_f64 v[112:113], v[112:113], v[120:121]
	v_add_f64 v[2:3], v[2:3], v[4:5]
	v_mul_f64 v[4:5], v[36:37], v[16:17]
	s_waitcnt vmcnt(28)
	v_fmac_f64_e32 v[124:125], v[106:107], v[40:41]
	v_add_f64 v[112:113], v[112:113], v[122:123]
	v_fma_f64 v[4:5], v[34:35], v[46:47], -v[4:5]
	v_add_f64 v[116:117], v[112:113], v[124:125]
	ds_read_b128 v[112:115], v24 offset:848
	s_waitcnt vmcnt(24) lgkmcnt(2)
	v_mul_f64 v[118:119], v[108:109], v[54:55]
	v_add_f64 v[2:3], v[2:3], v[4:5]
	v_mul_f64 v[4:5], v[98:99], v[12:13]
	s_waitcnt vmcnt(22)
	v_fmac_f64_e32 v[118:119], v[110:111], v[56:57]
	v_fma_f64 v[4:5], v[96:97], v[14:15], -v[4:5]
	v_add_f64 v[120:121], v[116:117], v[118:119]
	ds_read_b128 v[116:119], v24 offset:864
	v_add_f64 v[2:3], v[2:3], v[4:5]
	v_mul_f64 v[4:5], v[102:103], v[42:43]
	v_fma_f64 v[4:5], v[100:101], v[48:49], -v[4:5]
	v_add_f64 v[2:3], v[2:3], v[4:5]
	v_mul_f64 v[4:5], v[106:107], v[22:23]
	s_waitcnt vmcnt(20) lgkmcnt(1)
	v_mul_f64 v[122:123], v[112:113], v[50:51]
	v_fma_f64 v[4:5], v[104:105], v[40:41], -v[4:5]
	v_fmac_f64_e32 v[122:123], v[114:115], v[52:53]
	v_add_f64 v[2:3], v[2:3], v[4:5]
	v_mul_f64 v[4:5], v[110:111], v[54:55]
	v_add_f64 v[124:125], v[120:121], v[122:123]
	ds_read_b128 v[120:123], v24 offset:880
	s_waitcnt vmcnt(16) lgkmcnt(1)
	v_mul_f64 v[126:127], v[116:117], v[134:135]
	v_fma_f64 v[4:5], v[108:109], v[56:57], -v[4:5]
	s_waitcnt vmcnt(14)
	v_fmac_f64_e32 v[126:127], v[118:119], v[136:137]
	v_add_f64 v[2:3], v[2:3], v[4:5]
	v_mul_f64 v[4:5], v[114:115], v[50:51]
	v_add_f64 v[150:151], v[124:125], v[126:127]
	ds_read_b128 v[124:127], v24 offset:896
	v_fma_f64 v[4:5], v[112:113], v[52:53], -v[4:5]
	v_add_f64 v[2:3], v[2:3], v[4:5]
	v_mul_f64 v[4:5], v[118:119], v[134:135]
	v_fma_f64 v[4:5], v[116:117], v[136:137], -v[4:5]
	v_add_f64 v[2:3], v[2:3], v[4:5]
	s_waitcnt vmcnt(12) lgkmcnt(1)
	v_mul_f64 v[4:5], v[122:123], v[58:59]
	v_mul_f64 v[152:153], v[120:121], v[58:59]
	v_fma_f64 v[4:5], v[120:121], v[132:133], -v[4:5]
	v_fmac_f64_e32 v[152:153], v[122:123], v[132:133]
	v_add_f64 v[2:3], v[2:3], v[4:5]
	s_waitcnt vmcnt(8) lgkmcnt(0)
	v_mul_f64 v[4:5], v[126:127], v[142:143]
	v_add_f64 v[150:151], v[150:151], v[152:153]
	v_mul_f64 v[152:153], v[124:125], v[142:143]
	s_waitcnt vmcnt(6)
	v_fma_f64 v[4:5], v[124:125], v[144:145], -v[4:5]
	v_fmac_f64_e32 v[152:153], v[126:127], v[144:145]
	v_add_f64 v[2:3], v[2:3], v[4:5]
	s_waitcnt vmcnt(5)
	v_mul_f64 v[4:5], v[130:131], v[138:139]
	v_add_f64 v[150:151], v[150:151], v[152:153]
	v_mul_f64 v[152:153], v[128:129], v[138:139]
	s_waitcnt vmcnt(4)
	v_fma_f64 v[4:5], v[128:129], v[140:141], -v[4:5]
	v_fmac_f64_e32 v[152:153], v[130:131], v[140:141]
	v_add_f64 v[2:3], v[2:3], v[4:5]
	v_add_f64 v[150:151], v[150:151], v[152:153]
	s_waitcnt vmcnt(2)
	v_add_f64 v[2:3], v[146:147], -v[2:3]
	s_waitcnt vmcnt(0)
	v_add_f64 v[4:5], v[148:149], -v[150:151]
	buffer_store_dword v3, off, s[0:3], 0 offset:244
	buffer_store_dword v2, off, s[0:3], 0 offset:240
	;; [unrolled: 1-line block ×4, first 2 shown]
	s_and_saveexec_b64 s[6:7], vcc
	s_cbranch_execz .LBB28_159
; %bb.158:
	v_accvgpr_read_b32 v5, a54
	buffer_load_dword v2, v5, s[0:3], 0 offen
	buffer_load_dword v3, v5, s[0:3], 0 offen offset:4
	buffer_load_dword v4, v5, s[0:3], 0 offen offset:8
	s_nop 0
	buffer_load_dword v5, v5, s[0:3], 0 offen offset:12
	s_nop 0
	buffer_store_dword v24, off, s[0:3], 0 offset:224
	buffer_store_dword v24, off, s[0:3], 0 offset:228
	;; [unrolled: 1-line block ×4, first 2 shown]
	s_waitcnt vmcnt(4)
	ds_write_b128 v1, v[2:5]
.LBB28_159:
	s_or_b64 exec, exec, s[6:7]
	s_waitcnt lgkmcnt(0)
	; wave barrier
	s_waitcnt lgkmcnt(0)
	buffer_load_dword v2, off, s[0:3], 0 offset:240
	buffer_load_dword v3, off, s[0:3], 0 offset:244
	;; [unrolled: 1-line block ×60, first 2 shown]
	ds_read_b128 v[26:29], v24 offset:704
	ds_read_b128 v[30:33], v24 offset:720
	;; [unrolled: 1-line block ×8, first 2 shown]
	v_cmp_lt_u32_e32 vcc, 13, v219
	ds_read_b128 v[136:139], v24 offset:912
	s_waitcnt vmcnt(56) lgkmcnt(8)
	v_mul_f64 v[116:117], v[26:27], v[6:7]
	v_fmac_f64_e32 v[116:117], v[28:29], v[2:3]
	v_add_f64 v[116:117], v[116:117], 0
	v_mul_f64 v[6:7], v[28:29], v[6:7]
	s_waitcnt vmcnt(52) lgkmcnt(7)
	v_mul_f64 v[118:119], v[30:31], v[8:9]
	v_fmac_f64_e32 v[118:119], v[32:33], v[4:5]
	s_waitcnt vmcnt(50) lgkmcnt(6)
	v_mul_f64 v[120:121], v[34:35], v[10:11]
	v_add_f64 v[116:117], v[116:117], v[118:119]
	s_waitcnt vmcnt(48) lgkmcnt(4)
	v_mul_f64 v[124:125], v[100:101], v[12:13]
	v_fma_f64 v[2:3], v[26:27], v[2:3], -v[6:7]
	s_waitcnt vmcnt(46)
	v_fmac_f64_e32 v[124:125], v[102:103], v[14:15]
	v_mul_f64 v[6:7], v[32:33], v[8:9]
	s_waitcnt vmcnt(44)
	v_mul_f64 v[122:123], v[96:97], v[16:17]
	v_add_f64 v[2:3], v[2:3], 0
	v_fma_f64 v[4:5], v[30:31], v[4:5], -v[6:7]
	v_add_f64 v[2:3], v[2:3], v[4:5]
	s_waitcnt vmcnt(40) lgkmcnt(3)
	v_mul_f64 v[126:127], v[104:105], v[22:23]
	v_mul_f64 v[4:5], v[36:37], v[10:11]
	s_waitcnt vmcnt(38)
	v_fmac_f64_e32 v[120:121], v[36:37], v[40:41]
	v_add_f64 v[116:117], v[116:117], v[120:121]
	s_waitcnt vmcnt(36)
	v_fmac_f64_e32 v[122:123], v[98:99], v[42:43]
	v_add_f64 v[116:117], v[116:117], v[122:123]
	;; [unrolled: 3-line block ×3, first 2 shown]
	s_waitcnt vmcnt(32) lgkmcnt(2)
	v_mul_f64 v[118:119], v[108:109], v[18:19]
	v_add_f64 v[116:117], v[116:117], v[126:127]
	v_fmac_f64_e32 v[118:119], v[110:111], v[20:21]
	v_add_f64 v[120:121], v[116:117], v[118:119]
	ds_read_b128 v[116:119], v24 offset:832
	v_fma_f64 v[4:5], v[34:35], v[40:41], -v[4:5]
	v_add_f64 v[2:3], v[2:3], v[4:5]
	v_mul_f64 v[4:5], v[98:99], v[16:17]
	v_fma_f64 v[4:5], v[96:97], v[42:43], -v[4:5]
	s_waitcnt vmcnt(28) lgkmcnt(2)
	v_mul_f64 v[122:123], v[112:113], v[50:51]
	v_add_f64 v[2:3], v[2:3], v[4:5]
	v_mul_f64 v[4:5], v[102:103], v[12:13]
	s_waitcnt vmcnt(26)
	v_fmac_f64_e32 v[122:123], v[114:115], v[52:53]
	v_fma_f64 v[4:5], v[100:101], v[14:15], -v[4:5]
	v_add_f64 v[124:125], v[120:121], v[122:123]
	ds_read_b128 v[120:123], v24 offset:848
	s_waitcnt vmcnt(24) lgkmcnt(1)
	v_mul_f64 v[126:127], v[116:117], v[46:47]
	v_add_f64 v[2:3], v[2:3], v[4:5]
	v_mul_f64 v[4:5], v[106:107], v[22:23]
	v_fmac_f64_e32 v[126:127], v[118:119], v[48:49]
	v_fma_f64 v[4:5], v[104:105], v[44:45], -v[4:5]
	v_add_f64 v[128:129], v[124:125], v[126:127]
	ds_read_b128 v[124:127], v24 offset:864
	v_add_f64 v[2:3], v[2:3], v[4:5]
	v_mul_f64 v[4:5], v[110:111], v[18:19]
	v_fma_f64 v[4:5], v[108:109], v[20:21], -v[4:5]
	v_add_f64 v[2:3], v[2:3], v[4:5]
	v_mul_f64 v[4:5], v[114:115], v[50:51]
	s_waitcnt vmcnt(20) lgkmcnt(1)
	v_mul_f64 v[130:131], v[120:121], v[58:59]
	v_fma_f64 v[4:5], v[112:113], v[52:53], -v[4:5]
	s_waitcnt vmcnt(18)
	v_fmac_f64_e32 v[130:131], v[122:123], v[140:141]
	v_add_f64 v[2:3], v[2:3], v[4:5]
	v_mul_f64 v[4:5], v[118:119], v[46:47]
	v_add_f64 v[132:133], v[128:129], v[130:131]
	ds_read_b128 v[128:131], v24 offset:880
	s_waitcnt vmcnt(16) lgkmcnt(1)
	v_mul_f64 v[134:135], v[124:125], v[54:55]
	v_fma_f64 v[4:5], v[116:117], v[48:49], -v[4:5]
	v_fmac_f64_e32 v[134:135], v[126:127], v[56:57]
	v_add_f64 v[2:3], v[2:3], v[4:5]
	v_mul_f64 v[4:5], v[122:123], v[58:59]
	v_add_f64 v[158:159], v[132:133], v[134:135]
	ds_read_b128 v[132:135], v24 offset:896
	v_fma_f64 v[4:5], v[120:121], v[140:141], -v[4:5]
	v_add_f64 v[2:3], v[2:3], v[4:5]
	v_mul_f64 v[4:5], v[126:127], v[54:55]
	v_fma_f64 v[4:5], v[124:125], v[56:57], -v[4:5]
	v_add_f64 v[2:3], v[2:3], v[4:5]
	s_waitcnt vmcnt(12) lgkmcnt(1)
	v_mul_f64 v[4:5], v[130:131], v[146:147]
	v_mul_f64 v[160:161], v[128:129], v[146:147]
	s_waitcnt vmcnt(10)
	v_fma_f64 v[4:5], v[128:129], v[148:149], -v[4:5]
	v_fmac_f64_e32 v[160:161], v[130:131], v[148:149]
	v_add_f64 v[2:3], v[2:3], v[4:5]
	s_waitcnt vmcnt(8) lgkmcnt(0)
	v_mul_f64 v[4:5], v[134:135], v[142:143]
	v_add_f64 v[24:25], v[158:159], v[160:161]
	v_mul_f64 v[158:159], v[132:133], v[142:143]
	v_fma_f64 v[4:5], v[132:133], v[144:145], -v[4:5]
	v_fmac_f64_e32 v[158:159], v[134:135], v[144:145]
	v_add_f64 v[2:3], v[2:3], v[4:5]
	s_waitcnt vmcnt(6)
	v_mul_f64 v[4:5], v[138:139], v[150:151]
	v_add_f64 v[24:25], v[24:25], v[158:159]
	v_mul_f64 v[158:159], v[136:137], v[150:151]
	s_waitcnt vmcnt(4)
	v_fma_f64 v[4:5], v[136:137], v[152:153], -v[4:5]
	v_fmac_f64_e32 v[158:159], v[138:139], v[152:153]
	v_add_f64 v[2:3], v[2:3], v[4:5]
	v_add_f64 v[24:25], v[24:25], v[158:159]
	s_waitcnt vmcnt(2)
	v_add_f64 v[2:3], v[154:155], -v[2:3]
	s_waitcnt vmcnt(0)
	v_add_f64 v[4:5], v[156:157], -v[24:25]
	buffer_store_dword v3, off, s[0:3], 0 offset:228
	buffer_store_dword v2, off, s[0:3], 0 offset:224
	;; [unrolled: 1-line block ×4, first 2 shown]
	s_and_saveexec_b64 s[6:7], vcc
	s_cbranch_execz .LBB28_161
; %bb.160:
	v_accvgpr_read_b32 v5, a55
	buffer_load_dword v2, v5, s[0:3], 0 offen
	buffer_load_dword v3, v5, s[0:3], 0 offen offset:4
	buffer_load_dword v4, v5, s[0:3], 0 offen offset:8
	s_nop 0
	buffer_load_dword v5, v5, s[0:3], 0 offen offset:12
	v_mov_b32_e32 v6, 0
	buffer_store_dword v6, off, s[0:3], 0 offset:208
	buffer_store_dword v6, off, s[0:3], 0 offset:212
	buffer_store_dword v6, off, s[0:3], 0 offset:216
	buffer_store_dword v6, off, s[0:3], 0 offset:220
	s_waitcnt vmcnt(4)
	ds_write_b128 v1, v[2:5]
.LBB28_161:
	s_or_b64 exec, exec, s[6:7]
	s_waitcnt lgkmcnt(0)
	; wave barrier
	s_waitcnt lgkmcnt(0)
	buffer_load_dword v2, off, s[0:3], 0 offset:224
	buffer_load_dword v3, off, s[0:3], 0 offset:228
	;; [unrolled: 1-line block ×64, first 2 shown]
	v_mov_b32_e32 v96, 0
	ds_read_b128 v[30:33], v96 offset:688
	ds_read_b128 v[34:37], v96 offset:704
	;; [unrolled: 1-line block ×7, first 2 shown]
	v_cmp_lt_u32_e32 vcc, 12, v219
	s_waitcnt vmcnt(60) lgkmcnt(6)
	v_mul_f64 v[114:115], v[30:31], v[6:7]
	v_fmac_f64_e32 v[114:115], v[32:33], v[2:3]
	v_add_f64 v[114:115], v[114:115], 0
	v_mul_f64 v[6:7], v[32:33], v[6:7]
	s_waitcnt vmcnt(56) lgkmcnt(5)
	v_mul_f64 v[116:117], v[34:35], v[8:9]
	v_fmac_f64_e32 v[116:117], v[36:37], v[4:5]
	s_waitcnt vmcnt(54) lgkmcnt(4)
	v_mul_f64 v[118:119], v[98:99], v[10:11]
	v_add_f64 v[114:115], v[114:115], v[116:117]
	v_fma_f64 v[2:3], v[30:31], v[2:3], -v[6:7]
	v_mul_f64 v[6:7], v[36:37], v[8:9]
	s_waitcnt vmcnt(50) lgkmcnt(3)
	v_mul_f64 v[120:121], v[102:103], v[16:17]
	s_waitcnt vmcnt(49) lgkmcnt(2)
	v_mul_f64 v[122:123], v[106:107], v[12:13]
	v_add_f64 v[2:3], v[2:3], 0
	s_waitcnt vmcnt(47)
	v_fmac_f64_e32 v[118:119], v[100:101], v[20:21]
	v_add_f64 v[114:115], v[114:115], v[118:119]
	s_waitcnt vmcnt(45)
	v_fmac_f64_e32 v[120:121], v[104:105], v[18:19]
	;; [unrolled: 3-line block ×3, first 2 shown]
	v_add_f64 v[118:119], v[114:115], v[122:123]
	ds_read_b128 v[114:117], v96 offset:784
	s_waitcnt vmcnt(40) lgkmcnt(2)
	v_mul_f64 v[120:121], v[110:111], v[26:27]
	v_fma_f64 v[4:5], v[34:35], v[4:5], -v[6:7]
	s_waitcnt vmcnt(38)
	v_fmac_f64_e32 v[120:121], v[112:113], v[28:29]
	v_add_f64 v[122:123], v[118:119], v[120:121]
	ds_read_b128 v[118:121], v96 offset:800
	s_waitcnt vmcnt(36) lgkmcnt(1)
	v_mul_f64 v[124:125], v[114:115], v[22:23]
	v_fmac_f64_e32 v[124:125], v[116:117], v[24:25]
	v_add_f64 v[2:3], v[2:3], v[4:5]
	v_mul_f64 v[4:5], v[100:101], v[10:11]
	v_add_f64 v[126:127], v[122:123], v[124:125]
	ds_read_b128 v[122:125], v96 offset:816
	s_waitcnt vmcnt(32) lgkmcnt(1)
	v_mul_f64 v[128:129], v[118:119], v[44:45]
	v_fma_f64 v[4:5], v[98:99], v[20:21], -v[4:5]
	s_waitcnt vmcnt(30)
	v_fmac_f64_e32 v[128:129], v[120:121], v[46:47]
	v_add_f64 v[2:3], v[2:3], v[4:5]
	v_mul_f64 v[4:5], v[104:105], v[16:17]
	v_add_f64 v[130:131], v[126:127], v[128:129]
	ds_read_b128 v[126:129], v96 offset:832
	v_fma_f64 v[4:5], v[102:103], v[18:19], -v[4:5]
	v_add_f64 v[2:3], v[2:3], v[4:5]
	v_mul_f64 v[4:5], v[108:109], v[12:13]
	v_fma_f64 v[4:5], v[106:107], v[14:15], -v[4:5]
	s_waitcnt vmcnt(28) lgkmcnt(1)
	v_mul_f64 v[132:133], v[122:123], v[40:41]
	v_add_f64 v[2:3], v[2:3], v[4:5]
	v_mul_f64 v[4:5], v[112:113], v[26:27]
	v_fmac_f64_e32 v[132:133], v[124:125], v[42:43]
	v_fma_f64 v[4:5], v[110:111], v[28:29], -v[4:5]
	v_add_f64 v[134:135], v[130:131], v[132:133]
	ds_read_b128 v[130:133], v96 offset:848
	s_waitcnt vmcnt(24) lgkmcnt(1)
	v_mul_f64 v[136:137], v[126:127], v[52:53]
	v_add_f64 v[2:3], v[2:3], v[4:5]
	v_mul_f64 v[4:5], v[116:117], v[22:23]
	s_waitcnt vmcnt(22)
	v_fmac_f64_e32 v[136:137], v[128:129], v[54:55]
	v_fma_f64 v[4:5], v[114:115], v[24:25], -v[4:5]
	v_add_f64 v[138:139], v[134:135], v[136:137]
	ds_read_b128 v[134:137], v96 offset:864
	v_add_f64 v[2:3], v[2:3], v[4:5]
	v_mul_f64 v[4:5], v[120:121], v[44:45]
	v_fma_f64 v[4:5], v[118:119], v[46:47], -v[4:5]
	v_add_f64 v[2:3], v[2:3], v[4:5]
	v_mul_f64 v[4:5], v[124:125], v[40:41]
	s_waitcnt vmcnt(20) lgkmcnt(1)
	v_mul_f64 v[140:141], v[130:131], v[48:49]
	v_fma_f64 v[4:5], v[122:123], v[42:43], -v[4:5]
	v_fmac_f64_e32 v[140:141], v[132:133], v[50:51]
	v_add_f64 v[2:3], v[2:3], v[4:5]
	v_mul_f64 v[4:5], v[128:129], v[52:53]
	v_add_f64 v[142:143], v[138:139], v[140:141]
	ds_read_b128 v[138:141], v96 offset:880
	s_waitcnt vmcnt(16) lgkmcnt(1)
	v_mul_f64 v[144:145], v[134:135], v[150:151]
	v_fma_f64 v[4:5], v[126:127], v[54:55], -v[4:5]
	s_waitcnt vmcnt(14)
	v_fmac_f64_e32 v[144:145], v[136:137], v[152:153]
	v_add_f64 v[2:3], v[2:3], v[4:5]
	v_mul_f64 v[4:5], v[132:133], v[48:49]
	v_add_f64 v[166:167], v[142:143], v[144:145]
	ds_read_b128 v[142:145], v96 offset:896
	v_fma_f64 v[4:5], v[130:131], v[50:51], -v[4:5]
	v_add_f64 v[2:3], v[2:3], v[4:5]
	v_mul_f64 v[4:5], v[136:137], v[150:151]
	v_fma_f64 v[4:5], v[134:135], v[152:153], -v[4:5]
	v_add_f64 v[2:3], v[2:3], v[4:5]
	s_waitcnt vmcnt(12) lgkmcnt(1)
	v_mul_f64 v[4:5], v[140:141], v[56:57]
	v_mul_f64 v[168:169], v[138:139], v[56:57]
	v_fma_f64 v[4:5], v[138:139], v[58:59], -v[4:5]
	v_fmac_f64_e32 v[168:169], v[140:141], v[58:59]
	v_add_f64 v[2:3], v[2:3], v[4:5]
	s_waitcnt vmcnt(8) lgkmcnt(0)
	v_mul_f64 v[4:5], v[144:145], v[158:159]
	v_add_f64 v[166:167], v[166:167], v[168:169]
	v_mul_f64 v[168:169], v[142:143], v[158:159]
	s_waitcnt vmcnt(6)
	v_fma_f64 v[4:5], v[142:143], v[160:161], -v[4:5]
	v_fmac_f64_e32 v[168:169], v[144:145], v[160:161]
	v_add_f64 v[2:3], v[2:3], v[4:5]
	s_waitcnt vmcnt(5)
	v_mul_f64 v[4:5], v[148:149], v[154:155]
	v_add_f64 v[166:167], v[166:167], v[168:169]
	v_mul_f64 v[168:169], v[146:147], v[154:155]
	s_waitcnt vmcnt(4)
	v_fma_f64 v[4:5], v[146:147], v[156:157], -v[4:5]
	v_fmac_f64_e32 v[168:169], v[148:149], v[156:157]
	v_add_f64 v[2:3], v[2:3], v[4:5]
	v_add_f64 v[166:167], v[166:167], v[168:169]
	s_waitcnt vmcnt(2)
	v_add_f64 v[2:3], v[162:163], -v[2:3]
	s_waitcnt vmcnt(0)
	v_add_f64 v[4:5], v[164:165], -v[166:167]
	buffer_store_dword v3, off, s[0:3], 0 offset:212
	buffer_store_dword v2, off, s[0:3], 0 offset:208
	;; [unrolled: 1-line block ×4, first 2 shown]
	s_and_saveexec_b64 s[6:7], vcc
	s_cbranch_execz .LBB28_163
; %bb.162:
	v_accvgpr_read_b32 v5, a56
	buffer_load_dword v2, v5, s[0:3], 0 offen
	buffer_load_dword v3, v5, s[0:3], 0 offen offset:4
	buffer_load_dword v4, v5, s[0:3], 0 offen offset:8
	s_nop 0
	buffer_load_dword v5, v5, s[0:3], 0 offen offset:12
	s_nop 0
	buffer_store_dword v96, off, s[0:3], 0 offset:192
	buffer_store_dword v96, off, s[0:3], 0 offset:196
	;; [unrolled: 1-line block ×4, first 2 shown]
	s_waitcnt vmcnt(4)
	ds_write_b128 v1, v[2:5]
.LBB28_163:
	s_or_b64 exec, exec, s[6:7]
	s_waitcnt lgkmcnt(0)
	; wave barrier
	s_waitcnt lgkmcnt(0)
	buffer_load_dword v2, off, s[0:3], 0 offset:208
	buffer_load_dword v3, off, s[0:3], 0 offset:212
	;; [unrolled: 1-line block ×64, first 2 shown]
	ds_read_b128 v[98:101], v96 offset:672
	ds_read_b128 v[102:105], v96 offset:688
	;; [unrolled: 1-line block ×4, first 2 shown]
	buffer_load_dword v170, off, s[0:3], 0 offset:192
	buffer_load_dword v171, off, s[0:3], 0 offset:196
	buffer_load_dword v172, off, s[0:3], 0 offset:200
	buffer_load_dword v173, off, s[0:3], 0 offset:204
	v_cmp_lt_u32_e32 vcc, 11, v219
	ds_read_b128 v[158:161], v96 offset:912
	s_waitcnt vmcnt(62) lgkmcnt(4)
	v_mul_f64 v[114:115], v[98:99], v[4:5]
	v_fmac_f64_e32 v[114:115], v[100:101], v[2:3]
	s_waitcnt lgkmcnt(3)
	v_mul_f64 v[116:117], v[102:103], v[6:7]
	v_add_f64 v[114:115], v[114:115], 0
	s_waitcnt vmcnt(60) lgkmcnt(2)
	v_mul_f64 v[118:119], v[106:107], v[8:9]
	v_mul_f64 v[4:5], v[100:101], v[4:5]
	v_fma_f64 v[2:3], v[98:99], v[2:3], -v[4:5]
	v_mul_f64 v[4:5], v[104:105], v[6:7]
	s_waitcnt vmcnt(56) lgkmcnt(1)
	v_mul_f64 v[120:121], v[110:111], v[14:15]
	v_add_f64 v[2:3], v[2:3], 0
	s_waitcnt vmcnt(54)
	v_fmac_f64_e32 v[116:117], v[104:105], v[20:21]
	v_add_f64 v[122:123], v[114:115], v[116:117]
	ds_read_b128 v[114:117], v96 offset:736
	s_waitcnt vmcnt(52)
	v_fmac_f64_e32 v[118:119], v[108:109], v[18:19]
	v_add_f64 v[118:119], v[122:123], v[118:119]
	s_waitcnt vmcnt(50)
	v_fmac_f64_e32 v[120:121], v[112:113], v[16:17]
	v_add_f64 v[122:123], v[118:119], v[120:121]
	ds_read_b128 v[118:121], v96 offset:752
	s_waitcnt vmcnt(48) lgkmcnt(1)
	v_mul_f64 v[124:125], v[114:115], v[10:11]
	v_fmac_f64_e32 v[124:125], v[116:117], v[12:13]
	v_add_f64 v[126:127], v[122:123], v[124:125]
	ds_read_b128 v[122:125], v96 offset:768
	s_waitcnt vmcnt(44) lgkmcnt(1)
	v_mul_f64 v[128:129], v[118:119], v[26:27]
	s_waitcnt vmcnt(42)
	v_fmac_f64_e32 v[128:129], v[120:121], v[28:29]
	v_add_f64 v[130:131], v[126:127], v[128:129]
	ds_read_b128 v[126:129], v96 offset:784
	s_waitcnt vmcnt(40) lgkmcnt(1)
	v_mul_f64 v[132:133], v[122:123], v[22:23]
	v_fmac_f64_e32 v[132:133], v[124:125], v[24:25]
	v_add_f64 v[134:135], v[130:131], v[132:133]
	ds_read_b128 v[130:133], v96 offset:800
	v_fma_f64 v[4:5], v[102:103], v[20:21], -v[4:5]
	v_add_f64 v[2:3], v[2:3], v[4:5]
	v_mul_f64 v[4:5], v[108:109], v[8:9]
	s_waitcnt vmcnt(36) lgkmcnt(1)
	v_mul_f64 v[136:137], v[126:127], v[34:35]
	v_fma_f64 v[4:5], v[106:107], v[18:19], -v[4:5]
	s_waitcnt vmcnt(34)
	v_fmac_f64_e32 v[136:137], v[128:129], v[36:37]
	v_add_f64 v[2:3], v[2:3], v[4:5]
	v_mul_f64 v[4:5], v[112:113], v[14:15]
	v_add_f64 v[138:139], v[134:135], v[136:137]
	ds_read_b128 v[134:137], v96 offset:816
	s_waitcnt vmcnt(32) lgkmcnt(1)
	v_mul_f64 v[140:141], v[130:131], v[30:31]
	v_fma_f64 v[4:5], v[110:111], v[16:17], -v[4:5]
	v_fmac_f64_e32 v[140:141], v[132:133], v[32:33]
	v_add_f64 v[2:3], v[2:3], v[4:5]
	v_mul_f64 v[4:5], v[116:117], v[10:11]
	v_add_f64 v[142:143], v[138:139], v[140:141]
	ds_read_b128 v[138:141], v96 offset:832
	v_fma_f64 v[4:5], v[114:115], v[12:13], -v[4:5]
	v_add_f64 v[2:3], v[2:3], v[4:5]
	v_mul_f64 v[4:5], v[120:121], v[26:27]
	v_fma_f64 v[4:5], v[118:119], v[28:29], -v[4:5]
	s_waitcnt vmcnt(28) lgkmcnt(1)
	v_mul_f64 v[144:145], v[134:135], v[44:45]
	v_add_f64 v[2:3], v[2:3], v[4:5]
	v_mul_f64 v[4:5], v[124:125], v[22:23]
	s_waitcnt vmcnt(26)
	v_fmac_f64_e32 v[144:145], v[136:137], v[46:47]
	v_fma_f64 v[4:5], v[122:123], v[24:25], -v[4:5]
	v_add_f64 v[146:147], v[142:143], v[144:145]
	ds_read_b128 v[142:145], v96 offset:848
	s_waitcnt vmcnt(24) lgkmcnt(1)
	v_mul_f64 v[148:149], v[138:139], v[40:41]
	v_add_f64 v[2:3], v[2:3], v[4:5]
	v_mul_f64 v[4:5], v[128:129], v[34:35]
	v_fmac_f64_e32 v[148:149], v[140:141], v[42:43]
	v_fma_f64 v[4:5], v[126:127], v[36:37], -v[4:5]
	v_add_f64 v[150:151], v[146:147], v[148:149]
	ds_read_b128 v[146:149], v96 offset:864
	v_add_f64 v[2:3], v[2:3], v[4:5]
	v_mul_f64 v[4:5], v[132:133], v[30:31]
	v_fma_f64 v[4:5], v[130:131], v[32:33], -v[4:5]
	v_add_f64 v[2:3], v[2:3], v[4:5]
	v_mul_f64 v[4:5], v[136:137], v[44:45]
	s_waitcnt vmcnt(20) lgkmcnt(1)
	v_mul_f64 v[152:153], v[142:143], v[52:53]
	v_fma_f64 v[4:5], v[134:135], v[46:47], -v[4:5]
	s_waitcnt vmcnt(18)
	v_fmac_f64_e32 v[152:153], v[144:145], v[54:55]
	v_add_f64 v[2:3], v[2:3], v[4:5]
	v_mul_f64 v[4:5], v[140:141], v[40:41]
	v_add_f64 v[154:155], v[150:151], v[152:153]
	ds_read_b128 v[150:153], v96 offset:880
	s_waitcnt vmcnt(16) lgkmcnt(1)
	v_mul_f64 v[156:157], v[146:147], v[48:49]
	v_fma_f64 v[4:5], v[138:139], v[42:43], -v[4:5]
	v_fmac_f64_e32 v[156:157], v[148:149], v[50:51]
	v_add_f64 v[2:3], v[2:3], v[4:5]
	v_mul_f64 v[4:5], v[144:145], v[52:53]
	v_add_f64 v[174:175], v[154:155], v[156:157]
	ds_read_b128 v[154:157], v96 offset:896
	v_fma_f64 v[4:5], v[142:143], v[54:55], -v[4:5]
	v_add_f64 v[2:3], v[2:3], v[4:5]
	v_mul_f64 v[4:5], v[148:149], v[48:49]
	v_fma_f64 v[4:5], v[146:147], v[50:51], -v[4:5]
	v_add_f64 v[2:3], v[2:3], v[4:5]
	s_waitcnt vmcnt(12) lgkmcnt(1)
	v_mul_f64 v[4:5], v[152:153], v[162:163]
	v_mul_f64 v[176:177], v[150:151], v[162:163]
	s_waitcnt vmcnt(10)
	v_fma_f64 v[4:5], v[150:151], v[164:165], -v[4:5]
	v_fmac_f64_e32 v[176:177], v[152:153], v[164:165]
	v_add_f64 v[2:3], v[2:3], v[4:5]
	s_waitcnt vmcnt(8) lgkmcnt(0)
	v_mul_f64 v[4:5], v[156:157], v[56:57]
	v_add_f64 v[96:97], v[174:175], v[176:177]
	v_mul_f64 v[174:175], v[154:155], v[56:57]
	v_fma_f64 v[4:5], v[154:155], v[58:59], -v[4:5]
	v_fmac_f64_e32 v[174:175], v[156:157], v[58:59]
	v_add_f64 v[2:3], v[2:3], v[4:5]
	s_waitcnt vmcnt(6)
	v_mul_f64 v[4:5], v[160:161], v[166:167]
	v_add_f64 v[96:97], v[96:97], v[174:175]
	v_mul_f64 v[174:175], v[158:159], v[166:167]
	s_waitcnt vmcnt(4)
	v_fma_f64 v[4:5], v[158:159], v[168:169], -v[4:5]
	v_fmac_f64_e32 v[174:175], v[160:161], v[168:169]
	v_add_f64 v[2:3], v[2:3], v[4:5]
	v_add_f64 v[96:97], v[96:97], v[174:175]
	s_waitcnt vmcnt(2)
	v_add_f64 v[2:3], v[170:171], -v[2:3]
	s_waitcnt vmcnt(0)
	v_add_f64 v[4:5], v[172:173], -v[96:97]
	buffer_store_dword v3, off, s[0:3], 0 offset:196
	buffer_store_dword v2, off, s[0:3], 0 offset:192
	;; [unrolled: 1-line block ×4, first 2 shown]
	s_and_saveexec_b64 s[6:7], vcc
	s_cbranch_execz .LBB28_165
; %bb.164:
	v_accvgpr_read_b32 v5, a58
	buffer_load_dword v2, v5, s[0:3], 0 offen
	buffer_load_dword v3, v5, s[0:3], 0 offen offset:4
	buffer_load_dword v4, v5, s[0:3], 0 offen offset:8
	s_nop 0
	buffer_load_dword v5, v5, s[0:3], 0 offen offset:12
	v_mov_b32_e32 v6, 0
	buffer_store_dword v6, off, s[0:3], 0 offset:176
	buffer_store_dword v6, off, s[0:3], 0 offset:180
	;; [unrolled: 1-line block ×4, first 2 shown]
	s_waitcnt vmcnt(4)
	ds_write_b128 v1, v[2:5]
.LBB28_165:
	s_or_b64 exec, exec, s[6:7]
	s_waitcnt lgkmcnt(0)
	; wave barrier
	s_waitcnt lgkmcnt(0)
	buffer_load_dword v2, off, s[0:3], 0 offset:192
	buffer_load_dword v3, off, s[0:3], 0 offset:196
	;; [unrolled: 1-line block ×68, first 2 shown]
	v_mov_b32_e32 v104, 0
	ds_read_b128 v[100:103], v104 offset:656
	ds_read_b128 v[106:109], v104 offset:672
	buffer_load_dword v178, off, s[0:3], 0 offset:176
	buffer_load_dword v179, off, s[0:3], 0 offset:180
	;; [unrolled: 1-line block ×4, first 2 shown]
	ds_read_b128 v[110:113], v104 offset:688
	ds_read_b128 v[114:117], v104 offset:704
	;; [unrolled: 1-line block ×3, first 2 shown]
	v_cmp_lt_u32_e32 vcc, 10, v219
	s_waitcnt vmcnt(62) lgkmcnt(4)
	v_mul_f64 v[118:119], v[100:101], v[8:9]
	v_fmac_f64_e32 v[118:119], v[102:103], v[2:3]
	v_add_f64 v[118:119], v[118:119], 0
	v_mul_f64 v[8:9], v[102:103], v[8:9]
	s_waitcnt lgkmcnt(3)
	v_mul_f64 v[120:121], v[106:107], v[10:11]
	v_fmac_f64_e32 v[120:121], v[108:109], v[4:5]
	v_add_f64 v[118:119], v[118:119], v[120:121]
	v_fma_f64 v[2:3], v[100:101], v[2:3], -v[8:9]
	s_waitcnt vmcnt(60) lgkmcnt(2)
	v_mul_f64 v[120:121], v[110:111], v[12:13]
	v_fmac_f64_e32 v[120:121], v[112:113], v[6:7]
	v_add_f64 v[122:123], v[118:119], v[120:121]
	ds_read_b128 v[118:121], v104 offset:720
	s_waitcnt vmcnt(56) lgkmcnt(2)
	v_mul_f64 v[124:125], v[114:115], v[18:19]
	v_mul_f64 v[8:9], v[108:109], v[10:11]
	s_waitcnt vmcnt(54)
	v_fmac_f64_e32 v[124:125], v[116:117], v[20:21]
	v_add_f64 v[126:127], v[122:123], v[124:125]
	ds_read_b128 v[122:125], v104 offset:736
	s_waitcnt vmcnt(52) lgkmcnt(1)
	v_mul_f64 v[128:129], v[118:119], v[14:15]
	v_fmac_f64_e32 v[128:129], v[120:121], v[16:17]
	v_add_f64 v[130:131], v[126:127], v[128:129]
	ds_read_b128 v[126:129], v104 offset:752
	s_waitcnt vmcnt(48) lgkmcnt(1)
	v_mul_f64 v[132:133], v[122:123], v[26:27]
	s_waitcnt vmcnt(46)
	v_fmac_f64_e32 v[132:133], v[124:125], v[28:29]
	v_add_f64 v[134:135], v[130:131], v[132:133]
	ds_read_b128 v[130:133], v104 offset:768
	s_waitcnt vmcnt(44) lgkmcnt(1)
	v_mul_f64 v[136:137], v[126:127], v[22:23]
	v_fmac_f64_e32 v[136:137], v[128:129], v[24:25]
	v_add_f64 v[138:139], v[134:135], v[136:137]
	ds_read_b128 v[134:137], v104 offset:784
	s_waitcnt vmcnt(40) lgkmcnt(1)
	v_mul_f64 v[140:141], v[130:131], v[34:35]
	s_waitcnt vmcnt(38)
	v_fmac_f64_e32 v[140:141], v[132:133], v[36:37]
	v_add_f64 v[2:3], v[2:3], 0
	v_fma_f64 v[4:5], v[106:107], v[4:5], -v[8:9]
	v_add_f64 v[142:143], v[138:139], v[140:141]
	ds_read_b128 v[138:141], v104 offset:800
	v_add_f64 v[2:3], v[2:3], v[4:5]
	v_mul_f64 v[4:5], v[112:113], v[12:13]
	v_fma_f64 v[4:5], v[110:111], v[6:7], -v[4:5]
	v_add_f64 v[2:3], v[2:3], v[4:5]
	v_mul_f64 v[4:5], v[116:117], v[18:19]
	s_waitcnt vmcnt(36) lgkmcnt(1)
	v_mul_f64 v[144:145], v[134:135], v[30:31]
	v_fma_f64 v[4:5], v[114:115], v[20:21], -v[4:5]
	v_fmac_f64_e32 v[144:145], v[136:137], v[32:33]
	v_add_f64 v[2:3], v[2:3], v[4:5]
	v_mul_f64 v[4:5], v[120:121], v[14:15]
	v_add_f64 v[146:147], v[142:143], v[144:145]
	ds_read_b128 v[142:145], v104 offset:816
	s_waitcnt vmcnt(32) lgkmcnt(1)
	v_mul_f64 v[148:149], v[138:139], v[40:41]
	v_fma_f64 v[4:5], v[118:119], v[16:17], -v[4:5]
	s_waitcnt vmcnt(30)
	v_fmac_f64_e32 v[148:149], v[140:141], v[42:43]
	v_add_f64 v[2:3], v[2:3], v[4:5]
	v_mul_f64 v[4:5], v[124:125], v[26:27]
	v_add_f64 v[150:151], v[146:147], v[148:149]
	ds_read_b128 v[146:149], v104 offset:832
	v_fma_f64 v[4:5], v[122:123], v[28:29], -v[4:5]
	v_add_f64 v[2:3], v[2:3], v[4:5]
	v_mul_f64 v[4:5], v[128:129], v[22:23]
	v_fma_f64 v[4:5], v[126:127], v[24:25], -v[4:5]
	s_waitcnt vmcnt(28) lgkmcnt(1)
	v_mul_f64 v[152:153], v[142:143], v[96:97]
	v_add_f64 v[2:3], v[2:3], v[4:5]
	v_mul_f64 v[4:5], v[132:133], v[34:35]
	v_fmac_f64_e32 v[152:153], v[144:145], v[98:99]
	v_fma_f64 v[4:5], v[130:131], v[36:37], -v[4:5]
	v_add_f64 v[154:155], v[150:151], v[152:153]
	ds_read_b128 v[150:153], v104 offset:848
	s_waitcnt vmcnt(24) lgkmcnt(1)
	v_mul_f64 v[156:157], v[146:147], v[48:49]
	v_add_f64 v[2:3], v[2:3], v[4:5]
	v_mul_f64 v[4:5], v[136:137], v[30:31]
	s_waitcnt vmcnt(22)
	v_fmac_f64_e32 v[156:157], v[148:149], v[50:51]
	v_fma_f64 v[4:5], v[134:135], v[32:33], -v[4:5]
	v_add_f64 v[158:159], v[154:155], v[156:157]
	ds_read_b128 v[154:157], v104 offset:864
	v_add_f64 v[2:3], v[2:3], v[4:5]
	v_mul_f64 v[4:5], v[140:141], v[40:41]
	v_fma_f64 v[4:5], v[138:139], v[42:43], -v[4:5]
	v_add_f64 v[2:3], v[2:3], v[4:5]
	v_mul_f64 v[4:5], v[144:145], v[96:97]
	s_waitcnt vmcnt(20) lgkmcnt(1)
	v_mul_f64 v[160:161], v[150:151], v[44:45]
	v_fma_f64 v[4:5], v[142:143], v[98:99], -v[4:5]
	v_fmac_f64_e32 v[160:161], v[152:153], v[46:47]
	v_add_f64 v[2:3], v[2:3], v[4:5]
	v_mul_f64 v[4:5], v[148:149], v[48:49]
	v_add_f64 v[162:163], v[158:159], v[160:161]
	ds_read_b128 v[158:161], v104 offset:880
	s_waitcnt vmcnt(16) lgkmcnt(1)
	v_mul_f64 v[164:165], v[154:155], v[56:57]
	v_fma_f64 v[4:5], v[146:147], v[50:51], -v[4:5]
	s_waitcnt vmcnt(14)
	v_fmac_f64_e32 v[164:165], v[156:157], v[58:59]
	v_add_f64 v[2:3], v[2:3], v[4:5]
	v_mul_f64 v[4:5], v[152:153], v[44:45]
	v_add_f64 v[184:185], v[162:163], v[164:165]
	ds_read_b128 v[162:165], v104 offset:896
	v_fma_f64 v[4:5], v[150:151], v[46:47], -v[4:5]
	v_add_f64 v[2:3], v[2:3], v[4:5]
	v_mul_f64 v[4:5], v[156:157], v[56:57]
	v_fma_f64 v[4:5], v[154:155], v[58:59], -v[4:5]
	v_add_f64 v[2:3], v[2:3], v[4:5]
	s_waitcnt vmcnt(12) lgkmcnt(1)
	v_mul_f64 v[4:5], v[160:161], v[52:53]
	v_mul_f64 v[186:187], v[158:159], v[52:53]
	v_fma_f64 v[4:5], v[158:159], v[54:55], -v[4:5]
	v_fmac_f64_e32 v[186:187], v[160:161], v[54:55]
	v_add_f64 v[2:3], v[2:3], v[4:5]
	s_waitcnt vmcnt(8) lgkmcnt(0)
	v_mul_f64 v[4:5], v[164:165], v[174:175]
	v_add_f64 v[184:185], v[184:185], v[186:187]
	v_mul_f64 v[186:187], v[162:163], v[174:175]
	s_waitcnt vmcnt(6)
	v_fma_f64 v[4:5], v[162:163], v[176:177], -v[4:5]
	v_fmac_f64_e32 v[186:187], v[164:165], v[176:177]
	v_add_f64 v[2:3], v[2:3], v[4:5]
	s_waitcnt vmcnt(5)
	v_mul_f64 v[4:5], v[168:169], v[170:171]
	v_add_f64 v[184:185], v[184:185], v[186:187]
	v_mul_f64 v[186:187], v[166:167], v[170:171]
	s_waitcnt vmcnt(4)
	v_fma_f64 v[4:5], v[166:167], v[172:173], -v[4:5]
	v_fmac_f64_e32 v[186:187], v[168:169], v[172:173]
	v_add_f64 v[2:3], v[2:3], v[4:5]
	v_add_f64 v[184:185], v[184:185], v[186:187]
	s_waitcnt vmcnt(2)
	v_add_f64 v[2:3], v[178:179], -v[2:3]
	s_waitcnt vmcnt(0)
	v_add_f64 v[4:5], v[180:181], -v[184:185]
	buffer_store_dword v3, off, s[0:3], 0 offset:180
	buffer_store_dword v2, off, s[0:3], 0 offset:176
	;; [unrolled: 1-line block ×4, first 2 shown]
	s_and_saveexec_b64 s[6:7], vcc
	s_cbranch_execz .LBB28_167
; %bb.166:
	v_accvgpr_read_b32 v5, a60
	buffer_load_dword v2, v5, s[0:3], 0 offen
	buffer_load_dword v3, v5, s[0:3], 0 offen offset:4
	buffer_load_dword v4, v5, s[0:3], 0 offen offset:8
	s_nop 0
	buffer_load_dword v5, v5, s[0:3], 0 offen offset:12
	s_nop 0
	buffer_store_dword v104, off, s[0:3], 0 offset:160
	buffer_store_dword v104, off, s[0:3], 0 offset:164
	;; [unrolled: 1-line block ×4, first 2 shown]
	s_waitcnt vmcnt(4)
	ds_write_b128 v1, v[2:5]
.LBB28_167:
	s_or_b64 exec, exec, s[6:7]
	s_waitcnt lgkmcnt(0)
	; wave barrier
	s_waitcnt lgkmcnt(0)
	buffer_load_dword v2, off, s[0:3], 0 offset:176
	buffer_load_dword v3, off, s[0:3], 0 offset:180
	;; [unrolled: 1-line block ×72, first 2 shown]
	ds_read_b128 v[106:109], v104 offset:640
	buffer_load_dword v188, off, s[0:3], 0 offset:160
	buffer_load_dword v189, off, s[0:3], 0 offset:164
	;; [unrolled: 1-line block ×4, first 2 shown]
	ds_read_b128 v[110:113], v104 offset:656
	ds_read_b128 v[114:117], v104 offset:672
	ds_read_b128 v[118:121], v104 offset:688
	v_cmp_lt_u32_e32 vcc, 9, v219
	ds_read_b128 v[174:177], v104 offset:912
	s_waitcnt vmcnt(62) lgkmcnt(4)
	v_mul_f64 v[122:123], v[106:107], v[8:9]
	v_fmac_f64_e32 v[122:123], v[108:109], v[2:3]
	v_add_f64 v[122:123], v[122:123], 0
	v_mul_f64 v[8:9], v[108:109], v[8:9]
	s_waitcnt lgkmcnt(3)
	v_mul_f64 v[124:125], v[110:111], v[10:11]
	v_fmac_f64_e32 v[124:125], v[112:113], v[4:5]
	v_add_f64 v[122:123], v[122:123], v[124:125]
	v_fma_f64 v[2:3], v[106:107], v[2:3], -v[8:9]
	s_waitcnt lgkmcnt(2)
	v_mul_f64 v[124:125], v[114:115], v[12:13]
	v_fmac_f64_e32 v[124:125], v[116:117], v[6:7]
	v_add_f64 v[126:127], v[122:123], v[124:125]
	ds_read_b128 v[122:125], v104 offset:704
	s_waitcnt vmcnt(60) lgkmcnt(2)
	v_mul_f64 v[128:129], v[118:119], v[18:19]
	v_mul_f64 v[8:9], v[112:113], v[10:11]
	s_waitcnt vmcnt(58)
	v_fmac_f64_e32 v[128:129], v[120:121], v[20:21]
	v_add_f64 v[130:131], v[126:127], v[128:129]
	ds_read_b128 v[126:129], v104 offset:720
	s_waitcnt vmcnt(56) lgkmcnt(1)
	v_mul_f64 v[132:133], v[122:123], v[14:15]
	v_fmac_f64_e32 v[132:133], v[124:125], v[16:17]
	v_add_f64 v[134:135], v[130:131], v[132:133]
	ds_read_b128 v[130:133], v104 offset:736
	s_waitcnt vmcnt(52) lgkmcnt(1)
	v_mul_f64 v[136:137], v[126:127], v[26:27]
	s_waitcnt vmcnt(50)
	v_fmac_f64_e32 v[136:137], v[128:129], v[28:29]
	v_add_f64 v[138:139], v[134:135], v[136:137]
	ds_read_b128 v[134:137], v104 offset:752
	s_waitcnt vmcnt(48) lgkmcnt(1)
	v_mul_f64 v[140:141], v[130:131], v[22:23]
	v_fmac_f64_e32 v[140:141], v[132:133], v[24:25]
	v_add_f64 v[142:143], v[138:139], v[140:141]
	ds_read_b128 v[138:141], v104 offset:768
	s_waitcnt vmcnt(44) lgkmcnt(1)
	v_mul_f64 v[144:145], v[134:135], v[34:35]
	s_waitcnt vmcnt(42)
	v_fmac_f64_e32 v[144:145], v[136:137], v[36:37]
	v_add_f64 v[2:3], v[2:3], 0
	v_fma_f64 v[4:5], v[110:111], v[4:5], -v[8:9]
	v_add_f64 v[146:147], v[142:143], v[144:145]
	ds_read_b128 v[142:145], v104 offset:784
	s_waitcnt vmcnt(40) lgkmcnt(1)
	v_mul_f64 v[148:149], v[138:139], v[30:31]
	v_add_f64 v[2:3], v[2:3], v[4:5]
	v_mul_f64 v[4:5], v[116:117], v[12:13]
	v_fmac_f64_e32 v[148:149], v[140:141], v[32:33]
	v_fma_f64 v[4:5], v[114:115], v[6:7], -v[4:5]
	v_add_f64 v[150:151], v[146:147], v[148:149]
	ds_read_b128 v[146:149], v104 offset:800
	v_add_f64 v[2:3], v[2:3], v[4:5]
	v_mul_f64 v[4:5], v[120:121], v[18:19]
	v_fma_f64 v[4:5], v[118:119], v[20:21], -v[4:5]
	v_add_f64 v[2:3], v[2:3], v[4:5]
	v_mul_f64 v[4:5], v[124:125], v[14:15]
	s_waitcnt vmcnt(36) lgkmcnt(1)
	v_mul_f64 v[152:153], v[142:143], v[100:101]
	v_fma_f64 v[4:5], v[122:123], v[16:17], -v[4:5]
	s_waitcnt vmcnt(34)
	v_fmac_f64_e32 v[152:153], v[144:145], v[102:103]
	v_add_f64 v[2:3], v[2:3], v[4:5]
	v_mul_f64 v[4:5], v[128:129], v[26:27]
	v_add_f64 v[154:155], v[150:151], v[152:153]
	ds_read_b128 v[150:153], v104 offset:816
	s_waitcnt vmcnt(32) lgkmcnt(1)
	v_mul_f64 v[156:157], v[146:147], v[96:97]
	v_fma_f64 v[4:5], v[126:127], v[28:29], -v[4:5]
	v_fmac_f64_e32 v[156:157], v[148:149], v[98:99]
	v_add_f64 v[2:3], v[2:3], v[4:5]
	v_mul_f64 v[4:5], v[132:133], v[22:23]
	v_add_f64 v[158:159], v[154:155], v[156:157]
	ds_read_b128 v[154:157], v104 offset:832
	v_fma_f64 v[4:5], v[130:131], v[24:25], -v[4:5]
	v_add_f64 v[2:3], v[2:3], v[4:5]
	v_mul_f64 v[4:5], v[136:137], v[34:35]
	v_fma_f64 v[4:5], v[134:135], v[36:37], -v[4:5]
	s_waitcnt vmcnt(28) lgkmcnt(1)
	v_mul_f64 v[160:161], v[150:151], v[44:45]
	v_add_f64 v[2:3], v[2:3], v[4:5]
	v_mul_f64 v[4:5], v[140:141], v[30:31]
	s_waitcnt vmcnt(26)
	v_fmac_f64_e32 v[160:161], v[152:153], v[46:47]
	v_fma_f64 v[4:5], v[138:139], v[32:33], -v[4:5]
	v_add_f64 v[162:163], v[158:159], v[160:161]
	ds_read_b128 v[158:161], v104 offset:848
	s_waitcnt vmcnt(24) lgkmcnt(1)
	v_mul_f64 v[164:165], v[154:155], v[40:41]
	v_add_f64 v[2:3], v[2:3], v[4:5]
	v_mul_f64 v[4:5], v[144:145], v[100:101]
	v_fmac_f64_e32 v[164:165], v[156:157], v[42:43]
	v_fma_f64 v[4:5], v[142:143], v[102:103], -v[4:5]
	v_add_f64 v[166:167], v[162:163], v[164:165]
	ds_read_b128 v[162:165], v104 offset:864
	v_add_f64 v[2:3], v[2:3], v[4:5]
	v_mul_f64 v[4:5], v[148:149], v[96:97]
	v_fma_f64 v[4:5], v[146:147], v[98:99], -v[4:5]
	v_add_f64 v[2:3], v[2:3], v[4:5]
	v_mul_f64 v[4:5], v[152:153], v[44:45]
	s_waitcnt vmcnt(20) lgkmcnt(1)
	v_mul_f64 v[168:169], v[158:159], v[52:53]
	v_fma_f64 v[4:5], v[150:151], v[46:47], -v[4:5]
	s_waitcnt vmcnt(18)
	v_fmac_f64_e32 v[168:169], v[160:161], v[54:55]
	v_add_f64 v[2:3], v[2:3], v[4:5]
	v_mul_f64 v[4:5], v[156:157], v[40:41]
	v_add_f64 v[170:171], v[166:167], v[168:169]
	ds_read_b128 v[166:169], v104 offset:880
	s_waitcnt vmcnt(16) lgkmcnt(1)
	v_mul_f64 v[172:173], v[162:163], v[48:49]
	v_fma_f64 v[4:5], v[154:155], v[42:43], -v[4:5]
	v_fmac_f64_e32 v[172:173], v[164:165], v[50:51]
	v_add_f64 v[2:3], v[2:3], v[4:5]
	v_mul_f64 v[4:5], v[160:161], v[52:53]
	v_add_f64 v[192:193], v[170:171], v[172:173]
	ds_read_b128 v[170:173], v104 offset:896
	v_fma_f64 v[4:5], v[158:159], v[54:55], -v[4:5]
	v_add_f64 v[2:3], v[2:3], v[4:5]
	v_mul_f64 v[4:5], v[164:165], v[48:49]
	v_fma_f64 v[4:5], v[162:163], v[50:51], -v[4:5]
	v_add_f64 v[2:3], v[2:3], v[4:5]
	s_waitcnt vmcnt(12) lgkmcnt(1)
	v_mul_f64 v[4:5], v[168:169], v[178:179]
	v_mul_f64 v[194:195], v[166:167], v[178:179]
	s_waitcnt vmcnt(10)
	v_fma_f64 v[4:5], v[166:167], v[180:181], -v[4:5]
	v_fmac_f64_e32 v[194:195], v[168:169], v[180:181]
	v_add_f64 v[2:3], v[2:3], v[4:5]
	s_waitcnt vmcnt(8) lgkmcnt(0)
	v_mul_f64 v[4:5], v[172:173], v[56:57]
	v_add_f64 v[104:105], v[192:193], v[194:195]
	v_mul_f64 v[192:193], v[170:171], v[56:57]
	v_fma_f64 v[4:5], v[170:171], v[58:59], -v[4:5]
	v_fmac_f64_e32 v[192:193], v[172:173], v[58:59]
	v_add_f64 v[2:3], v[2:3], v[4:5]
	s_waitcnt vmcnt(6)
	v_mul_f64 v[4:5], v[176:177], v[184:185]
	v_add_f64 v[104:105], v[104:105], v[192:193]
	v_mul_f64 v[192:193], v[174:175], v[184:185]
	s_waitcnt vmcnt(4)
	v_fma_f64 v[4:5], v[174:175], v[186:187], -v[4:5]
	v_fmac_f64_e32 v[192:193], v[176:177], v[186:187]
	v_add_f64 v[2:3], v[2:3], v[4:5]
	v_add_f64 v[104:105], v[104:105], v[192:193]
	s_waitcnt vmcnt(2)
	v_add_f64 v[2:3], v[188:189], -v[2:3]
	s_waitcnt vmcnt(0)
	v_add_f64 v[4:5], v[190:191], -v[104:105]
	buffer_store_dword v3, off, s[0:3], 0 offset:164
	buffer_store_dword v2, off, s[0:3], 0 offset:160
	;; [unrolled: 1-line block ×4, first 2 shown]
	s_and_saveexec_b64 s[6:7], vcc
	s_cbranch_execz .LBB28_169
; %bb.168:
	v_accvgpr_read_b32 v5, a57
	buffer_load_dword v2, v5, s[0:3], 0 offen
	buffer_load_dword v3, v5, s[0:3], 0 offen offset:4
	buffer_load_dword v4, v5, s[0:3], 0 offen offset:8
	s_nop 0
	buffer_load_dword v5, v5, s[0:3], 0 offen offset:12
	v_mov_b32_e32 v6, 0
	buffer_store_dword v6, off, s[0:3], 0 offset:144
	buffer_store_dword v6, off, s[0:3], 0 offset:148
	;; [unrolled: 1-line block ×4, first 2 shown]
	s_waitcnt vmcnt(4)
	ds_write_b128 v1, v[2:5]
.LBB28_169:
	s_or_b64 exec, exec, s[6:7]
	s_waitcnt lgkmcnt(0)
	; wave barrier
	s_waitcnt lgkmcnt(0)
	buffer_load_dword v2, off, s[0:3], 0 offset:160
	buffer_load_dword v3, off, s[0:3], 0 offset:164
	;; [unrolled: 1-line block ×76, first 2 shown]
	v_mov_b32_e32 v112, 0
	ds_read_b128 v[114:117], v112 offset:624
	buffer_load_dword v196, off, s[0:3], 0 offset:144
	buffer_load_dword v197, off, s[0:3], 0 offset:148
	;; [unrolled: 1-line block ×4, first 2 shown]
	ds_read_b128 v[118:121], v112 offset:640
	ds_read_b128 v[122:125], v112 offset:656
	;; [unrolled: 1-line block ×4, first 2 shown]
	v_cmp_lt_u32_e32 vcc, 8, v219
	s_waitcnt vmcnt(62) lgkmcnt(4)
	v_mul_f64 v[130:131], v[114:115], v[8:9]
	v_fmac_f64_e32 v[130:131], v[116:117], v[2:3]
	v_add_f64 v[130:131], v[130:131], 0
	v_mul_f64 v[8:9], v[116:117], v[8:9]
	s_waitcnt lgkmcnt(3)
	v_mul_f64 v[132:133], v[118:119], v[10:11]
	v_fmac_f64_e32 v[132:133], v[120:121], v[4:5]
	v_add_f64 v[130:131], v[130:131], v[132:133]
	v_fma_f64 v[2:3], v[114:115], v[2:3], -v[8:9]
	s_waitcnt lgkmcnt(2)
	v_mul_f64 v[132:133], v[122:123], v[12:13]
	v_fmac_f64_e32 v[132:133], v[124:125], v[6:7]
	v_add_f64 v[134:135], v[130:131], v[132:133]
	ds_read_b128 v[130:133], v112 offset:688
	s_waitcnt lgkmcnt(2)
	v_mul_f64 v[136:137], v[126:127], v[18:19]
	v_mul_f64 v[8:9], v[120:121], v[10:11]
	v_fmac_f64_e32 v[136:137], v[128:129], v[20:21]
	v_add_f64 v[138:139], v[134:135], v[136:137]
	ds_read_b128 v[134:137], v112 offset:704
	s_waitcnt vmcnt(60) lgkmcnt(1)
	v_mul_f64 v[140:141], v[130:131], v[14:15]
	v_fmac_f64_e32 v[140:141], v[132:133], v[16:17]
	v_add_f64 v[142:143], v[138:139], v[140:141]
	ds_read_b128 v[138:141], v112 offset:720
	s_waitcnt vmcnt(56) lgkmcnt(1)
	v_mul_f64 v[144:145], v[134:135], v[26:27]
	s_waitcnt vmcnt(54)
	v_fmac_f64_e32 v[144:145], v[136:137], v[28:29]
	v_add_f64 v[146:147], v[142:143], v[144:145]
	ds_read_b128 v[142:145], v112 offset:736
	s_waitcnt vmcnt(52) lgkmcnt(1)
	v_mul_f64 v[148:149], v[138:139], v[22:23]
	v_fmac_f64_e32 v[148:149], v[140:141], v[24:25]
	v_add_f64 v[150:151], v[146:147], v[148:149]
	ds_read_b128 v[146:149], v112 offset:752
	s_waitcnt vmcnt(48) lgkmcnt(1)
	v_mul_f64 v[152:153], v[142:143], v[34:35]
	s_waitcnt vmcnt(46)
	v_fmac_f64_e32 v[152:153], v[144:145], v[36:37]
	v_add_f64 v[154:155], v[150:151], v[152:153]
	ds_read_b128 v[150:153], v112 offset:768
	v_add_f64 v[2:3], v[2:3], 0
	v_fma_f64 v[4:5], v[118:119], v[4:5], -v[8:9]
	s_waitcnt vmcnt(44) lgkmcnt(1)
	v_mul_f64 v[156:157], v[146:147], v[30:31]
	v_add_f64 v[2:3], v[2:3], v[4:5]
	v_mul_f64 v[4:5], v[124:125], v[12:13]
	v_fmac_f64_e32 v[156:157], v[148:149], v[32:33]
	v_fma_f64 v[4:5], v[122:123], v[6:7], -v[4:5]
	v_add_f64 v[158:159], v[154:155], v[156:157]
	ds_read_b128 v[154:157], v112 offset:784
	s_waitcnt vmcnt(40) lgkmcnt(1)
	v_mul_f64 v[160:161], v[150:151], v[100:101]
	v_add_f64 v[2:3], v[2:3], v[4:5]
	v_mul_f64 v[4:5], v[128:129], v[18:19]
	s_waitcnt vmcnt(38)
	v_fmac_f64_e32 v[160:161], v[152:153], v[102:103]
	v_fma_f64 v[4:5], v[126:127], v[20:21], -v[4:5]
	v_add_f64 v[162:163], v[158:159], v[160:161]
	ds_read_b128 v[158:161], v112 offset:800
	v_add_f64 v[2:3], v[2:3], v[4:5]
	v_mul_f64 v[4:5], v[132:133], v[14:15]
	v_fma_f64 v[4:5], v[130:131], v[16:17], -v[4:5]
	v_add_f64 v[2:3], v[2:3], v[4:5]
	v_mul_f64 v[4:5], v[136:137], v[26:27]
	s_waitcnt vmcnt(36) lgkmcnt(1)
	v_mul_f64 v[164:165], v[154:155], v[96:97]
	v_fma_f64 v[4:5], v[134:135], v[28:29], -v[4:5]
	v_fmac_f64_e32 v[164:165], v[156:157], v[98:99]
	v_add_f64 v[2:3], v[2:3], v[4:5]
	v_mul_f64 v[4:5], v[140:141], v[22:23]
	v_add_f64 v[166:167], v[162:163], v[164:165]
	ds_read_b128 v[162:165], v112 offset:816
	s_waitcnt vmcnt(32) lgkmcnt(1)
	v_mul_f64 v[168:169], v[158:159], v[108:109]
	v_fma_f64 v[4:5], v[138:139], v[24:25], -v[4:5]
	s_waitcnt vmcnt(30)
	v_fmac_f64_e32 v[168:169], v[160:161], v[110:111]
	v_add_f64 v[2:3], v[2:3], v[4:5]
	v_mul_f64 v[4:5], v[144:145], v[34:35]
	v_add_f64 v[170:171], v[166:167], v[168:169]
	ds_read_b128 v[166:169], v112 offset:832
	v_fma_f64 v[4:5], v[142:143], v[36:37], -v[4:5]
	v_add_f64 v[2:3], v[2:3], v[4:5]
	v_mul_f64 v[4:5], v[148:149], v[30:31]
	v_fma_f64 v[4:5], v[146:147], v[32:33], -v[4:5]
	s_waitcnt vmcnt(28) lgkmcnt(1)
	v_mul_f64 v[172:173], v[162:163], v[104:105]
	v_add_f64 v[2:3], v[2:3], v[4:5]
	v_mul_f64 v[4:5], v[152:153], v[100:101]
	v_fmac_f64_e32 v[172:173], v[164:165], v[106:107]
	v_fma_f64 v[4:5], v[150:151], v[102:103], -v[4:5]
	v_add_f64 v[174:175], v[170:171], v[172:173]
	ds_read_b128 v[170:173], v112 offset:848
	s_waitcnt vmcnt(24) lgkmcnt(1)
	v_mul_f64 v[176:177], v[166:167], v[44:45]
	v_add_f64 v[2:3], v[2:3], v[4:5]
	v_mul_f64 v[4:5], v[156:157], v[96:97]
	s_waitcnt vmcnt(22)
	v_fmac_f64_e32 v[176:177], v[168:169], v[46:47]
	v_fma_f64 v[4:5], v[154:155], v[98:99], -v[4:5]
	v_add_f64 v[178:179], v[174:175], v[176:177]
	ds_read_b128 v[174:177], v112 offset:864
	v_add_f64 v[2:3], v[2:3], v[4:5]
	v_mul_f64 v[4:5], v[160:161], v[108:109]
	v_fma_f64 v[4:5], v[158:159], v[110:111], -v[4:5]
	v_add_f64 v[2:3], v[2:3], v[4:5]
	v_mul_f64 v[4:5], v[164:165], v[104:105]
	s_waitcnt vmcnt(20) lgkmcnt(1)
	v_mul_f64 v[180:181], v[170:171], v[40:41]
	v_fma_f64 v[4:5], v[162:163], v[106:107], -v[4:5]
	v_fmac_f64_e32 v[180:181], v[172:173], v[42:43]
	v_add_f64 v[2:3], v[2:3], v[4:5]
	v_mul_f64 v[4:5], v[168:169], v[44:45]
	v_add_f64 v[184:185], v[178:179], v[180:181]
	ds_read_b128 v[178:181], v112 offset:880
	s_waitcnt vmcnt(16) lgkmcnt(1)
	v_mul_f64 v[186:187], v[174:175], v[52:53]
	v_fma_f64 v[4:5], v[166:167], v[46:47], -v[4:5]
	s_waitcnt vmcnt(14)
	v_fmac_f64_e32 v[186:187], v[176:177], v[54:55]
	v_add_f64 v[2:3], v[2:3], v[4:5]
	v_mul_f64 v[4:5], v[172:173], v[40:41]
	v_add_f64 v[200:201], v[184:185], v[186:187]
	ds_read_b128 v[184:187], v112 offset:896
	v_fma_f64 v[4:5], v[170:171], v[42:43], -v[4:5]
	v_add_f64 v[2:3], v[2:3], v[4:5]
	v_mul_f64 v[4:5], v[176:177], v[52:53]
	v_fma_f64 v[4:5], v[174:175], v[54:55], -v[4:5]
	v_add_f64 v[2:3], v[2:3], v[4:5]
	s_waitcnt vmcnt(12) lgkmcnt(1)
	v_mul_f64 v[4:5], v[180:181], v[48:49]
	v_mul_f64 v[202:203], v[178:179], v[48:49]
	v_fma_f64 v[4:5], v[178:179], v[50:51], -v[4:5]
	v_fmac_f64_e32 v[202:203], v[180:181], v[50:51]
	v_add_f64 v[2:3], v[2:3], v[4:5]
	s_waitcnt vmcnt(8) lgkmcnt(0)
	v_mul_f64 v[4:5], v[186:187], v[192:193]
	v_add_f64 v[200:201], v[200:201], v[202:203]
	v_mul_f64 v[202:203], v[184:185], v[192:193]
	s_waitcnt vmcnt(6)
	v_fma_f64 v[4:5], v[184:185], v[194:195], -v[4:5]
	v_fmac_f64_e32 v[202:203], v[186:187], v[194:195]
	v_add_f64 v[2:3], v[2:3], v[4:5]
	s_waitcnt vmcnt(5)
	v_mul_f64 v[4:5], v[190:191], v[56:57]
	v_add_f64 v[200:201], v[200:201], v[202:203]
	v_mul_f64 v[202:203], v[188:189], v[56:57]
	s_waitcnt vmcnt(4)
	v_fma_f64 v[4:5], v[188:189], v[58:59], -v[4:5]
	v_fmac_f64_e32 v[202:203], v[190:191], v[58:59]
	v_add_f64 v[2:3], v[2:3], v[4:5]
	v_add_f64 v[200:201], v[200:201], v[202:203]
	s_waitcnt vmcnt(2)
	v_add_f64 v[2:3], v[196:197], -v[2:3]
	s_waitcnt vmcnt(0)
	v_add_f64 v[4:5], v[198:199], -v[200:201]
	buffer_store_dword v3, off, s[0:3], 0 offset:148
	buffer_store_dword v2, off, s[0:3], 0 offset:144
	;; [unrolled: 1-line block ×4, first 2 shown]
	s_and_saveexec_b64 s[6:7], vcc
	s_cbranch_execz .LBB28_171
; %bb.170:
	v_accvgpr_read_b32 v5, a59
	buffer_load_dword v2, v5, s[0:3], 0 offen
	buffer_load_dword v3, v5, s[0:3], 0 offen offset:4
	buffer_load_dword v4, v5, s[0:3], 0 offen offset:8
	s_nop 0
	buffer_load_dword v5, v5, s[0:3], 0 offen offset:12
	s_nop 0
	buffer_store_dword v112, off, s[0:3], 0 offset:128
	buffer_store_dword v112, off, s[0:3], 0 offset:132
	;; [unrolled: 1-line block ×4, first 2 shown]
	s_waitcnt vmcnt(4)
	ds_write_b128 v1, v[2:5]
.LBB28_171:
	s_or_b64 exec, exec, s[6:7]
	s_waitcnt lgkmcnt(0)
	; wave barrier
	s_waitcnt lgkmcnt(0)
	buffer_load_dword v2, off, s[0:3], 0 offset:144
	buffer_load_dword v3, off, s[0:3], 0 offset:148
	;; [unrolled: 1-line block ×76, first 2 shown]
	ds_read_b128 v[114:117], v112 offset:608
	buffer_load_dword v197, off, s[0:3], 0 offset:460
	buffer_load_dword v196, off, s[0:3], 0 offset:456
	;; [unrolled: 1-line block ×8, first 2 shown]
	ds_read_b128 v[118:121], v112 offset:624
	ds_read_b128 v[122:125], v112 offset:640
	;; [unrolled: 1-line block ×3, first 2 shown]
	v_cmp_lt_u32_e32 vcc, 7, v219
	ds_read_b128 v[220:223], v112 offset:912
	s_waitcnt vmcnt(62) lgkmcnt(4)
	v_mul_f64 v[130:131], v[114:115], v[8:9]
	v_fmac_f64_e32 v[130:131], v[116:117], v[2:3]
	v_add_f64 v[130:131], v[130:131], 0
	v_mul_f64 v[8:9], v[116:117], v[8:9]
	s_waitcnt lgkmcnt(3)
	v_mul_f64 v[132:133], v[118:119], v[10:11]
	v_fmac_f64_e32 v[132:133], v[120:121], v[4:5]
	v_add_f64 v[130:131], v[130:131], v[132:133]
	v_fma_f64 v[2:3], v[114:115], v[2:3], -v[8:9]
	s_waitcnt lgkmcnt(2)
	v_mul_f64 v[132:133], v[122:123], v[12:13]
	v_fmac_f64_e32 v[132:133], v[124:125], v[6:7]
	v_add_f64 v[134:135], v[130:131], v[132:133]
	ds_read_b128 v[130:133], v112 offset:672
	v_mul_f64 v[8:9], v[120:121], v[10:11]
	v_add_f64 v[2:3], v[2:3], 0
	s_waitcnt lgkmcnt(2)
	v_mul_f64 v[136:137], v[126:127], v[18:19]
	v_fma_f64 v[4:5], v[118:119], v[4:5], -v[8:9]
	v_fmac_f64_e32 v[136:137], v[128:129], v[20:21]
	v_add_f64 v[138:139], v[134:135], v[136:137]
	ds_read_b128 v[134:137], v112 offset:688
	s_waitcnt lgkmcnt(1)
	v_mul_f64 v[140:141], v[130:131], v[14:15]
	v_fmac_f64_e32 v[140:141], v[132:133], v[16:17]
	v_add_f64 v[142:143], v[138:139], v[140:141]
	ds_read_b128 v[138:141], v112 offset:704
	s_waitcnt vmcnt(58) lgkmcnt(1)
	v_mul_f64 v[144:145], v[134:135], v[26:27]
	s_waitcnt vmcnt(56)
	v_fmac_f64_e32 v[144:145], v[136:137], v[28:29]
	v_add_f64 v[146:147], v[142:143], v[144:145]
	ds_read_b128 v[142:145], v112 offset:720
	s_waitcnt lgkmcnt(1)
	v_mul_f64 v[148:149], v[138:139], v[22:23]
	v_fmac_f64_e32 v[148:149], v[140:141], v[24:25]
	v_add_f64 v[150:151], v[146:147], v[148:149]
	ds_read_b128 v[146:149], v112 offset:736
	s_waitcnt vmcnt(50) lgkmcnt(1)
	v_mul_f64 v[152:153], v[142:143], v[34:35]
	s_waitcnt vmcnt(48)
	v_fmac_f64_e32 v[152:153], v[144:145], v[36:37]
	v_add_f64 v[154:155], v[150:151], v[152:153]
	ds_read_b128 v[150:153], v112 offset:752
	s_waitcnt lgkmcnt(1)
	v_mul_f64 v[156:157], v[146:147], v[30:31]
	v_fmac_f64_e32 v[156:157], v[148:149], v[32:33]
	v_add_f64 v[158:159], v[154:155], v[156:157]
	ds_read_b128 v[154:157], v112 offset:768
	v_add_f64 v[2:3], v[2:3], v[4:5]
	v_mul_f64 v[4:5], v[124:125], v[12:13]
	v_fma_f64 v[4:5], v[122:123], v[6:7], -v[4:5]
	s_waitcnt vmcnt(42) lgkmcnt(1)
	v_mul_f64 v[160:161], v[150:151], v[100:101]
	v_add_f64 v[2:3], v[2:3], v[4:5]
	v_mul_f64 v[4:5], v[128:129], v[18:19]
	s_waitcnt vmcnt(40)
	v_fmac_f64_e32 v[160:161], v[152:153], v[102:103]
	v_fma_f64 v[4:5], v[126:127], v[20:21], -v[4:5]
	v_add_f64 v[162:163], v[158:159], v[160:161]
	ds_read_b128 v[158:161], v112 offset:784
	s_waitcnt lgkmcnt(1)
	v_mul_f64 v[164:165], v[154:155], v[96:97]
	v_add_f64 v[2:3], v[2:3], v[4:5]
	v_mul_f64 v[4:5], v[132:133], v[14:15]
	v_fmac_f64_e32 v[164:165], v[156:157], v[98:99]
	v_fma_f64 v[4:5], v[130:131], v[16:17], -v[4:5]
	v_add_f64 v[166:167], v[162:163], v[164:165]
	ds_read_b128 v[162:165], v112 offset:800
	v_add_f64 v[2:3], v[2:3], v[4:5]
	v_mul_f64 v[4:5], v[136:137], v[26:27]
	v_fma_f64 v[4:5], v[134:135], v[28:29], -v[4:5]
	v_add_f64 v[2:3], v[2:3], v[4:5]
	v_mul_f64 v[4:5], v[140:141], v[22:23]
	s_waitcnt vmcnt(34) lgkmcnt(1)
	v_mul_f64 v[168:169], v[158:159], v[108:109]
	v_fma_f64 v[4:5], v[138:139], v[24:25], -v[4:5]
	s_waitcnt vmcnt(32)
	v_fmac_f64_e32 v[168:169], v[160:161], v[110:111]
	v_add_f64 v[2:3], v[2:3], v[4:5]
	v_mul_f64 v[4:5], v[144:145], v[34:35]
	v_add_f64 v[170:171], v[166:167], v[168:169]
	ds_read_b128 v[166:169], v112 offset:816
	s_waitcnt lgkmcnt(1)
	v_mul_f64 v[172:173], v[162:163], v[104:105]
	v_fma_f64 v[4:5], v[142:143], v[36:37], -v[4:5]
	v_fmac_f64_e32 v[172:173], v[164:165], v[106:107]
	v_add_f64 v[2:3], v[2:3], v[4:5]
	v_mul_f64 v[4:5], v[148:149], v[30:31]
	v_add_f64 v[174:175], v[170:171], v[172:173]
	ds_read_b128 v[170:173], v112 offset:832
	v_fma_f64 v[4:5], v[146:147], v[32:33], -v[4:5]
	v_add_f64 v[2:3], v[2:3], v[4:5]
	v_mul_f64 v[4:5], v[152:153], v[100:101]
	v_fma_f64 v[4:5], v[150:151], v[102:103], -v[4:5]
	s_waitcnt vmcnt(26) lgkmcnt(1)
	v_mul_f64 v[176:177], v[166:167], v[44:45]
	v_add_f64 v[2:3], v[2:3], v[4:5]
	v_mul_f64 v[4:5], v[156:157], v[96:97]
	s_waitcnt vmcnt(24)
	v_fmac_f64_e32 v[176:177], v[168:169], v[46:47]
	v_fma_f64 v[4:5], v[154:155], v[98:99], -v[4:5]
	v_add_f64 v[178:179], v[174:175], v[176:177]
	ds_read_b128 v[174:177], v112 offset:848
	s_waitcnt lgkmcnt(1)
	v_mul_f64 v[180:181], v[170:171], v[40:41]
	v_add_f64 v[2:3], v[2:3], v[4:5]
	v_mul_f64 v[4:5], v[160:161], v[108:109]
	v_fmac_f64_e32 v[180:181], v[172:173], v[42:43]
	v_fma_f64 v[4:5], v[158:159], v[110:111], -v[4:5]
	v_add_f64 v[184:185], v[178:179], v[180:181]
	ds_read_b128 v[178:181], v112 offset:864
	v_add_f64 v[2:3], v[2:3], v[4:5]
	v_mul_f64 v[4:5], v[164:165], v[104:105]
	v_fma_f64 v[4:5], v[162:163], v[106:107], -v[4:5]
	v_add_f64 v[2:3], v[2:3], v[4:5]
	v_mul_f64 v[4:5], v[168:169], v[44:45]
	s_waitcnt vmcnt(18) lgkmcnt(1)
	v_mul_f64 v[186:187], v[174:175], v[52:53]
	v_fma_f64 v[4:5], v[166:167], v[46:47], -v[4:5]
	s_waitcnt vmcnt(16)
	v_fmac_f64_e32 v[186:187], v[176:177], v[54:55]
	v_add_f64 v[2:3], v[2:3], v[4:5]
	v_mul_f64 v[4:5], v[172:173], v[40:41]
	v_add_f64 v[188:189], v[184:185], v[186:187]
	ds_read_b128 v[184:187], v112 offset:880
	s_waitcnt lgkmcnt(1)
	v_mul_f64 v[190:191], v[178:179], v[48:49]
	v_fma_f64 v[4:5], v[170:171], v[42:43], -v[4:5]
	v_fmac_f64_e32 v[190:191], v[180:181], v[50:51]
	v_add_f64 v[2:3], v[2:3], v[4:5]
	v_mul_f64 v[4:5], v[176:177], v[52:53]
	v_add_f64 v[204:205], v[188:189], v[190:191]
	ds_read_b128 v[188:191], v112 offset:896
	v_fma_f64 v[4:5], v[174:175], v[54:55], -v[4:5]
	v_add_f64 v[2:3], v[2:3], v[4:5]
	v_mul_f64 v[4:5], v[180:181], v[48:49]
	v_fma_f64 v[4:5], v[178:179], v[50:51], -v[4:5]
	v_add_f64 v[2:3], v[2:3], v[4:5]
	s_waitcnt vmcnt(10) lgkmcnt(1)
	v_mul_f64 v[4:5], v[186:187], v[192:193]
	v_mul_f64 v[206:207], v[184:185], v[192:193]
	s_waitcnt vmcnt(8)
	v_fma_f64 v[4:5], v[184:185], v[194:195], -v[4:5]
	v_fmac_f64_e32 v[206:207], v[186:187], v[194:195]
	v_add_f64 v[2:3], v[2:3], v[4:5]
	s_waitcnt lgkmcnt(0)
	v_mul_f64 v[4:5], v[190:191], v[56:57]
	v_add_f64 v[112:113], v[204:205], v[206:207]
	v_mul_f64 v[204:205], v[188:189], v[56:57]
	v_fma_f64 v[4:5], v[188:189], v[58:59], -v[4:5]
	v_fmac_f64_e32 v[204:205], v[190:191], v[58:59]
	v_add_f64 v[2:3], v[2:3], v[4:5]
	s_waitcnt vmcnt(6)
	v_mul_f64 v[4:5], v[222:223], v[196:197]
	v_add_f64 v[112:113], v[112:113], v[204:205]
	v_mul_f64 v[204:205], v[220:221], v[196:197]
	s_waitcnt vmcnt(4)
	v_fma_f64 v[4:5], v[220:221], v[198:199], -v[4:5]
	v_fmac_f64_e32 v[204:205], v[222:223], v[198:199]
	v_add_f64 v[2:3], v[2:3], v[4:5]
	v_add_f64 v[112:113], v[112:113], v[204:205]
	s_waitcnt vmcnt(2)
	v_add_f64 v[2:3], v[200:201], -v[2:3]
	s_waitcnt vmcnt(0)
	v_add_f64 v[4:5], v[202:203], -v[112:113]
	buffer_store_dword v3, off, s[0:3], 0 offset:132
	buffer_store_dword v2, off, s[0:3], 0 offset:128
	;; [unrolled: 1-line block ×4, first 2 shown]
	s_and_saveexec_b64 s[6:7], vcc
	s_cbranch_execz .LBB28_173
; %bb.172:
	v_accvgpr_read_b32 v5, a63
	buffer_load_dword v2, v5, s[0:3], 0 offen
	buffer_load_dword v3, v5, s[0:3], 0 offen offset:4
	buffer_load_dword v4, v5, s[0:3], 0 offen offset:8
	s_nop 0
	buffer_load_dword v5, v5, s[0:3], 0 offen offset:12
	v_mov_b32_e32 v6, 0
	buffer_store_dword v6, off, s[0:3], 0 offset:112
	buffer_store_dword v6, off, s[0:3], 0 offset:116
	;; [unrolled: 1-line block ×4, first 2 shown]
	s_waitcnt vmcnt(4)
	ds_write_b128 v1, v[2:5]
.LBB28_173:
	s_or_b64 exec, exec, s[6:7]
	s_waitcnt lgkmcnt(0)
	; wave barrier
	s_waitcnt lgkmcnt(0)
	buffer_load_dword v4, off, s[0:3], 0 offset:112
	buffer_load_dword v5, off, s[0:3], 0 offset:116
	buffer_load_dword v2, off, s[0:3], 0 offset:120
	buffer_load_dword v3, off, s[0:3], 0 offset:124
	buffer_load_dword v6, off, s[0:3], 0 offset:128
	buffer_load_dword v7, off, s[0:3], 0 offset:132
	buffer_load_dword v12, off, s[0:3], 0 offset:136
	buffer_load_dword v13, off, s[0:3], 0 offset:140
	buffer_load_dword v8, off, s[0:3], 0 offset:144
	buffer_load_dword v9, off, s[0:3], 0 offset:148
	buffer_load_dword v14, off, s[0:3], 0 offset:152
	buffer_load_dword v15, off, s[0:3], 0 offset:156
	buffer_load_dword v10, off, s[0:3], 0 offset:160
	buffer_load_dword v11, off, s[0:3], 0 offset:164
	buffer_load_dword v16, off, s[0:3], 0 offset:168
	buffer_load_dword v17, off, s[0:3], 0 offset:172
	buffer_load_dword v19, off, s[0:3], 0 offset:204
	buffer_load_dword v18, off, s[0:3], 0 offset:200
	buffer_load_dword v21, off, s[0:3], 0 offset:196
	buffer_load_dword v20, off, s[0:3], 0 offset:192
	buffer_load_dword v23, off, s[0:3], 0 offset:188
	buffer_load_dword v22, off, s[0:3], 0 offset:184
	buffer_load_dword v25, off, s[0:3], 0 offset:180
	buffer_load_dword v24, off, s[0:3], 0 offset:176
	buffer_load_dword v27, off, s[0:3], 0 offset:236
	buffer_load_dword v26, off, s[0:3], 0 offset:232
	buffer_load_dword v29, off, s[0:3], 0 offset:228
	buffer_load_dword v28, off, s[0:3], 0 offset:224
	buffer_load_dword v31, off, s[0:3], 0 offset:220
	buffer_load_dword v30, off, s[0:3], 0 offset:216
	buffer_load_dword v33, off, s[0:3], 0 offset:212
	buffer_load_dword v32, off, s[0:3], 0 offset:208
	buffer_load_dword v35, off, s[0:3], 0 offset:268
	buffer_load_dword v34, off, s[0:3], 0 offset:264
	buffer_load_dword v37, off, s[0:3], 0 offset:260
	buffer_load_dword v36, off, s[0:3], 0 offset:256
	buffer_load_dword v97, off, s[0:3], 0 offset:252
	buffer_load_dword v96, off, s[0:3], 0 offset:248
	buffer_load_dword v99, off, s[0:3], 0 offset:244
	buffer_load_dword v98, off, s[0:3], 0 offset:240
	buffer_load_dword v101, off, s[0:3], 0 offset:300
	buffer_load_dword v100, off, s[0:3], 0 offset:296
	buffer_load_dword v103, off, s[0:3], 0 offset:292
	buffer_load_dword v102, off, s[0:3], 0 offset:288
	buffer_load_dword v105, off, s[0:3], 0 offset:284
	buffer_load_dword v104, off, s[0:3], 0 offset:280
	buffer_load_dword v107, off, s[0:3], 0 offset:276
	buffer_load_dword v106, off, s[0:3], 0 offset:272
	buffer_load_dword v109, off, s[0:3], 0 offset:332
	buffer_load_dword v108, off, s[0:3], 0 offset:328
	buffer_load_dword v111, off, s[0:3], 0 offset:324
	buffer_load_dword v110, off, s[0:3], 0 offset:320
	buffer_load_dword v113, off, s[0:3], 0 offset:316
	buffer_load_dword v112, off, s[0:3], 0 offset:312
	buffer_load_dword v115, off, s[0:3], 0 offset:308
	buffer_load_dword v114, off, s[0:3], 0 offset:304
	buffer_load_dword v117, off, s[0:3], 0 offset:364
	buffer_load_dword v116, off, s[0:3], 0 offset:360
	buffer_load_dword v119, off, s[0:3], 0 offset:356
	buffer_load_dword v118, off, s[0:3], 0 offset:352
	buffer_load_dword v121, off, s[0:3], 0 offset:348
	buffer_load_dword v120, off, s[0:3], 0 offset:344
	buffer_load_dword v123, off, s[0:3], 0 offset:340
	buffer_load_dword v122, off, s[0:3], 0 offset:336
	buffer_load_dword v41, off, s[0:3], 0 offset:396
	buffer_load_dword v40, off, s[0:3], 0 offset:392
	buffer_load_dword v43, off, s[0:3], 0 offset:388
	buffer_load_dword v42, off, s[0:3], 0 offset:384
	buffer_load_dword v45, off, s[0:3], 0 offset:380
	buffer_load_dword v44, off, s[0:3], 0 offset:376
	buffer_load_dword v47, off, s[0:3], 0 offset:372
	buffer_load_dword v46, off, s[0:3], 0 offset:368
	buffer_load_dword v49, off, s[0:3], 0 offset:428
	buffer_load_dword v48, off, s[0:3], 0 offset:424
	buffer_load_dword v51, off, s[0:3], 0 offset:420
	buffer_load_dword v50, off, s[0:3], 0 offset:416
	buffer_load_dword v53, off, s[0:3], 0 offset:412
	buffer_load_dword v52, off, s[0:3], 0 offset:408
	buffer_load_dword v55, off, s[0:3], 0 offset:404
	buffer_load_dword v54, off, s[0:3], 0 offset:400
	buffer_load_dword v57, off, s[0:3], 0 offset:444
	buffer_load_dword v56, off, s[0:3], 0 offset:440
	buffer_load_dword v59, off, s[0:3], 0 offset:436
	buffer_load_dword v58, off, s[0:3], 0 offset:432
	v_mov_b32_e32 v144, 0
	ds_read_b128 v[124:127], v144 offset:592
	buffer_load_dword v193, off, s[0:3], 0 offset:460
	buffer_load_dword v192, off, s[0:3], 0 offset:456
	;; [unrolled: 1-line block ×4, first 2 shown]
	ds_read_b128 v[128:131], v144 offset:608
	ds_read_b128 v[132:135], v144 offset:624
	;; [unrolled: 1-line block ×5, first 2 shown]
	s_waitcnt vmcnt(62) lgkmcnt(5)
	v_mul_f64 v[140:141], v[124:125], v[12:13]
	v_fmac_f64_e32 v[140:141], v[126:127], v[6:7]
	s_waitcnt lgkmcnt(4)
	v_mul_f64 v[142:143], v[128:129], v[14:15]
	v_add_f64 v[140:141], v[140:141], 0
	v_fmac_f64_e32 v[142:143], v[130:131], v[8:9]
	v_add_f64 v[140:141], v[140:141], v[142:143]
	s_waitcnt lgkmcnt(3)
	v_mul_f64 v[142:143], v[132:133], v[16:17]
	v_fmac_f64_e32 v[142:143], v[134:135], v[10:11]
	v_add_f64 v[146:147], v[140:141], v[142:143]
	ds_read_b128 v[140:143], v144 offset:656
	v_mul_f64 v[12:13], v[126:127], v[12:13]
	s_waitcnt lgkmcnt(3)
	v_mul_f64 v[148:149], v[136:137], v[22:23]
	v_fma_f64 v[6:7], v[124:125], v[6:7], -v[12:13]
	v_fmac_f64_e32 v[148:149], v[138:139], v[24:25]
	v_add_f64 v[150:151], v[146:147], v[148:149]
	ds_read_b128 v[146:149], v144 offset:672
	s_waitcnt lgkmcnt(1)
	v_mul_f64 v[152:153], v[140:141], v[18:19]
	v_fmac_f64_e32 v[152:153], v[142:143], v[20:21]
	v_add_f64 v[154:155], v[150:151], v[152:153]
	ds_read_b128 v[150:153], v144 offset:688
	s_waitcnt vmcnt(58) lgkmcnt(1)
	v_mul_f64 v[156:157], v[146:147], v[30:31]
	s_waitcnt vmcnt(56)
	v_fmac_f64_e32 v[156:157], v[148:149], v[32:33]
	v_add_f64 v[158:159], v[154:155], v[156:157]
	ds_read_b128 v[154:157], v144 offset:704
	s_waitcnt lgkmcnt(1)
	v_mul_f64 v[160:161], v[150:151], v[26:27]
	v_fmac_f64_e32 v[160:161], v[152:153], v[28:29]
	v_add_f64 v[162:163], v[158:159], v[160:161]
	ds_read_b128 v[158:161], v144 offset:720
	s_waitcnt vmcnt(50) lgkmcnt(1)
	v_mul_f64 v[164:165], v[154:155], v[96:97]
	v_mul_f64 v[12:13], v[130:131], v[14:15]
	s_waitcnt vmcnt(48)
	v_fmac_f64_e32 v[164:165], v[156:157], v[98:99]
	v_add_f64 v[6:7], v[6:7], 0
	v_fma_f64 v[8:9], v[128:129], v[8:9], -v[12:13]
	v_add_f64 v[166:167], v[162:163], v[164:165]
	ds_read_b128 v[162:165], v144 offset:736
	v_add_f64 v[6:7], v[6:7], v[8:9]
	v_mul_f64 v[8:9], v[134:135], v[16:17]
	v_fma_f64 v[8:9], v[132:133], v[10:11], -v[8:9]
	v_add_f64 v[6:7], v[6:7], v[8:9]
	v_mul_f64 v[8:9], v[138:139], v[22:23]
	s_waitcnt lgkmcnt(1)
	v_mul_f64 v[168:169], v[158:159], v[34:35]
	v_fma_f64 v[8:9], v[136:137], v[24:25], -v[8:9]
	v_fmac_f64_e32 v[168:169], v[160:161], v[36:37]
	v_add_f64 v[6:7], v[6:7], v[8:9]
	v_mul_f64 v[8:9], v[142:143], v[18:19]
	v_add_f64 v[170:171], v[166:167], v[168:169]
	ds_read_b128 v[166:169], v144 offset:752
	s_waitcnt vmcnt(42) lgkmcnt(1)
	v_mul_f64 v[172:173], v[162:163], v[104:105]
	v_fma_f64 v[8:9], v[140:141], v[20:21], -v[8:9]
	s_waitcnt vmcnt(40)
	v_fmac_f64_e32 v[172:173], v[164:165], v[106:107]
	v_add_f64 v[6:7], v[6:7], v[8:9]
	v_mul_f64 v[8:9], v[148:149], v[30:31]
	v_add_f64 v[174:175], v[170:171], v[172:173]
	ds_read_b128 v[170:173], v144 offset:768
	v_fma_f64 v[8:9], v[146:147], v[32:33], -v[8:9]
	v_add_f64 v[6:7], v[6:7], v[8:9]
	v_mul_f64 v[8:9], v[152:153], v[26:27]
	v_fma_f64 v[8:9], v[150:151], v[28:29], -v[8:9]
	s_waitcnt lgkmcnt(1)
	v_mul_f64 v[176:177], v[166:167], v[100:101]
	v_add_f64 v[6:7], v[6:7], v[8:9]
	v_mul_f64 v[8:9], v[156:157], v[96:97]
	v_fmac_f64_e32 v[176:177], v[168:169], v[102:103]
	v_fma_f64 v[8:9], v[154:155], v[98:99], -v[8:9]
	v_add_f64 v[178:179], v[174:175], v[176:177]
	ds_read_b128 v[174:177], v144 offset:784
	s_waitcnt vmcnt(34) lgkmcnt(1)
	v_mul_f64 v[180:181], v[170:171], v[112:113]
	v_add_f64 v[6:7], v[6:7], v[8:9]
	v_mul_f64 v[8:9], v[160:161], v[34:35]
	s_waitcnt vmcnt(32)
	v_fmac_f64_e32 v[180:181], v[172:173], v[114:115]
	v_fma_f64 v[8:9], v[158:159], v[36:37], -v[8:9]
	v_add_f64 v[184:185], v[178:179], v[180:181]
	ds_read_b128 v[178:181], v144 offset:800
	v_add_f64 v[6:7], v[6:7], v[8:9]
	v_mul_f64 v[8:9], v[164:165], v[104:105]
	v_fma_f64 v[8:9], v[162:163], v[106:107], -v[8:9]
	v_add_f64 v[6:7], v[6:7], v[8:9]
	v_mul_f64 v[8:9], v[168:169], v[100:101]
	s_waitcnt lgkmcnt(1)
	v_mul_f64 v[186:187], v[174:175], v[108:109]
	v_fma_f64 v[8:9], v[166:167], v[102:103], -v[8:9]
	v_fmac_f64_e32 v[186:187], v[176:177], v[110:111]
	v_add_f64 v[6:7], v[6:7], v[8:9]
	v_mul_f64 v[8:9], v[172:173], v[112:113]
	v_add_f64 v[188:189], v[184:185], v[186:187]
	ds_read_b128 v[184:187], v144 offset:816
	s_waitcnt vmcnt(26) lgkmcnt(1)
	v_mul_f64 v[190:191], v[178:179], v[120:121]
	v_fma_f64 v[8:9], v[170:171], v[114:115], -v[8:9]
	s_waitcnt vmcnt(24)
	v_fmac_f64_e32 v[190:191], v[180:181], v[122:123]
	v_add_f64 v[6:7], v[6:7], v[8:9]
	v_mul_f64 v[8:9], v[176:177], v[108:109]
	v_add_f64 v[196:197], v[188:189], v[190:191]
	ds_read_b128 v[188:191], v144 offset:832
	v_fma_f64 v[8:9], v[174:175], v[110:111], -v[8:9]
	v_add_f64 v[6:7], v[6:7], v[8:9]
	v_mul_f64 v[8:9], v[180:181], v[120:121]
	v_fma_f64 v[8:9], v[178:179], v[122:123], -v[8:9]
	v_add_f64 v[6:7], v[6:7], v[8:9]
	s_waitcnt lgkmcnt(1)
	v_mul_f64 v[8:9], v[186:187], v[116:117]
	v_mul_f64 v[198:199], v[184:185], v[116:117]
	v_fma_f64 v[8:9], v[184:185], v[118:119], -v[8:9]
	v_fmac_f64_e32 v[198:199], v[186:187], v[118:119]
	v_add_f64 v[6:7], v[6:7], v[8:9]
	s_waitcnt vmcnt(18) lgkmcnt(0)
	v_mul_f64 v[8:9], v[190:191], v[44:45]
	v_add_f64 v[196:197], v[196:197], v[198:199]
	v_mul_f64 v[198:199], v[188:189], v[44:45]
	ds_read_b128 v[228:231], v144 offset:880
	ds_read_b128 v[232:235], v144 offset:896
	s_waitcnt vmcnt(16)
	v_fma_f64 v[8:9], v[188:189], v[46:47], -v[8:9]
	v_fmac_f64_e32 v[198:199], v[190:191], v[46:47]
	v_add_f64 v[6:7], v[6:7], v[8:9]
	v_mul_f64 v[8:9], v[222:223], v[40:41]
	v_add_f64 v[196:197], v[196:197], v[198:199]
	v_mul_f64 v[198:199], v[220:221], v[40:41]
	v_fma_f64 v[8:9], v[220:221], v[42:43], -v[8:9]
	v_fmac_f64_e32 v[198:199], v[222:223], v[42:43]
	v_add_f64 v[6:7], v[6:7], v[8:9]
	s_waitcnt vmcnt(10)
	v_mul_f64 v[8:9], v[226:227], v[52:53]
	v_add_f64 v[196:197], v[196:197], v[198:199]
	v_mul_f64 v[198:199], v[224:225], v[52:53]
	ds_read_b128 v[236:239], v144 offset:912
	s_waitcnt vmcnt(8)
	v_fma_f64 v[8:9], v[224:225], v[54:55], -v[8:9]
	v_fmac_f64_e32 v[198:199], v[226:227], v[54:55]
	v_add_f64 v[6:7], v[6:7], v[8:9]
	s_waitcnt lgkmcnt(2)
	v_mul_f64 v[8:9], v[230:231], v[48:49]
	v_add_f64 v[196:197], v[196:197], v[198:199]
	v_mul_f64 v[198:199], v[228:229], v[48:49]
	v_fma_f64 v[8:9], v[228:229], v[50:51], -v[8:9]
	v_fmac_f64_e32 v[198:199], v[230:231], v[50:51]
	v_add_f64 v[6:7], v[6:7], v[8:9]
	s_waitcnt vmcnt(6) lgkmcnt(1)
	v_mul_f64 v[8:9], v[234:235], v[56:57]
	v_add_f64 v[196:197], v[196:197], v[198:199]
	v_mul_f64 v[198:199], v[232:233], v[56:57]
	s_waitcnt vmcnt(4)
	v_fma_f64 v[8:9], v[232:233], v[58:59], -v[8:9]
	v_fmac_f64_e32 v[198:199], v[234:235], v[58:59]
	v_add_f64 v[6:7], v[6:7], v[8:9]
	s_waitcnt vmcnt(2) lgkmcnt(0)
	v_mul_f64 v[8:9], v[238:239], v[192:193]
	v_add_f64 v[196:197], v[196:197], v[198:199]
	v_mul_f64 v[198:199], v[236:237], v[192:193]
	s_waitcnt vmcnt(0)
	v_fma_f64 v[8:9], v[236:237], v[194:195], -v[8:9]
	v_fmac_f64_e32 v[198:199], v[238:239], v[194:195]
	v_add_f64 v[6:7], v[6:7], v[8:9]
	v_add_f64 v[196:197], v[196:197], v[198:199]
	v_add_f64 v[4:5], v[4:5], -v[6:7]
	v_cmp_lt_u32_e32 vcc, 6, v219
	v_add_f64 v[2:3], v[2:3], -v[196:197]
	buffer_store_dword v5, off, s[0:3], 0 offset:116
	buffer_store_dword v4, off, s[0:3], 0 offset:112
	;; [unrolled: 1-line block ×4, first 2 shown]
	s_and_saveexec_b64 s[6:7], vcc
	s_cbranch_execz .LBB28_175
; %bb.174:
	v_accvgpr_read_b32 v5, a64
	buffer_load_dword v2, v5, s[0:3], 0 offen
	buffer_load_dword v3, v5, s[0:3], 0 offen offset:4
	buffer_load_dword v4, v5, s[0:3], 0 offen offset:8
	s_nop 0
	buffer_load_dword v5, v5, s[0:3], 0 offen offset:12
	s_nop 0
	buffer_store_dword v144, off, s[0:3], 0 offset:96
	buffer_store_dword v144, off, s[0:3], 0 offset:100
	;; [unrolled: 1-line block ×4, first 2 shown]
	s_waitcnt vmcnt(4)
	ds_write_b128 v1, v[2:5]
.LBB28_175:
	s_or_b64 exec, exec, s[6:7]
	s_waitcnt lgkmcnt(0)
	; wave barrier
	s_waitcnt lgkmcnt(0)
	ds_read_b128 v[14:17], v144 offset:576
	ds_read_b128 v[10:13], v144 offset:592
	;; [unrolled: 1-line block ×4, first 2 shown]
	buffer_load_dword v20, off, s[0:3], 0 offset:96
	buffer_load_dword v21, off, s[0:3], 0 offset:100
	;; [unrolled: 1-line block ×92, first 2 shown]
	s_waitcnt vmcnt(62) lgkmcnt(3)
	v_mul_f64 v[146:147], v[14:15], v[28:29]
	v_fmac_f64_e32 v[146:147], v[16:17], v[22:23]
	s_waitcnt lgkmcnt(2)
	v_mul_f64 v[148:149], v[10:11], v[30:31]
	v_add_f64 v[146:147], v[146:147], 0
	v_fmac_f64_e32 v[148:149], v[12:13], v[24:25]
	v_add_f64 v[146:147], v[146:147], v[148:149]
	s_waitcnt lgkmcnt(1)
	v_mul_f64 v[148:149], v[6:7], v[32:33]
	v_fmac_f64_e32 v[148:149], v[8:9], v[26:27]
	v_add_f64 v[150:151], v[146:147], v[148:149]
	ds_read_b128 v[146:149], v144 offset:640
	v_mul_f64 v[16:17], v[16:17], v[28:29]
	v_fma_f64 v[14:15], v[14:15], v[22:23], -v[16:17]
	s_waitcnt lgkmcnt(1)
	v_mul_f64 v[152:153], v[2:3], v[96:97]
	v_mul_f64 v[12:13], v[12:13], v[30:31]
	v_fmac_f64_e32 v[152:153], v[4:5], v[98:99]
	v_add_f64 v[154:155], v[150:151], v[152:153]
	ds_read_b128 v[150:153], v144 offset:656
	s_waitcnt lgkmcnt(1)
	v_mul_f64 v[156:157], v[146:147], v[34:35]
	v_fmac_f64_e32 v[156:157], v[148:149], v[36:37]
	v_add_f64 v[158:159], v[154:155], v[156:157]
	ds_read_b128 v[154:157], v144 offset:672
	s_waitcnt lgkmcnt(1)
	v_mul_f64 v[160:161], v[150:151], v[104:105]
	s_waitcnt vmcnt(60)
	v_fmac_f64_e32 v[160:161], v[152:153], v[106:107]
	v_add_f64 v[162:163], v[158:159], v[160:161]
	ds_read_b128 v[158:161], v144 offset:688
	s_waitcnt lgkmcnt(1)
	v_mul_f64 v[164:165], v[154:155], v[100:101]
	v_fmac_f64_e32 v[164:165], v[156:157], v[102:103]
	v_add_f64 v[166:167], v[162:163], v[164:165]
	ds_read_b128 v[162:165], v144 offset:704
	s_waitcnt vmcnt(54) lgkmcnt(1)
	v_mul_f64 v[168:169], v[158:159], v[112:113]
	s_waitcnt vmcnt(52)
	v_fmac_f64_e32 v[168:169], v[160:161], v[114:115]
	v_add_f64 v[14:15], v[14:15], 0
	v_fma_f64 v[10:11], v[10:11], v[24:25], -v[12:13]
	v_mul_f64 v[8:9], v[8:9], v[32:33]
	v_add_f64 v[170:171], v[166:167], v[168:169]
	ds_read_b128 v[166:169], v144 offset:720
	s_waitcnt lgkmcnt(1)
	v_mul_f64 v[172:173], v[162:163], v[108:109]
	v_add_f64 v[10:11], v[14:15], v[10:11]
	v_fma_f64 v[6:7], v[6:7], v[26:27], -v[8:9]
	v_mul_f64 v[4:5], v[4:5], v[96:97]
	v_fmac_f64_e32 v[172:173], v[164:165], v[110:111]
	v_add_f64 v[6:7], v[10:11], v[6:7]
	v_fma_f64 v[2:3], v[2:3], v[98:99], -v[4:5]
	v_mul_f64 v[4:5], v[148:149], v[34:35]
	v_add_f64 v[174:175], v[170:171], v[172:173]
	ds_read_b128 v[170:173], v144 offset:736
	v_add_f64 v[2:3], v[6:7], v[2:3]
	v_fma_f64 v[4:5], v[146:147], v[36:37], -v[4:5]
	v_add_f64 v[2:3], v[2:3], v[4:5]
	v_mul_f64 v[4:5], v[152:153], v[104:105]
	v_fma_f64 v[4:5], v[150:151], v[106:107], -v[4:5]
	s_waitcnt vmcnt(46) lgkmcnt(1)
	v_mul_f64 v[176:177], v[166:167], v[120:121]
	v_add_f64 v[2:3], v[2:3], v[4:5]
	v_mul_f64 v[4:5], v[156:157], v[100:101]
	s_waitcnt vmcnt(44)
	v_fmac_f64_e32 v[176:177], v[168:169], v[122:123]
	v_fma_f64 v[4:5], v[154:155], v[102:103], -v[4:5]
	v_add_f64 v[178:179], v[174:175], v[176:177]
	ds_read_b128 v[174:177], v144 offset:752
	s_waitcnt lgkmcnt(1)
	v_mul_f64 v[180:181], v[170:171], v[116:117]
	v_add_f64 v[2:3], v[2:3], v[4:5]
	v_mul_f64 v[4:5], v[160:161], v[112:113]
	v_fmac_f64_e32 v[180:181], v[172:173], v[118:119]
	v_fma_f64 v[4:5], v[158:159], v[114:115], -v[4:5]
	v_add_f64 v[184:185], v[178:179], v[180:181]
	ds_read_b128 v[178:181], v144 offset:768
	v_add_f64 v[2:3], v[2:3], v[4:5]
	v_mul_f64 v[4:5], v[164:165], v[108:109]
	v_fma_f64 v[4:5], v[162:163], v[110:111], -v[4:5]
	v_add_f64 v[2:3], v[2:3], v[4:5]
	v_mul_f64 v[4:5], v[168:169], v[120:121]
	s_waitcnt vmcnt(38) lgkmcnt(1)
	v_mul_f64 v[186:187], v[174:175], v[128:129]
	v_fma_f64 v[4:5], v[166:167], v[122:123], -v[4:5]
	s_waitcnt vmcnt(36)
	v_fmac_f64_e32 v[186:187], v[176:177], v[130:131]
	v_add_f64 v[2:3], v[2:3], v[4:5]
	v_mul_f64 v[4:5], v[172:173], v[116:117]
	v_add_f64 v[188:189], v[184:185], v[186:187]
	ds_read_b128 v[184:187], v144 offset:784
	s_waitcnt lgkmcnt(1)
	v_mul_f64 v[190:191], v[178:179], v[124:125]
	v_fma_f64 v[4:5], v[170:171], v[118:119], -v[4:5]
	v_fmac_f64_e32 v[190:191], v[180:181], v[126:127]
	v_add_f64 v[2:3], v[2:3], v[4:5]
	v_mul_f64 v[4:5], v[176:177], v[128:129]
	v_add_f64 v[196:197], v[188:189], v[190:191]
	ds_read_b128 v[188:191], v144 offset:800
	ds_read_b128 v[220:223], v144 offset:816
	v_fma_f64 v[4:5], v[174:175], v[130:131], -v[4:5]
	v_add_f64 v[2:3], v[2:3], v[4:5]
	v_mul_f64 v[4:5], v[180:181], v[124:125]
	v_fma_f64 v[4:5], v[178:179], v[126:127], -v[4:5]
	v_add_f64 v[2:3], v[2:3], v[4:5]
	s_waitcnt vmcnt(30) lgkmcnt(2)
	v_mul_f64 v[4:5], v[186:187], v[136:137]
	v_mul_f64 v[198:199], v[184:185], v[136:137]
	ds_read_b128 v[224:227], v144 offset:832
	ds_read_b128 v[228:231], v144 offset:848
	s_waitcnt vmcnt(28)
	v_fma_f64 v[4:5], v[184:185], v[138:139], -v[4:5]
	v_fmac_f64_e32 v[198:199], v[186:187], v[138:139]
	v_add_f64 v[2:3], v[2:3], v[4:5]
	s_waitcnt lgkmcnt(3)
	v_mul_f64 v[4:5], v[190:191], v[132:133]
	v_add_f64 v[196:197], v[196:197], v[198:199]
	v_mul_f64 v[198:199], v[188:189], v[132:133]
	v_fma_f64 v[4:5], v[188:189], v[134:135], -v[4:5]
	v_fmac_f64_e32 v[198:199], v[190:191], v[134:135]
	v_add_f64 v[2:3], v[2:3], v[4:5]
	s_waitcnt vmcnt(22) lgkmcnt(2)
	v_mul_f64 v[4:5], v[222:223], v[40:41]
	v_add_f64 v[196:197], v[196:197], v[198:199]
	v_mul_f64 v[198:199], v[220:221], v[40:41]
	ds_read_b128 v[232:235], v144 offset:864
	ds_read_b128 v[236:239], v144 offset:880
	s_waitcnt vmcnt(20)
	v_fma_f64 v[4:5], v[220:221], v[42:43], -v[4:5]
	v_fmac_f64_e32 v[198:199], v[222:223], v[42:43]
	v_add_f64 v[2:3], v[2:3], v[4:5]
	s_waitcnt lgkmcnt(3)
	v_mul_f64 v[4:5], v[226:227], v[140:141]
	v_add_f64 v[196:197], v[196:197], v[198:199]
	v_mul_f64 v[198:199], v[224:225], v[140:141]
	v_fma_f64 v[4:5], v[224:225], v[142:143], -v[4:5]
	v_fmac_f64_e32 v[198:199], v[226:227], v[142:143]
	v_add_f64 v[2:3], v[2:3], v[4:5]
	s_waitcnt vmcnt(14) lgkmcnt(2)
	v_mul_f64 v[4:5], v[230:231], v[48:49]
	v_add_f64 v[196:197], v[196:197], v[198:199]
	;; [unrolled: 17-line block ×3, first 2 shown]
	v_mul_f64 v[198:199], v[236:237], v[56:57]
	s_waitcnt vmcnt(4)
	v_fma_f64 v[4:5], v[236:237], v[58:59], -v[4:5]
	v_fmac_f64_e32 v[198:199], v[238:239], v[58:59]
	v_add_f64 v[2:3], v[2:3], v[4:5]
	s_waitcnt lgkmcnt(1)
	v_mul_f64 v[4:5], v[242:243], v[52:53]
	v_add_f64 v[144:145], v[196:197], v[198:199]
	v_mul_f64 v[196:197], v[240:241], v[52:53]
	v_fma_f64 v[4:5], v[240:241], v[54:55], -v[4:5]
	v_fmac_f64_e32 v[196:197], v[242:243], v[54:55]
	v_add_f64 v[2:3], v[2:3], v[4:5]
	s_waitcnt vmcnt(2) lgkmcnt(0)
	v_mul_f64 v[4:5], v[246:247], v[192:193]
	v_add_f64 v[144:145], v[144:145], v[196:197]
	v_mul_f64 v[196:197], v[244:245], v[192:193]
	s_waitcnt vmcnt(0)
	v_fma_f64 v[4:5], v[244:245], v[194:195], -v[4:5]
	v_fmac_f64_e32 v[196:197], v[246:247], v[194:195]
	v_add_f64 v[2:3], v[2:3], v[4:5]
	v_add_f64 v[144:145], v[144:145], v[196:197]
	v_add_f64 v[2:3], v[20:21], -v[2:3]
	v_cmp_lt_u32_e32 vcc, 5, v219
	v_add_f64 v[4:5], v[18:19], -v[144:145]
	buffer_store_dword v3, off, s[0:3], 0 offset:100
	buffer_store_dword v2, off, s[0:3], 0 offset:96
	;; [unrolled: 1-line block ×4, first 2 shown]
	s_and_saveexec_b64 s[6:7], vcc
	s_cbranch_execz .LBB28_177
; %bb.176:
	v_accvgpr_read_b32 v5, a62
	buffer_load_dword v2, v5, s[0:3], 0 offen
	buffer_load_dword v3, v5, s[0:3], 0 offen offset:4
	buffer_load_dword v4, v5, s[0:3], 0 offen offset:8
	s_nop 0
	buffer_load_dword v5, v5, s[0:3], 0 offen offset:12
	v_mov_b32_e32 v6, 0
	buffer_store_dword v6, off, s[0:3], 0 offset:80
	buffer_store_dword v6, off, s[0:3], 0 offset:84
	;; [unrolled: 1-line block ×4, first 2 shown]
	s_waitcnt vmcnt(4)
	ds_write_b128 v1, v[2:5]
.LBB28_177:
	s_or_b64 exec, exec, s[6:7]
	s_waitcnt lgkmcnt(0)
	; wave barrier
	s_waitcnt lgkmcnt(0)
	buffer_load_dword v9, off, s[0:3], 0 offset:108
	buffer_load_dword v6, off, s[0:3], 0 offset:120
	;; [unrolled: 1-line block ×64, first 2 shown]
	v_mov_b32_e32 v156, 0
	ds_read_b128 v[132:135], v156 offset:560
	ds_read_b128 v[136:139], v156 offset:576
	buffer_load_dword v125, off, s[0:3], 0 offset:364
	buffer_load_dword v124, off, s[0:3], 0 offset:360
	;; [unrolled: 1-line block ×8, first 2 shown]
	ds_read_b128 v[140:143], v156 offset:592
	ds_read_b128 v[144:147], v156 offset:608
	buffer_load_dword v45, off, s[0:3], 0 offset:396
	buffer_load_dword v44, off, s[0:3], 0 offset:392
	;; [unrolled: 1-line block ×24, first 2 shown]
	ds_read_b128 v[148:151], v156 offset:624
	ds_read_b128 v[152:155], v156 offset:640
	;; [unrolled: 1-line block ×19, first 2 shown]
	v_cmp_lt_u32_e32 vcc, 4, v219
	s_waitcnt vmcnt(62) lgkmcnt(14)
	v_mul_f64 v[42:43], v[136:137], v[6:7]
	v_mul_f64 v[40:41], v[132:133], v[8:9]
	;; [unrolled: 1-line block ×3, first 2 shown]
	v_fma_f64 v[8:9], v[132:133], v[10:11], -v[8:9]
	v_mul_f64 v[6:7], v[138:139], v[6:7]
	v_fmac_f64_e32 v[40:41], v[134:135], v[10:11]
	v_add_f64 v[8:9], v[8:9], 0
	v_add_f64 v[40:41], v[40:41], 0
	v_fma_f64 v[6:7], v[136:137], v[14:15], -v[6:7]
	v_fmac_f64_e32 v[42:43], v[138:139], v[14:15]
	v_add_f64 v[6:7], v[8:9], v[6:7]
	v_mul_f64 v[8:9], v[142:143], v[16:17]
	v_add_f64 v[40:41], v[40:41], v[42:43]
	v_mul_f64 v[42:43], v[140:141], v[16:17]
	v_fma_f64 v[8:9], v[140:141], v[12:13], -v[8:9]
	v_fmac_f64_e32 v[42:43], v[142:143], v[12:13]
	v_add_f64 v[6:7], v[6:7], v[8:9]
	v_mul_f64 v[8:9], v[146:147], v[22:23]
	v_add_f64 v[40:41], v[40:41], v[42:43]
	v_mul_f64 v[42:43], v[144:145], v[22:23]
	;; [unrolled: 6-line block ×5, first 2 shown]
	v_fma_f64 v[8:9], v[158:159], v[28:29], -v[8:9]
	v_fmac_f64_e32 v[42:43], v[160:161], v[28:29]
	v_add_f64 v[6:7], v[6:7], v[8:9]
	s_waitcnt vmcnt(58)
	v_mul_f64 v[8:9], v[164:165], v[96:97]
	v_add_f64 v[40:41], v[40:41], v[42:43]
	v_mul_f64 v[42:43], v[162:163], v[96:97]
	s_waitcnt vmcnt(56)
	v_fma_f64 v[8:9], v[162:163], v[98:99], -v[8:9]
	v_fmac_f64_e32 v[42:43], v[164:165], v[98:99]
	v_add_f64 v[6:7], v[6:7], v[8:9]
	v_mul_f64 v[8:9], v[168:169], v[34:35]
	v_add_f64 v[40:41], v[40:41], v[42:43]
	v_mul_f64 v[42:43], v[166:167], v[34:35]
	v_fma_f64 v[8:9], v[166:167], v[36:37], -v[8:9]
	v_fmac_f64_e32 v[42:43], v[168:169], v[36:37]
	v_add_f64 v[6:7], v[6:7], v[8:9]
	s_waitcnt vmcnt(50) lgkmcnt(13)
	v_mul_f64 v[8:9], v[172:173], v[104:105]
	v_add_f64 v[40:41], v[40:41], v[42:43]
	v_mul_f64 v[42:43], v[170:171], v[104:105]
	s_waitcnt vmcnt(48)
	v_fma_f64 v[8:9], v[170:171], v[106:107], -v[8:9]
	v_fmac_f64_e32 v[42:43], v[172:173], v[106:107]
	v_add_f64 v[6:7], v[6:7], v[8:9]
	s_waitcnt lgkmcnt(12)
	v_mul_f64 v[8:9], v[176:177], v[100:101]
	v_add_f64 v[40:41], v[40:41], v[42:43]
	v_mul_f64 v[42:43], v[174:175], v[100:101]
	v_fma_f64 v[8:9], v[174:175], v[102:103], -v[8:9]
	v_fmac_f64_e32 v[42:43], v[176:177], v[102:103]
	v_add_f64 v[6:7], v[6:7], v[8:9]
	s_waitcnt vmcnt(42) lgkmcnt(11)
	v_mul_f64 v[8:9], v[180:181], v[112:113]
	v_add_f64 v[40:41], v[40:41], v[42:43]
	v_mul_f64 v[42:43], v[178:179], v[112:113]
	s_waitcnt vmcnt(40)
	v_fma_f64 v[8:9], v[178:179], v[114:115], -v[8:9]
	v_fmac_f64_e32 v[42:43], v[180:181], v[114:115]
	v_add_f64 v[6:7], v[6:7], v[8:9]
	s_waitcnt lgkmcnt(10)
	;; [unrolled: 15-line block ×7, first 2 shown]
	v_mul_f64 v[8:9], v[254:255], v[192:193]
	v_add_f64 v[40:41], v[40:41], v[42:43]
	v_mul_f64 v[42:43], v[252:253], v[192:193]
	v_fma_f64 v[8:9], v[252:253], v[194:195], -v[8:9]
	v_fmac_f64_e32 v[42:43], v[254:255], v[194:195]
	v_add_f64 v[6:7], v[6:7], v[8:9]
	v_add_f64 v[40:41], v[40:41], v[42:43]
	v_add_f64 v[4:5], v[4:5], -v[6:7]
	v_add_f64 v[2:3], v[2:3], -v[40:41]
	buffer_store_dword v5, off, s[0:3], 0 offset:84
	buffer_store_dword v4, off, s[0:3], 0 offset:80
	;; [unrolled: 1-line block ×4, first 2 shown]
	s_and_saveexec_b64 s[6:7], vcc
	s_cbranch_execz .LBB28_179
; %bb.178:
	v_accvgpr_read_b32 v5, a61
	buffer_load_dword v2, v5, s[0:3], 0 offen
	buffer_load_dword v3, v5, s[0:3], 0 offen offset:4
	buffer_load_dword v4, v5, s[0:3], 0 offen offset:8
	s_nop 0
	buffer_load_dword v5, v5, s[0:3], 0 offen offset:12
	s_nop 0
	buffer_store_dword v156, off, s[0:3], 0 offset:64
	buffer_store_dword v156, off, s[0:3], 0 offset:68
	;; [unrolled: 1-line block ×4, first 2 shown]
	s_waitcnt vmcnt(4)
	ds_write_b128 v1, v[2:5]
.LBB28_179:
	s_or_b64 exec, exec, s[6:7]
	s_waitcnt lgkmcnt(0)
	; wave barrier
	s_waitcnt lgkmcnt(0)
	buffer_load_dword v22, off, s[0:3], 0 offset:80
	buffer_load_dword v23, off, s[0:3], 0 offset:84
	;; [unrolled: 1-line block ×16, first 2 shown]
	ds_read_b128 v[2:5], v156 offset:544
	ds_read_b128 v[6:9], v156 offset:560
	;; [unrolled: 1-line block ×4, first 2 shown]
	buffer_load_dword v35, off, s[0:3], 0 offset:156
	buffer_load_dword v34, off, s[0:3], 0 offset:152
	;; [unrolled: 1-line block ×48, first 2 shown]
	v_cmp_lt_u32_e32 vcc, 3, v219
	s_waitcnt vmcnt(60) lgkmcnt(3)
	v_mul_f64 v[40:41], v[2:3], v[24:25]
	v_fmac_f64_e32 v[40:41], v[4:5], v[22:23]
	v_add_f64 v[40:41], v[40:41], 0
	v_mul_f64 v[4:5], v[4:5], v[24:25]
	s_waitcnt vmcnt(56) lgkmcnt(2)
	v_mul_f64 v[42:43], v[6:7], v[32:33]
	v_fma_f64 v[2:3], v[2:3], v[22:23], -v[4:5]
	v_mul_f64 v[4:5], v[8:9], v[32:33]
	v_add_f64 v[2:3], v[2:3], 0
	s_waitcnt vmcnt(52)
	v_fmac_f64_e32 v[42:43], v[8:9], v[28:29]
	v_add_f64 v[40:41], v[40:41], v[42:43]
	buffer_load_dword v141, off, s[0:3], 0 offset:348
	buffer_load_dword v140, off, s[0:3], 0 offset:344
	;; [unrolled: 1-line block ×32, first 2 shown]
	ds_read_b128 v[158:161], v156 offset:608
	buffer_load_dword v205, off, s[0:3], 0 offset:460
	buffer_load_dword v204, off, s[0:3], 0 offset:456
	;; [unrolled: 1-line block ×4, first 2 shown]
	v_fma_f64 v[4:5], v[6:7], v[28:29], -v[4:5]
	v_add_f64 v[2:3], v[2:3], v[4:5]
	s_waitcnt lgkmcnt(2)
	v_mul_f64 v[4:5], v[12:13], v[26:27]
	v_mul_f64 v[44:45], v[10:11], v[26:27]
	ds_read_b128 v[162:165], v156 offset:624
	ds_read_b128 v[166:169], v156 offset:640
	v_fma_f64 v[4:5], v[10:11], v[30:31], -v[4:5]
	v_fmac_f64_e32 v[44:45], v[12:13], v[30:31]
	v_add_f64 v[2:3], v[2:3], v[4:5]
	s_waitcnt vmcnt(62) lgkmcnt(3)
	v_mul_f64 v[4:5], v[16:17], v[96:97]
	v_add_f64 v[40:41], v[40:41], v[44:45]
	v_mul_f64 v[44:45], v[14:15], v[96:97]
	v_fma_f64 v[4:5], v[14:15], v[98:99], -v[4:5]
	v_fmac_f64_e32 v[44:45], v[16:17], v[98:99]
	v_add_f64 v[2:3], v[2:3], v[4:5]
	s_waitcnt lgkmcnt(2)
	v_mul_f64 v[4:5], v[160:161], v[34:35]
	v_add_f64 v[40:41], v[40:41], v[44:45]
	v_mul_f64 v[44:45], v[158:159], v[34:35]
	ds_read_b128 v[170:173], v156 offset:656
	ds_read_b128 v[174:177], v156 offset:672
	v_fma_f64 v[4:5], v[158:159], v[36:37], -v[4:5]
	v_fmac_f64_e32 v[44:45], v[160:161], v[36:37]
	v_add_f64 v[2:3], v[2:3], v[4:5]
	s_waitcnt lgkmcnt(3)
	v_mul_f64 v[4:5], v[164:165], v[104:105]
	v_add_f64 v[40:41], v[40:41], v[44:45]
	v_mul_f64 v[44:45], v[162:163], v[104:105]
	v_fma_f64 v[4:5], v[162:163], v[106:107], -v[4:5]
	v_fmac_f64_e32 v[44:45], v[164:165], v[106:107]
	v_add_f64 v[2:3], v[2:3], v[4:5]
	s_waitcnt lgkmcnt(2)
	v_mul_f64 v[4:5], v[168:169], v[100:101]
	v_add_f64 v[40:41], v[40:41], v[44:45]
	v_mul_f64 v[44:45], v[166:167], v[100:101]
	ds_read_b128 v[178:181], v156 offset:688
	ds_read_b128 v[184:187], v156 offset:704
	v_fma_f64 v[4:5], v[166:167], v[102:103], -v[4:5]
	v_fmac_f64_e32 v[44:45], v[168:169], v[102:103]
	v_add_f64 v[2:3], v[2:3], v[4:5]
	s_waitcnt lgkmcnt(3)
	v_mul_f64 v[4:5], v[172:173], v[112:113]
	v_add_f64 v[40:41], v[40:41], v[44:45]
	v_mul_f64 v[44:45], v[170:171], v[112:113]
	s_waitcnt vmcnt(60)
	v_fma_f64 v[4:5], v[170:171], v[114:115], -v[4:5]
	v_fmac_f64_e32 v[44:45], v[172:173], v[114:115]
	v_add_f64 v[2:3], v[2:3], v[4:5]
	s_waitcnt lgkmcnt(2)
	v_mul_f64 v[4:5], v[176:177], v[108:109]
	v_add_f64 v[40:41], v[40:41], v[44:45]
	v_mul_f64 v[44:45], v[174:175], v[108:109]
	ds_read_b128 v[188:191], v156 offset:720
	ds_read_b128 v[220:223], v156 offset:736
	v_fma_f64 v[4:5], v[174:175], v[110:111], -v[4:5]
	v_fmac_f64_e32 v[44:45], v[176:177], v[110:111]
	v_add_f64 v[2:3], v[2:3], v[4:5]
	s_waitcnt vmcnt(54) lgkmcnt(3)
	v_mul_f64 v[4:5], v[180:181], v[120:121]
	v_add_f64 v[40:41], v[40:41], v[44:45]
	v_mul_f64 v[44:45], v[178:179], v[120:121]
	s_waitcnt vmcnt(52)
	v_fma_f64 v[4:5], v[178:179], v[122:123], -v[4:5]
	v_fmac_f64_e32 v[44:45], v[180:181], v[122:123]
	v_add_f64 v[2:3], v[2:3], v[4:5]
	s_waitcnt lgkmcnt(2)
	v_mul_f64 v[4:5], v[186:187], v[116:117]
	v_add_f64 v[40:41], v[40:41], v[44:45]
	v_mul_f64 v[44:45], v[184:185], v[116:117]
	ds_read_b128 v[224:227], v156 offset:752
	ds_read_b128 v[228:231], v156 offset:768
	v_fma_f64 v[4:5], v[184:185], v[118:119], -v[4:5]
	v_fmac_f64_e32 v[44:45], v[186:187], v[118:119]
	v_add_f64 v[2:3], v[2:3], v[4:5]
	s_waitcnt vmcnt(46) lgkmcnt(3)
	;; [unrolled: 17-line block ×6, first 2 shown]
	v_mul_f64 v[4:5], v[250:251], v[48:49]
	v_add_f64 v[40:41], v[40:41], v[44:45]
	v_mul_f64 v[44:45], v[248:249], v[48:49]
	s_waitcnt vmcnt(12)
	v_fma_f64 v[4:5], v[248:249], v[50:51], -v[4:5]
	v_fmac_f64_e32 v[44:45], v[250:251], v[50:51]
	v_add_f64 v[2:3], v[2:3], v[4:5]
	s_waitcnt lgkmcnt(2)
	v_mul_f64 v[4:5], v[254:255], v[42:43]
	v_add_f64 v[40:41], v[40:41], v[44:45]
	v_mul_f64 v[44:45], v[252:253], v[42:43]
	ds_read_b128 v[200:203], v156 offset:912
	v_fma_f64 v[4:5], v[252:253], v[46:47], -v[4:5]
	v_fmac_f64_e32 v[44:45], v[254:255], v[46:47]
	v_add_f64 v[2:3], v[2:3], v[4:5]
	s_waitcnt vmcnt(6) lgkmcnt(2)
	v_mul_f64 v[4:5], v[194:195], v[56:57]
	v_add_f64 v[40:41], v[40:41], v[44:45]
	v_mul_f64 v[44:45], v[192:193], v[56:57]
	s_waitcnt vmcnt(4)
	v_fma_f64 v[4:5], v[192:193], v[58:59], -v[4:5]
	v_fmac_f64_e32 v[44:45], v[194:195], v[58:59]
	v_add_f64 v[2:3], v[2:3], v[4:5]
	s_waitcnt lgkmcnt(1)
	v_mul_f64 v[4:5], v[198:199], v[52:53]
	v_add_f64 v[40:41], v[40:41], v[44:45]
	v_mul_f64 v[44:45], v[196:197], v[52:53]
	v_fma_f64 v[4:5], v[196:197], v[54:55], -v[4:5]
	v_fmac_f64_e32 v[44:45], v[198:199], v[54:55]
	v_add_f64 v[2:3], v[2:3], v[4:5]
	s_waitcnt vmcnt(2) lgkmcnt(0)
	v_mul_f64 v[4:5], v[202:203], v[204:205]
	v_add_f64 v[40:41], v[40:41], v[44:45]
	v_mul_f64 v[44:45], v[200:201], v[204:205]
	s_waitcnt vmcnt(0)
	v_fma_f64 v[4:5], v[200:201], v[206:207], -v[4:5]
	v_fmac_f64_e32 v[44:45], v[202:203], v[206:207]
	v_add_f64 v[2:3], v[2:3], v[4:5]
	v_add_f64 v[40:41], v[40:41], v[44:45]
	v_add_f64 v[2:3], v[20:21], -v[2:3]
	v_add_f64 v[4:5], v[18:19], -v[40:41]
	buffer_store_dword v3, off, s[0:3], 0 offset:68
	buffer_store_dword v2, off, s[0:3], 0 offset:64
	buffer_store_dword v5, off, s[0:3], 0 offset:76
	buffer_store_dword v4, off, s[0:3], 0 offset:72
	s_and_saveexec_b64 s[6:7], vcc
	s_cbranch_execz .LBB28_181
; %bb.180:
	buffer_load_dword v2, v218, s[0:3], 0 offen
	buffer_load_dword v3, v218, s[0:3], 0 offen offset:4
	buffer_load_dword v4, v218, s[0:3], 0 offen offset:8
	;; [unrolled: 1-line block ×3, first 2 shown]
	v_mov_b32_e32 v6, 0
	buffer_store_dword v6, off, s[0:3], 0 offset:48
	buffer_store_dword v6, off, s[0:3], 0 offset:52
	;; [unrolled: 1-line block ×4, first 2 shown]
	s_waitcnt vmcnt(4)
	ds_write_b128 v1, v[2:5]
.LBB28_181:
	s_or_b64 exec, exec, s[6:7]
	s_waitcnt lgkmcnt(0)
	; wave barrier
	s_waitcnt lgkmcnt(0)
	buffer_load_dword v22, off, s[0:3], 0 offset:64
	buffer_load_dword v23, off, s[0:3], 0 offset:68
	;; [unrolled: 1-line block ×64, first 2 shown]
	v_mov_b32_e32 v172, 0
	ds_read_b128 v[18:21], v172 offset:528
	ds_read_b128 v[14:17], v172 offset:544
	;; [unrolled: 1-line block ×5, first 2 shown]
	v_cmp_lt_u32_e32 vcc, 2, v219
	s_waitcnt vmcnt(60) lgkmcnt(4)
	v_mul_f64 v[40:41], v[18:19], v[26:27]
	v_fmac_f64_e32 v[40:41], v[20:21], v[22:23]
	v_add_f64 v[40:41], v[40:41], 0
	v_mul_f64 v[20:21], v[20:21], v[26:27]
	s_waitcnt vmcnt(56) lgkmcnt(3)
	v_mul_f64 v[42:43], v[14:15], v[28:29]
	v_fmac_f64_e32 v[42:43], v[16:17], v[24:25]
	s_waitcnt vmcnt(54) lgkmcnt(2)
	v_mul_f64 v[44:45], v[10:11], v[30:31]
	v_add_f64 v[40:41], v[40:41], v[42:43]
	v_fma_f64 v[18:19], v[18:19], v[22:23], -v[20:21]
	v_mul_f64 v[16:17], v[16:17], v[28:29]
	s_waitcnt vmcnt(50) lgkmcnt(1)
	v_mul_f64 v[46:47], v[6:7], v[98:99]
	v_add_f64 v[18:19], v[18:19], 0
	s_waitcnt vmcnt(48)
	v_fmac_f64_e32 v[44:45], v[12:13], v[102:103]
	v_add_f64 v[40:41], v[40:41], v[44:45]
	buffer_load_dword v145, off, s[0:3], 0 offset:332
	buffer_load_dword v144, off, s[0:3], 0 offset:328
	;; [unrolled: 1-line block ×40, first 2 shown]
	ds_read_b128 v[160:163], v172 offset:608
	ds_read_b128 v[164:167], v172 offset:624
	s_waitcnt vmcnt(62)
	v_fmac_f64_e32 v[46:47], v[8:9], v[100:101]
	v_fma_f64 v[14:15], v[14:15], v[24:25], -v[16:17]
	v_mul_f64 v[12:13], v[12:13], v[30:31]
	v_add_f64 v[40:41], v[40:41], v[46:47]
	s_waitcnt lgkmcnt(2)
	v_mul_f64 v[46:47], v[2:3], v[36:37]
	v_add_f64 v[14:15], v[18:19], v[14:15]
	v_fma_f64 v[10:11], v[10:11], v[102:103], -v[12:13]
	v_mul_f64 v[8:9], v[8:9], v[98:99]
	v_fmac_f64_e32 v[46:47], v[4:5], v[96:97]
	ds_read_b128 v[168:171], v172 offset:640
	ds_read_b128 v[174:177], v172 offset:656
	v_add_f64 v[10:11], v[14:15], v[10:11]
	v_fma_f64 v[6:7], v[6:7], v[100:101], -v[8:9]
	v_mul_f64 v[4:5], v[4:5], v[36:37]
	v_add_f64 v[6:7], v[10:11], v[6:7]
	v_fma_f64 v[2:3], v[2:3], v[96:97], -v[4:5]
	s_waitcnt lgkmcnt(3)
	v_mul_f64 v[4:5], v[162:163], v[108:109]
	v_add_f64 v[40:41], v[40:41], v[46:47]
	v_mul_f64 v[46:47], v[160:161], v[108:109]
	v_add_f64 v[2:3], v[6:7], v[2:3]
	v_fma_f64 v[4:5], v[160:161], v[110:111], -v[4:5]
	v_fmac_f64_e32 v[46:47], v[162:163], v[110:111]
	v_add_f64 v[2:3], v[2:3], v[4:5]
	s_waitcnt lgkmcnt(2)
	v_mul_f64 v[4:5], v[166:167], v[104:105]
	v_add_f64 v[40:41], v[40:41], v[46:47]
	v_mul_f64 v[46:47], v[164:165], v[104:105]
	ds_read_b128 v[178:181], v172 offset:672
	ds_read_b128 v[184:187], v172 offset:688
	v_fma_f64 v[4:5], v[164:165], v[106:107], -v[4:5]
	v_fmac_f64_e32 v[46:47], v[166:167], v[106:107]
	v_add_f64 v[2:3], v[2:3], v[4:5]
	s_waitcnt lgkmcnt(3)
	v_mul_f64 v[4:5], v[170:171], v[116:117]
	v_add_f64 v[40:41], v[40:41], v[46:47]
	v_mul_f64 v[46:47], v[168:169], v[116:117]
	v_fma_f64 v[4:5], v[168:169], v[118:119], -v[4:5]
	v_fmac_f64_e32 v[46:47], v[170:171], v[118:119]
	v_add_f64 v[2:3], v[2:3], v[4:5]
	s_waitcnt lgkmcnt(2)
	v_mul_f64 v[4:5], v[176:177], v[112:113]
	v_add_f64 v[40:41], v[40:41], v[46:47]
	v_mul_f64 v[46:47], v[174:175], v[112:113]
	ds_read_b128 v[188:191], v172 offset:704
	ds_read_b128 v[192:195], v172 offset:720
	v_fma_f64 v[4:5], v[174:175], v[114:115], -v[4:5]
	v_fmac_f64_e32 v[46:47], v[176:177], v[114:115]
	v_add_f64 v[2:3], v[2:3], v[4:5]
	s_waitcnt vmcnt(58) lgkmcnt(3)
	v_mul_f64 v[4:5], v[180:181], v[124:125]
	v_add_f64 v[40:41], v[40:41], v[46:47]
	v_mul_f64 v[46:47], v[178:179], v[124:125]
	s_waitcnt vmcnt(56)
	v_fma_f64 v[4:5], v[178:179], v[126:127], -v[4:5]
	v_fmac_f64_e32 v[46:47], v[180:181], v[126:127]
	v_add_f64 v[2:3], v[2:3], v[4:5]
	s_waitcnt lgkmcnt(2)
	v_mul_f64 v[4:5], v[186:187], v[120:121]
	v_add_f64 v[40:41], v[40:41], v[46:47]
	v_mul_f64 v[46:47], v[184:185], v[120:121]
	ds_read_b128 v[196:199], v172 offset:736
	ds_read_b128 v[200:203], v172 offset:752
	v_fma_f64 v[4:5], v[184:185], v[122:123], -v[4:5]
	v_fmac_f64_e32 v[46:47], v[186:187], v[122:123]
	v_add_f64 v[2:3], v[2:3], v[4:5]
	s_waitcnt vmcnt(50) lgkmcnt(3)
	v_mul_f64 v[4:5], v[190:191], v[132:133]
	v_add_f64 v[40:41], v[40:41], v[46:47]
	v_mul_f64 v[46:47], v[188:189], v[132:133]
	s_waitcnt vmcnt(48)
	;; [unrolled: 17-line block ×7, first 2 shown]
	v_fma_f64 v[4:5], v[244:245], v[58:59], -v[4:5]
	v_fmac_f64_e32 v[46:47], v[246:247], v[58:59]
	v_add_f64 v[2:3], v[2:3], v[4:5]
	s_waitcnt lgkmcnt(2)
	v_mul_f64 v[4:5], v[250:251], v[52:53]
	v_add_f64 v[40:41], v[40:41], v[46:47]
	v_mul_f64 v[46:47], v[248:249], v[52:53]
	v_fma_f64 v[4:5], v[248:249], v[54:55], -v[4:5]
	v_fmac_f64_e32 v[46:47], v[250:251], v[54:55]
	v_add_f64 v[2:3], v[2:3], v[4:5]
	s_waitcnt vmcnt(2) lgkmcnt(1)
	v_mul_f64 v[4:5], v[254:255], v[212:213]
	v_add_f64 v[40:41], v[40:41], v[46:47]
	v_mul_f64 v[46:47], v[252:253], v[212:213]
	s_waitcnt vmcnt(0)
	v_fma_f64 v[4:5], v[252:253], v[214:215], -v[4:5]
	v_fmac_f64_e32 v[46:47], v[254:255], v[214:215]
	v_add_f64 v[2:3], v[2:3], v[4:5]
	s_waitcnt lgkmcnt(0)
	v_mul_f64 v[4:5], v[206:207], v[208:209]
	v_add_f64 v[40:41], v[40:41], v[46:47]
	v_mul_f64 v[46:47], v[204:205], v[208:209]
	v_fma_f64 v[4:5], v[204:205], v[210:211], -v[4:5]
	v_fmac_f64_e32 v[46:47], v[206:207], v[210:211]
	v_add_f64 v[2:3], v[2:3], v[4:5]
	v_add_f64 v[40:41], v[40:41], v[46:47]
	v_add_f64 v[2:3], v[34:35], -v[2:3]
	v_add_f64 v[4:5], v[32:33], -v[40:41]
	buffer_store_dword v3, off, s[0:3], 0 offset:52
	buffer_store_dword v2, off, s[0:3], 0 offset:48
	;; [unrolled: 1-line block ×4, first 2 shown]
	s_and_saveexec_b64 s[6:7], vcc
	s_cbranch_execz .LBB28_183
; %bb.182:
	v_accvgpr_read_b32 v5, a65
	buffer_load_dword v2, v5, s[0:3], 0 offen
	buffer_load_dword v3, v5, s[0:3], 0 offen offset:4
	buffer_load_dword v4, v5, s[0:3], 0 offen offset:8
	s_nop 0
	buffer_load_dword v5, v5, s[0:3], 0 offen offset:12
	s_nop 0
	buffer_store_dword v172, off, s[0:3], 0 offset:32
	buffer_store_dword v172, off, s[0:3], 0 offset:36
	;; [unrolled: 1-line block ×4, first 2 shown]
	s_waitcnt vmcnt(4)
	ds_write_b128 v1, v[2:5]
.LBB28_183:
	s_or_b64 exec, exec, s[6:7]
	s_waitcnt lgkmcnt(0)
	; wave barrier
	s_waitcnt lgkmcnt(0)
	buffer_load_dword v26, off, s[0:3], 0 offset:48
	buffer_load_dword v27, off, s[0:3], 0 offset:52
	buffer_load_dword v28, off, s[0:3], 0 offset:56
	buffer_load_dword v29, off, s[0:3], 0 offset:60
	buffer_load_dword v30, off, s[0:3], 0 offset:72
	buffer_load_dword v31, off, s[0:3], 0 offset:76
	buffer_load_dword v32, off, s[0:3], 0 offset:88
	buffer_load_dword v33, off, s[0:3], 0 offset:92
	buffer_load_dword v97, off, s[0:3], 0 offset:124
	buffer_load_dword v96, off, s[0:3], 0 offset:120
	buffer_load_dword v99, off, s[0:3], 0 offset:116
	buffer_load_dword v101, off, s[0:3], 0 offset:108
	buffer_load_dword v100, off, s[0:3], 0 offset:104
	buffer_load_dword v106, off, s[0:3], 0 offset:64
	buffer_load_dword v107, off, s[0:3], 0 offset:68
	buffer_load_dword v104, off, s[0:3], 0 offset:80
	buffer_load_dword v105, off, s[0:3], 0 offset:84
	buffer_load_dword v103, off, s[0:3], 0 offset:100
	buffer_load_dword v102, off, s[0:3], 0 offset:96
	buffer_load_dword v98, off, s[0:3], 0 offset:112
	buffer_load_dword v36, off, s[0:3], 0 offset:32
	buffer_load_dword v37, off, s[0:3], 0 offset:36
	buffer_load_dword v34, off, s[0:3], 0 offset:40
	buffer_load_dword v35, off, s[0:3], 0 offset:44
	ds_read_b128 v[22:25], v172 offset:512
	ds_read_b128 v[18:21], v172 offset:528
	;; [unrolled: 1-line block ×6, first 2 shown]
	buffer_load_dword v109, off, s[0:3], 0 offset:156
	buffer_load_dword v108, off, s[0:3], 0 offset:152
	buffer_load_dword v111, off, s[0:3], 0 offset:148
	buffer_load_dword v110, off, s[0:3], 0 offset:144
	buffer_load_dword v113, off, s[0:3], 0 offset:140
	buffer_load_dword v112, off, s[0:3], 0 offset:136
	buffer_load_dword v115, off, s[0:3], 0 offset:132
	buffer_load_dword v114, off, s[0:3], 0 offset:128
	buffer_load_dword v117, off, s[0:3], 0 offset:188
	buffer_load_dword v116, off, s[0:3], 0 offset:184
	buffer_load_dword v119, off, s[0:3], 0 offset:180
	buffer_load_dword v118, off, s[0:3], 0 offset:176
	buffer_load_dword v121, off, s[0:3], 0 offset:172
	buffer_load_dword v120, off, s[0:3], 0 offset:168
	buffer_load_dword v123, off, s[0:3], 0 offset:164
	buffer_load_dword v122, off, s[0:3], 0 offset:160
	buffer_load_dword v125, off, s[0:3], 0 offset:220
	buffer_load_dword v124, off, s[0:3], 0 offset:216
	buffer_load_dword v127, off, s[0:3], 0 offset:212
	buffer_load_dword v126, off, s[0:3], 0 offset:208
	buffer_load_dword v129, off, s[0:3], 0 offset:204
	buffer_load_dword v128, off, s[0:3], 0 offset:200
	buffer_load_dword v131, off, s[0:3], 0 offset:196
	buffer_load_dword v130, off, s[0:3], 0 offset:192
	buffer_load_dword v133, off, s[0:3], 0 offset:252
	buffer_load_dword v132, off, s[0:3], 0 offset:248
	buffer_load_dword v135, off, s[0:3], 0 offset:244
	buffer_load_dword v134, off, s[0:3], 0 offset:240
	buffer_load_dword v137, off, s[0:3], 0 offset:236
	buffer_load_dword v136, off, s[0:3], 0 offset:232
	buffer_load_dword v139, off, s[0:3], 0 offset:228
	buffer_load_dword v138, off, s[0:3], 0 offset:224
	buffer_load_dword v141, off, s[0:3], 0 offset:284
	buffer_load_dword v140, off, s[0:3], 0 offset:280
	buffer_load_dword v143, off, s[0:3], 0 offset:276
	buffer_load_dword v142, off, s[0:3], 0 offset:272
	buffer_load_dword v145, off, s[0:3], 0 offset:268
	buffer_load_dword v144, off, s[0:3], 0 offset:264
	buffer_load_dword v147, off, s[0:3], 0 offset:260
	buffer_load_dword v146, off, s[0:3], 0 offset:256
	v_cmp_lt_u32_e32 vcc, 1, v219
	s_waitcnt vmcnt(60) lgkmcnt(5)
	v_mul_f64 v[40:41], v[22:23], v[28:29]
	v_fmac_f64_e32 v[40:41], v[24:25], v[26:27]
	s_waitcnt vmcnt(58) lgkmcnt(4)
	v_mul_f64 v[42:43], v[18:19], v[30:31]
	v_add_f64 v[40:41], v[40:41], 0
	s_waitcnt vmcnt(56) lgkmcnt(3)
	v_mul_f64 v[44:45], v[10:11], v[32:33]
	v_mul_f64 v[24:25], v[24:25], v[28:29]
	s_waitcnt vmcnt(54) lgkmcnt(1)
	v_mul_f64 v[48:49], v[2:3], v[96:97]
	v_fma_f64 v[22:23], v[22:23], v[26:27], -v[24:25]
	v_add_f64 v[22:23], v[22:23], 0
	s_waitcnt vmcnt(51)
	v_mul_f64 v[46:47], v[6:7], v[100:101]
	s_waitcnt vmcnt(49)
	v_fmac_f64_e32 v[42:43], v[20:21], v[106:107]
	v_add_f64 v[40:41], v[40:41], v[42:43]
	s_waitcnt vmcnt(47)
	v_fmac_f64_e32 v[44:45], v[12:13], v[104:105]
	v_add_f64 v[40:41], v[40:41], v[44:45]
	;; [unrolled: 3-line block ×3, first 2 shown]
	buffer_load_dword v149, off, s[0:3], 0 offset:316
	buffer_load_dword v148, off, s[0:3], 0 offset:312
	;; [unrolled: 1-line block ×40, first 2 shown]
	s_waitcnt vmcnt(62)
	v_fmac_f64_e32 v[48:49], v[4:5], v[98:99]
	v_add_f64 v[40:41], v[40:41], v[48:49]
	ds_read_b128 v[174:177], v172 offset:608
	buffer_load_dword v49, off, s[0:3], 0 offset:460
	buffer_load_dword v48, off, s[0:3], 0 offset:456
	;; [unrolled: 1-line block ×4, first 2 shown]
	v_mul_f64 v[20:21], v[20:21], v[30:31]
	v_fma_f64 v[18:19], v[18:19], v[106:107], -v[20:21]
	v_mul_f64 v[12:13], v[12:13], v[32:33]
	ds_read_b128 v[178:181], v172 offset:624
	ds_read_b128 v[184:187], v172 offset:640
	v_add_f64 v[18:19], v[22:23], v[18:19]
	v_fma_f64 v[10:11], v[10:11], v[104:105], -v[12:13]
	v_mul_f64 v[8:9], v[8:9], v[100:101]
	s_waitcnt lgkmcnt(3)
	v_mul_f64 v[42:43], v[14:15], v[112:113]
	v_add_f64 v[10:11], v[18:19], v[10:11]
	v_fma_f64 v[6:7], v[6:7], v[102:103], -v[8:9]
	v_mul_f64 v[4:5], v[4:5], v[96:97]
	v_fmac_f64_e32 v[42:43], v[16:17], v[114:115]
	v_add_f64 v[6:7], v[10:11], v[6:7]
	v_fma_f64 v[2:3], v[2:3], v[98:99], -v[4:5]
	v_mul_f64 v[4:5], v[16:17], v[112:113]
	v_add_f64 v[40:41], v[40:41], v[42:43]
	s_waitcnt lgkmcnt(2)
	v_mul_f64 v[42:43], v[174:175], v[108:109]
	v_add_f64 v[2:3], v[6:7], v[2:3]
	v_fma_f64 v[4:5], v[14:15], v[114:115], -v[4:5]
	v_fmac_f64_e32 v[42:43], v[176:177], v[110:111]
	ds_read_b128 v[188:191], v172 offset:656
	ds_read_b128 v[192:195], v172 offset:672
	v_add_f64 v[2:3], v[2:3], v[4:5]
	v_mul_f64 v[4:5], v[176:177], v[108:109]
	v_add_f64 v[40:41], v[40:41], v[42:43]
	s_waitcnt lgkmcnt(3)
	v_mul_f64 v[42:43], v[178:179], v[120:121]
	v_fma_f64 v[4:5], v[174:175], v[110:111], -v[4:5]
	v_fmac_f64_e32 v[42:43], v[180:181], v[122:123]
	v_add_f64 v[2:3], v[2:3], v[4:5]
	v_mul_f64 v[4:5], v[180:181], v[120:121]
	v_add_f64 v[40:41], v[40:41], v[42:43]
	s_waitcnt lgkmcnt(2)
	v_mul_f64 v[42:43], v[184:185], v[116:117]
	v_fma_f64 v[4:5], v[178:179], v[122:123], -v[4:5]
	v_fmac_f64_e32 v[42:43], v[186:187], v[118:119]
	ds_read_b128 v[196:199], v172 offset:688
	ds_read_b128 v[200:203], v172 offset:704
	v_add_f64 v[2:3], v[2:3], v[4:5]
	v_mul_f64 v[4:5], v[186:187], v[116:117]
	v_add_f64 v[40:41], v[40:41], v[42:43]
	s_waitcnt vmcnt(62) lgkmcnt(3)
	v_mul_f64 v[42:43], v[188:189], v[128:129]
	v_fma_f64 v[4:5], v[184:185], v[118:119], -v[4:5]
	s_waitcnt vmcnt(60)
	v_fmac_f64_e32 v[42:43], v[190:191], v[130:131]
	v_add_f64 v[2:3], v[2:3], v[4:5]
	v_mul_f64 v[4:5], v[190:191], v[128:129]
	v_add_f64 v[40:41], v[40:41], v[42:43]
	s_waitcnt lgkmcnt(2)
	v_mul_f64 v[42:43], v[192:193], v[124:125]
	v_fma_f64 v[4:5], v[188:189], v[130:131], -v[4:5]
	v_fmac_f64_e32 v[42:43], v[194:195], v[126:127]
	ds_read_b128 v[204:207], v172 offset:720
	ds_read_b128 v[220:223], v172 offset:736
	v_add_f64 v[2:3], v[2:3], v[4:5]
	v_mul_f64 v[4:5], v[194:195], v[124:125]
	v_add_f64 v[40:41], v[40:41], v[42:43]
	s_waitcnt vmcnt(54) lgkmcnt(3)
	v_mul_f64 v[42:43], v[196:197], v[136:137]
	v_fma_f64 v[4:5], v[192:193], v[126:127], -v[4:5]
	s_waitcnt vmcnt(52)
	;; [unrolled: 17-line block ×6, first 2 shown]
	v_fmac_f64_e32 v[42:43], v[242:243], v[170:171]
	v_add_f64 v[2:3], v[2:3], v[4:5]
	v_mul_f64 v[4:5], v[242:243], v[168:169]
	v_add_f64 v[40:41], v[40:41], v[42:43]
	s_waitcnt lgkmcnt(2)
	v_mul_f64 v[42:43], v[244:245], v[164:165]
	v_fma_f64 v[4:5], v[240:241], v[170:171], -v[4:5]
	v_fmac_f64_e32 v[42:43], v[246:247], v[166:167]
	v_add_f64 v[2:3], v[2:3], v[4:5]
	v_mul_f64 v[4:5], v[246:247], v[164:165]
	v_add_f64 v[40:41], v[40:41], v[42:43]
	s_waitcnt vmcnt(14) lgkmcnt(1)
	v_mul_f64 v[42:43], v[248:249], v[50:51]
	ds_read_b128 v[208:211], v172 offset:880
	ds_read_b128 v[212:215], v172 offset:896
	v_fma_f64 v[4:5], v[244:245], v[166:167], -v[4:5]
	s_waitcnt vmcnt(12)
	v_fmac_f64_e32 v[42:43], v[250:251], v[52:53]
	v_add_f64 v[2:3], v[2:3], v[4:5]
	v_mul_f64 v[4:5], v[250:251], v[50:51]
	v_add_f64 v[40:41], v[40:41], v[42:43]
	s_waitcnt lgkmcnt(2)
	v_mul_f64 v[42:43], v[252:253], v[44:45]
	v_fma_f64 v[4:5], v[248:249], v[52:53], -v[4:5]
	v_fmac_f64_e32 v[42:43], v[254:255], v[46:47]
	v_add_f64 v[2:3], v[2:3], v[4:5]
	v_mul_f64 v[4:5], v[254:255], v[44:45]
	v_add_f64 v[60:61], v[40:41], v[42:43]
	ds_read_b128 v[40:43], v172 offset:912
	v_fma_f64 v[4:5], v[252:253], v[46:47], -v[4:5]
	v_add_f64 v[2:3], v[2:3], v[4:5]
	s_waitcnt vmcnt(6) lgkmcnt(2)
	v_mul_f64 v[4:5], v[210:211], v[58:59]
	v_mul_f64 v[62:63], v[208:209], v[58:59]
	s_waitcnt vmcnt(4)
	v_fma_f64 v[4:5], v[208:209], v[182:183], -v[4:5]
	v_fmac_f64_e32 v[62:63], v[210:211], v[182:183]
	v_add_f64 v[2:3], v[2:3], v[4:5]
	s_waitcnt lgkmcnt(1)
	v_mul_f64 v[4:5], v[214:215], v[54:55]
	v_add_f64 v[60:61], v[60:61], v[62:63]
	v_mul_f64 v[62:63], v[212:213], v[54:55]
	v_fma_f64 v[4:5], v[212:213], v[56:57], -v[4:5]
	v_fmac_f64_e32 v[62:63], v[214:215], v[56:57]
	v_add_f64 v[2:3], v[2:3], v[4:5]
	s_waitcnt vmcnt(2) lgkmcnt(0)
	v_mul_f64 v[4:5], v[42:43], v[48:49]
	v_add_f64 v[60:61], v[60:61], v[62:63]
	v_mul_f64 v[62:63], v[40:41], v[48:49]
	s_waitcnt vmcnt(0)
	v_fma_f64 v[4:5], v[40:41], v[216:217], -v[4:5]
	v_fmac_f64_e32 v[62:63], v[42:43], v[216:217]
	v_add_f64 v[2:3], v[2:3], v[4:5]
	v_add_f64 v[60:61], v[60:61], v[62:63]
	v_add_f64 v[2:3], v[36:37], -v[2:3]
	v_add_f64 v[4:5], v[34:35], -v[60:61]
	buffer_store_dword v3, off, s[0:3], 0 offset:36
	buffer_store_dword v2, off, s[0:3], 0 offset:32
	;; [unrolled: 1-line block ×4, first 2 shown]
	s_and_saveexec_b64 s[6:7], vcc
	s_cbranch_execz .LBB28_185
; %bb.184:
	v_accvgpr_read_b32 v5, a66
	buffer_load_dword v2, v5, s[0:3], 0 offen
	buffer_load_dword v3, v5, s[0:3], 0 offen offset:4
	buffer_load_dword v4, v5, s[0:3], 0 offen offset:8
	s_nop 0
	buffer_load_dword v5, v5, s[0:3], 0 offen offset:12
	v_mov_b32_e32 v6, 0
	buffer_store_dword v6, off, s[0:3], 0 offset:16
	buffer_store_dword v6, off, s[0:3], 0 offset:20
	;; [unrolled: 1-line block ×4, first 2 shown]
	s_waitcnt vmcnt(4)
	ds_write_b128 v1, v[2:5]
.LBB28_185:
	s_or_b64 exec, exec, s[6:7]
	s_waitcnt lgkmcnt(0)
	; wave barrier
	s_waitcnt lgkmcnt(0)
	buffer_load_dword v30, off, s[0:3], 0 offset:32
	buffer_load_dword v31, off, s[0:3], 0 offset:36
	;; [unrolled: 1-line block ×56, first 2 shown]
	v_mov_b32_e32 v220, 0
	ds_read_b128 v[26:29], v220 offset:496
	ds_read_b128 v[22:25], v220 offset:512
	;; [unrolled: 1-line block ×7, first 2 shown]
	buffer_load_dword v145, off, s[0:3], 0 offset:268
	buffer_load_dword v144, off, s[0:3], 0 offset:264
	;; [unrolled: 1-line block ×56, first 2 shown]
	ds_read_b128 v[188:191], v220 offset:640
	ds_read_b128 v[192:195], v220 offset:656
	;; [unrolled: 1-line block ×15, first 2 shown]
	v_cmp_ne_u32_e32 vcc, 0, v219
	ds_read_b128 v[184:187], v220 offset:624
	ds_read_b128 v[52:55], v220 offset:912
	s_waitcnt vmcnt(62) lgkmcnt(14)
	v_mul_f64 v[40:41], v[26:27], v[34:35]
	v_fmac_f64_e32 v[40:41], v[28:29], v[30:31]
	v_add_f64 v[40:41], v[40:41], 0
	v_mul_f64 v[28:29], v[28:29], v[34:35]
	v_mul_f64 v[42:43], v[22:23], v[36:37]
	v_fmac_f64_e32 v[42:43], v[24:25], v[32:33]
	v_mul_f64 v[44:45], v[18:19], v[96:97]
	v_add_f64 v[40:41], v[40:41], v[42:43]
	v_mul_f64 v[48:49], v[10:11], v[98:99]
	v_fma_f64 v[26:27], v[26:27], v[30:31], -v[28:29]
	v_fmac_f64_e32 v[48:49], v[12:13], v[100:101]
	v_mul_f64 v[24:25], v[24:25], v[36:37]
	v_mul_f64 v[46:47], v[14:15], v[106:107]
	v_add_f64 v[26:27], v[26:27], 0
	v_fma_f64 v[22:23], v[22:23], v[32:33], -v[24:25]
	v_add_f64 v[22:23], v[26:27], v[22:23]
	v_mul_f64 v[168:169], v[6:7], v[112:113]
	v_mul_f64 v[12:13], v[12:13], v[98:99]
	v_fmac_f64_e32 v[44:45], v[20:21], v[118:119]
	v_add_f64 v[40:41], v[40:41], v[44:45]
	v_fmac_f64_e32 v[46:47], v[16:17], v[116:117]
	v_add_f64 v[40:41], v[40:41], v[46:47]
	v_add_f64 v[174:175], v[40:41], v[48:49]
	ds_read_b128 v[40:43], v220 offset:608
	v_fmac_f64_e32 v[168:169], v[8:9], v[114:115]
	v_mul_f64 v[46:47], v[2:3], v[108:109]
	v_mul_f64 v[20:21], v[20:21], v[96:97]
	v_add_f64 v[44:45], v[174:175], v[168:169]
	v_fmac_f64_e32 v[46:47], v[4:5], v[110:111]
	v_fma_f64 v[18:19], v[18:19], v[118:119], -v[20:21]
	v_mul_f64 v[16:17], v[16:17], v[106:107]
	v_add_f64 v[44:45], v[44:45], v[46:47]
	s_waitcnt lgkmcnt(0)
	v_mul_f64 v[46:47], v[40:41], v[124:125]
	v_add_f64 v[18:19], v[22:23], v[18:19]
	v_fma_f64 v[14:15], v[14:15], v[116:117], -v[16:17]
	v_fmac_f64_e32 v[46:47], v[42:43], v[126:127]
	v_add_f64 v[14:15], v[18:19], v[14:15]
	v_fma_f64 v[10:11], v[10:11], v[100:101], -v[12:13]
	v_mul_f64 v[8:9], v[8:9], v[112:113]
	v_add_f64 v[44:45], v[44:45], v[46:47]
	v_mul_f64 v[46:47], v[184:185], v[120:121]
	v_add_f64 v[10:11], v[14:15], v[10:11]
	v_fma_f64 v[6:7], v[6:7], v[114:115], -v[8:9]
	v_mul_f64 v[4:5], v[4:5], v[108:109]
	v_fmac_f64_e32 v[46:47], v[186:187], v[122:123]
	v_add_f64 v[6:7], v[10:11], v[6:7]
	v_fma_f64 v[2:3], v[2:3], v[110:111], -v[4:5]
	v_mul_f64 v[4:5], v[42:43], v[124:125]
	v_add_f64 v[44:45], v[44:45], v[46:47]
	v_mul_f64 v[46:47], v[188:189], v[132:133]
	v_add_f64 v[2:3], v[6:7], v[2:3]
	v_fma_f64 v[4:5], v[40:41], v[126:127], -v[4:5]
	v_fmac_f64_e32 v[46:47], v[190:191], v[134:135]
	v_add_f64 v[2:3], v[2:3], v[4:5]
	v_mul_f64 v[4:5], v[186:187], v[120:121]
	v_add_f64 v[44:45], v[44:45], v[46:47]
	v_mul_f64 v[46:47], v[192:193], v[128:129]
	v_fma_f64 v[4:5], v[184:185], v[122:123], -v[4:5]
	v_fmac_f64_e32 v[46:47], v[194:195], v[130:131]
	v_add_f64 v[2:3], v[2:3], v[4:5]
	v_mul_f64 v[4:5], v[190:191], v[132:133]
	v_add_f64 v[44:45], v[44:45], v[46:47]
	s_waitcnt vmcnt(58)
	v_mul_f64 v[46:47], v[196:197], v[140:141]
	v_fma_f64 v[4:5], v[188:189], v[134:135], -v[4:5]
	s_waitcnt vmcnt(56)
	v_fmac_f64_e32 v[46:47], v[198:199], v[142:143]
	v_add_f64 v[2:3], v[2:3], v[4:5]
	v_mul_f64 v[4:5], v[194:195], v[128:129]
	v_add_f64 v[44:45], v[44:45], v[46:47]
	v_mul_f64 v[46:47], v[200:201], v[136:137]
	v_fma_f64 v[4:5], v[192:193], v[130:131], -v[4:5]
	v_fmac_f64_e32 v[46:47], v[202:203], v[138:139]
	v_add_f64 v[2:3], v[2:3], v[4:5]
	v_mul_f64 v[4:5], v[198:199], v[140:141]
	v_add_f64 v[44:45], v[44:45], v[46:47]
	s_waitcnt vmcnt(50)
	v_mul_f64 v[46:47], v[204:205], v[148:149]
	v_fma_f64 v[4:5], v[196:197], v[142:143], -v[4:5]
	s_waitcnt vmcnt(48)
	;; [unrolled: 14-line block ×6, first 2 shown]
	v_fmac_f64_e32 v[46:47], v[244:245], v[60:61]
	v_add_f64 v[2:3], v[2:3], v[4:5]
	v_mul_f64 v[4:5], v[240:241], v[170:171]
	v_add_f64 v[44:45], v[44:45], v[46:47]
	v_mul_f64 v[46:47], v[246:247], v[180:181]
	v_fma_f64 v[4:5], v[238:239], v[172:173], -v[4:5]
	v_fmac_f64_e32 v[46:47], v[248:249], v[56:57]
	v_add_f64 v[2:3], v[2:3], v[4:5]
	v_mul_f64 v[4:5], v[244:245], v[58:59]
	v_add_f64 v[48:49], v[44:45], v[46:47]
	ds_read_b128 v[44:47], v220 offset:880
	s_waitcnt vmcnt(10)
	v_mul_f64 v[50:51], v[250:251], v[216:217]
	v_fma_f64 v[4:5], v[242:243], v[60:61], -v[4:5]
	s_waitcnt vmcnt(8)
	v_fmac_f64_e32 v[50:51], v[252:253], v[254:255]
	v_add_f64 v[2:3], v[2:3], v[4:5]
	v_mul_f64 v[4:5], v[248:249], v[180:181]
	v_add_f64 v[168:169], v[48:49], v[50:51]
	ds_read_b128 v[48:51], v220 offset:896
	v_fma_f64 v[4:5], v[246:247], v[56:57], -v[4:5]
	v_add_f64 v[2:3], v[2:3], v[4:5]
	v_mul_f64 v[4:5], v[252:253], v[216:217]
	v_fma_f64 v[4:5], v[250:251], v[254:255], -v[4:5]
	v_add_f64 v[2:3], v[2:3], v[4:5]
	s_waitcnt lgkmcnt(1)
	v_mul_f64 v[4:5], v[46:47], v[62:63]
	v_mul_f64 v[174:175], v[44:45], v[62:63]
	v_fma_f64 v[4:5], v[44:45], v[182:183], -v[4:5]
	v_fmac_f64_e32 v[174:175], v[46:47], v[182:183]
	v_add_f64 v[2:3], v[2:3], v[4:5]
	s_waitcnt vmcnt(2) lgkmcnt(0)
	v_mul_f64 v[4:5], v[50:51], v[68:69]
	v_add_f64 v[168:169], v[168:169], v[174:175]
	v_mul_f64 v[174:175], v[48:49], v[68:69]
	s_waitcnt vmcnt(0)
	v_fma_f64 v[4:5], v[48:49], v[70:71], -v[4:5]
	v_fmac_f64_e32 v[174:175], v[50:51], v[70:71]
	v_add_f64 v[2:3], v[2:3], v[4:5]
	v_mul_f64 v[4:5], v[54:55], v[64:65]
	v_add_f64 v[168:169], v[168:169], v[174:175]
	v_mul_f64 v[174:175], v[52:53], v[64:65]
	v_fma_f64 v[4:5], v[52:53], v[66:67], -v[4:5]
	v_fmac_f64_e32 v[174:175], v[54:55], v[66:67]
	v_add_f64 v[2:3], v[2:3], v[4:5]
	v_add_f64 v[168:169], v[168:169], v[174:175]
	v_add_f64 v[2:3], v[104:105], -v[2:3]
	v_add_f64 v[4:5], v[102:103], -v[168:169]
	buffer_store_dword v3, off, s[0:3], 0 offset:20
	buffer_store_dword v2, off, s[0:3], 0 offset:16
	buffer_store_dword v5, off, s[0:3], 0 offset:28
	buffer_store_dword v4, off, s[0:3], 0 offset:24
	s_and_saveexec_b64 s[6:7], vcc
	s_cbranch_execz .LBB28_187
; %bb.186:
	buffer_load_dword v2, off, s[0:3], 0
	buffer_load_dword v3, off, s[0:3], 0 offset:4
	buffer_load_dword v4, off, s[0:3], 0 offset:8
	;; [unrolled: 1-line block ×3, first 2 shown]
	s_nop 0
	buffer_store_dword v220, off, s[0:3], 0
	buffer_store_dword v220, off, s[0:3], 0 offset:4
	buffer_store_dword v220, off, s[0:3], 0 offset:8
	;; [unrolled: 1-line block ×3, first 2 shown]
	s_waitcnt vmcnt(4)
	ds_write_b128 v1, v[2:5]
.LBB28_187:
	s_or_b64 exec, exec, s[6:7]
	s_waitcnt lgkmcnt(0)
	; wave barrier
	s_waitcnt lgkmcnt(0)
	buffer_load_dword v34, off, s[0:3], 0 offset:16
	buffer_load_dword v35, off, s[0:3], 0 offset:20
	buffer_load_dword v96, off, s[0:3], 0 offset:24
	buffer_load_dword v97, off, s[0:3], 0 offset:28
	buffer_load_dword v36, off, s[0:3], 0 offset:32
	buffer_load_dword v37, off, s[0:3], 0 offset:36
	buffer_load_dword v98, off, s[0:3], 0 offset:40
	buffer_load_dword v99, off, s[0:3], 0 offset:44
	buffer_load_dword v100, off, s[0:3], 0 offset:56
	buffer_load_dword v101, off, s[0:3], 0 offset:60
	buffer_load_dword v107, off, s[0:3], 0 offset:76
	buffer_load_dword v106, off, s[0:3], 0 offset:72
	buffer_load_dword v109, off, s[0:3], 0 offset:124
	buffer_load_dword v108, off, s[0:3], 0 offset:120
	buffer_load_dword v111, off, s[0:3], 0 offset:116
	buffer_load_dword v113, off, s[0:3], 0 offset:108
	buffer_load_dword v112, off, s[0:3], 0 offset:104
	buffer_load_dword v115, off, s[0:3], 0 offset:92
	buffer_load_dword v114, off, s[0:3], 0 offset:88
	buffer_load_dword v117, off, s[0:3], 0 offset:84
	buffer_load_dword v116, off, s[0:3], 0 offset:80
	buffer_load_dword v122, off, s[0:3], 0 offset:48
	buffer_load_dword v123, off, s[0:3], 0 offset:52
	buffer_load_dword v121, off, s[0:3], 0 offset:68
	buffer_load_dword v120, off, s[0:3], 0 offset:64
	buffer_load_dword v119, off, s[0:3], 0 offset:100
	buffer_load_dword v118, off, s[0:3], 0 offset:96
	buffer_load_dword v110, off, s[0:3], 0 offset:112
	buffer_load_dword v104, off, s[0:3], 0
	buffer_load_dword v105, off, s[0:3], 0 offset:4
	buffer_load_dword v102, off, s[0:3], 0 offset:8
	;; [unrolled: 1-line block ×3, first 2 shown]
	ds_read_b128 v[30:33], v220 offset:480
	ds_read_b128 v[26:29], v220 offset:496
	;; [unrolled: 1-line block ×8, first 2 shown]
	buffer_load_dword v125, off, s[0:3], 0 offset:156
	buffer_load_dword v124, off, s[0:3], 0 offset:152
	;; [unrolled: 1-line block ×80, first 2 shown]
	s_and_b64 vcc, exec, s[26:27]
	s_waitcnt vmcnt(62) lgkmcnt(7)
	v_mul_f64 v[40:41], v[30:31], v[96:97]
	v_fmac_f64_e32 v[40:41], v[32:33], v[34:35]
	v_add_f64 v[40:41], v[40:41], 0
	v_mul_f64 v[32:33], v[32:33], v[96:97]
	s_waitcnt lgkmcnt(6)
	v_mul_f64 v[42:43], v[26:27], v[98:99]
	v_fmac_f64_e32 v[42:43], v[28:29], v[36:37]
	s_waitcnt lgkmcnt(5)
	v_mul_f64 v[44:45], v[22:23], v[100:101]
	v_add_f64 v[40:41], v[40:41], v[42:43]
	s_waitcnt lgkmcnt(4)
	v_mul_f64 v[46:47], v[18:19], v[106:107]
	v_fma_f64 v[30:31], v[30:31], v[34:35], -v[32:33]
	s_waitcnt lgkmcnt(1)
	v_mul_f64 v[180:181], v[2:3], v[108:109]
	v_mul_f64 v[28:29], v[28:29], v[98:99]
	v_add_f64 v[30:31], v[30:31], 0
	v_mul_f64 v[50:51], v[6:7], v[112:113]
	v_fma_f64 v[26:27], v[26:27], v[36:37], -v[28:29]
	v_mul_f64 v[48:49], v[10:11], v[114:115]
	v_add_f64 v[26:27], v[30:31], v[26:27]
	v_fmac_f64_e32 v[48:49], v[12:13], v[116:117]
	v_mul_f64 v[12:13], v[12:13], v[114:115]
	v_fmac_f64_e32 v[44:45], v[24:25], v[122:123]
	v_add_f64 v[40:41], v[40:41], v[44:45]
	v_fmac_f64_e32 v[46:47], v[20:21], v[120:121]
	v_add_f64 v[40:41], v[40:41], v[46:47]
	;; [unrolled: 2-line block ×3, first 2 shown]
	v_add_f64 v[182:183], v[40:41], v[50:51]
	ds_read_b128 v[40:43], v220 offset:608
	buffer_load_dword v73, off, s[0:3], 0 offset:460
	buffer_load_dword v72, off, s[0:3], 0 offset:456
	;; [unrolled: 1-line block ×4, first 2 shown]
	v_fmac_f64_e32 v[180:181], v[4:5], v[110:111]
	s_waitcnt lgkmcnt(1)
	v_mul_f64 v[46:47], v[14:15], v[128:129]
	v_add_f64 v[44:45], v[182:183], v[180:181]
	v_fmac_f64_e32 v[46:47], v[16:17], v[130:131]
	v_add_f64 v[48:49], v[44:45], v[46:47]
	ds_read_b128 v[44:47], v220 offset:624
	v_mul_f64 v[24:25], v[24:25], v[100:101]
	v_fma_f64 v[22:23], v[22:23], v[122:123], -v[24:25]
	v_mul_f64 v[20:21], v[20:21], v[106:107]
	v_add_f64 v[22:23], v[26:27], v[22:23]
	v_fma_f64 v[18:19], v[18:19], v[120:121], -v[20:21]
	s_waitcnt lgkmcnt(1)
	v_mul_f64 v[50:51], v[40:41], v[124:125]
	v_add_f64 v[18:19], v[22:23], v[18:19]
	v_fma_f64 v[10:11], v[10:11], v[116:117], -v[12:13]
	v_mul_f64 v[8:9], v[8:9], v[112:113]
	v_fmac_f64_e32 v[50:51], v[42:43], v[126:127]
	v_add_f64 v[10:11], v[18:19], v[10:11]
	v_fma_f64 v[6:7], v[6:7], v[118:119], -v[8:9]
	v_mul_f64 v[4:5], v[4:5], v[108:109]
	v_add_f64 v[52:53], v[48:49], v[50:51]
	ds_read_b128 v[48:51], v220 offset:640
	s_waitcnt lgkmcnt(1)
	v_mul_f64 v[54:55], v[44:45], v[136:137]
	v_add_f64 v[6:7], v[10:11], v[6:7]
	v_fma_f64 v[2:3], v[2:3], v[110:111], -v[4:5]
	v_mul_f64 v[4:5], v[16:17], v[128:129]
	v_fmac_f64_e32 v[54:55], v[46:47], v[138:139]
	v_add_f64 v[2:3], v[6:7], v[2:3]
	v_fma_f64 v[4:5], v[14:15], v[130:131], -v[4:5]
	v_add_f64 v[56:57], v[52:53], v[54:55]
	ds_read_b128 v[52:55], v220 offset:656
	ds_read_b128 v[180:183], v220 offset:672
	v_add_f64 v[2:3], v[2:3], v[4:5]
	v_mul_f64 v[4:5], v[42:43], v[124:125]
	v_fma_f64 v[4:5], v[40:41], v[126:127], -v[4:5]
	v_add_f64 v[2:3], v[2:3], v[4:5]
	v_mul_f64 v[4:5], v[46:47], v[136:137]
	s_waitcnt lgkmcnt(2)
	v_mul_f64 v[58:59], v[48:49], v[132:133]
	v_fma_f64 v[4:5], v[44:45], v[138:139], -v[4:5]
	v_fmac_f64_e32 v[58:59], v[50:51], v[134:135]
	ds_read_b128 v[192:195], v220 offset:688
	ds_read_b128 v[196:199], v220 offset:704
	v_add_f64 v[2:3], v[2:3], v[4:5]
	v_mul_f64 v[4:5], v[50:51], v[132:133]
	v_add_f64 v[56:57], v[56:57], v[58:59]
	s_waitcnt vmcnt(62) lgkmcnt(3)
	v_mul_f64 v[58:59], v[52:53], v[144:145]
	v_fma_f64 v[4:5], v[48:49], v[134:135], -v[4:5]
	s_waitcnt vmcnt(60)
	v_fmac_f64_e32 v[58:59], v[54:55], v[146:147]
	v_add_f64 v[2:3], v[2:3], v[4:5]
	v_mul_f64 v[4:5], v[54:55], v[144:145]
	v_add_f64 v[56:57], v[56:57], v[58:59]
	s_waitcnt lgkmcnt(2)
	v_mul_f64 v[58:59], v[180:181], v[140:141]
	v_fma_f64 v[4:5], v[52:53], v[146:147], -v[4:5]
	v_fmac_f64_e32 v[58:59], v[182:183], v[142:143]
	ds_read_b128 v[200:203], v220 offset:720
	ds_read_b128 v[204:207], v220 offset:736
	v_add_f64 v[2:3], v[2:3], v[4:5]
	v_mul_f64 v[4:5], v[182:183], v[140:141]
	v_add_f64 v[56:57], v[56:57], v[58:59]
	s_waitcnt vmcnt(54) lgkmcnt(3)
	v_mul_f64 v[58:59], v[192:193], v[152:153]
	v_fma_f64 v[4:5], v[180:181], v[142:143], -v[4:5]
	s_waitcnt vmcnt(52)
	v_fmac_f64_e32 v[58:59], v[194:195], v[154:155]
	v_add_f64 v[2:3], v[2:3], v[4:5]
	v_mul_f64 v[4:5], v[194:195], v[152:153]
	v_add_f64 v[56:57], v[56:57], v[58:59]
	;; [unrolled: 17-line block ×6, first 2 shown]
	s_waitcnt lgkmcnt(2)
	v_mul_f64 v[58:59], v[234:235], v[184:185]
	v_fma_f64 v[4:5], v[230:231], v[190:191], -v[4:5]
	v_fmac_f64_e32 v[58:59], v[236:237], v[186:187]
	v_add_f64 v[2:3], v[2:3], v[4:5]
	v_mul_f64 v[4:5], v[236:237], v[184:185]
	v_add_f64 v[56:57], v[56:57], v[58:59]
	s_waitcnt vmcnt(14) lgkmcnt(1)
	v_mul_f64 v[58:59], v[238:239], v[64:65]
	ds_read_b128 v[246:249], v220 offset:880
	ds_read_b128 v[250:253], v220 offset:896
	v_fma_f64 v[4:5], v[234:235], v[186:187], -v[4:5]
	s_waitcnt vmcnt(12)
	v_fmac_f64_e32 v[58:59], v[240:241], v[66:67]
	v_add_f64 v[2:3], v[2:3], v[4:5]
	v_mul_f64 v[4:5], v[240:241], v[64:65]
	v_add_f64 v[56:57], v[56:57], v[58:59]
	s_waitcnt lgkmcnt(2)
	v_mul_f64 v[58:59], v[242:243], v[60:61]
	v_fma_f64 v[4:5], v[238:239], v[66:67], -v[4:5]
	v_fmac_f64_e32 v[58:59], v[244:245], v[62:63]
	v_add_f64 v[2:3], v[2:3], v[4:5]
	v_mul_f64 v[4:5], v[244:245], v[60:61]
	v_add_f64 v[76:77], v[56:57], v[58:59]
	ds_read_b128 v[56:59], v220 offset:912
	v_fma_f64 v[4:5], v[242:243], v[62:63], -v[4:5]
	v_add_f64 v[2:3], v[2:3], v[4:5]
	s_waitcnt vmcnt(6) lgkmcnt(2)
	v_mul_f64 v[4:5], v[248:249], v[216:217]
	v_mul_f64 v[78:79], v[246:247], v[216:217]
	s_waitcnt vmcnt(4)
	v_fma_f64 v[4:5], v[246:247], v[254:255], -v[4:5]
	v_fmac_f64_e32 v[78:79], v[248:249], v[254:255]
	v_add_f64 v[2:3], v[2:3], v[4:5]
	s_waitcnt lgkmcnt(1)
	v_mul_f64 v[4:5], v[252:253], v[68:69]
	v_add_f64 v[76:77], v[76:77], v[78:79]
	v_mul_f64 v[78:79], v[250:251], v[68:69]
	v_fma_f64 v[4:5], v[250:251], v[70:71], -v[4:5]
	v_fmac_f64_e32 v[78:79], v[252:253], v[70:71]
	v_add_f64 v[2:3], v[2:3], v[4:5]
	s_waitcnt vmcnt(2) lgkmcnt(0)
	v_mul_f64 v[4:5], v[58:59], v[72:73]
	v_add_f64 v[76:77], v[76:77], v[78:79]
	v_mul_f64 v[78:79], v[56:57], v[72:73]
	s_waitcnt vmcnt(0)
	v_fma_f64 v[4:5], v[56:57], v[74:75], -v[4:5]
	v_fmac_f64_e32 v[78:79], v[58:59], v[74:75]
	v_add_f64 v[2:3], v[2:3], v[4:5]
	v_add_f64 v[76:77], v[76:77], v[78:79]
	v_add_f64 v[2:3], v[104:105], -v[2:3]
	v_add_f64 v[4:5], v[102:103], -v[76:77]
	buffer_store_dword v3, off, s[0:3], 0 offset:4
	buffer_store_dword v2, off, s[0:3], 0
	buffer_store_dword v5, off, s[0:3], 0 offset:12
	buffer_store_dword v4, off, s[0:3], 0 offset:8
	s_cbranch_vccz .LBB28_245
; %bb.188:
	v_pk_mov_b32 v[2:3], s[24:25], s[24:25] op_sel:[0,1]
	flat_load_dword v1, v[2:3] offset:108
	s_load_dwordx2 s[4:5], s[4:5], 0x4
	v_bfe_u32 v3, v0, 10, 10
	v_bfe_u32 v0, v0, 20, 10
	s_waitcnt lgkmcnt(0)
	s_lshr_b32 s4, s4, 16
	s_mul_i32 s4, s4, s5
	v_mul_u32_u24_e32 v2, s4, v219
	v_mul_u32_u24_e32 v3, s5, v3
	v_add3_u32 v0, v2, v3, v0
	v_mov_b32_e32 v2, 0x3a8
	v_lshl_add_u32 v0, v0, 4, v2
	s_waitcnt vmcnt(0)
	v_add_u32_e32 v2, -1, v1
	v_cmp_ne_u32_e32 vcc, 27, v2
	s_and_saveexec_b64 s[4:5], vcc
	s_cbranch_execz .LBB28_190
; %bb.189:
	v_mov_b32_e32 v1, 0
	v_accvgpr_read_b32 v10, a41
	v_lshl_add_u32 v1, v2, 4, v1
	buffer_load_dword v2, v10, s[0:3], 0 offen
	buffer_load_dword v3, v10, s[0:3], 0 offen offset:4
	buffer_load_dword v4, v10, s[0:3], 0 offen offset:8
	buffer_load_dword v5, v10, s[0:3], 0 offen offset:12
	buffer_load_dword v6, v1, s[0:3], 0 offen
	buffer_load_dword v7, v1, s[0:3], 0 offen offset:4
	buffer_load_dword v8, v1, s[0:3], 0 offen offset:8
	buffer_load_dword v9, v1, s[0:3], 0 offen offset:12
	s_waitcnt vmcnt(4)
	ds_write2_b64 v0, v[2:3], v[4:5] offset1:1
	s_waitcnt vmcnt(3)
	buffer_store_dword v6, v10, s[0:3], 0 offen
	s_waitcnt vmcnt(3)
	buffer_store_dword v7, v10, s[0:3], 0 offen offset:4
	s_waitcnt vmcnt(3)
	buffer_store_dword v8, v10, s[0:3], 0 offen offset:8
	s_waitcnt vmcnt(3)
	buffer_store_dword v9, v10, s[0:3], 0 offen offset:12
	buffer_store_dword v5, v1, s[0:3], 0 offen offset:12
	buffer_store_dword v4, v1, s[0:3], 0 offen offset:8
	buffer_store_dword v3, v1, s[0:3], 0 offen offset:4
	buffer_store_dword v2, v1, s[0:3], 0 offen
.LBB28_190:
	s_or_b64 exec, exec, s[4:5]
	v_pk_mov_b32 v[2:3], s[24:25], s[24:25] op_sel:[0,1]
	flat_load_dword v1, v[2:3] offset:104
	s_waitcnt vmcnt(0) lgkmcnt(0)
	v_add_u32_e32 v2, -1, v1
	v_cmp_ne_u32_e32 vcc, 26, v2
	s_and_saveexec_b64 s[4:5], vcc
	s_cbranch_execz .LBB28_192
; %bb.191:
	v_mov_b32_e32 v1, 0
	v_accvgpr_read_b32 v10, a42
	v_lshl_add_u32 v1, v2, 4, v1
	buffer_load_dword v2, v10, s[0:3], 0 offen
	buffer_load_dword v3, v10, s[0:3], 0 offen offset:4
	buffer_load_dword v4, v10, s[0:3], 0 offen offset:8
	buffer_load_dword v5, v10, s[0:3], 0 offen offset:12
	buffer_load_dword v6, v1, s[0:3], 0 offen
	buffer_load_dword v7, v1, s[0:3], 0 offen offset:4
	buffer_load_dword v8, v1, s[0:3], 0 offen offset:8
	buffer_load_dword v9, v1, s[0:3], 0 offen offset:12
	s_waitcnt vmcnt(4)
	ds_write2_b64 v0, v[2:3], v[4:5] offset1:1
	s_waitcnt vmcnt(3)
	buffer_store_dword v6, v10, s[0:3], 0 offen
	s_waitcnt vmcnt(3)
	buffer_store_dword v7, v10, s[0:3], 0 offen offset:4
	s_waitcnt vmcnt(3)
	buffer_store_dword v8, v10, s[0:3], 0 offen offset:8
	s_waitcnt vmcnt(3)
	buffer_store_dword v9, v10, s[0:3], 0 offen offset:12
	buffer_store_dword v5, v1, s[0:3], 0 offen offset:12
	buffer_store_dword v4, v1, s[0:3], 0 offen offset:8
	buffer_store_dword v3, v1, s[0:3], 0 offen offset:4
	buffer_store_dword v2, v1, s[0:3], 0 offen
.LBB28_192:
	s_or_b64 exec, exec, s[4:5]
	v_pk_mov_b32 v[2:3], s[24:25], s[24:25] op_sel:[0,1]
	flat_load_dword v1, v[2:3] offset:100
	s_waitcnt vmcnt(0) lgkmcnt(0)
	;; [unrolled: 35-line block ×24, first 2 shown]
	v_add_u32_e32 v2, -1, v1
	v_cmp_ne_u32_e32 vcc, 3, v2
	s_and_saveexec_b64 s[4:5], vcc
	s_cbranch_execz .LBB28_238
; %bb.237:
	v_mov_b32_e32 v1, 0
	v_lshl_add_u32 v1, v2, 4, v1
	buffer_load_dword v2, v218, s[0:3], 0 offen
	buffer_load_dword v3, v218, s[0:3], 0 offen offset:4
	buffer_load_dword v4, v218, s[0:3], 0 offen offset:8
	;; [unrolled: 1-line block ×3, first 2 shown]
	buffer_load_dword v6, v1, s[0:3], 0 offen
	buffer_load_dword v7, v1, s[0:3], 0 offen offset:4
	buffer_load_dword v8, v1, s[0:3], 0 offen offset:8
	;; [unrolled: 1-line block ×3, first 2 shown]
	s_waitcnt vmcnt(4)
	ds_write2_b64 v0, v[2:3], v[4:5] offset1:1
	s_waitcnt vmcnt(3)
	buffer_store_dword v6, v218, s[0:3], 0 offen
	s_waitcnt vmcnt(3)
	buffer_store_dword v7, v218, s[0:3], 0 offen offset:4
	s_waitcnt vmcnt(3)
	buffer_store_dword v8, v218, s[0:3], 0 offen offset:8
	;; [unrolled: 2-line block ×3, first 2 shown]
	buffer_store_dword v5, v1, s[0:3], 0 offen offset:12
	buffer_store_dword v4, v1, s[0:3], 0 offen offset:8
	buffer_store_dword v3, v1, s[0:3], 0 offen offset:4
	buffer_store_dword v2, v1, s[0:3], 0 offen
.LBB28_238:
	s_or_b64 exec, exec, s[4:5]
	v_pk_mov_b32 v[2:3], s[24:25], s[24:25] op_sel:[0,1]
	flat_load_dword v1, v[2:3] offset:8
	s_waitcnt vmcnt(0) lgkmcnt(0)
	v_add_u32_e32 v2, -1, v1
	v_cmp_ne_u32_e32 vcc, 2, v2
	s_and_saveexec_b64 s[4:5], vcc
	s_cbranch_execz .LBB28_240
; %bb.239:
	v_mov_b32_e32 v1, 0
	v_accvgpr_read_b32 v10, a65
	v_lshl_add_u32 v1, v2, 4, v1
	buffer_load_dword v2, v10, s[0:3], 0 offen
	buffer_load_dword v3, v10, s[0:3], 0 offen offset:4
	buffer_load_dword v4, v10, s[0:3], 0 offen offset:8
	;; [unrolled: 1-line block ×3, first 2 shown]
	buffer_load_dword v6, v1, s[0:3], 0 offen
	buffer_load_dword v7, v1, s[0:3], 0 offen offset:4
	buffer_load_dword v8, v1, s[0:3], 0 offen offset:8
	buffer_load_dword v9, v1, s[0:3], 0 offen offset:12
	s_waitcnt vmcnt(4)
	ds_write2_b64 v0, v[2:3], v[4:5] offset1:1
	s_waitcnt vmcnt(3)
	buffer_store_dword v6, v10, s[0:3], 0 offen
	s_waitcnt vmcnt(3)
	buffer_store_dword v7, v10, s[0:3], 0 offen offset:4
	s_waitcnt vmcnt(3)
	buffer_store_dword v8, v10, s[0:3], 0 offen offset:8
	;; [unrolled: 2-line block ×3, first 2 shown]
	buffer_store_dword v5, v1, s[0:3], 0 offen offset:12
	buffer_store_dword v4, v1, s[0:3], 0 offen offset:8
	;; [unrolled: 1-line block ×3, first 2 shown]
	buffer_store_dword v2, v1, s[0:3], 0 offen
.LBB28_240:
	s_or_b64 exec, exec, s[4:5]
	v_pk_mov_b32 v[2:3], s[24:25], s[24:25] op_sel:[0,1]
	flat_load_dword v1, v[2:3] offset:4
	s_waitcnt vmcnt(0) lgkmcnt(0)
	v_add_u32_e32 v2, -1, v1
	v_cmp_ne_u32_e32 vcc, 1, v2
	s_and_saveexec_b64 s[4:5], vcc
	s_cbranch_execz .LBB28_242
; %bb.241:
	v_mov_b32_e32 v1, 0
	v_accvgpr_read_b32 v10, a66
	v_lshl_add_u32 v1, v2, 4, v1
	buffer_load_dword v2, v10, s[0:3], 0 offen
	buffer_load_dword v3, v10, s[0:3], 0 offen offset:4
	buffer_load_dword v4, v10, s[0:3], 0 offen offset:8
	;; [unrolled: 1-line block ×3, first 2 shown]
	buffer_load_dword v6, v1, s[0:3], 0 offen
	buffer_load_dword v7, v1, s[0:3], 0 offen offset:4
	buffer_load_dword v8, v1, s[0:3], 0 offen offset:8
	;; [unrolled: 1-line block ×3, first 2 shown]
	s_waitcnt vmcnt(4)
	ds_write2_b64 v0, v[2:3], v[4:5] offset1:1
	s_waitcnt vmcnt(3)
	buffer_store_dword v6, v10, s[0:3], 0 offen
	s_waitcnt vmcnt(3)
	buffer_store_dword v7, v10, s[0:3], 0 offen offset:4
	s_waitcnt vmcnt(3)
	buffer_store_dword v8, v10, s[0:3], 0 offen offset:8
	;; [unrolled: 2-line block ×3, first 2 shown]
	buffer_store_dword v5, v1, s[0:3], 0 offen offset:12
	buffer_store_dword v4, v1, s[0:3], 0 offen offset:8
	;; [unrolled: 1-line block ×3, first 2 shown]
	buffer_store_dword v2, v1, s[0:3], 0 offen
.LBB28_242:
	s_or_b64 exec, exec, s[4:5]
	v_pk_mov_b32 v[2:3], s[24:25], s[24:25] op_sel:[0,1]
	flat_load_dword v1, v[2:3]
	s_waitcnt vmcnt(0) lgkmcnt(0)
	v_add_u32_e32 v2, -1, v1
	v_cmp_ne_u32_e32 vcc, 0, v2
	s_and_saveexec_b64 s[4:5], vcc
	s_cbranch_execz .LBB28_244
; %bb.243:
	v_mov_b32_e32 v1, 0
	v_lshl_add_u32 v1, v2, 4, v1
	buffer_load_dword v2, off, s[0:3], 0
	buffer_load_dword v3, off, s[0:3], 0 offset:4
	buffer_load_dword v4, off, s[0:3], 0 offset:8
	;; [unrolled: 1-line block ×3, first 2 shown]
	buffer_load_dword v6, v1, s[0:3], 0 offen
	buffer_load_dword v7, v1, s[0:3], 0 offen offset:4
	buffer_load_dword v8, v1, s[0:3], 0 offen offset:8
	;; [unrolled: 1-line block ×3, first 2 shown]
	s_waitcnt vmcnt(4)
	ds_write2_b64 v0, v[2:3], v[4:5] offset1:1
	s_waitcnt vmcnt(3)
	buffer_store_dword v6, off, s[0:3], 0
	s_waitcnt vmcnt(3)
	buffer_store_dword v7, off, s[0:3], 0 offset:4
	s_waitcnt vmcnt(3)
	buffer_store_dword v8, off, s[0:3], 0 offset:8
	;; [unrolled: 2-line block ×3, first 2 shown]
	buffer_store_dword v5, v1, s[0:3], 0 offen offset:12
	buffer_store_dword v4, v1, s[0:3], 0 offen offset:8
	;; [unrolled: 1-line block ×3, first 2 shown]
	buffer_store_dword v2, v1, s[0:3], 0 offen
.LBB28_244:
	s_or_b64 exec, exec, s[4:5]
.LBB28_245:
	v_accvgpr_read_b32 v18, a66
	buffer_load_dword v2, off, s[0:3], 0
	buffer_load_dword v3, off, s[0:3], 0 offset:4
	buffer_load_dword v4, off, s[0:3], 0 offset:8
	;; [unrolled: 1-line block ×3, first 2 shown]
	buffer_load_dword v6, v18, s[0:3], 0 offen
	buffer_load_dword v7, v18, s[0:3], 0 offen offset:4
	buffer_load_dword v8, v18, s[0:3], 0 offen offset:8
	;; [unrolled: 1-line block ×3, first 2 shown]
	v_accvgpr_read_b32 v1, a65
	buffer_load_dword v11, v1, s[0:3], 0 offen offset:4
	buffer_load_dword v12, v1, s[0:3], 0 offen offset:8
	;; [unrolled: 1-line block ×3, first 2 shown]
	buffer_load_dword v14, v218, s[0:3], 0 offen
	buffer_load_dword v15, v218, s[0:3], 0 offen offset:4
	buffer_load_dword v16, v218, s[0:3], 0 offen offset:8
	buffer_load_dword v10, v1, s[0:3], 0 offen
	buffer_load_dword v17, v218, s[0:3], 0 offen offset:12
	v_accvgpr_read_b32 v0, a61
	buffer_load_dword v19, v0, s[0:3], 0 offen offset:4
	buffer_load_dword v20, v0, s[0:3], 0 offen offset:8
	;; [unrolled: 1-line block ×3, first 2 shown]
                                        ; kill: killed $vgpr1
	v_accvgpr_read_b32 v1, a62
                                        ; kill: killed $vgpr18
	buffer_load_dword v22, v1, s[0:3], 0 offen
	buffer_load_dword v23, v1, s[0:3], 0 offen offset:4
	buffer_load_dword v24, v1, s[0:3], 0 offen offset:8
	buffer_load_dword v18, v0, s[0:3], 0 offen
	buffer_load_dword v25, v1, s[0:3], 0 offen offset:12
	v_accvgpr_read_b32 v37, a64
	buffer_load_dword v27, v37, s[0:3], 0 offen offset:4
	buffer_load_dword v28, v37, s[0:3], 0 offen offset:8
	;; [unrolled: 1-line block ×3, first 2 shown]
	v_accvgpr_read_b32 v34, a63
	buffer_load_dword v30, v34, s[0:3], 0 offen
	buffer_load_dword v31, v34, s[0:3], 0 offen offset:4
	buffer_load_dword v32, v34, s[0:3], 0 offen offset:8
	buffer_load_dword v26, v37, s[0:3], 0 offen
	buffer_load_dword v33, v34, s[0:3], 0 offen offset:12
	v_accvgpr_read_b32 v54, a59
	buffer_load_dword v35, v54, s[0:3], 0 offen offset:4
	buffer_load_dword v36, v54, s[0:3], 0 offen offset:8
                                        ; kill: killed $vgpr37
                                        ; kill: killed $vgpr1
                                        ; kill: killed $vgpr34
                                        ; kill: killed $vgpr0
	buffer_load_dword v37, v54, s[0:3], 0 offen offset:12
	v_accvgpr_read_b32 v0, a57
	buffer_load_dword v40, v0, s[0:3], 0 offen
	buffer_load_dword v41, v0, s[0:3], 0 offen offset:4
	buffer_load_dword v42, v0, s[0:3], 0 offen offset:8
	buffer_load_dword v34, v54, s[0:3], 0 offen
	buffer_load_dword v43, v0, s[0:3], 0 offen offset:12
	v_accvgpr_read_b32 v55, a60
	buffer_load_dword v45, v55, s[0:3], 0 offen offset:4
	buffer_load_dword v46, v55, s[0:3], 0 offen offset:8
	;; [unrolled: 1-line block ×3, first 2 shown]
	v_accvgpr_read_b32 v52, a58
	buffer_load_dword v48, v52, s[0:3], 0 offen
	buffer_load_dword v49, v52, s[0:3], 0 offen offset:4
	buffer_load_dword v50, v52, s[0:3], 0 offen offset:8
	buffer_load_dword v44, v55, s[0:3], 0 offen
	buffer_load_dword v51, v52, s[0:3], 0 offen offset:12
	v_accvgpr_read_b32 v1, a56
	buffer_load_dword v53, v1, s[0:3], 0 offen offset:4
                                        ; kill: killed $vgpr54
                                        ; kill: killed $vgpr55
                                        ; kill: killed $vgpr0
                                        ; kill: killed $vgpr52
	buffer_load_dword v54, v1, s[0:3], 0 offen offset:8
	buffer_load_dword v55, v1, s[0:3], 0 offen offset:12
	v_accvgpr_read_b32 v0, a55
	buffer_load_dword v56, v0, s[0:3], 0 offen
	buffer_load_dword v57, v0, s[0:3], 0 offen offset:4
	buffer_load_dword v58, v0, s[0:3], 0 offen offset:8
	buffer_load_dword v52, v1, s[0:3], 0 offen
	buffer_load_dword v59, v0, s[0:3], 0 offen offset:12
	v_accvgpr_read_b32 v1, a54
	buffer_load_dword v97, v1, s[0:3], 0 offen offset:4
	buffer_load_dword v98, v1, s[0:3], 0 offen offset:8
	;; [unrolled: 1-line block ×3, first 2 shown]
	v_accvgpr_read_b32 v0, a53
	buffer_load_dword v100, v0, s[0:3], 0 offen
	buffer_load_dword v101, v0, s[0:3], 0 offen offset:4
	buffer_load_dword v102, v0, s[0:3], 0 offen offset:8
	buffer_load_dword v96, v1, s[0:3], 0 offen
	buffer_load_dword v103, v0, s[0:3], 0 offen offset:12
	v_accvgpr_read_b32 v1, a52
	buffer_load_dword v105, v1, s[0:3], 0 offen offset:4
	buffer_load_dword v106, v1, s[0:3], 0 offen offset:8
	;; [unrolled: 1-line block ×3, first 2 shown]
	v_accvgpr_read_b32 v0, a51
	buffer_load_dword v108, v0, s[0:3], 0 offen
	buffer_load_dword v109, v0, s[0:3], 0 offen offset:4
	buffer_load_dword v110, v0, s[0:3], 0 offen offset:8
	buffer_load_dword v104, v1, s[0:3], 0 offen
	buffer_load_dword v111, v0, s[0:3], 0 offen offset:12
	v_accvgpr_read_b32 v1, a50
	v_accvgpr_read_b32 v0, a49
	buffer_load_dword v113, v1, s[0:3], 0 offen offset:4
	buffer_load_dword v114, v1, s[0:3], 0 offen offset:8
	buffer_load_dword v115, v1, s[0:3], 0 offen offset:12
	buffer_load_dword v116, v0, s[0:3], 0 offen
	buffer_load_dword v117, v0, s[0:3], 0 offen offset:4
	buffer_load_dword v118, v0, s[0:3], 0 offen offset:8
	buffer_load_dword v112, v1, s[0:3], 0 offen
	buffer_load_dword v119, v0, s[0:3], 0 offen offset:12
	v_accvgpr_read_b32 v1, a48
	v_accvgpr_read_b32 v0, a47
	buffer_load_dword v121, v1, s[0:3], 0 offen offset:4
	buffer_load_dword v122, v1, s[0:3], 0 offen offset:8
	buffer_load_dword v123, v1, s[0:3], 0 offen offset:12
	;; [unrolled: 10-line block ×5, first 2 shown]
	buffer_load_dword v148, v0, s[0:3], 0 offen
	buffer_load_dword v149, v0, s[0:3], 0 offen offset:4
	buffer_load_dword v150, v0, s[0:3], 0 offen offset:8
	buffer_load_dword v144, v1, s[0:3], 0 offen
	buffer_load_dword v151, v0, s[0:3], 0 offen offset:12
	v_accvgpr_read_b32 v0, a40
	buffer_load_dword v152, v0, s[0:3], 0 offen
	buffer_load_dword v153, v0, s[0:3], 0 offen offset:4
	buffer_load_dword v154, v0, s[0:3], 0 offen offset:8
	;; [unrolled: 1-line block ×3, first 2 shown]
	v_accvgpr_read_b32 v0, a0
	v_accvgpr_read_b32 v1, a1
                                        ; kill: killed $vgpr218
	s_waitcnt vmcnt(62)
	global_store_dwordx4 v[38:39], v[2:5], off
	global_store_dwordx4 v[0:1], v[6:9], off
	v_accvgpr_read_b32 v0, a2
	v_accvgpr_read_b32 v1, a3
	global_store_dwordx4 v[0:1], v[10:13], off
	v_accvgpr_read_b32 v0, a4
	v_accvgpr_read_b32 v1, a5
	;; [unrolled: 3-line block ×11, first 2 shown]
	s_waitcnt vmcnt(62)
	global_store_dwordx4 v[0:1], v[52:55], off
	v_accvgpr_read_b32 v0, a24
	v_accvgpr_read_b32 v1, a25
	global_store_dwordx4 v[0:1], v[56:59], off
	v_accvgpr_read_b32 v0, a26
	v_accvgpr_read_b32 v1, a27
	;; [unrolled: 3-line block ×4, first 2 shown]
	s_waitcnt vmcnt(61)
	global_store_dwordx4 v[0:1], v[104:107], off
	v_accvgpr_read_b32 v0, a32
	v_accvgpr_read_b32 v1, a33
	s_waitcnt vmcnt(61)
	global_store_dwordx4 v[0:1], v[108:111], off
	v_accvgpr_read_b32 v0, a34
	v_accvgpr_read_b32 v1, a35
	;; [unrolled: 4-line block ×4, first 2 shown]
	s_waitcnt vmcnt(49)
	global_store_dwordx4 v[0:1], v[120:123], off
	s_waitcnt vmcnt(49)
	global_store_dwordx4 v[80:81], v[124:127], off
	;; [unrolled: 2-line block ×9, first 2 shown]
	s_endpgm
	.section	.rodata,"a",@progbits
	.p2align	6, 0x0
	.amdhsa_kernel _ZN9rocsolver6v33100L18getri_kernel_smallILi29E19rocblas_complex_numIdEPS3_EEvT1_iilPiilS6_bb
		.amdhsa_group_segment_fixed_size 1960
		.amdhsa_private_segment_fixed_size 480
		.amdhsa_kernarg_size 60
		.amdhsa_user_sgpr_count 10
		.amdhsa_user_sgpr_private_segment_buffer 1
		.amdhsa_user_sgpr_dispatch_ptr 1
		.amdhsa_user_sgpr_queue_ptr 0
		.amdhsa_user_sgpr_kernarg_segment_ptr 1
		.amdhsa_user_sgpr_dispatch_id 0
		.amdhsa_user_sgpr_flat_scratch_init 1
		.amdhsa_user_sgpr_kernarg_preload_length 0
		.amdhsa_user_sgpr_kernarg_preload_offset 0
		.amdhsa_user_sgpr_private_segment_size 0
		.amdhsa_uses_dynamic_stack 0
		.amdhsa_system_sgpr_private_segment_wavefront_offset 1
		.amdhsa_system_sgpr_workgroup_id_x 1
		.amdhsa_system_sgpr_workgroup_id_y 0
		.amdhsa_system_sgpr_workgroup_id_z 0
		.amdhsa_system_sgpr_workgroup_info 0
		.amdhsa_system_vgpr_workitem_id 2
		.amdhsa_next_free_vgpr 323
		.amdhsa_next_free_sgpr 28
		.amdhsa_accum_offset 256
		.amdhsa_reserve_vcc 1
		.amdhsa_reserve_flat_scratch 1
		.amdhsa_float_round_mode_32 0
		.amdhsa_float_round_mode_16_64 0
		.amdhsa_float_denorm_mode_32 3
		.amdhsa_float_denorm_mode_16_64 3
		.amdhsa_dx10_clamp 1
		.amdhsa_ieee_mode 1
		.amdhsa_fp16_overflow 0
		.amdhsa_tg_split 0
		.amdhsa_exception_fp_ieee_invalid_op 0
		.amdhsa_exception_fp_denorm_src 0
		.amdhsa_exception_fp_ieee_div_zero 0
		.amdhsa_exception_fp_ieee_overflow 0
		.amdhsa_exception_fp_ieee_underflow 0
		.amdhsa_exception_fp_ieee_inexact 0
		.amdhsa_exception_int_div_zero 0
	.end_amdhsa_kernel
	.section	.text._ZN9rocsolver6v33100L18getri_kernel_smallILi29E19rocblas_complex_numIdEPS3_EEvT1_iilPiilS6_bb,"axG",@progbits,_ZN9rocsolver6v33100L18getri_kernel_smallILi29E19rocblas_complex_numIdEPS3_EEvT1_iilPiilS6_bb,comdat
.Lfunc_end28:
	.size	_ZN9rocsolver6v33100L18getri_kernel_smallILi29E19rocblas_complex_numIdEPS3_EEvT1_iilPiilS6_bb, .Lfunc_end28-_ZN9rocsolver6v33100L18getri_kernel_smallILi29E19rocblas_complex_numIdEPS3_EEvT1_iilPiilS6_bb
                                        ; -- End function
	.section	.AMDGPU.csdata,"",@progbits
; Kernel info:
; codeLenInByte = 62592
; NumSgprs: 34
; NumVgprs: 256
; NumAgprs: 67
; TotalNumVgprs: 323
; ScratchSize: 480
; MemoryBound: 0
; FloatMode: 240
; IeeeMode: 1
; LDSByteSize: 1960 bytes/workgroup (compile time only)
; SGPRBlocks: 4
; VGPRBlocks: 40
; NumSGPRsForWavesPerEU: 34
; NumVGPRsForWavesPerEU: 323
; AccumOffset: 256
; Occupancy: 1
; WaveLimiterHint : 1
; COMPUTE_PGM_RSRC2:SCRATCH_EN: 1
; COMPUTE_PGM_RSRC2:USER_SGPR: 10
; COMPUTE_PGM_RSRC2:TRAP_HANDLER: 0
; COMPUTE_PGM_RSRC2:TGID_X_EN: 1
; COMPUTE_PGM_RSRC2:TGID_Y_EN: 0
; COMPUTE_PGM_RSRC2:TGID_Z_EN: 0
; COMPUTE_PGM_RSRC2:TIDIG_COMP_CNT: 2
; COMPUTE_PGM_RSRC3_GFX90A:ACCUM_OFFSET: 63
; COMPUTE_PGM_RSRC3_GFX90A:TG_SPLIT: 0
	.section	.text._ZN9rocsolver6v33100L18getri_kernel_smallILi30E19rocblas_complex_numIdEPS3_EEvT1_iilPiilS6_bb,"axG",@progbits,_ZN9rocsolver6v33100L18getri_kernel_smallILi30E19rocblas_complex_numIdEPS3_EEvT1_iilPiilS6_bb,comdat
	.globl	_ZN9rocsolver6v33100L18getri_kernel_smallILi30E19rocblas_complex_numIdEPS3_EEvT1_iilPiilS6_bb ; -- Begin function _ZN9rocsolver6v33100L18getri_kernel_smallILi30E19rocblas_complex_numIdEPS3_EEvT1_iilPiilS6_bb
	.p2align	8
	.type	_ZN9rocsolver6v33100L18getri_kernel_smallILi30E19rocblas_complex_numIdEPS3_EEvT1_iilPiilS6_bb,@function
_ZN9rocsolver6v33100L18getri_kernel_smallILi30E19rocblas_complex_numIdEPS3_EEvT1_iilPiilS6_bb: ; @_ZN9rocsolver6v33100L18getri_kernel_smallILi30E19rocblas_complex_numIdEPS3_EEvT1_iilPiilS6_bb
; %bb.0:
	s_add_u32 flat_scratch_lo, s8, s11
	s_addc_u32 flat_scratch_hi, s9, 0
	s_add_u32 s0, s0, s11
	v_and_b32_e32 v230, 0x3ff, v0
	s_addc_u32 s1, s1, 0
	v_cmp_gt_u32_e32 vcc, 30, v230
	s_and_saveexec_b64 s[8:9], vcc
	s_cbranch_execz .LBB29_134
; %bb.1:
	s_load_dword s8, s[6:7], 0x38
	s_load_dwordx4 s[20:23], s[6:7], 0x10
	s_load_dwordx4 s[12:15], s[6:7], 0x28
                                        ; implicit-def: $sgpr24_sgpr25
	s_waitcnt lgkmcnt(0)
	s_bitcmp1_b32 s8, 8
	s_cselect_b64 s[26:27], -1, 0
	s_ashr_i32 s11, s10, 31
	s_bfe_u32 s9, s8, 0x10008
	s_cmp_eq_u32 s9, 0
	s_cbranch_scc1 .LBB29_3
; %bb.2:
	s_load_dword s16, s[6:7], 0x20
	s_mul_i32 s9, s10, s13
	s_mul_hi_u32 s13, s10, s12
	s_mul_i32 s18, s11, s12
	s_add_i32 s9, s13, s9
	s_add_i32 s13, s9, s18
	s_mul_i32 s12, s10, s12
	s_waitcnt lgkmcnt(0)
	s_ashr_i32 s17, s16, 31
	s_lshl_b64 s[12:13], s[12:13], 2
	s_add_u32 s9, s22, s12
	s_addc_u32 s18, s23, s13
	s_lshl_b64 s[12:13], s[16:17], 2
	s_add_u32 s24, s9, s12
	s_addc_u32 s25, s18, s13
.LBB29_3:
	s_load_dwordx4 s[16:19], s[6:7], 0x0
	s_mul_i32 s6, s10, s21
	s_mul_hi_u32 s7, s10, s20
	s_add_i32 s9, s7, s6
	s_mul_i32 s12, s11, s20
	s_add_i32 s13, s9, s12
	s_mul_i32 s12, s10, s20
	s_waitcnt lgkmcnt(0)
	s_ashr_i32 s7, s18, 31
	s_lshl_b64 s[12:13], s[12:13], 4
	s_mov_b32 s6, s18
	s_add_u32 s9, s16, s12
	s_addc_u32 s12, s17, s13
	s_lshl_b64 s[6:7], s[6:7], 4
	s_add_u32 s6, s9, s6
	s_addc_u32 s7, s12, s7
	s_add_i32 s9, s19, s19
	v_add_u32_e32 v4, s9, v230
	v_ashrrev_i32_e32 v5, 31, v4
	v_add_u32_e32 v2, s19, v4
	v_lshlrev_b64 v[4:5], 4, v[4:5]
	v_mov_b32_e32 v1, s7
	v_add_co_u32_e32 v4, vcc, s6, v4
	v_lshlrev_b32_e32 v16, 4, v230
	v_addc_co_u32_e32 v5, vcc, v1, v5, vcc
	global_load_dwordx4 v[18:21], v16, s[6:7]
	v_add_co_u32_e32 v40, vcc, s6, v16
	s_mov_b32 s12, s19
	s_ashr_i32 s13, s19, 31
	v_addc_co_u32_e32 v41, vcc, 0, v1, vcc
	s_lshl_b64 s[12:13], s[12:13], 4
	v_mov_b32_e32 v1, s13
	v_add_co_u32_e32 v22, vcc, s12, v40
	v_addc_co_u32_e32 v23, vcc, v41, v1, vcc
	v_accvgpr_write_b32 a2, v22
	v_accvgpr_write_b32 a3, v23
	global_load_dwordx4 v[22:25], v[22:23], off
	v_ashrrev_i32_e32 v3, 31, v2
	global_load_dwordx4 v[26:29], v[4:5], off
	v_add_u32_e32 v6, s19, v2
	v_accvgpr_write_b32 a0, v4
	v_lshlrev_b64 v[2:3], 4, v[2:3]
	v_accvgpr_write_b32 a1, v5
	v_mov_b32_e32 v1, s7
	v_add_co_u32_e32 v4, vcc, s6, v2
	v_addc_co_u32_e32 v5, vcc, v1, v3, vcc
	v_ashrrev_i32_e32 v7, 31, v6
	global_load_dwordx4 v[30:33], v[4:5], off
	v_lshlrev_b64 v[2:3], 4, v[6:7]
	v_add_co_u32_e32 v2, vcc, s6, v2
	v_add_u32_e32 v8, s19, v6
	v_addc_co_u32_e32 v3, vcc, v1, v3, vcc
	v_accvgpr_write_b32 a7, v3
	global_load_dwordx4 v[34:37], v[2:3], off
	v_ashrrev_i32_e32 v9, 31, v8
	v_accvgpr_write_b32 a4, v4
	v_accvgpr_write_b32 a6, v2
	v_lshlrev_b64 v[2:3], 4, v[8:9]
	v_accvgpr_write_b32 a5, v5
	v_add_co_u32_e32 v4, vcc, s6, v2
	v_add_u32_e32 v10, s19, v8
	v_addc_co_u32_e32 v5, vcc, v1, v3, vcc
	v_ashrrev_i32_e32 v11, 31, v10
	global_load_dwordx4 v[58:61], v[4:5], off
	v_lshlrev_b64 v[2:3], 4, v[10:11]
	v_add_co_u32_e32 v2, vcc, s6, v2
	v_add_u32_e32 v12, s19, v10
	v_addc_co_u32_e32 v3, vcc, v1, v3, vcc
	global_load_dwordx4 v[62:65], v[2:3], off
	v_accvgpr_write_b32 a11, v3
	v_ashrrev_i32_e32 v13, 31, v12
	v_accvgpr_write_b32 a9, v5
	v_accvgpr_write_b32 a10, v2
	v_lshlrev_b64 v[2:3], 4, v[12:13]
	v_accvgpr_write_b32 a8, v4
	v_add_co_u32_e32 v4, vcc, s6, v2
	v_add_u32_e32 v14, s19, v12
	v_addc_co_u32_e32 v5, vcc, v1, v3, vcc
	v_ashrrev_i32_e32 v15, 31, v14
	global_load_dwordx4 v[10:13], v[4:5], off
	v_lshlrev_b64 v[2:3], 4, v[14:15]
	v_add_co_u32_e32 v2, vcc, s6, v2
	v_addc_co_u32_e32 v3, vcc, v1, v3, vcc
	global_load_dwordx4 v[6:9], v[2:3], off
	v_add_u32_e32 v14, s19, v14
	v_add_u32_e32 v38, s19, v14
	;; [unrolled: 1-line block ×19, first 2 shown]
	v_accvgpr_write_b32 a15, v3
	v_add_u32_e32 v96, s19, v94
	v_accvgpr_write_b32 a14, v2
	v_add_u32_e32 v2, s19, v96
	v_ashrrev_i32_e32 v3, 31, v2
	v_lshlrev_b64 v[2:3], 4, v[2:3]
	v_add_co_u32_e32 v2, vcc, s6, v2
	v_addc_co_u32_e32 v3, vcc, v1, v3, vcc
	v_accvgpr_write_b32 a13, v5
	v_accvgpr_write_b32 a17, v3
	v_ashrrev_i32_e32 v15, 31, v14
	v_accvgpr_write_b32 a12, v4
	v_accvgpr_write_b32 a16, v2
	global_load_dwordx4 v[2:5], v[2:3], off
	s_waitcnt vmcnt(9)
	buffer_store_dword v21, off, s[0:3], 0 offset:12
	buffer_store_dword v20, off, s[0:3], 0 offset:8
	;; [unrolled: 1-line block ×3, first 2 shown]
	buffer_store_dword v18, off, s[0:3], 0
	s_waitcnt vmcnt(12)
	buffer_store_dword v25, off, s[0:3], 0 offset:28
	buffer_store_dword v24, off, s[0:3], 0 offset:24
	buffer_store_dword v23, off, s[0:3], 0 offset:20
	buffer_store_dword v22, off, s[0:3], 0 offset:16
	s_waitcnt vmcnt(15)
	buffer_store_dword v29, off, s[0:3], 0 offset:44
	buffer_store_dword v28, off, s[0:3], 0 offset:40
	buffer_store_dword v27, off, s[0:3], 0 offset:36
	buffer_store_dword v26, off, s[0:3], 0 offset:32
	;; [unrolled: 5-line block ×7, first 2 shown]
	s_waitcnt vmcnt(33)
	buffer_store_dword v9, off, s[0:3], 0 offset:140
	v_lshlrev_b64 v[10:11], 4, v[14:15]
	v_add_co_u32_e32 v12, vcc, s6, v10
	v_ashrrev_i32_e32 v39, 31, v38
	v_addc_co_u32_e32 v13, vcc, v1, v11, vcc
	v_lshlrev_b64 v[10:11], 4, v[38:39]
	v_add_co_u32_e32 v14, vcc, s6, v10
	v_addc_co_u32_e32 v15, vcc, v1, v11, vcc
	v_accvgpr_write_b32 a19, v13
	v_accvgpr_write_b32 a21, v15
	v_ashrrev_i32_e32 v43, 31, v42
	v_accvgpr_write_b32 a18, v12
	global_load_dwordx4 v[10:13], v[12:13], off
	v_accvgpr_write_b32 a20, v14
	global_load_dwordx4 v[18:21], v[14:15], off
	v_lshlrev_b64 v[14:15], 4, v[42:43]
	v_add_co_u32_e32 v22, vcc, s6, v14
	v_ashrrev_i32_e32 v45, 31, v44
	v_addc_co_u32_e32 v23, vcc, v1, v15, vcc
	v_lshlrev_b64 v[14:15], 4, v[44:45]
	v_add_co_u32_e32 v14, vcc, s6, v14
	v_addc_co_u32_e32 v15, vcc, v1, v15, vcc
	v_accvgpr_write_b32 a22, v22
	v_accvgpr_write_b32 a25, v15
	v_ashrrev_i32_e32 v47, 31, v46
	v_accvgpr_write_b32 a23, v23
	global_load_dwordx4 v[22:25], v[22:23], off
	v_accvgpr_write_b32 a24, v14
	global_load_dwordx4 v[26:29], v[14:15], off
	;; [unrolled: 14-line block ×3, first 2 shown]
	v_lshlrev_b64 v[14:15], 4, v[50:51]
	v_add_co_u32_e32 v38, vcc, s6, v14
	v_ashrrev_i32_e32 v53, 31, v52
	v_addc_co_u32_e32 v39, vcc, v1, v15, vcc
	v_lshlrev_b64 v[14:15], 4, v[52:53]
	v_add_co_u32_e32 v14, vcc, s6, v14
	v_addc_co_u32_e32 v15, vcc, v1, v15, vcc
	v_accvgpr_write_b32 a33, v15
	v_ashrrev_i32_e32 v55, 31, v54
	v_accvgpr_write_b32 a30, v38
	global_load_dwordx4 v[98:101], v[38:39], off
	global_load_dwordx4 v[102:105], v[14:15], off
	v_accvgpr_write_b32 a32, v14
	v_lshlrev_b64 v[14:15], 4, v[54:55]
	v_accvgpr_write_b32 a31, v39
	v_add_co_u32_e32 v38, vcc, s6, v14
	v_ashrrev_i32_e32 v57, 31, v56
	v_addc_co_u32_e32 v39, vcc, v1, v15, vcc
	v_lshlrev_b64 v[14:15], 4, v[56:57]
	v_add_co_u32_e32 v14, vcc, s6, v14
	v_addc_co_u32_e32 v15, vcc, v1, v15, vcc
	v_accvgpr_write_b32 a37, v15
	v_ashrrev_i32_e32 v79, 31, v78
	v_accvgpr_write_b32 a34, v38
	global_load_dwordx4 v[106:109], v[38:39], off
	global_load_dwordx4 v[110:113], v[14:15], off
	v_accvgpr_write_b32 a36, v14
	v_lshlrev_b64 v[14:15], 4, v[78:79]
	v_accvgpr_write_b32 a35, v39
	;; [unrolled: 14-line block ×4, first 2 shown]
	v_add_co_u32_e32 v38, vcc, s6, v14
	v_ashrrev_i32_e32 v89, 31, v88
	v_addc_co_u32_e32 v39, vcc, v1, v15, vcc
	v_lshlrev_b64 v[14:15], 4, v[88:89]
	v_add_co_u32_e32 v88, vcc, s6, v14
	v_ashrrev_i32_e32 v91, 31, v90
	v_addc_co_u32_e32 v89, vcc, v1, v15, vcc
	v_lshlrev_b64 v[14:15], 4, v[90:91]
	;; [unrolled: 4-line block ×3, first 2 shown]
	v_add_co_u32_e32 v92, vcc, s6, v14
	global_load_dwordx4 v[130:133], v[38:39], off
	global_load_dwordx4 v[134:137], v[88:89], off
	v_addc_co_u32_e32 v93, vcc, v1, v15, vcc
	global_load_dwordx4 v[138:141], v[90:91], off
	global_load_dwordx4 v[142:145], v[92:93], off
	v_ashrrev_i32_e32 v95, 31, v94
	v_lshlrev_b64 v[14:15], 4, v[94:95]
	v_add_co_u32_e32 v94, vcc, s6, v14
	v_addc_co_u32_e32 v95, vcc, v1, v15, vcc
	v_ashrrev_i32_e32 v97, 31, v96
	global_load_dwordx4 v[146:149], v[94:95], off
	v_lshlrev_b64 v[14:15], 4, v[96:97]
	v_add_co_u32_e32 v96, vcc, s6, v14
	v_addc_co_u32_e32 v97, vcc, v1, v15, vcc
	global_load_dwordx4 v[150:153], v[96:97], off
	s_nop 0
	buffer_store_dword v8, off, s[0:3], 0 offset:136
	buffer_store_dword v7, off, s[0:3], 0 offset:132
	buffer_store_dword v6, off, s[0:3], 0 offset:128
	s_waitcnt vmcnt(22)
	buffer_store_dword v10, off, s[0:3], 0 offset:144
	buffer_store_dword v11, off, s[0:3], 0 offset:148
	buffer_store_dword v12, off, s[0:3], 0 offset:152
	buffer_store_dword v13, off, s[0:3], 0 offset:156
	s_waitcnt vmcnt(25)
	buffer_store_dword v18, off, s[0:3], 0 offset:160
	;; [unrolled: 5-line block ×15, first 2 shown]
	buffer_store_dword v132, off, s[0:3], 0 offset:376
	buffer_store_dword v131, off, s[0:3], 0 offset:372
	buffer_store_dword v130, off, s[0:3], 0 offset:368
	buffer_store_dword v137, off, s[0:3], 0 offset:396
	buffer_store_dword v136, off, s[0:3], 0 offset:392
	buffer_store_dword v135, off, s[0:3], 0 offset:388
	buffer_store_dword v134, off, s[0:3], 0 offset:384
	buffer_store_dword v141, off, s[0:3], 0 offset:412
	buffer_store_dword v140, off, s[0:3], 0 offset:408
	buffer_store_dword v139, off, s[0:3], 0 offset:404
	buffer_store_dword v138, off, s[0:3], 0 offset:400
	s_waitcnt vmcnt(62)
	buffer_store_dword v145, off, s[0:3], 0 offset:428
	buffer_store_dword v144, off, s[0:3], 0 offset:424
	;; [unrolled: 1-line block ×16, first 2 shown]
	v_mov_b32_e32 v2, 0
	v_add_u32_e32 v3, 48, v2
	v_accvgpr_write_b32 a75, v3
	v_add_u32_e32 v3, 64, v2
	v_accvgpr_write_b32 a71, v3
	;; [unrolled: 2-line block ×23, first 2 shown]
	v_add_u32_e32 v3, 0x1a0, v2
	v_add_u32_e32 v1, 16, v2
	v_accvgpr_write_b32 a51, v3
	v_add_u32_e32 v3, 0x1b0, v2
	v_accvgpr_write_b32 a47, v39
	v_accvgpr_write_b32 a74, v1
	v_add_u32_e32 v1, 32, v2
	v_accvgpr_write_b32 a50, v3
	v_add_u32_e32 v3, 0x1c0, v2
	v_add_u32_e32 v2, 0x1d0, v2
	v_accvgpr_write_b32 a46, v38
	v_accvgpr_write_b32 a49, v3
	v_accvgpr_write_b32 a48, v2
	s_bitcmp0_b32 s8, 0
	s_mov_b64 s[8:9], -1
	s_cbranch_scc1 .LBB29_132
; %bb.4:
	v_cmp_eq_u32_e64 s[6:7], 0, v230
	s_and_saveexec_b64 s[8:9], s[6:7]
	s_cbranch_execz .LBB29_6
; %bb.5:
	v_mov_b32_e32 v2, 0
	ds_write_b32 v2, v2 offset:960
.LBB29_6:
	s_or_b64 exec, exec, s[8:9]
	v_mov_b32_e32 v2, 0
	v_lshl_add_u32 v12, v230, 4, v2
	s_waitcnt lgkmcnt(0)
	; wave barrier
	s_waitcnt lgkmcnt(0)
	buffer_load_dword v2, v12, s[0:3], 0 offen
	buffer_load_dword v3, v12, s[0:3], 0 offen offset:4
	buffer_load_dword v4, v12, s[0:3], 0 offen offset:8
	;; [unrolled: 1-line block ×3, first 2 shown]
	s_waitcnt vmcnt(2)
	v_cmp_eq_f64_e32 vcc, 0, v[2:3]
	s_waitcnt vmcnt(0)
	v_cmp_eq_f64_e64 s[8:9], 0, v[4:5]
	s_and_b64 s[8:9], vcc, s[8:9]
	s_and_saveexec_b64 s[12:13], s[8:9]
	s_cbranch_execz .LBB29_10
; %bb.7:
	v_mov_b32_e32 v2, 0
	ds_read_b32 v4, v2 offset:960
	v_add_u32_e32 v3, 1, v230
	s_waitcnt lgkmcnt(0)
	v_readfirstlane_b32 s8, v4
	s_cmp_eq_u32 s8, 0
	s_cselect_b64 s[16:17], -1, 0
	v_cmp_gt_i32_e32 vcc, s8, v3
	s_or_b64 s[16:17], s[16:17], vcc
	s_and_b64 exec, exec, s[16:17]
	s_cbranch_execz .LBB29_10
; %bb.8:
	s_mov_b64 s[16:17], 0
	v_mov_b32_e32 v4, s8
.LBB29_9:                               ; =>This Inner Loop Header: Depth=1
	ds_cmpst_rtn_b32 v4, v2, v4, v3 offset:960
	s_waitcnt lgkmcnt(0)
	v_cmp_ne_u32_e32 vcc, 0, v4
	v_cmp_le_i32_e64 s[8:9], v4, v3
	s_and_b64 s[8:9], vcc, s[8:9]
	s_and_b64 s[8:9], exec, s[8:9]
	s_or_b64 s[16:17], s[8:9], s[16:17]
	s_andn2_b64 exec, exec, s[16:17]
	s_cbranch_execnz .LBB29_9
.LBB29_10:
	s_or_b64 exec, exec, s[12:13]
	v_mov_b32_e32 v3, 0
	s_waitcnt lgkmcnt(0)
	; wave barrier
	ds_read_b32 v2, v3 offset:960
	s_and_saveexec_b64 s[8:9], s[6:7]
	s_cbranch_execz .LBB29_12
; %bb.11:
	s_lshl_b64 s[12:13], s[10:11], 2
	s_add_u32 s12, s14, s12
	s_addc_u32 s13, s15, s13
	s_waitcnt lgkmcnt(0)
	global_store_dword v3, v2, s[12:13]
.LBB29_12:
	s_or_b64 exec, exec, s[8:9]
	s_waitcnt lgkmcnt(0)
	v_cmp_ne_u32_e32 vcc, 0, v2
	s_mov_b64 s[8:9], 0
	s_cbranch_vccnz .LBB29_132
; %bb.13:
	buffer_load_dword v7, v12, s[0:3], 0 offen offset:4
	buffer_load_dword v6, v12, s[0:3], 0 offen
	buffer_load_dword v9, v12, s[0:3], 0 offen offset:12
	buffer_load_dword v8, v12, s[0:3], 0 offen offset:8
                                        ; implicit-def: $vgpr10_vgpr11
	s_waitcnt vmcnt(3)
	v_xor_b32_e32 v3, 0x80000000, v7
	s_waitcnt vmcnt(2)
	v_cmp_gt_f64_e32 vcc, 0, v[6:7]
	s_waitcnt vmcnt(1)
	v_xor_b32_e32 v4, 0x80000000, v9
	v_cndmask_b32_e32 v3, v7, v3, vcc
	s_waitcnt vmcnt(0)
	v_cmp_gt_f64_e32 vcc, 0, v[8:9]
	v_mov_b32_e32 v2, v6
	v_cndmask_b32_e32 v5, v9, v4, vcc
	v_mov_b32_e32 v4, v8
	v_cmp_ngt_f64_e32 vcc, v[2:3], v[4:5]
                                        ; implicit-def: $vgpr4_vgpr5
	s_and_saveexec_b64 s[8:9], vcc
	s_xor_b64 s[8:9], exec, s[8:9]
	s_cbranch_execz .LBB29_15
; %bb.14:
	v_div_scale_f64 v[2:3], s[12:13], v[8:9], v[8:9], v[6:7]
	v_rcp_f64_e32 v[4:5], v[2:3]
	v_div_scale_f64 v[10:11], vcc, v[6:7], v[8:9], v[6:7]
	v_fma_f64 v[14:15], -v[2:3], v[4:5], 1.0
	v_fmac_f64_e32 v[4:5], v[4:5], v[14:15]
	v_fma_f64 v[14:15], -v[2:3], v[4:5], 1.0
	v_fmac_f64_e32 v[4:5], v[4:5], v[14:15]
	v_mul_f64 v[14:15], v[10:11], v[4:5]
	v_fma_f64 v[2:3], -v[2:3], v[14:15], v[10:11]
	v_div_fmas_f64 v[2:3], v[2:3], v[4:5], v[14:15]
	v_div_fixup_f64 v[2:3], v[2:3], v[8:9], v[6:7]
	v_fmac_f64_e32 v[8:9], v[6:7], v[2:3]
	v_div_scale_f64 v[4:5], s[12:13], v[8:9], v[8:9], 1.0
	v_rcp_f64_e32 v[6:7], v[4:5]
	v_fma_f64 v[10:11], -v[4:5], v[6:7], 1.0
	v_fmac_f64_e32 v[6:7], v[6:7], v[10:11]
	v_fma_f64 v[10:11], -v[4:5], v[6:7], 1.0
	v_fmac_f64_e32 v[6:7], v[6:7], v[10:11]
	v_div_scale_f64 v[10:11], vcc, 1.0, v[8:9], 1.0
	v_mul_f64 v[14:15], v[10:11], v[6:7]
	v_fma_f64 v[4:5], -v[4:5], v[14:15], v[10:11]
	s_nop 1
	v_div_fmas_f64 v[4:5], v[4:5], v[6:7], v[14:15]
	v_div_fixup_f64 v[4:5], v[4:5], v[8:9], 1.0
	v_mul_f64 v[10:11], v[2:3], v[4:5]
	v_xor_b32_e32 v5, 0x80000000, v5
	v_xor_b32_e32 v3, 0x80000000, v11
	v_mov_b32_e32 v2, v10
                                        ; implicit-def: $vgpr6_vgpr7
                                        ; implicit-def: $vgpr8_vgpr9
.LBB29_15:
	s_andn2_saveexec_b64 s[8:9], s[8:9]
	s_cbranch_execz .LBB29_17
; %bb.16:
	v_div_scale_f64 v[2:3], s[12:13], v[6:7], v[6:7], v[8:9]
	v_rcp_f64_e32 v[4:5], v[2:3]
	v_div_scale_f64 v[10:11], vcc, v[8:9], v[6:7], v[8:9]
	v_fma_f64 v[14:15], -v[2:3], v[4:5], 1.0
	v_fmac_f64_e32 v[4:5], v[4:5], v[14:15]
	v_fma_f64 v[14:15], -v[2:3], v[4:5], 1.0
	v_fmac_f64_e32 v[4:5], v[4:5], v[14:15]
	v_mul_f64 v[14:15], v[10:11], v[4:5]
	v_fma_f64 v[2:3], -v[2:3], v[14:15], v[10:11]
	v_div_fmas_f64 v[2:3], v[2:3], v[4:5], v[14:15]
	v_div_fixup_f64 v[4:5], v[2:3], v[6:7], v[8:9]
	v_fmac_f64_e32 v[6:7], v[8:9], v[4:5]
	v_div_scale_f64 v[2:3], s[12:13], v[6:7], v[6:7], 1.0
	v_rcp_f64_e32 v[8:9], v[2:3]
	v_fma_f64 v[10:11], -v[2:3], v[8:9], 1.0
	v_fmac_f64_e32 v[8:9], v[8:9], v[10:11]
	v_fma_f64 v[10:11], -v[2:3], v[8:9], 1.0
	v_fmac_f64_e32 v[8:9], v[8:9], v[10:11]
	v_div_scale_f64 v[10:11], vcc, 1.0, v[6:7], 1.0
	v_mul_f64 v[14:15], v[10:11], v[8:9]
	v_fma_f64 v[2:3], -v[2:3], v[14:15], v[10:11]
	s_nop 1
	v_div_fmas_f64 v[2:3], v[2:3], v[8:9], v[14:15]
	v_div_fixup_f64 v[10:11], v[2:3], v[6:7], 1.0
	v_xor_b32_e32 v3, 0x80000000, v11
	v_mov_b32_e32 v2, v10
	v_mul_f64 v[4:5], v[4:5], -v[10:11]
.LBB29_17:
	s_or_b64 exec, exec, s[8:9]
	buffer_store_dword v11, v12, s[0:3], 0 offen offset:4
	buffer_store_dword v10, v12, s[0:3], 0 offen
	buffer_store_dword v5, v12, s[0:3], 0 offen offset:12
	buffer_store_dword v4, v12, s[0:3], 0 offen offset:8
	v_accvgpr_read_b32 v6, a74
	buffer_load_dword v11, v6, s[0:3], 0 offen offset:12
	buffer_load_dword v10, v6, s[0:3], 0 offen offset:8
	buffer_load_dword v9, v6, s[0:3], 0 offen offset:4
	buffer_load_dword v8, v6, s[0:3], 0 offen
	v_xor_b32_e32 v5, 0x80000000, v5
	v_add_u32_e32 v6, 0x1e0, v16
	ds_write_b128 v16, v[2:5]
	s_waitcnt vmcnt(0)
	ds_write_b128 v16, v[8:11] offset:480
	s_waitcnt lgkmcnt(0)
	; wave barrier
	s_waitcnt lgkmcnt(0)
	s_and_saveexec_b64 s[8:9], s[6:7]
	s_cbranch_execz .LBB29_19
; %bb.18:
	buffer_load_dword v14, v12, s[0:3], 0 offen offset:8
	buffer_load_dword v15, v12, s[0:3], 0 offen offset:12
	buffer_load_dword v18, v12, s[0:3], 0 offen
	buffer_load_dword v19, v12, s[0:3], 0 offen offset:4
	ds_read_b128 v[2:5], v6
	v_mov_b32_e32 v7, 0
	ds_read_b128 v[8:11], v7 offset:16
	s_waitcnt vmcnt(2) lgkmcnt(1)
	v_mul_f64 v[20:21], v[4:5], v[14:15]
	v_mul_f64 v[14:15], v[2:3], v[14:15]
	s_waitcnt vmcnt(0)
	v_fmac_f64_e32 v[14:15], v[4:5], v[18:19]
	v_fma_f64 v[2:3], v[2:3], v[18:19], -v[20:21]
	v_add_f64 v[4:5], v[14:15], 0
	v_add_f64 v[2:3], v[2:3], 0
	s_waitcnt lgkmcnt(0)
	v_mul_f64 v[14:15], v[4:5], v[10:11]
	v_mul_f64 v[10:11], v[2:3], v[10:11]
	v_fma_f64 v[2:3], v[2:3], v[8:9], -v[14:15]
	v_fmac_f64_e32 v[10:11], v[4:5], v[8:9]
	buffer_store_dword v2, off, s[0:3], 0 offset:16
	buffer_store_dword v3, off, s[0:3], 0 offset:20
	buffer_store_dword v10, off, s[0:3], 0 offset:24
	buffer_store_dword v11, off, s[0:3], 0 offset:28
.LBB29_19:
	s_or_b64 exec, exec, s[8:9]
	s_waitcnt lgkmcnt(0)
	; wave barrier
	buffer_load_dword v2, v1, s[0:3], 0 offen
	buffer_load_dword v3, v1, s[0:3], 0 offen offset:4
	buffer_load_dword v4, v1, s[0:3], 0 offen offset:8
	;; [unrolled: 1-line block ×3, first 2 shown]
	v_cmp_gt_u32_e32 vcc, 2, v230
	s_waitcnt vmcnt(0)
	ds_write_b128 v6, v[2:5]
	s_waitcnt lgkmcnt(0)
	; wave barrier
	s_waitcnt lgkmcnt(0)
	s_and_saveexec_b64 s[8:9], vcc
	s_cbranch_execz .LBB29_23
; %bb.20:
	buffer_load_dword v8, v12, s[0:3], 0 offen offset:8
	buffer_load_dword v9, v12, s[0:3], 0 offen offset:12
	buffer_load_dword v10, v12, s[0:3], 0 offen
	buffer_load_dword v11, v12, s[0:3], 0 offen offset:4
	ds_read_b128 v[2:5], v6
	s_waitcnt vmcnt(2) lgkmcnt(0)
	v_mul_f64 v[12:13], v[4:5], v[8:9]
	v_mul_f64 v[8:9], v[2:3], v[8:9]
	s_waitcnt vmcnt(0)
	v_fma_f64 v[2:3], v[2:3], v[10:11], -v[12:13]
	v_fmac_f64_e32 v[8:9], v[4:5], v[10:11]
	v_add_f64 v[4:5], v[2:3], 0
	v_add_f64 v[2:3], v[8:9], 0
	s_and_saveexec_b64 s[12:13], s[6:7]
	s_cbranch_execz .LBB29_22
; %bb.21:
	buffer_load_dword v12, off, s[0:3], 0 offset:24
	buffer_load_dword v13, off, s[0:3], 0 offset:28
	;; [unrolled: 1-line block ×4, first 2 shown]
	v_mov_b32_e32 v7, 0
	ds_read_b128 v[8:11], v7 offset:496
	s_waitcnt vmcnt(2) lgkmcnt(0)
	v_mul_f64 v[18:19], v[8:9], v[12:13]
	v_mul_f64 v[12:13], v[10:11], v[12:13]
	s_waitcnt vmcnt(0)
	v_fmac_f64_e32 v[18:19], v[10:11], v[14:15]
	v_fma_f64 v[8:9], v[8:9], v[14:15], -v[12:13]
	v_add_f64 v[2:3], v[2:3], v[18:19]
	v_add_f64 v[4:5], v[4:5], v[8:9]
.LBB29_22:
	s_or_b64 exec, exec, s[12:13]
	v_mov_b32_e32 v7, 0
	ds_read_b128 v[8:11], v7 offset:32
	s_waitcnt lgkmcnt(0)
	v_mul_f64 v[12:13], v[2:3], v[10:11]
	v_mul_f64 v[10:11], v[4:5], v[10:11]
	v_fma_f64 v[4:5], v[4:5], v[8:9], -v[12:13]
	v_fmac_f64_e32 v[10:11], v[2:3], v[8:9]
	buffer_store_dword v5, off, s[0:3], 0 offset:36
	buffer_store_dword v4, off, s[0:3], 0 offset:32
	;; [unrolled: 1-line block ×4, first 2 shown]
.LBB29_23:
	s_or_b64 exec, exec, s[8:9]
	v_accvgpr_read_b32 v5, a75
	s_waitcnt lgkmcnt(0)
	; wave barrier
	buffer_load_dword v2, v5, s[0:3], 0 offen
	buffer_load_dword v3, v5, s[0:3], 0 offen offset:4
	buffer_load_dword v4, v5, s[0:3], 0 offen offset:8
	s_nop 0
	buffer_load_dword v5, v5, s[0:3], 0 offen offset:12
	v_cmp_gt_u32_e32 vcc, 3, v230
	v_add_u32_e32 v7, -1, v230
	s_waitcnt vmcnt(0)
	ds_write_b128 v6, v[2:5]
	s_waitcnt lgkmcnt(0)
	; wave barrier
	s_waitcnt lgkmcnt(0)
	s_and_saveexec_b64 s[6:7], vcc
	s_cbranch_execz .LBB29_27
; %bb.24:
	v_pk_mov_b32 v[2:3], 0, 0
	v_add_u32_e32 v8, -1, v230
	v_add_u32_e32 v9, 0x1e0, v16
	v_add_u32_e32 v10, 0, v16
	s_mov_b64 s[8:9], 0
	v_pk_mov_b32 v[4:5], v[2:3], v[2:3] op_sel:[0,1]
.LBB29_25:                              ; =>This Inner Loop Header: Depth=1
	buffer_load_dword v18, v10, s[0:3], 0 offen offset:8
	buffer_load_dword v19, v10, s[0:3], 0 offen offset:12
	buffer_load_dword v20, v10, s[0:3], 0 offen
	buffer_load_dword v21, v10, s[0:3], 0 offen offset:4
	ds_read_b128 v[12:15], v9
	v_add_u32_e32 v8, 1, v8
	v_cmp_lt_u32_e32 vcc, 1, v8
	v_add_u32_e32 v9, 16, v9
	v_add_u32_e32 v10, 16, v10
	s_or_b64 s[8:9], vcc, s[8:9]
	s_waitcnt vmcnt(2) lgkmcnt(0)
	v_mul_f64 v[22:23], v[14:15], v[18:19]
	v_mul_f64 v[18:19], v[12:13], v[18:19]
	s_waitcnt vmcnt(0)
	v_fma_f64 v[12:13], v[12:13], v[20:21], -v[22:23]
	v_fmac_f64_e32 v[18:19], v[14:15], v[20:21]
	v_add_f64 v[4:5], v[4:5], v[12:13]
	v_add_f64 v[2:3], v[2:3], v[18:19]
	s_andn2_b64 exec, exec, s[8:9]
	s_cbranch_execnz .LBB29_25
; %bb.26:
	s_or_b64 exec, exec, s[8:9]
	v_mov_b32_e32 v8, 0
	ds_read_b128 v[8:11], v8 offset:48
	s_waitcnt lgkmcnt(0)
	v_mul_f64 v[12:13], v[2:3], v[10:11]
	v_mul_f64 v[10:11], v[4:5], v[10:11]
	v_fma_f64 v[4:5], v[4:5], v[8:9], -v[12:13]
	v_fmac_f64_e32 v[10:11], v[2:3], v[8:9]
	buffer_store_dword v5, off, s[0:3], 0 offset:52
	buffer_store_dword v4, off, s[0:3], 0 offset:48
	buffer_store_dword v11, off, s[0:3], 0 offset:60
	buffer_store_dword v10, off, s[0:3], 0 offset:56
.LBB29_27:
	s_or_b64 exec, exec, s[6:7]
	v_accvgpr_read_b32 v5, a71
	s_waitcnt lgkmcnt(0)
	; wave barrier
	buffer_load_dword v2, v5, s[0:3], 0 offen
	buffer_load_dword v3, v5, s[0:3], 0 offen offset:4
	buffer_load_dword v4, v5, s[0:3], 0 offen offset:8
	s_nop 0
	buffer_load_dword v5, v5, s[0:3], 0 offen offset:12
	v_cmp_gt_u32_e32 vcc, 4, v230
	s_waitcnt vmcnt(0)
	ds_write_b128 v6, v[2:5]
	s_waitcnt lgkmcnt(0)
	; wave barrier
	s_waitcnt lgkmcnt(0)
	s_and_saveexec_b64 s[6:7], vcc
	s_cbranch_execz .LBB29_31
; %bb.28:
	v_pk_mov_b32 v[2:3], 0, 0
	v_add_u32_e32 v8, -1, v230
	v_add_u32_e32 v9, 0x1e0, v16
	v_add_u32_e32 v10, 0, v16
	s_mov_b64 s[8:9], 0
	v_pk_mov_b32 v[4:5], v[2:3], v[2:3] op_sel:[0,1]
.LBB29_29:                              ; =>This Inner Loop Header: Depth=1
	buffer_load_dword v18, v10, s[0:3], 0 offen offset:8
	buffer_load_dword v19, v10, s[0:3], 0 offen offset:12
	buffer_load_dword v20, v10, s[0:3], 0 offen
	buffer_load_dword v21, v10, s[0:3], 0 offen offset:4
	ds_read_b128 v[12:15], v9
	v_add_u32_e32 v8, 1, v8
	v_cmp_lt_u32_e32 vcc, 2, v8
	v_add_u32_e32 v9, 16, v9
	v_add_u32_e32 v10, 16, v10
	s_or_b64 s[8:9], vcc, s[8:9]
	s_waitcnt vmcnt(2) lgkmcnt(0)
	v_mul_f64 v[22:23], v[14:15], v[18:19]
	v_mul_f64 v[18:19], v[12:13], v[18:19]
	s_waitcnt vmcnt(0)
	v_fma_f64 v[12:13], v[12:13], v[20:21], -v[22:23]
	v_fmac_f64_e32 v[18:19], v[14:15], v[20:21]
	v_add_f64 v[4:5], v[4:5], v[12:13]
	v_add_f64 v[2:3], v[2:3], v[18:19]
	s_andn2_b64 exec, exec, s[8:9]
	s_cbranch_execnz .LBB29_29
; %bb.30:
	s_or_b64 exec, exec, s[8:9]
	v_mov_b32_e32 v8, 0
	ds_read_b128 v[8:11], v8 offset:64
	s_waitcnt lgkmcnt(0)
	v_mul_f64 v[12:13], v[2:3], v[10:11]
	v_mul_f64 v[10:11], v[4:5], v[10:11]
	v_fma_f64 v[4:5], v[4:5], v[8:9], -v[12:13]
	v_fmac_f64_e32 v[10:11], v[2:3], v[8:9]
	buffer_store_dword v5, off, s[0:3], 0 offset:68
	buffer_store_dword v4, off, s[0:3], 0 offset:64
	buffer_store_dword v11, off, s[0:3], 0 offset:76
	buffer_store_dword v10, off, s[0:3], 0 offset:72
.LBB29_31:
	s_or_b64 exec, exec, s[6:7]
	v_accvgpr_read_b32 v5, a73
	s_waitcnt lgkmcnt(0)
	; wave barrier
	buffer_load_dword v2, v5, s[0:3], 0 offen
	buffer_load_dword v3, v5, s[0:3], 0 offen offset:4
	buffer_load_dword v4, v5, s[0:3], 0 offen offset:8
	s_nop 0
	buffer_load_dword v5, v5, s[0:3], 0 offen offset:12
	v_cmp_gt_u32_e32 vcc, 5, v230
	;; [unrolled: 59-line block ×19, first 2 shown]
	s_waitcnt vmcnt(0)
	ds_write_b128 v6, v[2:5]
	s_waitcnt lgkmcnt(0)
	; wave barrier
	s_waitcnt lgkmcnt(0)
	s_and_saveexec_b64 s[6:7], vcc
	s_cbranch_execz .LBB29_103
; %bb.100:
	v_pk_mov_b32 v[2:3], 0, 0
	v_add_u32_e32 v8, -1, v230
	v_add_u32_e32 v9, 0x1e0, v16
	v_add_u32_e32 v10, 0, v16
	s_mov_b64 s[8:9], 0
	v_pk_mov_b32 v[4:5], v[2:3], v[2:3] op_sel:[0,1]
.LBB29_101:                             ; =>This Inner Loop Header: Depth=1
	buffer_load_dword v18, v10, s[0:3], 0 offen offset:8
	buffer_load_dword v19, v10, s[0:3], 0 offen offset:12
	buffer_load_dword v20, v10, s[0:3], 0 offen
	buffer_load_dword v21, v10, s[0:3], 0 offen offset:4
	ds_read_b128 v[12:15], v9
	v_add_u32_e32 v8, 1, v8
	v_cmp_lt_u32_e32 vcc, 20, v8
	v_add_u32_e32 v9, 16, v9
	v_add_u32_e32 v10, 16, v10
	s_or_b64 s[8:9], vcc, s[8:9]
	s_waitcnt vmcnt(2) lgkmcnt(0)
	v_mul_f64 v[22:23], v[14:15], v[18:19]
	v_mul_f64 v[18:19], v[12:13], v[18:19]
	s_waitcnt vmcnt(0)
	v_fma_f64 v[12:13], v[12:13], v[20:21], -v[22:23]
	v_fmac_f64_e32 v[18:19], v[14:15], v[20:21]
	v_add_f64 v[4:5], v[4:5], v[12:13]
	v_add_f64 v[2:3], v[2:3], v[18:19]
	s_andn2_b64 exec, exec, s[8:9]
	s_cbranch_execnz .LBB29_101
; %bb.102:
	s_or_b64 exec, exec, s[8:9]
	v_mov_b32_e32 v8, 0
	ds_read_b128 v[8:11], v8 offset:352
	s_waitcnt lgkmcnt(0)
	v_mul_f64 v[12:13], v[2:3], v[10:11]
	v_mul_f64 v[10:11], v[4:5], v[10:11]
	v_fma_f64 v[4:5], v[4:5], v[8:9], -v[12:13]
	v_fmac_f64_e32 v[10:11], v[2:3], v[8:9]
	buffer_store_dword v5, off, s[0:3], 0 offset:356
	buffer_store_dword v4, off, s[0:3], 0 offset:352
	buffer_store_dword v11, off, s[0:3], 0 offset:364
	buffer_store_dword v10, off, s[0:3], 0 offset:360
.LBB29_103:
	s_or_b64 exec, exec, s[6:7]
	v_accvgpr_read_b32 v5, a54
	s_waitcnt lgkmcnt(0)
	; wave barrier
	buffer_load_dword v2, v5, s[0:3], 0 offen
	buffer_load_dword v3, v5, s[0:3], 0 offen offset:4
	buffer_load_dword v4, v5, s[0:3], 0 offen offset:8
	s_nop 0
	buffer_load_dword v5, v5, s[0:3], 0 offen offset:12
	v_cmp_gt_u32_e32 vcc, 23, v230
	s_waitcnt vmcnt(0)
	ds_write_b128 v6, v[2:5]
	s_waitcnt lgkmcnt(0)
	; wave barrier
	s_waitcnt lgkmcnt(0)
	s_and_saveexec_b64 s[6:7], vcc
	s_cbranch_execz .LBB29_107
; %bb.104:
	v_pk_mov_b32 v[2:3], 0, 0
	v_add_u32_e32 v8, -1, v230
	v_add_u32_e32 v9, 0x1e0, v16
	v_add_u32_e32 v10, 0, v16
	s_mov_b64 s[8:9], 0
	v_pk_mov_b32 v[4:5], v[2:3], v[2:3] op_sel:[0,1]
.LBB29_105:                             ; =>This Inner Loop Header: Depth=1
	buffer_load_dword v18, v10, s[0:3], 0 offen offset:8
	buffer_load_dword v19, v10, s[0:3], 0 offen offset:12
	buffer_load_dword v20, v10, s[0:3], 0 offen
	buffer_load_dword v21, v10, s[0:3], 0 offen offset:4
	ds_read_b128 v[12:15], v9
	v_add_u32_e32 v8, 1, v8
	v_cmp_lt_u32_e32 vcc, 21, v8
	v_add_u32_e32 v9, 16, v9
	v_add_u32_e32 v10, 16, v10
	s_or_b64 s[8:9], vcc, s[8:9]
	s_waitcnt vmcnt(2) lgkmcnt(0)
	v_mul_f64 v[22:23], v[14:15], v[18:19]
	v_mul_f64 v[18:19], v[12:13], v[18:19]
	s_waitcnt vmcnt(0)
	v_fma_f64 v[12:13], v[12:13], v[20:21], -v[22:23]
	v_fmac_f64_e32 v[18:19], v[14:15], v[20:21]
	v_add_f64 v[4:5], v[4:5], v[12:13]
	v_add_f64 v[2:3], v[2:3], v[18:19]
	s_andn2_b64 exec, exec, s[8:9]
	s_cbranch_execnz .LBB29_105
; %bb.106:
	s_or_b64 exec, exec, s[8:9]
	v_mov_b32_e32 v8, 0
	ds_read_b128 v[8:11], v8 offset:368
	s_waitcnt lgkmcnt(0)
	v_mul_f64 v[12:13], v[2:3], v[10:11]
	v_mul_f64 v[10:11], v[4:5], v[10:11]
	v_fma_f64 v[4:5], v[4:5], v[8:9], -v[12:13]
	v_fmac_f64_e32 v[10:11], v[2:3], v[8:9]
	buffer_store_dword v5, off, s[0:3], 0 offset:372
	buffer_store_dword v4, off, s[0:3], 0 offset:368
	buffer_store_dword v11, off, s[0:3], 0 offset:380
	buffer_store_dword v10, off, s[0:3], 0 offset:376
.LBB29_107:
	s_or_b64 exec, exec, s[6:7]
	v_accvgpr_read_b32 v5, a53
	s_waitcnt lgkmcnt(0)
	; wave barrier
	buffer_load_dword v2, v5, s[0:3], 0 offen
	buffer_load_dword v3, v5, s[0:3], 0 offen offset:4
	buffer_load_dword v4, v5, s[0:3], 0 offen offset:8
	s_nop 0
	buffer_load_dword v5, v5, s[0:3], 0 offen offset:12
	v_cmp_gt_u32_e32 vcc, 24, v230
	;; [unrolled: 59-line block ×6, first 2 shown]
	s_waitcnt vmcnt(0)
	ds_write_b128 v6, v[2:5]
	s_waitcnt lgkmcnt(0)
	; wave barrier
	s_waitcnt lgkmcnt(0)
	s_and_saveexec_b64 s[6:7], vcc
	s_cbranch_execz .LBB29_127
; %bb.124:
	v_pk_mov_b32 v[2:3], 0, 0
	v_add_u32_e32 v8, -1, v230
	v_add_u32_e32 v9, 0x1e0, v16
	v_add_u32_e32 v10, 0, v16
	s_mov_b64 s[8:9], 0
	v_pk_mov_b32 v[4:5], v[2:3], v[2:3] op_sel:[0,1]
.LBB29_125:                             ; =>This Inner Loop Header: Depth=1
	buffer_load_dword v18, v10, s[0:3], 0 offen offset:8
	buffer_load_dword v19, v10, s[0:3], 0 offen offset:12
	buffer_load_dword v20, v10, s[0:3], 0 offen
	buffer_load_dword v21, v10, s[0:3], 0 offen offset:4
	ds_read_b128 v[12:15], v9
	v_add_u32_e32 v8, 1, v8
	v_cmp_lt_u32_e32 vcc, 26, v8
	v_add_u32_e32 v9, 16, v9
	v_add_u32_e32 v10, 16, v10
	s_or_b64 s[8:9], vcc, s[8:9]
	s_waitcnt vmcnt(2) lgkmcnt(0)
	v_mul_f64 v[22:23], v[14:15], v[18:19]
	v_mul_f64 v[18:19], v[12:13], v[18:19]
	s_waitcnt vmcnt(0)
	v_fma_f64 v[12:13], v[12:13], v[20:21], -v[22:23]
	v_fmac_f64_e32 v[18:19], v[14:15], v[20:21]
	v_add_f64 v[4:5], v[4:5], v[12:13]
	v_add_f64 v[2:3], v[2:3], v[18:19]
	s_andn2_b64 exec, exec, s[8:9]
	s_cbranch_execnz .LBB29_125
; %bb.126:
	s_or_b64 exec, exec, s[8:9]
	v_mov_b32_e32 v8, 0
	ds_read_b128 v[8:11], v8 offset:448
	s_waitcnt lgkmcnt(0)
	v_mul_f64 v[12:13], v[2:3], v[10:11]
	v_mul_f64 v[10:11], v[4:5], v[10:11]
	v_fma_f64 v[4:5], v[4:5], v[8:9], -v[12:13]
	v_fmac_f64_e32 v[10:11], v[2:3], v[8:9]
	buffer_store_dword v5, off, s[0:3], 0 offset:452
	buffer_store_dword v4, off, s[0:3], 0 offset:448
	;; [unrolled: 1-line block ×4, first 2 shown]
.LBB29_127:
	s_or_b64 exec, exec, s[6:7]
	v_accvgpr_read_b32 v5, a48
	s_waitcnt lgkmcnt(0)
	; wave barrier
	buffer_load_dword v2, v5, s[0:3], 0 offen
	buffer_load_dword v3, v5, s[0:3], 0 offen offset:4
	buffer_load_dword v4, v5, s[0:3], 0 offen offset:8
	s_nop 0
	buffer_load_dword v5, v5, s[0:3], 0 offen offset:12
	v_cmp_ne_u32_e32 vcc, 29, v230
	s_waitcnt vmcnt(0)
	ds_write_b128 v6, v[2:5]
	s_waitcnt lgkmcnt(0)
	; wave barrier
	s_waitcnt lgkmcnt(0)
	s_and_saveexec_b64 s[6:7], vcc
	s_cbranch_execz .LBB29_131
; %bb.128:
	v_pk_mov_b32 v[2:3], 0, 0
	v_add_u32_e32 v6, 0x1e0, v16
	v_add_u32_e32 v8, 0, v16
	s_mov_b64 s[8:9], 0
	v_pk_mov_b32 v[4:5], v[2:3], v[2:3] op_sel:[0,1]
.LBB29_129:                             ; =>This Inner Loop Header: Depth=1
	buffer_load_dword v14, v8, s[0:3], 0 offen offset:8
	buffer_load_dword v15, v8, s[0:3], 0 offen offset:12
	buffer_load_dword v16, v8, s[0:3], 0 offen
	buffer_load_dword v17, v8, s[0:3], 0 offen offset:4
	ds_read_b128 v[10:13], v6
	v_add_u32_e32 v7, 1, v7
	v_cmp_lt_u32_e32 vcc, 27, v7
	v_add_u32_e32 v6, 16, v6
	v_add_u32_e32 v8, 16, v8
	s_or_b64 s[8:9], vcc, s[8:9]
	s_waitcnt vmcnt(2) lgkmcnt(0)
	v_mul_f64 v[18:19], v[12:13], v[14:15]
	v_mul_f64 v[14:15], v[10:11], v[14:15]
	s_waitcnt vmcnt(0)
	v_fma_f64 v[10:11], v[10:11], v[16:17], -v[18:19]
	v_fmac_f64_e32 v[14:15], v[12:13], v[16:17]
	v_add_f64 v[4:5], v[4:5], v[10:11]
	v_add_f64 v[2:3], v[2:3], v[14:15]
	s_andn2_b64 exec, exec, s[8:9]
	s_cbranch_execnz .LBB29_129
; %bb.130:
	s_or_b64 exec, exec, s[8:9]
	v_mov_b32_e32 v6, 0
	ds_read_b128 v[6:9], v6 offset:464
	s_waitcnt lgkmcnt(0)
	v_mul_f64 v[10:11], v[2:3], v[8:9]
	v_mul_f64 v[8:9], v[4:5], v[8:9]
	v_fma_f64 v[4:5], v[4:5], v[6:7], -v[10:11]
	v_fmac_f64_e32 v[8:9], v[2:3], v[6:7]
	buffer_store_dword v5, off, s[0:3], 0 offset:468
	buffer_store_dword v4, off, s[0:3], 0 offset:464
	;; [unrolled: 1-line block ×4, first 2 shown]
.LBB29_131:
	s_or_b64 exec, exec, s[6:7]
	s_mov_b64 s[8:9], -1
	s_waitcnt lgkmcnt(0)
	; wave barrier
.LBB29_132:
	s_and_b64 vcc, exec, s[8:9]
	s_cbranch_vccz .LBB29_134
; %bb.133:
	s_lshl_b64 s[6:7], s[10:11], 2
	s_add_u32 s6, s14, s6
	s_addc_u32 s7, s15, s7
	v_mov_b32_e32 v2, 0
	global_load_dword v2, v2, s[6:7]
	s_waitcnt vmcnt(0)
	v_cmp_ne_u32_e32 vcc, 0, v2
	s_cbranch_vccz .LBB29_135
.LBB29_134:
	s_endpgm
.LBB29_135:
	v_mov_b32_e32 v2, 0x1e0
	v_lshl_add_u32 v231, v230, 4, v2
	v_cmp_eq_u32_e32 vcc, 29, v230
	s_and_saveexec_b64 s[6:7], vcc
	s_cbranch_execz .LBB29_137
; %bb.136:
	v_accvgpr_read_b32 v5, a49
	buffer_load_dword v2, v5, s[0:3], 0 offen
	buffer_load_dword v3, v5, s[0:3], 0 offen offset:4
	buffer_load_dword v4, v5, s[0:3], 0 offen offset:8
	s_nop 0
	buffer_load_dword v5, v5, s[0:3], 0 offen offset:12
	v_mov_b32_e32 v6, 0
	buffer_store_dword v6, off, s[0:3], 0 offset:448
	buffer_store_dword v6, off, s[0:3], 0 offset:452
	;; [unrolled: 1-line block ×4, first 2 shown]
	s_waitcnt vmcnt(4)
	ds_write_b128 v231, v[2:5]
.LBB29_137:
	s_or_b64 exec, exec, s[6:7]
	s_waitcnt lgkmcnt(0)
	; wave barrier
	s_waitcnt lgkmcnt(0)
	buffer_load_dword v8, off, s[0:3], 0 offset:472
	buffer_load_dword v9, off, s[0:3], 0 offset:476
	;; [unrolled: 1-line block ×8, first 2 shown]
	v_mov_b32_e32 v2, 0
	ds_read_b128 v[4:7], v2 offset:944
	v_cmp_lt_u32_e32 vcc, 27, v230
	s_waitcnt vmcnt(6) lgkmcnt(0)
	v_mul_f64 v[16:17], v[4:5], v[8:9]
	v_mul_f64 v[8:9], v[6:7], v[8:9]
	s_waitcnt vmcnt(4)
	v_fma_f64 v[4:5], v[4:5], v[10:11], -v[8:9]
	v_fmac_f64_e32 v[16:17], v[6:7], v[10:11]
	v_add_f64 v[4:5], v[4:5], 0
	v_add_f64 v[6:7], v[16:17], 0
	s_waitcnt vmcnt(2)
	v_add_f64 v[4:5], v[12:13], -v[4:5]
	s_waitcnt vmcnt(0)
	v_add_f64 v[6:7], v[14:15], -v[6:7]
	buffer_store_dword v4, off, s[0:3], 0 offset:448
	buffer_store_dword v5, off, s[0:3], 0 offset:452
	buffer_store_dword v6, off, s[0:3], 0 offset:456
	buffer_store_dword v7, off, s[0:3], 0 offset:460
	s_and_saveexec_b64 s[6:7], vcc
	s_cbranch_execz .LBB29_139
; %bb.138:
	v_accvgpr_read_b32 v3, a50
	buffer_load_dword v4, v3, s[0:3], 0 offen
	buffer_load_dword v5, v3, s[0:3], 0 offen offset:4
	buffer_load_dword v6, v3, s[0:3], 0 offen offset:8
	;; [unrolled: 1-line block ×3, first 2 shown]
	s_nop 0
	buffer_store_dword v2, off, s[0:3], 0 offset:432
	buffer_store_dword v2, off, s[0:3], 0 offset:436
	;; [unrolled: 1-line block ×4, first 2 shown]
	s_waitcnt vmcnt(4)
	ds_write_b128 v231, v[4:7]
.LBB29_139:
	s_or_b64 exec, exec, s[6:7]
	s_waitcnt lgkmcnt(0)
	; wave barrier
	s_waitcnt lgkmcnt(0)
	buffer_load_dword v12, off, s[0:3], 0 offset:456
	buffer_load_dword v13, off, s[0:3], 0 offset:460
	;; [unrolled: 1-line block ×12, first 2 shown]
	ds_read_b128 v[4:7], v2 offset:928
	ds_read_b128 v[8:11], v2 offset:944
	v_cmp_lt_u32_e32 vcc, 26, v230
	s_waitcnt vmcnt(10) lgkmcnt(1)
	v_mul_f64 v[2:3], v[4:5], v[12:13]
	v_mul_f64 v[12:13], v[6:7], v[12:13]
	s_waitcnt vmcnt(8) lgkmcnt(0)
	v_mul_f64 v[24:25], v[8:9], v[14:15]
	v_mul_f64 v[14:15], v[10:11], v[14:15]
	s_waitcnt vmcnt(6)
	v_fma_f64 v[4:5], v[4:5], v[16:17], -v[12:13]
	v_fmac_f64_e32 v[2:3], v[6:7], v[16:17]
	s_waitcnt vmcnt(4)
	v_fma_f64 v[6:7], v[8:9], v[18:19], -v[14:15]
	v_add_f64 v[4:5], v[4:5], 0
	v_fmac_f64_e32 v[24:25], v[10:11], v[18:19]
	v_add_f64 v[2:3], v[2:3], 0
	v_add_f64 v[4:5], v[4:5], v[6:7]
	;; [unrolled: 1-line block ×3, first 2 shown]
	s_waitcnt vmcnt(2)
	v_add_f64 v[4:5], v[20:21], -v[4:5]
	s_waitcnt vmcnt(0)
	v_add_f64 v[2:3], v[22:23], -v[2:3]
	buffer_store_dword v4, off, s[0:3], 0 offset:432
	buffer_store_dword v5, off, s[0:3], 0 offset:436
	;; [unrolled: 1-line block ×4, first 2 shown]
	s_and_saveexec_b64 s[6:7], vcc
	s_cbranch_execz .LBB29_141
; %bb.140:
	v_accvgpr_read_b32 v5, a51
	buffer_load_dword v2, v5, s[0:3], 0 offen
	buffer_load_dword v3, v5, s[0:3], 0 offen offset:4
	buffer_load_dword v4, v5, s[0:3], 0 offen offset:8
	s_nop 0
	buffer_load_dword v5, v5, s[0:3], 0 offen offset:12
	v_mov_b32_e32 v6, 0
	buffer_store_dword v6, off, s[0:3], 0 offset:416
	buffer_store_dword v6, off, s[0:3], 0 offset:420
	;; [unrolled: 1-line block ×4, first 2 shown]
	s_waitcnt vmcnt(4)
	ds_write_b128 v231, v[2:5]
.LBB29_141:
	s_or_b64 exec, exec, s[6:7]
	v_mov_b32_e32 v2, 0
	s_waitcnt lgkmcnt(0)
	; wave barrier
	s_waitcnt lgkmcnt(0)
	ds_read_b128 v[4:7], v2 offset:912
	ds_read_b128 v[8:11], v2 offset:928
	ds_read_b128 v[12:15], v2 offset:944
	buffer_load_dword v16, off, s[0:3], 0 offset:416
	buffer_load_dword v17, off, s[0:3], 0 offset:420
	;; [unrolled: 1-line block ×16, first 2 shown]
	v_cmp_lt_u32_e32 vcc, 25, v230
	s_waitcnt vmcnt(8) lgkmcnt(2)
	v_mul_f64 v[32:33], v[4:5], v[22:23]
	v_fmac_f64_e32 v[32:33], v[6:7], v[20:21]
	v_mul_f64 v[6:7], v[6:7], v[22:23]
	v_fma_f64 v[4:5], v[4:5], v[20:21], -v[6:7]
	s_waitcnt vmcnt(4) lgkmcnt(1)
	v_mul_f64 v[6:7], v[10:11], v[26:27]
	v_mul_f64 v[34:35], v[8:9], v[26:27]
	v_add_f64 v[4:5], v[4:5], 0
	v_fma_f64 v[6:7], v[8:9], v[24:25], -v[6:7]
	v_add_f64 v[32:33], v[32:33], 0
	v_fmac_f64_e32 v[34:35], v[10:11], v[24:25]
	v_add_f64 v[4:5], v[4:5], v[6:7]
	s_waitcnt vmcnt(0) lgkmcnt(0)
	v_mul_f64 v[6:7], v[14:15], v[30:31]
	v_add_f64 v[32:33], v[32:33], v[34:35]
	v_mul_f64 v[34:35], v[12:13], v[30:31]
	v_fma_f64 v[6:7], v[12:13], v[28:29], -v[6:7]
	v_fmac_f64_e32 v[34:35], v[14:15], v[28:29]
	v_add_f64 v[4:5], v[4:5], v[6:7]
	v_add_f64 v[32:33], v[32:33], v[34:35]
	v_add_f64 v[4:5], v[16:17], -v[4:5]
	v_add_f64 v[6:7], v[18:19], -v[32:33]
	buffer_store_dword v4, off, s[0:3], 0 offset:416
	buffer_store_dword v5, off, s[0:3], 0 offset:420
	;; [unrolled: 1-line block ×4, first 2 shown]
	s_and_saveexec_b64 s[6:7], vcc
	s_cbranch_execz .LBB29_143
; %bb.142:
	v_accvgpr_read_b32 v3, a52
	buffer_load_dword v4, v3, s[0:3], 0 offen
	buffer_load_dword v5, v3, s[0:3], 0 offen offset:4
	buffer_load_dword v6, v3, s[0:3], 0 offen offset:8
	;; [unrolled: 1-line block ×3, first 2 shown]
	s_nop 0
	buffer_store_dword v2, off, s[0:3], 0 offset:400
	buffer_store_dword v2, off, s[0:3], 0 offset:404
	;; [unrolled: 1-line block ×4, first 2 shown]
	s_waitcnt vmcnt(4)
	ds_write_b128 v231, v[4:7]
.LBB29_143:
	s_or_b64 exec, exec, s[6:7]
	s_waitcnt lgkmcnt(0)
	; wave barrier
	s_waitcnt lgkmcnt(0)
	buffer_load_dword v20, off, s[0:3], 0 offset:424
	buffer_load_dword v21, off, s[0:3], 0 offset:428
	;; [unrolled: 1-line block ×20, first 2 shown]
	ds_read_b128 v[4:7], v2 offset:896
	ds_read_b128 v[8:11], v2 offset:912
	;; [unrolled: 1-line block ×4, first 2 shown]
	v_cmp_lt_u32_e32 vcc, 24, v230
	s_waitcnt vmcnt(18) lgkmcnt(3)
	v_mul_f64 v[2:3], v[4:5], v[20:21]
	v_mul_f64 v[20:21], v[6:7], v[20:21]
	s_waitcnt vmcnt(16) lgkmcnt(2)
	v_mul_f64 v[44:45], v[8:9], v[22:23]
	v_mul_f64 v[22:23], v[10:11], v[22:23]
	;; [unrolled: 3-line block ×4, first 2 shown]
	s_waitcnt vmcnt(10)
	v_fma_f64 v[4:5], v[4:5], v[28:29], -v[20:21]
	v_fmac_f64_e32 v[2:3], v[6:7], v[28:29]
	s_waitcnt vmcnt(8)
	v_fma_f64 v[6:7], v[8:9], v[30:31], -v[22:23]
	v_add_f64 v[4:5], v[4:5], 0
	v_fmac_f64_e32 v[44:45], v[10:11], v[30:31]
	s_waitcnt vmcnt(6)
	v_fma_f64 v[8:9], v[12:13], v[32:33], -v[24:25]
	v_add_f64 v[2:3], v[2:3], 0
	v_add_f64 v[4:5], v[4:5], v[6:7]
	v_fmac_f64_e32 v[46:47], v[14:15], v[32:33]
	s_waitcnt vmcnt(4)
	v_fma_f64 v[10:11], v[16:17], v[34:35], -v[26:27]
	v_add_f64 v[2:3], v[2:3], v[44:45]
	v_add_f64 v[4:5], v[4:5], v[8:9]
	v_fmac_f64_e32 v[48:49], v[18:19], v[34:35]
	v_add_f64 v[2:3], v[2:3], v[46:47]
	v_add_f64 v[4:5], v[4:5], v[10:11]
	;; [unrolled: 1-line block ×3, first 2 shown]
	s_waitcnt vmcnt(2)
	v_add_f64 v[4:5], v[36:37], -v[4:5]
	s_waitcnt vmcnt(0)
	v_add_f64 v[2:3], v[42:43], -v[2:3]
	buffer_store_dword v4, off, s[0:3], 0 offset:400
	buffer_store_dword v5, off, s[0:3], 0 offset:404
	;; [unrolled: 1-line block ×4, first 2 shown]
	s_and_saveexec_b64 s[6:7], vcc
	s_cbranch_execz .LBB29_145
; %bb.144:
	v_accvgpr_read_b32 v5, a53
	buffer_load_dword v2, v5, s[0:3], 0 offen
	buffer_load_dword v3, v5, s[0:3], 0 offen offset:4
	buffer_load_dword v4, v5, s[0:3], 0 offen offset:8
	s_nop 0
	buffer_load_dword v5, v5, s[0:3], 0 offen offset:12
	v_mov_b32_e32 v6, 0
	buffer_store_dword v6, off, s[0:3], 0 offset:384
	buffer_store_dword v6, off, s[0:3], 0 offset:388
	;; [unrolled: 1-line block ×4, first 2 shown]
	s_waitcnt vmcnt(4)
	ds_write_b128 v231, v[2:5]
.LBB29_145:
	s_or_b64 exec, exec, s[6:7]
	s_waitcnt lgkmcnt(0)
	; wave barrier
	s_waitcnt lgkmcnt(0)
	buffer_load_dword v24, off, s[0:3], 0 offset:408
	buffer_load_dword v25, off, s[0:3], 0 offset:412
	;; [unrolled: 1-line block ×24, first 2 shown]
	v_mov_b32_e32 v2, 0
	ds_read_b128 v[4:7], v2 offset:880
	ds_read_b128 v[8:11], v2 offset:896
	;; [unrolled: 1-line block ×5, first 2 shown]
	v_cmp_lt_u32_e32 vcc, 23, v230
	s_waitcnt vmcnt(22) lgkmcnt(4)
	v_mul_f64 v[52:53], v[4:5], v[24:25]
	v_mul_f64 v[24:25], v[6:7], v[24:25]
	s_waitcnt vmcnt(20) lgkmcnt(3)
	v_mul_f64 v[54:55], v[8:9], v[26:27]
	v_mul_f64 v[26:27], v[10:11], v[26:27]
	;; [unrolled: 3-line block ×4, first 2 shown]
	s_waitcnt vmcnt(13) lgkmcnt(0)
	v_mul_f64 v[60:61], v[20:21], v[30:31]
	s_waitcnt vmcnt(11)
	v_fma_f64 v[4:5], v[4:5], v[36:37], -v[24:25]
	v_fmac_f64_e32 v[52:53], v[6:7], v[36:37]
	s_waitcnt vmcnt(9)
	v_fma_f64 v[6:7], v[8:9], v[42:43], -v[26:27]
	v_add_f64 v[4:5], v[4:5], 0
	v_fmac_f64_e32 v[54:55], v[10:11], v[42:43]
	s_waitcnt vmcnt(7)
	v_fmac_f64_e32 v[56:57], v[14:15], v[44:45]
	v_fma_f64 v[8:9], v[12:13], v[44:45], -v[28:29]
	v_add_f64 v[14:15], v[52:53], 0
	v_add_f64 v[4:5], v[4:5], v[6:7]
	v_mul_f64 v[30:31], v[22:23], v[30:31]
	s_waitcnt vmcnt(5)
	v_fma_f64 v[10:11], v[16:17], v[46:47], -v[34:35]
	v_add_f64 v[14:15], v[14:15], v[54:55]
	v_add_f64 v[4:5], v[4:5], v[8:9]
	v_fmac_f64_e32 v[58:59], v[18:19], v[46:47]
	s_waitcnt vmcnt(4)
	v_fma_f64 v[12:13], v[20:21], v[32:33], -v[30:31]
	v_add_f64 v[6:7], v[14:15], v[56:57]
	v_add_f64 v[4:5], v[4:5], v[10:11]
	v_fmac_f64_e32 v[60:61], v[22:23], v[32:33]
	v_add_f64 v[6:7], v[6:7], v[58:59]
	v_add_f64 v[4:5], v[4:5], v[12:13]
	;; [unrolled: 1-line block ×3, first 2 shown]
	s_waitcnt vmcnt(2)
	v_add_f64 v[4:5], v[48:49], -v[4:5]
	s_waitcnt vmcnt(0)
	v_add_f64 v[6:7], v[50:51], -v[6:7]
	buffer_store_dword v5, off, s[0:3], 0 offset:388
	buffer_store_dword v4, off, s[0:3], 0 offset:384
	;; [unrolled: 1-line block ×4, first 2 shown]
	s_and_saveexec_b64 s[6:7], vcc
	s_cbranch_execz .LBB29_147
; %bb.146:
	v_accvgpr_read_b32 v3, a54
	buffer_load_dword v4, v3, s[0:3], 0 offen
	buffer_load_dword v5, v3, s[0:3], 0 offen offset:4
	buffer_load_dword v6, v3, s[0:3], 0 offen offset:8
	;; [unrolled: 1-line block ×3, first 2 shown]
	s_nop 0
	buffer_store_dword v2, off, s[0:3], 0 offset:368
	buffer_store_dword v2, off, s[0:3], 0 offset:372
	;; [unrolled: 1-line block ×4, first 2 shown]
	s_waitcnt vmcnt(4)
	ds_write_b128 v231, v[4:7]
.LBB29_147:
	s_or_b64 exec, exec, s[6:7]
	s_waitcnt lgkmcnt(0)
	; wave barrier
	s_waitcnt lgkmcnt(0)
	buffer_load_dword v28, off, s[0:3], 0 offset:392
	buffer_load_dword v29, off, s[0:3], 0 offset:396
	;; [unrolled: 1-line block ×28, first 2 shown]
	ds_read_b128 v[4:7], v2 offset:864
	ds_read_b128 v[8:11], v2 offset:880
	;; [unrolled: 1-line block ×6, first 2 shown]
	v_cmp_lt_u32_e32 vcc, 22, v230
	s_waitcnt vmcnt(26) lgkmcnt(5)
	v_mul_f64 v[2:3], v[4:5], v[28:29]
	v_mul_f64 v[28:29], v[6:7], v[28:29]
	s_waitcnt vmcnt(24) lgkmcnt(4)
	v_mul_f64 v[60:61], v[8:9], v[30:31]
	v_mul_f64 v[30:31], v[10:11], v[30:31]
	;; [unrolled: 3-line block ×4, first 2 shown]
	s_waitcnt vmcnt(17)
	v_mul_f64 v[64:65], v[16:17], v[42:43]
	v_mul_f64 v[42:43], v[18:19], v[42:43]
	s_waitcnt vmcnt(15) lgkmcnt(0)
	v_mul_f64 v[100:101], v[24:25], v[44:45]
	v_mul_f64 v[44:45], v[26:27], v[44:45]
	s_waitcnt vmcnt(14)
	v_fmac_f64_e32 v[98:99], v[22:23], v[36:37]
	s_waitcnt vmcnt(12)
	v_fma_f64 v[4:5], v[4:5], v[46:47], -v[28:29]
	v_fmac_f64_e32 v[2:3], v[6:7], v[46:47]
	s_waitcnt vmcnt(10)
	v_fma_f64 v[6:7], v[8:9], v[48:49], -v[30:31]
	v_add_f64 v[4:5], v[4:5], 0
	v_fmac_f64_e32 v[60:61], v[10:11], v[48:49]
	s_waitcnt vmcnt(8)
	v_fma_f64 v[8:9], v[12:13], v[50:51], -v[32:33]
	v_add_f64 v[2:3], v[2:3], 0
	v_add_f64 v[4:5], v[4:5], v[6:7]
	v_fmac_f64_e32 v[62:63], v[14:15], v[50:51]
	s_waitcnt vmcnt(6)
	v_fma_f64 v[10:11], v[16:17], v[52:53], -v[42:43]
	v_add_f64 v[2:3], v[2:3], v[60:61]
	v_add_f64 v[4:5], v[4:5], v[8:9]
	v_fmac_f64_e32 v[64:65], v[18:19], v[52:53]
	v_fma_f64 v[12:13], v[20:21], v[36:37], -v[34:35]
	v_add_f64 v[2:3], v[2:3], v[62:63]
	v_add_f64 v[4:5], v[4:5], v[10:11]
	s_waitcnt vmcnt(4)
	v_fma_f64 v[14:15], v[24:25], v[54:55], -v[44:45]
	v_add_f64 v[2:3], v[2:3], v[64:65]
	v_add_f64 v[4:5], v[4:5], v[12:13]
	v_fmac_f64_e32 v[100:101], v[26:27], v[54:55]
	v_add_f64 v[2:3], v[2:3], v[98:99]
	v_add_f64 v[4:5], v[4:5], v[14:15]
	;; [unrolled: 1-line block ×3, first 2 shown]
	s_waitcnt vmcnt(2)
	v_add_f64 v[4:5], v[56:57], -v[4:5]
	s_waitcnt vmcnt(0)
	v_add_f64 v[2:3], v[58:59], -v[2:3]
	buffer_store_dword v5, off, s[0:3], 0 offset:372
	buffer_store_dword v4, off, s[0:3], 0 offset:368
	;; [unrolled: 1-line block ×4, first 2 shown]
	s_and_saveexec_b64 s[6:7], vcc
	s_cbranch_execz .LBB29_149
; %bb.148:
	v_accvgpr_read_b32 v5, a55
	buffer_load_dword v2, v5, s[0:3], 0 offen
	buffer_load_dword v3, v5, s[0:3], 0 offen offset:4
	buffer_load_dword v4, v5, s[0:3], 0 offen offset:8
	s_nop 0
	buffer_load_dword v5, v5, s[0:3], 0 offen offset:12
	v_mov_b32_e32 v6, 0
	buffer_store_dword v6, off, s[0:3], 0 offset:352
	buffer_store_dword v6, off, s[0:3], 0 offset:356
	;; [unrolled: 1-line block ×4, first 2 shown]
	s_waitcnt vmcnt(4)
	ds_write_b128 v231, v[2:5]
.LBB29_149:
	s_or_b64 exec, exec, s[6:7]
	v_mov_b32_e32 v24, 0
	s_waitcnt lgkmcnt(0)
	; wave barrier
	s_waitcnt lgkmcnt(0)
	ds_read_b128 v[6:9], v24 offset:848
	ds_read_b128 v[10:13], v24 offset:864
	;; [unrolled: 1-line block ×4, first 2 shown]
	buffer_load_dword v4, off, s[0:3], 0 offset:352
	buffer_load_dword v5, off, s[0:3], 0 offset:356
	buffer_load_dword v2, off, s[0:3], 0 offset:360
	buffer_load_dword v3, off, s[0:3], 0 offset:364
	buffer_load_dword v22, off, s[0:3], 0 offset:368
	buffer_load_dword v23, off, s[0:3], 0 offset:372
	buffer_load_dword v42, off, s[0:3], 0 offset:376
	buffer_load_dword v43, off, s[0:3], 0 offset:380
	buffer_load_dword v44, off, s[0:3], 0 offset:384
	buffer_load_dword v45, off, s[0:3], 0 offset:388
	buffer_load_dword v46, off, s[0:3], 0 offset:392
	buffer_load_dword v47, off, s[0:3], 0 offset:396
	buffer_load_dword v48, off, s[0:3], 0 offset:400
	buffer_load_dword v49, off, s[0:3], 0 offset:404
	buffer_load_dword v50, off, s[0:3], 0 offset:408
	buffer_load_dword v51, off, s[0:3], 0 offset:412
	buffer_load_dword v53, off, s[0:3], 0 offset:420
	buffer_load_dword v52, off, s[0:3], 0 offset:416
	buffer_load_dword v55, off, s[0:3], 0 offset:428
	buffer_load_dword v54, off, s[0:3], 0 offset:424
	v_cmp_lt_u32_e32 vcc, 21, v230
	s_waitcnt vmcnt(12) lgkmcnt(3)
	v_mul_f64 v[26:27], v[6:7], v[42:43]
	v_fmac_f64_e32 v[26:27], v[8:9], v[22:23]
	v_add_f64 v[26:27], v[26:27], 0
	v_mul_f64 v[8:9], v[8:9], v[42:43]
	s_waitcnt vmcnt(8) lgkmcnt(2)
	v_mul_f64 v[28:29], v[10:11], v[46:47]
	v_fmac_f64_e32 v[28:29], v[12:13], v[44:45]
	v_add_f64 v[26:27], v[26:27], v[28:29]
	v_fma_f64 v[6:7], v[6:7], v[22:23], -v[8:9]
	s_waitcnt vmcnt(4) lgkmcnt(1)
	v_mul_f64 v[28:29], v[14:15], v[50:51]
	v_fmac_f64_e32 v[28:29], v[16:17], v[48:49]
	v_add_f64 v[26:27], v[26:27], v[28:29]
	s_waitcnt vmcnt(0) lgkmcnt(0)
	v_mul_f64 v[28:29], v[18:19], v[54:55]
	v_fmac_f64_e32 v[28:29], v[20:21], v[52:53]
	v_add_f64 v[30:31], v[26:27], v[28:29]
	ds_read_b128 v[26:29], v24 offset:912
	buffer_load_dword v57, off, s[0:3], 0 offset:436
	buffer_load_dword v56, off, s[0:3], 0 offset:432
	;; [unrolled: 1-line block ×4, first 2 shown]
	v_mul_f64 v[8:9], v[12:13], v[46:47]
	v_add_f64 v[6:7], v[6:7], 0
	v_fma_f64 v[8:9], v[10:11], v[44:45], -v[8:9]
	v_add_f64 v[6:7], v[6:7], v[8:9]
	v_mul_f64 v[8:9], v[16:17], v[50:51]
	v_fma_f64 v[8:9], v[14:15], v[48:49], -v[8:9]
	v_add_f64 v[6:7], v[6:7], v[8:9]
	v_mul_f64 v[8:9], v[20:21], v[54:55]
	v_fma_f64 v[8:9], v[18:19], v[52:53], -v[8:9]
	v_add_f64 v[6:7], v[6:7], v[8:9]
	s_waitcnt vmcnt(0) lgkmcnt(0)
	v_mul_f64 v[32:33], v[26:27], v[58:59]
	v_fmac_f64_e32 v[32:33], v[28:29], v[56:57]
	v_add_f64 v[34:35], v[30:31], v[32:33]
	ds_read_b128 v[30:33], v24 offset:928
	buffer_load_dword v61, off, s[0:3], 0 offset:452
	buffer_load_dword v60, off, s[0:3], 0 offset:448
	;; [unrolled: 1-line block ×4, first 2 shown]
	v_mul_f64 v[8:9], v[28:29], v[58:59]
	v_fma_f64 v[8:9], v[26:27], v[56:57], -v[8:9]
	v_add_f64 v[6:7], v[6:7], v[8:9]
	s_waitcnt vmcnt(0) lgkmcnt(0)
	v_mul_f64 v[36:37], v[30:31], v[62:63]
	v_fmac_f64_e32 v[36:37], v[32:33], v[60:61]
	v_add_f64 v[64:65], v[34:35], v[36:37]
	ds_read_b128 v[34:37], v24 offset:944
	buffer_load_dword v99, off, s[0:3], 0 offset:468
	buffer_load_dword v98, off, s[0:3], 0 offset:464
	;; [unrolled: 1-line block ×4, first 2 shown]
	v_mul_f64 v[8:9], v[32:33], v[62:63]
	v_fma_f64 v[8:9], v[30:31], v[60:61], -v[8:9]
	v_add_f64 v[6:7], v[6:7], v[8:9]
	s_waitcnt vmcnt(0) lgkmcnt(0)
	v_mul_f64 v[8:9], v[36:37], v[100:101]
	v_mul_f64 v[102:103], v[34:35], v[100:101]
	v_fma_f64 v[8:9], v[34:35], v[98:99], -v[8:9]
	v_fmac_f64_e32 v[102:103], v[36:37], v[98:99]
	v_add_f64 v[6:7], v[6:7], v[8:9]
	v_add_f64 v[64:65], v[64:65], v[102:103]
	v_add_f64 v[4:5], v[4:5], -v[6:7]
	v_add_f64 v[2:3], v[2:3], -v[64:65]
	buffer_store_dword v5, off, s[0:3], 0 offset:356
	buffer_store_dword v4, off, s[0:3], 0 offset:352
	;; [unrolled: 1-line block ×4, first 2 shown]
	s_and_saveexec_b64 s[6:7], vcc
	s_cbranch_execz .LBB29_151
; %bb.150:
	v_accvgpr_read_b32 v5, a56
	buffer_load_dword v2, v5, s[0:3], 0 offen
	buffer_load_dword v3, v5, s[0:3], 0 offen offset:4
	buffer_load_dword v4, v5, s[0:3], 0 offen offset:8
	s_nop 0
	buffer_load_dword v5, v5, s[0:3], 0 offen offset:12
	s_nop 0
	buffer_store_dword v24, off, s[0:3], 0 offset:336
	buffer_store_dword v24, off, s[0:3], 0 offset:340
	;; [unrolled: 1-line block ×4, first 2 shown]
	s_waitcnt vmcnt(4)
	ds_write_b128 v231, v[2:5]
.LBB29_151:
	s_or_b64 exec, exec, s[6:7]
	s_waitcnt lgkmcnt(0)
	; wave barrier
	s_waitcnt lgkmcnt(0)
	ds_read_b128 v[14:17], v24 offset:832
	ds_read_b128 v[10:13], v24 offset:848
	ds_read_b128 v[6:9], v24 offset:864
	ds_read_b128 v[2:5], v24 offset:880
	buffer_load_dword v20, off, s[0:3], 0 offset:336
	buffer_load_dword v21, off, s[0:3], 0 offset:340
	;; [unrolled: 1-line block ×20, first 2 shown]
	v_cmp_lt_u32_e32 vcc, 20, v230
	s_waitcnt vmcnt(12) lgkmcnt(3)
	v_mul_f64 v[26:27], v[14:15], v[42:43]
	v_fmac_f64_e32 v[26:27], v[16:17], v[22:23]
	v_add_f64 v[26:27], v[26:27], 0
	v_mul_f64 v[16:17], v[16:17], v[42:43]
	s_waitcnt vmcnt(8) lgkmcnt(2)
	v_mul_f64 v[28:29], v[10:11], v[46:47]
	v_fmac_f64_e32 v[28:29], v[12:13], v[44:45]
	v_add_f64 v[26:27], v[26:27], v[28:29]
	v_fma_f64 v[14:15], v[14:15], v[22:23], -v[16:17]
	s_waitcnt vmcnt(4) lgkmcnt(1)
	v_mul_f64 v[28:29], v[6:7], v[50:51]
	v_fmac_f64_e32 v[28:29], v[8:9], v[48:49]
	v_add_f64 v[26:27], v[26:27], v[28:29]
	s_waitcnt vmcnt(0) lgkmcnt(0)
	v_mul_f64 v[28:29], v[2:3], v[54:55]
	v_fmac_f64_e32 v[28:29], v[4:5], v[52:53]
	v_add_f64 v[30:31], v[26:27], v[28:29]
	ds_read_b128 v[26:29], v24 offset:896
	buffer_load_dword v57, off, s[0:3], 0 offset:420
	buffer_load_dword v56, off, s[0:3], 0 offset:416
	;; [unrolled: 1-line block ×4, first 2 shown]
	v_mul_f64 v[12:13], v[12:13], v[46:47]
	v_add_f64 v[14:15], v[14:15], 0
	v_fma_f64 v[10:11], v[10:11], v[44:45], -v[12:13]
	v_mul_f64 v[8:9], v[8:9], v[50:51]
	v_add_f64 v[10:11], v[14:15], v[10:11]
	v_fma_f64 v[6:7], v[6:7], v[48:49], -v[8:9]
	;; [unrolled: 3-line block ×3, first 2 shown]
	v_add_f64 v[2:3], v[6:7], v[2:3]
	s_waitcnt vmcnt(0) lgkmcnt(0)
	v_mul_f64 v[32:33], v[26:27], v[58:59]
	v_fmac_f64_e32 v[32:33], v[28:29], v[56:57]
	v_add_f64 v[34:35], v[30:31], v[32:33]
	ds_read_b128 v[30:33], v24 offset:912
	buffer_load_dword v61, off, s[0:3], 0 offset:436
	buffer_load_dword v60, off, s[0:3], 0 offset:432
	buffer_load_dword v63, off, s[0:3], 0 offset:444
	buffer_load_dword v62, off, s[0:3], 0 offset:440
	v_mul_f64 v[4:5], v[28:29], v[58:59]
	v_fma_f64 v[4:5], v[26:27], v[56:57], -v[4:5]
	v_add_f64 v[2:3], v[2:3], v[4:5]
	s_waitcnt vmcnt(0) lgkmcnt(0)
	v_mul_f64 v[36:37], v[30:31], v[62:63]
	v_fmac_f64_e32 v[36:37], v[32:33], v[60:61]
	v_add_f64 v[64:65], v[34:35], v[36:37]
	ds_read_b128 v[34:37], v24 offset:928
	buffer_load_dword v103, off, s[0:3], 0 offset:452
	buffer_load_dword v102, off, s[0:3], 0 offset:448
	buffer_load_dword v105, off, s[0:3], 0 offset:460
	buffer_load_dword v104, off, s[0:3], 0 offset:456
	v_mul_f64 v[4:5], v[32:33], v[62:63]
	v_fma_f64 v[4:5], v[30:31], v[60:61], -v[4:5]
	;; [unrolled: 12-line block ×3, first 2 shown]
	v_add_f64 v[2:3], v[2:3], v[4:5]
	s_waitcnt vmcnt(0) lgkmcnt(0)
	v_mul_f64 v[4:5], v[100:101], v[106:107]
	v_mul_f64 v[108:109], v[98:99], v[106:107]
	v_fma_f64 v[4:5], v[98:99], v[24:25], -v[4:5]
	v_fmac_f64_e32 v[108:109], v[100:101], v[24:25]
	v_add_f64 v[2:3], v[2:3], v[4:5]
	v_add_f64 v[64:65], v[64:65], v[108:109]
	v_add_f64 v[2:3], v[20:21], -v[2:3]
	v_add_f64 v[4:5], v[18:19], -v[64:65]
	buffer_store_dword v3, off, s[0:3], 0 offset:340
	buffer_store_dword v2, off, s[0:3], 0 offset:336
	;; [unrolled: 1-line block ×4, first 2 shown]
	s_and_saveexec_b64 s[6:7], vcc
	s_cbranch_execz .LBB29_153
; %bb.152:
	v_accvgpr_read_b32 v5, a57
	buffer_load_dword v2, v5, s[0:3], 0 offen
	buffer_load_dword v3, v5, s[0:3], 0 offen offset:4
	buffer_load_dword v4, v5, s[0:3], 0 offen offset:8
	s_nop 0
	buffer_load_dword v5, v5, s[0:3], 0 offen offset:12
	v_mov_b32_e32 v6, 0
	buffer_store_dword v6, off, s[0:3], 0 offset:320
	buffer_store_dword v6, off, s[0:3], 0 offset:324
	;; [unrolled: 1-line block ×4, first 2 shown]
	s_waitcnt vmcnt(4)
	ds_write_b128 v231, v[2:5]
.LBB29_153:
	s_or_b64 exec, exec, s[6:7]
	s_waitcnt lgkmcnt(0)
	; wave barrier
	s_waitcnt lgkmcnt(0)
	buffer_load_dword v36, off, s[0:3], 0 offset:344
	buffer_load_dword v37, off, s[0:3], 0 offset:348
	;; [unrolled: 1-line block ×40, first 2 shown]
	v_mov_b32_e32 v6, 0
	ds_read_b128 v[2:5], v6 offset:816
	ds_read_b128 v[8:11], v6 offset:832
	;; [unrolled: 1-line block ×9, first 2 shown]
	v_cmp_lt_u32_e32 vcc, 19, v230
	s_waitcnt vmcnt(38) lgkmcnt(8)
	v_mul_f64 v[116:117], v[2:3], v[36:37]
	v_mul_f64 v[36:37], v[4:5], v[36:37]
	s_waitcnt vmcnt(36) lgkmcnt(7)
	v_mul_f64 v[118:119], v[8:9], v[42:43]
	v_mul_f64 v[42:43], v[10:11], v[42:43]
	;; [unrolled: 3-line block ×3, first 2 shown]
	s_waitcnt vmcnt(32) lgkmcnt(4)
	v_mul_f64 v[124:125], v[20:21], v[46:47]
	s_waitcnt vmcnt(30)
	v_fmac_f64_e32 v[124:125], v[22:23], v[48:49]
	s_waitcnt vmcnt(28)
	v_mul_f64 v[122:123], v[16:17], v[50:51]
	v_mul_f64 v[50:51], v[18:19], v[50:51]
	s_waitcnt vmcnt(26) lgkmcnt(2)
	v_mul_f64 v[128:129], v[28:29], v[52:53]
	s_waitcnt vmcnt(24)
	v_fmac_f64_e32 v[128:129], v[30:31], v[54:55]
	s_waitcnt vmcnt(22)
	v_mul_f64 v[126:127], v[24:25], v[56:57]
	s_waitcnt vmcnt(18) lgkmcnt(1)
	v_mul_f64 v[130:131], v[32:33], v[62:63]
	s_waitcnt vmcnt(17) lgkmcnt(0)
	v_mul_f64 v[132:133], v[98:99], v[58:59]
	s_waitcnt vmcnt(15)
	v_fma_f64 v[2:3], v[2:3], v[64:65], -v[36:37]
	v_fmac_f64_e32 v[116:117], v[4:5], v[64:65]
	s_waitcnt vmcnt(13)
	v_fma_f64 v[4:5], v[8:9], v[102:103], -v[42:43]
	v_add_f64 v[2:3], v[2:3], 0
	s_waitcnt vmcnt(11)
	v_fma_f64 v[8:9], v[12:13], v[104:105], -v[44:45]
	v_add_f64 v[2:3], v[2:3], v[4:5]
	v_fmac_f64_e32 v[118:119], v[10:11], v[102:103]
	s_waitcnt vmcnt(9)
	v_fma_f64 v[10:11], v[16:17], v[106:107], -v[50:51]
	v_add_f64 v[2:3], v[2:3], v[8:9]
	v_mul_f64 v[8:9], v[22:23], v[46:47]
	v_add_f64 v[2:3], v[2:3], v[10:11]
	v_fma_f64 v[8:9], v[20:21], v[48:49], -v[8:9]
	v_add_f64 v[2:3], v[2:3], v[8:9]
	v_mul_f64 v[8:9], v[26:27], v[56:57]
	v_add_f64 v[12:13], v[116:117], 0
	s_waitcnt vmcnt(7)
	v_fma_f64 v[8:9], v[24:25], v[108:109], -v[8:9]
	v_fmac_f64_e32 v[120:121], v[14:15], v[104:105]
	v_add_f64 v[12:13], v[12:13], v[118:119]
	v_add_f64 v[2:3], v[2:3], v[8:9]
	v_mul_f64 v[8:9], v[30:31], v[52:53]
	v_fmac_f64_e32 v[122:123], v[18:19], v[106:107]
	v_add_f64 v[4:5], v[12:13], v[120:121]
	v_fma_f64 v[8:9], v[28:29], v[54:55], -v[8:9]
	v_add_f64 v[4:5], v[4:5], v[122:123]
	v_add_f64 v[2:3], v[2:3], v[8:9]
	v_mul_f64 v[8:9], v[34:35], v[62:63]
	v_fmac_f64_e32 v[126:127], v[26:27], v[108:109]
	v_add_f64 v[4:5], v[4:5], v[124:125]
	s_waitcnt vmcnt(5)
	v_fma_f64 v[8:9], v[32:33], v[110:111], -v[8:9]
	v_add_f64 v[4:5], v[4:5], v[126:127]
	v_add_f64 v[2:3], v[2:3], v[8:9]
	v_mul_f64 v[8:9], v[100:101], v[58:59]
	v_fmac_f64_e32 v[130:131], v[34:35], v[110:111]
	v_add_f64 v[4:5], v[4:5], v[128:129]
	s_waitcnt vmcnt(4)
	v_fma_f64 v[8:9], v[98:99], v[60:61], -v[8:9]
	v_fmac_f64_e32 v[132:133], v[100:101], v[60:61]
	v_add_f64 v[4:5], v[4:5], v[130:131]
	v_add_f64 v[2:3], v[2:3], v[8:9]
	;; [unrolled: 1-line block ×3, first 2 shown]
	s_waitcnt vmcnt(2)
	v_add_f64 v[2:3], v[112:113], -v[2:3]
	s_waitcnt vmcnt(0)
	v_add_f64 v[4:5], v[114:115], -v[4:5]
	buffer_store_dword v3, off, s[0:3], 0 offset:324
	buffer_store_dword v2, off, s[0:3], 0 offset:320
	;; [unrolled: 1-line block ×4, first 2 shown]
	s_and_saveexec_b64 s[6:7], vcc
	s_cbranch_execz .LBB29_155
; %bb.154:
	v_accvgpr_read_b32 v5, a58
	buffer_load_dword v2, v5, s[0:3], 0 offen
	buffer_load_dword v3, v5, s[0:3], 0 offen offset:4
	buffer_load_dword v4, v5, s[0:3], 0 offen offset:8
	s_nop 0
	buffer_load_dword v5, v5, s[0:3], 0 offen offset:12
	s_nop 0
	buffer_store_dword v6, off, s[0:3], 0 offset:304
	buffer_store_dword v6, off, s[0:3], 0 offset:308
	;; [unrolled: 1-line block ×4, first 2 shown]
	s_waitcnt vmcnt(4)
	ds_write_b128 v231, v[2:5]
.LBB29_155:
	s_or_b64 exec, exec, s[6:7]
	s_waitcnt lgkmcnt(0)
	; wave barrier
	s_waitcnt lgkmcnt(0)
	buffer_load_dword v4, off, s[0:3], 0 offset:320
	buffer_load_dword v5, off, s[0:3], 0 offset:324
	buffer_load_dword v36, off, s[0:3], 0 offset:328
	buffer_load_dword v37, off, s[0:3], 0 offset:332
	buffer_load_dword v42, off, s[0:3], 0 offset:344
	buffer_load_dword v43, off, s[0:3], 0 offset:348
	buffer_load_dword v2, off, s[0:3], 0 offset:360
	buffer_load_dword v3, off, s[0:3], 0 offset:364
	buffer_load_dword v45, off, s[0:3], 0 offset:396
	buffer_load_dword v44, off, s[0:3], 0 offset:392
	buffer_load_dword v47, off, s[0:3], 0 offset:388
	buffer_load_dword v46, off, s[0:3], 0 offset:384
	buffer_load_dword v49, off, s[0:3], 0 offset:380
	buffer_load_dword v48, off, s[0:3], 0 offset:376
	buffer_load_dword v51, off, s[0:3], 0 offset:428
	buffer_load_dword v50, off, s[0:3], 0 offset:424
	buffer_load_dword v53, off, s[0:3], 0 offset:420
	buffer_load_dword v52, off, s[0:3], 0 offset:416
	buffer_load_dword v55, off, s[0:3], 0 offset:412
	buffer_load_dword v54, off, s[0:3], 0 offset:408
	buffer_load_dword v57, off, s[0:3], 0 offset:460
	buffer_load_dword v56, off, s[0:3], 0 offset:456
	buffer_load_dword v59, off, s[0:3], 0 offset:452
	buffer_load_dword v58, off, s[0:3], 0 offset:448
	buffer_load_dword v61, off, s[0:3], 0 offset:444
	buffer_load_dword v60, off, s[0:3], 0 offset:440
	buffer_load_dword v63, off, s[0:3], 0 offset:476
	buffer_load_dword v62, off, s[0:3], 0 offset:472
	buffer_load_dword v64, off, s[0:3], 0 offset:336
	buffer_load_dword v65, off, s[0:3], 0 offset:340
	buffer_load_dword v110, off, s[0:3], 0 offset:352
	buffer_load_dword v111, off, s[0:3], 0 offset:356
	buffer_load_dword v113, off, s[0:3], 0 offset:372
	buffer_load_dword v112, off, s[0:3], 0 offset:368
	buffer_load_dword v115, off, s[0:3], 0 offset:404
	buffer_load_dword v114, off, s[0:3], 0 offset:400
	buffer_load_dword v117, off, s[0:3], 0 offset:436
	buffer_load_dword v116, off, s[0:3], 0 offset:432
	buffer_load_dword v119, off, s[0:3], 0 offset:468
	buffer_load_dword v118, off, s[0:3], 0 offset:464
	buffer_load_dword v120, off, s[0:3], 0 offset:304
	buffer_load_dword v121, off, s[0:3], 0 offset:308
	buffer_load_dword v122, off, s[0:3], 0 offset:312
	buffer_load_dword v123, off, s[0:3], 0 offset:316
	ds_read_b128 v[8:11], v6 offset:800
	ds_read_b128 v[12:15], v6 offset:816
	;; [unrolled: 1-line block ×10, first 2 shown]
	v_cmp_lt_u32_e32 vcc, 18, v230
	s_waitcnt vmcnt(40) lgkmcnt(9)
	v_mul_f64 v[6:7], v[8:9], v[36:37]
	v_mul_f64 v[36:37], v[10:11], v[36:37]
	s_waitcnt vmcnt(38) lgkmcnt(8)
	v_mul_f64 v[124:125], v[12:13], v[42:43]
	v_mul_f64 v[42:43], v[14:15], v[42:43]
	v_fmac_f64_e32 v[6:7], v[10:11], v[4:5]
	v_fma_f64 v[4:5], v[8:9], v[4:5], -v[36:37]
	s_waitcnt vmcnt(36) lgkmcnt(7)
	v_mul_f64 v[126:127], v[16:17], v[2:3]
	v_add_f64 v[4:5], v[4:5], 0
	v_mul_f64 v[2:3], v[18:19], v[2:3]
	v_add_f64 v[6:7], v[6:7], 0
	s_waitcnt vmcnt(30) lgkmcnt(6)
	v_mul_f64 v[128:129], v[20:21], v[48:49]
	s_waitcnt lgkmcnt(5)
	v_mul_f64 v[130:131], v[24:25], v[44:45]
	v_fmac_f64_e32 v[130:131], v[26:27], v[46:47]
	s_waitcnt vmcnt(28) lgkmcnt(3)
	v_mul_f64 v[134:135], v[32:33], v[50:51]
	s_waitcnt vmcnt(26)
	v_fmac_f64_e32 v[134:135], v[34:35], v[52:53]
	s_waitcnt vmcnt(24)
	v_mul_f64 v[132:133], v[28:29], v[54:55]
	s_waitcnt vmcnt(22) lgkmcnt(1)
	v_mul_f64 v[138:139], v[102:103], v[56:57]
	s_waitcnt vmcnt(20)
	v_fmac_f64_e32 v[138:139], v[104:105], v[58:59]
	s_waitcnt vmcnt(18)
	v_mul_f64 v[136:137], v[98:99], v[60:61]
	s_waitcnt vmcnt(16) lgkmcnt(0)
	v_mul_f64 v[140:141], v[106:107], v[62:63]
	s_waitcnt vmcnt(14)
	v_fma_f64 v[8:9], v[12:13], v[64:65], -v[42:43]
	v_add_f64 v[4:5], v[4:5], v[8:9]
	s_waitcnt vmcnt(12)
	v_fma_f64 v[2:3], v[16:17], v[110:111], -v[2:3]
	v_add_f64 v[2:3], v[4:5], v[2:3]
	v_mul_f64 v[4:5], v[22:23], v[48:49]
	s_waitcnt vmcnt(10)
	v_fma_f64 v[4:5], v[20:21], v[112:113], -v[4:5]
	v_add_f64 v[2:3], v[2:3], v[4:5]
	v_mul_f64 v[4:5], v[26:27], v[44:45]
	v_fma_f64 v[4:5], v[24:25], v[46:47], -v[4:5]
	v_add_f64 v[2:3], v[2:3], v[4:5]
	v_mul_f64 v[4:5], v[30:31], v[54:55]
	s_waitcnt vmcnt(8)
	v_fma_f64 v[4:5], v[28:29], v[114:115], -v[4:5]
	v_fmac_f64_e32 v[124:125], v[14:15], v[64:65]
	v_add_f64 v[2:3], v[2:3], v[4:5]
	v_mul_f64 v[4:5], v[34:35], v[50:51]
	v_fmac_f64_e32 v[126:127], v[18:19], v[110:111]
	v_add_f64 v[6:7], v[6:7], v[124:125]
	v_fma_f64 v[4:5], v[32:33], v[52:53], -v[4:5]
	v_fmac_f64_e32 v[128:129], v[22:23], v[112:113]
	v_add_f64 v[6:7], v[6:7], v[126:127]
	v_add_f64 v[2:3], v[2:3], v[4:5]
	v_mul_f64 v[4:5], v[100:101], v[60:61]
	v_add_f64 v[6:7], v[6:7], v[128:129]
	s_waitcnt vmcnt(6)
	v_fma_f64 v[4:5], v[98:99], v[116:117], -v[4:5]
	v_fmac_f64_e32 v[132:133], v[30:31], v[114:115]
	v_add_f64 v[6:7], v[6:7], v[130:131]
	v_add_f64 v[2:3], v[2:3], v[4:5]
	v_mul_f64 v[4:5], v[104:105], v[56:57]
	v_add_f64 v[6:7], v[6:7], v[132:133]
	v_fma_f64 v[4:5], v[102:103], v[58:59], -v[4:5]
	v_fmac_f64_e32 v[136:137], v[100:101], v[116:117]
	v_add_f64 v[6:7], v[6:7], v[134:135]
	v_add_f64 v[2:3], v[2:3], v[4:5]
	v_mul_f64 v[4:5], v[108:109], v[62:63]
	v_add_f64 v[6:7], v[6:7], v[136:137]
	s_waitcnt vmcnt(4)
	v_fma_f64 v[4:5], v[106:107], v[118:119], -v[4:5]
	v_fmac_f64_e32 v[140:141], v[108:109], v[118:119]
	v_add_f64 v[6:7], v[6:7], v[138:139]
	v_add_f64 v[2:3], v[2:3], v[4:5]
	;; [unrolled: 1-line block ×3, first 2 shown]
	s_waitcnt vmcnt(2)
	v_add_f64 v[2:3], v[120:121], -v[2:3]
	s_waitcnt vmcnt(0)
	v_add_f64 v[4:5], v[122:123], -v[6:7]
	buffer_store_dword v3, off, s[0:3], 0 offset:308
	buffer_store_dword v2, off, s[0:3], 0 offset:304
	;; [unrolled: 1-line block ×4, first 2 shown]
	s_and_saveexec_b64 s[6:7], vcc
	s_cbranch_execz .LBB29_157
; %bb.156:
	v_accvgpr_read_b32 v5, a59
	buffer_load_dword v2, v5, s[0:3], 0 offen
	buffer_load_dword v3, v5, s[0:3], 0 offen offset:4
	buffer_load_dword v4, v5, s[0:3], 0 offen offset:8
	s_nop 0
	buffer_load_dword v5, v5, s[0:3], 0 offen offset:12
	v_mov_b32_e32 v6, 0
	buffer_store_dword v6, off, s[0:3], 0 offset:288
	buffer_store_dword v6, off, s[0:3], 0 offset:292
	;; [unrolled: 1-line block ×4, first 2 shown]
	s_waitcnt vmcnt(4)
	ds_write_b128 v231, v[2:5]
.LBB29_157:
	s_or_b64 exec, exec, s[6:7]
	s_waitcnt lgkmcnt(0)
	; wave barrier
	s_waitcnt lgkmcnt(0)
	buffer_load_dword v2, off, s[0:3], 0 offset:304
	buffer_load_dword v3, off, s[0:3], 0 offset:308
	;; [unrolled: 1-line block ×48, first 2 shown]
	v_mov_b32_e32 v12, 0
	ds_read_b128 v[14:17], v12 offset:784
	ds_read_b128 v[18:21], v12 offset:800
	;; [unrolled: 1-line block ×11, first 2 shown]
	v_cmp_lt_u32_e32 vcc, 17, v230
	s_waitcnt vmcnt(44) lgkmcnt(10)
	v_mul_f64 v[132:133], v[14:15], v[6:7]
	v_mul_f64 v[6:7], v[16:17], v[6:7]
	v_fmac_f64_e32 v[132:133], v[16:17], v[2:3]
	v_fma_f64 v[2:3], v[14:15], v[2:3], -v[6:7]
	s_waitcnt vmcnt(40) lgkmcnt(9)
	v_mul_f64 v[134:135], v[18:19], v[8:9]
	v_mul_f64 v[6:7], v[20:21], v[8:9]
	v_fmac_f64_e32 v[134:135], v[20:21], v[4:5]
	v_add_f64 v[2:3], v[2:3], 0
	v_fma_f64 v[4:5], v[18:19], v[4:5], -v[6:7]
	v_add_f64 v[2:3], v[2:3], v[4:5]
	s_waitcnt vmcnt(38) lgkmcnt(8)
	v_mul_f64 v[4:5], v[24:25], v[10:11]
	v_mul_f64 v[136:137], v[22:23], v[10:11]
	v_add_f64 v[132:133], v[132:133], 0
	s_waitcnt vmcnt(32) lgkmcnt(7)
	v_mul_f64 v[138:139], v[26:27], v[46:47]
	v_add_f64 v[132:133], v[132:133], v[134:135]
	s_waitcnt lgkmcnt(6)
	v_mul_f64 v[140:141], v[30:31], v[42:43]
	v_fmac_f64_e32 v[140:141], v[32:33], v[44:45]
	s_waitcnt vmcnt(30) lgkmcnt(4)
	v_mul_f64 v[144:145], v[98:99], v[48:49]
	s_waitcnt vmcnt(26)
	v_mul_f64 v[142:143], v[34:35], v[52:53]
	v_fmac_f64_e32 v[144:145], v[100:101], v[50:51]
	s_waitcnt vmcnt(24) lgkmcnt(2)
	v_mul_f64 v[148:149], v[106:107], v[54:55]
	s_waitcnt vmcnt(22)
	v_fmac_f64_e32 v[148:149], v[108:109], v[56:57]
	s_waitcnt vmcnt(20)
	v_mul_f64 v[146:147], v[102:103], v[58:59]
	s_waitcnt vmcnt(16) lgkmcnt(1)
	v_mul_f64 v[150:151], v[110:111], v[64:65]
	s_waitcnt vmcnt(14)
	v_fma_f64 v[4:5], v[22:23], v[118:119], -v[4:5]
	v_add_f64 v[2:3], v[2:3], v[4:5]
	v_mul_f64 v[4:5], v[28:29], v[46:47]
	s_waitcnt vmcnt(12)
	v_fma_f64 v[4:5], v[26:27], v[120:121], -v[4:5]
	v_add_f64 v[2:3], v[2:3], v[4:5]
	v_mul_f64 v[4:5], v[32:33], v[42:43]
	v_fma_f64 v[4:5], v[30:31], v[44:45], -v[4:5]
	v_add_f64 v[2:3], v[2:3], v[4:5]
	v_mul_f64 v[4:5], v[36:37], v[52:53]
	s_waitcnt vmcnt(10)
	v_fma_f64 v[4:5], v[34:35], v[122:123], -v[4:5]
	v_add_f64 v[2:3], v[2:3], v[4:5]
	v_mul_f64 v[4:5], v[100:101], v[48:49]
	v_fma_f64 v[4:5], v[98:99], v[50:51], -v[4:5]
	v_fmac_f64_e32 v[136:137], v[24:25], v[118:119]
	v_add_f64 v[2:3], v[2:3], v[4:5]
	v_mul_f64 v[4:5], v[104:105], v[58:59]
	v_fmac_f64_e32 v[138:139], v[28:29], v[120:121]
	v_add_f64 v[132:133], v[132:133], v[136:137]
	s_waitcnt vmcnt(8)
	v_fma_f64 v[4:5], v[102:103], v[124:125], -v[4:5]
	v_add_f64 v[132:133], v[132:133], v[138:139]
	v_add_f64 v[2:3], v[2:3], v[4:5]
	v_mul_f64 v[4:5], v[108:109], v[54:55]
	v_fmac_f64_e32 v[142:143], v[36:37], v[122:123]
	v_add_f64 v[132:133], v[132:133], v[140:141]
	v_fma_f64 v[4:5], v[106:107], v[56:57], -v[4:5]
	v_add_f64 v[132:133], v[132:133], v[142:143]
	v_add_f64 v[2:3], v[2:3], v[4:5]
	v_mul_f64 v[4:5], v[112:113], v[64:65]
	v_fmac_f64_e32 v[146:147], v[104:105], v[124:125]
	v_add_f64 v[132:133], v[132:133], v[144:145]
	s_waitcnt vmcnt(6)
	v_fma_f64 v[4:5], v[110:111], v[126:127], -v[4:5]
	v_add_f64 v[132:133], v[132:133], v[146:147]
	v_add_f64 v[2:3], v[2:3], v[4:5]
	s_waitcnt vmcnt(5) lgkmcnt(0)
	v_mul_f64 v[4:5], v[116:117], v[60:61]
	v_fmac_f64_e32 v[150:151], v[112:113], v[126:127]
	v_add_f64 v[132:133], v[132:133], v[148:149]
	v_mul_f64 v[134:135], v[114:115], v[60:61]
	s_waitcnt vmcnt(4)
	v_fma_f64 v[4:5], v[114:115], v[62:63], -v[4:5]
	v_add_f64 v[132:133], v[132:133], v[150:151]
	v_fmac_f64_e32 v[134:135], v[116:117], v[62:63]
	v_add_f64 v[2:3], v[2:3], v[4:5]
	v_add_f64 v[132:133], v[132:133], v[134:135]
	s_waitcnt vmcnt(2)
	v_add_f64 v[2:3], v[128:129], -v[2:3]
	s_waitcnt vmcnt(0)
	v_add_f64 v[4:5], v[130:131], -v[132:133]
	buffer_store_dword v3, off, s[0:3], 0 offset:292
	buffer_store_dword v2, off, s[0:3], 0 offset:288
	;; [unrolled: 1-line block ×4, first 2 shown]
	s_and_saveexec_b64 s[6:7], vcc
	s_cbranch_execz .LBB29_159
; %bb.158:
	v_accvgpr_read_b32 v5, a60
	buffer_load_dword v2, v5, s[0:3], 0 offen
	buffer_load_dword v3, v5, s[0:3], 0 offen offset:4
	buffer_load_dword v4, v5, s[0:3], 0 offen offset:8
	s_nop 0
	buffer_load_dword v5, v5, s[0:3], 0 offen offset:12
	s_nop 0
	buffer_store_dword v12, off, s[0:3], 0 offset:272
	buffer_store_dword v12, off, s[0:3], 0 offset:276
	;; [unrolled: 1-line block ×4, first 2 shown]
	s_waitcnt vmcnt(4)
	ds_write_b128 v231, v[2:5]
.LBB29_159:
	s_or_b64 exec, exec, s[6:7]
	s_waitcnt lgkmcnt(0)
	; wave barrier
	s_waitcnt lgkmcnt(0)
	buffer_load_dword v2, off, s[0:3], 0 offset:288
	buffer_load_dword v3, off, s[0:3], 0 offset:292
	;; [unrolled: 1-line block ×52, first 2 shown]
	ds_read_b128 v[14:17], v12 offset:768
	ds_read_b128 v[18:21], v12 offset:784
	;; [unrolled: 1-line block ×10, first 2 shown]
	v_cmp_lt_u32_e32 vcc, 16, v230
	s_waitcnt vmcnt(48) lgkmcnt(9)
	v_mul_f64 v[114:115], v[14:15], v[6:7]
	v_mul_f64 v[6:7], v[16:17], v[6:7]
	v_fmac_f64_e32 v[114:115], v[16:17], v[2:3]
	v_fma_f64 v[2:3], v[14:15], v[2:3], -v[6:7]
	s_waitcnt vmcnt(44) lgkmcnt(8)
	v_mul_f64 v[116:117], v[18:19], v[8:9]
	v_mul_f64 v[6:7], v[20:21], v[8:9]
	v_fmac_f64_e32 v[116:117], v[20:21], v[4:5]
	v_add_f64 v[2:3], v[2:3], 0
	v_fma_f64 v[4:5], v[18:19], v[4:5], -v[6:7]
	v_add_f64 v[2:3], v[2:3], v[4:5]
	s_waitcnt vmcnt(42) lgkmcnt(7)
	v_mul_f64 v[4:5], v[24:25], v[10:11]
	v_mul_f64 v[118:119], v[22:23], v[10:11]
	v_add_f64 v[114:115], v[114:115], 0
	s_waitcnt vmcnt(36) lgkmcnt(6)
	v_mul_f64 v[120:121], v[26:27], v[46:47]
	v_add_f64 v[114:115], v[114:115], v[116:117]
	s_waitcnt lgkmcnt(5)
	v_mul_f64 v[140:141], v[30:31], v[42:43]
	v_fmac_f64_e32 v[140:141], v[32:33], v[44:45]
	s_waitcnt vmcnt(34) lgkmcnt(3)
	v_mul_f64 v[144:145], v[98:99], v[48:49]
	s_waitcnt vmcnt(30)
	v_mul_f64 v[142:143], v[34:35], v[52:53]
	v_fmac_f64_e32 v[144:145], v[100:101], v[50:51]
	s_waitcnt vmcnt(26) lgkmcnt(2)
	v_mul_f64 v[146:147], v[102:103], v[58:59]
	s_waitcnt vmcnt(25) lgkmcnt(1)
	v_mul_f64 v[148:149], v[106:107], v[54:55]
	s_waitcnt vmcnt(23)
	v_fma_f64 v[4:5], v[22:23], v[60:61], -v[4:5]
	v_add_f64 v[2:3], v[2:3], v[4:5]
	v_mul_f64 v[4:5], v[28:29], v[46:47]
	s_waitcnt vmcnt(21)
	v_fma_f64 v[4:5], v[26:27], v[62:63], -v[4:5]
	v_fmac_f64_e32 v[118:119], v[24:25], v[60:61]
	v_add_f64 v[2:3], v[2:3], v[4:5]
	v_mul_f64 v[4:5], v[32:33], v[42:43]
	v_fmac_f64_e32 v[120:121], v[28:29], v[62:63]
	v_add_f64 v[114:115], v[114:115], v[118:119]
	v_fma_f64 v[4:5], v[30:31], v[44:45], -v[4:5]
	v_add_f64 v[114:115], v[114:115], v[120:121]
	v_add_f64 v[2:3], v[2:3], v[4:5]
	v_mul_f64 v[4:5], v[36:37], v[52:53]
	s_waitcnt vmcnt(19)
	v_fmac_f64_e32 v[142:143], v[36:37], v[64:65]
	v_add_f64 v[114:115], v[114:115], v[140:141]
	v_fma_f64 v[4:5], v[34:35], v[64:65], -v[4:5]
	v_add_f64 v[114:115], v[114:115], v[142:143]
	v_add_f64 v[2:3], v[2:3], v[4:5]
	v_mul_f64 v[4:5], v[100:101], v[48:49]
	s_waitcnt vmcnt(17)
	v_fmac_f64_e32 v[146:147], v[104:105], v[122:123]
	v_add_f64 v[114:115], v[114:115], v[144:145]
	v_fma_f64 v[4:5], v[98:99], v[50:51], -v[4:5]
	s_waitcnt vmcnt(16)
	v_fmac_f64_e32 v[148:149], v[108:109], v[56:57]
	v_add_f64 v[114:115], v[114:115], v[146:147]
	v_add_f64 v[2:3], v[2:3], v[4:5]
	v_mul_f64 v[4:5], v[104:105], v[58:59]
	v_add_f64 v[140:141], v[114:115], v[148:149]
	ds_read_b128 v[114:117], v12 offset:928
	ds_read_b128 v[118:121], v12 offset:944
	v_fma_f64 v[4:5], v[102:103], v[122:123], -v[4:5]
	v_add_f64 v[2:3], v[2:3], v[4:5]
	v_mul_f64 v[4:5], v[108:109], v[54:55]
	v_fma_f64 v[4:5], v[106:107], v[56:57], -v[4:5]
	v_add_f64 v[2:3], v[2:3], v[4:5]
	s_waitcnt vmcnt(12) lgkmcnt(2)
	v_mul_f64 v[4:5], v[112:113], v[128:129]
	v_mul_f64 v[142:143], v[110:111], v[128:129]
	s_waitcnt vmcnt(10)
	v_fma_f64 v[4:5], v[110:111], v[130:131], -v[4:5]
	v_fmac_f64_e32 v[142:143], v[112:113], v[130:131]
	v_add_f64 v[2:3], v[2:3], v[4:5]
	s_waitcnt vmcnt(8) lgkmcnt(1)
	v_mul_f64 v[4:5], v[116:117], v[124:125]
	v_add_f64 v[12:13], v[140:141], v[142:143]
	v_mul_f64 v[140:141], v[114:115], v[124:125]
	v_fma_f64 v[4:5], v[114:115], v[126:127], -v[4:5]
	v_fmac_f64_e32 v[140:141], v[116:117], v[126:127]
	v_add_f64 v[2:3], v[2:3], v[4:5]
	s_waitcnt vmcnt(6) lgkmcnt(0)
	v_mul_f64 v[4:5], v[120:121], v[132:133]
	v_add_f64 v[12:13], v[12:13], v[140:141]
	v_mul_f64 v[140:141], v[118:119], v[132:133]
	s_waitcnt vmcnt(4)
	v_fma_f64 v[4:5], v[118:119], v[134:135], -v[4:5]
	v_fmac_f64_e32 v[140:141], v[120:121], v[134:135]
	v_add_f64 v[2:3], v[2:3], v[4:5]
	v_add_f64 v[12:13], v[12:13], v[140:141]
	s_waitcnt vmcnt(2)
	v_add_f64 v[2:3], v[136:137], -v[2:3]
	s_waitcnt vmcnt(0)
	v_add_f64 v[4:5], v[138:139], -v[12:13]
	buffer_store_dword v3, off, s[0:3], 0 offset:276
	buffer_store_dword v2, off, s[0:3], 0 offset:272
	;; [unrolled: 1-line block ×4, first 2 shown]
	s_and_saveexec_b64 s[6:7], vcc
	s_cbranch_execz .LBB29_161
; %bb.160:
	v_accvgpr_read_b32 v5, a61
	buffer_load_dword v2, v5, s[0:3], 0 offen
	buffer_load_dword v3, v5, s[0:3], 0 offen offset:4
	buffer_load_dword v4, v5, s[0:3], 0 offen offset:8
	s_nop 0
	buffer_load_dword v5, v5, s[0:3], 0 offen offset:12
	v_mov_b32_e32 v6, 0
	buffer_store_dword v6, off, s[0:3], 0 offset:256
	buffer_store_dword v6, off, s[0:3], 0 offset:260
	;; [unrolled: 1-line block ×4, first 2 shown]
	s_waitcnt vmcnt(4)
	ds_write_b128 v231, v[2:5]
.LBB29_161:
	s_or_b64 exec, exec, s[6:7]
	s_waitcnt lgkmcnt(0)
	; wave barrier
	s_waitcnt lgkmcnt(0)
	buffer_load_dword v2, off, s[0:3], 0 offset:272
	buffer_load_dword v3, off, s[0:3], 0 offset:276
	;; [unrolled: 1-line block ×56, first 2 shown]
	v_mov_b32_e32 v24, 0
	ds_read_b128 v[18:21], v24 offset:752
	ds_read_b128 v[26:29], v24 offset:768
	;; [unrolled: 1-line block ×9, first 2 shown]
	v_cmp_lt_u32_e32 vcc, 15, v230
	s_waitcnt vmcnt(52) lgkmcnt(8)
	v_mul_f64 v[114:115], v[18:19], v[6:7]
	v_fmac_f64_e32 v[114:115], v[20:21], v[2:3]
	v_mul_f64 v[6:7], v[20:21], v[6:7]
	v_add_f64 v[114:115], v[114:115], 0
	s_waitcnt vmcnt(48) lgkmcnt(7)
	v_mul_f64 v[116:117], v[26:27], v[8:9]
	v_fmac_f64_e32 v[116:117], v[28:29], v[4:5]
	s_waitcnt vmcnt(46) lgkmcnt(6)
	v_mul_f64 v[118:119], v[30:31], v[10:11]
	v_fma_f64 v[2:3], v[18:19], v[2:3], -v[6:7]
	v_mul_f64 v[6:7], v[28:29], v[8:9]
	v_add_f64 v[114:115], v[114:115], v[116:117]
	v_add_f64 v[2:3], v[2:3], 0
	v_fma_f64 v[4:5], v[26:27], v[4:5], -v[6:7]
	s_waitcnt vmcnt(40) lgkmcnt(5)
	v_mul_f64 v[120:121], v[34:35], v[16:17]
	s_waitcnt lgkmcnt(4)
	v_mul_f64 v[122:123], v[98:99], v[12:13]
	v_add_f64 v[2:3], v[2:3], v[4:5]
	v_mul_f64 v[4:5], v[32:33], v[10:11]
	s_waitcnt vmcnt(36) lgkmcnt(3)
	v_mul_f64 v[124:125], v[102:103], v[44:45]
	v_fmac_f64_e32 v[122:123], v[100:101], v[14:15]
	s_waitcnt vmcnt(35) lgkmcnt(2)
	v_mul_f64 v[126:127], v[106:107], v[22:23]
	s_waitcnt vmcnt(33)
	v_fmac_f64_e32 v[118:119], v[32:33], v[46:47]
	v_add_f64 v[114:115], v[114:115], v[118:119]
	s_waitcnt vmcnt(31)
	v_fmac_f64_e32 v[120:121], v[36:37], v[48:49]
	v_add_f64 v[114:115], v[114:115], v[120:121]
	v_fma_f64 v[4:5], v[30:31], v[46:47], -v[4:5]
	s_waitcnt vmcnt(29)
	v_fmac_f64_e32 v[124:125], v[104:105], v[50:51]
	v_add_f64 v[114:115], v[114:115], v[122:123]
	v_add_f64 v[2:3], v[2:3], v[4:5]
	v_mul_f64 v[4:5], v[36:37], v[16:17]
	s_waitcnt vmcnt(28)
	v_fmac_f64_e32 v[126:127], v[108:109], v[42:43]
	v_add_f64 v[114:115], v[114:115], v[124:125]
	v_fma_f64 v[4:5], v[34:35], v[48:49], -v[4:5]
	v_add_f64 v[118:119], v[114:115], v[126:127]
	ds_read_b128 v[114:117], v24 offset:880
	s_waitcnt vmcnt(24) lgkmcnt(2)
	v_mul_f64 v[120:121], v[110:111], v[56:57]
	v_add_f64 v[2:3], v[2:3], v[4:5]
	v_mul_f64 v[4:5], v[100:101], v[12:13]
	s_waitcnt vmcnt(22)
	v_fmac_f64_e32 v[120:121], v[112:113], v[58:59]
	v_fma_f64 v[4:5], v[98:99], v[14:15], -v[4:5]
	v_add_f64 v[122:123], v[118:119], v[120:121]
	ds_read_b128 v[118:121], v24 offset:896
	v_add_f64 v[2:3], v[2:3], v[4:5]
	v_mul_f64 v[4:5], v[104:105], v[44:45]
	v_fma_f64 v[4:5], v[102:103], v[50:51], -v[4:5]
	v_add_f64 v[2:3], v[2:3], v[4:5]
	v_mul_f64 v[4:5], v[108:109], v[22:23]
	s_waitcnt vmcnt(20) lgkmcnt(1)
	v_mul_f64 v[124:125], v[114:115], v[52:53]
	v_fma_f64 v[4:5], v[106:107], v[42:43], -v[4:5]
	v_fmac_f64_e32 v[124:125], v[116:117], v[54:55]
	v_add_f64 v[2:3], v[2:3], v[4:5]
	v_mul_f64 v[4:5], v[112:113], v[56:57]
	v_add_f64 v[126:127], v[122:123], v[124:125]
	ds_read_b128 v[122:125], v24 offset:912
	s_waitcnt vmcnt(16) lgkmcnt(1)
	v_mul_f64 v[128:129], v[118:119], v[64:65]
	v_fma_f64 v[4:5], v[110:111], v[58:59], -v[4:5]
	s_waitcnt vmcnt(14)
	v_fmac_f64_e32 v[128:129], v[120:121], v[134:135]
	v_add_f64 v[2:3], v[2:3], v[4:5]
	v_mul_f64 v[4:5], v[116:117], v[52:53]
	v_add_f64 v[148:149], v[126:127], v[128:129]
	ds_read_b128 v[126:129], v24 offset:928
	v_fma_f64 v[4:5], v[114:115], v[54:55], -v[4:5]
	v_add_f64 v[2:3], v[2:3], v[4:5]
	v_mul_f64 v[4:5], v[120:121], v[64:65]
	v_fma_f64 v[4:5], v[118:119], v[134:135], -v[4:5]
	v_add_f64 v[2:3], v[2:3], v[4:5]
	s_waitcnt vmcnt(12) lgkmcnt(1)
	v_mul_f64 v[4:5], v[124:125], v[60:61]
	v_mul_f64 v[150:151], v[122:123], v[60:61]
	v_fma_f64 v[4:5], v[122:123], v[62:63], -v[4:5]
	v_fmac_f64_e32 v[150:151], v[124:125], v[62:63]
	v_add_f64 v[2:3], v[2:3], v[4:5]
	s_waitcnt vmcnt(8) lgkmcnt(0)
	v_mul_f64 v[4:5], v[128:129], v[140:141]
	v_add_f64 v[148:149], v[148:149], v[150:151]
	v_mul_f64 v[150:151], v[126:127], v[140:141]
	s_waitcnt vmcnt(6)
	v_fma_f64 v[4:5], v[126:127], v[142:143], -v[4:5]
	v_fmac_f64_e32 v[150:151], v[128:129], v[142:143]
	v_add_f64 v[2:3], v[2:3], v[4:5]
	s_waitcnt vmcnt(5)
	v_mul_f64 v[4:5], v[132:133], v[136:137]
	v_add_f64 v[148:149], v[148:149], v[150:151]
	v_mul_f64 v[150:151], v[130:131], v[136:137]
	s_waitcnt vmcnt(4)
	v_fma_f64 v[4:5], v[130:131], v[138:139], -v[4:5]
	v_fmac_f64_e32 v[150:151], v[132:133], v[138:139]
	v_add_f64 v[2:3], v[2:3], v[4:5]
	v_add_f64 v[148:149], v[148:149], v[150:151]
	s_waitcnt vmcnt(2)
	v_add_f64 v[2:3], v[144:145], -v[2:3]
	s_waitcnt vmcnt(0)
	v_add_f64 v[4:5], v[146:147], -v[148:149]
	buffer_store_dword v3, off, s[0:3], 0 offset:260
	buffer_store_dword v2, off, s[0:3], 0 offset:256
	buffer_store_dword v5, off, s[0:3], 0 offset:268
	buffer_store_dword v4, off, s[0:3], 0 offset:264
	s_and_saveexec_b64 s[6:7], vcc
	s_cbranch_execz .LBB29_163
; %bb.162:
	v_accvgpr_read_b32 v5, a62
	buffer_load_dword v2, v5, s[0:3], 0 offen
	buffer_load_dword v3, v5, s[0:3], 0 offen offset:4
	buffer_load_dword v4, v5, s[0:3], 0 offen offset:8
	s_nop 0
	buffer_load_dword v5, v5, s[0:3], 0 offen offset:12
	s_nop 0
	buffer_store_dword v24, off, s[0:3], 0 offset:240
	buffer_store_dword v24, off, s[0:3], 0 offset:244
	;; [unrolled: 1-line block ×4, first 2 shown]
	s_waitcnt vmcnt(4)
	ds_write_b128 v231, v[2:5]
.LBB29_163:
	s_or_b64 exec, exec, s[6:7]
	s_waitcnt lgkmcnt(0)
	; wave barrier
	s_waitcnt lgkmcnt(0)
	buffer_load_dword v2, off, s[0:3], 0 offset:256
	buffer_load_dword v3, off, s[0:3], 0 offset:260
	;; [unrolled: 1-line block ×60, first 2 shown]
	ds_read_b128 v[26:29], v24 offset:736
	ds_read_b128 v[30:33], v24 offset:752
	;; [unrolled: 1-line block ×8, first 2 shown]
	v_cmp_lt_u32_e32 vcc, 14, v230
	ds_read_b128 v[138:141], v24 offset:944
	s_waitcnt vmcnt(56) lgkmcnt(8)
	v_mul_f64 v[118:119], v[26:27], v[6:7]
	v_fmac_f64_e32 v[118:119], v[28:29], v[2:3]
	v_add_f64 v[118:119], v[118:119], 0
	v_mul_f64 v[6:7], v[28:29], v[6:7]
	s_waitcnt vmcnt(52) lgkmcnt(7)
	v_mul_f64 v[120:121], v[30:31], v[8:9]
	v_fmac_f64_e32 v[120:121], v[32:33], v[4:5]
	s_waitcnt vmcnt(50) lgkmcnt(6)
	v_mul_f64 v[122:123], v[34:35], v[10:11]
	v_add_f64 v[118:119], v[118:119], v[120:121]
	s_waitcnt vmcnt(48) lgkmcnt(4)
	v_mul_f64 v[126:127], v[102:103], v[12:13]
	v_fma_f64 v[2:3], v[26:27], v[2:3], -v[6:7]
	s_waitcnt vmcnt(46)
	v_fmac_f64_e32 v[126:127], v[104:105], v[14:15]
	v_mul_f64 v[6:7], v[32:33], v[8:9]
	s_waitcnt vmcnt(44)
	v_mul_f64 v[124:125], v[98:99], v[16:17]
	v_add_f64 v[2:3], v[2:3], 0
	v_fma_f64 v[4:5], v[30:31], v[4:5], -v[6:7]
	v_add_f64 v[2:3], v[2:3], v[4:5]
	s_waitcnt vmcnt(40) lgkmcnt(3)
	v_mul_f64 v[128:129], v[106:107], v[22:23]
	v_mul_f64 v[4:5], v[36:37], v[10:11]
	s_waitcnt vmcnt(38)
	v_fmac_f64_e32 v[122:123], v[36:37], v[42:43]
	v_add_f64 v[118:119], v[118:119], v[122:123]
	s_waitcnt vmcnt(36)
	v_fmac_f64_e32 v[124:125], v[100:101], v[44:45]
	v_add_f64 v[118:119], v[118:119], v[124:125]
	;; [unrolled: 3-line block ×3, first 2 shown]
	s_waitcnt vmcnt(32) lgkmcnt(2)
	v_mul_f64 v[120:121], v[110:111], v[18:19]
	v_add_f64 v[118:119], v[118:119], v[128:129]
	v_fmac_f64_e32 v[120:121], v[112:113], v[20:21]
	v_add_f64 v[122:123], v[118:119], v[120:121]
	ds_read_b128 v[118:121], v24 offset:864
	v_fma_f64 v[4:5], v[34:35], v[42:43], -v[4:5]
	v_add_f64 v[2:3], v[2:3], v[4:5]
	v_mul_f64 v[4:5], v[100:101], v[16:17]
	v_fma_f64 v[4:5], v[98:99], v[44:45], -v[4:5]
	s_waitcnt vmcnt(28) lgkmcnt(2)
	v_mul_f64 v[124:125], v[114:115], v[52:53]
	v_add_f64 v[2:3], v[2:3], v[4:5]
	v_mul_f64 v[4:5], v[104:105], v[12:13]
	s_waitcnt vmcnt(26)
	v_fmac_f64_e32 v[124:125], v[116:117], v[54:55]
	v_fma_f64 v[4:5], v[102:103], v[14:15], -v[4:5]
	v_add_f64 v[126:127], v[122:123], v[124:125]
	ds_read_b128 v[122:125], v24 offset:880
	s_waitcnt vmcnt(24) lgkmcnt(1)
	v_mul_f64 v[128:129], v[118:119], v[48:49]
	v_add_f64 v[2:3], v[2:3], v[4:5]
	v_mul_f64 v[4:5], v[108:109], v[22:23]
	v_fmac_f64_e32 v[128:129], v[120:121], v[50:51]
	v_fma_f64 v[4:5], v[106:107], v[46:47], -v[4:5]
	v_add_f64 v[130:131], v[126:127], v[128:129]
	ds_read_b128 v[126:129], v24 offset:896
	v_add_f64 v[2:3], v[2:3], v[4:5]
	v_mul_f64 v[4:5], v[112:113], v[18:19]
	v_fma_f64 v[4:5], v[110:111], v[20:21], -v[4:5]
	v_add_f64 v[2:3], v[2:3], v[4:5]
	v_mul_f64 v[4:5], v[116:117], v[52:53]
	s_waitcnt vmcnt(20) lgkmcnt(1)
	v_mul_f64 v[132:133], v[122:123], v[60:61]
	v_fma_f64 v[4:5], v[114:115], v[54:55], -v[4:5]
	s_waitcnt vmcnt(18)
	v_fmac_f64_e32 v[132:133], v[124:125], v[62:63]
	v_add_f64 v[2:3], v[2:3], v[4:5]
	v_mul_f64 v[4:5], v[120:121], v[48:49]
	v_add_f64 v[134:135], v[130:131], v[132:133]
	ds_read_b128 v[130:133], v24 offset:912
	s_waitcnt vmcnt(16) lgkmcnt(1)
	v_mul_f64 v[136:137], v[126:127], v[56:57]
	v_fma_f64 v[4:5], v[118:119], v[50:51], -v[4:5]
	v_fmac_f64_e32 v[136:137], v[128:129], v[58:59]
	v_add_f64 v[2:3], v[2:3], v[4:5]
	v_mul_f64 v[4:5], v[124:125], v[60:61]
	v_add_f64 v[156:157], v[134:135], v[136:137]
	ds_read_b128 v[134:137], v24 offset:928
	v_fma_f64 v[4:5], v[122:123], v[62:63], -v[4:5]
	v_add_f64 v[2:3], v[2:3], v[4:5]
	v_mul_f64 v[4:5], v[128:129], v[56:57]
	v_fma_f64 v[4:5], v[126:127], v[58:59], -v[4:5]
	v_add_f64 v[2:3], v[2:3], v[4:5]
	s_waitcnt vmcnt(12) lgkmcnt(1)
	v_mul_f64 v[4:5], v[132:133], v[144:145]
	v_mul_f64 v[158:159], v[130:131], v[144:145]
	s_waitcnt vmcnt(10)
	v_fma_f64 v[4:5], v[130:131], v[146:147], -v[4:5]
	v_fmac_f64_e32 v[158:159], v[132:133], v[146:147]
	v_add_f64 v[2:3], v[2:3], v[4:5]
	s_waitcnt vmcnt(8) lgkmcnt(0)
	v_mul_f64 v[4:5], v[136:137], v[64:65]
	v_add_f64 v[24:25], v[156:157], v[158:159]
	v_mul_f64 v[156:157], v[134:135], v[64:65]
	v_fma_f64 v[4:5], v[134:135], v[142:143], -v[4:5]
	v_fmac_f64_e32 v[156:157], v[136:137], v[142:143]
	v_add_f64 v[2:3], v[2:3], v[4:5]
	s_waitcnt vmcnt(6)
	v_mul_f64 v[4:5], v[140:141], v[148:149]
	v_add_f64 v[24:25], v[24:25], v[156:157]
	v_mul_f64 v[156:157], v[138:139], v[148:149]
	s_waitcnt vmcnt(4)
	v_fma_f64 v[4:5], v[138:139], v[150:151], -v[4:5]
	v_fmac_f64_e32 v[156:157], v[140:141], v[150:151]
	v_add_f64 v[2:3], v[2:3], v[4:5]
	v_add_f64 v[24:25], v[24:25], v[156:157]
	s_waitcnt vmcnt(2)
	v_add_f64 v[2:3], v[152:153], -v[2:3]
	s_waitcnt vmcnt(0)
	v_add_f64 v[4:5], v[154:155], -v[24:25]
	buffer_store_dword v3, off, s[0:3], 0 offset:244
	buffer_store_dword v2, off, s[0:3], 0 offset:240
	;; [unrolled: 1-line block ×4, first 2 shown]
	s_and_saveexec_b64 s[6:7], vcc
	s_cbranch_execz .LBB29_165
; %bb.164:
	v_accvgpr_read_b32 v5, a63
	buffer_load_dword v2, v5, s[0:3], 0 offen
	buffer_load_dword v3, v5, s[0:3], 0 offen offset:4
	buffer_load_dword v4, v5, s[0:3], 0 offen offset:8
	s_nop 0
	buffer_load_dword v5, v5, s[0:3], 0 offen offset:12
	v_mov_b32_e32 v6, 0
	buffer_store_dword v6, off, s[0:3], 0 offset:224
	buffer_store_dword v6, off, s[0:3], 0 offset:228
	buffer_store_dword v6, off, s[0:3], 0 offset:232
	buffer_store_dword v6, off, s[0:3], 0 offset:236
	s_waitcnt vmcnt(4)
	ds_write_b128 v231, v[2:5]
.LBB29_165:
	s_or_b64 exec, exec, s[6:7]
	s_waitcnt lgkmcnt(0)
	; wave barrier
	s_waitcnt lgkmcnt(0)
	buffer_load_dword v2, off, s[0:3], 0 offset:240
	buffer_load_dword v3, off, s[0:3], 0 offset:244
	;; [unrolled: 1-line block ×64, first 2 shown]
	v_mov_b32_e32 v98, 0
	ds_read_b128 v[30:33], v98 offset:720
	ds_read_b128 v[34:37], v98 offset:736
	;; [unrolled: 1-line block ×7, first 2 shown]
	v_cmp_lt_u32_e32 vcc, 13, v230
	s_waitcnt vmcnt(60) lgkmcnt(6)
	v_mul_f64 v[116:117], v[30:31], v[6:7]
	v_fmac_f64_e32 v[116:117], v[32:33], v[2:3]
	v_add_f64 v[116:117], v[116:117], 0
	v_mul_f64 v[6:7], v[32:33], v[6:7]
	s_waitcnt vmcnt(56) lgkmcnt(5)
	v_mul_f64 v[118:119], v[34:35], v[8:9]
	v_fmac_f64_e32 v[118:119], v[36:37], v[4:5]
	s_waitcnt vmcnt(54) lgkmcnt(4)
	v_mul_f64 v[120:121], v[100:101], v[10:11]
	v_add_f64 v[116:117], v[116:117], v[118:119]
	v_fma_f64 v[2:3], v[30:31], v[2:3], -v[6:7]
	v_mul_f64 v[6:7], v[36:37], v[8:9]
	s_waitcnt vmcnt(50) lgkmcnt(3)
	v_mul_f64 v[122:123], v[104:105], v[16:17]
	s_waitcnt vmcnt(49) lgkmcnt(2)
	v_mul_f64 v[124:125], v[108:109], v[12:13]
	v_add_f64 v[2:3], v[2:3], 0
	s_waitcnt vmcnt(47)
	v_fmac_f64_e32 v[120:121], v[102:103], v[20:21]
	v_add_f64 v[116:117], v[116:117], v[120:121]
	s_waitcnt vmcnt(45)
	v_fmac_f64_e32 v[122:123], v[106:107], v[18:19]
	;; [unrolled: 3-line block ×3, first 2 shown]
	v_add_f64 v[120:121], v[116:117], v[124:125]
	ds_read_b128 v[116:119], v98 offset:816
	s_waitcnt vmcnt(40) lgkmcnt(2)
	v_mul_f64 v[122:123], v[112:113], v[26:27]
	v_fma_f64 v[4:5], v[34:35], v[4:5], -v[6:7]
	s_waitcnt vmcnt(38)
	v_fmac_f64_e32 v[122:123], v[114:115], v[28:29]
	v_add_f64 v[124:125], v[120:121], v[122:123]
	ds_read_b128 v[120:123], v98 offset:832
	s_waitcnt vmcnt(36) lgkmcnt(1)
	v_mul_f64 v[126:127], v[116:117], v[22:23]
	v_fmac_f64_e32 v[126:127], v[118:119], v[24:25]
	v_add_f64 v[2:3], v[2:3], v[4:5]
	v_mul_f64 v[4:5], v[102:103], v[10:11]
	v_add_f64 v[128:129], v[124:125], v[126:127]
	ds_read_b128 v[124:127], v98 offset:848
	s_waitcnt vmcnt(32) lgkmcnt(1)
	v_mul_f64 v[130:131], v[120:121], v[46:47]
	v_fma_f64 v[4:5], v[100:101], v[20:21], -v[4:5]
	s_waitcnt vmcnt(30)
	v_fmac_f64_e32 v[130:131], v[122:123], v[48:49]
	v_add_f64 v[2:3], v[2:3], v[4:5]
	v_mul_f64 v[4:5], v[106:107], v[16:17]
	v_add_f64 v[132:133], v[128:129], v[130:131]
	ds_read_b128 v[128:131], v98 offset:864
	v_fma_f64 v[4:5], v[104:105], v[18:19], -v[4:5]
	v_add_f64 v[2:3], v[2:3], v[4:5]
	v_mul_f64 v[4:5], v[110:111], v[12:13]
	v_fma_f64 v[4:5], v[108:109], v[14:15], -v[4:5]
	s_waitcnt vmcnt(28) lgkmcnt(1)
	v_mul_f64 v[134:135], v[124:125], v[42:43]
	v_add_f64 v[2:3], v[2:3], v[4:5]
	v_mul_f64 v[4:5], v[114:115], v[26:27]
	v_fmac_f64_e32 v[134:135], v[126:127], v[44:45]
	v_fma_f64 v[4:5], v[112:113], v[28:29], -v[4:5]
	v_add_f64 v[136:137], v[132:133], v[134:135]
	ds_read_b128 v[132:135], v98 offset:880
	s_waitcnt vmcnt(24) lgkmcnt(1)
	v_mul_f64 v[138:139], v[128:129], v[54:55]
	v_add_f64 v[2:3], v[2:3], v[4:5]
	v_mul_f64 v[4:5], v[118:119], v[22:23]
	s_waitcnt vmcnt(22)
	v_fmac_f64_e32 v[138:139], v[130:131], v[56:57]
	v_fma_f64 v[4:5], v[116:117], v[24:25], -v[4:5]
	v_add_f64 v[140:141], v[136:137], v[138:139]
	ds_read_b128 v[136:139], v98 offset:896
	v_add_f64 v[2:3], v[2:3], v[4:5]
	v_mul_f64 v[4:5], v[122:123], v[46:47]
	v_fma_f64 v[4:5], v[120:121], v[48:49], -v[4:5]
	v_add_f64 v[2:3], v[2:3], v[4:5]
	v_mul_f64 v[4:5], v[126:127], v[42:43]
	s_waitcnt vmcnt(20) lgkmcnt(1)
	v_mul_f64 v[142:143], v[132:133], v[50:51]
	v_fma_f64 v[4:5], v[124:125], v[44:45], -v[4:5]
	v_fmac_f64_e32 v[142:143], v[134:135], v[52:53]
	v_add_f64 v[2:3], v[2:3], v[4:5]
	v_mul_f64 v[4:5], v[130:131], v[54:55]
	v_add_f64 v[144:145], v[140:141], v[142:143]
	ds_read_b128 v[140:143], v98 offset:912
	s_waitcnt vmcnt(16) lgkmcnt(1)
	v_mul_f64 v[146:147], v[136:137], v[62:63]
	v_fma_f64 v[4:5], v[128:129], v[56:57], -v[4:5]
	s_waitcnt vmcnt(14)
	v_fmac_f64_e32 v[146:147], v[138:139], v[64:65]
	v_add_f64 v[2:3], v[2:3], v[4:5]
	v_mul_f64 v[4:5], v[134:135], v[50:51]
	v_add_f64 v[164:165], v[144:145], v[146:147]
	ds_read_b128 v[144:147], v98 offset:928
	v_fma_f64 v[4:5], v[132:133], v[52:53], -v[4:5]
	v_add_f64 v[2:3], v[2:3], v[4:5]
	v_mul_f64 v[4:5], v[138:139], v[62:63]
	v_fma_f64 v[4:5], v[136:137], v[64:65], -v[4:5]
	v_add_f64 v[2:3], v[2:3], v[4:5]
	s_waitcnt vmcnt(12) lgkmcnt(1)
	v_mul_f64 v[4:5], v[142:143], v[58:59]
	v_mul_f64 v[166:167], v[140:141], v[58:59]
	v_fma_f64 v[4:5], v[140:141], v[60:61], -v[4:5]
	v_fmac_f64_e32 v[166:167], v[142:143], v[60:61]
	v_add_f64 v[2:3], v[2:3], v[4:5]
	s_waitcnt vmcnt(8) lgkmcnt(0)
	v_mul_f64 v[4:5], v[146:147], v[156:157]
	v_add_f64 v[164:165], v[164:165], v[166:167]
	v_mul_f64 v[166:167], v[144:145], v[156:157]
	s_waitcnt vmcnt(6)
	v_fma_f64 v[4:5], v[144:145], v[158:159], -v[4:5]
	v_fmac_f64_e32 v[166:167], v[146:147], v[158:159]
	v_add_f64 v[2:3], v[2:3], v[4:5]
	s_waitcnt vmcnt(5)
	v_mul_f64 v[4:5], v[150:151], v[152:153]
	v_add_f64 v[164:165], v[164:165], v[166:167]
	v_mul_f64 v[166:167], v[148:149], v[152:153]
	s_waitcnt vmcnt(4)
	v_fma_f64 v[4:5], v[148:149], v[154:155], -v[4:5]
	v_fmac_f64_e32 v[166:167], v[150:151], v[154:155]
	v_add_f64 v[2:3], v[2:3], v[4:5]
	v_add_f64 v[164:165], v[164:165], v[166:167]
	s_waitcnt vmcnt(2)
	v_add_f64 v[2:3], v[160:161], -v[2:3]
	s_waitcnt vmcnt(0)
	v_add_f64 v[4:5], v[162:163], -v[164:165]
	buffer_store_dword v3, off, s[0:3], 0 offset:228
	buffer_store_dword v2, off, s[0:3], 0 offset:224
	;; [unrolled: 1-line block ×4, first 2 shown]
	s_and_saveexec_b64 s[6:7], vcc
	s_cbranch_execz .LBB29_167
; %bb.166:
	v_accvgpr_read_b32 v5, a64
	buffer_load_dword v2, v5, s[0:3], 0 offen
	buffer_load_dword v3, v5, s[0:3], 0 offen offset:4
	buffer_load_dword v4, v5, s[0:3], 0 offen offset:8
	s_nop 0
	buffer_load_dword v5, v5, s[0:3], 0 offen offset:12
	s_nop 0
	buffer_store_dword v98, off, s[0:3], 0 offset:208
	buffer_store_dword v98, off, s[0:3], 0 offset:212
	;; [unrolled: 1-line block ×4, first 2 shown]
	s_waitcnt vmcnt(4)
	ds_write_b128 v231, v[2:5]
.LBB29_167:
	s_or_b64 exec, exec, s[6:7]
	s_waitcnt lgkmcnt(0)
	; wave barrier
	s_waitcnt lgkmcnt(0)
	buffer_load_dword v2, off, s[0:3], 0 offset:224
	buffer_load_dword v3, off, s[0:3], 0 offset:228
	;; [unrolled: 1-line block ×64, first 2 shown]
	ds_read_b128 v[100:103], v98 offset:704
	ds_read_b128 v[104:107], v98 offset:720
	;; [unrolled: 1-line block ×4, first 2 shown]
	buffer_load_dword v168, off, s[0:3], 0 offset:208
	buffer_load_dword v169, off, s[0:3], 0 offset:212
	;; [unrolled: 1-line block ×4, first 2 shown]
	v_cmp_lt_u32_e32 vcc, 12, v230
	ds_read_b128 v[160:163], v98 offset:944
	s_waitcnt vmcnt(62) lgkmcnt(4)
	v_mul_f64 v[116:117], v[100:101], v[4:5]
	v_fmac_f64_e32 v[116:117], v[102:103], v[2:3]
	s_waitcnt lgkmcnt(3)
	v_mul_f64 v[118:119], v[104:105], v[6:7]
	v_add_f64 v[116:117], v[116:117], 0
	s_waitcnt vmcnt(60) lgkmcnt(2)
	v_mul_f64 v[120:121], v[108:109], v[8:9]
	v_mul_f64 v[4:5], v[102:103], v[4:5]
	v_fma_f64 v[2:3], v[100:101], v[2:3], -v[4:5]
	v_mul_f64 v[4:5], v[106:107], v[6:7]
	s_waitcnt vmcnt(56) lgkmcnt(1)
	v_mul_f64 v[122:123], v[112:113], v[14:15]
	v_add_f64 v[2:3], v[2:3], 0
	s_waitcnt vmcnt(54)
	v_fmac_f64_e32 v[118:119], v[106:107], v[20:21]
	v_add_f64 v[124:125], v[116:117], v[118:119]
	ds_read_b128 v[116:119], v98 offset:768
	s_waitcnt vmcnt(52)
	v_fmac_f64_e32 v[120:121], v[110:111], v[18:19]
	v_add_f64 v[120:121], v[124:125], v[120:121]
	s_waitcnt vmcnt(50)
	v_fmac_f64_e32 v[122:123], v[114:115], v[16:17]
	v_add_f64 v[124:125], v[120:121], v[122:123]
	ds_read_b128 v[120:123], v98 offset:784
	s_waitcnt vmcnt(48) lgkmcnt(1)
	v_mul_f64 v[126:127], v[116:117], v[10:11]
	v_fmac_f64_e32 v[126:127], v[118:119], v[12:13]
	v_add_f64 v[128:129], v[124:125], v[126:127]
	ds_read_b128 v[124:127], v98 offset:800
	s_waitcnt vmcnt(44) lgkmcnt(1)
	v_mul_f64 v[130:131], v[120:121], v[26:27]
	s_waitcnt vmcnt(42)
	v_fmac_f64_e32 v[130:131], v[122:123], v[28:29]
	v_add_f64 v[132:133], v[128:129], v[130:131]
	ds_read_b128 v[128:131], v98 offset:816
	s_waitcnt vmcnt(40) lgkmcnt(1)
	v_mul_f64 v[134:135], v[124:125], v[22:23]
	v_fmac_f64_e32 v[134:135], v[126:127], v[24:25]
	v_add_f64 v[136:137], v[132:133], v[134:135]
	ds_read_b128 v[132:135], v98 offset:832
	v_fma_f64 v[4:5], v[104:105], v[20:21], -v[4:5]
	v_add_f64 v[2:3], v[2:3], v[4:5]
	v_mul_f64 v[4:5], v[110:111], v[8:9]
	s_waitcnt vmcnt(36) lgkmcnt(1)
	v_mul_f64 v[138:139], v[128:129], v[34:35]
	v_fma_f64 v[4:5], v[108:109], v[18:19], -v[4:5]
	s_waitcnt vmcnt(34)
	v_fmac_f64_e32 v[138:139], v[130:131], v[36:37]
	v_add_f64 v[2:3], v[2:3], v[4:5]
	v_mul_f64 v[4:5], v[114:115], v[14:15]
	v_add_f64 v[140:141], v[136:137], v[138:139]
	ds_read_b128 v[136:139], v98 offset:848
	s_waitcnt vmcnt(32) lgkmcnt(1)
	v_mul_f64 v[142:143], v[132:133], v[30:31]
	v_fma_f64 v[4:5], v[112:113], v[16:17], -v[4:5]
	v_fmac_f64_e32 v[142:143], v[134:135], v[32:33]
	v_add_f64 v[2:3], v[2:3], v[4:5]
	v_mul_f64 v[4:5], v[118:119], v[10:11]
	v_add_f64 v[144:145], v[140:141], v[142:143]
	ds_read_b128 v[140:143], v98 offset:864
	v_fma_f64 v[4:5], v[116:117], v[12:13], -v[4:5]
	v_add_f64 v[2:3], v[2:3], v[4:5]
	v_mul_f64 v[4:5], v[122:123], v[26:27]
	v_fma_f64 v[4:5], v[120:121], v[28:29], -v[4:5]
	s_waitcnt vmcnt(28) lgkmcnt(1)
	v_mul_f64 v[146:147], v[136:137], v[46:47]
	v_add_f64 v[2:3], v[2:3], v[4:5]
	v_mul_f64 v[4:5], v[126:127], v[22:23]
	s_waitcnt vmcnt(26)
	v_fmac_f64_e32 v[146:147], v[138:139], v[48:49]
	v_fma_f64 v[4:5], v[124:125], v[24:25], -v[4:5]
	v_add_f64 v[148:149], v[144:145], v[146:147]
	ds_read_b128 v[144:147], v98 offset:880
	s_waitcnt vmcnt(24) lgkmcnt(1)
	v_mul_f64 v[150:151], v[140:141], v[42:43]
	v_add_f64 v[2:3], v[2:3], v[4:5]
	v_mul_f64 v[4:5], v[130:131], v[34:35]
	v_fmac_f64_e32 v[150:151], v[142:143], v[44:45]
	v_fma_f64 v[4:5], v[128:129], v[36:37], -v[4:5]
	v_add_f64 v[152:153], v[148:149], v[150:151]
	ds_read_b128 v[148:151], v98 offset:896
	v_add_f64 v[2:3], v[2:3], v[4:5]
	v_mul_f64 v[4:5], v[134:135], v[30:31]
	v_fma_f64 v[4:5], v[132:133], v[32:33], -v[4:5]
	v_add_f64 v[2:3], v[2:3], v[4:5]
	v_mul_f64 v[4:5], v[138:139], v[46:47]
	s_waitcnt vmcnt(20) lgkmcnt(1)
	v_mul_f64 v[154:155], v[144:145], v[54:55]
	v_fma_f64 v[4:5], v[136:137], v[48:49], -v[4:5]
	s_waitcnt vmcnt(18)
	v_fmac_f64_e32 v[154:155], v[146:147], v[56:57]
	v_add_f64 v[2:3], v[2:3], v[4:5]
	v_mul_f64 v[4:5], v[142:143], v[42:43]
	v_add_f64 v[156:157], v[152:153], v[154:155]
	ds_read_b128 v[152:155], v98 offset:912
	s_waitcnt vmcnt(16) lgkmcnt(1)
	v_mul_f64 v[158:159], v[148:149], v[50:51]
	v_fma_f64 v[4:5], v[140:141], v[44:45], -v[4:5]
	v_fmac_f64_e32 v[158:159], v[150:151], v[52:53]
	v_add_f64 v[2:3], v[2:3], v[4:5]
	v_mul_f64 v[4:5], v[146:147], v[54:55]
	v_add_f64 v[172:173], v[156:157], v[158:159]
	ds_read_b128 v[156:159], v98 offset:928
	v_fma_f64 v[4:5], v[144:145], v[56:57], -v[4:5]
	v_add_f64 v[2:3], v[2:3], v[4:5]
	v_mul_f64 v[4:5], v[150:151], v[50:51]
	v_fma_f64 v[4:5], v[148:149], v[52:53], -v[4:5]
	v_add_f64 v[2:3], v[2:3], v[4:5]
	s_waitcnt vmcnt(12) lgkmcnt(1)
	v_mul_f64 v[4:5], v[154:155], v[62:63]
	v_mul_f64 v[174:175], v[152:153], v[62:63]
	s_waitcnt vmcnt(10)
	v_fma_f64 v[4:5], v[152:153], v[64:65], -v[4:5]
	v_fmac_f64_e32 v[174:175], v[154:155], v[64:65]
	v_add_f64 v[2:3], v[2:3], v[4:5]
	s_waitcnt vmcnt(8) lgkmcnt(0)
	v_mul_f64 v[4:5], v[158:159], v[58:59]
	v_add_f64 v[98:99], v[172:173], v[174:175]
	v_mul_f64 v[172:173], v[156:157], v[58:59]
	v_fma_f64 v[4:5], v[156:157], v[60:61], -v[4:5]
	v_fmac_f64_e32 v[172:173], v[158:159], v[60:61]
	v_add_f64 v[2:3], v[2:3], v[4:5]
	s_waitcnt vmcnt(6)
	v_mul_f64 v[4:5], v[162:163], v[164:165]
	v_add_f64 v[98:99], v[98:99], v[172:173]
	v_mul_f64 v[172:173], v[160:161], v[164:165]
	s_waitcnt vmcnt(4)
	v_fma_f64 v[4:5], v[160:161], v[166:167], -v[4:5]
	v_fmac_f64_e32 v[172:173], v[162:163], v[166:167]
	v_add_f64 v[2:3], v[2:3], v[4:5]
	v_add_f64 v[98:99], v[98:99], v[172:173]
	s_waitcnt vmcnt(2)
	v_add_f64 v[2:3], v[168:169], -v[2:3]
	s_waitcnt vmcnt(0)
	v_add_f64 v[4:5], v[170:171], -v[98:99]
	buffer_store_dword v3, off, s[0:3], 0 offset:212
	buffer_store_dword v2, off, s[0:3], 0 offset:208
	;; [unrolled: 1-line block ×4, first 2 shown]
	s_and_saveexec_b64 s[6:7], vcc
	s_cbranch_execz .LBB29_169
; %bb.168:
	v_accvgpr_read_b32 v5, a65
	buffer_load_dword v2, v5, s[0:3], 0 offen
	buffer_load_dword v3, v5, s[0:3], 0 offen offset:4
	buffer_load_dword v4, v5, s[0:3], 0 offen offset:8
	s_nop 0
	buffer_load_dword v5, v5, s[0:3], 0 offen offset:12
	v_mov_b32_e32 v6, 0
	buffer_store_dword v6, off, s[0:3], 0 offset:192
	buffer_store_dword v6, off, s[0:3], 0 offset:196
	;; [unrolled: 1-line block ×4, first 2 shown]
	s_waitcnt vmcnt(4)
	ds_write_b128 v231, v[2:5]
.LBB29_169:
	s_or_b64 exec, exec, s[6:7]
	s_waitcnt lgkmcnt(0)
	; wave barrier
	s_waitcnt lgkmcnt(0)
	buffer_load_dword v2, off, s[0:3], 0 offset:208
	buffer_load_dword v3, off, s[0:3], 0 offset:212
	;; [unrolled: 1-line block ×68, first 2 shown]
	v_mov_b32_e32 v106, 0
	ds_read_b128 v[102:105], v106 offset:688
	ds_read_b128 v[108:111], v106 offset:704
	buffer_load_dword v176, off, s[0:3], 0 offset:192
	buffer_load_dword v177, off, s[0:3], 0 offset:196
	;; [unrolled: 1-line block ×4, first 2 shown]
	ds_read_b128 v[112:115], v106 offset:720
	ds_read_b128 v[116:119], v106 offset:736
	;; [unrolled: 1-line block ×3, first 2 shown]
	v_cmp_lt_u32_e32 vcc, 11, v230
	s_waitcnt vmcnt(62) lgkmcnt(4)
	v_mul_f64 v[120:121], v[102:103], v[8:9]
	v_fmac_f64_e32 v[120:121], v[104:105], v[2:3]
	v_add_f64 v[120:121], v[120:121], 0
	v_mul_f64 v[8:9], v[104:105], v[8:9]
	s_waitcnt lgkmcnt(3)
	v_mul_f64 v[122:123], v[108:109], v[10:11]
	v_fmac_f64_e32 v[122:123], v[110:111], v[4:5]
	v_add_f64 v[120:121], v[120:121], v[122:123]
	v_fma_f64 v[2:3], v[102:103], v[2:3], -v[8:9]
	s_waitcnt vmcnt(60) lgkmcnt(2)
	v_mul_f64 v[122:123], v[112:113], v[12:13]
	v_fmac_f64_e32 v[122:123], v[114:115], v[6:7]
	v_add_f64 v[124:125], v[120:121], v[122:123]
	ds_read_b128 v[120:123], v106 offset:752
	s_waitcnt vmcnt(56) lgkmcnt(2)
	v_mul_f64 v[126:127], v[116:117], v[18:19]
	v_mul_f64 v[8:9], v[110:111], v[10:11]
	s_waitcnt vmcnt(54)
	v_fmac_f64_e32 v[126:127], v[118:119], v[20:21]
	v_add_f64 v[128:129], v[124:125], v[126:127]
	ds_read_b128 v[124:127], v106 offset:768
	s_waitcnt vmcnt(52) lgkmcnt(1)
	v_mul_f64 v[130:131], v[120:121], v[14:15]
	v_fmac_f64_e32 v[130:131], v[122:123], v[16:17]
	v_add_f64 v[132:133], v[128:129], v[130:131]
	ds_read_b128 v[128:131], v106 offset:784
	s_waitcnt vmcnt(48) lgkmcnt(1)
	v_mul_f64 v[134:135], v[124:125], v[26:27]
	s_waitcnt vmcnt(46)
	v_fmac_f64_e32 v[134:135], v[126:127], v[28:29]
	v_add_f64 v[136:137], v[132:133], v[134:135]
	ds_read_b128 v[132:135], v106 offset:800
	s_waitcnt vmcnt(44) lgkmcnt(1)
	v_mul_f64 v[138:139], v[128:129], v[22:23]
	v_fmac_f64_e32 v[138:139], v[130:131], v[24:25]
	v_add_f64 v[140:141], v[136:137], v[138:139]
	ds_read_b128 v[136:139], v106 offset:816
	s_waitcnt vmcnt(40) lgkmcnt(1)
	v_mul_f64 v[142:143], v[132:133], v[34:35]
	s_waitcnt vmcnt(38)
	v_fmac_f64_e32 v[142:143], v[134:135], v[36:37]
	v_add_f64 v[2:3], v[2:3], 0
	v_fma_f64 v[4:5], v[108:109], v[4:5], -v[8:9]
	v_add_f64 v[144:145], v[140:141], v[142:143]
	ds_read_b128 v[140:143], v106 offset:832
	v_add_f64 v[2:3], v[2:3], v[4:5]
	v_mul_f64 v[4:5], v[114:115], v[12:13]
	v_fma_f64 v[4:5], v[112:113], v[6:7], -v[4:5]
	v_add_f64 v[2:3], v[2:3], v[4:5]
	v_mul_f64 v[4:5], v[118:119], v[18:19]
	s_waitcnt vmcnt(36) lgkmcnt(1)
	v_mul_f64 v[146:147], v[136:137], v[30:31]
	v_fma_f64 v[4:5], v[116:117], v[20:21], -v[4:5]
	v_fmac_f64_e32 v[146:147], v[138:139], v[32:33]
	v_add_f64 v[2:3], v[2:3], v[4:5]
	v_mul_f64 v[4:5], v[122:123], v[14:15]
	v_add_f64 v[148:149], v[144:145], v[146:147]
	ds_read_b128 v[144:147], v106 offset:848
	s_waitcnt vmcnt(32) lgkmcnt(1)
	v_mul_f64 v[150:151], v[140:141], v[42:43]
	v_fma_f64 v[4:5], v[120:121], v[16:17], -v[4:5]
	s_waitcnt vmcnt(30)
	v_fmac_f64_e32 v[150:151], v[142:143], v[44:45]
	v_add_f64 v[2:3], v[2:3], v[4:5]
	v_mul_f64 v[4:5], v[126:127], v[26:27]
	v_add_f64 v[152:153], v[148:149], v[150:151]
	ds_read_b128 v[148:151], v106 offset:864
	v_fma_f64 v[4:5], v[124:125], v[28:29], -v[4:5]
	v_add_f64 v[2:3], v[2:3], v[4:5]
	v_mul_f64 v[4:5], v[130:131], v[22:23]
	v_fma_f64 v[4:5], v[128:129], v[24:25], -v[4:5]
	s_waitcnt vmcnt(28) lgkmcnt(1)
	v_mul_f64 v[154:155], v[144:145], v[98:99]
	v_add_f64 v[2:3], v[2:3], v[4:5]
	v_mul_f64 v[4:5], v[134:135], v[34:35]
	v_fmac_f64_e32 v[154:155], v[146:147], v[100:101]
	v_fma_f64 v[4:5], v[132:133], v[36:37], -v[4:5]
	v_add_f64 v[156:157], v[152:153], v[154:155]
	ds_read_b128 v[152:155], v106 offset:880
	s_waitcnt vmcnt(24) lgkmcnt(1)
	v_mul_f64 v[158:159], v[148:149], v[50:51]
	v_add_f64 v[2:3], v[2:3], v[4:5]
	v_mul_f64 v[4:5], v[138:139], v[30:31]
	s_waitcnt vmcnt(22)
	v_fmac_f64_e32 v[158:159], v[150:151], v[52:53]
	v_fma_f64 v[4:5], v[136:137], v[32:33], -v[4:5]
	v_add_f64 v[160:161], v[156:157], v[158:159]
	ds_read_b128 v[156:159], v106 offset:896
	v_add_f64 v[2:3], v[2:3], v[4:5]
	v_mul_f64 v[4:5], v[142:143], v[42:43]
	v_fma_f64 v[4:5], v[140:141], v[44:45], -v[4:5]
	v_add_f64 v[2:3], v[2:3], v[4:5]
	v_mul_f64 v[4:5], v[146:147], v[98:99]
	s_waitcnt vmcnt(20) lgkmcnt(1)
	v_mul_f64 v[162:163], v[152:153], v[46:47]
	v_fma_f64 v[4:5], v[144:145], v[100:101], -v[4:5]
	v_fmac_f64_e32 v[162:163], v[154:155], v[48:49]
	v_add_f64 v[2:3], v[2:3], v[4:5]
	v_mul_f64 v[4:5], v[150:151], v[50:51]
	v_add_f64 v[164:165], v[160:161], v[162:163]
	ds_read_b128 v[160:163], v106 offset:912
	s_waitcnt vmcnt(16) lgkmcnt(1)
	v_mul_f64 v[166:167], v[156:157], v[58:59]
	v_fma_f64 v[4:5], v[148:149], v[52:53], -v[4:5]
	s_waitcnt vmcnt(14)
	v_fmac_f64_e32 v[166:167], v[158:159], v[60:61]
	v_add_f64 v[2:3], v[2:3], v[4:5]
	v_mul_f64 v[4:5], v[154:155], v[46:47]
	v_add_f64 v[180:181], v[164:165], v[166:167]
	ds_read_b128 v[164:167], v106 offset:928
	v_fma_f64 v[4:5], v[152:153], v[48:49], -v[4:5]
	v_add_f64 v[2:3], v[2:3], v[4:5]
	v_mul_f64 v[4:5], v[158:159], v[58:59]
	v_fma_f64 v[4:5], v[156:157], v[60:61], -v[4:5]
	v_add_f64 v[2:3], v[2:3], v[4:5]
	s_waitcnt vmcnt(12) lgkmcnt(1)
	v_mul_f64 v[4:5], v[162:163], v[54:55]
	v_mul_f64 v[182:183], v[160:161], v[54:55]
	v_fma_f64 v[4:5], v[160:161], v[56:57], -v[4:5]
	v_fmac_f64_e32 v[182:183], v[162:163], v[56:57]
	v_add_f64 v[2:3], v[2:3], v[4:5]
	s_waitcnt vmcnt(8) lgkmcnt(0)
	v_mul_f64 v[4:5], v[166:167], v[172:173]
	v_add_f64 v[180:181], v[180:181], v[182:183]
	v_mul_f64 v[182:183], v[164:165], v[172:173]
	s_waitcnt vmcnt(6)
	v_fma_f64 v[4:5], v[164:165], v[174:175], -v[4:5]
	v_fmac_f64_e32 v[182:183], v[166:167], v[174:175]
	v_add_f64 v[2:3], v[2:3], v[4:5]
	s_waitcnt vmcnt(5)
	v_mul_f64 v[4:5], v[170:171], v[62:63]
	v_add_f64 v[180:181], v[180:181], v[182:183]
	v_mul_f64 v[182:183], v[168:169], v[62:63]
	s_waitcnt vmcnt(4)
	v_fma_f64 v[4:5], v[168:169], v[64:65], -v[4:5]
	v_fmac_f64_e32 v[182:183], v[170:171], v[64:65]
	v_add_f64 v[2:3], v[2:3], v[4:5]
	v_add_f64 v[180:181], v[180:181], v[182:183]
	s_waitcnt vmcnt(2)
	v_add_f64 v[2:3], v[176:177], -v[2:3]
	s_waitcnt vmcnt(0)
	v_add_f64 v[4:5], v[178:179], -v[180:181]
	buffer_store_dword v3, off, s[0:3], 0 offset:196
	buffer_store_dword v2, off, s[0:3], 0 offset:192
	;; [unrolled: 1-line block ×4, first 2 shown]
	s_and_saveexec_b64 s[6:7], vcc
	s_cbranch_execz .LBB29_171
; %bb.170:
	v_accvgpr_read_b32 v5, a66
	buffer_load_dword v2, v5, s[0:3], 0 offen
	buffer_load_dword v3, v5, s[0:3], 0 offen offset:4
	buffer_load_dword v4, v5, s[0:3], 0 offen offset:8
	s_nop 0
	buffer_load_dword v5, v5, s[0:3], 0 offen offset:12
	s_nop 0
	buffer_store_dword v106, off, s[0:3], 0 offset:176
	buffer_store_dword v106, off, s[0:3], 0 offset:180
	;; [unrolled: 1-line block ×4, first 2 shown]
	s_waitcnt vmcnt(4)
	ds_write_b128 v231, v[2:5]
.LBB29_171:
	s_or_b64 exec, exec, s[6:7]
	s_waitcnt lgkmcnt(0)
	; wave barrier
	s_waitcnt lgkmcnt(0)
	buffer_load_dword v2, off, s[0:3], 0 offset:192
	buffer_load_dword v3, off, s[0:3], 0 offset:196
	;; [unrolled: 1-line block ×72, first 2 shown]
	ds_read_b128 v[108:111], v106 offset:672
	buffer_load_dword v184, off, s[0:3], 0 offset:176
	buffer_load_dword v185, off, s[0:3], 0 offset:180
	;; [unrolled: 1-line block ×4, first 2 shown]
	ds_read_b128 v[112:115], v106 offset:688
	ds_read_b128 v[116:119], v106 offset:704
	;; [unrolled: 1-line block ×3, first 2 shown]
	v_cmp_lt_u32_e32 vcc, 10, v230
	ds_read_b128 v[176:179], v106 offset:944
	s_waitcnt vmcnt(62) lgkmcnt(4)
	v_mul_f64 v[124:125], v[108:109], v[8:9]
	v_fmac_f64_e32 v[124:125], v[110:111], v[2:3]
	v_add_f64 v[124:125], v[124:125], 0
	v_mul_f64 v[8:9], v[110:111], v[8:9]
	s_waitcnt lgkmcnt(3)
	v_mul_f64 v[126:127], v[112:113], v[10:11]
	v_fmac_f64_e32 v[126:127], v[114:115], v[4:5]
	v_add_f64 v[124:125], v[124:125], v[126:127]
	v_fma_f64 v[2:3], v[108:109], v[2:3], -v[8:9]
	s_waitcnt lgkmcnt(2)
	v_mul_f64 v[126:127], v[116:117], v[12:13]
	v_fmac_f64_e32 v[126:127], v[118:119], v[6:7]
	v_add_f64 v[128:129], v[124:125], v[126:127]
	ds_read_b128 v[124:127], v106 offset:736
	s_waitcnt vmcnt(60) lgkmcnt(2)
	v_mul_f64 v[130:131], v[120:121], v[18:19]
	v_mul_f64 v[8:9], v[114:115], v[10:11]
	s_waitcnt vmcnt(58)
	v_fmac_f64_e32 v[130:131], v[122:123], v[20:21]
	v_add_f64 v[132:133], v[128:129], v[130:131]
	ds_read_b128 v[128:131], v106 offset:752
	s_waitcnt vmcnt(56) lgkmcnt(1)
	v_mul_f64 v[134:135], v[124:125], v[14:15]
	v_fmac_f64_e32 v[134:135], v[126:127], v[16:17]
	v_add_f64 v[136:137], v[132:133], v[134:135]
	ds_read_b128 v[132:135], v106 offset:768
	s_waitcnt vmcnt(52) lgkmcnt(1)
	v_mul_f64 v[138:139], v[128:129], v[26:27]
	s_waitcnt vmcnt(50)
	v_fmac_f64_e32 v[138:139], v[130:131], v[28:29]
	v_add_f64 v[140:141], v[136:137], v[138:139]
	ds_read_b128 v[136:139], v106 offset:784
	s_waitcnt vmcnt(48) lgkmcnt(1)
	v_mul_f64 v[142:143], v[132:133], v[22:23]
	v_fmac_f64_e32 v[142:143], v[134:135], v[24:25]
	v_add_f64 v[144:145], v[140:141], v[142:143]
	ds_read_b128 v[140:143], v106 offset:800
	s_waitcnt vmcnt(44) lgkmcnt(1)
	v_mul_f64 v[146:147], v[136:137], v[34:35]
	s_waitcnt vmcnt(42)
	v_fmac_f64_e32 v[146:147], v[138:139], v[36:37]
	v_add_f64 v[2:3], v[2:3], 0
	v_fma_f64 v[4:5], v[112:113], v[4:5], -v[8:9]
	v_add_f64 v[148:149], v[144:145], v[146:147]
	ds_read_b128 v[144:147], v106 offset:816
	s_waitcnt vmcnt(40) lgkmcnt(1)
	v_mul_f64 v[150:151], v[140:141], v[30:31]
	v_add_f64 v[2:3], v[2:3], v[4:5]
	v_mul_f64 v[4:5], v[118:119], v[12:13]
	v_fmac_f64_e32 v[150:151], v[142:143], v[32:33]
	v_fma_f64 v[4:5], v[116:117], v[6:7], -v[4:5]
	v_add_f64 v[152:153], v[148:149], v[150:151]
	ds_read_b128 v[148:151], v106 offset:832
	v_add_f64 v[2:3], v[2:3], v[4:5]
	v_mul_f64 v[4:5], v[122:123], v[18:19]
	v_fma_f64 v[4:5], v[120:121], v[20:21], -v[4:5]
	v_add_f64 v[2:3], v[2:3], v[4:5]
	v_mul_f64 v[4:5], v[126:127], v[14:15]
	s_waitcnt vmcnt(36) lgkmcnt(1)
	v_mul_f64 v[154:155], v[144:145], v[102:103]
	v_fma_f64 v[4:5], v[124:125], v[16:17], -v[4:5]
	s_waitcnt vmcnt(34)
	v_fmac_f64_e32 v[154:155], v[146:147], v[104:105]
	v_add_f64 v[2:3], v[2:3], v[4:5]
	v_mul_f64 v[4:5], v[130:131], v[26:27]
	v_add_f64 v[156:157], v[152:153], v[154:155]
	ds_read_b128 v[152:155], v106 offset:848
	s_waitcnt vmcnt(32) lgkmcnt(1)
	v_mul_f64 v[158:159], v[148:149], v[98:99]
	v_fma_f64 v[4:5], v[128:129], v[28:29], -v[4:5]
	v_fmac_f64_e32 v[158:159], v[150:151], v[100:101]
	v_add_f64 v[2:3], v[2:3], v[4:5]
	v_mul_f64 v[4:5], v[134:135], v[22:23]
	v_add_f64 v[160:161], v[156:157], v[158:159]
	ds_read_b128 v[156:159], v106 offset:864
	v_fma_f64 v[4:5], v[132:133], v[24:25], -v[4:5]
	v_add_f64 v[2:3], v[2:3], v[4:5]
	v_mul_f64 v[4:5], v[138:139], v[34:35]
	v_fma_f64 v[4:5], v[136:137], v[36:37], -v[4:5]
	s_waitcnt vmcnt(28) lgkmcnt(1)
	v_mul_f64 v[162:163], v[152:153], v[46:47]
	v_add_f64 v[2:3], v[2:3], v[4:5]
	v_mul_f64 v[4:5], v[142:143], v[30:31]
	s_waitcnt vmcnt(26)
	v_fmac_f64_e32 v[162:163], v[154:155], v[48:49]
	v_fma_f64 v[4:5], v[140:141], v[32:33], -v[4:5]
	v_add_f64 v[164:165], v[160:161], v[162:163]
	ds_read_b128 v[160:163], v106 offset:880
	s_waitcnt vmcnt(24) lgkmcnt(1)
	v_mul_f64 v[166:167], v[156:157], v[42:43]
	v_add_f64 v[2:3], v[2:3], v[4:5]
	v_mul_f64 v[4:5], v[146:147], v[102:103]
	v_fmac_f64_e32 v[166:167], v[158:159], v[44:45]
	v_fma_f64 v[4:5], v[144:145], v[104:105], -v[4:5]
	v_add_f64 v[168:169], v[164:165], v[166:167]
	ds_read_b128 v[164:167], v106 offset:896
	v_add_f64 v[2:3], v[2:3], v[4:5]
	v_mul_f64 v[4:5], v[150:151], v[98:99]
	v_fma_f64 v[4:5], v[148:149], v[100:101], -v[4:5]
	v_add_f64 v[2:3], v[2:3], v[4:5]
	v_mul_f64 v[4:5], v[154:155], v[46:47]
	s_waitcnt vmcnt(20) lgkmcnt(1)
	v_mul_f64 v[170:171], v[160:161], v[54:55]
	v_fma_f64 v[4:5], v[152:153], v[48:49], -v[4:5]
	s_waitcnt vmcnt(18)
	v_fmac_f64_e32 v[170:171], v[162:163], v[56:57]
	v_add_f64 v[2:3], v[2:3], v[4:5]
	v_mul_f64 v[4:5], v[158:159], v[42:43]
	v_add_f64 v[172:173], v[168:169], v[170:171]
	ds_read_b128 v[168:171], v106 offset:912
	s_waitcnt vmcnt(16) lgkmcnt(1)
	v_mul_f64 v[174:175], v[164:165], v[50:51]
	v_fma_f64 v[4:5], v[156:157], v[44:45], -v[4:5]
	v_fmac_f64_e32 v[174:175], v[166:167], v[52:53]
	v_add_f64 v[2:3], v[2:3], v[4:5]
	v_mul_f64 v[4:5], v[162:163], v[54:55]
	v_add_f64 v[188:189], v[172:173], v[174:175]
	ds_read_b128 v[172:175], v106 offset:928
	v_fma_f64 v[4:5], v[160:161], v[56:57], -v[4:5]
	v_add_f64 v[2:3], v[2:3], v[4:5]
	v_mul_f64 v[4:5], v[166:167], v[50:51]
	v_fma_f64 v[4:5], v[164:165], v[52:53], -v[4:5]
	v_add_f64 v[2:3], v[2:3], v[4:5]
	s_waitcnt vmcnt(12) lgkmcnt(1)
	v_mul_f64 v[4:5], v[170:171], v[62:63]
	v_mul_f64 v[190:191], v[168:169], v[62:63]
	s_waitcnt vmcnt(10)
	v_fma_f64 v[4:5], v[168:169], v[64:65], -v[4:5]
	v_fmac_f64_e32 v[190:191], v[170:171], v[64:65]
	v_add_f64 v[2:3], v[2:3], v[4:5]
	s_waitcnt vmcnt(8) lgkmcnt(0)
	v_mul_f64 v[4:5], v[174:175], v[58:59]
	v_add_f64 v[106:107], v[188:189], v[190:191]
	v_mul_f64 v[188:189], v[172:173], v[58:59]
	v_fma_f64 v[4:5], v[172:173], v[60:61], -v[4:5]
	v_fmac_f64_e32 v[188:189], v[174:175], v[60:61]
	v_add_f64 v[2:3], v[2:3], v[4:5]
	s_waitcnt vmcnt(6)
	v_mul_f64 v[4:5], v[178:179], v[180:181]
	v_add_f64 v[106:107], v[106:107], v[188:189]
	v_mul_f64 v[188:189], v[176:177], v[180:181]
	s_waitcnt vmcnt(4)
	v_fma_f64 v[4:5], v[176:177], v[182:183], -v[4:5]
	v_fmac_f64_e32 v[188:189], v[178:179], v[182:183]
	v_add_f64 v[2:3], v[2:3], v[4:5]
	v_add_f64 v[106:107], v[106:107], v[188:189]
	s_waitcnt vmcnt(2)
	v_add_f64 v[2:3], v[184:185], -v[2:3]
	s_waitcnt vmcnt(0)
	v_add_f64 v[4:5], v[186:187], -v[106:107]
	buffer_store_dword v3, off, s[0:3], 0 offset:180
	buffer_store_dword v2, off, s[0:3], 0 offset:176
	;; [unrolled: 1-line block ×4, first 2 shown]
	s_and_saveexec_b64 s[6:7], vcc
	s_cbranch_execz .LBB29_173
; %bb.172:
	v_accvgpr_read_b32 v5, a70
	buffer_load_dword v2, v5, s[0:3], 0 offen
	buffer_load_dword v3, v5, s[0:3], 0 offen offset:4
	buffer_load_dword v4, v5, s[0:3], 0 offen offset:8
	s_nop 0
	buffer_load_dword v5, v5, s[0:3], 0 offen offset:12
	v_mov_b32_e32 v6, 0
	buffer_store_dword v6, off, s[0:3], 0 offset:160
	buffer_store_dword v6, off, s[0:3], 0 offset:164
	;; [unrolled: 1-line block ×4, first 2 shown]
	s_waitcnt vmcnt(4)
	ds_write_b128 v231, v[2:5]
.LBB29_173:
	s_or_b64 exec, exec, s[6:7]
	s_waitcnt lgkmcnt(0)
	; wave barrier
	s_waitcnt lgkmcnt(0)
	buffer_load_dword v2, off, s[0:3], 0 offset:176
	buffer_load_dword v3, off, s[0:3], 0 offset:180
	;; [unrolled: 1-line block ×76, first 2 shown]
	v_mov_b32_e32 v114, 0
	ds_read_b128 v[116:119], v114 offset:656
	buffer_load_dword v192, off, s[0:3], 0 offset:160
	buffer_load_dword v193, off, s[0:3], 0 offset:164
	;; [unrolled: 1-line block ×4, first 2 shown]
	ds_read_b128 v[120:123], v114 offset:672
	ds_read_b128 v[124:127], v114 offset:688
	;; [unrolled: 1-line block ×4, first 2 shown]
	v_cmp_lt_u32_e32 vcc, 9, v230
	s_waitcnt vmcnt(62) lgkmcnt(4)
	v_mul_f64 v[132:133], v[116:117], v[8:9]
	v_fmac_f64_e32 v[132:133], v[118:119], v[2:3]
	v_add_f64 v[132:133], v[132:133], 0
	v_mul_f64 v[8:9], v[118:119], v[8:9]
	s_waitcnt lgkmcnt(3)
	v_mul_f64 v[134:135], v[120:121], v[10:11]
	v_fmac_f64_e32 v[134:135], v[122:123], v[4:5]
	v_add_f64 v[132:133], v[132:133], v[134:135]
	v_fma_f64 v[2:3], v[116:117], v[2:3], -v[8:9]
	s_waitcnt lgkmcnt(2)
	v_mul_f64 v[134:135], v[124:125], v[12:13]
	v_fmac_f64_e32 v[134:135], v[126:127], v[6:7]
	v_add_f64 v[136:137], v[132:133], v[134:135]
	ds_read_b128 v[132:135], v114 offset:720
	s_waitcnt lgkmcnt(2)
	v_mul_f64 v[138:139], v[128:129], v[18:19]
	v_mul_f64 v[8:9], v[122:123], v[10:11]
	v_fmac_f64_e32 v[138:139], v[130:131], v[20:21]
	v_add_f64 v[140:141], v[136:137], v[138:139]
	ds_read_b128 v[136:139], v114 offset:736
	s_waitcnt vmcnt(60) lgkmcnt(1)
	v_mul_f64 v[142:143], v[132:133], v[14:15]
	v_fmac_f64_e32 v[142:143], v[134:135], v[16:17]
	v_add_f64 v[144:145], v[140:141], v[142:143]
	ds_read_b128 v[140:143], v114 offset:752
	s_waitcnt vmcnt(56) lgkmcnt(1)
	v_mul_f64 v[146:147], v[136:137], v[26:27]
	s_waitcnt vmcnt(54)
	v_fmac_f64_e32 v[146:147], v[138:139], v[28:29]
	v_add_f64 v[148:149], v[144:145], v[146:147]
	ds_read_b128 v[144:147], v114 offset:768
	s_waitcnt vmcnt(52) lgkmcnt(1)
	v_mul_f64 v[150:151], v[140:141], v[22:23]
	v_fmac_f64_e32 v[150:151], v[142:143], v[24:25]
	v_add_f64 v[152:153], v[148:149], v[150:151]
	ds_read_b128 v[148:151], v114 offset:784
	s_waitcnt vmcnt(48) lgkmcnt(1)
	v_mul_f64 v[154:155], v[144:145], v[34:35]
	s_waitcnt vmcnt(46)
	v_fmac_f64_e32 v[154:155], v[146:147], v[36:37]
	v_add_f64 v[156:157], v[152:153], v[154:155]
	ds_read_b128 v[152:155], v114 offset:800
	v_add_f64 v[2:3], v[2:3], 0
	v_fma_f64 v[4:5], v[120:121], v[4:5], -v[8:9]
	s_waitcnt vmcnt(44) lgkmcnt(1)
	v_mul_f64 v[158:159], v[148:149], v[30:31]
	v_add_f64 v[2:3], v[2:3], v[4:5]
	v_mul_f64 v[4:5], v[126:127], v[12:13]
	v_fmac_f64_e32 v[158:159], v[150:151], v[32:33]
	v_fma_f64 v[4:5], v[124:125], v[6:7], -v[4:5]
	v_add_f64 v[160:161], v[156:157], v[158:159]
	ds_read_b128 v[156:159], v114 offset:816
	s_waitcnt vmcnt(40) lgkmcnt(1)
	v_mul_f64 v[162:163], v[152:153], v[102:103]
	v_add_f64 v[2:3], v[2:3], v[4:5]
	v_mul_f64 v[4:5], v[130:131], v[18:19]
	s_waitcnt vmcnt(38)
	v_fmac_f64_e32 v[162:163], v[154:155], v[104:105]
	v_fma_f64 v[4:5], v[128:129], v[20:21], -v[4:5]
	v_add_f64 v[164:165], v[160:161], v[162:163]
	ds_read_b128 v[160:163], v114 offset:832
	v_add_f64 v[2:3], v[2:3], v[4:5]
	v_mul_f64 v[4:5], v[134:135], v[14:15]
	v_fma_f64 v[4:5], v[132:133], v[16:17], -v[4:5]
	v_add_f64 v[2:3], v[2:3], v[4:5]
	v_mul_f64 v[4:5], v[138:139], v[26:27]
	s_waitcnt vmcnt(36) lgkmcnt(1)
	v_mul_f64 v[166:167], v[156:157], v[98:99]
	v_fma_f64 v[4:5], v[136:137], v[28:29], -v[4:5]
	v_fmac_f64_e32 v[166:167], v[158:159], v[100:101]
	v_add_f64 v[2:3], v[2:3], v[4:5]
	v_mul_f64 v[4:5], v[142:143], v[22:23]
	v_add_f64 v[168:169], v[164:165], v[166:167]
	ds_read_b128 v[164:167], v114 offset:848
	s_waitcnt vmcnt(32) lgkmcnt(1)
	v_mul_f64 v[170:171], v[160:161], v[110:111]
	v_fma_f64 v[4:5], v[140:141], v[24:25], -v[4:5]
	s_waitcnt vmcnt(30)
	v_fmac_f64_e32 v[170:171], v[162:163], v[112:113]
	v_add_f64 v[2:3], v[2:3], v[4:5]
	v_mul_f64 v[4:5], v[146:147], v[34:35]
	v_add_f64 v[172:173], v[168:169], v[170:171]
	ds_read_b128 v[168:171], v114 offset:864
	v_fma_f64 v[4:5], v[144:145], v[36:37], -v[4:5]
	v_add_f64 v[2:3], v[2:3], v[4:5]
	v_mul_f64 v[4:5], v[150:151], v[30:31]
	v_fma_f64 v[4:5], v[148:149], v[32:33], -v[4:5]
	s_waitcnt vmcnt(28) lgkmcnt(1)
	v_mul_f64 v[174:175], v[164:165], v[106:107]
	v_add_f64 v[2:3], v[2:3], v[4:5]
	v_mul_f64 v[4:5], v[154:155], v[102:103]
	v_fmac_f64_e32 v[174:175], v[166:167], v[108:109]
	v_fma_f64 v[4:5], v[152:153], v[104:105], -v[4:5]
	v_add_f64 v[176:177], v[172:173], v[174:175]
	ds_read_b128 v[172:175], v114 offset:880
	s_waitcnt vmcnt(24) lgkmcnt(1)
	v_mul_f64 v[178:179], v[168:169], v[46:47]
	v_add_f64 v[2:3], v[2:3], v[4:5]
	v_mul_f64 v[4:5], v[158:159], v[98:99]
	s_waitcnt vmcnt(22)
	v_fmac_f64_e32 v[178:179], v[170:171], v[48:49]
	v_fma_f64 v[4:5], v[156:157], v[100:101], -v[4:5]
	v_add_f64 v[180:181], v[176:177], v[178:179]
	ds_read_b128 v[176:179], v114 offset:896
	v_add_f64 v[2:3], v[2:3], v[4:5]
	v_mul_f64 v[4:5], v[162:163], v[110:111]
	v_fma_f64 v[4:5], v[160:161], v[112:113], -v[4:5]
	v_add_f64 v[2:3], v[2:3], v[4:5]
	v_mul_f64 v[4:5], v[166:167], v[106:107]
	s_waitcnt vmcnt(20) lgkmcnt(1)
	v_mul_f64 v[182:183], v[172:173], v[42:43]
	v_fma_f64 v[4:5], v[164:165], v[108:109], -v[4:5]
	v_fmac_f64_e32 v[182:183], v[174:175], v[44:45]
	v_add_f64 v[2:3], v[2:3], v[4:5]
	v_mul_f64 v[4:5], v[170:171], v[46:47]
	v_add_f64 v[184:185], v[180:181], v[182:183]
	ds_read_b128 v[180:183], v114 offset:912
	s_waitcnt vmcnt(16) lgkmcnt(1)
	v_mul_f64 v[186:187], v[176:177], v[54:55]
	v_fma_f64 v[4:5], v[168:169], v[48:49], -v[4:5]
	s_waitcnt vmcnt(14)
	v_fmac_f64_e32 v[186:187], v[178:179], v[56:57]
	v_add_f64 v[2:3], v[2:3], v[4:5]
	v_mul_f64 v[4:5], v[174:175], v[42:43]
	v_add_f64 v[196:197], v[184:185], v[186:187]
	ds_read_b128 v[184:187], v114 offset:928
	v_fma_f64 v[4:5], v[172:173], v[44:45], -v[4:5]
	v_add_f64 v[2:3], v[2:3], v[4:5]
	v_mul_f64 v[4:5], v[178:179], v[54:55]
	v_fma_f64 v[4:5], v[176:177], v[56:57], -v[4:5]
	v_add_f64 v[2:3], v[2:3], v[4:5]
	s_waitcnt vmcnt(12) lgkmcnt(1)
	v_mul_f64 v[4:5], v[182:183], v[50:51]
	v_mul_f64 v[198:199], v[180:181], v[50:51]
	v_fma_f64 v[4:5], v[180:181], v[52:53], -v[4:5]
	v_fmac_f64_e32 v[198:199], v[182:183], v[52:53]
	v_add_f64 v[2:3], v[2:3], v[4:5]
	s_waitcnt vmcnt(8) lgkmcnt(0)
	v_mul_f64 v[4:5], v[186:187], v[62:63]
	v_add_f64 v[196:197], v[196:197], v[198:199]
	v_mul_f64 v[198:199], v[184:185], v[62:63]
	s_waitcnt vmcnt(6)
	v_fma_f64 v[4:5], v[184:185], v[64:65], -v[4:5]
	v_fmac_f64_e32 v[198:199], v[186:187], v[64:65]
	v_add_f64 v[2:3], v[2:3], v[4:5]
	s_waitcnt vmcnt(5)
	v_mul_f64 v[4:5], v[190:191], v[58:59]
	v_add_f64 v[196:197], v[196:197], v[198:199]
	v_mul_f64 v[198:199], v[188:189], v[58:59]
	s_waitcnt vmcnt(4)
	v_fma_f64 v[4:5], v[188:189], v[60:61], -v[4:5]
	v_fmac_f64_e32 v[198:199], v[190:191], v[60:61]
	v_add_f64 v[2:3], v[2:3], v[4:5]
	v_add_f64 v[196:197], v[196:197], v[198:199]
	s_waitcnt vmcnt(2)
	v_add_f64 v[2:3], v[192:193], -v[2:3]
	s_waitcnt vmcnt(0)
	v_add_f64 v[4:5], v[194:195], -v[196:197]
	buffer_store_dword v3, off, s[0:3], 0 offset:164
	buffer_store_dword v2, off, s[0:3], 0 offset:160
	;; [unrolled: 1-line block ×4, first 2 shown]
	s_and_saveexec_b64 s[6:7], vcc
	s_cbranch_execz .LBB29_175
; %bb.174:
	v_accvgpr_read_b32 v5, a69
	buffer_load_dword v2, v5, s[0:3], 0 offen
	buffer_load_dword v3, v5, s[0:3], 0 offen offset:4
	buffer_load_dword v4, v5, s[0:3], 0 offen offset:8
	s_nop 0
	buffer_load_dword v5, v5, s[0:3], 0 offen offset:12
	s_nop 0
	buffer_store_dword v114, off, s[0:3], 0 offset:144
	buffer_store_dword v114, off, s[0:3], 0 offset:148
	;; [unrolled: 1-line block ×4, first 2 shown]
	s_waitcnt vmcnt(4)
	ds_write_b128 v231, v[2:5]
.LBB29_175:
	s_or_b64 exec, exec, s[6:7]
	s_waitcnt lgkmcnt(0)
	; wave barrier
	s_waitcnt lgkmcnt(0)
	buffer_load_dword v2, off, s[0:3], 0 offset:160
	buffer_load_dword v3, off, s[0:3], 0 offset:164
	;; [unrolled: 1-line block ×76, first 2 shown]
	ds_read_b128 v[116:119], v114 offset:640
	buffer_load_dword v193, off, s[0:3], 0 offset:476
	buffer_load_dword v192, off, s[0:3], 0 offset:472
	;; [unrolled: 1-line block ×8, first 2 shown]
	ds_read_b128 v[120:123], v114 offset:656
	ds_read_b128 v[124:127], v114 offset:672
	;; [unrolled: 1-line block ×3, first 2 shown]
	v_cmp_lt_u32_e32 vcc, 8, v230
	ds_read_b128 v[196:199], v114 offset:944
	s_waitcnt vmcnt(62) lgkmcnt(4)
	v_mul_f64 v[132:133], v[116:117], v[8:9]
	v_fmac_f64_e32 v[132:133], v[118:119], v[2:3]
	v_add_f64 v[132:133], v[132:133], 0
	v_mul_f64 v[8:9], v[118:119], v[8:9]
	s_waitcnt lgkmcnt(3)
	v_mul_f64 v[134:135], v[120:121], v[10:11]
	v_fmac_f64_e32 v[134:135], v[122:123], v[4:5]
	v_add_f64 v[132:133], v[132:133], v[134:135]
	v_fma_f64 v[2:3], v[116:117], v[2:3], -v[8:9]
	s_waitcnt lgkmcnt(2)
	v_mul_f64 v[134:135], v[124:125], v[12:13]
	v_fmac_f64_e32 v[134:135], v[126:127], v[6:7]
	v_add_f64 v[136:137], v[132:133], v[134:135]
	ds_read_b128 v[132:135], v114 offset:704
	v_mul_f64 v[8:9], v[122:123], v[10:11]
	v_add_f64 v[2:3], v[2:3], 0
	s_waitcnt lgkmcnt(2)
	v_mul_f64 v[138:139], v[128:129], v[18:19]
	v_fma_f64 v[4:5], v[120:121], v[4:5], -v[8:9]
	v_fmac_f64_e32 v[138:139], v[130:131], v[20:21]
	v_add_f64 v[140:141], v[136:137], v[138:139]
	ds_read_b128 v[136:139], v114 offset:720
	s_waitcnt lgkmcnt(1)
	v_mul_f64 v[142:143], v[132:133], v[14:15]
	v_fmac_f64_e32 v[142:143], v[134:135], v[16:17]
	v_add_f64 v[144:145], v[140:141], v[142:143]
	ds_read_b128 v[140:143], v114 offset:736
	s_waitcnt vmcnt(58) lgkmcnt(1)
	v_mul_f64 v[146:147], v[136:137], v[26:27]
	s_waitcnt vmcnt(56)
	v_fmac_f64_e32 v[146:147], v[138:139], v[28:29]
	v_add_f64 v[148:149], v[144:145], v[146:147]
	ds_read_b128 v[144:147], v114 offset:752
	s_waitcnt lgkmcnt(1)
	v_mul_f64 v[150:151], v[140:141], v[22:23]
	v_fmac_f64_e32 v[150:151], v[142:143], v[24:25]
	v_add_f64 v[152:153], v[148:149], v[150:151]
	ds_read_b128 v[148:151], v114 offset:768
	s_waitcnt vmcnt(50) lgkmcnt(1)
	v_mul_f64 v[154:155], v[144:145], v[34:35]
	s_waitcnt vmcnt(48)
	v_fmac_f64_e32 v[154:155], v[146:147], v[36:37]
	v_add_f64 v[156:157], v[152:153], v[154:155]
	ds_read_b128 v[152:155], v114 offset:784
	s_waitcnt lgkmcnt(1)
	v_mul_f64 v[158:159], v[148:149], v[30:31]
	v_fmac_f64_e32 v[158:159], v[150:151], v[32:33]
	v_add_f64 v[160:161], v[156:157], v[158:159]
	ds_read_b128 v[156:159], v114 offset:800
	v_add_f64 v[2:3], v[2:3], v[4:5]
	v_mul_f64 v[4:5], v[126:127], v[12:13]
	v_fma_f64 v[4:5], v[124:125], v[6:7], -v[4:5]
	s_waitcnt vmcnt(42) lgkmcnt(1)
	v_mul_f64 v[162:163], v[152:153], v[102:103]
	v_add_f64 v[2:3], v[2:3], v[4:5]
	v_mul_f64 v[4:5], v[130:131], v[18:19]
	s_waitcnt vmcnt(40)
	v_fmac_f64_e32 v[162:163], v[154:155], v[104:105]
	v_fma_f64 v[4:5], v[128:129], v[20:21], -v[4:5]
	v_add_f64 v[164:165], v[160:161], v[162:163]
	ds_read_b128 v[160:163], v114 offset:816
	s_waitcnt lgkmcnt(1)
	v_mul_f64 v[166:167], v[156:157], v[98:99]
	v_add_f64 v[2:3], v[2:3], v[4:5]
	v_mul_f64 v[4:5], v[134:135], v[14:15]
	v_fmac_f64_e32 v[166:167], v[158:159], v[100:101]
	v_fma_f64 v[4:5], v[132:133], v[16:17], -v[4:5]
	v_add_f64 v[168:169], v[164:165], v[166:167]
	ds_read_b128 v[164:167], v114 offset:832
	v_add_f64 v[2:3], v[2:3], v[4:5]
	v_mul_f64 v[4:5], v[138:139], v[26:27]
	v_fma_f64 v[4:5], v[136:137], v[28:29], -v[4:5]
	v_add_f64 v[2:3], v[2:3], v[4:5]
	v_mul_f64 v[4:5], v[142:143], v[22:23]
	s_waitcnt vmcnt(34) lgkmcnt(1)
	v_mul_f64 v[170:171], v[160:161], v[110:111]
	v_fma_f64 v[4:5], v[140:141], v[24:25], -v[4:5]
	s_waitcnt vmcnt(32)
	v_fmac_f64_e32 v[170:171], v[162:163], v[112:113]
	v_add_f64 v[2:3], v[2:3], v[4:5]
	v_mul_f64 v[4:5], v[146:147], v[34:35]
	v_add_f64 v[172:173], v[168:169], v[170:171]
	ds_read_b128 v[168:171], v114 offset:848
	s_waitcnt lgkmcnt(1)
	v_mul_f64 v[174:175], v[164:165], v[106:107]
	v_fma_f64 v[4:5], v[144:145], v[36:37], -v[4:5]
	v_fmac_f64_e32 v[174:175], v[166:167], v[108:109]
	v_add_f64 v[2:3], v[2:3], v[4:5]
	v_mul_f64 v[4:5], v[150:151], v[30:31]
	v_add_f64 v[176:177], v[172:173], v[174:175]
	ds_read_b128 v[172:175], v114 offset:864
	v_fma_f64 v[4:5], v[148:149], v[32:33], -v[4:5]
	v_add_f64 v[2:3], v[2:3], v[4:5]
	v_mul_f64 v[4:5], v[154:155], v[102:103]
	v_fma_f64 v[4:5], v[152:153], v[104:105], -v[4:5]
	s_waitcnt vmcnt(26) lgkmcnt(1)
	v_mul_f64 v[178:179], v[168:169], v[46:47]
	v_add_f64 v[2:3], v[2:3], v[4:5]
	v_mul_f64 v[4:5], v[158:159], v[98:99]
	s_waitcnt vmcnt(24)
	v_fmac_f64_e32 v[178:179], v[170:171], v[48:49]
	v_fma_f64 v[4:5], v[156:157], v[100:101], -v[4:5]
	v_add_f64 v[180:181], v[176:177], v[178:179]
	ds_read_b128 v[176:179], v114 offset:880
	s_waitcnt lgkmcnt(1)
	v_mul_f64 v[182:183], v[172:173], v[42:43]
	v_add_f64 v[2:3], v[2:3], v[4:5]
	v_mul_f64 v[4:5], v[162:163], v[110:111]
	v_fmac_f64_e32 v[182:183], v[174:175], v[44:45]
	v_fma_f64 v[4:5], v[160:161], v[112:113], -v[4:5]
	v_add_f64 v[184:185], v[180:181], v[182:183]
	ds_read_b128 v[180:183], v114 offset:896
	v_add_f64 v[2:3], v[2:3], v[4:5]
	v_mul_f64 v[4:5], v[166:167], v[106:107]
	v_fma_f64 v[4:5], v[164:165], v[108:109], -v[4:5]
	v_add_f64 v[2:3], v[2:3], v[4:5]
	v_mul_f64 v[4:5], v[170:171], v[46:47]
	s_waitcnt vmcnt(18) lgkmcnt(1)
	v_mul_f64 v[186:187], v[176:177], v[54:55]
	v_fma_f64 v[4:5], v[168:169], v[48:49], -v[4:5]
	s_waitcnt vmcnt(16)
	v_fmac_f64_e32 v[186:187], v[178:179], v[56:57]
	v_add_f64 v[2:3], v[2:3], v[4:5]
	v_mul_f64 v[4:5], v[174:175], v[42:43]
	v_add_f64 v[188:189], v[184:185], v[186:187]
	ds_read_b128 v[184:187], v114 offset:912
	s_waitcnt lgkmcnt(1)
	v_mul_f64 v[190:191], v[180:181], v[50:51]
	v_fma_f64 v[4:5], v[172:173], v[44:45], -v[4:5]
	v_fmac_f64_e32 v[190:191], v[182:183], v[52:53]
	v_add_f64 v[2:3], v[2:3], v[4:5]
	v_mul_f64 v[4:5], v[178:179], v[54:55]
	v_add_f64 v[204:205], v[188:189], v[190:191]
	ds_read_b128 v[188:191], v114 offset:928
	v_fma_f64 v[4:5], v[176:177], v[56:57], -v[4:5]
	v_add_f64 v[2:3], v[2:3], v[4:5]
	v_mul_f64 v[4:5], v[182:183], v[50:51]
	v_fma_f64 v[4:5], v[180:181], v[52:53], -v[4:5]
	v_add_f64 v[2:3], v[2:3], v[4:5]
	s_waitcnt vmcnt(10) lgkmcnt(1)
	v_mul_f64 v[4:5], v[186:187], v[62:63]
	v_mul_f64 v[206:207], v[184:185], v[62:63]
	s_waitcnt vmcnt(8)
	v_fma_f64 v[4:5], v[184:185], v[64:65], -v[4:5]
	v_fmac_f64_e32 v[206:207], v[186:187], v[64:65]
	v_add_f64 v[2:3], v[2:3], v[4:5]
	s_waitcnt lgkmcnt(0)
	v_mul_f64 v[4:5], v[190:191], v[58:59]
	v_add_f64 v[114:115], v[204:205], v[206:207]
	v_mul_f64 v[204:205], v[188:189], v[58:59]
	v_fma_f64 v[4:5], v[188:189], v[60:61], -v[4:5]
	v_fmac_f64_e32 v[204:205], v[190:191], v[60:61]
	v_add_f64 v[2:3], v[2:3], v[4:5]
	s_waitcnt vmcnt(6)
	v_mul_f64 v[4:5], v[198:199], v[192:193]
	v_add_f64 v[114:115], v[114:115], v[204:205]
	v_mul_f64 v[204:205], v[196:197], v[192:193]
	s_waitcnt vmcnt(4)
	v_fma_f64 v[4:5], v[196:197], v[194:195], -v[4:5]
	v_fmac_f64_e32 v[204:205], v[198:199], v[194:195]
	v_add_f64 v[2:3], v[2:3], v[4:5]
	v_add_f64 v[114:115], v[114:115], v[204:205]
	s_waitcnt vmcnt(2)
	v_add_f64 v[2:3], v[200:201], -v[2:3]
	s_waitcnt vmcnt(0)
	v_add_f64 v[4:5], v[202:203], -v[114:115]
	buffer_store_dword v3, off, s[0:3], 0 offset:148
	buffer_store_dword v2, off, s[0:3], 0 offset:144
	;; [unrolled: 1-line block ×4, first 2 shown]
	s_and_saveexec_b64 s[6:7], vcc
	s_cbranch_execz .LBB29_177
; %bb.176:
	v_accvgpr_read_b32 v5, a67
	buffer_load_dword v2, v5, s[0:3], 0 offen
	buffer_load_dword v3, v5, s[0:3], 0 offen offset:4
	buffer_load_dword v4, v5, s[0:3], 0 offen offset:8
	s_nop 0
	buffer_load_dword v5, v5, s[0:3], 0 offen offset:12
	v_mov_b32_e32 v6, 0
	buffer_store_dword v6, off, s[0:3], 0 offset:128
	buffer_store_dword v6, off, s[0:3], 0 offset:132
	;; [unrolled: 1-line block ×4, first 2 shown]
	s_waitcnt vmcnt(4)
	ds_write_b128 v231, v[2:5]
.LBB29_177:
	s_or_b64 exec, exec, s[6:7]
	s_waitcnt lgkmcnt(0)
	; wave barrier
	s_waitcnt lgkmcnt(0)
	buffer_load_dword v4, off, s[0:3], 0 offset:128
	buffer_load_dword v5, off, s[0:3], 0 offset:132
	;; [unrolled: 1-line block ×84, first 2 shown]
	v_mov_b32_e32 v146, 0
	ds_read_b128 v[126:129], v146 offset:624
	buffer_load_dword v63, off, s[0:3], 0 offset:476
	buffer_load_dword v62, off, s[0:3], 0 offset:472
	;; [unrolled: 1-line block ×4, first 2 shown]
	ds_read_b128 v[130:133], v146 offset:640
	ds_read_b128 v[134:137], v146 offset:656
	;; [unrolled: 1-line block ×5, first 2 shown]
	s_waitcnt vmcnt(62) lgkmcnt(5)
	v_mul_f64 v[142:143], v[126:127], v[12:13]
	v_fmac_f64_e32 v[142:143], v[128:129], v[6:7]
	s_waitcnt lgkmcnt(4)
	v_mul_f64 v[144:145], v[130:131], v[14:15]
	v_add_f64 v[142:143], v[142:143], 0
	v_fmac_f64_e32 v[144:145], v[132:133], v[8:9]
	v_add_f64 v[142:143], v[142:143], v[144:145]
	s_waitcnt lgkmcnt(3)
	v_mul_f64 v[144:145], v[134:135], v[16:17]
	v_fmac_f64_e32 v[144:145], v[136:137], v[10:11]
	v_add_f64 v[148:149], v[142:143], v[144:145]
	ds_read_b128 v[142:145], v146 offset:688
	v_mul_f64 v[12:13], v[128:129], v[12:13]
	s_waitcnt lgkmcnt(3)
	v_mul_f64 v[150:151], v[138:139], v[22:23]
	v_fma_f64 v[6:7], v[126:127], v[6:7], -v[12:13]
	v_fmac_f64_e32 v[150:151], v[140:141], v[24:25]
	v_add_f64 v[152:153], v[148:149], v[150:151]
	ds_read_b128 v[148:151], v146 offset:704
	s_waitcnt lgkmcnt(1)
	v_mul_f64 v[154:155], v[142:143], v[18:19]
	v_fmac_f64_e32 v[154:155], v[144:145], v[20:21]
	v_add_f64 v[156:157], v[152:153], v[154:155]
	ds_read_b128 v[152:155], v146 offset:720
	s_waitcnt vmcnt(58) lgkmcnt(1)
	v_mul_f64 v[158:159], v[148:149], v[30:31]
	s_waitcnt vmcnt(56)
	v_fmac_f64_e32 v[158:159], v[150:151], v[32:33]
	v_add_f64 v[160:161], v[156:157], v[158:159]
	ds_read_b128 v[156:159], v146 offset:736
	s_waitcnt lgkmcnt(1)
	v_mul_f64 v[162:163], v[152:153], v[26:27]
	v_fmac_f64_e32 v[162:163], v[154:155], v[28:29]
	v_add_f64 v[164:165], v[160:161], v[162:163]
	ds_read_b128 v[160:163], v146 offset:752
	s_waitcnt vmcnt(50) lgkmcnt(1)
	v_mul_f64 v[166:167], v[156:157], v[98:99]
	v_mul_f64 v[12:13], v[132:133], v[14:15]
	s_waitcnt vmcnt(48)
	v_fmac_f64_e32 v[166:167], v[158:159], v[100:101]
	v_add_f64 v[6:7], v[6:7], 0
	v_fma_f64 v[8:9], v[130:131], v[8:9], -v[12:13]
	v_add_f64 v[168:169], v[164:165], v[166:167]
	ds_read_b128 v[164:167], v146 offset:768
	v_add_f64 v[6:7], v[6:7], v[8:9]
	v_mul_f64 v[8:9], v[136:137], v[16:17]
	v_fma_f64 v[8:9], v[134:135], v[10:11], -v[8:9]
	v_add_f64 v[6:7], v[6:7], v[8:9]
	v_mul_f64 v[8:9], v[140:141], v[22:23]
	s_waitcnt lgkmcnt(1)
	v_mul_f64 v[170:171], v[160:161], v[34:35]
	v_fma_f64 v[8:9], v[138:139], v[24:25], -v[8:9]
	v_fmac_f64_e32 v[170:171], v[162:163], v[36:37]
	v_add_f64 v[6:7], v[6:7], v[8:9]
	v_mul_f64 v[8:9], v[144:145], v[18:19]
	v_add_f64 v[172:173], v[168:169], v[170:171]
	ds_read_b128 v[168:171], v146 offset:784
	s_waitcnt vmcnt(42) lgkmcnt(1)
	v_mul_f64 v[174:175], v[164:165], v[106:107]
	v_fma_f64 v[8:9], v[142:143], v[20:21], -v[8:9]
	s_waitcnt vmcnt(40)
	v_fmac_f64_e32 v[174:175], v[166:167], v[108:109]
	v_add_f64 v[6:7], v[6:7], v[8:9]
	v_mul_f64 v[8:9], v[150:151], v[30:31]
	v_add_f64 v[176:177], v[172:173], v[174:175]
	ds_read_b128 v[172:175], v146 offset:800
	v_fma_f64 v[8:9], v[148:149], v[32:33], -v[8:9]
	v_add_f64 v[6:7], v[6:7], v[8:9]
	v_mul_f64 v[8:9], v[154:155], v[26:27]
	v_fma_f64 v[8:9], v[152:153], v[28:29], -v[8:9]
	s_waitcnt lgkmcnt(1)
	v_mul_f64 v[178:179], v[168:169], v[102:103]
	v_add_f64 v[6:7], v[6:7], v[8:9]
	v_mul_f64 v[8:9], v[158:159], v[98:99]
	v_fmac_f64_e32 v[178:179], v[170:171], v[104:105]
	v_fma_f64 v[8:9], v[156:157], v[100:101], -v[8:9]
	v_add_f64 v[180:181], v[176:177], v[178:179]
	ds_read_b128 v[176:179], v146 offset:816
	s_waitcnt vmcnt(34) lgkmcnt(1)
	v_mul_f64 v[182:183], v[172:173], v[114:115]
	v_add_f64 v[6:7], v[6:7], v[8:9]
	v_mul_f64 v[8:9], v[162:163], v[34:35]
	s_waitcnt vmcnt(32)
	v_fmac_f64_e32 v[182:183], v[174:175], v[116:117]
	v_fma_f64 v[8:9], v[160:161], v[36:37], -v[8:9]
	v_add_f64 v[184:185], v[180:181], v[182:183]
	ds_read_b128 v[180:183], v146 offset:832
	v_add_f64 v[6:7], v[6:7], v[8:9]
	v_mul_f64 v[8:9], v[166:167], v[106:107]
	v_fma_f64 v[8:9], v[164:165], v[108:109], -v[8:9]
	v_add_f64 v[6:7], v[6:7], v[8:9]
	v_mul_f64 v[8:9], v[170:171], v[102:103]
	s_waitcnt lgkmcnt(1)
	v_mul_f64 v[186:187], v[176:177], v[110:111]
	v_fma_f64 v[8:9], v[168:169], v[104:105], -v[8:9]
	v_fmac_f64_e32 v[186:187], v[178:179], v[112:113]
	v_add_f64 v[6:7], v[6:7], v[8:9]
	v_mul_f64 v[8:9], v[174:175], v[114:115]
	v_add_f64 v[188:189], v[184:185], v[186:187]
	ds_read_b128 v[184:187], v146 offset:848
	s_waitcnt vmcnt(26) lgkmcnt(1)
	v_mul_f64 v[190:191], v[180:181], v[122:123]
	v_fma_f64 v[8:9], v[172:173], v[116:117], -v[8:9]
	s_waitcnt vmcnt(24)
	v_fmac_f64_e32 v[190:191], v[182:183], v[124:125]
	v_add_f64 v[6:7], v[6:7], v[8:9]
	v_mul_f64 v[8:9], v[178:179], v[110:111]
	v_add_f64 v[192:193], v[188:189], v[190:191]
	ds_read_b128 v[188:191], v146 offset:864
	v_fma_f64 v[8:9], v[176:177], v[112:113], -v[8:9]
	v_add_f64 v[6:7], v[6:7], v[8:9]
	v_mul_f64 v[8:9], v[182:183], v[122:123]
	v_fma_f64 v[8:9], v[180:181], v[124:125], -v[8:9]
	v_add_f64 v[6:7], v[6:7], v[8:9]
	s_waitcnt lgkmcnt(1)
	v_mul_f64 v[8:9], v[186:187], v[118:119]
	v_mul_f64 v[194:195], v[184:185], v[118:119]
	v_fma_f64 v[8:9], v[184:185], v[120:121], -v[8:9]
	v_fmac_f64_e32 v[194:195], v[186:187], v[120:121]
	v_add_f64 v[6:7], v[6:7], v[8:9]
	s_waitcnt vmcnt(18) lgkmcnt(0)
	v_mul_f64 v[8:9], v[190:191], v[46:47]
	v_add_f64 v[192:193], v[192:193], v[194:195]
	v_mul_f64 v[194:195], v[188:189], v[46:47]
	ds_read_b128 v[236:239], v146 offset:912
	ds_read_b128 v[240:243], v146 offset:928
	s_waitcnt vmcnt(16)
	v_fma_f64 v[8:9], v[188:189], v[48:49], -v[8:9]
	v_fmac_f64_e32 v[194:195], v[190:191], v[48:49]
	v_add_f64 v[6:7], v[6:7], v[8:9]
	v_mul_f64 v[8:9], v[198:199], v[42:43]
	v_add_f64 v[192:193], v[192:193], v[194:195]
	v_mul_f64 v[194:195], v[196:197], v[42:43]
	v_fma_f64 v[8:9], v[196:197], v[44:45], -v[8:9]
	v_fmac_f64_e32 v[194:195], v[198:199], v[44:45]
	v_add_f64 v[6:7], v[6:7], v[8:9]
	s_waitcnt vmcnt(10)
	v_mul_f64 v[8:9], v[234:235], v[54:55]
	v_add_f64 v[192:193], v[192:193], v[194:195]
	v_mul_f64 v[194:195], v[232:233], v[54:55]
	ds_read_b128 v[244:247], v146 offset:944
	s_waitcnt vmcnt(8)
	v_fma_f64 v[8:9], v[232:233], v[56:57], -v[8:9]
	v_fmac_f64_e32 v[194:195], v[234:235], v[56:57]
	v_add_f64 v[6:7], v[6:7], v[8:9]
	s_waitcnt lgkmcnt(2)
	v_mul_f64 v[8:9], v[238:239], v[50:51]
	v_add_f64 v[192:193], v[192:193], v[194:195]
	v_mul_f64 v[194:195], v[236:237], v[50:51]
	v_fma_f64 v[8:9], v[236:237], v[52:53], -v[8:9]
	v_fmac_f64_e32 v[194:195], v[238:239], v[52:53]
	v_add_f64 v[6:7], v[6:7], v[8:9]
	s_waitcnt vmcnt(6) lgkmcnt(1)
	v_mul_f64 v[8:9], v[242:243], v[58:59]
	v_add_f64 v[192:193], v[192:193], v[194:195]
	v_mul_f64 v[194:195], v[240:241], v[58:59]
	s_waitcnt vmcnt(4)
	v_fma_f64 v[8:9], v[240:241], v[60:61], -v[8:9]
	v_fmac_f64_e32 v[194:195], v[242:243], v[60:61]
	v_add_f64 v[6:7], v[6:7], v[8:9]
	s_waitcnt vmcnt(2) lgkmcnt(0)
	v_mul_f64 v[8:9], v[246:247], v[62:63]
	v_add_f64 v[192:193], v[192:193], v[194:195]
	v_mul_f64 v[194:195], v[244:245], v[62:63]
	s_waitcnt vmcnt(0)
	v_fma_f64 v[8:9], v[244:245], v[64:65], -v[8:9]
	v_fmac_f64_e32 v[194:195], v[246:247], v[64:65]
	v_add_f64 v[6:7], v[6:7], v[8:9]
	v_add_f64 v[192:193], v[192:193], v[194:195]
	v_add_f64 v[4:5], v[4:5], -v[6:7]
	v_cmp_lt_u32_e32 vcc, 7, v230
	v_add_f64 v[2:3], v[2:3], -v[192:193]
	buffer_store_dword v5, off, s[0:3], 0 offset:132
	buffer_store_dword v4, off, s[0:3], 0 offset:128
	;; [unrolled: 1-line block ×4, first 2 shown]
	s_and_saveexec_b64 s[6:7], vcc
	s_cbranch_execz .LBB29_179
; %bb.178:
	v_accvgpr_read_b32 v5, a68
	buffer_load_dword v2, v5, s[0:3], 0 offen
	buffer_load_dword v3, v5, s[0:3], 0 offen offset:4
	buffer_load_dword v4, v5, s[0:3], 0 offen offset:8
	s_nop 0
	buffer_load_dword v5, v5, s[0:3], 0 offen offset:12
	s_nop 0
	buffer_store_dword v146, off, s[0:3], 0 offset:112
	buffer_store_dword v146, off, s[0:3], 0 offset:116
	;; [unrolled: 1-line block ×4, first 2 shown]
	s_waitcnt vmcnt(4)
	ds_write_b128 v231, v[2:5]
.LBB29_179:
	s_or_b64 exec, exec, s[6:7]
	s_waitcnt lgkmcnt(0)
	; wave barrier
	s_waitcnt lgkmcnt(0)
	ds_read_b128 v[14:17], v146 offset:608
	ds_read_b128 v[10:13], v146 offset:624
	;; [unrolled: 1-line block ×4, first 2 shown]
	buffer_load_dword v20, off, s[0:3], 0 offset:112
	buffer_load_dword v21, off, s[0:3], 0 offset:116
	;; [unrolled: 1-line block ×92, first 2 shown]
	s_waitcnt vmcnt(62) lgkmcnt(3)
	v_mul_f64 v[62:63], v[14:15], v[28:29]
	v_fmac_f64_e32 v[62:63], v[16:17], v[22:23]
	s_waitcnt lgkmcnt(2)
	v_mul_f64 v[148:149], v[10:11], v[30:31]
	v_add_f64 v[62:63], v[62:63], 0
	v_fmac_f64_e32 v[148:149], v[12:13], v[24:25]
	v_add_f64 v[62:63], v[62:63], v[148:149]
	s_waitcnt lgkmcnt(1)
	v_mul_f64 v[148:149], v[6:7], v[32:33]
	v_fmac_f64_e32 v[148:149], v[8:9], v[26:27]
	v_add_f64 v[62:63], v[62:63], v[148:149]
	ds_read_b128 v[148:151], v146 offset:672
	v_mul_f64 v[16:17], v[16:17], v[28:29]
	v_fma_f64 v[14:15], v[14:15], v[22:23], -v[16:17]
	s_waitcnt lgkmcnt(1)
	v_mul_f64 v[152:153], v[2:3], v[98:99]
	v_mul_f64 v[12:13], v[12:13], v[30:31]
	v_fmac_f64_e32 v[152:153], v[4:5], v[100:101]
	v_add_f64 v[62:63], v[62:63], v[152:153]
	ds_read_b128 v[152:155], v146 offset:688
	s_waitcnt lgkmcnt(1)
	v_mul_f64 v[156:157], v[148:149], v[34:35]
	v_fmac_f64_e32 v[156:157], v[150:151], v[36:37]
	v_add_f64 v[62:63], v[62:63], v[156:157]
	ds_read_b128 v[156:159], v146 offset:704
	s_waitcnt lgkmcnt(1)
	v_mul_f64 v[160:161], v[152:153], v[106:107]
	s_waitcnt vmcnt(60)
	v_fmac_f64_e32 v[160:161], v[154:155], v[108:109]
	v_add_f64 v[62:63], v[62:63], v[160:161]
	ds_read_b128 v[160:163], v146 offset:720
	s_waitcnt lgkmcnt(1)
	v_mul_f64 v[164:165], v[156:157], v[102:103]
	v_fmac_f64_e32 v[164:165], v[158:159], v[104:105]
	v_add_f64 v[62:63], v[62:63], v[164:165]
	ds_read_b128 v[164:167], v146 offset:736
	s_waitcnt vmcnt(54) lgkmcnt(1)
	v_mul_f64 v[168:169], v[160:161], v[114:115]
	s_waitcnt vmcnt(52)
	v_fmac_f64_e32 v[168:169], v[162:163], v[116:117]
	v_add_f64 v[14:15], v[14:15], 0
	v_fma_f64 v[10:11], v[10:11], v[24:25], -v[12:13]
	v_mul_f64 v[8:9], v[8:9], v[32:33]
	v_add_f64 v[62:63], v[62:63], v[168:169]
	ds_read_b128 v[168:171], v146 offset:752
	s_waitcnt lgkmcnt(1)
	v_mul_f64 v[172:173], v[164:165], v[110:111]
	v_add_f64 v[10:11], v[14:15], v[10:11]
	v_fma_f64 v[6:7], v[6:7], v[26:27], -v[8:9]
	v_mul_f64 v[4:5], v[4:5], v[98:99]
	v_fmac_f64_e32 v[172:173], v[166:167], v[112:113]
	v_add_f64 v[6:7], v[10:11], v[6:7]
	v_fma_f64 v[2:3], v[2:3], v[100:101], -v[4:5]
	v_mul_f64 v[4:5], v[150:151], v[34:35]
	v_add_f64 v[62:63], v[62:63], v[172:173]
	ds_read_b128 v[172:175], v146 offset:768
	v_add_f64 v[2:3], v[6:7], v[2:3]
	v_fma_f64 v[4:5], v[148:149], v[36:37], -v[4:5]
	v_add_f64 v[2:3], v[2:3], v[4:5]
	v_mul_f64 v[4:5], v[154:155], v[106:107]
	v_fma_f64 v[4:5], v[152:153], v[108:109], -v[4:5]
	s_waitcnt vmcnt(46) lgkmcnt(1)
	v_mul_f64 v[176:177], v[168:169], v[122:123]
	v_add_f64 v[2:3], v[2:3], v[4:5]
	v_mul_f64 v[4:5], v[158:159], v[102:103]
	s_waitcnt vmcnt(44)
	v_fmac_f64_e32 v[176:177], v[170:171], v[124:125]
	v_fma_f64 v[4:5], v[156:157], v[104:105], -v[4:5]
	v_add_f64 v[62:63], v[62:63], v[176:177]
	ds_read_b128 v[176:179], v146 offset:784
	s_waitcnt lgkmcnt(1)
	v_mul_f64 v[180:181], v[172:173], v[118:119]
	v_add_f64 v[2:3], v[2:3], v[4:5]
	v_mul_f64 v[4:5], v[162:163], v[114:115]
	v_fmac_f64_e32 v[180:181], v[174:175], v[120:121]
	v_fma_f64 v[4:5], v[160:161], v[116:117], -v[4:5]
	v_add_f64 v[62:63], v[62:63], v[180:181]
	ds_read_b128 v[180:183], v146 offset:800
	v_add_f64 v[2:3], v[2:3], v[4:5]
	v_mul_f64 v[4:5], v[166:167], v[110:111]
	v_fma_f64 v[4:5], v[164:165], v[112:113], -v[4:5]
	v_add_f64 v[2:3], v[2:3], v[4:5]
	v_mul_f64 v[4:5], v[170:171], v[122:123]
	s_waitcnt vmcnt(38) lgkmcnt(1)
	v_mul_f64 v[184:185], v[176:177], v[130:131]
	v_fma_f64 v[4:5], v[168:169], v[124:125], -v[4:5]
	s_waitcnt vmcnt(36)
	v_fmac_f64_e32 v[184:185], v[178:179], v[132:133]
	v_add_f64 v[2:3], v[2:3], v[4:5]
	v_mul_f64 v[4:5], v[174:175], v[118:119]
	v_add_f64 v[62:63], v[62:63], v[184:185]
	ds_read_b128 v[184:187], v146 offset:816
	s_waitcnt lgkmcnt(1)
	v_mul_f64 v[188:189], v[180:181], v[126:127]
	v_fma_f64 v[4:5], v[172:173], v[120:121], -v[4:5]
	v_fmac_f64_e32 v[188:189], v[182:183], v[128:129]
	v_add_f64 v[2:3], v[2:3], v[4:5]
	v_mul_f64 v[4:5], v[178:179], v[130:131]
	v_add_f64 v[62:63], v[62:63], v[188:189]
	ds_read_b128 v[188:191], v146 offset:832
	ds_read_b128 v[196:199], v146 offset:848
	v_fma_f64 v[4:5], v[176:177], v[132:133], -v[4:5]
	v_add_f64 v[2:3], v[2:3], v[4:5]
	v_mul_f64 v[4:5], v[182:183], v[126:127]
	v_fma_f64 v[4:5], v[180:181], v[128:129], -v[4:5]
	v_add_f64 v[2:3], v[2:3], v[4:5]
	s_waitcnt vmcnt(30) lgkmcnt(2)
	v_mul_f64 v[4:5], v[186:187], v[138:139]
	ds_read_b128 v[232:235], v146 offset:864
	ds_read_b128 v[236:239], v146 offset:880
	s_waitcnt vmcnt(28)
	v_fma_f64 v[4:5], v[184:185], v[140:141], -v[4:5]
	v_mul_f64 v[194:195], v[184:185], v[138:139]
	v_add_f64 v[2:3], v[2:3], v[4:5]
	s_waitcnt lgkmcnt(3)
	v_mul_f64 v[4:5], v[190:191], v[134:135]
	v_fmac_f64_e32 v[194:195], v[186:187], v[140:141]
	v_fma_f64 v[4:5], v[188:189], v[136:137], -v[4:5]
	v_add_f64 v[62:63], v[62:63], v[194:195]
	v_mul_f64 v[194:195], v[188:189], v[134:135]
	v_add_f64 v[2:3], v[2:3], v[4:5]
	s_waitcnt vmcnt(22) lgkmcnt(2)
	v_mul_f64 v[4:5], v[198:199], v[42:43]
	v_fmac_f64_e32 v[194:195], v[190:191], v[136:137]
	ds_read_b128 v[240:243], v146 offset:896
	ds_read_b128 v[244:247], v146 offset:912
	s_waitcnt vmcnt(20)
	v_fma_f64 v[4:5], v[196:197], v[44:45], -v[4:5]
	v_add_f64 v[62:63], v[62:63], v[194:195]
	v_mul_f64 v[194:195], v[196:197], v[42:43]
	v_add_f64 v[2:3], v[2:3], v[4:5]
	s_waitcnt lgkmcnt(3)
	v_mul_f64 v[4:5], v[234:235], v[142:143]
	v_fmac_f64_e32 v[194:195], v[198:199], v[44:45]
	v_fma_f64 v[4:5], v[232:233], v[144:145], -v[4:5]
	v_add_f64 v[62:63], v[62:63], v[194:195]
	v_mul_f64 v[194:195], v[232:233], v[142:143]
	v_add_f64 v[2:3], v[2:3], v[4:5]
	s_waitcnt vmcnt(14) lgkmcnt(2)
	v_mul_f64 v[4:5], v[238:239], v[50:51]
	v_fmac_f64_e32 v[194:195], v[234:235], v[144:145]
	ds_read_b128 v[248:251], v146 offset:928
	ds_read_b128 v[252:255], v146 offset:944
	s_waitcnt vmcnt(12)
	v_fma_f64 v[4:5], v[236:237], v[52:53], -v[4:5]
	v_add_f64 v[62:63], v[62:63], v[194:195]
	v_mul_f64 v[194:195], v[236:237], v[50:51]
	v_add_f64 v[2:3], v[2:3], v[4:5]
	s_waitcnt lgkmcnt(3)
	v_mul_f64 v[4:5], v[242:243], v[46:47]
	v_fmac_f64_e32 v[194:195], v[238:239], v[52:53]
	v_fma_f64 v[4:5], v[240:241], v[48:49], -v[4:5]
	v_add_f64 v[62:63], v[62:63], v[194:195]
	v_mul_f64 v[194:195], v[240:241], v[46:47]
	v_add_f64 v[2:3], v[2:3], v[4:5]
	s_waitcnt vmcnt(6) lgkmcnt(2)
	v_mul_f64 v[4:5], v[246:247], v[58:59]
	v_fmac_f64_e32 v[194:195], v[242:243], v[48:49]
	s_waitcnt vmcnt(4)
	v_fma_f64 v[4:5], v[244:245], v[60:61], -v[4:5]
	v_add_f64 v[62:63], v[62:63], v[194:195]
	v_mul_f64 v[194:195], v[244:245], v[58:59]
	v_add_f64 v[2:3], v[2:3], v[4:5]
	s_waitcnt lgkmcnt(1)
	v_mul_f64 v[4:5], v[250:251], v[54:55]
	v_fmac_f64_e32 v[194:195], v[246:247], v[60:61]
	v_mul_f64 v[146:147], v[248:249], v[54:55]
	v_fma_f64 v[4:5], v[248:249], v[56:57], -v[4:5]
	v_add_f64 v[62:63], v[62:63], v[194:195]
	v_fmac_f64_e32 v[146:147], v[250:251], v[56:57]
	v_add_f64 v[2:3], v[2:3], v[4:5]
	s_waitcnt vmcnt(2) lgkmcnt(0)
	v_mul_f64 v[4:5], v[254:255], v[64:65]
	v_add_f64 v[62:63], v[62:63], v[146:147]
	v_mul_f64 v[146:147], v[252:253], v[64:65]
	s_waitcnt vmcnt(0)
	v_fma_f64 v[4:5], v[252:253], v[192:193], -v[4:5]
	v_fmac_f64_e32 v[146:147], v[254:255], v[192:193]
	v_add_f64 v[2:3], v[2:3], v[4:5]
	v_add_f64 v[62:63], v[62:63], v[146:147]
	v_add_f64 v[2:3], v[20:21], -v[2:3]
	v_cmp_lt_u32_e32 vcc, 6, v230
	v_add_f64 v[4:5], v[18:19], -v[62:63]
	buffer_store_dword v3, off, s[0:3], 0 offset:116
	buffer_store_dword v2, off, s[0:3], 0 offset:112
	;; [unrolled: 1-line block ×4, first 2 shown]
	s_and_saveexec_b64 s[6:7], vcc
	s_cbranch_execz .LBB29_181
; %bb.180:
	v_accvgpr_read_b32 v5, a72
	buffer_load_dword v2, v5, s[0:3], 0 offen
	buffer_load_dword v3, v5, s[0:3], 0 offen offset:4
	buffer_load_dword v4, v5, s[0:3], 0 offen offset:8
	s_nop 0
	buffer_load_dword v5, v5, s[0:3], 0 offen offset:12
	v_mov_b32_e32 v6, 0
	buffer_store_dword v6, off, s[0:3], 0 offset:96
	buffer_store_dword v6, off, s[0:3], 0 offset:100
	;; [unrolled: 1-line block ×4, first 2 shown]
	s_waitcnt vmcnt(4)
	ds_write_b128 v231, v[2:5]
.LBB29_181:
	s_or_b64 exec, exec, s[6:7]
	s_waitcnt lgkmcnt(0)
	; wave barrier
	s_waitcnt lgkmcnt(0)
	buffer_load_dword v9, off, s[0:3], 0 offset:124
	buffer_load_dword v6, off, s[0:3], 0 offset:136
	;; [unrolled: 1-line block ×64, first 2 shown]
	v_mov_b32_e32 v158, 0
	ds_read_b128 v[134:137], v158 offset:592
	ds_read_b128 v[138:141], v158 offset:608
	buffer_load_dword v127, off, s[0:3], 0 offset:380
	buffer_load_dword v126, off, s[0:3], 0 offset:376
	;; [unrolled: 1-line block ×8, first 2 shown]
	ds_read_b128 v[142:145], v158 offset:624
	ds_read_b128 v[146:149], v158 offset:640
	buffer_load_dword v47, off, s[0:3], 0 offset:412
	buffer_load_dword v46, off, s[0:3], 0 offset:408
	;; [unrolled: 1-line block ×24, first 2 shown]
	ds_read_b128 v[150:153], v158 offset:656
	ds_read_b128 v[154:157], v158 offset:672
	;; [unrolled: 1-line block ×19, first 2 shown]
	v_cmp_lt_u32_e32 vcc, 5, v230
	s_waitcnt vmcnt(62) lgkmcnt(14)
	v_mul_f64 v[44:45], v[138:139], v[6:7]
	v_mul_f64 v[42:43], v[134:135], v[8:9]
	;; [unrolled: 1-line block ×3, first 2 shown]
	v_fma_f64 v[8:9], v[134:135], v[10:11], -v[8:9]
	v_mul_f64 v[6:7], v[140:141], v[6:7]
	v_fmac_f64_e32 v[42:43], v[136:137], v[10:11]
	v_add_f64 v[8:9], v[8:9], 0
	v_add_f64 v[42:43], v[42:43], 0
	v_fma_f64 v[6:7], v[138:139], v[14:15], -v[6:7]
	v_fmac_f64_e32 v[44:45], v[140:141], v[14:15]
	v_add_f64 v[6:7], v[8:9], v[6:7]
	v_mul_f64 v[8:9], v[144:145], v[16:17]
	v_add_f64 v[42:43], v[42:43], v[44:45]
	v_mul_f64 v[44:45], v[142:143], v[16:17]
	v_fma_f64 v[8:9], v[142:143], v[12:13], -v[8:9]
	v_fmac_f64_e32 v[44:45], v[144:145], v[12:13]
	v_add_f64 v[6:7], v[6:7], v[8:9]
	v_mul_f64 v[8:9], v[148:149], v[22:23]
	v_add_f64 v[42:43], v[42:43], v[44:45]
	v_mul_f64 v[44:45], v[146:147], v[22:23]
	;; [unrolled: 6-line block ×5, first 2 shown]
	v_fma_f64 v[8:9], v[160:161], v[28:29], -v[8:9]
	v_fmac_f64_e32 v[44:45], v[162:163], v[28:29]
	v_add_f64 v[6:7], v[6:7], v[8:9]
	s_waitcnt vmcnt(58)
	v_mul_f64 v[8:9], v[166:167], v[98:99]
	v_add_f64 v[42:43], v[42:43], v[44:45]
	v_mul_f64 v[44:45], v[164:165], v[98:99]
	s_waitcnt vmcnt(56)
	v_fma_f64 v[8:9], v[164:165], v[100:101], -v[8:9]
	v_fmac_f64_e32 v[44:45], v[166:167], v[100:101]
	v_add_f64 v[6:7], v[6:7], v[8:9]
	v_mul_f64 v[8:9], v[170:171], v[34:35]
	v_add_f64 v[42:43], v[42:43], v[44:45]
	v_mul_f64 v[44:45], v[168:169], v[34:35]
	v_fma_f64 v[8:9], v[168:169], v[36:37], -v[8:9]
	v_fmac_f64_e32 v[44:45], v[170:171], v[36:37]
	v_add_f64 v[6:7], v[6:7], v[8:9]
	s_waitcnt vmcnt(50) lgkmcnt(13)
	v_mul_f64 v[8:9], v[174:175], v[106:107]
	v_add_f64 v[42:43], v[42:43], v[44:45]
	v_mul_f64 v[44:45], v[172:173], v[106:107]
	s_waitcnt vmcnt(48)
	v_fma_f64 v[8:9], v[172:173], v[108:109], -v[8:9]
	v_fmac_f64_e32 v[44:45], v[174:175], v[108:109]
	v_add_f64 v[6:7], v[6:7], v[8:9]
	s_waitcnt lgkmcnt(12)
	v_mul_f64 v[8:9], v[178:179], v[102:103]
	v_add_f64 v[42:43], v[42:43], v[44:45]
	v_mul_f64 v[44:45], v[176:177], v[102:103]
	v_fma_f64 v[8:9], v[176:177], v[104:105], -v[8:9]
	v_fmac_f64_e32 v[44:45], v[178:179], v[104:105]
	v_add_f64 v[6:7], v[6:7], v[8:9]
	s_waitcnt vmcnt(42) lgkmcnt(11)
	v_mul_f64 v[8:9], v[182:183], v[114:115]
	v_add_f64 v[42:43], v[42:43], v[44:45]
	v_mul_f64 v[44:45], v[180:181], v[114:115]
	s_waitcnt vmcnt(40)
	v_fma_f64 v[8:9], v[180:181], v[116:117], -v[8:9]
	v_fmac_f64_e32 v[44:45], v[182:183], v[116:117]
	v_add_f64 v[6:7], v[6:7], v[8:9]
	s_waitcnt lgkmcnt(10)
	v_mul_f64 v[8:9], v[186:187], v[110:111]
	v_add_f64 v[42:43], v[42:43], v[44:45]
	v_mul_f64 v[44:45], v[184:185], v[110:111]
	v_fma_f64 v[8:9], v[184:185], v[112:113], -v[8:9]
	v_fmac_f64_e32 v[44:45], v[186:187], v[112:113]
	v_add_f64 v[6:7], v[6:7], v[8:9]
	s_waitcnt vmcnt(34) lgkmcnt(9)
	v_mul_f64 v[8:9], v[190:191], v[122:123]
	v_add_f64 v[42:43], v[42:43], v[44:45]
	v_mul_f64 v[44:45], v[188:189], v[122:123]
	s_waitcnt vmcnt(32)
	v_fma_f64 v[8:9], v[188:189], v[124:125], -v[8:9]
	v_fmac_f64_e32 v[44:45], v[190:191], v[124:125]
	v_add_f64 v[6:7], v[6:7], v[8:9]
	s_waitcnt lgkmcnt(8)
	v_mul_f64 v[8:9], v[198:199], v[118:119]
	v_add_f64 v[42:43], v[42:43], v[44:45]
	v_mul_f64 v[44:45], v[196:197], v[118:119]
	v_fma_f64 v[8:9], v[196:197], v[120:121], -v[8:9]
	v_fmac_f64_e32 v[44:45], v[198:199], v[120:121]
	v_add_f64 v[6:7], v[6:7], v[8:9]
	s_waitcnt vmcnt(26) lgkmcnt(7)
	v_mul_f64 v[8:9], v[234:235], v[130:131]
	v_add_f64 v[42:43], v[42:43], v[44:45]
	v_mul_f64 v[44:45], v[232:233], v[130:131]
	s_waitcnt vmcnt(24)
	v_fma_f64 v[8:9], v[232:233], v[132:133], -v[8:9]
	v_fmac_f64_e32 v[44:45], v[234:235], v[132:133]
	v_add_f64 v[6:7], v[6:7], v[8:9]
	s_waitcnt lgkmcnt(6)
	v_mul_f64 v[8:9], v[238:239], v[126:127]
	v_add_f64 v[42:43], v[42:43], v[44:45]
	v_mul_f64 v[44:45], v[236:237], v[126:127]
	v_fma_f64 v[8:9], v[236:237], v[128:129], -v[8:9]
	v_fmac_f64_e32 v[44:45], v[238:239], v[128:129]
	v_add_f64 v[6:7], v[6:7], v[8:9]
	s_waitcnt vmcnt(18) lgkmcnt(5)
	v_mul_f64 v[8:9], v[242:243], v[50:51]
	v_add_f64 v[42:43], v[42:43], v[44:45]
	v_mul_f64 v[44:45], v[240:241], v[50:51]
	s_waitcnt vmcnt(16)
	v_fma_f64 v[8:9], v[240:241], v[52:53], -v[8:9]
	v_fmac_f64_e32 v[44:45], v[242:243], v[52:53]
	v_add_f64 v[6:7], v[6:7], v[8:9]
	s_waitcnt lgkmcnt(4)
	v_mul_f64 v[8:9], v[246:247], v[46:47]
	v_add_f64 v[42:43], v[42:43], v[44:45]
	v_mul_f64 v[44:45], v[244:245], v[46:47]
	v_fma_f64 v[8:9], v[244:245], v[48:49], -v[8:9]
	v_fmac_f64_e32 v[44:45], v[246:247], v[48:49]
	v_add_f64 v[6:7], v[6:7], v[8:9]
	s_waitcnt vmcnt(10) lgkmcnt(3)
	v_mul_f64 v[8:9], v[250:251], v[58:59]
	v_add_f64 v[42:43], v[42:43], v[44:45]
	v_mul_f64 v[44:45], v[248:249], v[58:59]
	s_waitcnt vmcnt(8)
	v_fma_f64 v[8:9], v[248:249], v[60:61], -v[8:9]
	v_fmac_f64_e32 v[44:45], v[250:251], v[60:61]
	v_add_f64 v[6:7], v[6:7], v[8:9]
	s_waitcnt lgkmcnt(2)
	v_mul_f64 v[8:9], v[254:255], v[54:55]
	v_add_f64 v[42:43], v[42:43], v[44:45]
	v_mul_f64 v[44:45], v[252:253], v[54:55]
	v_fma_f64 v[8:9], v[252:253], v[56:57], -v[8:9]
	v_fmac_f64_e32 v[44:45], v[254:255], v[56:57]
	v_add_f64 v[6:7], v[6:7], v[8:9]
	s_waitcnt vmcnt(2) lgkmcnt(1)
	v_mul_f64 v[8:9], v[202:203], v[192:193]
	v_add_f64 v[42:43], v[42:43], v[44:45]
	v_mul_f64 v[44:45], v[200:201], v[192:193]
	s_waitcnt vmcnt(0)
	v_fma_f64 v[8:9], v[200:201], v[194:195], -v[8:9]
	v_fmac_f64_e32 v[44:45], v[202:203], v[194:195]
	v_add_f64 v[6:7], v[6:7], v[8:9]
	s_waitcnt lgkmcnt(0)
	v_mul_f64 v[8:9], v[206:207], v[62:63]
	v_add_f64 v[42:43], v[42:43], v[44:45]
	v_mul_f64 v[44:45], v[204:205], v[62:63]
	v_fma_f64 v[8:9], v[204:205], v[64:65], -v[8:9]
	v_fmac_f64_e32 v[44:45], v[206:207], v[64:65]
	v_add_f64 v[6:7], v[6:7], v[8:9]
	v_add_f64 v[42:43], v[42:43], v[44:45]
	v_add_f64 v[4:5], v[4:5], -v[6:7]
	v_add_f64 v[2:3], v[2:3], -v[42:43]
	buffer_store_dword v5, off, s[0:3], 0 offset:100
	buffer_store_dword v4, off, s[0:3], 0 offset:96
	;; [unrolled: 1-line block ×4, first 2 shown]
	s_and_saveexec_b64 s[6:7], vcc
	s_cbranch_execz .LBB29_183
; %bb.182:
	v_accvgpr_read_b32 v5, a73
	buffer_load_dword v2, v5, s[0:3], 0 offen
	buffer_load_dword v3, v5, s[0:3], 0 offen offset:4
	buffer_load_dword v4, v5, s[0:3], 0 offen offset:8
	s_nop 0
	buffer_load_dword v5, v5, s[0:3], 0 offen offset:12
	s_nop 0
	buffer_store_dword v158, off, s[0:3], 0 offset:80
	buffer_store_dword v158, off, s[0:3], 0 offset:84
	;; [unrolled: 1-line block ×4, first 2 shown]
	s_waitcnt vmcnt(4)
	ds_write_b128 v231, v[2:5]
.LBB29_183:
	s_or_b64 exec, exec, s[6:7]
	s_waitcnt lgkmcnt(0)
	; wave barrier
	s_waitcnt lgkmcnt(0)
	buffer_load_dword v22, off, s[0:3], 0 offset:96
	buffer_load_dword v23, off, s[0:3], 0 offset:100
	;; [unrolled: 1-line block ×16, first 2 shown]
	ds_read_b128 v[2:5], v158 offset:576
	ds_read_b128 v[6:9], v158 offset:592
	;; [unrolled: 1-line block ×4, first 2 shown]
	buffer_load_dword v35, off, s[0:3], 0 offset:172
	buffer_load_dword v34, off, s[0:3], 0 offset:168
	buffer_load_dword v37, off, s[0:3], 0 offset:164
	buffer_load_dword v36, off, s[0:3], 0 offset:160
	buffer_load_dword v99, off, s[0:3], 0 offset:156
	buffer_load_dword v98, off, s[0:3], 0 offset:152
	buffer_load_dword v101, off, s[0:3], 0 offset:148
	buffer_load_dword v100, off, s[0:3], 0 offset:144
	buffer_load_dword v103, off, s[0:3], 0 offset:204
	buffer_load_dword v102, off, s[0:3], 0 offset:200
	buffer_load_dword v105, off, s[0:3], 0 offset:196
	buffer_load_dword v104, off, s[0:3], 0 offset:192
	buffer_load_dword v107, off, s[0:3], 0 offset:188
	buffer_load_dword v106, off, s[0:3], 0 offset:184
	buffer_load_dword v109, off, s[0:3], 0 offset:180
	buffer_load_dword v108, off, s[0:3], 0 offset:176
	buffer_load_dword v111, off, s[0:3], 0 offset:236
	buffer_load_dword v110, off, s[0:3], 0 offset:232
	buffer_load_dword v113, off, s[0:3], 0 offset:228
	buffer_load_dword v112, off, s[0:3], 0 offset:224
	buffer_load_dword v115, off, s[0:3], 0 offset:220
	buffer_load_dword v114, off, s[0:3], 0 offset:216
	buffer_load_dword v117, off, s[0:3], 0 offset:212
	buffer_load_dword v116, off, s[0:3], 0 offset:208
	buffer_load_dword v119, off, s[0:3], 0 offset:268
	buffer_load_dword v118, off, s[0:3], 0 offset:264
	buffer_load_dword v121, off, s[0:3], 0 offset:260
	buffer_load_dword v120, off, s[0:3], 0 offset:256
	buffer_load_dword v123, off, s[0:3], 0 offset:252
	buffer_load_dword v122, off, s[0:3], 0 offset:248
	buffer_load_dword v125, off, s[0:3], 0 offset:244
	buffer_load_dword v124, off, s[0:3], 0 offset:240
	buffer_load_dword v127, off, s[0:3], 0 offset:300
	buffer_load_dword v126, off, s[0:3], 0 offset:296
	buffer_load_dword v129, off, s[0:3], 0 offset:292
	buffer_load_dword v128, off, s[0:3], 0 offset:288
	buffer_load_dword v131, off, s[0:3], 0 offset:284
	buffer_load_dword v130, off, s[0:3], 0 offset:280
	buffer_load_dword v133, off, s[0:3], 0 offset:276
	buffer_load_dword v132, off, s[0:3], 0 offset:272
	buffer_load_dword v135, off, s[0:3], 0 offset:332
	buffer_load_dword v134, off, s[0:3], 0 offset:328
	buffer_load_dword v137, off, s[0:3], 0 offset:324
	buffer_load_dword v136, off, s[0:3], 0 offset:320
	buffer_load_dword v139, off, s[0:3], 0 offset:316
	buffer_load_dword v138, off, s[0:3], 0 offset:312
	buffer_load_dword v141, off, s[0:3], 0 offset:308
	buffer_load_dword v140, off, s[0:3], 0 offset:304
	v_cmp_lt_u32_e32 vcc, 4, v230
	s_waitcnt vmcnt(60) lgkmcnt(3)
	v_mul_f64 v[42:43], v[2:3], v[24:25]
	v_fmac_f64_e32 v[42:43], v[4:5], v[22:23]
	v_add_f64 v[42:43], v[42:43], 0
	v_mul_f64 v[4:5], v[4:5], v[24:25]
	s_waitcnt vmcnt(56) lgkmcnt(2)
	v_mul_f64 v[44:45], v[6:7], v[32:33]
	v_fma_f64 v[2:3], v[2:3], v[22:23], -v[4:5]
	v_mul_f64 v[4:5], v[8:9], v[32:33]
	v_add_f64 v[2:3], v[2:3], 0
	s_waitcnt vmcnt(52)
	v_fmac_f64_e32 v[44:45], v[8:9], v[28:29]
	v_add_f64 v[42:43], v[42:43], v[44:45]
	buffer_load_dword v143, off, s[0:3], 0 offset:364
	buffer_load_dword v142, off, s[0:3], 0 offset:360
	;; [unrolled: 1-line block ×32, first 2 shown]
	ds_read_b128 v[160:163], v158 offset:640
	buffer_load_dword v63, off, s[0:3], 0 offset:476
	buffer_load_dword v62, off, s[0:3], 0 offset:472
	;; [unrolled: 1-line block ×4, first 2 shown]
	v_fma_f64 v[4:5], v[6:7], v[28:29], -v[4:5]
	v_add_f64 v[2:3], v[2:3], v[4:5]
	s_waitcnt lgkmcnt(2)
	v_mul_f64 v[4:5], v[12:13], v[26:27]
	v_mul_f64 v[46:47], v[10:11], v[26:27]
	ds_read_b128 v[164:167], v158 offset:656
	ds_read_b128 v[168:171], v158 offset:672
	v_fma_f64 v[4:5], v[10:11], v[30:31], -v[4:5]
	v_fmac_f64_e32 v[46:47], v[12:13], v[30:31]
	v_add_f64 v[2:3], v[2:3], v[4:5]
	s_waitcnt vmcnt(62) lgkmcnt(3)
	v_mul_f64 v[4:5], v[16:17], v[98:99]
	v_add_f64 v[42:43], v[42:43], v[46:47]
	v_mul_f64 v[46:47], v[14:15], v[98:99]
	v_fma_f64 v[4:5], v[14:15], v[100:101], -v[4:5]
	v_fmac_f64_e32 v[46:47], v[16:17], v[100:101]
	v_add_f64 v[2:3], v[2:3], v[4:5]
	s_waitcnt lgkmcnt(2)
	v_mul_f64 v[4:5], v[162:163], v[34:35]
	v_add_f64 v[42:43], v[42:43], v[46:47]
	v_mul_f64 v[46:47], v[160:161], v[34:35]
	ds_read_b128 v[172:175], v158 offset:688
	ds_read_b128 v[176:179], v158 offset:704
	v_fma_f64 v[4:5], v[160:161], v[36:37], -v[4:5]
	v_fmac_f64_e32 v[46:47], v[162:163], v[36:37]
	v_add_f64 v[2:3], v[2:3], v[4:5]
	s_waitcnt lgkmcnt(3)
	v_mul_f64 v[4:5], v[166:167], v[106:107]
	v_add_f64 v[42:43], v[42:43], v[46:47]
	v_mul_f64 v[46:47], v[164:165], v[106:107]
	v_fma_f64 v[4:5], v[164:165], v[108:109], -v[4:5]
	v_fmac_f64_e32 v[46:47], v[166:167], v[108:109]
	v_add_f64 v[2:3], v[2:3], v[4:5]
	s_waitcnt lgkmcnt(2)
	v_mul_f64 v[4:5], v[170:171], v[102:103]
	v_add_f64 v[42:43], v[42:43], v[46:47]
	v_mul_f64 v[46:47], v[168:169], v[102:103]
	ds_read_b128 v[180:183], v158 offset:720
	ds_read_b128 v[184:187], v158 offset:736
	v_fma_f64 v[4:5], v[168:169], v[104:105], -v[4:5]
	v_fmac_f64_e32 v[46:47], v[170:171], v[104:105]
	v_add_f64 v[2:3], v[2:3], v[4:5]
	s_waitcnt lgkmcnt(3)
	v_mul_f64 v[4:5], v[174:175], v[114:115]
	v_add_f64 v[42:43], v[42:43], v[46:47]
	v_mul_f64 v[46:47], v[172:173], v[114:115]
	s_waitcnt vmcnt(60)
	v_fma_f64 v[4:5], v[172:173], v[116:117], -v[4:5]
	v_fmac_f64_e32 v[46:47], v[174:175], v[116:117]
	v_add_f64 v[2:3], v[2:3], v[4:5]
	s_waitcnt lgkmcnt(2)
	v_mul_f64 v[4:5], v[178:179], v[110:111]
	v_add_f64 v[42:43], v[42:43], v[46:47]
	v_mul_f64 v[46:47], v[176:177], v[110:111]
	ds_read_b128 v[188:191], v158 offset:752
	ds_read_b128 v[196:199], v158 offset:768
	v_fma_f64 v[4:5], v[176:177], v[112:113], -v[4:5]
	v_fmac_f64_e32 v[46:47], v[178:179], v[112:113]
	v_add_f64 v[2:3], v[2:3], v[4:5]
	s_waitcnt vmcnt(54) lgkmcnt(3)
	v_mul_f64 v[4:5], v[182:183], v[122:123]
	v_add_f64 v[42:43], v[42:43], v[46:47]
	v_mul_f64 v[46:47], v[180:181], v[122:123]
	s_waitcnt vmcnt(52)
	v_fma_f64 v[4:5], v[180:181], v[124:125], -v[4:5]
	v_fmac_f64_e32 v[46:47], v[182:183], v[124:125]
	v_add_f64 v[2:3], v[2:3], v[4:5]
	s_waitcnt lgkmcnt(2)
	v_mul_f64 v[4:5], v[186:187], v[118:119]
	v_add_f64 v[42:43], v[42:43], v[46:47]
	v_mul_f64 v[46:47], v[184:185], v[118:119]
	ds_read_b128 v[200:203], v158 offset:784
	ds_read_b128 v[204:207], v158 offset:800
	v_fma_f64 v[4:5], v[184:185], v[120:121], -v[4:5]
	v_fmac_f64_e32 v[46:47], v[186:187], v[120:121]
	v_add_f64 v[2:3], v[2:3], v[4:5]
	s_waitcnt vmcnt(46) lgkmcnt(3)
	;; [unrolled: 17-line block ×6, first 2 shown]
	v_mul_f64 v[4:5], v[250:251], v[50:51]
	v_add_f64 v[42:43], v[42:43], v[46:47]
	v_mul_f64 v[46:47], v[248:249], v[50:51]
	s_waitcnt vmcnt(12)
	v_fma_f64 v[4:5], v[248:249], v[52:53], -v[4:5]
	v_fmac_f64_e32 v[46:47], v[250:251], v[52:53]
	v_add_f64 v[2:3], v[2:3], v[4:5]
	s_waitcnt lgkmcnt(2)
	v_mul_f64 v[4:5], v[254:255], v[44:45]
	v_add_f64 v[42:43], v[42:43], v[46:47]
	v_mul_f64 v[46:47], v[252:253], v[44:45]
	ds_read_b128 v[216:219], v158 offset:944
	v_fma_f64 v[4:5], v[252:253], v[48:49], -v[4:5]
	v_fmac_f64_e32 v[46:47], v[254:255], v[48:49]
	v_add_f64 v[2:3], v[2:3], v[4:5]
	s_waitcnt vmcnt(6) lgkmcnt(2)
	v_mul_f64 v[4:5], v[210:211], v[58:59]
	v_add_f64 v[42:43], v[42:43], v[46:47]
	v_mul_f64 v[46:47], v[208:209], v[58:59]
	s_waitcnt vmcnt(4)
	v_fma_f64 v[4:5], v[208:209], v[60:61], -v[4:5]
	v_fmac_f64_e32 v[46:47], v[210:211], v[60:61]
	v_add_f64 v[2:3], v[2:3], v[4:5]
	s_waitcnt lgkmcnt(1)
	v_mul_f64 v[4:5], v[214:215], v[54:55]
	v_add_f64 v[42:43], v[42:43], v[46:47]
	v_mul_f64 v[46:47], v[212:213], v[54:55]
	v_fma_f64 v[4:5], v[212:213], v[56:57], -v[4:5]
	v_fmac_f64_e32 v[46:47], v[214:215], v[56:57]
	v_add_f64 v[2:3], v[2:3], v[4:5]
	s_waitcnt vmcnt(2) lgkmcnt(0)
	v_mul_f64 v[4:5], v[218:219], v[62:63]
	v_add_f64 v[42:43], v[42:43], v[46:47]
	v_mul_f64 v[46:47], v[216:217], v[62:63]
	s_waitcnt vmcnt(0)
	v_fma_f64 v[4:5], v[216:217], v[64:65], -v[4:5]
	v_fmac_f64_e32 v[46:47], v[218:219], v[64:65]
	v_add_f64 v[2:3], v[2:3], v[4:5]
	v_add_f64 v[42:43], v[42:43], v[46:47]
	v_add_f64 v[2:3], v[20:21], -v[2:3]
	v_add_f64 v[4:5], v[18:19], -v[42:43]
	buffer_store_dword v3, off, s[0:3], 0 offset:84
	buffer_store_dword v2, off, s[0:3], 0 offset:80
	;; [unrolled: 1-line block ×4, first 2 shown]
	s_and_saveexec_b64 s[6:7], vcc
	s_cbranch_execz .LBB29_185
; %bb.184:
	v_accvgpr_read_b32 v5, a71
	buffer_load_dword v2, v5, s[0:3], 0 offen
	buffer_load_dword v3, v5, s[0:3], 0 offen offset:4
	buffer_load_dword v4, v5, s[0:3], 0 offen offset:8
	s_nop 0
	buffer_load_dword v5, v5, s[0:3], 0 offen offset:12
	v_mov_b32_e32 v6, 0
	buffer_store_dword v6, off, s[0:3], 0 offset:64
	buffer_store_dword v6, off, s[0:3], 0 offset:68
	;; [unrolled: 1-line block ×4, first 2 shown]
	s_waitcnt vmcnt(4)
	ds_write_b128 v231, v[2:5]
.LBB29_185:
	s_or_b64 exec, exec, s[6:7]
	s_waitcnt lgkmcnt(0)
	; wave barrier
	s_waitcnt lgkmcnt(0)
	buffer_load_dword v22, off, s[0:3], 0 offset:80
	buffer_load_dword v23, off, s[0:3], 0 offset:84
	;; [unrolled: 1-line block ×64, first 2 shown]
	v_mov_b32_e32 v174, 0
	ds_read_b128 v[18:21], v174 offset:560
	ds_read_b128 v[14:17], v174 offset:576
	;; [unrolled: 1-line block ×5, first 2 shown]
	v_cmp_lt_u32_e32 vcc, 3, v230
	s_waitcnt vmcnt(60) lgkmcnt(4)
	v_mul_f64 v[42:43], v[18:19], v[26:27]
	v_fmac_f64_e32 v[42:43], v[20:21], v[22:23]
	v_add_f64 v[42:43], v[42:43], 0
	v_mul_f64 v[20:21], v[20:21], v[26:27]
	s_waitcnt vmcnt(56) lgkmcnt(3)
	v_mul_f64 v[44:45], v[14:15], v[28:29]
	v_fmac_f64_e32 v[44:45], v[16:17], v[24:25]
	s_waitcnt vmcnt(54) lgkmcnt(2)
	v_mul_f64 v[46:47], v[10:11], v[30:31]
	v_add_f64 v[42:43], v[42:43], v[44:45]
	v_fma_f64 v[18:19], v[18:19], v[22:23], -v[20:21]
	v_mul_f64 v[16:17], v[16:17], v[28:29]
	s_waitcnt vmcnt(50) lgkmcnt(1)
	v_mul_f64 v[48:49], v[6:7], v[100:101]
	v_add_f64 v[18:19], v[18:19], 0
	s_waitcnt vmcnt(48)
	v_fmac_f64_e32 v[46:47], v[12:13], v[104:105]
	v_add_f64 v[42:43], v[42:43], v[46:47]
	buffer_load_dword v147, off, s[0:3], 0 offset:348
	buffer_load_dword v146, off, s[0:3], 0 offset:344
	;; [unrolled: 1-line block ×40, first 2 shown]
	ds_read_b128 v[162:165], v174 offset:640
	ds_read_b128 v[166:169], v174 offset:656
	s_waitcnt vmcnt(62)
	v_fmac_f64_e32 v[48:49], v[8:9], v[102:103]
	v_fma_f64 v[14:15], v[14:15], v[24:25], -v[16:17]
	v_mul_f64 v[12:13], v[12:13], v[30:31]
	v_add_f64 v[42:43], v[42:43], v[48:49]
	s_waitcnt lgkmcnt(2)
	v_mul_f64 v[48:49], v[2:3], v[36:37]
	v_add_f64 v[14:15], v[18:19], v[14:15]
	v_fma_f64 v[10:11], v[10:11], v[104:105], -v[12:13]
	v_mul_f64 v[8:9], v[8:9], v[100:101]
	v_fmac_f64_e32 v[48:49], v[4:5], v[98:99]
	ds_read_b128 v[170:173], v174 offset:672
	ds_read_b128 v[176:179], v174 offset:688
	v_add_f64 v[10:11], v[14:15], v[10:11]
	v_fma_f64 v[6:7], v[6:7], v[102:103], -v[8:9]
	v_mul_f64 v[4:5], v[4:5], v[36:37]
	v_add_f64 v[6:7], v[10:11], v[6:7]
	v_fma_f64 v[2:3], v[2:3], v[98:99], -v[4:5]
	s_waitcnt lgkmcnt(3)
	v_mul_f64 v[4:5], v[164:165], v[110:111]
	v_add_f64 v[42:43], v[42:43], v[48:49]
	v_mul_f64 v[48:49], v[162:163], v[110:111]
	v_add_f64 v[2:3], v[6:7], v[2:3]
	v_fma_f64 v[4:5], v[162:163], v[112:113], -v[4:5]
	v_fmac_f64_e32 v[48:49], v[164:165], v[112:113]
	v_add_f64 v[2:3], v[2:3], v[4:5]
	s_waitcnt lgkmcnt(2)
	v_mul_f64 v[4:5], v[168:169], v[106:107]
	v_add_f64 v[42:43], v[42:43], v[48:49]
	v_mul_f64 v[48:49], v[166:167], v[106:107]
	ds_read_b128 v[180:183], v174 offset:704
	ds_read_b128 v[184:187], v174 offset:720
	v_fma_f64 v[4:5], v[166:167], v[108:109], -v[4:5]
	v_fmac_f64_e32 v[48:49], v[168:169], v[108:109]
	v_add_f64 v[2:3], v[2:3], v[4:5]
	s_waitcnt lgkmcnt(3)
	v_mul_f64 v[4:5], v[172:173], v[118:119]
	v_add_f64 v[42:43], v[42:43], v[48:49]
	v_mul_f64 v[48:49], v[170:171], v[118:119]
	v_fma_f64 v[4:5], v[170:171], v[120:121], -v[4:5]
	v_fmac_f64_e32 v[48:49], v[172:173], v[120:121]
	v_add_f64 v[2:3], v[2:3], v[4:5]
	s_waitcnt lgkmcnt(2)
	v_mul_f64 v[4:5], v[178:179], v[114:115]
	v_add_f64 v[42:43], v[42:43], v[48:49]
	v_mul_f64 v[48:49], v[176:177], v[114:115]
	ds_read_b128 v[188:191], v174 offset:736
	ds_read_b128 v[196:199], v174 offset:752
	v_fma_f64 v[4:5], v[176:177], v[116:117], -v[4:5]
	v_fmac_f64_e32 v[48:49], v[178:179], v[116:117]
	v_add_f64 v[2:3], v[2:3], v[4:5]
	s_waitcnt vmcnt(58) lgkmcnt(3)
	v_mul_f64 v[4:5], v[182:183], v[126:127]
	v_add_f64 v[42:43], v[42:43], v[48:49]
	v_mul_f64 v[48:49], v[180:181], v[126:127]
	s_waitcnt vmcnt(56)
	v_fma_f64 v[4:5], v[180:181], v[128:129], -v[4:5]
	v_fmac_f64_e32 v[48:49], v[182:183], v[128:129]
	v_add_f64 v[2:3], v[2:3], v[4:5]
	s_waitcnt lgkmcnt(2)
	v_mul_f64 v[4:5], v[186:187], v[122:123]
	v_add_f64 v[42:43], v[42:43], v[48:49]
	v_mul_f64 v[48:49], v[184:185], v[122:123]
	ds_read_b128 v[200:203], v174 offset:768
	ds_read_b128 v[204:207], v174 offset:784
	v_fma_f64 v[4:5], v[184:185], v[124:125], -v[4:5]
	v_fmac_f64_e32 v[48:49], v[186:187], v[124:125]
	v_add_f64 v[2:3], v[2:3], v[4:5]
	s_waitcnt vmcnt(50) lgkmcnt(3)
	v_mul_f64 v[4:5], v[190:191], v[134:135]
	v_add_f64 v[42:43], v[42:43], v[48:49]
	v_mul_f64 v[48:49], v[188:189], v[134:135]
	s_waitcnt vmcnt(48)
	;; [unrolled: 17-line block ×7, first 2 shown]
	v_fma_f64 v[4:5], v[244:245], v[60:61], -v[4:5]
	v_fmac_f64_e32 v[48:49], v[246:247], v[60:61]
	v_add_f64 v[2:3], v[2:3], v[4:5]
	s_waitcnt lgkmcnt(2)
	v_mul_f64 v[4:5], v[250:251], v[54:55]
	v_add_f64 v[42:43], v[42:43], v[48:49]
	v_mul_f64 v[48:49], v[248:249], v[54:55]
	v_fma_f64 v[4:5], v[248:249], v[56:57], -v[4:5]
	v_fmac_f64_e32 v[48:49], v[250:251], v[56:57]
	v_add_f64 v[2:3], v[2:3], v[4:5]
	s_waitcnt vmcnt(2) lgkmcnt(1)
	v_mul_f64 v[4:5], v[254:255], v[192:193]
	v_add_f64 v[42:43], v[42:43], v[48:49]
	v_mul_f64 v[48:49], v[252:253], v[192:193]
	s_waitcnt vmcnt(0)
	v_fma_f64 v[4:5], v[252:253], v[194:195], -v[4:5]
	v_fmac_f64_e32 v[48:49], v[254:255], v[194:195]
	v_add_f64 v[2:3], v[2:3], v[4:5]
	s_waitcnt lgkmcnt(0)
	v_mul_f64 v[4:5], v[222:223], v[62:63]
	v_add_f64 v[42:43], v[42:43], v[48:49]
	v_mul_f64 v[48:49], v[220:221], v[62:63]
	v_fma_f64 v[4:5], v[220:221], v[64:65], -v[4:5]
	v_fmac_f64_e32 v[48:49], v[222:223], v[64:65]
	v_add_f64 v[2:3], v[2:3], v[4:5]
	v_add_f64 v[42:43], v[42:43], v[48:49]
	v_add_f64 v[2:3], v[34:35], -v[2:3]
	v_add_f64 v[4:5], v[32:33], -v[42:43]
	buffer_store_dword v3, off, s[0:3], 0 offset:68
	buffer_store_dword v2, off, s[0:3], 0 offset:64
	;; [unrolled: 1-line block ×4, first 2 shown]
	s_and_saveexec_b64 s[6:7], vcc
	s_cbranch_execz .LBB29_187
; %bb.186:
	v_accvgpr_read_b32 v5, a75
	buffer_load_dword v2, v5, s[0:3], 0 offen
	buffer_load_dword v3, v5, s[0:3], 0 offen offset:4
	buffer_load_dword v4, v5, s[0:3], 0 offen offset:8
	s_nop 0
	buffer_load_dword v5, v5, s[0:3], 0 offen offset:12
	s_nop 0
	buffer_store_dword v174, off, s[0:3], 0 offset:48
	buffer_store_dword v174, off, s[0:3], 0 offset:52
	;; [unrolled: 1-line block ×4, first 2 shown]
	s_waitcnt vmcnt(4)
	ds_write_b128 v231, v[2:5]
.LBB29_187:
	s_or_b64 exec, exec, s[6:7]
	s_waitcnt lgkmcnt(0)
	; wave barrier
	s_waitcnt lgkmcnt(0)
	buffer_load_dword v26, off, s[0:3], 0 offset:64
	buffer_load_dword v27, off, s[0:3], 0 offset:68
	;; [unrolled: 1-line block ×24, first 2 shown]
	ds_read_b128 v[22:25], v174 offset:544
	ds_read_b128 v[18:21], v174 offset:560
	;; [unrolled: 1-line block ×6, first 2 shown]
	buffer_load_dword v111, off, s[0:3], 0 offset:172
	buffer_load_dword v110, off, s[0:3], 0 offset:168
	;; [unrolled: 1-line block ×40, first 2 shown]
	v_cmp_lt_u32_e32 vcc, 2, v230
	s_waitcnt vmcnt(60) lgkmcnt(5)
	v_mul_f64 v[42:43], v[22:23], v[28:29]
	v_fmac_f64_e32 v[42:43], v[24:25], v[26:27]
	s_waitcnt vmcnt(58) lgkmcnt(4)
	v_mul_f64 v[44:45], v[18:19], v[30:31]
	v_add_f64 v[42:43], v[42:43], 0
	s_waitcnt vmcnt(56) lgkmcnt(3)
	v_mul_f64 v[46:47], v[10:11], v[32:33]
	v_mul_f64 v[24:25], v[24:25], v[28:29]
	s_waitcnt vmcnt(54) lgkmcnt(1)
	v_mul_f64 v[50:51], v[2:3], v[98:99]
	v_fma_f64 v[22:23], v[22:23], v[26:27], -v[24:25]
	v_add_f64 v[22:23], v[22:23], 0
	s_waitcnt vmcnt(51)
	v_mul_f64 v[48:49], v[6:7], v[102:103]
	s_waitcnt vmcnt(49)
	v_fmac_f64_e32 v[44:45], v[20:21], v[108:109]
	v_add_f64 v[42:43], v[42:43], v[44:45]
	s_waitcnt vmcnt(47)
	v_fmac_f64_e32 v[46:47], v[12:13], v[106:107]
	v_add_f64 v[42:43], v[42:43], v[46:47]
	;; [unrolled: 3-line block ×3, first 2 shown]
	buffer_load_dword v151, off, s[0:3], 0 offset:332
	buffer_load_dword v150, off, s[0:3], 0 offset:328
	;; [unrolled: 1-line block ×40, first 2 shown]
	s_waitcnt vmcnt(62)
	v_fmac_f64_e32 v[50:51], v[4:5], v[100:101]
	v_add_f64 v[42:43], v[42:43], v[50:51]
	ds_read_b128 v[176:179], v174 offset:640
	buffer_load_dword v51, off, s[0:3], 0 offset:476
	buffer_load_dword v50, off, s[0:3], 0 offset:472
	;; [unrolled: 1-line block ×4, first 2 shown]
	v_mul_f64 v[20:21], v[20:21], v[30:31]
	v_fma_f64 v[18:19], v[18:19], v[108:109], -v[20:21]
	v_mul_f64 v[12:13], v[12:13], v[32:33]
	ds_read_b128 v[180:183], v174 offset:656
	ds_read_b128 v[184:187], v174 offset:672
	v_add_f64 v[18:19], v[22:23], v[18:19]
	v_fma_f64 v[10:11], v[10:11], v[106:107], -v[12:13]
	v_mul_f64 v[8:9], v[8:9], v[102:103]
	s_waitcnt lgkmcnt(3)
	v_mul_f64 v[44:45], v[14:15], v[114:115]
	v_add_f64 v[10:11], v[18:19], v[10:11]
	v_fma_f64 v[6:7], v[6:7], v[104:105], -v[8:9]
	v_mul_f64 v[4:5], v[4:5], v[98:99]
	v_fmac_f64_e32 v[44:45], v[16:17], v[116:117]
	v_add_f64 v[6:7], v[10:11], v[6:7]
	v_fma_f64 v[2:3], v[2:3], v[100:101], -v[4:5]
	v_mul_f64 v[4:5], v[16:17], v[114:115]
	v_add_f64 v[42:43], v[42:43], v[44:45]
	s_waitcnt lgkmcnt(2)
	v_mul_f64 v[44:45], v[176:177], v[110:111]
	v_add_f64 v[2:3], v[6:7], v[2:3]
	v_fma_f64 v[4:5], v[14:15], v[116:117], -v[4:5]
	v_fmac_f64_e32 v[44:45], v[178:179], v[112:113]
	ds_read_b128 v[188:191], v174 offset:688
	ds_read_b128 v[196:199], v174 offset:704
	v_add_f64 v[2:3], v[2:3], v[4:5]
	v_mul_f64 v[4:5], v[178:179], v[110:111]
	v_add_f64 v[42:43], v[42:43], v[44:45]
	s_waitcnt lgkmcnt(3)
	v_mul_f64 v[44:45], v[180:181], v[122:123]
	v_fma_f64 v[4:5], v[176:177], v[112:113], -v[4:5]
	v_fmac_f64_e32 v[44:45], v[182:183], v[124:125]
	v_add_f64 v[2:3], v[2:3], v[4:5]
	v_mul_f64 v[4:5], v[182:183], v[122:123]
	v_add_f64 v[42:43], v[42:43], v[44:45]
	s_waitcnt lgkmcnt(2)
	v_mul_f64 v[44:45], v[184:185], v[118:119]
	v_fma_f64 v[4:5], v[180:181], v[124:125], -v[4:5]
	v_fmac_f64_e32 v[44:45], v[186:187], v[120:121]
	ds_read_b128 v[200:203], v174 offset:720
	ds_read_b128 v[204:207], v174 offset:736
	v_add_f64 v[2:3], v[2:3], v[4:5]
	v_mul_f64 v[4:5], v[186:187], v[118:119]
	v_add_f64 v[42:43], v[42:43], v[44:45]
	s_waitcnt vmcnt(62) lgkmcnt(3)
	v_mul_f64 v[44:45], v[188:189], v[130:131]
	v_fma_f64 v[4:5], v[184:185], v[120:121], -v[4:5]
	s_waitcnt vmcnt(60)
	v_fmac_f64_e32 v[44:45], v[190:191], v[132:133]
	v_add_f64 v[2:3], v[2:3], v[4:5]
	v_mul_f64 v[4:5], v[190:191], v[130:131]
	v_add_f64 v[42:43], v[42:43], v[44:45]
	s_waitcnt lgkmcnt(2)
	v_mul_f64 v[44:45], v[196:197], v[126:127]
	v_fma_f64 v[4:5], v[188:189], v[132:133], -v[4:5]
	v_fmac_f64_e32 v[44:45], v[198:199], v[128:129]
	ds_read_b128 v[208:211], v174 offset:752
	ds_read_b128 v[212:215], v174 offset:768
	v_add_f64 v[2:3], v[2:3], v[4:5]
	v_mul_f64 v[4:5], v[198:199], v[126:127]
	v_add_f64 v[42:43], v[42:43], v[44:45]
	s_waitcnt vmcnt(54) lgkmcnt(3)
	v_mul_f64 v[44:45], v[200:201], v[138:139]
	v_fma_f64 v[4:5], v[196:197], v[128:129], -v[4:5]
	s_waitcnt vmcnt(52)
	;; [unrolled: 17-line block ×6, first 2 shown]
	v_fmac_f64_e32 v[44:45], v[242:243], v[172:173]
	v_add_f64 v[2:3], v[2:3], v[4:5]
	v_mul_f64 v[4:5], v[242:243], v[170:171]
	v_add_f64 v[42:43], v[42:43], v[44:45]
	s_waitcnt lgkmcnt(2)
	v_mul_f64 v[44:45], v[244:245], v[166:167]
	v_fma_f64 v[4:5], v[240:241], v[172:173], -v[4:5]
	v_fmac_f64_e32 v[44:45], v[246:247], v[168:169]
	v_add_f64 v[2:3], v[2:3], v[4:5]
	v_mul_f64 v[4:5], v[246:247], v[166:167]
	v_add_f64 v[42:43], v[42:43], v[44:45]
	s_waitcnt vmcnt(14) lgkmcnt(1)
	v_mul_f64 v[44:45], v[248:249], v[52:53]
	ds_read_b128 v[224:227], v174 offset:912
	ds_read_b128 v[192:195], v174 offset:928
	v_fma_f64 v[4:5], v[244:245], v[168:169], -v[4:5]
	s_waitcnt vmcnt(12)
	v_fmac_f64_e32 v[44:45], v[250:251], v[54:55]
	v_add_f64 v[2:3], v[2:3], v[4:5]
	v_mul_f64 v[4:5], v[250:251], v[52:53]
	v_add_f64 v[42:43], v[42:43], v[44:45]
	s_waitcnt lgkmcnt(2)
	v_mul_f64 v[44:45], v[252:253], v[46:47]
	v_fma_f64 v[4:5], v[248:249], v[54:55], -v[4:5]
	v_fmac_f64_e32 v[44:45], v[254:255], v[48:49]
	v_add_f64 v[2:3], v[2:3], v[4:5]
	v_mul_f64 v[4:5], v[254:255], v[46:47]
	v_add_f64 v[228:229], v[42:43], v[44:45]
	ds_read_b128 v[42:45], v174 offset:944
	v_fma_f64 v[4:5], v[252:253], v[48:49], -v[4:5]
	v_add_f64 v[2:3], v[2:3], v[4:5]
	s_waitcnt vmcnt(6) lgkmcnt(2)
	v_mul_f64 v[4:5], v[226:227], v[60:61]
	s_waitcnt vmcnt(4)
	v_fma_f64 v[4:5], v[224:225], v[62:63], -v[4:5]
	v_mul_f64 v[38:39], v[224:225], v[60:61]
	v_add_f64 v[2:3], v[2:3], v[4:5]
	s_waitcnt lgkmcnt(1)
	v_mul_f64 v[4:5], v[194:195], v[56:57]
	v_fmac_f64_e32 v[38:39], v[226:227], v[62:63]
	v_mul_f64 v[174:175], v[192:193], v[56:57]
	v_fma_f64 v[4:5], v[192:193], v[58:59], -v[4:5]
	v_add_f64 v[38:39], v[228:229], v[38:39]
	v_fmac_f64_e32 v[174:175], v[194:195], v[58:59]
	v_add_f64 v[2:3], v[2:3], v[4:5]
	s_waitcnt vmcnt(2) lgkmcnt(0)
	v_mul_f64 v[4:5], v[44:45], v[50:51]
	v_add_f64 v[38:39], v[38:39], v[174:175]
	v_mul_f64 v[174:175], v[42:43], v[50:51]
	s_waitcnt vmcnt(0)
	v_fma_f64 v[4:5], v[42:43], v[64:65], -v[4:5]
	v_fmac_f64_e32 v[174:175], v[44:45], v[64:65]
	v_add_f64 v[2:3], v[2:3], v[4:5]
	v_add_f64 v[38:39], v[38:39], v[174:175]
	v_add_f64 v[2:3], v[36:37], -v[2:3]
	v_add_f64 v[4:5], v[34:35], -v[38:39]
	buffer_store_dword v3, off, s[0:3], 0 offset:52
	buffer_store_dword v2, off, s[0:3], 0 offset:48
	;; [unrolled: 1-line block ×4, first 2 shown]
	s_and_saveexec_b64 s[6:7], vcc
	s_cbranch_execz .LBB29_189
; %bb.188:
	buffer_load_dword v2, v1, s[0:3], 0 offen
	buffer_load_dword v3, v1, s[0:3], 0 offen offset:4
	buffer_load_dword v4, v1, s[0:3], 0 offen offset:8
	;; [unrolled: 1-line block ×3, first 2 shown]
	v_mov_b32_e32 v6, 0
	buffer_store_dword v6, off, s[0:3], 0 offset:32
	buffer_store_dword v6, off, s[0:3], 0 offset:36
	;; [unrolled: 1-line block ×4, first 2 shown]
	s_waitcnt vmcnt(4)
	ds_write_b128 v231, v[2:5]
.LBB29_189:
	s_or_b64 exec, exec, s[6:7]
	s_waitcnt lgkmcnt(0)
	; wave barrier
	s_waitcnt lgkmcnt(0)
	buffer_load_dword v30, off, s[0:3], 0 offset:48
	buffer_load_dword v31, off, s[0:3], 0 offset:52
	;; [unrolled: 1-line block ×56, first 2 shown]
	v_mov_b32_e32 v195, 0
	ds_read_b128 v[26:29], v195 offset:528
	ds_read_b128 v[22:25], v195 offset:544
	;; [unrolled: 1-line block ×7, first 2 shown]
	v_cmp_lt_u32_e32 vcc, 1, v230
	s_waitcnt vmcnt(52) lgkmcnt(6)
	v_mul_f64 v[38:39], v[26:27], v[34:35]
	v_fmac_f64_e32 v[38:39], v[28:29], v[30:31]
	v_add_f64 v[38:39], v[38:39], 0
	v_mul_f64 v[28:29], v[28:29], v[34:35]
	s_waitcnt vmcnt(48) lgkmcnt(5)
	v_mul_f64 v[42:43], v[22:23], v[36:37]
	v_fmac_f64_e32 v[42:43], v[24:25], v[32:33]
	s_waitcnt vmcnt(46) lgkmcnt(4)
	v_mul_f64 v[44:45], v[18:19], v[98:99]
	v_add_f64 v[38:39], v[38:39], v[42:43]
	s_waitcnt vmcnt(44) lgkmcnt(2)
	v_mul_f64 v[48:49], v[10:11], v[100:101]
	v_fma_f64 v[26:27], v[26:27], v[30:31], -v[28:29]
	s_waitcnt vmcnt(42)
	v_fmac_f64_e32 v[48:49], v[12:13], v[102:103]
	v_mul_f64 v[24:25], v[24:25], v[36:37]
	s_waitcnt vmcnt(40)
	v_mul_f64 v[46:47], v[14:15], v[108:109]
	v_add_f64 v[26:27], v[26:27], 0
	v_fma_f64 v[22:23], v[22:23], v[32:33], -v[24:25]
	v_add_f64 v[22:23], v[26:27], v[22:23]
	s_waitcnt vmcnt(36) lgkmcnt(1)
	v_mul_f64 v[170:171], v[6:7], v[114:115]
	v_mul_f64 v[12:13], v[12:13], v[100:101]
	s_waitcnt vmcnt(34)
	v_fmac_f64_e32 v[44:45], v[20:21], v[120:121]
	v_add_f64 v[38:39], v[38:39], v[44:45]
	s_waitcnt vmcnt(32)
	v_fmac_f64_e32 v[46:47], v[16:17], v[118:119]
	v_add_f64 v[38:39], v[38:39], v[46:47]
	v_add_f64 v[176:177], v[38:39], v[48:49]
	buffer_load_dword v147, off, s[0:3], 0 offset:284
	buffer_load_dword v146, off, s[0:3], 0 offset:280
	;; [unrolled: 1-line block ×56, first 2 shown]
	ds_read_b128 v[42:45], v195 offset:640
	ds_read_b128 v[184:187], v195 offset:656
	s_waitcnt vmcnt(62)
	v_fmac_f64_e32 v[170:171], v[8:9], v[116:117]
	s_waitcnt lgkmcnt(2)
	v_mul_f64 v[48:49], v[2:3], v[110:111]
	v_mul_f64 v[20:21], v[20:21], v[98:99]
	v_add_f64 v[46:47], v[176:177], v[170:171]
	v_fmac_f64_e32 v[48:49], v[4:5], v[112:113]
	ds_read_b128 v[188:191], v195 offset:672
	ds_read_b128 v[196:199], v195 offset:688
	v_fma_f64 v[18:19], v[18:19], v[120:121], -v[20:21]
	v_mul_f64 v[16:17], v[16:17], v[108:109]
	v_add_f64 v[46:47], v[46:47], v[48:49]
	s_waitcnt lgkmcnt(3)
	v_mul_f64 v[48:49], v[42:43], v[126:127]
	v_add_f64 v[18:19], v[22:23], v[18:19]
	v_fma_f64 v[14:15], v[14:15], v[118:119], -v[16:17]
	v_fmac_f64_e32 v[48:49], v[44:45], v[128:129]
	v_add_f64 v[14:15], v[18:19], v[14:15]
	v_fma_f64 v[10:11], v[10:11], v[102:103], -v[12:13]
	v_mul_f64 v[8:9], v[8:9], v[114:115]
	v_add_f64 v[46:47], v[46:47], v[48:49]
	s_waitcnt lgkmcnt(2)
	v_mul_f64 v[48:49], v[184:185], v[122:123]
	v_add_f64 v[10:11], v[14:15], v[10:11]
	v_fma_f64 v[6:7], v[6:7], v[116:117], -v[8:9]
	v_mul_f64 v[4:5], v[4:5], v[110:111]
	v_fmac_f64_e32 v[48:49], v[186:187], v[124:125]
	ds_read_b128 v[200:203], v195 offset:704
	ds_read_b128 v[204:207], v195 offset:720
	v_add_f64 v[6:7], v[10:11], v[6:7]
	v_fma_f64 v[2:3], v[2:3], v[112:113], -v[4:5]
	v_mul_f64 v[4:5], v[44:45], v[126:127]
	v_add_f64 v[46:47], v[46:47], v[48:49]
	s_waitcnt lgkmcnt(3)
	v_mul_f64 v[48:49], v[188:189], v[134:135]
	v_add_f64 v[2:3], v[6:7], v[2:3]
	v_fma_f64 v[4:5], v[42:43], v[128:129], -v[4:5]
	v_fmac_f64_e32 v[48:49], v[190:191], v[136:137]
	v_add_f64 v[2:3], v[2:3], v[4:5]
	v_mul_f64 v[4:5], v[186:187], v[122:123]
	v_add_f64 v[46:47], v[46:47], v[48:49]
	s_waitcnt lgkmcnt(2)
	v_mul_f64 v[48:49], v[196:197], v[130:131]
	v_fma_f64 v[4:5], v[184:185], v[124:125], -v[4:5]
	v_fmac_f64_e32 v[48:49], v[198:199], v[132:133]
	ds_read_b128 v[208:211], v195 offset:736
	ds_read_b128 v[212:215], v195 offset:752
	v_add_f64 v[2:3], v[2:3], v[4:5]
	v_mul_f64 v[4:5], v[190:191], v[134:135]
	v_add_f64 v[46:47], v[46:47], v[48:49]
	s_waitcnt vmcnt(58) lgkmcnt(3)
	v_mul_f64 v[48:49], v[200:201], v[142:143]
	v_fma_f64 v[4:5], v[188:189], v[136:137], -v[4:5]
	s_waitcnt vmcnt(56)
	v_fmac_f64_e32 v[48:49], v[202:203], v[144:145]
	v_add_f64 v[2:3], v[2:3], v[4:5]
	v_mul_f64 v[4:5], v[198:199], v[130:131]
	v_add_f64 v[46:47], v[46:47], v[48:49]
	s_waitcnt lgkmcnt(2)
	v_mul_f64 v[48:49], v[204:205], v[138:139]
	v_fma_f64 v[4:5], v[196:197], v[132:133], -v[4:5]
	v_fmac_f64_e32 v[48:49], v[206:207], v[140:141]
	ds_read_b128 v[216:219], v195 offset:768
	ds_read_b128 v[220:223], v195 offset:784
	v_add_f64 v[2:3], v[2:3], v[4:5]
	v_mul_f64 v[4:5], v[202:203], v[142:143]
	v_add_f64 v[46:47], v[46:47], v[48:49]
	s_waitcnt vmcnt(50) lgkmcnt(3)
	v_mul_f64 v[48:49], v[208:209], v[150:151]
	v_fma_f64 v[4:5], v[200:201], v[144:145], -v[4:5]
	s_waitcnt vmcnt(48)
	;; [unrolled: 17-line block ×5, first 2 shown]
	v_fmac_f64_e32 v[48:49], v[238:239], v[180:181]
	v_add_f64 v[2:3], v[2:3], v[4:5]
	v_mul_f64 v[4:5], v[234:235], v[162:163]
	v_add_f64 v[46:47], v[46:47], v[48:49]
	s_waitcnt lgkmcnt(2)
	v_mul_f64 v[48:49], v[240:241], v[172:173]
	v_fma_f64 v[4:5], v[232:233], v[164:165], -v[4:5]
	v_fmac_f64_e32 v[48:49], v[242:243], v[174:175]
	ds_read_b128 v[252:255], v195 offset:896
	v_add_f64 v[2:3], v[2:3], v[4:5]
	v_mul_f64 v[4:5], v[238:239], v[178:179]
	v_add_f64 v[46:47], v[46:47], v[48:49]
	s_waitcnt vmcnt(18) lgkmcnt(2)
	v_mul_f64 v[48:49], v[244:245], v[58:59]
	v_fma_f64 v[4:5], v[236:237], v[180:181], -v[4:5]
	s_waitcnt vmcnt(16)
	v_fmac_f64_e32 v[48:49], v[246:247], v[60:61]
	v_add_f64 v[2:3], v[2:3], v[4:5]
	v_mul_f64 v[4:5], v[242:243], v[172:173]
	v_add_f64 v[46:47], v[46:47], v[48:49]
	s_waitcnt lgkmcnt(1)
	v_mul_f64 v[48:49], v[248:249], v[182:183]
	v_fma_f64 v[4:5], v[240:241], v[174:175], -v[4:5]
	v_fmac_f64_e32 v[48:49], v[250:251], v[38:39]
	v_add_f64 v[2:3], v[2:3], v[4:5]
	v_mul_f64 v[4:5], v[246:247], v[58:59]
	v_add_f64 v[50:51], v[46:47], v[48:49]
	ds_read_b128 v[46:49], v195 offset:912
	s_waitcnt vmcnt(10) lgkmcnt(1)
	v_mul_f64 v[52:53], v[252:253], v[192:193]
	v_fma_f64 v[4:5], v[244:245], v[60:61], -v[4:5]
	s_waitcnt vmcnt(8)
	v_fmac_f64_e32 v[52:53], v[254:255], v[228:229]
	v_add_f64 v[2:3], v[2:3], v[4:5]
	v_mul_f64 v[4:5], v[250:251], v[182:183]
	v_add_f64 v[170:171], v[50:51], v[52:53]
	ds_read_b128 v[50:53], v195 offset:928
	ds_read_b128 v[54:57], v195 offset:944
	v_fma_f64 v[4:5], v[248:249], v[38:39], -v[4:5]
	v_add_f64 v[2:3], v[2:3], v[4:5]
	v_mul_f64 v[4:5], v[254:255], v[192:193]
	v_fma_f64 v[4:5], v[252:253], v[228:229], -v[4:5]
	v_add_f64 v[2:3], v[2:3], v[4:5]
	s_waitcnt lgkmcnt(2)
	v_mul_f64 v[4:5], v[48:49], v[62:63]
	v_mul_f64 v[176:177], v[46:47], v[62:63]
	v_fma_f64 v[4:5], v[46:47], v[64:65], -v[4:5]
	v_fmac_f64_e32 v[176:177], v[48:49], v[64:65]
	v_add_f64 v[2:3], v[2:3], v[4:5]
	s_waitcnt vmcnt(2) lgkmcnt(1)
	v_mul_f64 v[4:5], v[52:53], v[70:71]
	v_add_f64 v[170:171], v[170:171], v[176:177]
	v_mul_f64 v[176:177], v[50:51], v[70:71]
	s_waitcnt vmcnt(0)
	v_fma_f64 v[4:5], v[50:51], v[72:73], -v[4:5]
	v_fmac_f64_e32 v[176:177], v[52:53], v[72:73]
	v_add_f64 v[2:3], v[2:3], v[4:5]
	s_waitcnt lgkmcnt(0)
	v_mul_f64 v[4:5], v[56:57], v[66:67]
	v_add_f64 v[170:171], v[170:171], v[176:177]
	v_mul_f64 v[176:177], v[54:55], v[66:67]
	v_fma_f64 v[4:5], v[54:55], v[68:69], -v[4:5]
	v_fmac_f64_e32 v[176:177], v[56:57], v[68:69]
	v_add_f64 v[2:3], v[2:3], v[4:5]
	v_add_f64 v[170:171], v[170:171], v[176:177]
	v_add_f64 v[2:3], v[106:107], -v[2:3]
	v_add_f64 v[4:5], v[104:105], -v[170:171]
	buffer_store_dword v3, off, s[0:3], 0 offset:36
	buffer_store_dword v2, off, s[0:3], 0 offset:32
	;; [unrolled: 1-line block ×4, first 2 shown]
	s_and_saveexec_b64 s[6:7], vcc
	s_cbranch_execz .LBB29_191
; %bb.190:
	v_accvgpr_read_b32 v5, a74
	buffer_load_dword v2, v5, s[0:3], 0 offen
	buffer_load_dword v3, v5, s[0:3], 0 offen offset:4
	buffer_load_dword v4, v5, s[0:3], 0 offen offset:8
	s_nop 0
	buffer_load_dword v5, v5, s[0:3], 0 offen offset:12
	s_nop 0
	buffer_store_dword v195, off, s[0:3], 0 offset:16
	buffer_store_dword v195, off, s[0:3], 0 offset:20
	;; [unrolled: 1-line block ×4, first 2 shown]
	s_waitcnt vmcnt(4)
	ds_write_b128 v231, v[2:5]
.LBB29_191:
	s_or_b64 exec, exec, s[6:7]
	s_waitcnt lgkmcnt(0)
	; wave barrier
	s_waitcnt lgkmcnt(0)
	buffer_load_dword v34, off, s[0:3], 0 offset:32
	buffer_load_dword v35, off, s[0:3], 0 offset:36
	;; [unrolled: 1-line block ×32, first 2 shown]
	ds_read_b128 v[30:33], v195 offset:512
	ds_read_b128 v[26:29], v195 offset:528
	;; [unrolled: 1-line block ×8, first 2 shown]
	buffer_load_dword v127, off, s[0:3], 0 offset:172
	buffer_load_dword v126, off, s[0:3], 0 offset:168
	;; [unrolled: 1-line block ×24, first 2 shown]
	v_cmp_ne_u32_e32 vcc, 0, v230
	s_waitcnt vmcnt(52) lgkmcnt(7)
	v_mul_f64 v[38:39], v[30:31], v[98:99]
	v_fmac_f64_e32 v[38:39], v[32:33], v[34:35]
	v_add_f64 v[38:39], v[38:39], 0
	v_mul_f64 v[32:33], v[32:33], v[98:99]
	s_waitcnt vmcnt(48) lgkmcnt(6)
	v_mul_f64 v[42:43], v[26:27], v[100:101]
	v_fmac_f64_e32 v[42:43], v[28:29], v[36:37]
	s_waitcnt vmcnt(46) lgkmcnt(5)
	v_mul_f64 v[44:45], v[22:23], v[102:103]
	v_add_f64 v[38:39], v[38:39], v[42:43]
	s_waitcnt vmcnt(44) lgkmcnt(4)
	v_mul_f64 v[46:47], v[18:19], v[108:109]
	v_fma_f64 v[30:31], v[30:31], v[34:35], -v[32:33]
	s_waitcnt vmcnt(42) lgkmcnt(1)
	v_mul_f64 v[182:183], v[2:3], v[110:111]
	v_mul_f64 v[28:29], v[28:29], v[100:101]
	v_add_f64 v[30:31], v[30:31], 0
	s_waitcnt vmcnt(39)
	v_mul_f64 v[50:51], v[6:7], v[114:115]
	v_fma_f64 v[26:27], v[26:27], v[36:37], -v[28:29]
	s_waitcnt vmcnt(37)
	v_mul_f64 v[48:49], v[10:11], v[116:117]
	v_add_f64 v[26:27], v[30:31], v[26:27]
	s_waitcnt vmcnt(35)
	v_fmac_f64_e32 v[48:49], v[12:13], v[118:119]
	v_mul_f64 v[12:13], v[12:13], v[116:117]
	s_waitcnt vmcnt(33)
	v_fmac_f64_e32 v[44:45], v[24:25], v[124:125]
	v_add_f64 v[38:39], v[38:39], v[44:45]
	s_waitcnt vmcnt(31)
	v_fmac_f64_e32 v[46:47], v[20:21], v[122:123]
	v_add_f64 v[38:39], v[38:39], v[46:47]
	;; [unrolled: 3-line block ×3, first 2 shown]
	v_add_f64 v[184:185], v[38:39], v[50:51]
	buffer_load_dword v151, off, s[0:3], 0 offset:268
	buffer_load_dword v150, off, s[0:3], 0 offset:264
	;; [unrolled: 1-line block ×56, first 2 shown]
	ds_read_b128 v[42:45], v195 offset:640
	buffer_load_dword v75, off, s[0:3], 0 offset:476
	buffer_load_dword v74, off, s[0:3], 0 offset:472
	;; [unrolled: 1-line block ×4, first 2 shown]
	s_waitcnt vmcnt(62)
	v_fmac_f64_e32 v[182:183], v[4:5], v[112:113]
	s_waitcnt lgkmcnt(1)
	v_mul_f64 v[48:49], v[14:15], v[130:131]
	v_add_f64 v[46:47], v[184:185], v[182:183]
	v_fmac_f64_e32 v[48:49], v[16:17], v[132:133]
	v_add_f64 v[50:51], v[46:47], v[48:49]
	ds_read_b128 v[46:49], v195 offset:656
	v_mul_f64 v[24:25], v[24:25], v[102:103]
	v_fma_f64 v[22:23], v[22:23], v[124:125], -v[24:25]
	v_mul_f64 v[20:21], v[20:21], v[108:109]
	v_add_f64 v[22:23], v[26:27], v[22:23]
	v_fma_f64 v[18:19], v[18:19], v[122:123], -v[20:21]
	s_waitcnt lgkmcnt(1)
	v_mul_f64 v[52:53], v[42:43], v[126:127]
	v_add_f64 v[18:19], v[22:23], v[18:19]
	v_fma_f64 v[10:11], v[10:11], v[118:119], -v[12:13]
	v_mul_f64 v[8:9], v[8:9], v[114:115]
	v_fmac_f64_e32 v[52:53], v[44:45], v[128:129]
	v_add_f64 v[10:11], v[18:19], v[10:11]
	v_fma_f64 v[6:7], v[6:7], v[120:121], -v[8:9]
	v_mul_f64 v[4:5], v[4:5], v[110:111]
	v_add_f64 v[54:55], v[50:51], v[52:53]
	ds_read_b128 v[50:53], v195 offset:672
	s_waitcnt lgkmcnt(1)
	v_mul_f64 v[56:57], v[46:47], v[138:139]
	v_add_f64 v[6:7], v[10:11], v[6:7]
	v_fma_f64 v[2:3], v[2:3], v[112:113], -v[4:5]
	v_mul_f64 v[4:5], v[16:17], v[130:131]
	v_fmac_f64_e32 v[56:57], v[48:49], v[140:141]
	v_add_f64 v[2:3], v[6:7], v[2:3]
	v_fma_f64 v[4:5], v[14:15], v[132:133], -v[4:5]
	v_add_f64 v[58:59], v[54:55], v[56:57]
	ds_read_b128 v[54:57], v195 offset:688
	ds_read_b128 v[182:185], v195 offset:704
	v_add_f64 v[2:3], v[2:3], v[4:5]
	v_mul_f64 v[4:5], v[44:45], v[126:127]
	v_fma_f64 v[4:5], v[42:43], v[128:129], -v[4:5]
	v_add_f64 v[2:3], v[2:3], v[4:5]
	v_mul_f64 v[4:5], v[48:49], v[138:139]
	s_waitcnt lgkmcnt(2)
	v_mul_f64 v[60:61], v[50:51], v[134:135]
	v_fma_f64 v[4:5], v[46:47], v[140:141], -v[4:5]
	v_fmac_f64_e32 v[60:61], v[52:53], v[136:137]
	ds_read_b128 v[196:199], v195 offset:720
	ds_read_b128 v[200:203], v195 offset:736
	v_add_f64 v[2:3], v[2:3], v[4:5]
	v_mul_f64 v[4:5], v[52:53], v[134:135]
	v_add_f64 v[58:59], v[58:59], v[60:61]
	s_waitcnt lgkmcnt(3)
	v_mul_f64 v[60:61], v[54:55], v[146:147]
	v_fma_f64 v[4:5], v[50:51], v[136:137], -v[4:5]
	s_waitcnt vmcnt(60)
	v_fmac_f64_e32 v[60:61], v[56:57], v[148:149]
	v_add_f64 v[2:3], v[2:3], v[4:5]
	v_mul_f64 v[4:5], v[56:57], v[146:147]
	v_add_f64 v[58:59], v[58:59], v[60:61]
	s_waitcnt lgkmcnt(2)
	v_mul_f64 v[60:61], v[182:183], v[142:143]
	v_fma_f64 v[4:5], v[54:55], v[148:149], -v[4:5]
	v_fmac_f64_e32 v[60:61], v[184:185], v[144:145]
	ds_read_b128 v[204:207], v195 offset:752
	ds_read_b128 v[208:211], v195 offset:768
	v_add_f64 v[2:3], v[2:3], v[4:5]
	v_mul_f64 v[4:5], v[184:185], v[142:143]
	v_add_f64 v[58:59], v[58:59], v[60:61]
	s_waitcnt vmcnt(54) lgkmcnt(3)
	v_mul_f64 v[60:61], v[196:197], v[154:155]
	v_fma_f64 v[4:5], v[182:183], v[144:145], -v[4:5]
	s_waitcnt vmcnt(52)
	v_fmac_f64_e32 v[60:61], v[198:199], v[156:157]
	v_add_f64 v[2:3], v[2:3], v[4:5]
	v_mul_f64 v[4:5], v[198:199], v[154:155]
	v_add_f64 v[58:59], v[58:59], v[60:61]
	s_waitcnt lgkmcnt(2)
	v_mul_f64 v[60:61], v[200:201], v[150:151]
	v_fma_f64 v[4:5], v[196:197], v[156:157], -v[4:5]
	v_fmac_f64_e32 v[60:61], v[202:203], v[152:153]
	ds_read_b128 v[212:215], v195 offset:784
	ds_read_b128 v[216:219], v195 offset:800
	v_add_f64 v[2:3], v[2:3], v[4:5]
	v_mul_f64 v[4:5], v[202:203], v[150:151]
	v_add_f64 v[58:59], v[58:59], v[60:61]
	s_waitcnt vmcnt(46) lgkmcnt(3)
	;; [unrolled: 17-line block ×5, first 2 shown]
	v_mul_f64 v[60:61], v[232:233], v[190:191]
	v_fma_f64 v[4:5], v[224:225], v[176:177], -v[4:5]
	s_waitcnt vmcnt(20)
	v_fmac_f64_e32 v[60:61], v[234:235], v[192:193]
	v_add_f64 v[2:3], v[2:3], v[4:5]
	v_mul_f64 v[4:5], v[234:235], v[190:191]
	v_add_f64 v[58:59], v[58:59], v[60:61]
	s_waitcnt lgkmcnt(2)
	v_mul_f64 v[60:61], v[236:237], v[186:187]
	v_fma_f64 v[4:5], v[232:233], v[192:193], -v[4:5]
	v_fmac_f64_e32 v[60:61], v[238:239], v[188:189]
	v_add_f64 v[2:3], v[2:3], v[4:5]
	v_mul_f64 v[4:5], v[238:239], v[186:187]
	v_add_f64 v[58:59], v[58:59], v[60:61]
	s_waitcnt vmcnt(14) lgkmcnt(1)
	v_mul_f64 v[60:61], v[240:241], v[64:65]
	ds_read_b128 v[248:251], v195 offset:912
	ds_read_b128 v[252:255], v195 offset:928
	v_fma_f64 v[4:5], v[236:237], v[188:189], -v[4:5]
	s_waitcnt vmcnt(12)
	v_fmac_f64_e32 v[60:61], v[242:243], v[66:67]
	v_add_f64 v[2:3], v[2:3], v[4:5]
	v_mul_f64 v[4:5], v[242:243], v[64:65]
	v_add_f64 v[58:59], v[58:59], v[60:61]
	s_waitcnt lgkmcnt(2)
	v_mul_f64 v[60:61], v[244:245], v[38:39]
	v_fma_f64 v[4:5], v[240:241], v[66:67], -v[4:5]
	v_fmac_f64_e32 v[60:61], v[246:247], v[62:63]
	v_add_f64 v[2:3], v[2:3], v[4:5]
	v_mul_f64 v[4:5], v[246:247], v[38:39]
	v_add_f64 v[78:79], v[58:59], v[60:61]
	ds_read_b128 v[58:61], v195 offset:944
	v_fma_f64 v[4:5], v[244:245], v[62:63], -v[4:5]
	v_add_f64 v[2:3], v[2:3], v[4:5]
	s_waitcnt vmcnt(6) lgkmcnt(2)
	v_mul_f64 v[4:5], v[250:251], v[72:73]
	v_mul_f64 v[80:81], v[248:249], v[72:73]
	s_waitcnt vmcnt(4)
	v_fma_f64 v[4:5], v[248:249], v[228:229], -v[4:5]
	v_fmac_f64_e32 v[80:81], v[250:251], v[228:229]
	v_add_f64 v[2:3], v[2:3], v[4:5]
	s_waitcnt lgkmcnt(1)
	v_mul_f64 v[4:5], v[254:255], v[68:69]
	v_add_f64 v[78:79], v[78:79], v[80:81]
	v_mul_f64 v[80:81], v[252:253], v[68:69]
	v_fma_f64 v[4:5], v[252:253], v[70:71], -v[4:5]
	v_fmac_f64_e32 v[80:81], v[254:255], v[70:71]
	v_add_f64 v[2:3], v[2:3], v[4:5]
	s_waitcnt vmcnt(2) lgkmcnt(0)
	v_mul_f64 v[4:5], v[60:61], v[74:75]
	v_add_f64 v[78:79], v[78:79], v[80:81]
	v_mul_f64 v[80:81], v[58:59], v[74:75]
	s_waitcnt vmcnt(0)
	v_fma_f64 v[4:5], v[58:59], v[76:77], -v[4:5]
	v_fmac_f64_e32 v[80:81], v[60:61], v[76:77]
	v_add_f64 v[2:3], v[2:3], v[4:5]
	v_add_f64 v[78:79], v[78:79], v[80:81]
	v_add_f64 v[2:3], v[106:107], -v[2:3]
	v_add_f64 v[4:5], v[104:105], -v[78:79]
	buffer_store_dword v3, off, s[0:3], 0 offset:20
	buffer_store_dword v2, off, s[0:3], 0 offset:16
	;; [unrolled: 1-line block ×4, first 2 shown]
	s_and_saveexec_b64 s[6:7], vcc
	s_cbranch_execz .LBB29_193
; %bb.192:
	buffer_load_dword v2, off, s[0:3], 0
	buffer_load_dword v3, off, s[0:3], 0 offset:4
	buffer_load_dword v4, off, s[0:3], 0 offset:8
	;; [unrolled: 1-line block ×3, first 2 shown]
	v_mov_b32_e32 v6, 0
	buffer_store_dword v6, off, s[0:3], 0
	buffer_store_dword v6, off, s[0:3], 0 offset:4
	buffer_store_dword v6, off, s[0:3], 0 offset:8
	;; [unrolled: 1-line block ×3, first 2 shown]
	s_waitcnt vmcnt(4)
	ds_write_b128 v231, v[2:5]
.LBB29_193:
	s_or_b64 exec, exec, s[6:7]
	s_waitcnt lgkmcnt(0)
	; wave barrier
	s_waitcnt lgkmcnt(0)
	buffer_load_dword v98, off, s[0:3], 0 offset:16
	buffer_load_dword v99, off, s[0:3], 0 offset:20
	;; [unrolled: 1-line block ×36, first 2 shown]
	buffer_load_dword v122, off, s[0:3], 0
	buffer_load_dword v123, off, s[0:3], 0 offset:4
	buffer_load_dword v120, off, s[0:3], 0 offset:8
	;; [unrolled: 1-line block ×11, first 2 shown]
	v_mov_b32_e32 v231, 0
	ds_read_b128 v[34:37], v231 offset:496
	ds_read_b128 v[30:33], v231 offset:512
	;; [unrolled: 1-line block ×9, first 2 shown]
	s_and_b64 vcc, exec, s[26:27]
	s_waitcnt vmcnt(44) lgkmcnt(8)
	v_mul_f64 v[38:39], v[34:35], v[102:103]
	v_fmac_f64_e32 v[38:39], v[36:37], v[98:99]
	v_add_f64 v[38:39], v[38:39], 0
	v_mul_f64 v[36:37], v[36:37], v[102:103]
	s_waitcnt vmcnt(40) lgkmcnt(7)
	v_mul_f64 v[42:43], v[30:31], v[104:105]
	v_fmac_f64_e32 v[42:43], v[32:33], v[100:101]
	s_waitcnt vmcnt(38) lgkmcnt(6)
	v_mul_f64 v[44:45], v[26:27], v[106:107]
	v_add_f64 v[38:39], v[38:39], v[42:43]
	s_waitcnt vmcnt(36) lgkmcnt(4)
	v_mul_f64 v[48:49], v[18:19], v[108:109]
	v_fma_f64 v[34:35], v[34:35], v[98:99], -v[36:37]
	s_waitcnt vmcnt(34)
	v_fmac_f64_e32 v[48:49], v[20:21], v[110:111]
	v_mul_f64 v[32:33], v[32:33], v[104:105]
	s_waitcnt vmcnt(32)
	v_mul_f64 v[46:47], v[22:23], v[112:113]
	v_add_f64 v[34:35], v[34:35], 0
	s_waitcnt vmcnt(30) lgkmcnt(2)
	v_mul_f64 v[52:53], v[10:11], v[114:115]
	v_fma_f64 v[30:31], v[30:31], v[100:101], -v[32:33]
	s_waitcnt vmcnt(28)
	v_fmac_f64_e32 v[52:53], v[12:13], v[116:117]
	v_add_f64 v[30:31], v[34:35], v[30:31]
	s_waitcnt vmcnt(26)
	v_mul_f64 v[50:51], v[14:15], v[118:119]
	v_mul_f64 v[20:21], v[20:21], v[108:109]
	v_fma_f64 v[18:19], v[18:19], v[110:111], -v[20:21]
	v_mul_f64 v[12:13], v[12:13], v[114:115]
	s_waitcnt vmcnt(22) lgkmcnt(1)
	v_mul_f64 v[170:171], v[6:7], v[128:129]
	v_fma_f64 v[10:11], v[10:11], v[116:117], -v[12:13]
	s_waitcnt vmcnt(20)
	v_fmac_f64_e32 v[44:45], v[28:29], v[136:137]
	v_add_f64 v[38:39], v[38:39], v[44:45]
	s_waitcnt vmcnt(18)
	v_fmac_f64_e32 v[46:47], v[24:25], v[134:135]
	v_add_f64 v[38:39], v[38:39], v[46:47]
	;; [unrolled: 3-line block ×3, first 2 shown]
	v_add_f64 v[38:39], v[38:39], v[50:51]
	v_add_f64 v[172:173], v[38:39], v[52:53]
	buffer_load_dword v147, off, s[0:3], 0 offset:220
	buffer_load_dword v146, off, s[0:3], 0 offset:216
	;; [unrolled: 1-line block ×72, first 2 shown]
	ds_read_b128 v[42:45], v231 offset:640
	s_waitcnt vmcnt(62)
	v_fmac_f64_e32 v[170:171], v[8:9], v[130:131]
	s_waitcnt lgkmcnt(1)
	v_mul_f64 v[48:49], v[2:3], v[124:125]
	v_add_f64 v[46:47], v[172:173], v[170:171]
	v_fmac_f64_e32 v[48:49], v[4:5], v[126:127]
	v_add_f64 v[50:51], v[46:47], v[48:49]
	ds_read_b128 v[46:49], v231 offset:656
	s_waitcnt lgkmcnt(1)
	v_mul_f64 v[52:53], v[42:43], v[142:143]
	v_mul_f64 v[28:29], v[28:29], v[106:107]
	v_fmac_f64_e32 v[52:53], v[44:45], v[144:145]
	v_fma_f64 v[26:27], v[26:27], v[136:137], -v[28:29]
	v_mul_f64 v[24:25], v[24:25], v[112:113]
	v_add_f64 v[54:55], v[50:51], v[52:53]
	ds_read_b128 v[50:53], v231 offset:672
	v_add_f64 v[26:27], v[30:31], v[26:27]
	v_fma_f64 v[22:23], v[22:23], v[134:135], -v[24:25]
	v_add_f64 v[22:23], v[26:27], v[22:23]
	v_mul_f64 v[16:17], v[16:17], v[118:119]
	v_add_f64 v[18:19], v[22:23], v[18:19]
	v_fma_f64 v[14:15], v[14:15], v[132:133], -v[16:17]
	s_waitcnt lgkmcnt(1)
	v_mul_f64 v[56:57], v[46:47], v[138:139]
	v_add_f64 v[14:15], v[18:19], v[14:15]
	v_mul_f64 v[8:9], v[8:9], v[128:129]
	v_fmac_f64_e32 v[56:57], v[48:49], v[140:141]
	v_add_f64 v[10:11], v[14:15], v[10:11]
	v_fma_f64 v[6:7], v[6:7], v[130:131], -v[8:9]
	v_mul_f64 v[4:5], v[4:5], v[124:125]
	v_add_f64 v[58:59], v[54:55], v[56:57]
	ds_read_b128 v[54:57], v231 offset:688
	s_waitcnt lgkmcnt(1)
	v_mul_f64 v[60:61], v[50:51], v[150:151]
	v_add_f64 v[6:7], v[10:11], v[6:7]
	v_fma_f64 v[2:3], v[2:3], v[126:127], -v[4:5]
	v_mul_f64 v[4:5], v[44:45], v[142:143]
	v_fmac_f64_e32 v[60:61], v[52:53], v[152:153]
	v_add_f64 v[2:3], v[6:7], v[2:3]
	v_fma_f64 v[4:5], v[42:43], v[144:145], -v[4:5]
	v_add_f64 v[62:63], v[58:59], v[60:61]
	ds_read_b128 v[58:61], v231 offset:704
	ds_read_b128 v[170:173], v231 offset:720
	v_add_f64 v[2:3], v[2:3], v[4:5]
	v_mul_f64 v[4:5], v[48:49], v[138:139]
	v_fma_f64 v[4:5], v[46:47], v[140:141], -v[4:5]
	v_add_f64 v[2:3], v[2:3], v[4:5]
	v_mul_f64 v[4:5], v[52:53], v[150:151]
	s_waitcnt lgkmcnt(2)
	v_mul_f64 v[64:65], v[54:55], v[146:147]
	v_fma_f64 v[4:5], v[50:51], v[152:153], -v[4:5]
	v_fmac_f64_e32 v[64:65], v[56:57], v[148:149]
	ds_read_b128 v[202:205], v231 offset:736
	ds_read_b128 v[206:209], v231 offset:752
	v_add_f64 v[2:3], v[2:3], v[4:5]
	v_mul_f64 v[4:5], v[56:57], v[146:147]
	v_add_f64 v[62:63], v[62:63], v[64:65]
	s_waitcnt vmcnt(58) lgkmcnt(3)
	v_mul_f64 v[64:65], v[58:59], v[158:159]
	v_fma_f64 v[4:5], v[54:55], v[148:149], -v[4:5]
	s_waitcnt vmcnt(56)
	v_fmac_f64_e32 v[64:65], v[60:61], v[160:161]
	v_add_f64 v[2:3], v[2:3], v[4:5]
	v_mul_f64 v[4:5], v[60:61], v[158:159]
	v_add_f64 v[62:63], v[62:63], v[64:65]
	s_waitcnt lgkmcnt(2)
	v_mul_f64 v[64:65], v[170:171], v[154:155]
	v_fma_f64 v[4:5], v[58:59], v[160:161], -v[4:5]
	v_fmac_f64_e32 v[64:65], v[172:173], v[156:157]
	ds_read_b128 v[210:213], v231 offset:768
	ds_read_b128 v[214:217], v231 offset:784
	v_add_f64 v[2:3], v[2:3], v[4:5]
	v_mul_f64 v[4:5], v[172:173], v[154:155]
	v_add_f64 v[62:63], v[62:63], v[64:65]
	s_waitcnt vmcnt(50) lgkmcnt(3)
	v_mul_f64 v[64:65], v[202:203], v[166:167]
	v_fma_f64 v[4:5], v[170:171], v[156:157], -v[4:5]
	s_waitcnt vmcnt(48)
	v_fmac_f64_e32 v[64:65], v[204:205], v[168:169]
	v_add_f64 v[2:3], v[2:3], v[4:5]
	v_mul_f64 v[4:5], v[204:205], v[166:167]
	v_add_f64 v[62:63], v[62:63], v[64:65]
	;; [unrolled: 17-line block ×6, first 2 shown]
	s_waitcnt lgkmcnt(2)
	v_mul_f64 v[64:65], v[244:245], v[198:199]
	v_fma_f64 v[4:5], v[240:241], v[66:67], -v[4:5]
	v_fmac_f64_e32 v[64:65], v[246:247], v[200:201]
	v_add_f64 v[2:3], v[2:3], v[4:5]
	v_mul_f64 v[4:5], v[246:247], v[198:199]
	v_add_f64 v[62:63], v[62:63], v[64:65]
	s_waitcnt vmcnt(10) lgkmcnt(1)
	v_mul_f64 v[64:65], v[248:249], v[72:73]
	ds_read_b128 v[226:229], v231 offset:928
	v_fma_f64 v[4:5], v[244:245], v[200:201], -v[4:5]
	s_waitcnt vmcnt(8)
	v_fmac_f64_e32 v[64:65], v[250:251], v[74:75]
	v_add_f64 v[2:3], v[2:3], v[4:5]
	v_mul_f64 v[4:5], v[250:251], v[72:73]
	v_add_f64 v[84:85], v[62:63], v[64:65]
	ds_read_b128 v[62:65], v231 offset:944
	v_fma_f64 v[4:5], v[248:249], v[74:75], -v[4:5]
	v_add_f64 v[2:3], v[2:3], v[4:5]
	s_waitcnt lgkmcnt(2)
	v_mul_f64 v[4:5], v[254:255], v[68:69]
	v_mul_f64 v[86:87], v[252:253], v[68:69]
	v_fma_f64 v[4:5], v[252:253], v[70:71], -v[4:5]
	v_fmac_f64_e32 v[86:87], v[254:255], v[70:71]
	v_add_f64 v[2:3], v[2:3], v[4:5]
	s_waitcnt vmcnt(2) lgkmcnt(1)
	v_mul_f64 v[4:5], v[228:229], v[80:81]
	v_add_f64 v[84:85], v[84:85], v[86:87]
	v_mul_f64 v[86:87], v[226:227], v[80:81]
	s_waitcnt vmcnt(0)
	v_fma_f64 v[4:5], v[226:227], v[82:83], -v[4:5]
	v_fmac_f64_e32 v[86:87], v[228:229], v[82:83]
	v_add_f64 v[2:3], v[2:3], v[4:5]
	s_waitcnt lgkmcnt(0)
	v_mul_f64 v[4:5], v[64:65], v[76:77]
	v_add_f64 v[84:85], v[84:85], v[86:87]
	v_mul_f64 v[86:87], v[62:63], v[76:77]
	v_fma_f64 v[4:5], v[62:63], v[78:79], -v[4:5]
	v_fmac_f64_e32 v[86:87], v[64:65], v[78:79]
	v_add_f64 v[2:3], v[2:3], v[4:5]
	v_add_f64 v[84:85], v[84:85], v[86:87]
	v_add_f64 v[2:3], v[122:123], -v[2:3]
	v_add_f64 v[4:5], v[120:121], -v[84:85]
	buffer_store_dword v3, off, s[0:3], 0 offset:4
	buffer_store_dword v2, off, s[0:3], 0
	buffer_store_dword v5, off, s[0:3], 0 offset:12
	buffer_store_dword v4, off, s[0:3], 0 offset:8
	s_cbranch_vccz .LBB29_253
; %bb.194:
	v_pk_mov_b32 v[2:3], s[24:25], s[24:25] op_sel:[0,1]
	flat_load_dword v2, v[2:3] offset:112
	s_load_dwordx2 s[4:5], s[4:5], 0x4
	v_bfe_u32 v4, v0, 10, 10
	v_bfe_u32 v0, v0, 20, 10
	s_waitcnt lgkmcnt(0)
	s_lshr_b32 s4, s4, 16
	s_mul_i32 s4, s4, s5
	v_mul_u32_u24_e32 v3, s4, v230
	v_mul_u32_u24_e32 v4, s5, v4
	v_add3_u32 v0, v3, v4, v0
	v_mov_b32_e32 v3, 0x3c8
	v_lshl_add_u32 v0, v0, 4, v3
	s_waitcnt vmcnt(0)
	v_add_u32_e32 v2, -1, v2
	v_cmp_ne_u32_e32 vcc, 28, v2
	s_and_saveexec_b64 s[4:5], vcc
	s_cbranch_execz .LBB29_196
; %bb.195:
	v_mov_b32_e32 v3, 0
	v_accvgpr_read_b32 v11, a49
	v_lshl_add_u32 v6, v2, 4, v3
	buffer_load_dword v2, v11, s[0:3], 0 offen
	buffer_load_dword v3, v11, s[0:3], 0 offen offset:4
	buffer_load_dword v4, v11, s[0:3], 0 offen offset:8
	buffer_load_dword v5, v11, s[0:3], 0 offen offset:12
	buffer_load_dword v7, v6, s[0:3], 0 offen
	buffer_load_dword v8, v6, s[0:3], 0 offen offset:4
	buffer_load_dword v9, v6, s[0:3], 0 offen offset:8
	buffer_load_dword v10, v6, s[0:3], 0 offen offset:12
	s_waitcnt vmcnt(4)
	ds_write2_b64 v0, v[2:3], v[4:5] offset1:1
	s_waitcnt vmcnt(3)
	buffer_store_dword v7, v11, s[0:3], 0 offen
	s_waitcnt vmcnt(3)
	buffer_store_dword v8, v11, s[0:3], 0 offen offset:4
	s_waitcnt vmcnt(3)
	buffer_store_dword v9, v11, s[0:3], 0 offen offset:8
	s_waitcnt vmcnt(3)
	buffer_store_dword v10, v11, s[0:3], 0 offen offset:12
	buffer_store_dword v5, v6, s[0:3], 0 offen offset:12
	buffer_store_dword v4, v6, s[0:3], 0 offen offset:8
	buffer_store_dword v3, v6, s[0:3], 0 offen offset:4
	buffer_store_dword v2, v6, s[0:3], 0 offen
.LBB29_196:
	s_or_b64 exec, exec, s[4:5]
	v_pk_mov_b32 v[2:3], s[24:25], s[24:25] op_sel:[0,1]
	flat_load_dword v2, v[2:3] offset:108
	s_waitcnt vmcnt(0) lgkmcnt(0)
	v_add_u32_e32 v2, -1, v2
	v_cmp_ne_u32_e32 vcc, 27, v2
	s_and_saveexec_b64 s[4:5], vcc
	s_cbranch_execz .LBB29_198
; %bb.197:
	v_mov_b32_e32 v3, 0
	v_accvgpr_read_b32 v11, a50
	v_lshl_add_u32 v6, v2, 4, v3
	buffer_load_dword v2, v11, s[0:3], 0 offen
	buffer_load_dword v3, v11, s[0:3], 0 offen offset:4
	buffer_load_dword v4, v11, s[0:3], 0 offen offset:8
	buffer_load_dword v5, v11, s[0:3], 0 offen offset:12
	buffer_load_dword v7, v6, s[0:3], 0 offen
	buffer_load_dword v8, v6, s[0:3], 0 offen offset:4
	buffer_load_dword v9, v6, s[0:3], 0 offen offset:8
	buffer_load_dword v10, v6, s[0:3], 0 offen offset:12
	s_waitcnt vmcnt(4)
	ds_write2_b64 v0, v[2:3], v[4:5] offset1:1
	s_waitcnt vmcnt(3)
	buffer_store_dword v7, v11, s[0:3], 0 offen
	s_waitcnt vmcnt(3)
	buffer_store_dword v8, v11, s[0:3], 0 offen offset:4
	s_waitcnt vmcnt(3)
	buffer_store_dword v9, v11, s[0:3], 0 offen offset:8
	s_waitcnt vmcnt(3)
	buffer_store_dword v10, v11, s[0:3], 0 offen offset:12
	buffer_store_dword v5, v6, s[0:3], 0 offen offset:12
	buffer_store_dword v4, v6, s[0:3], 0 offen offset:8
	buffer_store_dword v3, v6, s[0:3], 0 offen offset:4
	buffer_store_dword v2, v6, s[0:3], 0 offen
.LBB29_198:
	s_or_b64 exec, exec, s[4:5]
	v_pk_mov_b32 v[2:3], s[24:25], s[24:25] op_sel:[0,1]
	flat_load_dword v2, v[2:3] offset:104
	s_waitcnt vmcnt(0) lgkmcnt(0)
	;; [unrolled: 35-line block ×26, first 2 shown]
	v_add_u32_e32 v2, -1, v2
	v_cmp_ne_u32_e32 vcc, 2, v2
	s_and_saveexec_b64 s[4:5], vcc
	s_cbranch_execz .LBB29_248
; %bb.247:
	v_mov_b32_e32 v3, 0
	v_lshl_add_u32 v6, v2, 4, v3
	buffer_load_dword v2, v1, s[0:3], 0 offen
	buffer_load_dword v3, v1, s[0:3], 0 offen offset:4
	buffer_load_dword v4, v1, s[0:3], 0 offen offset:8
	;; [unrolled: 1-line block ×3, first 2 shown]
	buffer_load_dword v7, v6, s[0:3], 0 offen
	buffer_load_dword v8, v6, s[0:3], 0 offen offset:4
	buffer_load_dword v9, v6, s[0:3], 0 offen offset:8
	;; [unrolled: 1-line block ×3, first 2 shown]
	s_waitcnt vmcnt(4)
	ds_write2_b64 v0, v[2:3], v[4:5] offset1:1
	s_waitcnt vmcnt(3)
	buffer_store_dword v7, v1, s[0:3], 0 offen
	s_waitcnt vmcnt(3)
	buffer_store_dword v8, v1, s[0:3], 0 offen offset:4
	s_waitcnt vmcnt(3)
	buffer_store_dword v9, v1, s[0:3], 0 offen offset:8
	;; [unrolled: 2-line block ×3, first 2 shown]
	buffer_store_dword v5, v6, s[0:3], 0 offen offset:12
	buffer_store_dword v4, v6, s[0:3], 0 offen offset:8
	;; [unrolled: 1-line block ×3, first 2 shown]
	buffer_store_dword v2, v6, s[0:3], 0 offen
.LBB29_248:
	s_or_b64 exec, exec, s[4:5]
	v_pk_mov_b32 v[2:3], s[24:25], s[24:25] op_sel:[0,1]
	flat_load_dword v2, v[2:3] offset:4
	s_waitcnt vmcnt(0) lgkmcnt(0)
	v_add_u32_e32 v2, -1, v2
	v_cmp_ne_u32_e32 vcc, 1, v2
	s_and_saveexec_b64 s[4:5], vcc
	s_cbranch_execz .LBB29_250
; %bb.249:
	v_mov_b32_e32 v3, 0
	v_accvgpr_read_b32 v11, a74
	v_lshl_add_u32 v6, v2, 4, v3
	buffer_load_dword v2, v11, s[0:3], 0 offen
	buffer_load_dword v3, v11, s[0:3], 0 offen offset:4
	buffer_load_dword v4, v11, s[0:3], 0 offen offset:8
	;; [unrolled: 1-line block ×3, first 2 shown]
	buffer_load_dword v7, v6, s[0:3], 0 offen
	buffer_load_dword v8, v6, s[0:3], 0 offen offset:4
	buffer_load_dword v9, v6, s[0:3], 0 offen offset:8
	;; [unrolled: 1-line block ×3, first 2 shown]
	s_waitcnt vmcnt(4)
	ds_write2_b64 v0, v[2:3], v[4:5] offset1:1
	s_waitcnt vmcnt(3)
	buffer_store_dword v7, v11, s[0:3], 0 offen
	s_waitcnt vmcnt(3)
	buffer_store_dword v8, v11, s[0:3], 0 offen offset:4
	s_waitcnt vmcnt(3)
	buffer_store_dword v9, v11, s[0:3], 0 offen offset:8
	;; [unrolled: 2-line block ×3, first 2 shown]
	buffer_store_dword v5, v6, s[0:3], 0 offen offset:12
	buffer_store_dword v4, v6, s[0:3], 0 offen offset:8
	;; [unrolled: 1-line block ×3, first 2 shown]
	buffer_store_dword v2, v6, s[0:3], 0 offen
.LBB29_250:
	s_or_b64 exec, exec, s[4:5]
	v_pk_mov_b32 v[2:3], s[24:25], s[24:25] op_sel:[0,1]
	flat_load_dword v2, v[2:3]
	s_waitcnt vmcnt(0) lgkmcnt(0)
	v_add_u32_e32 v2, -1, v2
	v_cmp_ne_u32_e32 vcc, 0, v2
	s_and_saveexec_b64 s[4:5], vcc
	s_cbranch_execz .LBB29_252
; %bb.251:
	v_mov_b32_e32 v3, 0
	v_lshl_add_u32 v6, v2, 4, v3
	buffer_load_dword v2, off, s[0:3], 0
	buffer_load_dword v3, off, s[0:3], 0 offset:4
	buffer_load_dword v4, off, s[0:3], 0 offset:8
	;; [unrolled: 1-line block ×3, first 2 shown]
	buffer_load_dword v7, v6, s[0:3], 0 offen
	buffer_load_dword v8, v6, s[0:3], 0 offen offset:4
	buffer_load_dword v9, v6, s[0:3], 0 offen offset:8
	;; [unrolled: 1-line block ×3, first 2 shown]
	s_waitcnt vmcnt(4)
	ds_write2_b64 v0, v[2:3], v[4:5] offset1:1
	s_waitcnt vmcnt(3)
	buffer_store_dword v7, off, s[0:3], 0
	s_waitcnt vmcnt(3)
	buffer_store_dword v8, off, s[0:3], 0 offset:4
	s_waitcnt vmcnt(3)
	buffer_store_dword v9, off, s[0:3], 0 offset:8
	;; [unrolled: 2-line block ×3, first 2 shown]
	buffer_store_dword v5, v6, s[0:3], 0 offen offset:12
	buffer_store_dword v4, v6, s[0:3], 0 offen offset:8
	;; [unrolled: 1-line block ×3, first 2 shown]
	buffer_store_dword v2, v6, s[0:3], 0 offen
.LBB29_252:
	s_or_b64 exec, exec, s[4:5]
.LBB29_253:
	buffer_load_dword v2, off, s[0:3], 0
	buffer_load_dword v3, off, s[0:3], 0 offset:4
	buffer_load_dword v4, off, s[0:3], 0 offset:8
	;; [unrolled: 1-line block ×3, first 2 shown]
	v_accvgpr_read_b32 v0, a74
	buffer_load_dword v7, v0, s[0:3], 0 offen offset:4
	buffer_load_dword v8, v0, s[0:3], 0 offen offset:8
	;; [unrolled: 1-line block ×3, first 2 shown]
	buffer_load_dword v10, v1, s[0:3], 0 offen
	buffer_load_dword v11, v1, s[0:3], 0 offen offset:4
	buffer_load_dword v12, v1, s[0:3], 0 offen offset:8
	buffer_load_dword v6, v0, s[0:3], 0 offen
	buffer_load_dword v13, v1, s[0:3], 0 offen offset:12
	v_accvgpr_read_b32 v21, a75
	buffer_load_dword v15, v21, s[0:3], 0 offen offset:4
	buffer_load_dword v16, v21, s[0:3], 0 offen offset:8
	buffer_load_dword v17, v21, s[0:3], 0 offen offset:12
	v_accvgpr_read_b32 v30, a71
	buffer_load_dword v18, v30, s[0:3], 0 offen
	buffer_load_dword v19, v30, s[0:3], 0 offen offset:4
	buffer_load_dword v20, v30, s[0:3], 0 offen offset:8
	buffer_load_dword v14, v21, s[0:3], 0 offen
                                        ; kill: killed $vgpr21
                                        ; kill: killed $vgpr1
                                        ; kill: killed $vgpr0
	s_nop 0
	buffer_load_dword v21, v30, s[0:3], 0 offen offset:12
	v_accvgpr_read_b32 v37, a73
	buffer_load_dword v23, v37, s[0:3], 0 offen offset:4
	buffer_load_dword v24, v37, s[0:3], 0 offen offset:8
	;; [unrolled: 1-line block ×3, first 2 shown]
	v_accvgpr_read_b32 v1, a72
	buffer_load_dword v26, v1, s[0:3], 0 offen
	buffer_load_dword v27, v1, s[0:3], 0 offen offset:4
	buffer_load_dword v28, v1, s[0:3], 0 offen offset:8
	buffer_load_dword v22, v37, s[0:3], 0 offen
	buffer_load_dword v29, v1, s[0:3], 0 offen offset:12
	v_accvgpr_read_b32 v38, a68
	buffer_load_dword v31, v38, s[0:3], 0 offen offset:4
	buffer_load_dword v32, v38, s[0:3], 0 offen offset:8
	;; [unrolled: 1-line block ×3, first 2 shown]
	v_accvgpr_read_b32 v0, a67
	buffer_load_dword v34, v0, s[0:3], 0 offen
	buffer_load_dword v35, v0, s[0:3], 0 offen offset:4
	buffer_load_dword v36, v0, s[0:3], 0 offen offset:8
                                        ; kill: killed $vgpr37
                                        ; kill: killed $vgpr30
                                        ; kill: killed $vgpr1
	buffer_load_dword v30, v38, s[0:3], 0 offen
	buffer_load_dword v37, v0, s[0:3], 0 offen offset:12
	v_accvgpr_read_b32 v39, a69
	buffer_load_dword v43, v39, s[0:3], 0 offen offset:4
	buffer_load_dword v44, v39, s[0:3], 0 offen offset:8
	;; [unrolled: 1-line block ×3, first 2 shown]
	v_accvgpr_read_b32 v50, a70
	buffer_load_dword v46, v50, s[0:3], 0 offen
	buffer_load_dword v47, v50, s[0:3], 0 offen offset:4
	buffer_load_dword v48, v50, s[0:3], 0 offen offset:8
	buffer_load_dword v42, v39, s[0:3], 0 offen
	buffer_load_dword v49, v50, s[0:3], 0 offen offset:12
	v_accvgpr_read_b32 v1, a66
	buffer_load_dword v51, v1, s[0:3], 0 offen offset:4
                                        ; kill: killed $vgpr50
                                        ; kill: killed $vgpr38
                                        ; kill: killed $vgpr39
                                        ; kill: killed $vgpr0
	buffer_load_dword v52, v1, s[0:3], 0 offen offset:8
	buffer_load_dword v53, v1, s[0:3], 0 offen offset:12
	v_accvgpr_read_b32 v0, a65
	buffer_load_dword v54, v0, s[0:3], 0 offen
	buffer_load_dword v55, v0, s[0:3], 0 offen offset:4
	buffer_load_dword v56, v0, s[0:3], 0 offen offset:8
	buffer_load_dword v50, v1, s[0:3], 0 offen
	buffer_load_dword v57, v0, s[0:3], 0 offen offset:12
	v_accvgpr_read_b32 v1, a64
	buffer_load_dword v59, v1, s[0:3], 0 offen offset:4
	buffer_load_dword v60, v1, s[0:3], 0 offen offset:8
	buffer_load_dword v61, v1, s[0:3], 0 offen offset:12
	v_accvgpr_read_b32 v0, a63
	buffer_load_dword v62, v0, s[0:3], 0 offen
	buffer_load_dword v63, v0, s[0:3], 0 offen offset:4
	buffer_load_dword v64, v0, s[0:3], 0 offen offset:8
	buffer_load_dword v58, v1, s[0:3], 0 offen
	buffer_load_dword v65, v0, s[0:3], 0 offen offset:12
	v_accvgpr_read_b32 v1, a62
	buffer_load_dword v99, v1, s[0:3], 0 offen offset:4
	;; [unrolled: 10-line block ×5, first 2 shown]
	buffer_load_dword v124, v1, s[0:3], 0 offen offset:8
	buffer_load_dword v125, v1, s[0:3], 0 offen offset:12
	v_accvgpr_read_b32 v0, a55
	buffer_load_dword v126, v0, s[0:3], 0 offen
	buffer_load_dword v127, v0, s[0:3], 0 offen offset:4
	buffer_load_dword v128, v0, s[0:3], 0 offen offset:8
	buffer_load_dword v122, v1, s[0:3], 0 offen
	buffer_load_dword v129, v0, s[0:3], 0 offen offset:12
	v_accvgpr_read_b32 v1, a54
	v_accvgpr_read_b32 v0, a53
	buffer_load_dword v131, v1, s[0:3], 0 offen offset:4
	buffer_load_dword v132, v1, s[0:3], 0 offen offset:8
	buffer_load_dword v133, v1, s[0:3], 0 offen offset:12
	buffer_load_dword v134, v0, s[0:3], 0 offen
	buffer_load_dword v135, v0, s[0:3], 0 offen offset:4
	buffer_load_dword v136, v0, s[0:3], 0 offen offset:8
	buffer_load_dword v130, v1, s[0:3], 0 offen
	buffer_load_dword v137, v0, s[0:3], 0 offen offset:12
	v_accvgpr_read_b32 v1, a52
	v_accvgpr_read_b32 v0, a51
	buffer_load_dword v139, v1, s[0:3], 0 offen offset:4
	buffer_load_dword v140, v1, s[0:3], 0 offen offset:8
	buffer_load_dword v141, v1, s[0:3], 0 offen offset:12
	buffer_load_dword v142, v0, s[0:3], 0 offen
	buffer_load_dword v143, v0, s[0:3], 0 offen offset:4
	buffer_load_dword v144, v0, s[0:3], 0 offen offset:8
	buffer_load_dword v138, v1, s[0:3], 0 offen
	buffer_load_dword v145, v0, s[0:3], 0 offen offset:12
	v_accvgpr_read_b32 v1, a50
	v_accvgpr_read_b32 v0, a49
	buffer_load_dword v147, v1, s[0:3], 0 offen offset:4
	buffer_load_dword v148, v1, s[0:3], 0 offen offset:8
	buffer_load_dword v149, v1, s[0:3], 0 offen offset:12
	buffer_load_dword v150, v0, s[0:3], 0 offen
	buffer_load_dword v151, v0, s[0:3], 0 offen offset:4
	buffer_load_dword v152, v0, s[0:3], 0 offen offset:8
	buffer_load_dword v146, v1, s[0:3], 0 offen
	buffer_load_dword v153, v0, s[0:3], 0 offen offset:12
	v_accvgpr_read_b32 v0, a48
	buffer_load_dword v154, v0, s[0:3], 0 offen
	buffer_load_dword v155, v0, s[0:3], 0 offen offset:4
	buffer_load_dword v156, v0, s[0:3], 0 offen offset:8
	;; [unrolled: 1-line block ×3, first 2 shown]
	v_accvgpr_read_b32 v0, a2
	v_accvgpr_read_b32 v1, a3
	s_waitcnt vmcnt(62)
	global_store_dwordx4 v[40:41], v[2:5], off
	global_store_dwordx4 v[0:1], v[6:9], off
	v_accvgpr_read_b32 v0, a0
	v_accvgpr_read_b32 v1, a1
	global_store_dwordx4 v[0:1], v[10:13], off
	v_accvgpr_read_b32 v0, a4
	v_accvgpr_read_b32 v1, a5
	;; [unrolled: 3-line block ×12, first 2 shown]
	s_waitcnt vmcnt(62)
	global_store_dwordx4 v[0:1], v[58:61], off
	v_accvgpr_read_b32 v0, a28
	v_accvgpr_read_b32 v1, a29
	global_store_dwordx4 v[0:1], v[62:65], off
	v_accvgpr_read_b32 v0, a30
	v_accvgpr_read_b32 v1, a31
	;; [unrolled: 3-line block ×4, first 2 shown]
	s_waitcnt vmcnt(62)
	global_store_dwordx4 v[0:1], v[106:109], off
	v_accvgpr_read_b32 v0, a36
	v_accvgpr_read_b32 v1, a37
	s_waitcnt vmcnt(62)
	global_store_dwordx4 v[0:1], v[110:113], off
	v_accvgpr_read_b32 v0, a38
	v_accvgpr_read_b32 v1, a39
	;; [unrolled: 4-line block ×6, first 2 shown]
	s_waitcnt vmcnt(44)
	global_store_dwordx4 v[0:1], v[130:133], off
	s_waitcnt vmcnt(44)
	global_store_dwordx4 v[88:89], v[134:137], off
	;; [unrolled: 2-line block ×6, first 2 shown]
	v_accvgpr_read_b32 v0, a16
	v_accvgpr_read_b32 v1, a17
	s_waitcnt vmcnt(29)
	global_store_dwordx4 v[0:1], v[154:157], off
	s_endpgm
	.section	.rodata,"a",@progbits
	.p2align	6, 0x0
	.amdhsa_kernel _ZN9rocsolver6v33100L18getri_kernel_smallILi30E19rocblas_complex_numIdEPS3_EEvT1_iilPiilS6_bb
		.amdhsa_group_segment_fixed_size 1992
		.amdhsa_private_segment_fixed_size 496
		.amdhsa_kernarg_size 60
		.amdhsa_user_sgpr_count 10
		.amdhsa_user_sgpr_private_segment_buffer 1
		.amdhsa_user_sgpr_dispatch_ptr 1
		.amdhsa_user_sgpr_queue_ptr 0
		.amdhsa_user_sgpr_kernarg_segment_ptr 1
		.amdhsa_user_sgpr_dispatch_id 0
		.amdhsa_user_sgpr_flat_scratch_init 1
		.amdhsa_user_sgpr_kernarg_preload_length 0
		.amdhsa_user_sgpr_kernarg_preload_offset 0
		.amdhsa_user_sgpr_private_segment_size 0
		.amdhsa_uses_dynamic_stack 0
		.amdhsa_system_sgpr_private_segment_wavefront_offset 1
		.amdhsa_system_sgpr_workgroup_id_x 1
		.amdhsa_system_sgpr_workgroup_id_y 0
		.amdhsa_system_sgpr_workgroup_id_z 0
		.amdhsa_system_sgpr_workgroup_info 0
		.amdhsa_system_vgpr_workitem_id 2
		.amdhsa_next_free_vgpr 332
		.amdhsa_next_free_sgpr 28
		.amdhsa_accum_offset 256
		.amdhsa_reserve_vcc 1
		.amdhsa_reserve_flat_scratch 1
		.amdhsa_float_round_mode_32 0
		.amdhsa_float_round_mode_16_64 0
		.amdhsa_float_denorm_mode_32 3
		.amdhsa_float_denorm_mode_16_64 3
		.amdhsa_dx10_clamp 1
		.amdhsa_ieee_mode 1
		.amdhsa_fp16_overflow 0
		.amdhsa_tg_split 0
		.amdhsa_exception_fp_ieee_invalid_op 0
		.amdhsa_exception_fp_denorm_src 0
		.amdhsa_exception_fp_ieee_div_zero 0
		.amdhsa_exception_fp_ieee_overflow 0
		.amdhsa_exception_fp_ieee_underflow 0
		.amdhsa_exception_fp_ieee_inexact 0
		.amdhsa_exception_int_div_zero 0
	.end_amdhsa_kernel
	.section	.text._ZN9rocsolver6v33100L18getri_kernel_smallILi30E19rocblas_complex_numIdEPS3_EEvT1_iilPiilS6_bb,"axG",@progbits,_ZN9rocsolver6v33100L18getri_kernel_smallILi30E19rocblas_complex_numIdEPS3_EEvT1_iilPiilS6_bb,comdat
.Lfunc_end29:
	.size	_ZN9rocsolver6v33100L18getri_kernel_smallILi30E19rocblas_complex_numIdEPS3_EEvT1_iilPiilS6_bb, .Lfunc_end29-_ZN9rocsolver6v33100L18getri_kernel_smallILi30E19rocblas_complex_numIdEPS3_EEvT1_iilPiilS6_bb
                                        ; -- End function
	.section	.AMDGPU.csdata,"",@progbits
; Kernel info:
; codeLenInByte = 66364
; NumSgprs: 34
; NumVgprs: 256
; NumAgprs: 76
; TotalNumVgprs: 332
; ScratchSize: 496
; MemoryBound: 0
; FloatMode: 240
; IeeeMode: 1
; LDSByteSize: 1992 bytes/workgroup (compile time only)
; SGPRBlocks: 4
; VGPRBlocks: 41
; NumSGPRsForWavesPerEU: 34
; NumVGPRsForWavesPerEU: 332
; AccumOffset: 256
; Occupancy: 1
; WaveLimiterHint : 1
; COMPUTE_PGM_RSRC2:SCRATCH_EN: 1
; COMPUTE_PGM_RSRC2:USER_SGPR: 10
; COMPUTE_PGM_RSRC2:TRAP_HANDLER: 0
; COMPUTE_PGM_RSRC2:TGID_X_EN: 1
; COMPUTE_PGM_RSRC2:TGID_Y_EN: 0
; COMPUTE_PGM_RSRC2:TGID_Z_EN: 0
; COMPUTE_PGM_RSRC2:TIDIG_COMP_CNT: 2
; COMPUTE_PGM_RSRC3_GFX90A:ACCUM_OFFSET: 63
; COMPUTE_PGM_RSRC3_GFX90A:TG_SPLIT: 0
	.section	.text._ZN9rocsolver6v33100L18getri_kernel_smallILi31E19rocblas_complex_numIdEPS3_EEvT1_iilPiilS6_bb,"axG",@progbits,_ZN9rocsolver6v33100L18getri_kernel_smallILi31E19rocblas_complex_numIdEPS3_EEvT1_iilPiilS6_bb,comdat
	.globl	_ZN9rocsolver6v33100L18getri_kernel_smallILi31E19rocblas_complex_numIdEPS3_EEvT1_iilPiilS6_bb ; -- Begin function _ZN9rocsolver6v33100L18getri_kernel_smallILi31E19rocblas_complex_numIdEPS3_EEvT1_iilPiilS6_bb
	.p2align	8
	.type	_ZN9rocsolver6v33100L18getri_kernel_smallILi31E19rocblas_complex_numIdEPS3_EEvT1_iilPiilS6_bb,@function
_ZN9rocsolver6v33100L18getri_kernel_smallILi31E19rocblas_complex_numIdEPS3_EEvT1_iilPiilS6_bb: ; @_ZN9rocsolver6v33100L18getri_kernel_smallILi31E19rocblas_complex_numIdEPS3_EEvT1_iilPiilS6_bb
; %bb.0:
	s_add_u32 flat_scratch_lo, s8, s11
	s_addc_u32 flat_scratch_hi, s9, 0
	s_add_u32 s0, s0, s11
	v_and_b32_e32 v243, 0x3ff, v0
	s_addc_u32 s1, s1, 0
	v_cmp_gt_u32_e32 vcc, 31, v243
	s_and_saveexec_b64 s[8:9], vcc
	s_cbranch_execz .LBB30_138
; %bb.1:
	s_load_dword s8, s[6:7], 0x38
	s_load_dwordx4 s[20:23], s[6:7], 0x10
	s_load_dwordx4 s[12:15], s[6:7], 0x28
                                        ; implicit-def: $sgpr24_sgpr25
	s_waitcnt lgkmcnt(0)
	s_bitcmp1_b32 s8, 8
	s_cselect_b64 s[26:27], -1, 0
	s_ashr_i32 s11, s10, 31
	s_bfe_u32 s9, s8, 0x10008
	s_cmp_eq_u32 s9, 0
	s_cbranch_scc1 .LBB30_3
; %bb.2:
	s_load_dword s16, s[6:7], 0x20
	s_mul_i32 s9, s10, s13
	s_mul_hi_u32 s13, s10, s12
	s_mul_i32 s18, s11, s12
	s_add_i32 s9, s13, s9
	s_add_i32 s13, s9, s18
	s_mul_i32 s12, s10, s12
	s_waitcnt lgkmcnt(0)
	s_ashr_i32 s17, s16, 31
	s_lshl_b64 s[12:13], s[12:13], 2
	s_add_u32 s9, s22, s12
	s_addc_u32 s18, s23, s13
	s_lshl_b64 s[12:13], s[16:17], 2
	s_add_u32 s24, s9, s12
	s_addc_u32 s25, s18, s13
.LBB30_3:
	s_load_dwordx4 s[16:19], s[6:7], 0x0
	s_mul_i32 s6, s10, s21
	s_mul_hi_u32 s7, s10, s20
	s_add_i32 s9, s7, s6
	s_mul_i32 s12, s11, s20
	s_add_i32 s13, s9, s12
	s_mul_i32 s12, s10, s20
	s_waitcnt lgkmcnt(0)
	s_ashr_i32 s7, s18, 31
	s_lshl_b64 s[12:13], s[12:13], 4
	s_mov_b32 s6, s18
	s_add_u32 s9, s16, s12
	s_addc_u32 s12, s17, s13
	s_lshl_b64 s[6:7], s[6:7], 4
	s_add_u32 s6, s9, s6
	s_addc_u32 s7, s12, s7
	v_lshlrev_b32_e32 v38, 4, v243
	v_mov_b32_e32 v1, s7
	v_add_co_u32_e32 v42, vcc, s6, v38
	s_ashr_i32 s13, s19, 31
	s_mov_b32 s12, s19
	s_add_i32 s9, s19, s19
	v_addc_co_u32_e32 v43, vcc, 0, v1, vcc
	s_lshl_b64 s[12:13], s[12:13], 4
	v_add_u32_e32 v2, s9, v243
	v_mov_b32_e32 v1, s13
	v_add_co_u32_e32 v10, vcc, s12, v42
	v_ashrrev_i32_e32 v3, 31, v2
	v_addc_co_u32_e32 v11, vcc, v43, v1, vcc
	v_lshlrev_b64 v[4:5], 4, v[2:3]
	v_mov_b32_e32 v1, s7
	v_add_co_u32_e32 v4, vcc, s6, v4
	v_add_u32_e32 v2, s19, v2
	v_addc_co_u32_e32 v5, vcc, v1, v5, vcc
	v_accvgpr_write_b32 a0, v10
	v_accvgpr_write_b32 a2, v4
	v_ashrrev_i32_e32 v3, 31, v2
	global_load_dwordx4 v[6:9], v38, s[6:7]
	v_accvgpr_write_b32 a1, v11
	global_load_dwordx4 v[10:13], v[10:11], off
	v_accvgpr_write_b32 a3, v5
	global_load_dwordx4 v[14:17], v[4:5], off
	v_lshlrev_b64 v[4:5], 4, v[2:3]
	v_add_u32_e32 v2, s19, v2
	v_add_co_u32_e32 v18, vcc, s6, v4
	v_ashrrev_i32_e32 v3, 31, v2
	v_addc_co_u32_e32 v19, vcc, v1, v5, vcc
	v_add_u32_e32 v4, s19, v2
	v_lshlrev_b64 v[2:3], 4, v[2:3]
	v_add_co_u32_e32 v22, vcc, s6, v2
	v_ashrrev_i32_e32 v5, 31, v4
	v_addc_co_u32_e32 v23, vcc, v1, v3, vcc
	v_accvgpr_write_b32 a6, v22
	v_add_u32_e32 v26, s19, v4
	v_lshlrev_b64 v[2:3], 4, v[4:5]
	v_accvgpr_write_b32 a7, v23
	global_load_dwordx4 v[22:25], v[22:23], off
	v_mov_b32_e32 v28, s7
	v_ashrrev_i32_e32 v27, 31, v26
	v_add_co_u32_e32 v30, vcc, s6, v2
	v_addc_co_u32_e32 v31, vcc, v28, v3, vcc
	v_lshlrev_b64 v[2:3], 4, v[26:27]
	v_mov_b32_e32 v29, s7
	v_add_u32_e32 v4, s19, v26
	v_add_co_u32_e32 v32, vcc, s6, v2
	v_ashrrev_i32_e32 v5, 31, v4
	v_addc_co_u32_e32 v33, vcc, v29, v3, vcc
	global_load_dwordx4 v[26:29], v[30:31], off
	v_lshlrev_b64 v[2:3], 4, v[4:5]
	v_accvgpr_write_b32 a4, v18
	v_add_co_u32_e32 v34, vcc, s6, v2
	v_accvgpr_write_b32 a5, v19
	global_load_dwordx4 v[18:21], v[18:19], off
	v_accvgpr_write_b32 a8, v30
	v_accvgpr_write_b32 a10, v32
	v_addc_co_u32_e32 v35, vcc, v1, v3, vcc
	v_accvgpr_write_b32 a12, v34
	v_accvgpr_write_b32 a9, v31
	;; [unrolled: 1-line block ×4, first 2 shown]
	global_load_dwordx4 v[34:37], v[34:35], off
	v_add_u32_e32 v2, s19, v4
	global_load_dwordx4 v[30:33], v[32:33], off
	v_ashrrev_i32_e32 v3, 31, v2
	v_lshlrev_b64 v[4:5], 4, v[2:3]
	v_add_co_u32_e32 v4, vcc, s6, v4
	v_addc_co_u32_e32 v5, vcc, v1, v5, vcc
	global_load_dwordx4 v[68:71], v[4:5], off
	v_add_u32_e32 v2, s19, v2
	v_accvgpr_write_b32 a15, v5
	v_ashrrev_i32_e32 v3, 31, v2
	v_accvgpr_write_b32 a14, v4
	v_lshlrev_b64 v[4:5], 4, v[2:3]
	v_add_co_u32_e32 v4, vcc, s6, v4
	v_add_u32_e32 v40, s19, v2
	v_addc_co_u32_e32 v5, vcc, v1, v5, vcc
	v_ashrrev_i32_e32 v41, 31, v40
	v_lshlrev_b64 v[2:3], 4, v[40:41]
	global_load_dwordx4 v[72:75], v[4:5], off
	v_add_co_u32_e32 v2, vcc, s6, v2
	v_addc_co_u32_e32 v3, vcc, v1, v3, vcc
	v_accvgpr_write_b32 a17, v5
	v_accvgpr_write_b32 a19, v3
	;; [unrolled: 1-line block ×4, first 2 shown]
	global_load_dwordx4 v[2:5], v[2:3], off
	s_waitcnt vmcnt(10)
	buffer_store_dword v9, off, s[0:3], 0 offset:12
	buffer_store_dword v8, off, s[0:3], 0 offset:8
	;; [unrolled: 1-line block ×3, first 2 shown]
	buffer_store_dword v6, off, s[0:3], 0
	s_waitcnt vmcnt(13)
	buffer_store_dword v13, off, s[0:3], 0 offset:28
	buffer_store_dword v12, off, s[0:3], 0 offset:24
	buffer_store_dword v11, off, s[0:3], 0 offset:20
	buffer_store_dword v10, off, s[0:3], 0 offset:16
	s_waitcnt vmcnt(16)
	buffer_store_dword v17, off, s[0:3], 0 offset:44
	buffer_store_dword v16, off, s[0:3], 0 offset:40
	buffer_store_dword v15, off, s[0:3], 0 offset:36
	buffer_store_dword v14, off, s[0:3], 0 offset:32
	s_waitcnt vmcnt(17)
	buffer_store_dword v21, off, s[0:3], 0 offset:60
	buffer_store_dword v20, off, s[0:3], 0 offset:56
	buffer_store_dword v19, off, s[0:3], 0 offset:52
	buffer_store_dword v18, off, s[0:3], 0 offset:48
	v_add_u32_e32 v6, s19, v40
	v_ashrrev_i32_e32 v7, 31, v6
	v_lshlrev_b64 v[8:9], 4, v[6:7]
	v_add_u32_e32 v14, s19, v6
	v_add_co_u32_e32 v8, vcc, s6, v8
	v_ashrrev_i32_e32 v15, 31, v14
	v_addc_co_u32_e32 v9, vcc, v1, v9, vcc
	v_lshlrev_b64 v[6:7], 4, v[14:15]
	buffer_store_dword v25, off, s[0:3], 0 offset:76
	buffer_store_dword v24, off, s[0:3], 0 offset:72
	;; [unrolled: 1-line block ×8, first 2 shown]
	v_add_co_u32_e32 v10, vcc, s6, v6
	v_accvgpr_write_b32 a21, v9
	v_addc_co_u32_e32 v11, vcc, v1, v7, vcc
	v_accvgpr_write_b32 a20, v8
	global_load_dwordx4 v[6:9], v[8:9], off
	v_add_u32_e32 v14, s19, v14
	v_ashrrev_i32_e32 v15, 31, v14
	v_accvgpr_write_b32 a23, v11
	v_lshlrev_b64 v[16:17], 4, v[14:15]
	v_add_u32_e32 v22, s19, v14
	v_accvgpr_write_b32 a22, v10
	global_load_dwordx4 v[10:13], v[10:11], off
	v_add_co_u32_e32 v16, vcc, s6, v16
	v_ashrrev_i32_e32 v23, 31, v22
	v_addc_co_u32_e32 v17, vcc, v1, v17, vcc
	v_lshlrev_b64 v[14:15], 4, v[22:23]
	v_add_u32_e32 v22, s19, v22
	v_add_co_u32_e32 v18, vcc, s6, v14
	v_ashrrev_i32_e32 v23, 31, v22
	s_waitcnt vmcnt(29)
	buffer_store_dword v33, off, s[0:3], 0 offset:108
	buffer_store_dword v32, off, s[0:3], 0 offset:104
	;; [unrolled: 1-line block ×8, first 2 shown]
	s_waitcnt vmcnt(36)
	buffer_store_dword v71, off, s[0:3], 0 offset:140
	buffer_store_dword v70, off, s[0:3], 0 offset:136
	;; [unrolled: 1-line block ×4, first 2 shown]
	s_waitcnt vmcnt(39)
	buffer_store_dword v72, off, s[0:3], 0 offset:144
	buffer_store_dword v73, off, s[0:3], 0 offset:148
	buffer_store_dword v74, off, s[0:3], 0 offset:152
	buffer_store_dword v75, off, s[0:3], 0 offset:156
	s_waitcnt vmcnt(42)
	buffer_store_dword v2, off, s[0:3], 0 offset:160
	v_addc_co_u32_e32 v19, vcc, v1, v15, vcc
	v_accvgpr_write_b32 a25, v17
	v_lshlrev_b64 v[24:25], 4, v[22:23]
	v_add_u32_e32 v30, s19, v22
	v_accvgpr_write_b32 a24, v16
	global_load_dwordx4 v[14:17], v[16:17], off
	v_add_co_u32_e32 v24, vcc, s6, v24
	v_ashrrev_i32_e32 v31, 31, v30
	v_addc_co_u32_e32 v25, vcc, v1, v25, vcc
	v_lshlrev_b64 v[22:23], 4, v[30:31]
	v_add_u32_e32 v30, s19, v30
	v_add_co_u32_e32 v26, vcc, s6, v22
	v_ashrrev_i32_e32 v31, 31, v30
	v_accvgpr_write_b32 a27, v19
	v_addc_co_u32_e32 v27, vcc, v1, v23, vcc
	v_lshlrev_b64 v[32:33], 4, v[30:31]
	v_add_u32_e32 v40, s19, v30
	v_accvgpr_write_b32 a26, v18
	global_load_dwordx4 v[18:21], v[18:19], off
	v_add_co_u32_e32 v32, vcc, s6, v32
	v_ashrrev_i32_e32 v41, 31, v40
	v_addc_co_u32_e32 v33, vcc, v1, v33, vcc
	v_lshlrev_b64 v[30:31], 4, v[40:41]
	v_add_u32_e32 v40, s19, v40
	v_add_co_u32_e32 v34, vcc, s6, v30
	v_ashrrev_i32_e32 v41, 31, v40
	v_accvgpr_write_b32 a29, v25
	v_addc_co_u32_e32 v35, vcc, v1, v31, vcc
	v_lshlrev_b64 v[44:45], 4, v[40:41]
	v_add_u32_e32 v40, s19, v40
	v_accvgpr_write_b32 a28, v24
	global_load_dwordx4 v[22:25], v[24:25], off
	v_add_co_u32_e32 v46, vcc, s6, v44
	v_ashrrev_i32_e32 v41, 31, v40
	v_addc_co_u32_e32 v47, vcc, v1, v45, vcc
	v_lshlrev_b64 v[44:45], 4, v[40:41]
	v_add_co_u32_e32 v44, vcc, s6, v44
	v_add_u32_e32 v40, s19, v40
	v_accvgpr_write_b32 a31, v27
	v_addc_co_u32_e32 v45, vcc, v1, v45, vcc
	v_accvgpr_write_b32 a38, v44
	v_ashrrev_i32_e32 v41, 31, v40
	v_accvgpr_write_b32 a30, v26
	global_load_dwordx4 v[26:29], v[26:27], off
	v_accvgpr_write_b32 a36, v46
	global_load_dwordx4 v[104:107], v[46:47], off
	global_load_dwordx4 v[108:111], v[44:45], off
	v_accvgpr_write_b32 a39, v45
	v_lshlrev_b64 v[44:45], 4, v[40:41]
	v_add_u32_e32 v40, s19, v40
	v_accvgpr_write_b32 a37, v47
	v_add_co_u32_e32 v46, vcc, s6, v44
	v_ashrrev_i32_e32 v41, 31, v40
	v_addc_co_u32_e32 v47, vcc, v1, v45, vcc
	v_lshlrev_b64 v[44:45], 4, v[40:41]
	v_accvgpr_write_b32 a32, v32
	v_add_co_u32_e32 v44, vcc, s6, v44
	v_add_u32_e32 v40, s19, v40
	v_accvgpr_write_b32 a33, v33
	global_load_dwordx4 v[30:33], v[32:33], off
	v_addc_co_u32_e32 v45, vcc, v1, v45, vcc
	v_accvgpr_write_b32 a42, v44
	v_ashrrev_i32_e32 v41, 31, v40
	v_accvgpr_write_b32 a40, v46
	global_load_dwordx4 v[112:115], v[46:47], off
	global_load_dwordx4 v[116:119], v[44:45], off
	v_accvgpr_write_b32 a43, v45
	v_lshlrev_b64 v[44:45], 4, v[40:41]
	v_add_u32_e32 v40, s19, v40
	v_accvgpr_write_b32 a41, v47
	v_add_co_u32_e32 v46, vcc, s6, v44
	v_ashrrev_i32_e32 v41, 31, v40
	v_accvgpr_write_b32 a34, v34
	v_addc_co_u32_e32 v47, vcc, v1, v45, vcc
	v_lshlrev_b64 v[44:45], 4, v[40:41]
	v_accvgpr_write_b32 a35, v35
	global_load_dwordx4 v[34:37], v[34:35], off
	v_add_co_u32_e32 v44, vcc, s6, v44
	v_addc_co_u32_e32 v45, vcc, v1, v45, vcc
	v_add_u32_e32 v40, s19, v40
	v_accvgpr_write_b32 a47, v45
	v_ashrrev_i32_e32 v41, 31, v40
	v_accvgpr_write_b32 a44, v46
	global_load_dwordx4 v[120:123], v[46:47], off
	global_load_dwordx4 v[124:127], v[44:45], off
	v_accvgpr_write_b32 a46, v44
	v_lshlrev_b64 v[44:45], 4, v[40:41]
	v_add_u32_e32 v40, s19, v40
	v_accvgpr_write_b32 a45, v47
	v_add_co_u32_e32 v46, vcc, s6, v44
	v_ashrrev_i32_e32 v41, 31, v40
	v_addc_co_u32_e32 v47, vcc, v1, v45, vcc
	v_lshlrev_b64 v[44:45], 4, v[40:41]
	v_add_co_u32_e32 v44, vcc, s6, v44
	v_addc_co_u32_e32 v45, vcc, v1, v45, vcc
	v_add_u32_e32 v40, s19, v40
	v_accvgpr_write_b32 a51, v45
	v_ashrrev_i32_e32 v41, 31, v40
	v_accvgpr_write_b32 a49, v47
	global_load_dwordx4 v[128:131], v[46:47], off
	global_load_dwordx4 v[132:135], v[44:45], off
	v_accvgpr_write_b32 a50, v44
	v_lshlrev_b64 v[44:45], 4, v[40:41]
	v_add_u32_e32 v40, s19, v40
	v_accvgpr_write_b32 a48, v46
	v_add_co_u32_e32 v46, vcc, s6, v44
	v_ashrrev_i32_e32 v41, 31, v40
	v_addc_co_u32_e32 v47, vcc, v1, v45, vcc
	v_lshlrev_b64 v[44:45], 4, v[40:41]
	v_add_co_u32_e32 v44, vcc, s6, v44
	v_addc_co_u32_e32 v45, vcc, v1, v45, vcc
	v_add_u32_e32 v40, s19, v40
	v_accvgpr_write_b32 a55, v45
	v_ashrrev_i32_e32 v41, 31, v40
	global_load_dwordx4 v[136:139], v[46:47], off
	global_load_dwordx4 v[140:143], v[44:45], off
	v_accvgpr_write_b32 a54, v44
	v_lshlrev_b64 v[44:45], 4, v[40:41]
	v_add_u32_e32 v40, s19, v40
	v_add_co_u32_e32 v100, vcc, s6, v44
	v_ashrrev_i32_e32 v41, 31, v40
	v_addc_co_u32_e32 v101, vcc, v1, v45, vcc
	v_lshlrev_b64 v[40:41], 4, v[40:41]
	v_add_co_u32_e32 v102, vcc, s6, v40
	v_addc_co_u32_e32 v103, vcc, v1, v41, vcc
	v_mov_b32_e32 v1, 0
	v_add_u32_e32 v2, 16, v1
	v_accvgpr_write_b32 a84, v2
	v_add_u32_e32 v2, 32, v1
	v_accvgpr_write_b32 a83, v2
	;; [unrolled: 2-line block ×23, first 2 shown]
	v_add_u32_e32 v2, 0x190, v1
	global_load_dwordx4 v[144:147], v[100:101], off
	global_load_dwordx4 v[148:151], v[102:103], off
	v_accvgpr_write_b32 a61, v2
	v_add_u32_e32 v2, 0x1a0, v1
	v_accvgpr_write_b32 a60, v2
	v_add_u32_e32 v2, 0x1b0, v1
	;; [unrolled: 2-line block ×5, first 2 shown]
	v_add_u32_e32 v1, 0x1e0, v1
	v_accvgpr_write_b32 a52, v46
	v_accvgpr_write_b32 a57, v2
	;; [unrolled: 1-line block ×3, first 2 shown]
	s_bitcmp0_b32 s8, 0
	s_mov_b64 s[8:9], -1
	buffer_store_dword v3, off, s[0:3], 0 offset:164
	buffer_store_dword v4, off, s[0:3], 0 offset:168
	buffer_store_dword v5, off, s[0:3], 0 offset:172
	s_waitcnt vmcnt(39)
	buffer_store_dword v6, off, s[0:3], 0 offset:176
	buffer_store_dword v7, off, s[0:3], 0 offset:180
	buffer_store_dword v8, off, s[0:3], 0 offset:184
	buffer_store_dword v9, off, s[0:3], 0 offset:188
	s_waitcnt vmcnt(42)
	buffer_store_dword v13, off, s[0:3], 0 offset:204
	;; [unrolled: 5-line block ×8, first 2 shown]
	buffer_store_dword v36, off, s[0:3], 0 offset:296
	buffer_store_dword v35, off, s[0:3], 0 offset:292
	;; [unrolled: 1-line block ×19, first 2 shown]
	s_waitcnt vmcnt(58)
	buffer_store_dword v123, off, s[0:3], 0 offset:380
	buffer_store_dword v122, off, s[0:3], 0 offset:376
	buffer_store_dword v121, off, s[0:3], 0 offset:372
	buffer_store_dword v120, off, s[0:3], 0 offset:368
	s_waitcnt vmcnt(61)
	buffer_store_dword v127, off, s[0:3], 0 offset:396
	buffer_store_dword v126, off, s[0:3], 0 offset:392
	buffer_store_dword v125, off, s[0:3], 0 offset:388
	buffer_store_dword v124, off, s[0:3], 0 offset:384
	;; [unrolled: 5-line block ×3, first 2 shown]
	buffer_store_dword v135, off, s[0:3], 0 offset:428
	buffer_store_dword v134, off, s[0:3], 0 offset:424
	buffer_store_dword v133, off, s[0:3], 0 offset:420
	buffer_store_dword v132, off, s[0:3], 0 offset:416
	buffer_store_dword v139, off, s[0:3], 0 offset:444
	buffer_store_dword v138, off, s[0:3], 0 offset:440
	buffer_store_dword v137, off, s[0:3], 0 offset:436
	buffer_store_dword v136, off, s[0:3], 0 offset:432
	s_waitcnt vmcnt(62)
	buffer_store_dword v143, off, s[0:3], 0 offset:460
	buffer_store_dword v142, off, s[0:3], 0 offset:456
	;; [unrolled: 1-line block ×12, first 2 shown]
	s_cbranch_scc1 .LBB30_136
; %bb.4:
	v_cmp_eq_u32_e64 s[6:7], 0, v243
	s_and_saveexec_b64 s[8:9], s[6:7]
	s_cbranch_execz .LBB30_6
; %bb.5:
	v_mov_b32_e32 v1, 0
	ds_write_b32 v1, v1 offset:992
.LBB30_6:
	s_or_b64 exec, exec, s[8:9]
	v_mov_b32_e32 v1, 0
	v_lshl_add_u32 v12, v243, 4, v1
	s_waitcnt lgkmcnt(0)
	; wave barrier
	s_waitcnt lgkmcnt(0)
	buffer_load_dword v2, v12, s[0:3], 0 offen
	buffer_load_dword v3, v12, s[0:3], 0 offen offset:4
	buffer_load_dword v4, v12, s[0:3], 0 offen offset:8
	;; [unrolled: 1-line block ×3, first 2 shown]
	s_waitcnt vmcnt(2)
	v_cmp_eq_f64_e32 vcc, 0, v[2:3]
	s_waitcnt vmcnt(0)
	v_cmp_eq_f64_e64 s[8:9], 0, v[4:5]
	s_and_b64 s[8:9], vcc, s[8:9]
	s_and_saveexec_b64 s[12:13], s[8:9]
	s_cbranch_execz .LBB30_10
; %bb.7:
	v_mov_b32_e32 v2, 0
	ds_read_b32 v1, v2 offset:992
	v_add_u32_e32 v3, 1, v243
	s_waitcnt lgkmcnt(0)
	v_readfirstlane_b32 s8, v1
	s_cmp_eq_u32 s8, 0
	s_cselect_b64 s[16:17], -1, 0
	v_cmp_gt_i32_e32 vcc, s8, v3
	s_or_b64 s[16:17], s[16:17], vcc
	s_and_b64 exec, exec, s[16:17]
	s_cbranch_execz .LBB30_10
; %bb.8:
	s_mov_b64 s[16:17], 0
	v_mov_b32_e32 v4, s8
.LBB30_9:                               ; =>This Inner Loop Header: Depth=1
	ds_cmpst_rtn_b32 v4, v2, v4, v3 offset:992
	s_waitcnt lgkmcnt(0)
	v_cmp_ne_u32_e32 vcc, 0, v4
	v_cmp_le_i32_e64 s[8:9], v4, v3
	s_and_b64 s[8:9], vcc, s[8:9]
	s_and_b64 s[8:9], exec, s[8:9]
	s_or_b64 s[16:17], s[8:9], s[16:17]
	s_andn2_b64 exec, exec, s[16:17]
	s_cbranch_execnz .LBB30_9
.LBB30_10:
	s_or_b64 exec, exec, s[12:13]
	v_mov_b32_e32 v3, 0
	s_waitcnt lgkmcnt(0)
	; wave barrier
	ds_read_b32 v2, v3 offset:992
	s_and_saveexec_b64 s[8:9], s[6:7]
	s_cbranch_execz .LBB30_12
; %bb.11:
	s_lshl_b64 s[12:13], s[10:11], 2
	s_add_u32 s12, s14, s12
	s_addc_u32 s13, s15, s13
	s_waitcnt lgkmcnt(0)
	global_store_dword v3, v2, s[12:13]
.LBB30_12:
	s_or_b64 exec, exec, s[8:9]
	s_waitcnt lgkmcnt(0)
	v_cmp_ne_u32_e32 vcc, 0, v2
	s_mov_b64 s[8:9], 0
	s_cbranch_vccnz .LBB30_136
; %bb.13:
	buffer_load_dword v7, v12, s[0:3], 0 offen offset:4
	buffer_load_dword v6, v12, s[0:3], 0 offen
	buffer_load_dword v9, v12, s[0:3], 0 offen offset:12
	buffer_load_dword v8, v12, s[0:3], 0 offen offset:8
                                        ; implicit-def: $vgpr10_vgpr11
	s_waitcnt vmcnt(3)
	v_xor_b32_e32 v1, 0x80000000, v7
	s_waitcnt vmcnt(2)
	v_cmp_gt_f64_e32 vcc, 0, v[6:7]
	s_waitcnt vmcnt(1)
	v_xor_b32_e32 v4, 0x80000000, v9
	v_cndmask_b32_e32 v3, v7, v1, vcc
	s_waitcnt vmcnt(0)
	v_cmp_gt_f64_e32 vcc, 0, v[8:9]
	v_mov_b32_e32 v2, v6
	v_cndmask_b32_e32 v5, v9, v4, vcc
	v_mov_b32_e32 v4, v8
	v_cmp_ngt_f64_e32 vcc, v[2:3], v[4:5]
                                        ; implicit-def: $vgpr4_vgpr5
	s_and_saveexec_b64 s[8:9], vcc
	s_xor_b64 s[8:9], exec, s[8:9]
	s_cbranch_execz .LBB30_15
; %bb.14:
	v_div_scale_f64 v[2:3], s[12:13], v[8:9], v[8:9], v[6:7]
	v_rcp_f64_e32 v[4:5], v[2:3]
	v_div_scale_f64 v[10:11], vcc, v[6:7], v[8:9], v[6:7]
	v_fma_f64 v[14:15], -v[2:3], v[4:5], 1.0
	v_fmac_f64_e32 v[4:5], v[4:5], v[14:15]
	v_fma_f64 v[14:15], -v[2:3], v[4:5], 1.0
	v_fmac_f64_e32 v[4:5], v[4:5], v[14:15]
	v_mul_f64 v[14:15], v[10:11], v[4:5]
	v_fma_f64 v[2:3], -v[2:3], v[14:15], v[10:11]
	v_div_fmas_f64 v[2:3], v[2:3], v[4:5], v[14:15]
	v_div_fixup_f64 v[2:3], v[2:3], v[8:9], v[6:7]
	v_fmac_f64_e32 v[8:9], v[6:7], v[2:3]
	v_div_scale_f64 v[4:5], s[12:13], v[8:9], v[8:9], 1.0
	v_rcp_f64_e32 v[6:7], v[4:5]
	v_fma_f64 v[10:11], -v[4:5], v[6:7], 1.0
	v_fmac_f64_e32 v[6:7], v[6:7], v[10:11]
	v_fma_f64 v[10:11], -v[4:5], v[6:7], 1.0
	v_fmac_f64_e32 v[6:7], v[6:7], v[10:11]
	v_div_scale_f64 v[10:11], vcc, 1.0, v[8:9], 1.0
	v_mul_f64 v[14:15], v[10:11], v[6:7]
	v_fma_f64 v[4:5], -v[4:5], v[14:15], v[10:11]
	s_nop 1
	v_div_fmas_f64 v[4:5], v[4:5], v[6:7], v[14:15]
	v_div_fixup_f64 v[4:5], v[4:5], v[8:9], 1.0
	v_mul_f64 v[10:11], v[2:3], v[4:5]
	v_xor_b32_e32 v5, 0x80000000, v5
	v_xor_b32_e32 v3, 0x80000000, v11
	v_mov_b32_e32 v2, v10
                                        ; implicit-def: $vgpr6_vgpr7
                                        ; implicit-def: $vgpr8_vgpr9
.LBB30_15:
	s_andn2_saveexec_b64 s[8:9], s[8:9]
	s_cbranch_execz .LBB30_17
; %bb.16:
	v_div_scale_f64 v[2:3], s[12:13], v[6:7], v[6:7], v[8:9]
	v_rcp_f64_e32 v[4:5], v[2:3]
	v_div_scale_f64 v[10:11], vcc, v[8:9], v[6:7], v[8:9]
	v_fma_f64 v[14:15], -v[2:3], v[4:5], 1.0
	v_fmac_f64_e32 v[4:5], v[4:5], v[14:15]
	v_fma_f64 v[14:15], -v[2:3], v[4:5], 1.0
	v_fmac_f64_e32 v[4:5], v[4:5], v[14:15]
	v_mul_f64 v[14:15], v[10:11], v[4:5]
	v_fma_f64 v[2:3], -v[2:3], v[14:15], v[10:11]
	v_div_fmas_f64 v[2:3], v[2:3], v[4:5], v[14:15]
	v_div_fixup_f64 v[4:5], v[2:3], v[6:7], v[8:9]
	v_fmac_f64_e32 v[6:7], v[8:9], v[4:5]
	v_div_scale_f64 v[2:3], s[12:13], v[6:7], v[6:7], 1.0
	v_rcp_f64_e32 v[8:9], v[2:3]
	v_fma_f64 v[10:11], -v[2:3], v[8:9], 1.0
	v_fmac_f64_e32 v[8:9], v[8:9], v[10:11]
	v_fma_f64 v[10:11], -v[2:3], v[8:9], 1.0
	v_fmac_f64_e32 v[8:9], v[8:9], v[10:11]
	v_div_scale_f64 v[10:11], vcc, 1.0, v[6:7], 1.0
	v_mul_f64 v[14:15], v[10:11], v[8:9]
	v_fma_f64 v[2:3], -v[2:3], v[14:15], v[10:11]
	s_nop 1
	v_div_fmas_f64 v[2:3], v[2:3], v[8:9], v[14:15]
	v_div_fixup_f64 v[10:11], v[2:3], v[6:7], 1.0
	v_xor_b32_e32 v3, 0x80000000, v11
	v_mov_b32_e32 v2, v10
	v_mul_f64 v[4:5], v[4:5], -v[10:11]
.LBB30_17:
	s_or_b64 exec, exec, s[8:9]
	buffer_store_dword v11, v12, s[0:3], 0 offen offset:4
	buffer_store_dword v10, v12, s[0:3], 0 offen
	buffer_store_dword v5, v12, s[0:3], 0 offen offset:12
	buffer_store_dword v4, v12, s[0:3], 0 offen offset:8
	v_accvgpr_read_b32 v1, a84
	buffer_load_dword v11, v1, s[0:3], 0 offen offset:12
	buffer_load_dword v10, v1, s[0:3], 0 offen offset:8
	buffer_load_dword v9, v1, s[0:3], 0 offen offset:4
	buffer_load_dword v8, v1, s[0:3], 0 offen
	v_xor_b32_e32 v5, 0x80000000, v5
	v_add_u32_e32 v6, 0x1f0, v38
	ds_write_b128 v38, v[2:5]
	s_waitcnt vmcnt(0)
	ds_write_b128 v38, v[8:11] offset:496
	s_waitcnt lgkmcnt(0)
	; wave barrier
	s_waitcnt lgkmcnt(0)
	s_and_saveexec_b64 s[8:9], s[6:7]
	s_cbranch_execz .LBB30_19
; %bb.18:
	buffer_load_dword v14, v12, s[0:3], 0 offen offset:8
	buffer_load_dword v15, v12, s[0:3], 0 offen offset:12
	buffer_load_dword v16, v12, s[0:3], 0 offen
	buffer_load_dword v17, v12, s[0:3], 0 offen offset:4
	ds_read_b128 v[2:5], v6
	v_mov_b32_e32 v1, 0
	ds_read_b128 v[8:11], v1 offset:16
	s_waitcnt vmcnt(2) lgkmcnt(1)
	v_mul_f64 v[18:19], v[4:5], v[14:15]
	v_mul_f64 v[14:15], v[2:3], v[14:15]
	s_waitcnt vmcnt(0)
	v_fmac_f64_e32 v[14:15], v[4:5], v[16:17]
	v_fma_f64 v[2:3], v[2:3], v[16:17], -v[18:19]
	v_add_f64 v[4:5], v[14:15], 0
	v_add_f64 v[2:3], v[2:3], 0
	s_waitcnt lgkmcnt(0)
	v_mul_f64 v[14:15], v[4:5], v[10:11]
	v_mul_f64 v[10:11], v[2:3], v[10:11]
	v_fma_f64 v[2:3], v[2:3], v[8:9], -v[14:15]
	v_fmac_f64_e32 v[10:11], v[4:5], v[8:9]
	buffer_store_dword v2, off, s[0:3], 0 offset:16
	buffer_store_dword v3, off, s[0:3], 0 offset:20
	;; [unrolled: 1-line block ×4, first 2 shown]
.LBB30_19:
	s_or_b64 exec, exec, s[8:9]
	v_accvgpr_read_b32 v1, a83
	s_waitcnt lgkmcnt(0)
	; wave barrier
	buffer_load_dword v2, v1, s[0:3], 0 offen
	buffer_load_dword v3, v1, s[0:3], 0 offen offset:4
	buffer_load_dword v4, v1, s[0:3], 0 offen offset:8
	buffer_load_dword v5, v1, s[0:3], 0 offen offset:12
	v_cmp_gt_u32_e32 vcc, 2, v243
	s_waitcnt vmcnt(0)
	ds_write_b128 v6, v[2:5]
	s_waitcnt lgkmcnt(0)
	; wave barrier
	s_waitcnt lgkmcnt(0)
	s_and_saveexec_b64 s[8:9], vcc
	s_cbranch_execz .LBB30_23
; %bb.20:
	buffer_load_dword v8, v12, s[0:3], 0 offen offset:8
	buffer_load_dword v9, v12, s[0:3], 0 offen offset:12
	buffer_load_dword v10, v12, s[0:3], 0 offen
	buffer_load_dword v11, v12, s[0:3], 0 offen offset:4
	ds_read_b128 v[2:5], v6
	s_waitcnt vmcnt(2) lgkmcnt(0)
	v_mul_f64 v[12:13], v[4:5], v[8:9]
	v_mul_f64 v[8:9], v[2:3], v[8:9]
	s_waitcnt vmcnt(0)
	v_fma_f64 v[2:3], v[2:3], v[10:11], -v[12:13]
	v_fmac_f64_e32 v[8:9], v[4:5], v[10:11]
	v_add_f64 v[4:5], v[2:3], 0
	v_add_f64 v[2:3], v[8:9], 0
	s_and_saveexec_b64 s[12:13], s[6:7]
	s_cbranch_execz .LBB30_22
; %bb.21:
	buffer_load_dword v12, off, s[0:3], 0 offset:24
	buffer_load_dword v13, off, s[0:3], 0 offset:28
	;; [unrolled: 1-line block ×4, first 2 shown]
	v_mov_b32_e32 v1, 0
	ds_read_b128 v[8:11], v1 offset:512
	s_waitcnt vmcnt(2) lgkmcnt(0)
	v_mul_f64 v[16:17], v[8:9], v[12:13]
	v_mul_f64 v[12:13], v[10:11], v[12:13]
	s_waitcnt vmcnt(0)
	v_fmac_f64_e32 v[16:17], v[10:11], v[14:15]
	v_fma_f64 v[8:9], v[8:9], v[14:15], -v[12:13]
	v_add_f64 v[2:3], v[2:3], v[16:17]
	v_add_f64 v[4:5], v[4:5], v[8:9]
.LBB30_22:
	s_or_b64 exec, exec, s[12:13]
	v_mov_b32_e32 v1, 0
	ds_read_b128 v[8:11], v1 offset:32
	s_waitcnt lgkmcnt(0)
	v_mul_f64 v[12:13], v[2:3], v[10:11]
	v_mul_f64 v[10:11], v[4:5], v[10:11]
	v_fma_f64 v[4:5], v[4:5], v[8:9], -v[12:13]
	v_fmac_f64_e32 v[10:11], v[2:3], v[8:9]
	buffer_store_dword v5, off, s[0:3], 0 offset:36
	buffer_store_dword v4, off, s[0:3], 0 offset:32
	;; [unrolled: 1-line block ×4, first 2 shown]
.LBB30_23:
	s_or_b64 exec, exec, s[8:9]
	s_waitcnt lgkmcnt(0)
	; wave barrier
	buffer_load_dword v2, v242, s[0:3], 0 offen
	buffer_load_dword v3, v242, s[0:3], 0 offen offset:4
	buffer_load_dword v4, v242, s[0:3], 0 offen offset:8
	;; [unrolled: 1-line block ×3, first 2 shown]
	v_cmp_gt_u32_e32 vcc, 3, v243
	v_add_u32_e32 v7, -1, v243
	s_waitcnt vmcnt(0)
	ds_write_b128 v6, v[2:5]
	s_waitcnt lgkmcnt(0)
	; wave barrier
	s_waitcnt lgkmcnt(0)
	s_and_saveexec_b64 s[6:7], vcc
	s_cbranch_execz .LBB30_27
; %bb.24:
	v_pk_mov_b32 v[2:3], 0, 0
	v_add_u32_e32 v8, -1, v243
	v_add_u32_e32 v9, 0x1f0, v38
	v_add_u32_e32 v10, 0, v38
	s_mov_b64 s[8:9], 0
	v_pk_mov_b32 v[4:5], v[2:3], v[2:3] op_sel:[0,1]
.LBB30_25:                              ; =>This Inner Loop Header: Depth=1
	buffer_load_dword v16, v10, s[0:3], 0 offen offset:8
	buffer_load_dword v17, v10, s[0:3], 0 offen offset:12
	buffer_load_dword v18, v10, s[0:3], 0 offen
	buffer_load_dword v19, v10, s[0:3], 0 offen offset:4
	ds_read_b128 v[12:15], v9
	v_add_u32_e32 v8, 1, v8
	v_cmp_lt_u32_e32 vcc, 1, v8
	v_add_u32_e32 v9, 16, v9
	v_add_u32_e32 v10, 16, v10
	s_or_b64 s[8:9], vcc, s[8:9]
	s_waitcnt vmcnt(2) lgkmcnt(0)
	v_mul_f64 v[20:21], v[14:15], v[16:17]
	v_mul_f64 v[16:17], v[12:13], v[16:17]
	s_waitcnt vmcnt(0)
	v_fma_f64 v[12:13], v[12:13], v[18:19], -v[20:21]
	v_fmac_f64_e32 v[16:17], v[14:15], v[18:19]
	v_add_f64 v[4:5], v[4:5], v[12:13]
	v_add_f64 v[2:3], v[2:3], v[16:17]
	s_andn2_b64 exec, exec, s[8:9]
	s_cbranch_execnz .LBB30_25
; %bb.26:
	s_or_b64 exec, exec, s[8:9]
	v_mov_b32_e32 v1, 0
	ds_read_b128 v[8:11], v1 offset:48
	s_waitcnt lgkmcnt(0)
	v_mul_f64 v[12:13], v[2:3], v[10:11]
	v_mul_f64 v[10:11], v[4:5], v[10:11]
	v_fma_f64 v[4:5], v[4:5], v[8:9], -v[12:13]
	v_fmac_f64_e32 v[10:11], v[2:3], v[8:9]
	buffer_store_dword v5, off, s[0:3], 0 offset:52
	buffer_store_dword v4, off, s[0:3], 0 offset:48
	buffer_store_dword v11, off, s[0:3], 0 offset:60
	buffer_store_dword v10, off, s[0:3], 0 offset:56
.LBB30_27:
	s_or_b64 exec, exec, s[6:7]
	v_accvgpr_read_b32 v1, a81
	s_waitcnt lgkmcnt(0)
	; wave barrier
	buffer_load_dword v2, v1, s[0:3], 0 offen
	buffer_load_dword v3, v1, s[0:3], 0 offen offset:4
	buffer_load_dword v4, v1, s[0:3], 0 offen offset:8
	buffer_load_dword v5, v1, s[0:3], 0 offen offset:12
	v_cmp_gt_u32_e32 vcc, 4, v243
	s_waitcnt vmcnt(0)
	ds_write_b128 v6, v[2:5]
	s_waitcnt lgkmcnt(0)
	; wave barrier
	s_waitcnt lgkmcnt(0)
	s_and_saveexec_b64 s[6:7], vcc
	s_cbranch_execz .LBB30_31
; %bb.28:
	v_pk_mov_b32 v[2:3], 0, 0
	v_add_u32_e32 v8, -1, v243
	v_add_u32_e32 v9, 0x1f0, v38
	v_add_u32_e32 v10, 0, v38
	s_mov_b64 s[8:9], 0
	v_pk_mov_b32 v[4:5], v[2:3], v[2:3] op_sel:[0,1]
.LBB30_29:                              ; =>This Inner Loop Header: Depth=1
	buffer_load_dword v16, v10, s[0:3], 0 offen offset:8
	buffer_load_dword v17, v10, s[0:3], 0 offen offset:12
	buffer_load_dword v18, v10, s[0:3], 0 offen
	buffer_load_dword v19, v10, s[0:3], 0 offen offset:4
	ds_read_b128 v[12:15], v9
	v_add_u32_e32 v8, 1, v8
	v_cmp_lt_u32_e32 vcc, 2, v8
	v_add_u32_e32 v9, 16, v9
	v_add_u32_e32 v10, 16, v10
	s_or_b64 s[8:9], vcc, s[8:9]
	s_waitcnt vmcnt(2) lgkmcnt(0)
	v_mul_f64 v[20:21], v[14:15], v[16:17]
	v_mul_f64 v[16:17], v[12:13], v[16:17]
	s_waitcnt vmcnt(0)
	v_fma_f64 v[12:13], v[12:13], v[18:19], -v[20:21]
	v_fmac_f64_e32 v[16:17], v[14:15], v[18:19]
	v_add_f64 v[4:5], v[4:5], v[12:13]
	v_add_f64 v[2:3], v[2:3], v[16:17]
	s_andn2_b64 exec, exec, s[8:9]
	s_cbranch_execnz .LBB30_29
; %bb.30:
	s_or_b64 exec, exec, s[8:9]
	v_mov_b32_e32 v1, 0
	ds_read_b128 v[8:11], v1 offset:64
	s_waitcnt lgkmcnt(0)
	v_mul_f64 v[12:13], v[2:3], v[10:11]
	v_mul_f64 v[10:11], v[4:5], v[10:11]
	v_fma_f64 v[4:5], v[4:5], v[8:9], -v[12:13]
	v_fmac_f64_e32 v[10:11], v[2:3], v[8:9]
	buffer_store_dword v5, off, s[0:3], 0 offset:68
	buffer_store_dword v4, off, s[0:3], 0 offset:64
	buffer_store_dword v11, off, s[0:3], 0 offset:76
	buffer_store_dword v10, off, s[0:3], 0 offset:72
.LBB30_31:
	s_or_b64 exec, exec, s[6:7]
	v_accvgpr_read_b32 v1, a79
	s_waitcnt lgkmcnt(0)
	; wave barrier
	buffer_load_dword v2, v1, s[0:3], 0 offen
	buffer_load_dword v3, v1, s[0:3], 0 offen offset:4
	buffer_load_dword v4, v1, s[0:3], 0 offen offset:8
	buffer_load_dword v5, v1, s[0:3], 0 offen offset:12
	v_cmp_gt_u32_e32 vcc, 5, v243
	;; [unrolled: 58-line block ×19, first 2 shown]
	s_waitcnt vmcnt(0)
	ds_write_b128 v6, v[2:5]
	s_waitcnt lgkmcnt(0)
	; wave barrier
	s_waitcnt lgkmcnt(0)
	s_and_saveexec_b64 s[6:7], vcc
	s_cbranch_execz .LBB30_103
; %bb.100:
	v_pk_mov_b32 v[2:3], 0, 0
	v_add_u32_e32 v8, -1, v243
	v_add_u32_e32 v9, 0x1f0, v38
	v_add_u32_e32 v10, 0, v38
	s_mov_b64 s[8:9], 0
	v_pk_mov_b32 v[4:5], v[2:3], v[2:3] op_sel:[0,1]
.LBB30_101:                             ; =>This Inner Loop Header: Depth=1
	buffer_load_dword v16, v10, s[0:3], 0 offen offset:8
	buffer_load_dword v17, v10, s[0:3], 0 offen offset:12
	buffer_load_dword v18, v10, s[0:3], 0 offen
	buffer_load_dword v19, v10, s[0:3], 0 offen offset:4
	ds_read_b128 v[12:15], v9
	v_add_u32_e32 v8, 1, v8
	v_cmp_lt_u32_e32 vcc, 20, v8
	v_add_u32_e32 v9, 16, v9
	v_add_u32_e32 v10, 16, v10
	s_or_b64 s[8:9], vcc, s[8:9]
	s_waitcnt vmcnt(2) lgkmcnt(0)
	v_mul_f64 v[20:21], v[14:15], v[16:17]
	v_mul_f64 v[16:17], v[12:13], v[16:17]
	s_waitcnt vmcnt(0)
	v_fma_f64 v[12:13], v[12:13], v[18:19], -v[20:21]
	v_fmac_f64_e32 v[16:17], v[14:15], v[18:19]
	v_add_f64 v[4:5], v[4:5], v[12:13]
	v_add_f64 v[2:3], v[2:3], v[16:17]
	s_andn2_b64 exec, exec, s[8:9]
	s_cbranch_execnz .LBB30_101
; %bb.102:
	s_or_b64 exec, exec, s[8:9]
	v_mov_b32_e32 v1, 0
	ds_read_b128 v[8:11], v1 offset:352
	s_waitcnt lgkmcnt(0)
	v_mul_f64 v[12:13], v[2:3], v[10:11]
	v_mul_f64 v[10:11], v[4:5], v[10:11]
	v_fma_f64 v[4:5], v[4:5], v[8:9], -v[12:13]
	v_fmac_f64_e32 v[10:11], v[2:3], v[8:9]
	buffer_store_dword v5, off, s[0:3], 0 offset:356
	buffer_store_dword v4, off, s[0:3], 0 offset:352
	buffer_store_dword v11, off, s[0:3], 0 offset:364
	buffer_store_dword v10, off, s[0:3], 0 offset:360
.LBB30_103:
	s_or_b64 exec, exec, s[6:7]
	v_accvgpr_read_b32 v1, a63
	s_waitcnt lgkmcnt(0)
	; wave barrier
	buffer_load_dword v2, v1, s[0:3], 0 offen
	buffer_load_dword v3, v1, s[0:3], 0 offen offset:4
	buffer_load_dword v4, v1, s[0:3], 0 offen offset:8
	buffer_load_dword v5, v1, s[0:3], 0 offen offset:12
	v_cmp_gt_u32_e32 vcc, 23, v243
	s_waitcnt vmcnt(0)
	ds_write_b128 v6, v[2:5]
	s_waitcnt lgkmcnt(0)
	; wave barrier
	s_waitcnt lgkmcnt(0)
	s_and_saveexec_b64 s[6:7], vcc
	s_cbranch_execz .LBB30_107
; %bb.104:
	v_pk_mov_b32 v[2:3], 0, 0
	v_add_u32_e32 v8, -1, v243
	v_add_u32_e32 v9, 0x1f0, v38
	v_add_u32_e32 v10, 0, v38
	s_mov_b64 s[8:9], 0
	v_pk_mov_b32 v[4:5], v[2:3], v[2:3] op_sel:[0,1]
.LBB30_105:                             ; =>This Inner Loop Header: Depth=1
	buffer_load_dword v16, v10, s[0:3], 0 offen offset:8
	buffer_load_dword v17, v10, s[0:3], 0 offen offset:12
	buffer_load_dword v18, v10, s[0:3], 0 offen
	buffer_load_dword v19, v10, s[0:3], 0 offen offset:4
	ds_read_b128 v[12:15], v9
	v_add_u32_e32 v8, 1, v8
	v_cmp_lt_u32_e32 vcc, 21, v8
	v_add_u32_e32 v9, 16, v9
	v_add_u32_e32 v10, 16, v10
	s_or_b64 s[8:9], vcc, s[8:9]
	s_waitcnt vmcnt(2) lgkmcnt(0)
	v_mul_f64 v[20:21], v[14:15], v[16:17]
	v_mul_f64 v[16:17], v[12:13], v[16:17]
	s_waitcnt vmcnt(0)
	v_fma_f64 v[12:13], v[12:13], v[18:19], -v[20:21]
	v_fmac_f64_e32 v[16:17], v[14:15], v[18:19]
	v_add_f64 v[4:5], v[4:5], v[12:13]
	v_add_f64 v[2:3], v[2:3], v[16:17]
	s_andn2_b64 exec, exec, s[8:9]
	s_cbranch_execnz .LBB30_105
; %bb.106:
	s_or_b64 exec, exec, s[8:9]
	v_mov_b32_e32 v1, 0
	ds_read_b128 v[8:11], v1 offset:368
	s_waitcnt lgkmcnt(0)
	v_mul_f64 v[12:13], v[2:3], v[10:11]
	v_mul_f64 v[10:11], v[4:5], v[10:11]
	v_fma_f64 v[4:5], v[4:5], v[8:9], -v[12:13]
	v_fmac_f64_e32 v[10:11], v[2:3], v[8:9]
	buffer_store_dword v5, off, s[0:3], 0 offset:372
	buffer_store_dword v4, off, s[0:3], 0 offset:368
	buffer_store_dword v11, off, s[0:3], 0 offset:380
	buffer_store_dword v10, off, s[0:3], 0 offset:376
.LBB30_107:
	s_or_b64 exec, exec, s[6:7]
	v_accvgpr_read_b32 v1, a62
	s_waitcnt lgkmcnt(0)
	; wave barrier
	buffer_load_dword v2, v1, s[0:3], 0 offen
	buffer_load_dword v3, v1, s[0:3], 0 offen offset:4
	buffer_load_dword v4, v1, s[0:3], 0 offen offset:8
	buffer_load_dword v5, v1, s[0:3], 0 offen offset:12
	v_cmp_gt_u32_e32 vcc, 24, v243
	;; [unrolled: 58-line block ×7, first 2 shown]
	s_waitcnt vmcnt(0)
	ds_write_b128 v6, v[2:5]
	s_waitcnt lgkmcnt(0)
	; wave barrier
	s_waitcnt lgkmcnt(0)
	s_and_saveexec_b64 s[6:7], vcc
	s_cbranch_execz .LBB30_131
; %bb.128:
	v_pk_mov_b32 v[2:3], 0, 0
	v_add_u32_e32 v8, -1, v243
	v_add_u32_e32 v9, 0x1f0, v38
	v_add_u32_e32 v10, 0, v38
	s_mov_b64 s[8:9], 0
	v_pk_mov_b32 v[4:5], v[2:3], v[2:3] op_sel:[0,1]
.LBB30_129:                             ; =>This Inner Loop Header: Depth=1
	buffer_load_dword v16, v10, s[0:3], 0 offen offset:8
	buffer_load_dword v17, v10, s[0:3], 0 offen offset:12
	buffer_load_dword v18, v10, s[0:3], 0 offen
	buffer_load_dword v19, v10, s[0:3], 0 offen offset:4
	ds_read_b128 v[12:15], v9
	v_add_u32_e32 v8, 1, v8
	v_cmp_lt_u32_e32 vcc, 27, v8
	v_add_u32_e32 v9, 16, v9
	v_add_u32_e32 v10, 16, v10
	s_or_b64 s[8:9], vcc, s[8:9]
	s_waitcnt vmcnt(2) lgkmcnt(0)
	v_mul_f64 v[20:21], v[14:15], v[16:17]
	v_mul_f64 v[16:17], v[12:13], v[16:17]
	s_waitcnt vmcnt(0)
	v_fma_f64 v[12:13], v[12:13], v[18:19], -v[20:21]
	v_fmac_f64_e32 v[16:17], v[14:15], v[18:19]
	v_add_f64 v[4:5], v[4:5], v[12:13]
	v_add_f64 v[2:3], v[2:3], v[16:17]
	s_andn2_b64 exec, exec, s[8:9]
	s_cbranch_execnz .LBB30_129
; %bb.130:
	s_or_b64 exec, exec, s[8:9]
	v_mov_b32_e32 v1, 0
	ds_read_b128 v[8:11], v1 offset:464
	s_waitcnt lgkmcnt(0)
	v_mul_f64 v[12:13], v[2:3], v[10:11]
	v_mul_f64 v[10:11], v[4:5], v[10:11]
	v_fma_f64 v[4:5], v[4:5], v[8:9], -v[12:13]
	v_fmac_f64_e32 v[10:11], v[2:3], v[8:9]
	buffer_store_dword v5, off, s[0:3], 0 offset:468
	buffer_store_dword v4, off, s[0:3], 0 offset:464
	;; [unrolled: 1-line block ×4, first 2 shown]
.LBB30_131:
	s_or_b64 exec, exec, s[6:7]
	v_accvgpr_read_b32 v1, a56
	s_waitcnt lgkmcnt(0)
	; wave barrier
	buffer_load_dword v2, v1, s[0:3], 0 offen
	buffer_load_dword v3, v1, s[0:3], 0 offen offset:4
	buffer_load_dword v4, v1, s[0:3], 0 offen offset:8
	;; [unrolled: 1-line block ×3, first 2 shown]
	v_cmp_ne_u32_e32 vcc, 30, v243
	s_waitcnt vmcnt(0)
	ds_write_b128 v6, v[2:5]
	s_waitcnt lgkmcnt(0)
	; wave barrier
	s_waitcnt lgkmcnt(0)
	s_and_saveexec_b64 s[6:7], vcc
	s_cbranch_execz .LBB30_135
; %bb.132:
	v_pk_mov_b32 v[2:3], 0, 0
	v_add_u32_e32 v6, 0x1f0, v38
	v_add_u32_e32 v8, 0, v38
	s_mov_b64 s[8:9], 0
	v_pk_mov_b32 v[4:5], v[2:3], v[2:3] op_sel:[0,1]
.LBB30_133:                             ; =>This Inner Loop Header: Depth=1
	buffer_load_dword v14, v8, s[0:3], 0 offen offset:8
	buffer_load_dword v15, v8, s[0:3], 0 offen offset:12
	buffer_load_dword v16, v8, s[0:3], 0 offen
	buffer_load_dword v17, v8, s[0:3], 0 offen offset:4
	ds_read_b128 v[10:13], v6
	v_add_u32_e32 v7, 1, v7
	v_cmp_lt_u32_e32 vcc, 28, v7
	v_add_u32_e32 v6, 16, v6
	v_add_u32_e32 v8, 16, v8
	s_or_b64 s[8:9], vcc, s[8:9]
	s_waitcnt vmcnt(2) lgkmcnt(0)
	v_mul_f64 v[18:19], v[12:13], v[14:15]
	v_mul_f64 v[14:15], v[10:11], v[14:15]
	s_waitcnt vmcnt(0)
	v_fma_f64 v[10:11], v[10:11], v[16:17], -v[18:19]
	v_fmac_f64_e32 v[14:15], v[12:13], v[16:17]
	v_add_f64 v[4:5], v[4:5], v[10:11]
	v_add_f64 v[2:3], v[2:3], v[14:15]
	s_andn2_b64 exec, exec, s[8:9]
	s_cbranch_execnz .LBB30_133
; %bb.134:
	s_or_b64 exec, exec, s[8:9]
	v_mov_b32_e32 v1, 0
	ds_read_b128 v[6:9], v1 offset:480
	s_waitcnt lgkmcnt(0)
	v_mul_f64 v[10:11], v[2:3], v[8:9]
	v_mul_f64 v[8:9], v[4:5], v[8:9]
	v_fma_f64 v[4:5], v[4:5], v[6:7], -v[10:11]
	v_fmac_f64_e32 v[8:9], v[2:3], v[6:7]
	buffer_store_dword v5, off, s[0:3], 0 offset:484
	buffer_store_dword v4, off, s[0:3], 0 offset:480
	;; [unrolled: 1-line block ×4, first 2 shown]
.LBB30_135:
	s_or_b64 exec, exec, s[6:7]
	s_mov_b64 s[8:9], -1
	s_waitcnt lgkmcnt(0)
	; wave barrier
.LBB30_136:
	s_and_b64 vcc, exec, s[8:9]
	s_cbranch_vccz .LBB30_138
; %bb.137:
	s_lshl_b64 s[6:7], s[10:11], 2
	s_add_u32 s6, s14, s6
	s_addc_u32 s7, s15, s7
	v_mov_b32_e32 v1, 0
	global_load_dword v1, v1, s[6:7]
	s_waitcnt vmcnt(0)
	v_cmp_ne_u32_e32 vcc, 0, v1
	s_cbranch_vccz .LBB30_139
.LBB30_138:
	s_endpgm
.LBB30_139:
	v_mov_b32_e32 v1, 0x1f0
	v_lshl_add_u32 v1, v243, 4, v1
	v_cmp_eq_u32_e32 vcc, 30, v243
	s_and_saveexec_b64 s[6:7], vcc
	s_cbranch_execz .LBB30_141
; %bb.140:
	v_accvgpr_read_b32 v5, a57
	buffer_load_dword v2, v5, s[0:3], 0 offen
	buffer_load_dword v3, v5, s[0:3], 0 offen offset:4
	buffer_load_dword v4, v5, s[0:3], 0 offen offset:8
	s_nop 0
	buffer_load_dword v5, v5, s[0:3], 0 offen offset:12
	v_mov_b32_e32 v6, 0
	buffer_store_dword v6, off, s[0:3], 0 offset:464
	buffer_store_dword v6, off, s[0:3], 0 offset:468
	;; [unrolled: 1-line block ×4, first 2 shown]
	s_waitcnt vmcnt(4)
	ds_write_b128 v1, v[2:5]
.LBB30_141:
	s_or_b64 exec, exec, s[6:7]
	s_waitcnt lgkmcnt(0)
	; wave barrier
	s_waitcnt lgkmcnt(0)
	buffer_load_dword v8, off, s[0:3], 0 offset:488
	buffer_load_dword v9, off, s[0:3], 0 offset:492
	;; [unrolled: 1-line block ×8, first 2 shown]
	v_mov_b32_e32 v2, 0
	ds_read_b128 v[4:7], v2 offset:976
	v_cmp_lt_u32_e32 vcc, 28, v243
	s_waitcnt vmcnt(6) lgkmcnt(0)
	v_mul_f64 v[16:17], v[4:5], v[8:9]
	v_mul_f64 v[8:9], v[6:7], v[8:9]
	s_waitcnt vmcnt(4)
	v_fma_f64 v[4:5], v[4:5], v[10:11], -v[8:9]
	v_fmac_f64_e32 v[16:17], v[6:7], v[10:11]
	v_add_f64 v[4:5], v[4:5], 0
	v_add_f64 v[6:7], v[16:17], 0
	s_waitcnt vmcnt(2)
	v_add_f64 v[4:5], v[12:13], -v[4:5]
	s_waitcnt vmcnt(0)
	v_add_f64 v[6:7], v[14:15], -v[6:7]
	buffer_store_dword v4, off, s[0:3], 0 offset:464
	buffer_store_dword v5, off, s[0:3], 0 offset:468
	;; [unrolled: 1-line block ×4, first 2 shown]
	s_and_saveexec_b64 s[6:7], vcc
	s_cbranch_execz .LBB30_143
; %bb.142:
	v_accvgpr_read_b32 v3, a58
	buffer_load_dword v4, v3, s[0:3], 0 offen
	buffer_load_dword v5, v3, s[0:3], 0 offen offset:4
	buffer_load_dword v6, v3, s[0:3], 0 offen offset:8
	buffer_load_dword v7, v3, s[0:3], 0 offen offset:12
	s_nop 0
	buffer_store_dword v2, off, s[0:3], 0 offset:448
	buffer_store_dword v2, off, s[0:3], 0 offset:452
	;; [unrolled: 1-line block ×4, first 2 shown]
	s_waitcnt vmcnt(4)
	ds_write_b128 v1, v[4:7]
.LBB30_143:
	s_or_b64 exec, exec, s[6:7]
	s_waitcnt lgkmcnt(0)
	; wave barrier
	s_waitcnt lgkmcnt(0)
	buffer_load_dword v12, off, s[0:3], 0 offset:472
	buffer_load_dword v13, off, s[0:3], 0 offset:476
	buffer_load_dword v14, off, s[0:3], 0 offset:488
	buffer_load_dword v15, off, s[0:3], 0 offset:492
	buffer_load_dword v16, off, s[0:3], 0 offset:464
	buffer_load_dword v17, off, s[0:3], 0 offset:468
	buffer_load_dword v18, off, s[0:3], 0 offset:480
	buffer_load_dword v19, off, s[0:3], 0 offset:484
	buffer_load_dword v20, off, s[0:3], 0 offset:448
	buffer_load_dword v21, off, s[0:3], 0 offset:452
	buffer_load_dword v22, off, s[0:3], 0 offset:456
	buffer_load_dword v23, off, s[0:3], 0 offset:460
	ds_read_b128 v[4:7], v2 offset:960
	ds_read_b128 v[8:11], v2 offset:976
	v_cmp_lt_u32_e32 vcc, 27, v243
	s_waitcnt vmcnt(10) lgkmcnt(1)
	v_mul_f64 v[2:3], v[4:5], v[12:13]
	v_mul_f64 v[12:13], v[6:7], v[12:13]
	s_waitcnt vmcnt(8) lgkmcnt(0)
	v_mul_f64 v[24:25], v[8:9], v[14:15]
	v_mul_f64 v[14:15], v[10:11], v[14:15]
	s_waitcnt vmcnt(6)
	v_fma_f64 v[4:5], v[4:5], v[16:17], -v[12:13]
	v_fmac_f64_e32 v[2:3], v[6:7], v[16:17]
	s_waitcnt vmcnt(4)
	v_fma_f64 v[6:7], v[8:9], v[18:19], -v[14:15]
	v_add_f64 v[4:5], v[4:5], 0
	v_fmac_f64_e32 v[24:25], v[10:11], v[18:19]
	v_add_f64 v[2:3], v[2:3], 0
	v_add_f64 v[4:5], v[4:5], v[6:7]
	;; [unrolled: 1-line block ×3, first 2 shown]
	s_waitcnt vmcnt(2)
	v_add_f64 v[4:5], v[20:21], -v[4:5]
	s_waitcnt vmcnt(0)
	v_add_f64 v[2:3], v[22:23], -v[2:3]
	buffer_store_dword v4, off, s[0:3], 0 offset:448
	buffer_store_dword v5, off, s[0:3], 0 offset:452
	;; [unrolled: 1-line block ×4, first 2 shown]
	s_and_saveexec_b64 s[6:7], vcc
	s_cbranch_execz .LBB30_145
; %bb.144:
	v_accvgpr_read_b32 v5, a59
	buffer_load_dword v2, v5, s[0:3], 0 offen
	buffer_load_dword v3, v5, s[0:3], 0 offen offset:4
	buffer_load_dword v4, v5, s[0:3], 0 offen offset:8
	s_nop 0
	buffer_load_dword v5, v5, s[0:3], 0 offen offset:12
	v_mov_b32_e32 v6, 0
	buffer_store_dword v6, off, s[0:3], 0 offset:432
	buffer_store_dword v6, off, s[0:3], 0 offset:436
	;; [unrolled: 1-line block ×4, first 2 shown]
	s_waitcnt vmcnt(4)
	ds_write_b128 v1, v[2:5]
.LBB30_145:
	s_or_b64 exec, exec, s[6:7]
	s_waitcnt lgkmcnt(0)
	; wave barrier
	s_waitcnt lgkmcnt(0)
	buffer_load_dword v16, off, s[0:3], 0 offset:456
	buffer_load_dword v17, off, s[0:3], 0 offset:460
	;; [unrolled: 1-line block ×16, first 2 shown]
	v_mov_b32_e32 v2, 0
	ds_read_b128 v[4:7], v2 offset:944
	ds_read_b128 v[8:11], v2 offset:960
	;; [unrolled: 1-line block ×3, first 2 shown]
	v_cmp_lt_u32_e32 vcc, 26, v243
	s_waitcnt vmcnt(14) lgkmcnt(2)
	v_mul_f64 v[32:33], v[4:5], v[16:17]
	v_mul_f64 v[16:17], v[6:7], v[16:17]
	s_waitcnt vmcnt(12) lgkmcnt(1)
	v_mul_f64 v[34:35], v[8:9], v[18:19]
	v_mul_f64 v[18:19], v[10:11], v[18:19]
	;; [unrolled: 3-line block ×3, first 2 shown]
	s_waitcnt vmcnt(8)
	v_fma_f64 v[4:5], v[4:5], v[22:23], -v[16:17]
	v_fmac_f64_e32 v[32:33], v[6:7], v[22:23]
	s_waitcnt vmcnt(6)
	v_fma_f64 v[6:7], v[8:9], v[24:25], -v[18:19]
	v_add_f64 v[4:5], v[4:5], 0
	v_fmac_f64_e32 v[34:35], v[10:11], v[24:25]
	s_waitcnt vmcnt(4)
	v_fma_f64 v[8:9], v[12:13], v[26:27], -v[20:21]
	v_add_f64 v[10:11], v[32:33], 0
	v_add_f64 v[4:5], v[4:5], v[6:7]
	v_fmac_f64_e32 v[36:37], v[14:15], v[26:27]
	v_add_f64 v[10:11], v[10:11], v[34:35]
	v_add_f64 v[4:5], v[4:5], v[8:9]
	;; [unrolled: 1-line block ×3, first 2 shown]
	s_waitcnt vmcnt(2)
	v_add_f64 v[4:5], v[28:29], -v[4:5]
	s_waitcnt vmcnt(0)
	v_add_f64 v[6:7], v[30:31], -v[6:7]
	buffer_store_dword v4, off, s[0:3], 0 offset:432
	buffer_store_dword v5, off, s[0:3], 0 offset:436
	;; [unrolled: 1-line block ×4, first 2 shown]
	s_and_saveexec_b64 s[6:7], vcc
	s_cbranch_execz .LBB30_147
; %bb.146:
	v_accvgpr_read_b32 v3, a60
	buffer_load_dword v4, v3, s[0:3], 0 offen
	buffer_load_dword v5, v3, s[0:3], 0 offen offset:4
	buffer_load_dword v6, v3, s[0:3], 0 offen offset:8
	;; [unrolled: 1-line block ×3, first 2 shown]
	s_nop 0
	buffer_store_dword v2, off, s[0:3], 0 offset:416
	buffer_store_dword v2, off, s[0:3], 0 offset:420
	;; [unrolled: 1-line block ×4, first 2 shown]
	s_waitcnt vmcnt(4)
	ds_write_b128 v1, v[4:7]
.LBB30_147:
	s_or_b64 exec, exec, s[6:7]
	s_waitcnt lgkmcnt(0)
	; wave barrier
	s_waitcnt lgkmcnt(0)
	buffer_load_dword v20, off, s[0:3], 0 offset:440
	buffer_load_dword v21, off, s[0:3], 0 offset:444
	;; [unrolled: 1-line block ×20, first 2 shown]
	ds_read_b128 v[4:7], v2 offset:928
	ds_read_b128 v[8:11], v2 offset:944
	;; [unrolled: 1-line block ×4, first 2 shown]
	v_cmp_lt_u32_e32 vcc, 25, v243
	s_waitcnt vmcnt(18) lgkmcnt(3)
	v_mul_f64 v[2:3], v[4:5], v[20:21]
	v_mul_f64 v[20:21], v[6:7], v[20:21]
	s_waitcnt vmcnt(16) lgkmcnt(2)
	v_mul_f64 v[40:41], v[8:9], v[22:23]
	v_mul_f64 v[22:23], v[10:11], v[22:23]
	;; [unrolled: 3-line block ×4, first 2 shown]
	s_waitcnt vmcnt(10)
	v_fma_f64 v[4:5], v[4:5], v[28:29], -v[20:21]
	v_fmac_f64_e32 v[2:3], v[6:7], v[28:29]
	s_waitcnt vmcnt(8)
	v_fma_f64 v[6:7], v[8:9], v[30:31], -v[22:23]
	v_add_f64 v[4:5], v[4:5], 0
	v_fmac_f64_e32 v[40:41], v[10:11], v[30:31]
	s_waitcnt vmcnt(6)
	v_fma_f64 v[8:9], v[12:13], v[32:33], -v[24:25]
	v_add_f64 v[2:3], v[2:3], 0
	v_add_f64 v[4:5], v[4:5], v[6:7]
	v_fmac_f64_e32 v[44:45], v[14:15], v[32:33]
	s_waitcnt vmcnt(4)
	v_fma_f64 v[10:11], v[16:17], v[34:35], -v[26:27]
	v_add_f64 v[2:3], v[2:3], v[40:41]
	v_add_f64 v[4:5], v[4:5], v[8:9]
	v_fmac_f64_e32 v[46:47], v[18:19], v[34:35]
	v_add_f64 v[2:3], v[2:3], v[44:45]
	v_add_f64 v[4:5], v[4:5], v[10:11]
	;; [unrolled: 1-line block ×3, first 2 shown]
	s_waitcnt vmcnt(2)
	v_add_f64 v[4:5], v[36:37], -v[4:5]
	s_waitcnt vmcnt(0)
	v_add_f64 v[2:3], v[38:39], -v[2:3]
	buffer_store_dword v4, off, s[0:3], 0 offset:416
	buffer_store_dword v5, off, s[0:3], 0 offset:420
	;; [unrolled: 1-line block ×4, first 2 shown]
	s_and_saveexec_b64 s[6:7], vcc
	s_cbranch_execz .LBB30_149
; %bb.148:
	v_accvgpr_read_b32 v5, a61
	buffer_load_dword v2, v5, s[0:3], 0 offen
	buffer_load_dword v3, v5, s[0:3], 0 offen offset:4
	buffer_load_dword v4, v5, s[0:3], 0 offen offset:8
	s_nop 0
	buffer_load_dword v5, v5, s[0:3], 0 offen offset:12
	v_mov_b32_e32 v6, 0
	buffer_store_dword v6, off, s[0:3], 0 offset:400
	buffer_store_dword v6, off, s[0:3], 0 offset:404
	;; [unrolled: 1-line block ×4, first 2 shown]
	s_waitcnt vmcnt(4)
	ds_write_b128 v1, v[2:5]
.LBB30_149:
	s_or_b64 exec, exec, s[6:7]
	s_waitcnt lgkmcnt(0)
	; wave barrier
	s_waitcnt lgkmcnt(0)
	buffer_load_dword v24, off, s[0:3], 0 offset:424
	buffer_load_dword v25, off, s[0:3], 0 offset:428
	;; [unrolled: 1-line block ×24, first 2 shown]
	v_mov_b32_e32 v2, 0
	ds_read_b128 v[4:7], v2 offset:912
	ds_read_b128 v[8:11], v2 offset:928
	;; [unrolled: 1-line block ×5, first 2 shown]
	v_cmp_lt_u32_e32 vcc, 24, v243
	s_waitcnt vmcnt(22) lgkmcnt(4)
	v_mul_f64 v[50:51], v[4:5], v[24:25]
	v_mul_f64 v[24:25], v[6:7], v[24:25]
	s_waitcnt vmcnt(20) lgkmcnt(3)
	v_mul_f64 v[52:53], v[8:9], v[26:27]
	v_mul_f64 v[26:27], v[10:11], v[26:27]
	;; [unrolled: 3-line block ×4, first 2 shown]
	s_waitcnt vmcnt(13) lgkmcnt(0)
	v_mul_f64 v[58:59], v[20:21], v[30:31]
	s_waitcnt vmcnt(11)
	v_fma_f64 v[4:5], v[4:5], v[36:37], -v[24:25]
	v_fmac_f64_e32 v[50:51], v[6:7], v[36:37]
	s_waitcnt vmcnt(9)
	v_fma_f64 v[6:7], v[8:9], v[38:39], -v[26:27]
	v_add_f64 v[4:5], v[4:5], 0
	v_fmac_f64_e32 v[52:53], v[10:11], v[38:39]
	s_waitcnt vmcnt(7)
	v_fmac_f64_e32 v[54:55], v[14:15], v[40:41]
	v_fma_f64 v[8:9], v[12:13], v[40:41], -v[28:29]
	v_add_f64 v[14:15], v[50:51], 0
	v_add_f64 v[4:5], v[4:5], v[6:7]
	v_mul_f64 v[30:31], v[22:23], v[30:31]
	s_waitcnt vmcnt(5)
	v_fma_f64 v[10:11], v[16:17], v[44:45], -v[34:35]
	v_add_f64 v[14:15], v[14:15], v[52:53]
	v_add_f64 v[4:5], v[4:5], v[8:9]
	v_fmac_f64_e32 v[56:57], v[18:19], v[44:45]
	s_waitcnt vmcnt(4)
	v_fma_f64 v[12:13], v[20:21], v[32:33], -v[30:31]
	v_add_f64 v[6:7], v[14:15], v[54:55]
	v_add_f64 v[4:5], v[4:5], v[10:11]
	v_fmac_f64_e32 v[58:59], v[22:23], v[32:33]
	v_add_f64 v[6:7], v[6:7], v[56:57]
	v_add_f64 v[4:5], v[4:5], v[12:13]
	;; [unrolled: 1-line block ×3, first 2 shown]
	s_waitcnt vmcnt(2)
	v_add_f64 v[4:5], v[46:47], -v[4:5]
	s_waitcnt vmcnt(0)
	v_add_f64 v[6:7], v[48:49], -v[6:7]
	buffer_store_dword v5, off, s[0:3], 0 offset:404
	buffer_store_dword v4, off, s[0:3], 0 offset:400
	;; [unrolled: 1-line block ×4, first 2 shown]
	s_and_saveexec_b64 s[6:7], vcc
	s_cbranch_execz .LBB30_151
; %bb.150:
	v_accvgpr_read_b32 v3, a62
	buffer_load_dword v4, v3, s[0:3], 0 offen
	buffer_load_dword v5, v3, s[0:3], 0 offen offset:4
	buffer_load_dword v6, v3, s[0:3], 0 offen offset:8
	;; [unrolled: 1-line block ×3, first 2 shown]
	s_nop 0
	buffer_store_dword v2, off, s[0:3], 0 offset:384
	buffer_store_dword v2, off, s[0:3], 0 offset:388
	;; [unrolled: 1-line block ×4, first 2 shown]
	s_waitcnt vmcnt(4)
	ds_write_b128 v1, v[4:7]
.LBB30_151:
	s_or_b64 exec, exec, s[6:7]
	s_waitcnt lgkmcnt(0)
	; wave barrier
	s_waitcnt lgkmcnt(0)
	buffer_load_dword v28, off, s[0:3], 0 offset:408
	buffer_load_dword v29, off, s[0:3], 0 offset:412
	;; [unrolled: 1-line block ×28, first 2 shown]
	ds_read_b128 v[4:7], v2 offset:896
	ds_read_b128 v[8:11], v2 offset:912
	ds_read_b128 v[12:15], v2 offset:928
	ds_read_b128 v[16:19], v2 offset:944
	ds_read_b128 v[20:23], v2 offset:960
	ds_read_b128 v[24:27], v2 offset:976
	v_cmp_lt_u32_e32 vcc, 23, v243
	s_waitcnt vmcnt(26) lgkmcnt(5)
	v_mul_f64 v[2:3], v[4:5], v[28:29]
	v_mul_f64 v[28:29], v[6:7], v[28:29]
	s_waitcnt vmcnt(24) lgkmcnt(4)
	v_mul_f64 v[58:59], v[8:9], v[30:31]
	v_mul_f64 v[30:31], v[10:11], v[30:31]
	;; [unrolled: 3-line block ×4, first 2 shown]
	s_waitcnt vmcnt(17)
	v_mul_f64 v[62:63], v[16:17], v[38:39]
	v_mul_f64 v[38:39], v[18:19], v[38:39]
	s_waitcnt vmcnt(15) lgkmcnt(0)
	v_mul_f64 v[66:67], v[24:25], v[40:41]
	v_mul_f64 v[40:41], v[26:27], v[40:41]
	s_waitcnt vmcnt(14)
	v_fmac_f64_e32 v[64:65], v[22:23], v[36:37]
	s_waitcnt vmcnt(12)
	v_fma_f64 v[4:5], v[4:5], v[44:45], -v[28:29]
	v_fmac_f64_e32 v[2:3], v[6:7], v[44:45]
	s_waitcnt vmcnt(10)
	v_fma_f64 v[6:7], v[8:9], v[46:47], -v[30:31]
	v_add_f64 v[4:5], v[4:5], 0
	v_fmac_f64_e32 v[58:59], v[10:11], v[46:47]
	s_waitcnt vmcnt(8)
	v_fma_f64 v[8:9], v[12:13], v[48:49], -v[32:33]
	v_add_f64 v[2:3], v[2:3], 0
	v_add_f64 v[4:5], v[4:5], v[6:7]
	v_fmac_f64_e32 v[60:61], v[14:15], v[48:49]
	s_waitcnt vmcnt(6)
	v_fma_f64 v[10:11], v[16:17], v[50:51], -v[38:39]
	v_add_f64 v[2:3], v[2:3], v[58:59]
	v_add_f64 v[4:5], v[4:5], v[8:9]
	v_fmac_f64_e32 v[62:63], v[18:19], v[50:51]
	v_fma_f64 v[12:13], v[20:21], v[36:37], -v[34:35]
	v_add_f64 v[2:3], v[2:3], v[60:61]
	v_add_f64 v[4:5], v[4:5], v[10:11]
	s_waitcnt vmcnt(4)
	v_fma_f64 v[14:15], v[24:25], v[52:53], -v[40:41]
	v_add_f64 v[2:3], v[2:3], v[62:63]
	v_add_f64 v[4:5], v[4:5], v[12:13]
	v_fmac_f64_e32 v[66:67], v[26:27], v[52:53]
	v_add_f64 v[2:3], v[2:3], v[64:65]
	v_add_f64 v[4:5], v[4:5], v[14:15]
	;; [unrolled: 1-line block ×3, first 2 shown]
	s_waitcnt vmcnt(2)
	v_add_f64 v[4:5], v[54:55], -v[4:5]
	s_waitcnt vmcnt(0)
	v_add_f64 v[2:3], v[56:57], -v[2:3]
	buffer_store_dword v5, off, s[0:3], 0 offset:388
	buffer_store_dword v4, off, s[0:3], 0 offset:384
	;; [unrolled: 1-line block ×4, first 2 shown]
	s_and_saveexec_b64 s[6:7], vcc
	s_cbranch_execz .LBB30_153
; %bb.152:
	v_accvgpr_read_b32 v5, a63
	buffer_load_dword v2, v5, s[0:3], 0 offen
	buffer_load_dword v3, v5, s[0:3], 0 offen offset:4
	buffer_load_dword v4, v5, s[0:3], 0 offen offset:8
	s_nop 0
	buffer_load_dword v5, v5, s[0:3], 0 offen offset:12
	v_mov_b32_e32 v6, 0
	buffer_store_dword v6, off, s[0:3], 0 offset:368
	buffer_store_dword v6, off, s[0:3], 0 offset:372
	;; [unrolled: 1-line block ×4, first 2 shown]
	s_waitcnt vmcnt(4)
	ds_write_b128 v1, v[2:5]
.LBB30_153:
	s_or_b64 exec, exec, s[6:7]
	v_mov_b32_e32 v6, 0
	s_waitcnt lgkmcnt(0)
	; wave barrier
	s_waitcnt lgkmcnt(0)
	ds_read_b128 v[8:11], v6 offset:880
	ds_read_b128 v[12:15], v6 offset:896
	;; [unrolled: 1-line block ×4, first 2 shown]
	buffer_load_dword v4, off, s[0:3], 0 offset:368
	buffer_load_dword v5, off, s[0:3], 0 offset:372
	;; [unrolled: 1-line block ×20, first 2 shown]
	v_cmp_lt_u32_e32 vcc, 22, v243
	s_waitcnt vmcnt(12) lgkmcnt(3)
	v_mul_f64 v[24:25], v[8:9], v[38:39]
	v_fmac_f64_e32 v[24:25], v[10:11], v[36:37]
	v_add_f64 v[24:25], v[24:25], 0
	v_mul_f64 v[10:11], v[10:11], v[38:39]
	s_waitcnt vmcnt(8) lgkmcnt(2)
	v_mul_f64 v[26:27], v[12:13], v[44:45]
	v_fmac_f64_e32 v[26:27], v[14:15], v[40:41]
	v_add_f64 v[24:25], v[24:25], v[26:27]
	v_fma_f64 v[8:9], v[8:9], v[36:37], -v[10:11]
	s_waitcnt vmcnt(4) lgkmcnt(1)
	v_mul_f64 v[26:27], v[16:17], v[48:49]
	v_fmac_f64_e32 v[26:27], v[18:19], v[46:47]
	v_add_f64 v[24:25], v[24:25], v[26:27]
	s_waitcnt vmcnt(0) lgkmcnt(0)
	v_mul_f64 v[26:27], v[20:21], v[52:53]
	v_fmac_f64_e32 v[26:27], v[22:23], v[50:51]
	v_add_f64 v[28:29], v[24:25], v[26:27]
	ds_read_b128 v[24:27], v6 offset:944
	buffer_load_dword v55, off, s[0:3], 0 offset:452
	buffer_load_dword v54, off, s[0:3], 0 offset:448
	;; [unrolled: 1-line block ×4, first 2 shown]
	v_mul_f64 v[10:11], v[14:15], v[44:45]
	v_add_f64 v[8:9], v[8:9], 0
	v_fma_f64 v[10:11], v[12:13], v[40:41], -v[10:11]
	v_add_f64 v[8:9], v[8:9], v[10:11]
	v_mul_f64 v[10:11], v[18:19], v[48:49]
	v_fma_f64 v[10:11], v[16:17], v[46:47], -v[10:11]
	v_add_f64 v[8:9], v[8:9], v[10:11]
	v_mul_f64 v[10:11], v[22:23], v[52:53]
	v_fma_f64 v[10:11], v[20:21], v[50:51], -v[10:11]
	v_add_f64 v[8:9], v[8:9], v[10:11]
	s_waitcnt vmcnt(0) lgkmcnt(0)
	v_mul_f64 v[30:31], v[24:25], v[56:57]
	v_fmac_f64_e32 v[30:31], v[26:27], v[54:55]
	v_add_f64 v[32:33], v[28:29], v[30:31]
	ds_read_b128 v[28:31], v6 offset:960
	buffer_load_dword v59, off, s[0:3], 0 offset:468
	buffer_load_dword v58, off, s[0:3], 0 offset:464
	;; [unrolled: 1-line block ×4, first 2 shown]
	v_mul_f64 v[10:11], v[26:27], v[56:57]
	v_fma_f64 v[10:11], v[24:25], v[54:55], -v[10:11]
	v_add_f64 v[8:9], v[8:9], v[10:11]
	s_waitcnt vmcnt(0) lgkmcnt(0)
	v_mul_f64 v[34:35], v[28:29], v[60:61]
	v_fmac_f64_e32 v[34:35], v[30:31], v[58:59]
	v_add_f64 v[62:63], v[32:33], v[34:35]
	ds_read_b128 v[32:35], v6 offset:976
	buffer_load_dword v65, off, s[0:3], 0 offset:484
	buffer_load_dword v64, off, s[0:3], 0 offset:480
	;; [unrolled: 1-line block ×4, first 2 shown]
	v_mul_f64 v[10:11], v[30:31], v[60:61]
	v_fma_f64 v[10:11], v[28:29], v[58:59], -v[10:11]
	v_add_f64 v[8:9], v[8:9], v[10:11]
	s_waitcnt vmcnt(0) lgkmcnt(0)
	v_mul_f64 v[10:11], v[34:35], v[66:67]
	v_mul_f64 v[68:69], v[32:33], v[66:67]
	v_fma_f64 v[10:11], v[32:33], v[64:65], -v[10:11]
	v_fmac_f64_e32 v[68:69], v[34:35], v[64:65]
	v_add_f64 v[8:9], v[8:9], v[10:11]
	v_add_f64 v[62:63], v[62:63], v[68:69]
	v_add_f64 v[4:5], v[4:5], -v[8:9]
	v_add_f64 v[2:3], v[2:3], -v[62:63]
	buffer_store_dword v5, off, s[0:3], 0 offset:372
	buffer_store_dword v4, off, s[0:3], 0 offset:368
	;; [unrolled: 1-line block ×4, first 2 shown]
	s_and_saveexec_b64 s[6:7], vcc
	s_cbranch_execz .LBB30_155
; %bb.154:
	v_accvgpr_read_b32 v5, a64
	buffer_load_dword v2, v5, s[0:3], 0 offen
	buffer_load_dword v3, v5, s[0:3], 0 offen offset:4
	buffer_load_dword v4, v5, s[0:3], 0 offen offset:8
	s_nop 0
	buffer_load_dword v5, v5, s[0:3], 0 offen offset:12
	s_nop 0
	buffer_store_dword v6, off, s[0:3], 0 offset:352
	buffer_store_dword v6, off, s[0:3], 0 offset:356
	;; [unrolled: 1-line block ×4, first 2 shown]
	s_waitcnt vmcnt(4)
	ds_write_b128 v1, v[2:5]
.LBB30_155:
	s_or_b64 exec, exec, s[6:7]
	s_waitcnt lgkmcnt(0)
	; wave barrier
	s_waitcnt lgkmcnt(0)
	buffer_load_dword v36, off, s[0:3], 0 offset:376
	buffer_load_dword v37, off, s[0:3], 0 offset:380
	;; [unrolled: 1-line block ×36, first 2 shown]
	ds_read_b128 v[2:5], v6 offset:864
	ds_read_b128 v[8:11], v6 offset:880
	;; [unrolled: 1-line block ×8, first 2 shown]
	v_cmp_lt_u32_e32 vcc, 21, v243
	s_waitcnt vmcnt(34) lgkmcnt(7)
	v_mul_f64 v[6:7], v[2:3], v[36:37]
	v_mul_f64 v[36:37], v[4:5], v[36:37]
	s_waitcnt vmcnt(32) lgkmcnt(6)
	v_mul_f64 v[74:75], v[8:9], v[38:39]
	v_mul_f64 v[38:39], v[10:11], v[38:39]
	;; [unrolled: 3-line block ×4, first 2 shown]
	s_waitcnt vmcnt(25)
	v_mul_f64 v[78:79], v[16:17], v[48:49]
	v_mul_f64 v[48:49], v[18:19], v[48:49]
	s_waitcnt vmcnt(23) lgkmcnt(1)
	v_mul_f64 v[108:109], v[28:29], v[50:51]
	v_mul_f64 v[50:51], v[30:31], v[50:51]
	s_waitcnt vmcnt(20)
	v_mul_f64 v[106:107], v[24:25], v[54:55]
	v_mul_f64 v[54:55], v[26:27], v[54:55]
	s_waitcnt vmcnt(18) lgkmcnt(0)
	v_mul_f64 v[110:111], v[32:33], v[56:57]
	s_waitcnt vmcnt(17)
	v_fmac_f64_e32 v[104:105], v[22:23], v[46:47]
	s_waitcnt vmcnt(16)
	v_fmac_f64_e32 v[108:109], v[30:31], v[52:53]
	s_waitcnt vmcnt(14)
	v_fma_f64 v[2:3], v[2:3], v[58:59], -v[36:37]
	v_fmac_f64_e32 v[6:7], v[4:5], v[58:59]
	s_waitcnt vmcnt(12)
	v_fma_f64 v[4:5], v[8:9], v[60:61], -v[38:39]
	v_add_f64 v[2:3], v[2:3], 0
	v_fmac_f64_e32 v[74:75], v[10:11], v[60:61]
	s_waitcnt vmcnt(10)
	v_fma_f64 v[8:9], v[12:13], v[62:63], -v[40:41]
	v_add_f64 v[6:7], v[6:7], 0
	v_add_f64 v[2:3], v[2:3], v[4:5]
	v_fmac_f64_e32 v[76:77], v[14:15], v[62:63]
	s_waitcnt vmcnt(8)
	v_fma_f64 v[10:11], v[16:17], v[64:65], -v[48:49]
	v_add_f64 v[6:7], v[6:7], v[74:75]
	v_add_f64 v[2:3], v[2:3], v[8:9]
	v_fmac_f64_e32 v[78:79], v[18:19], v[64:65]
	v_fma_f64 v[12:13], v[20:21], v[46:47], -v[44:45]
	v_add_f64 v[4:5], v[6:7], v[76:77]
	v_add_f64 v[2:3], v[2:3], v[10:11]
	s_waitcnt vmcnt(6)
	v_fma_f64 v[14:15], v[24:25], v[66:67], -v[54:55]
	v_add_f64 v[4:5], v[4:5], v[78:79]
	v_add_f64 v[2:3], v[2:3], v[12:13]
	v_fmac_f64_e32 v[106:107], v[26:27], v[66:67]
	v_fma_f64 v[16:17], v[28:29], v[52:53], -v[50:51]
	v_add_f64 v[4:5], v[4:5], v[104:105]
	v_add_f64 v[2:3], v[2:3], v[14:15]
	v_mul_f64 v[6:7], v[34:35], v[56:57]
	v_add_f64 v[4:5], v[4:5], v[106:107]
	v_add_f64 v[2:3], v[2:3], v[16:17]
	s_waitcnt vmcnt(4)
	v_fma_f64 v[6:7], v[32:33], v[68:69], -v[6:7]
	v_fmac_f64_e32 v[110:111], v[34:35], v[68:69]
	v_add_f64 v[4:5], v[4:5], v[108:109]
	v_add_f64 v[2:3], v[2:3], v[6:7]
	;; [unrolled: 1-line block ×3, first 2 shown]
	s_waitcnt vmcnt(2)
	v_add_f64 v[2:3], v[70:71], -v[2:3]
	s_waitcnt vmcnt(0)
	v_add_f64 v[4:5], v[72:73], -v[4:5]
	buffer_store_dword v3, off, s[0:3], 0 offset:356
	buffer_store_dword v2, off, s[0:3], 0 offset:352
	;; [unrolled: 1-line block ×4, first 2 shown]
	s_and_saveexec_b64 s[6:7], vcc
	s_cbranch_execz .LBB30_157
; %bb.156:
	v_accvgpr_read_b32 v5, a65
	buffer_load_dword v2, v5, s[0:3], 0 offen
	buffer_load_dword v3, v5, s[0:3], 0 offen offset:4
	buffer_load_dword v4, v5, s[0:3], 0 offen offset:8
	s_nop 0
	buffer_load_dword v5, v5, s[0:3], 0 offen offset:12
	v_mov_b32_e32 v6, 0
	buffer_store_dword v6, off, s[0:3], 0 offset:336
	buffer_store_dword v6, off, s[0:3], 0 offset:340
	buffer_store_dword v6, off, s[0:3], 0 offset:344
	buffer_store_dword v6, off, s[0:3], 0 offset:348
	s_waitcnt vmcnt(4)
	ds_write_b128 v1, v[2:5]
.LBB30_157:
	s_or_b64 exec, exec, s[6:7]
	s_waitcnt lgkmcnt(0)
	; wave barrier
	s_waitcnt lgkmcnt(0)
	buffer_load_dword v40, off, s[0:3], 0 offset:360
	buffer_load_dword v41, off, s[0:3], 0 offset:364
	buffer_load_dword v44, off, s[0:3], 0 offset:376
	buffer_load_dword v45, off, s[0:3], 0 offset:380
	buffer_load_dword v46, off, s[0:3], 0 offset:392
	buffer_load_dword v47, off, s[0:3], 0 offset:396
	buffer_load_dword v49, off, s[0:3], 0 offset:428
	buffer_load_dword v48, off, s[0:3], 0 offset:424
	buffer_load_dword v51, off, s[0:3], 0 offset:420
	buffer_load_dword v50, off, s[0:3], 0 offset:416
	buffer_load_dword v53, off, s[0:3], 0 offset:412
	buffer_load_dword v52, off, s[0:3], 0 offset:408
	buffer_load_dword v55, off, s[0:3], 0 offset:460
	buffer_load_dword v54, off, s[0:3], 0 offset:456
	buffer_load_dword v57, off, s[0:3], 0 offset:452
	buffer_load_dword v56, off, s[0:3], 0 offset:448
	buffer_load_dword v59, off, s[0:3], 0 offset:444
	buffer_load_dword v58, off, s[0:3], 0 offset:440
	buffer_load_dword v60, off, s[0:3], 0 offset:488
	buffer_load_dword v62, off, s[0:3], 0 offset:480
	buffer_load_dword v65, off, s[0:3], 0 offset:476
	buffer_load_dword v64, off, s[0:3], 0 offset:472
	buffer_load_dword v61, off, s[0:3], 0 offset:492
	buffer_load_dword v66, off, s[0:3], 0 offset:352
	buffer_load_dword v67, off, s[0:3], 0 offset:356
	buffer_load_dword v68, off, s[0:3], 0 offset:368
	buffer_load_dword v69, off, s[0:3], 0 offset:372
	buffer_load_dword v70, off, s[0:3], 0 offset:384
	buffer_load_dword v71, off, s[0:3], 0 offset:388
	buffer_load_dword v73, off, s[0:3], 0 offset:404
	buffer_load_dword v72, off, s[0:3], 0 offset:400
	buffer_load_dword v75, off, s[0:3], 0 offset:436
	buffer_load_dword v74, off, s[0:3], 0 offset:432
	buffer_load_dword v77, off, s[0:3], 0 offset:468
	buffer_load_dword v76, off, s[0:3], 0 offset:464
	buffer_load_dword v63, off, s[0:3], 0 offset:484
	buffer_load_dword v78, off, s[0:3], 0 offset:336
	buffer_load_dword v79, off, s[0:3], 0 offset:340
	buffer_load_dword v104, off, s[0:3], 0 offset:344
	buffer_load_dword v105, off, s[0:3], 0 offset:348
	v_mov_b32_e32 v6, 0
	ds_read_b128 v[2:5], v6 offset:848
	ds_read_b128 v[8:11], v6 offset:864
	;; [unrolled: 1-line block ×9, first 2 shown]
	v_cmp_lt_u32_e32 vcc, 20, v243
	s_waitcnt vmcnt(38) lgkmcnt(8)
	v_mul_f64 v[106:107], v[2:3], v[40:41]
	v_mul_f64 v[40:41], v[4:5], v[40:41]
	s_waitcnt vmcnt(36) lgkmcnt(7)
	v_mul_f64 v[108:109], v[8:9], v[44:45]
	v_mul_f64 v[44:45], v[10:11], v[44:45]
	;; [unrolled: 3-line block ×3, first 2 shown]
	s_waitcnt vmcnt(32) lgkmcnt(4)
	v_mul_f64 v[114:115], v[20:21], v[48:49]
	s_waitcnt vmcnt(30)
	v_fmac_f64_e32 v[114:115], v[22:23], v[50:51]
	s_waitcnt vmcnt(28)
	v_mul_f64 v[112:113], v[16:17], v[52:53]
	v_mul_f64 v[52:53], v[18:19], v[52:53]
	s_waitcnt vmcnt(26) lgkmcnt(2)
	v_mul_f64 v[118:119], v[28:29], v[54:55]
	s_waitcnt vmcnt(24)
	v_fmac_f64_e32 v[118:119], v[30:31], v[56:57]
	s_waitcnt vmcnt(22)
	v_mul_f64 v[116:117], v[24:25], v[58:59]
	s_waitcnt vmcnt(18) lgkmcnt(1)
	v_mul_f64 v[120:121], v[32:33], v[64:65]
	s_waitcnt vmcnt(17) lgkmcnt(0)
	v_mul_f64 v[122:123], v[36:37], v[60:61]
	s_waitcnt vmcnt(15)
	v_fma_f64 v[2:3], v[2:3], v[66:67], -v[40:41]
	v_fmac_f64_e32 v[106:107], v[4:5], v[66:67]
	s_waitcnt vmcnt(13)
	v_fma_f64 v[4:5], v[8:9], v[68:69], -v[44:45]
	v_add_f64 v[2:3], v[2:3], 0
	s_waitcnt vmcnt(11)
	v_fma_f64 v[8:9], v[12:13], v[70:71], -v[46:47]
	v_add_f64 v[2:3], v[2:3], v[4:5]
	v_fmac_f64_e32 v[108:109], v[10:11], v[68:69]
	s_waitcnt vmcnt(9)
	v_fma_f64 v[10:11], v[16:17], v[72:73], -v[52:53]
	v_add_f64 v[2:3], v[2:3], v[8:9]
	v_mul_f64 v[8:9], v[22:23], v[48:49]
	v_add_f64 v[2:3], v[2:3], v[10:11]
	v_fma_f64 v[8:9], v[20:21], v[50:51], -v[8:9]
	v_add_f64 v[2:3], v[2:3], v[8:9]
	v_mul_f64 v[8:9], v[26:27], v[58:59]
	v_add_f64 v[12:13], v[106:107], 0
	s_waitcnt vmcnt(7)
	v_fma_f64 v[8:9], v[24:25], v[74:75], -v[8:9]
	v_fmac_f64_e32 v[110:111], v[14:15], v[70:71]
	v_add_f64 v[12:13], v[12:13], v[108:109]
	v_add_f64 v[2:3], v[2:3], v[8:9]
	v_mul_f64 v[8:9], v[30:31], v[54:55]
	v_fmac_f64_e32 v[112:113], v[18:19], v[72:73]
	v_add_f64 v[4:5], v[12:13], v[110:111]
	v_fma_f64 v[8:9], v[28:29], v[56:57], -v[8:9]
	v_add_f64 v[4:5], v[4:5], v[112:113]
	v_add_f64 v[2:3], v[2:3], v[8:9]
	v_mul_f64 v[8:9], v[34:35], v[64:65]
	v_fmac_f64_e32 v[116:117], v[26:27], v[74:75]
	v_add_f64 v[4:5], v[4:5], v[114:115]
	s_waitcnt vmcnt(5)
	v_fma_f64 v[8:9], v[32:33], v[76:77], -v[8:9]
	v_add_f64 v[4:5], v[4:5], v[116:117]
	v_add_f64 v[2:3], v[2:3], v[8:9]
	v_mul_f64 v[8:9], v[38:39], v[60:61]
	v_fmac_f64_e32 v[120:121], v[34:35], v[76:77]
	v_add_f64 v[4:5], v[4:5], v[118:119]
	s_waitcnt vmcnt(4)
	v_fma_f64 v[8:9], v[36:37], v[62:63], -v[8:9]
	v_fmac_f64_e32 v[122:123], v[38:39], v[62:63]
	v_add_f64 v[4:5], v[4:5], v[120:121]
	v_add_f64 v[2:3], v[2:3], v[8:9]
	;; [unrolled: 1-line block ×3, first 2 shown]
	s_waitcnt vmcnt(2)
	v_add_f64 v[2:3], v[78:79], -v[2:3]
	s_waitcnt vmcnt(0)
	v_add_f64 v[4:5], v[104:105], -v[4:5]
	buffer_store_dword v3, off, s[0:3], 0 offset:340
	buffer_store_dword v2, off, s[0:3], 0 offset:336
	;; [unrolled: 1-line block ×4, first 2 shown]
	s_and_saveexec_b64 s[6:7], vcc
	s_cbranch_execz .LBB30_159
; %bb.158:
	v_accvgpr_read_b32 v5, a66
	buffer_load_dword v2, v5, s[0:3], 0 offen
	buffer_load_dword v3, v5, s[0:3], 0 offen offset:4
	buffer_load_dword v4, v5, s[0:3], 0 offen offset:8
	s_nop 0
	buffer_load_dword v5, v5, s[0:3], 0 offen offset:12
	s_nop 0
	buffer_store_dword v6, off, s[0:3], 0 offset:320
	buffer_store_dword v6, off, s[0:3], 0 offset:324
	;; [unrolled: 1-line block ×4, first 2 shown]
	s_waitcnt vmcnt(4)
	ds_write_b128 v1, v[2:5]
.LBB30_159:
	s_or_b64 exec, exec, s[6:7]
	s_waitcnt lgkmcnt(0)
	; wave barrier
	s_waitcnt lgkmcnt(0)
	buffer_load_dword v4, off, s[0:3], 0 offset:336
	buffer_load_dword v5, off, s[0:3], 0 offset:340
	;; [unrolled: 1-line block ×44, first 2 shown]
	ds_read_b128 v[8:11], v6 offset:832
	ds_read_b128 v[12:15], v6 offset:848
	;; [unrolled: 1-line block ×10, first 2 shown]
	v_cmp_lt_u32_e32 vcc, 19, v243
	s_waitcnt vmcnt(40) lgkmcnt(9)
	v_mul_f64 v[6:7], v[8:9], v[40:41]
	v_mul_f64 v[40:41], v[10:11], v[40:41]
	s_waitcnt vmcnt(38) lgkmcnt(8)
	v_mul_f64 v[114:115], v[12:13], v[44:45]
	v_mul_f64 v[44:45], v[14:15], v[44:45]
	v_fmac_f64_e32 v[6:7], v[10:11], v[4:5]
	v_fma_f64 v[4:5], v[8:9], v[4:5], -v[40:41]
	s_waitcnt vmcnt(36) lgkmcnt(7)
	v_mul_f64 v[116:117], v[16:17], v[2:3]
	v_add_f64 v[4:5], v[4:5], 0
	v_mul_f64 v[2:3], v[18:19], v[2:3]
	v_add_f64 v[6:7], v[6:7], 0
	s_waitcnt vmcnt(30) lgkmcnt(6)
	v_mul_f64 v[118:119], v[20:21], v[50:51]
	s_waitcnt lgkmcnt(5)
	v_mul_f64 v[120:121], v[24:25], v[46:47]
	v_fmac_f64_e32 v[120:121], v[26:27], v[48:49]
	s_waitcnt vmcnt(28) lgkmcnt(3)
	v_mul_f64 v[124:125], v[32:33], v[52:53]
	s_waitcnt vmcnt(26)
	v_fmac_f64_e32 v[124:125], v[34:35], v[54:55]
	s_waitcnt vmcnt(24)
	v_mul_f64 v[122:123], v[28:29], v[56:57]
	s_waitcnt vmcnt(22) lgkmcnt(1)
	v_mul_f64 v[128:129], v[104:105], v[58:59]
	s_waitcnt vmcnt(20)
	v_fmac_f64_e32 v[128:129], v[106:107], v[60:61]
	s_waitcnt vmcnt(18)
	v_mul_f64 v[126:127], v[36:37], v[62:63]
	s_waitcnt vmcnt(16) lgkmcnt(0)
	v_mul_f64 v[130:131], v[108:109], v[64:65]
	s_waitcnt vmcnt(14)
	v_fma_f64 v[8:9], v[12:13], v[66:67], -v[44:45]
	v_add_f64 v[4:5], v[4:5], v[8:9]
	s_waitcnt vmcnt(12)
	v_fma_f64 v[2:3], v[16:17], v[68:69], -v[2:3]
	v_add_f64 v[2:3], v[4:5], v[2:3]
	v_mul_f64 v[4:5], v[22:23], v[50:51]
	s_waitcnt vmcnt(10)
	v_fma_f64 v[4:5], v[20:21], v[70:71], -v[4:5]
	v_add_f64 v[2:3], v[2:3], v[4:5]
	v_mul_f64 v[4:5], v[26:27], v[46:47]
	v_fma_f64 v[4:5], v[24:25], v[48:49], -v[4:5]
	v_add_f64 v[2:3], v[2:3], v[4:5]
	v_mul_f64 v[4:5], v[30:31], v[56:57]
	s_waitcnt vmcnt(8)
	v_fma_f64 v[4:5], v[28:29], v[72:73], -v[4:5]
	v_fmac_f64_e32 v[114:115], v[14:15], v[66:67]
	v_add_f64 v[2:3], v[2:3], v[4:5]
	v_mul_f64 v[4:5], v[34:35], v[52:53]
	v_fmac_f64_e32 v[116:117], v[18:19], v[68:69]
	v_add_f64 v[6:7], v[6:7], v[114:115]
	v_fma_f64 v[4:5], v[32:33], v[54:55], -v[4:5]
	v_fmac_f64_e32 v[118:119], v[22:23], v[70:71]
	v_add_f64 v[6:7], v[6:7], v[116:117]
	v_add_f64 v[2:3], v[2:3], v[4:5]
	v_mul_f64 v[4:5], v[38:39], v[62:63]
	v_add_f64 v[6:7], v[6:7], v[118:119]
	s_waitcnt vmcnt(6)
	v_fma_f64 v[4:5], v[36:37], v[74:75], -v[4:5]
	v_fmac_f64_e32 v[122:123], v[30:31], v[72:73]
	v_add_f64 v[6:7], v[6:7], v[120:121]
	v_add_f64 v[2:3], v[2:3], v[4:5]
	v_mul_f64 v[4:5], v[106:107], v[58:59]
	v_add_f64 v[6:7], v[6:7], v[122:123]
	v_fma_f64 v[4:5], v[104:105], v[60:61], -v[4:5]
	v_fmac_f64_e32 v[126:127], v[38:39], v[74:75]
	v_add_f64 v[6:7], v[6:7], v[124:125]
	v_add_f64 v[2:3], v[2:3], v[4:5]
	v_mul_f64 v[4:5], v[110:111], v[64:65]
	v_add_f64 v[6:7], v[6:7], v[126:127]
	s_waitcnt vmcnt(4)
	v_fma_f64 v[4:5], v[108:109], v[76:77], -v[4:5]
	v_fmac_f64_e32 v[130:131], v[110:111], v[76:77]
	v_add_f64 v[6:7], v[6:7], v[128:129]
	v_add_f64 v[2:3], v[2:3], v[4:5]
	;; [unrolled: 1-line block ×3, first 2 shown]
	s_waitcnt vmcnt(2)
	v_add_f64 v[2:3], v[78:79], -v[2:3]
	s_waitcnt vmcnt(0)
	v_add_f64 v[4:5], v[112:113], -v[6:7]
	buffer_store_dword v3, off, s[0:3], 0 offset:324
	buffer_store_dword v2, off, s[0:3], 0 offset:320
	;; [unrolled: 1-line block ×4, first 2 shown]
	s_and_saveexec_b64 s[6:7], vcc
	s_cbranch_execz .LBB30_161
; %bb.160:
	v_accvgpr_read_b32 v5, a67
	buffer_load_dword v2, v5, s[0:3], 0 offen
	buffer_load_dword v3, v5, s[0:3], 0 offen offset:4
	buffer_load_dword v4, v5, s[0:3], 0 offen offset:8
	s_nop 0
	buffer_load_dword v5, v5, s[0:3], 0 offen offset:12
	v_mov_b32_e32 v6, 0
	buffer_store_dword v6, off, s[0:3], 0 offset:304
	buffer_store_dword v6, off, s[0:3], 0 offset:308
	;; [unrolled: 1-line block ×4, first 2 shown]
	s_waitcnt vmcnt(4)
	ds_write_b128 v1, v[2:5]
.LBB30_161:
	s_or_b64 exec, exec, s[6:7]
	s_waitcnt lgkmcnt(0)
	; wave barrier
	s_waitcnt lgkmcnt(0)
	buffer_load_dword v2, off, s[0:3], 0 offset:320
	buffer_load_dword v3, off, s[0:3], 0 offset:324
	;; [unrolled: 1-line block ×48, first 2 shown]
	v_mov_b32_e32 v12, 0
	ds_read_b128 v[14:17], v12 offset:816
	ds_read_b128 v[18:21], v12 offset:832
	;; [unrolled: 1-line block ×11, first 2 shown]
	v_cmp_lt_u32_e32 vcc, 18, v243
	s_waitcnt vmcnt(44) lgkmcnt(10)
	v_mul_f64 v[122:123], v[14:15], v[6:7]
	v_mul_f64 v[6:7], v[16:17], v[6:7]
	v_fmac_f64_e32 v[122:123], v[16:17], v[2:3]
	v_fma_f64 v[2:3], v[14:15], v[2:3], -v[6:7]
	s_waitcnt vmcnt(40) lgkmcnt(9)
	v_mul_f64 v[124:125], v[18:19], v[8:9]
	v_mul_f64 v[6:7], v[20:21], v[8:9]
	v_fmac_f64_e32 v[124:125], v[20:21], v[4:5]
	v_add_f64 v[2:3], v[2:3], 0
	v_fma_f64 v[4:5], v[18:19], v[4:5], -v[6:7]
	v_add_f64 v[2:3], v[2:3], v[4:5]
	s_waitcnt vmcnt(38) lgkmcnt(8)
	v_mul_f64 v[4:5], v[24:25], v[10:11]
	v_mul_f64 v[126:127], v[22:23], v[10:11]
	v_add_f64 v[122:123], v[122:123], 0
	s_waitcnt vmcnt(32) lgkmcnt(7)
	v_mul_f64 v[128:129], v[26:27], v[48:49]
	v_add_f64 v[122:123], v[122:123], v[124:125]
	s_waitcnt lgkmcnt(6)
	v_mul_f64 v[130:131], v[30:31], v[44:45]
	v_fmac_f64_e32 v[130:131], v[32:33], v[46:47]
	s_waitcnt vmcnt(30) lgkmcnt(4)
	v_mul_f64 v[134:135], v[38:39], v[50:51]
	s_waitcnt vmcnt(26)
	v_mul_f64 v[132:133], v[34:35], v[54:55]
	v_fmac_f64_e32 v[134:135], v[40:41], v[52:53]
	s_waitcnt vmcnt(24) lgkmcnt(2)
	v_mul_f64 v[138:139], v[108:109], v[56:57]
	s_waitcnt vmcnt(22)
	v_fmac_f64_e32 v[138:139], v[110:111], v[58:59]
	s_waitcnt vmcnt(20)
	v_mul_f64 v[136:137], v[104:105], v[60:61]
	s_waitcnt vmcnt(16) lgkmcnt(1)
	v_mul_f64 v[140:141], v[112:113], v[66:67]
	s_waitcnt vmcnt(14)
	v_fma_f64 v[4:5], v[22:23], v[68:69], -v[4:5]
	v_add_f64 v[2:3], v[2:3], v[4:5]
	v_mul_f64 v[4:5], v[28:29], v[48:49]
	s_waitcnt vmcnt(12)
	v_fma_f64 v[4:5], v[26:27], v[70:71], -v[4:5]
	v_add_f64 v[2:3], v[2:3], v[4:5]
	v_mul_f64 v[4:5], v[32:33], v[44:45]
	v_fma_f64 v[4:5], v[30:31], v[46:47], -v[4:5]
	v_add_f64 v[2:3], v[2:3], v[4:5]
	v_mul_f64 v[4:5], v[36:37], v[54:55]
	s_waitcnt vmcnt(10)
	v_fma_f64 v[4:5], v[34:35], v[72:73], -v[4:5]
	v_add_f64 v[2:3], v[2:3], v[4:5]
	v_mul_f64 v[4:5], v[40:41], v[50:51]
	v_fma_f64 v[4:5], v[38:39], v[52:53], -v[4:5]
	v_fmac_f64_e32 v[126:127], v[24:25], v[68:69]
	v_add_f64 v[2:3], v[2:3], v[4:5]
	v_mul_f64 v[4:5], v[106:107], v[60:61]
	v_fmac_f64_e32 v[128:129], v[28:29], v[70:71]
	v_add_f64 v[122:123], v[122:123], v[126:127]
	s_waitcnt vmcnt(8)
	v_fma_f64 v[4:5], v[104:105], v[74:75], -v[4:5]
	v_add_f64 v[122:123], v[122:123], v[128:129]
	v_add_f64 v[2:3], v[2:3], v[4:5]
	v_mul_f64 v[4:5], v[110:111], v[56:57]
	v_fmac_f64_e32 v[132:133], v[36:37], v[72:73]
	v_add_f64 v[122:123], v[122:123], v[130:131]
	v_fma_f64 v[4:5], v[108:109], v[58:59], -v[4:5]
	v_add_f64 v[122:123], v[122:123], v[132:133]
	v_add_f64 v[2:3], v[2:3], v[4:5]
	v_mul_f64 v[4:5], v[114:115], v[66:67]
	v_fmac_f64_e32 v[136:137], v[106:107], v[74:75]
	v_add_f64 v[122:123], v[122:123], v[134:135]
	s_waitcnt vmcnt(6)
	v_fma_f64 v[4:5], v[112:113], v[76:77], -v[4:5]
	v_add_f64 v[122:123], v[122:123], v[136:137]
	v_add_f64 v[2:3], v[2:3], v[4:5]
	s_waitcnt vmcnt(5) lgkmcnt(0)
	v_mul_f64 v[4:5], v[118:119], v[62:63]
	v_fmac_f64_e32 v[140:141], v[114:115], v[76:77]
	v_add_f64 v[122:123], v[122:123], v[138:139]
	v_mul_f64 v[124:125], v[116:117], v[62:63]
	s_waitcnt vmcnt(4)
	v_fma_f64 v[4:5], v[116:117], v[64:65], -v[4:5]
	v_add_f64 v[122:123], v[122:123], v[140:141]
	v_fmac_f64_e32 v[124:125], v[118:119], v[64:65]
	v_add_f64 v[2:3], v[2:3], v[4:5]
	v_add_f64 v[122:123], v[122:123], v[124:125]
	s_waitcnt vmcnt(2)
	v_add_f64 v[2:3], v[78:79], -v[2:3]
	s_waitcnt vmcnt(0)
	v_add_f64 v[4:5], v[120:121], -v[122:123]
	buffer_store_dword v3, off, s[0:3], 0 offset:308
	buffer_store_dword v2, off, s[0:3], 0 offset:304
	;; [unrolled: 1-line block ×4, first 2 shown]
	s_and_saveexec_b64 s[6:7], vcc
	s_cbranch_execz .LBB30_163
; %bb.162:
	v_accvgpr_read_b32 v5, a68
	buffer_load_dword v2, v5, s[0:3], 0 offen
	buffer_load_dword v3, v5, s[0:3], 0 offen offset:4
	buffer_load_dword v4, v5, s[0:3], 0 offen offset:8
	s_nop 0
	buffer_load_dword v5, v5, s[0:3], 0 offen offset:12
	s_nop 0
	buffer_store_dword v12, off, s[0:3], 0 offset:288
	buffer_store_dword v12, off, s[0:3], 0 offset:292
	;; [unrolled: 1-line block ×4, first 2 shown]
	s_waitcnt vmcnt(4)
	ds_write_b128 v1, v[2:5]
.LBB30_163:
	s_or_b64 exec, exec, s[6:7]
	s_waitcnt lgkmcnt(0)
	; wave barrier
	s_waitcnt lgkmcnt(0)
	buffer_load_dword v2, off, s[0:3], 0 offset:304
	buffer_load_dword v3, off, s[0:3], 0 offset:308
	;; [unrolled: 1-line block ×52, first 2 shown]
	ds_read_b128 v[14:17], v12 offset:800
	ds_read_b128 v[18:21], v12 offset:816
	;; [unrolled: 1-line block ×10, first 2 shown]
	v_cmp_lt_u32_e32 vcc, 17, v243
	s_waitcnt vmcnt(48) lgkmcnt(9)
	v_mul_f64 v[116:117], v[14:15], v[6:7]
	v_mul_f64 v[6:7], v[16:17], v[6:7]
	v_fmac_f64_e32 v[116:117], v[16:17], v[2:3]
	v_fma_f64 v[2:3], v[14:15], v[2:3], -v[6:7]
	s_waitcnt vmcnt(44) lgkmcnt(8)
	v_mul_f64 v[118:119], v[18:19], v[8:9]
	v_mul_f64 v[6:7], v[20:21], v[8:9]
	v_fmac_f64_e32 v[118:119], v[20:21], v[4:5]
	v_add_f64 v[2:3], v[2:3], 0
	v_fma_f64 v[4:5], v[18:19], v[4:5], -v[6:7]
	v_add_f64 v[2:3], v[2:3], v[4:5]
	s_waitcnt vmcnt(42) lgkmcnt(7)
	v_mul_f64 v[4:5], v[24:25], v[10:11]
	v_mul_f64 v[120:121], v[22:23], v[10:11]
	v_add_f64 v[116:117], v[116:117], 0
	s_waitcnt vmcnt(36) lgkmcnt(6)
	v_mul_f64 v[122:123], v[26:27], v[48:49]
	v_add_f64 v[116:117], v[116:117], v[118:119]
	s_waitcnt lgkmcnt(5)
	v_mul_f64 v[130:131], v[30:31], v[44:45]
	v_fmac_f64_e32 v[130:131], v[32:33], v[46:47]
	s_waitcnt vmcnt(34) lgkmcnt(3)
	v_mul_f64 v[134:135], v[38:39], v[50:51]
	s_waitcnt vmcnt(30)
	v_mul_f64 v[132:133], v[34:35], v[54:55]
	v_fmac_f64_e32 v[134:135], v[40:41], v[52:53]
	s_waitcnt vmcnt(26) lgkmcnt(2)
	v_mul_f64 v[136:137], v[104:105], v[60:61]
	s_waitcnt vmcnt(25) lgkmcnt(1)
	v_mul_f64 v[138:139], v[108:109], v[56:57]
	s_waitcnt vmcnt(23)
	v_fma_f64 v[4:5], v[22:23], v[62:63], -v[4:5]
	v_add_f64 v[2:3], v[2:3], v[4:5]
	v_mul_f64 v[4:5], v[28:29], v[48:49]
	s_waitcnt vmcnt(21)
	v_fma_f64 v[4:5], v[26:27], v[64:65], -v[4:5]
	v_fmac_f64_e32 v[120:121], v[24:25], v[62:63]
	v_add_f64 v[2:3], v[2:3], v[4:5]
	v_mul_f64 v[4:5], v[32:33], v[44:45]
	v_fmac_f64_e32 v[122:123], v[28:29], v[64:65]
	v_add_f64 v[116:117], v[116:117], v[120:121]
	v_fma_f64 v[4:5], v[30:31], v[46:47], -v[4:5]
	v_add_f64 v[116:117], v[116:117], v[122:123]
	v_add_f64 v[2:3], v[2:3], v[4:5]
	v_mul_f64 v[4:5], v[36:37], v[54:55]
	s_waitcnt vmcnt(19)
	v_fmac_f64_e32 v[132:133], v[36:37], v[66:67]
	v_add_f64 v[116:117], v[116:117], v[130:131]
	v_fma_f64 v[4:5], v[34:35], v[66:67], -v[4:5]
	v_add_f64 v[116:117], v[116:117], v[132:133]
	v_add_f64 v[2:3], v[2:3], v[4:5]
	v_mul_f64 v[4:5], v[40:41], v[50:51]
	s_waitcnt vmcnt(17)
	v_fmac_f64_e32 v[136:137], v[106:107], v[68:69]
	v_add_f64 v[116:117], v[116:117], v[134:135]
	v_fma_f64 v[4:5], v[38:39], v[52:53], -v[4:5]
	s_waitcnt vmcnt(16)
	v_fmac_f64_e32 v[138:139], v[110:111], v[58:59]
	v_add_f64 v[116:117], v[116:117], v[136:137]
	v_add_f64 v[2:3], v[2:3], v[4:5]
	v_mul_f64 v[4:5], v[106:107], v[60:61]
	v_add_f64 v[130:131], v[116:117], v[138:139]
	ds_read_b128 v[116:119], v12 offset:960
	ds_read_b128 v[120:123], v12 offset:976
	v_fma_f64 v[4:5], v[104:105], v[68:69], -v[4:5]
	v_add_f64 v[2:3], v[2:3], v[4:5]
	v_mul_f64 v[4:5], v[110:111], v[56:57]
	v_fma_f64 v[4:5], v[108:109], v[58:59], -v[4:5]
	v_add_f64 v[2:3], v[2:3], v[4:5]
	s_waitcnt vmcnt(12) lgkmcnt(2)
	v_mul_f64 v[4:5], v[114:115], v[74:75]
	v_mul_f64 v[132:133], v[112:113], v[74:75]
	s_waitcnt vmcnt(10)
	v_fma_f64 v[4:5], v[112:113], v[76:77], -v[4:5]
	v_fmac_f64_e32 v[132:133], v[114:115], v[76:77]
	v_add_f64 v[2:3], v[2:3], v[4:5]
	s_waitcnt vmcnt(8) lgkmcnt(1)
	v_mul_f64 v[4:5], v[118:119], v[70:71]
	v_add_f64 v[12:13], v[130:131], v[132:133]
	v_mul_f64 v[130:131], v[116:117], v[70:71]
	v_fma_f64 v[4:5], v[116:117], v[72:73], -v[4:5]
	v_fmac_f64_e32 v[130:131], v[118:119], v[72:73]
	v_add_f64 v[2:3], v[2:3], v[4:5]
	s_waitcnt vmcnt(6) lgkmcnt(0)
	v_mul_f64 v[4:5], v[122:123], v[78:79]
	v_add_f64 v[12:13], v[12:13], v[130:131]
	v_mul_f64 v[130:131], v[120:121], v[78:79]
	s_waitcnt vmcnt(4)
	v_fma_f64 v[4:5], v[120:121], v[124:125], -v[4:5]
	v_fmac_f64_e32 v[130:131], v[122:123], v[124:125]
	v_add_f64 v[2:3], v[2:3], v[4:5]
	v_add_f64 v[12:13], v[12:13], v[130:131]
	s_waitcnt vmcnt(2)
	v_add_f64 v[2:3], v[126:127], -v[2:3]
	s_waitcnt vmcnt(0)
	v_add_f64 v[4:5], v[128:129], -v[12:13]
	buffer_store_dword v3, off, s[0:3], 0 offset:292
	buffer_store_dword v2, off, s[0:3], 0 offset:288
	buffer_store_dword v5, off, s[0:3], 0 offset:300
	buffer_store_dword v4, off, s[0:3], 0 offset:296
	s_and_saveexec_b64 s[6:7], vcc
	s_cbranch_execz .LBB30_165
; %bb.164:
	v_accvgpr_read_b32 v5, a69
	buffer_load_dword v2, v5, s[0:3], 0 offen
	buffer_load_dword v3, v5, s[0:3], 0 offen offset:4
	buffer_load_dword v4, v5, s[0:3], 0 offen offset:8
	s_nop 0
	buffer_load_dword v5, v5, s[0:3], 0 offen offset:12
	v_mov_b32_e32 v6, 0
	buffer_store_dword v6, off, s[0:3], 0 offset:272
	buffer_store_dword v6, off, s[0:3], 0 offset:276
	;; [unrolled: 1-line block ×4, first 2 shown]
	s_waitcnt vmcnt(4)
	ds_write_b128 v1, v[2:5]
.LBB30_165:
	s_or_b64 exec, exec, s[6:7]
	s_waitcnt lgkmcnt(0)
	; wave barrier
	s_waitcnt lgkmcnt(0)
	buffer_load_dword v2, off, s[0:3], 0 offset:288
	buffer_load_dword v3, off, s[0:3], 0 offset:292
	;; [unrolled: 1-line block ×56, first 2 shown]
	v_mov_b32_e32 v24, 0
	ds_read_b128 v[18:21], v24 offset:784
	ds_read_b128 v[26:29], v24 offset:800
	;; [unrolled: 1-line block ×9, first 2 shown]
	v_cmp_lt_u32_e32 vcc, 16, v243
	s_waitcnt vmcnt(52) lgkmcnt(8)
	v_mul_f64 v[116:117], v[18:19], v[6:7]
	v_fmac_f64_e32 v[116:117], v[20:21], v[2:3]
	v_mul_f64 v[6:7], v[20:21], v[6:7]
	v_add_f64 v[116:117], v[116:117], 0
	s_waitcnt vmcnt(48) lgkmcnt(7)
	v_mul_f64 v[118:119], v[26:27], v[8:9]
	v_fmac_f64_e32 v[118:119], v[28:29], v[4:5]
	s_waitcnt vmcnt(46) lgkmcnt(6)
	v_mul_f64 v[120:121], v[30:31], v[10:11]
	v_fma_f64 v[2:3], v[18:19], v[2:3], -v[6:7]
	v_mul_f64 v[6:7], v[28:29], v[8:9]
	v_add_f64 v[116:117], v[116:117], v[118:119]
	v_add_f64 v[2:3], v[2:3], 0
	v_fma_f64 v[4:5], v[26:27], v[4:5], -v[6:7]
	s_waitcnt vmcnt(40) lgkmcnt(5)
	v_mul_f64 v[122:123], v[34:35], v[16:17]
	s_waitcnt lgkmcnt(4)
	v_mul_f64 v[124:125], v[38:39], v[12:13]
	v_add_f64 v[2:3], v[2:3], v[4:5]
	v_mul_f64 v[4:5], v[32:33], v[10:11]
	s_waitcnt vmcnt(36) lgkmcnt(3)
	v_mul_f64 v[126:127], v[104:105], v[46:47]
	v_fmac_f64_e32 v[124:125], v[40:41], v[14:15]
	s_waitcnt vmcnt(35) lgkmcnt(2)
	v_mul_f64 v[128:129], v[108:109], v[22:23]
	s_waitcnt vmcnt(33)
	v_fmac_f64_e32 v[120:121], v[32:33], v[48:49]
	v_add_f64 v[116:117], v[116:117], v[120:121]
	s_waitcnt vmcnt(31)
	v_fmac_f64_e32 v[122:123], v[36:37], v[50:51]
	v_add_f64 v[116:117], v[116:117], v[122:123]
	v_fma_f64 v[4:5], v[30:31], v[48:49], -v[4:5]
	s_waitcnt vmcnt(29)
	v_fmac_f64_e32 v[126:127], v[106:107], v[52:53]
	v_add_f64 v[116:117], v[116:117], v[124:125]
	v_add_f64 v[2:3], v[2:3], v[4:5]
	v_mul_f64 v[4:5], v[36:37], v[16:17]
	s_waitcnt vmcnt(28)
	v_fmac_f64_e32 v[128:129], v[110:111], v[44:45]
	v_add_f64 v[116:117], v[116:117], v[126:127]
	v_fma_f64 v[4:5], v[34:35], v[50:51], -v[4:5]
	v_add_f64 v[120:121], v[116:117], v[128:129]
	ds_read_b128 v[116:119], v24 offset:912
	s_waitcnt vmcnt(24) lgkmcnt(2)
	v_mul_f64 v[122:123], v[112:113], v[58:59]
	v_add_f64 v[2:3], v[2:3], v[4:5]
	v_mul_f64 v[4:5], v[40:41], v[12:13]
	s_waitcnt vmcnt(22)
	v_fmac_f64_e32 v[122:123], v[114:115], v[60:61]
	v_fma_f64 v[4:5], v[38:39], v[14:15], -v[4:5]
	v_add_f64 v[124:125], v[120:121], v[122:123]
	ds_read_b128 v[120:123], v24 offset:928
	v_add_f64 v[2:3], v[2:3], v[4:5]
	v_mul_f64 v[4:5], v[106:107], v[46:47]
	v_fma_f64 v[4:5], v[104:105], v[52:53], -v[4:5]
	v_add_f64 v[2:3], v[2:3], v[4:5]
	v_mul_f64 v[4:5], v[110:111], v[22:23]
	s_waitcnt vmcnt(20) lgkmcnt(1)
	v_mul_f64 v[126:127], v[116:117], v[54:55]
	v_fma_f64 v[4:5], v[108:109], v[44:45], -v[4:5]
	v_fmac_f64_e32 v[126:127], v[118:119], v[56:57]
	v_add_f64 v[2:3], v[2:3], v[4:5]
	v_mul_f64 v[4:5], v[114:115], v[58:59]
	v_add_f64 v[128:129], v[124:125], v[126:127]
	ds_read_b128 v[124:127], v24 offset:944
	s_waitcnt vmcnt(16) lgkmcnt(1)
	v_mul_f64 v[130:131], v[120:121], v[66:67]
	v_fma_f64 v[4:5], v[112:113], v[60:61], -v[4:5]
	s_waitcnt vmcnt(14)
	v_fmac_f64_e32 v[130:131], v[122:123], v[68:69]
	v_add_f64 v[2:3], v[2:3], v[4:5]
	v_mul_f64 v[4:5], v[118:119], v[54:55]
	v_add_f64 v[138:139], v[128:129], v[130:131]
	ds_read_b128 v[128:131], v24 offset:960
	v_fma_f64 v[4:5], v[116:117], v[56:57], -v[4:5]
	v_add_f64 v[2:3], v[2:3], v[4:5]
	v_mul_f64 v[4:5], v[122:123], v[66:67]
	v_fma_f64 v[4:5], v[120:121], v[68:69], -v[4:5]
	v_add_f64 v[2:3], v[2:3], v[4:5]
	s_waitcnt vmcnt(12) lgkmcnt(1)
	v_mul_f64 v[4:5], v[126:127], v[62:63]
	v_mul_f64 v[140:141], v[124:125], v[62:63]
	v_fma_f64 v[4:5], v[124:125], v[64:65], -v[4:5]
	v_fmac_f64_e32 v[140:141], v[126:127], v[64:65]
	v_add_f64 v[2:3], v[2:3], v[4:5]
	s_waitcnt vmcnt(8) lgkmcnt(0)
	v_mul_f64 v[4:5], v[130:131], v[74:75]
	v_add_f64 v[138:139], v[138:139], v[140:141]
	v_mul_f64 v[140:141], v[128:129], v[74:75]
	s_waitcnt vmcnt(6)
	v_fma_f64 v[4:5], v[128:129], v[76:77], -v[4:5]
	v_fmac_f64_e32 v[140:141], v[130:131], v[76:77]
	v_add_f64 v[2:3], v[2:3], v[4:5]
	s_waitcnt vmcnt(5)
	v_mul_f64 v[4:5], v[134:135], v[70:71]
	v_add_f64 v[138:139], v[138:139], v[140:141]
	v_mul_f64 v[140:141], v[132:133], v[70:71]
	s_waitcnt vmcnt(4)
	v_fma_f64 v[4:5], v[132:133], v[72:73], -v[4:5]
	v_fmac_f64_e32 v[140:141], v[134:135], v[72:73]
	v_add_f64 v[2:3], v[2:3], v[4:5]
	v_add_f64 v[138:139], v[138:139], v[140:141]
	s_waitcnt vmcnt(2)
	v_add_f64 v[2:3], v[78:79], -v[2:3]
	s_waitcnt vmcnt(0)
	v_add_f64 v[4:5], v[136:137], -v[138:139]
	buffer_store_dword v3, off, s[0:3], 0 offset:276
	buffer_store_dword v2, off, s[0:3], 0 offset:272
	;; [unrolled: 1-line block ×4, first 2 shown]
	s_and_saveexec_b64 s[6:7], vcc
	s_cbranch_execz .LBB30_167
; %bb.166:
	v_accvgpr_read_b32 v5, a70
	buffer_load_dword v2, v5, s[0:3], 0 offen
	buffer_load_dword v3, v5, s[0:3], 0 offen offset:4
	buffer_load_dword v4, v5, s[0:3], 0 offen offset:8
	s_nop 0
	buffer_load_dword v5, v5, s[0:3], 0 offen offset:12
	s_nop 0
	buffer_store_dword v24, off, s[0:3], 0 offset:256
	buffer_store_dword v24, off, s[0:3], 0 offset:260
	;; [unrolled: 1-line block ×4, first 2 shown]
	s_waitcnt vmcnt(4)
	ds_write_b128 v1, v[2:5]
.LBB30_167:
	s_or_b64 exec, exec, s[6:7]
	s_waitcnt lgkmcnt(0)
	; wave barrier
	s_waitcnt lgkmcnt(0)
	buffer_load_dword v2, off, s[0:3], 0 offset:272
	buffer_load_dword v3, off, s[0:3], 0 offset:276
	;; [unrolled: 1-line block ×60, first 2 shown]
	ds_read_b128 v[26:29], v24 offset:768
	ds_read_b128 v[30:33], v24 offset:784
	;; [unrolled: 1-line block ×8, first 2 shown]
	v_cmp_lt_u32_e32 vcc, 15, v243
	ds_read_b128 v[140:143], v24 offset:976
	s_waitcnt vmcnt(56) lgkmcnt(8)
	v_mul_f64 v[120:121], v[26:27], v[6:7]
	v_fmac_f64_e32 v[120:121], v[28:29], v[2:3]
	v_add_f64 v[120:121], v[120:121], 0
	v_mul_f64 v[6:7], v[28:29], v[6:7]
	s_waitcnt vmcnt(52) lgkmcnt(7)
	v_mul_f64 v[122:123], v[30:31], v[8:9]
	v_fmac_f64_e32 v[122:123], v[32:33], v[4:5]
	s_waitcnt vmcnt(50) lgkmcnt(6)
	v_mul_f64 v[124:125], v[34:35], v[10:11]
	v_add_f64 v[120:121], v[120:121], v[122:123]
	s_waitcnt vmcnt(48) lgkmcnt(4)
	v_mul_f64 v[128:129], v[104:105], v[12:13]
	v_fma_f64 v[2:3], v[26:27], v[2:3], -v[6:7]
	s_waitcnt vmcnt(46)
	v_fmac_f64_e32 v[128:129], v[106:107], v[14:15]
	v_mul_f64 v[6:7], v[32:33], v[8:9]
	s_waitcnt vmcnt(44)
	v_mul_f64 v[126:127], v[38:39], v[16:17]
	v_add_f64 v[2:3], v[2:3], 0
	v_fma_f64 v[4:5], v[30:31], v[4:5], -v[6:7]
	v_add_f64 v[2:3], v[2:3], v[4:5]
	s_waitcnt vmcnt(40) lgkmcnt(3)
	v_mul_f64 v[130:131], v[108:109], v[22:23]
	v_mul_f64 v[4:5], v[36:37], v[10:11]
	s_waitcnt vmcnt(38)
	v_fmac_f64_e32 v[124:125], v[36:37], v[44:45]
	v_add_f64 v[120:121], v[120:121], v[124:125]
	s_waitcnt vmcnt(36)
	v_fmac_f64_e32 v[126:127], v[40:41], v[46:47]
	v_add_f64 v[120:121], v[120:121], v[126:127]
	;; [unrolled: 3-line block ×3, first 2 shown]
	s_waitcnt vmcnt(32) lgkmcnt(2)
	v_mul_f64 v[122:123], v[112:113], v[18:19]
	v_add_f64 v[120:121], v[120:121], v[130:131]
	v_fmac_f64_e32 v[122:123], v[114:115], v[20:21]
	v_add_f64 v[124:125], v[120:121], v[122:123]
	ds_read_b128 v[120:123], v24 offset:896
	v_fma_f64 v[4:5], v[34:35], v[44:45], -v[4:5]
	v_add_f64 v[2:3], v[2:3], v[4:5]
	v_mul_f64 v[4:5], v[40:41], v[16:17]
	v_fma_f64 v[4:5], v[38:39], v[46:47], -v[4:5]
	s_waitcnt vmcnt(28) lgkmcnt(2)
	v_mul_f64 v[126:127], v[116:117], v[54:55]
	v_add_f64 v[2:3], v[2:3], v[4:5]
	v_mul_f64 v[4:5], v[106:107], v[12:13]
	s_waitcnt vmcnt(26)
	v_fmac_f64_e32 v[126:127], v[118:119], v[56:57]
	v_fma_f64 v[4:5], v[104:105], v[14:15], -v[4:5]
	v_add_f64 v[128:129], v[124:125], v[126:127]
	ds_read_b128 v[124:127], v24 offset:912
	s_waitcnt vmcnt(24) lgkmcnt(1)
	v_mul_f64 v[130:131], v[120:121], v[50:51]
	v_add_f64 v[2:3], v[2:3], v[4:5]
	v_mul_f64 v[4:5], v[110:111], v[22:23]
	v_fmac_f64_e32 v[130:131], v[122:123], v[52:53]
	v_fma_f64 v[4:5], v[108:109], v[48:49], -v[4:5]
	v_add_f64 v[132:133], v[128:129], v[130:131]
	ds_read_b128 v[128:131], v24 offset:928
	v_add_f64 v[2:3], v[2:3], v[4:5]
	v_mul_f64 v[4:5], v[114:115], v[18:19]
	v_fma_f64 v[4:5], v[112:113], v[20:21], -v[4:5]
	v_add_f64 v[2:3], v[2:3], v[4:5]
	v_mul_f64 v[4:5], v[118:119], v[54:55]
	s_waitcnt vmcnt(20) lgkmcnt(1)
	v_mul_f64 v[134:135], v[124:125], v[62:63]
	v_fma_f64 v[4:5], v[116:117], v[56:57], -v[4:5]
	s_waitcnt vmcnt(18)
	v_fmac_f64_e32 v[134:135], v[126:127], v[64:65]
	v_add_f64 v[2:3], v[2:3], v[4:5]
	v_mul_f64 v[4:5], v[122:123], v[50:51]
	v_add_f64 v[136:137], v[132:133], v[134:135]
	ds_read_b128 v[132:135], v24 offset:944
	s_waitcnt vmcnt(16) lgkmcnt(1)
	v_mul_f64 v[138:139], v[128:129], v[58:59]
	v_fma_f64 v[4:5], v[120:121], v[52:53], -v[4:5]
	v_fmac_f64_e32 v[138:139], v[130:131], v[60:61]
	v_add_f64 v[2:3], v[2:3], v[4:5]
	v_mul_f64 v[4:5], v[126:127], v[62:63]
	v_add_f64 v[146:147], v[136:137], v[138:139]
	ds_read_b128 v[136:139], v24 offset:960
	v_fma_f64 v[4:5], v[124:125], v[64:65], -v[4:5]
	v_add_f64 v[2:3], v[2:3], v[4:5]
	v_mul_f64 v[4:5], v[130:131], v[58:59]
	v_fma_f64 v[4:5], v[128:129], v[60:61], -v[4:5]
	v_add_f64 v[2:3], v[2:3], v[4:5]
	s_waitcnt vmcnt(12) lgkmcnt(1)
	v_mul_f64 v[4:5], v[134:135], v[70:71]
	v_mul_f64 v[148:149], v[132:133], v[70:71]
	s_waitcnt vmcnt(10)
	v_fma_f64 v[4:5], v[132:133], v[72:73], -v[4:5]
	v_fmac_f64_e32 v[148:149], v[134:135], v[72:73]
	v_add_f64 v[2:3], v[2:3], v[4:5]
	s_waitcnt vmcnt(8) lgkmcnt(0)
	v_mul_f64 v[4:5], v[138:139], v[66:67]
	v_add_f64 v[24:25], v[146:147], v[148:149]
	v_mul_f64 v[146:147], v[136:137], v[66:67]
	v_fma_f64 v[4:5], v[136:137], v[68:69], -v[4:5]
	v_fmac_f64_e32 v[146:147], v[138:139], v[68:69]
	v_add_f64 v[2:3], v[2:3], v[4:5]
	s_waitcnt vmcnt(6)
	v_mul_f64 v[4:5], v[142:143], v[74:75]
	v_add_f64 v[24:25], v[24:25], v[146:147]
	v_mul_f64 v[146:147], v[140:141], v[74:75]
	s_waitcnt vmcnt(4)
	v_fma_f64 v[4:5], v[140:141], v[76:77], -v[4:5]
	v_fmac_f64_e32 v[146:147], v[142:143], v[76:77]
	v_add_f64 v[2:3], v[2:3], v[4:5]
	v_add_f64 v[24:25], v[24:25], v[146:147]
	s_waitcnt vmcnt(2)
	v_add_f64 v[2:3], v[78:79], -v[2:3]
	s_waitcnt vmcnt(0)
	v_add_f64 v[4:5], v[144:145], -v[24:25]
	buffer_store_dword v3, off, s[0:3], 0 offset:260
	buffer_store_dword v2, off, s[0:3], 0 offset:256
	;; [unrolled: 1-line block ×4, first 2 shown]
	s_and_saveexec_b64 s[6:7], vcc
	s_cbranch_execz .LBB30_169
; %bb.168:
	v_accvgpr_read_b32 v5, a71
	buffer_load_dword v2, v5, s[0:3], 0 offen
	buffer_load_dword v3, v5, s[0:3], 0 offen offset:4
	buffer_load_dword v4, v5, s[0:3], 0 offen offset:8
	s_nop 0
	buffer_load_dword v5, v5, s[0:3], 0 offen offset:12
	v_mov_b32_e32 v6, 0
	buffer_store_dword v6, off, s[0:3], 0 offset:240
	buffer_store_dword v6, off, s[0:3], 0 offset:244
	;; [unrolled: 1-line block ×4, first 2 shown]
	s_waitcnt vmcnt(4)
	ds_write_b128 v1, v[2:5]
.LBB30_169:
	s_or_b64 exec, exec, s[6:7]
	s_waitcnt lgkmcnt(0)
	; wave barrier
	s_waitcnt lgkmcnt(0)
	buffer_load_dword v2, off, s[0:3], 0 offset:256
	buffer_load_dword v3, off, s[0:3], 0 offset:260
	;; [unrolled: 1-line block ×64, first 2 shown]
	v_mov_b32_e32 v38, 0
	ds_read_b128 v[30:33], v38 offset:752
	ds_read_b128 v[34:37], v38 offset:768
	;; [unrolled: 1-line block ×7, first 2 shown]
	v_cmp_lt_u32_e32 vcc, 14, v243
	s_waitcnt vmcnt(60) lgkmcnt(6)
	v_mul_f64 v[78:79], v[30:31], v[6:7]
	v_fmac_f64_e32 v[78:79], v[32:33], v[2:3]
	v_add_f64 v[78:79], v[78:79], 0
	v_mul_f64 v[6:7], v[32:33], v[6:7]
	s_waitcnt vmcnt(56) lgkmcnt(5)
	v_mul_f64 v[120:121], v[34:35], v[8:9]
	v_fmac_f64_e32 v[120:121], v[36:37], v[4:5]
	s_waitcnt vmcnt(54) lgkmcnt(4)
	v_mul_f64 v[122:123], v[104:105], v[10:11]
	v_add_f64 v[78:79], v[78:79], v[120:121]
	v_fma_f64 v[2:3], v[30:31], v[2:3], -v[6:7]
	v_mul_f64 v[6:7], v[36:37], v[8:9]
	s_waitcnt vmcnt(50) lgkmcnt(3)
	v_mul_f64 v[124:125], v[108:109], v[16:17]
	s_waitcnt vmcnt(49) lgkmcnt(2)
	v_mul_f64 v[126:127], v[112:113], v[12:13]
	v_add_f64 v[2:3], v[2:3], 0
	s_waitcnt vmcnt(47)
	v_fmac_f64_e32 v[122:123], v[106:107], v[20:21]
	v_add_f64 v[78:79], v[78:79], v[122:123]
	s_waitcnt vmcnt(45)
	v_fmac_f64_e32 v[124:125], v[110:111], v[18:19]
	;; [unrolled: 3-line block ×3, first 2 shown]
	ds_read_b128 v[120:123], v38 offset:848
	v_add_f64 v[78:79], v[78:79], v[126:127]
	s_waitcnt vmcnt(40) lgkmcnt(2)
	v_mul_f64 v[124:125], v[116:117], v[26:27]
	v_fma_f64 v[4:5], v[34:35], v[4:5], -v[6:7]
	s_waitcnt vmcnt(38)
	v_fmac_f64_e32 v[124:125], v[118:119], v[28:29]
	v_add_f64 v[78:79], v[78:79], v[124:125]
	ds_read_b128 v[124:127], v38 offset:864
	s_waitcnt vmcnt(36) lgkmcnt(1)
	v_mul_f64 v[128:129], v[120:121], v[22:23]
	v_fmac_f64_e32 v[128:129], v[122:123], v[24:25]
	v_add_f64 v[2:3], v[2:3], v[4:5]
	v_mul_f64 v[4:5], v[106:107], v[10:11]
	v_add_f64 v[78:79], v[78:79], v[128:129]
	ds_read_b128 v[128:131], v38 offset:880
	s_waitcnt vmcnt(32) lgkmcnt(1)
	v_mul_f64 v[132:133], v[124:125], v[46:47]
	v_fma_f64 v[4:5], v[104:105], v[20:21], -v[4:5]
	s_waitcnt vmcnt(30)
	v_fmac_f64_e32 v[132:133], v[126:127], v[48:49]
	v_add_f64 v[2:3], v[2:3], v[4:5]
	v_mul_f64 v[4:5], v[110:111], v[16:17]
	v_add_f64 v[78:79], v[78:79], v[132:133]
	ds_read_b128 v[132:135], v38 offset:896
	v_fma_f64 v[4:5], v[108:109], v[18:19], -v[4:5]
	v_add_f64 v[2:3], v[2:3], v[4:5]
	v_mul_f64 v[4:5], v[114:115], v[12:13]
	v_fma_f64 v[4:5], v[112:113], v[14:15], -v[4:5]
	s_waitcnt vmcnt(28) lgkmcnt(1)
	v_mul_f64 v[136:137], v[128:129], v[40:41]
	v_add_f64 v[2:3], v[2:3], v[4:5]
	v_mul_f64 v[4:5], v[118:119], v[26:27]
	v_fmac_f64_e32 v[136:137], v[130:131], v[44:45]
	v_fma_f64 v[4:5], v[116:117], v[28:29], -v[4:5]
	v_add_f64 v[78:79], v[78:79], v[136:137]
	ds_read_b128 v[136:139], v38 offset:912
	s_waitcnt vmcnt(24) lgkmcnt(1)
	v_mul_f64 v[140:141], v[132:133], v[54:55]
	v_add_f64 v[2:3], v[2:3], v[4:5]
	v_mul_f64 v[4:5], v[122:123], v[22:23]
	s_waitcnt vmcnt(22)
	v_fmac_f64_e32 v[140:141], v[134:135], v[56:57]
	v_fma_f64 v[4:5], v[120:121], v[24:25], -v[4:5]
	v_add_f64 v[78:79], v[78:79], v[140:141]
	ds_read_b128 v[140:143], v38 offset:928
	v_add_f64 v[2:3], v[2:3], v[4:5]
	v_mul_f64 v[4:5], v[126:127], v[46:47]
	v_fma_f64 v[4:5], v[124:125], v[48:49], -v[4:5]
	v_add_f64 v[2:3], v[2:3], v[4:5]
	v_mul_f64 v[4:5], v[130:131], v[40:41]
	s_waitcnt vmcnt(20) lgkmcnt(1)
	v_mul_f64 v[144:145], v[136:137], v[50:51]
	v_fma_f64 v[4:5], v[128:129], v[44:45], -v[4:5]
	v_fmac_f64_e32 v[144:145], v[138:139], v[52:53]
	v_add_f64 v[2:3], v[2:3], v[4:5]
	v_mul_f64 v[4:5], v[134:135], v[54:55]
	v_add_f64 v[78:79], v[78:79], v[144:145]
	ds_read_b128 v[144:147], v38 offset:944
	s_waitcnt vmcnt(16) lgkmcnt(1)
	v_mul_f64 v[148:149], v[140:141], v[62:63]
	v_fma_f64 v[4:5], v[132:133], v[56:57], -v[4:5]
	s_waitcnt vmcnt(14)
	v_fmac_f64_e32 v[148:149], v[142:143], v[64:65]
	v_add_f64 v[2:3], v[2:3], v[4:5]
	v_mul_f64 v[4:5], v[138:139], v[50:51]
	v_add_f64 v[78:79], v[78:79], v[148:149]
	ds_read_b128 v[148:151], v38 offset:960
	v_fma_f64 v[4:5], v[136:137], v[52:53], -v[4:5]
	v_add_f64 v[2:3], v[2:3], v[4:5]
	v_mul_f64 v[4:5], v[142:143], v[62:63]
	v_fma_f64 v[4:5], v[140:141], v[64:65], -v[4:5]
	v_add_f64 v[2:3], v[2:3], v[4:5]
	s_waitcnt vmcnt(12) lgkmcnt(1)
	v_mul_f64 v[4:5], v[146:147], v[58:59]
	v_mul_f64 v[156:157], v[144:145], v[58:59]
	v_fma_f64 v[4:5], v[144:145], v[60:61], -v[4:5]
	v_fmac_f64_e32 v[156:157], v[146:147], v[60:61]
	v_add_f64 v[2:3], v[2:3], v[4:5]
	s_waitcnt vmcnt(8) lgkmcnt(0)
	v_mul_f64 v[4:5], v[150:151], v[70:71]
	v_add_f64 v[78:79], v[78:79], v[156:157]
	v_mul_f64 v[156:157], v[148:149], v[70:71]
	s_waitcnt vmcnt(6)
	v_fma_f64 v[4:5], v[148:149], v[72:73], -v[4:5]
	v_fmac_f64_e32 v[156:157], v[150:151], v[72:73]
	v_add_f64 v[2:3], v[2:3], v[4:5]
	s_waitcnt vmcnt(5)
	v_mul_f64 v[4:5], v[154:155], v[66:67]
	v_add_f64 v[78:79], v[78:79], v[156:157]
	v_mul_f64 v[156:157], v[152:153], v[66:67]
	s_waitcnt vmcnt(4)
	v_fma_f64 v[4:5], v[152:153], v[68:69], -v[4:5]
	v_fmac_f64_e32 v[156:157], v[154:155], v[68:69]
	v_add_f64 v[2:3], v[2:3], v[4:5]
	v_add_f64 v[78:79], v[78:79], v[156:157]
	s_waitcnt vmcnt(2)
	v_add_f64 v[2:3], v[74:75], -v[2:3]
	s_waitcnt vmcnt(0)
	v_add_f64 v[4:5], v[76:77], -v[78:79]
	buffer_store_dword v3, off, s[0:3], 0 offset:244
	buffer_store_dword v2, off, s[0:3], 0 offset:240
	;; [unrolled: 1-line block ×4, first 2 shown]
	s_and_saveexec_b64 s[6:7], vcc
	s_cbranch_execz .LBB30_171
; %bb.170:
	v_accvgpr_read_b32 v5, a72
	buffer_load_dword v2, v5, s[0:3], 0 offen
	buffer_load_dword v3, v5, s[0:3], 0 offen offset:4
	buffer_load_dword v4, v5, s[0:3], 0 offen offset:8
	s_nop 0
	buffer_load_dword v5, v5, s[0:3], 0 offen offset:12
	s_nop 0
	buffer_store_dword v38, off, s[0:3], 0 offset:224
	buffer_store_dword v38, off, s[0:3], 0 offset:228
	buffer_store_dword v38, off, s[0:3], 0 offset:232
	buffer_store_dword v38, off, s[0:3], 0 offset:236
	s_waitcnt vmcnt(4)
	ds_write_b128 v1, v[2:5]
.LBB30_171:
	s_or_b64 exec, exec, s[6:7]
	s_waitcnt lgkmcnt(0)
	; wave barrier
	s_waitcnt lgkmcnt(0)
	buffer_load_dword v2, off, s[0:3], 0 offset:240
	buffer_load_dword v3, off, s[0:3], 0 offset:244
	buffer_load_dword v4, off, s[0:3], 0 offset:248
	buffer_load_dword v5, off, s[0:3], 0 offset:252
	buffer_load_dword v6, off, s[0:3], 0 offset:264
	buffer_load_dword v7, off, s[0:3], 0 offset:268
	buffer_load_dword v8, off, s[0:3], 0 offset:280
	buffer_load_dword v9, off, s[0:3], 0 offset:284
	buffer_load_dword v10, off, s[0:3], 0 offset:312
	buffer_load_dword v12, off, s[0:3], 0 offset:304
	buffer_load_dword v15, off, s[0:3], 0 offset:300
	buffer_load_dword v14, off, s[0:3], 0 offset:296
	buffer_load_dword v20, off, s[0:3], 0 offset:256
	buffer_load_dword v21, off, s[0:3], 0 offset:260
	buffer_load_dword v18, off, s[0:3], 0 offset:272
	buffer_load_dword v19, off, s[0:3], 0 offset:276
	buffer_load_dword v17, off, s[0:3], 0 offset:292
	buffer_load_dword v16, off, s[0:3], 0 offset:288
	buffer_load_dword v13, off, s[0:3], 0 offset:308
	buffer_load_dword v11, off, s[0:3], 0 offset:316
	buffer_load_dword v22, off, s[0:3], 0 offset:344
	buffer_load_dword v24, off, s[0:3], 0 offset:336
	buffer_load_dword v27, off, s[0:3], 0 offset:332
	buffer_load_dword v26, off, s[0:3], 0 offset:328
	buffer_load_dword v29, off, s[0:3], 0 offset:324
	buffer_load_dword v28, off, s[0:3], 0 offset:320
	buffer_load_dword v25, off, s[0:3], 0 offset:340
	buffer_load_dword v23, off, s[0:3], 0 offset:348
	buffer_load_dword v30, off, s[0:3], 0 offset:376
	buffer_load_dword v32, off, s[0:3], 0 offset:368
	buffer_load_dword v35, off, s[0:3], 0 offset:364
	buffer_load_dword v34, off, s[0:3], 0 offset:360
	buffer_load_dword v37, off, s[0:3], 0 offset:356
	buffer_load_dword v36, off, s[0:3], 0 offset:352
	buffer_load_dword v33, off, s[0:3], 0 offset:372
	buffer_load_dword v31, off, s[0:3], 0 offset:380
	buffer_load_dword v44, off, s[0:3], 0 offset:408
	buffer_load_dword v46, off, s[0:3], 0 offset:400
	buffer_load_dword v49, off, s[0:3], 0 offset:396
	buffer_load_dword v48, off, s[0:3], 0 offset:392
	buffer_load_dword v51, off, s[0:3], 0 offset:388
	buffer_load_dword v50, off, s[0:3], 0 offset:384
	buffer_load_dword v47, off, s[0:3], 0 offset:404
	buffer_load_dword v45, off, s[0:3], 0 offset:412
	buffer_load_dword v52, off, s[0:3], 0 offset:440
	buffer_load_dword v54, off, s[0:3], 0 offset:432
	buffer_load_dword v57, off, s[0:3], 0 offset:428
	buffer_load_dword v56, off, s[0:3], 0 offset:424
	buffer_load_dword v59, off, s[0:3], 0 offset:420
	buffer_load_dword v58, off, s[0:3], 0 offset:416
	buffer_load_dword v55, off, s[0:3], 0 offset:436
	buffer_load_dword v53, off, s[0:3], 0 offset:444
	buffer_load_dword v60, off, s[0:3], 0 offset:472
	buffer_load_dword v62, off, s[0:3], 0 offset:464
	buffer_load_dword v65, off, s[0:3], 0 offset:460
	buffer_load_dword v64, off, s[0:3], 0 offset:456
	buffer_load_dword v67, off, s[0:3], 0 offset:452
	buffer_load_dword v66, off, s[0:3], 0 offset:448
	buffer_load_dword v63, off, s[0:3], 0 offset:468
	buffer_load_dword v61, off, s[0:3], 0 offset:476
	buffer_load_dword v69, off, s[0:3], 0 offset:492
	buffer_load_dword v68, off, s[0:3], 0 offset:488
	buffer_load_dword v71, off, s[0:3], 0 offset:484
	buffer_load_dword v70, off, s[0:3], 0 offset:480
	ds_read_b128 v[104:107], v38 offset:736
	ds_read_b128 v[108:111], v38 offset:752
	;; [unrolled: 1-line block ×4, first 2 shown]
	buffer_load_dword v72, off, s[0:3], 0 offset:224
	buffer_load_dword v73, off, s[0:3], 0 offset:228
	buffer_load_dword v74, off, s[0:3], 0 offset:232
	buffer_load_dword v75, off, s[0:3], 0 offset:236
	ds_read_b128 v[120:123], v38 offset:800
	ds_read_b128 v[128:131], v38 offset:832
	;; [unrolled: 1-line block ×10, first 2 shown]
	v_cmp_lt_u32_e32 vcc, 13, v243
	s_waitcnt vmcnt(62) lgkmcnt(13)
	v_mul_f64 v[40:41], v[104:105], v[4:5]
	v_fmac_f64_e32 v[40:41], v[106:107], v[2:3]
	s_waitcnt lgkmcnt(12)
	v_mul_f64 v[76:77], v[108:109], v[6:7]
	v_add_f64 v[40:41], v[40:41], 0
	s_waitcnt vmcnt(60) lgkmcnt(11)
	v_mul_f64 v[78:79], v[112:113], v[8:9]
	v_mul_f64 v[4:5], v[106:107], v[4:5]
	v_fma_f64 v[2:3], v[104:105], v[2:3], -v[4:5]
	v_mul_f64 v[4:5], v[110:111], v[6:7]
	s_waitcnt vmcnt(56) lgkmcnt(10)
	v_mul_f64 v[124:125], v[116:117], v[14:15]
	v_add_f64 v[2:3], v[2:3], 0
	s_waitcnt vmcnt(54)
	v_fmac_f64_e32 v[76:77], v[110:111], v[20:21]
	v_add_f64 v[40:41], v[40:41], v[76:77]
	s_waitcnt vmcnt(52)
	v_fmac_f64_e32 v[78:79], v[114:115], v[18:19]
	;; [unrolled: 3-line block ×3, first 2 shown]
	v_fma_f64 v[4:5], v[108:109], v[20:21], -v[4:5]
	v_add_f64 v[40:41], v[40:41], v[124:125]
	ds_read_b128 v[124:127], v38 offset:816
	v_add_f64 v[2:3], v[2:3], v[4:5]
	v_mul_f64 v[4:5], v[114:115], v[8:9]
	v_fma_f64 v[4:5], v[112:113], v[18:19], -v[4:5]
	v_add_f64 v[2:3], v[2:3], v[4:5]
	v_mul_f64 v[4:5], v[118:119], v[14:15]
	s_waitcnt vmcnt(48) lgkmcnt(10)
	v_mul_f64 v[76:77], v[120:121], v[10:11]
	v_fma_f64 v[4:5], v[116:117], v[16:17], -v[4:5]
	v_fmac_f64_e32 v[76:77], v[122:123], v[12:13]
	v_add_f64 v[2:3], v[2:3], v[4:5]
	v_mul_f64 v[4:5], v[122:123], v[10:11]
	v_add_f64 v[40:41], v[40:41], v[76:77]
	s_waitcnt vmcnt(44) lgkmcnt(0)
	v_mul_f64 v[76:77], v[124:125], v[26:27]
	v_fma_f64 v[4:5], v[120:121], v[12:13], -v[4:5]
	s_waitcnt vmcnt(42)
	v_fmac_f64_e32 v[76:77], v[126:127], v[28:29]
	v_add_f64 v[2:3], v[2:3], v[4:5]
	v_mul_f64 v[4:5], v[126:127], v[26:27]
	v_add_f64 v[40:41], v[40:41], v[76:77]
	s_waitcnt vmcnt(40)
	v_mul_f64 v[76:77], v[128:129], v[22:23]
	v_fma_f64 v[4:5], v[124:125], v[28:29], -v[4:5]
	v_fmac_f64_e32 v[76:77], v[130:131], v[24:25]
	v_add_f64 v[2:3], v[2:3], v[4:5]
	v_mul_f64 v[4:5], v[130:131], v[22:23]
	v_add_f64 v[40:41], v[40:41], v[76:77]
	s_waitcnt vmcnt(36)
	v_mul_f64 v[76:77], v[132:133], v[34:35]
	v_fma_f64 v[4:5], v[128:129], v[24:25], -v[4:5]
	s_waitcnt vmcnt(34)
	v_fmac_f64_e32 v[76:77], v[134:135], v[36:37]
	v_add_f64 v[2:3], v[2:3], v[4:5]
	v_mul_f64 v[4:5], v[134:135], v[34:35]
	v_add_f64 v[40:41], v[40:41], v[76:77]
	s_waitcnt vmcnt(32)
	v_mul_f64 v[76:77], v[136:137], v[30:31]
	v_fma_f64 v[4:5], v[132:133], v[36:37], -v[4:5]
	v_fmac_f64_e32 v[76:77], v[138:139], v[32:33]
	v_add_f64 v[2:3], v[2:3], v[4:5]
	v_mul_f64 v[4:5], v[138:139], v[30:31]
	v_add_f64 v[40:41], v[40:41], v[76:77]
	s_waitcnt vmcnt(28)
	;; [unrolled: 15-line block ×3, first 2 shown]
	v_mul_f64 v[76:77], v[148:149], v[56:57]
	v_fma_f64 v[4:5], v[144:145], v[46:47], -v[4:5]
	s_waitcnt vmcnt(18)
	v_fmac_f64_e32 v[76:77], v[150:151], v[58:59]
	v_add_f64 v[2:3], v[2:3], v[4:5]
	v_mul_f64 v[4:5], v[150:151], v[56:57]
	v_add_f64 v[40:41], v[40:41], v[76:77]
	s_waitcnt vmcnt(16)
	v_mul_f64 v[76:77], v[152:153], v[52:53]
	v_fma_f64 v[4:5], v[148:149], v[58:59], -v[4:5]
	v_fmac_f64_e32 v[76:77], v[154:155], v[54:55]
	v_add_f64 v[2:3], v[2:3], v[4:5]
	v_mul_f64 v[4:5], v[154:155], v[52:53]
	v_add_f64 v[76:77], v[40:41], v[76:77]
	ds_read_b128 v[38:41], v38 offset:976
	v_fma_f64 v[4:5], v[152:153], v[54:55], -v[4:5]
	v_add_f64 v[2:3], v[2:3], v[4:5]
	s_waitcnt vmcnt(12)
	v_mul_f64 v[4:5], v[158:159], v[64:65]
	v_mul_f64 v[78:79], v[156:157], v[64:65]
	s_waitcnt vmcnt(10)
	v_fma_f64 v[4:5], v[156:157], v[66:67], -v[4:5]
	v_fmac_f64_e32 v[78:79], v[158:159], v[66:67]
	v_add_f64 v[2:3], v[2:3], v[4:5]
	s_waitcnt vmcnt(8)
	v_mul_f64 v[4:5], v[162:163], v[60:61]
	v_add_f64 v[76:77], v[76:77], v[78:79]
	v_mul_f64 v[78:79], v[160:161], v[60:61]
	v_fma_f64 v[4:5], v[160:161], v[62:63], -v[4:5]
	v_fmac_f64_e32 v[78:79], v[162:163], v[62:63]
	v_add_f64 v[2:3], v[2:3], v[4:5]
	s_waitcnt vmcnt(6) lgkmcnt(0)
	v_mul_f64 v[4:5], v[40:41], v[68:69]
	v_add_f64 v[76:77], v[76:77], v[78:79]
	v_mul_f64 v[78:79], v[38:39], v[68:69]
	s_waitcnt vmcnt(4)
	v_fma_f64 v[4:5], v[38:39], v[70:71], -v[4:5]
	v_fmac_f64_e32 v[78:79], v[40:41], v[70:71]
	v_add_f64 v[2:3], v[2:3], v[4:5]
	v_add_f64 v[76:77], v[76:77], v[78:79]
	s_waitcnt vmcnt(2)
	v_add_f64 v[2:3], v[72:73], -v[2:3]
	s_waitcnt vmcnt(0)
	v_add_f64 v[4:5], v[74:75], -v[76:77]
	buffer_store_dword v3, off, s[0:3], 0 offset:228
	buffer_store_dword v2, off, s[0:3], 0 offset:224
	;; [unrolled: 1-line block ×4, first 2 shown]
	s_and_saveexec_b64 s[6:7], vcc
	s_cbranch_execz .LBB30_173
; %bb.172:
	v_accvgpr_read_b32 v5, a73
	buffer_load_dword v2, v5, s[0:3], 0 offen
	buffer_load_dword v3, v5, s[0:3], 0 offen offset:4
	buffer_load_dword v4, v5, s[0:3], 0 offen offset:8
	s_nop 0
	buffer_load_dword v5, v5, s[0:3], 0 offen offset:12
	v_mov_b32_e32 v6, 0
	buffer_store_dword v6, off, s[0:3], 0 offset:208
	buffer_store_dword v6, off, s[0:3], 0 offset:212
	;; [unrolled: 1-line block ×4, first 2 shown]
	s_waitcnt vmcnt(4)
	ds_write_b128 v1, v[2:5]
.LBB30_173:
	s_or_b64 exec, exec, s[6:7]
	s_waitcnt lgkmcnt(0)
	; wave barrier
	s_waitcnt lgkmcnt(0)
	buffer_load_dword v2, off, s[0:3], 0 offset:224
	buffer_load_dword v3, off, s[0:3], 0 offset:228
	;; [unrolled: 1-line block ×68, first 2 shown]
	v_mov_b32_e32 v108, 0
	ds_read_b128 v[104:107], v108 offset:720
	ds_read_b128 v[110:113], v108 offset:736
	buffer_load_dword v72, off, s[0:3], 0 offset:208
	buffer_load_dword v73, off, s[0:3], 0 offset:212
	;; [unrolled: 1-line block ×4, first 2 shown]
	ds_read_b128 v[114:117], v108 offset:752
	ds_read_b128 v[118:121], v108 offset:768
	;; [unrolled: 1-line block ×14, first 2 shown]
	s_waitcnt vmcnt(62) lgkmcnt(14)
	v_mul_f64 v[76:77], v[104:105], v[8:9]
	v_mul_f64 v[8:9], v[106:107], v[8:9]
	v_fmac_f64_e32 v[76:77], v[106:107], v[2:3]
	v_mul_f64 v[78:79], v[110:111], v[10:11]
	v_fma_f64 v[2:3], v[104:105], v[2:3], -v[8:9]
	v_mul_f64 v[8:9], v[112:113], v[10:11]
	v_fmac_f64_e32 v[78:79], v[112:113], v[4:5]
	v_add_f64 v[2:3], v[2:3], 0
	v_fma_f64 v[4:5], v[110:111], v[4:5], -v[8:9]
	v_add_f64 v[76:77], v[76:77], 0
	v_add_f64 v[2:3], v[2:3], v[4:5]
	s_waitcnt vmcnt(60) lgkmcnt(13)
	v_mul_f64 v[4:5], v[116:117], v[12:13]
	v_add_f64 v[76:77], v[76:77], v[78:79]
	v_mul_f64 v[78:79], v[114:115], v[12:13]
	v_fma_f64 v[4:5], v[114:115], v[6:7], -v[4:5]
	v_fmac_f64_e32 v[78:79], v[116:117], v[6:7]
	v_add_f64 v[2:3], v[2:3], v[4:5]
	s_waitcnt vmcnt(56) lgkmcnt(12)
	v_mul_f64 v[4:5], v[120:121], v[18:19]
	v_add_f64 v[76:77], v[76:77], v[78:79]
	v_mul_f64 v[78:79], v[118:119], v[18:19]
	s_waitcnt vmcnt(54)
	v_fma_f64 v[4:5], v[118:119], v[20:21], -v[4:5]
	v_fmac_f64_e32 v[78:79], v[120:121], v[20:21]
	v_add_f64 v[2:3], v[2:3], v[4:5]
	s_waitcnt vmcnt(52) lgkmcnt(11)
	v_mul_f64 v[4:5], v[124:125], v[14:15]
	v_add_f64 v[76:77], v[76:77], v[78:79]
	v_mul_f64 v[78:79], v[122:123], v[14:15]
	v_fma_f64 v[4:5], v[122:123], v[16:17], -v[4:5]
	v_fmac_f64_e32 v[78:79], v[124:125], v[16:17]
	v_add_f64 v[2:3], v[2:3], v[4:5]
	s_waitcnt vmcnt(48) lgkmcnt(10)
	v_mul_f64 v[4:5], v[128:129], v[26:27]
	v_add_f64 v[76:77], v[76:77], v[78:79]
	v_mul_f64 v[78:79], v[126:127], v[26:27]
	s_waitcnt vmcnt(46)
	v_fma_f64 v[4:5], v[126:127], v[28:29], -v[4:5]
	v_fmac_f64_e32 v[78:79], v[128:129], v[28:29]
	;; [unrolled: 15-line block ×5, first 2 shown]
	v_add_f64 v[2:3], v[2:3], v[4:5]
	s_waitcnt vmcnt(20) lgkmcnt(3)
	v_mul_f64 v[4:5], v[156:157], v[48:49]
	v_add_f64 v[76:77], v[76:77], v[78:79]
	v_mul_f64 v[78:79], v[154:155], v[48:49]
	v_fma_f64 v[4:5], v[154:155], v[50:51], -v[4:5]
	v_fmac_f64_e32 v[78:79], v[156:157], v[50:51]
	v_add_f64 v[2:3], v[2:3], v[4:5]
	s_waitcnt vmcnt(16) lgkmcnt(2)
	v_mul_f64 v[4:5], v[160:161], v[60:61]
	v_add_f64 v[76:77], v[76:77], v[78:79]
	v_mul_f64 v[78:79], v[158:159], v[60:61]
	ds_read_b128 v[170:173], v108 offset:976
	s_waitcnt vmcnt(14)
	v_fma_f64 v[4:5], v[158:159], v[62:63], -v[4:5]
	v_fmac_f64_e32 v[78:79], v[160:161], v[62:63]
	v_add_f64 v[2:3], v[2:3], v[4:5]
	s_waitcnt vmcnt(12) lgkmcnt(2)
	v_mul_f64 v[4:5], v[164:165], v[56:57]
	v_add_f64 v[76:77], v[76:77], v[78:79]
	v_mul_f64 v[78:79], v[162:163], v[56:57]
	v_fma_f64 v[4:5], v[162:163], v[58:59], -v[4:5]
	v_fmac_f64_e32 v[78:79], v[164:165], v[58:59]
	v_add_f64 v[2:3], v[2:3], v[4:5]
	s_waitcnt vmcnt(8) lgkmcnt(1)
	v_mul_f64 v[4:5], v[168:169], v[68:69]
	v_add_f64 v[76:77], v[76:77], v[78:79]
	v_mul_f64 v[78:79], v[166:167], v[68:69]
	s_waitcnt vmcnt(6)
	v_fma_f64 v[4:5], v[166:167], v[70:71], -v[4:5]
	v_fmac_f64_e32 v[78:79], v[168:169], v[70:71]
	v_add_f64 v[2:3], v[2:3], v[4:5]
	s_waitcnt vmcnt(5) lgkmcnt(0)
	v_mul_f64 v[4:5], v[172:173], v[64:65]
	v_add_f64 v[76:77], v[76:77], v[78:79]
	v_mul_f64 v[78:79], v[170:171], v[64:65]
	s_waitcnt vmcnt(4)
	v_fma_f64 v[4:5], v[170:171], v[66:67], -v[4:5]
	v_fmac_f64_e32 v[78:79], v[172:173], v[66:67]
	v_add_f64 v[2:3], v[2:3], v[4:5]
	v_add_f64 v[76:77], v[76:77], v[78:79]
	s_waitcnt vmcnt(2)
	v_add_f64 v[2:3], v[72:73], -v[2:3]
	v_cmp_lt_u32_e32 vcc, 12, v243
	s_waitcnt vmcnt(0)
	v_add_f64 v[4:5], v[74:75], -v[76:77]
	buffer_store_dword v3, off, s[0:3], 0 offset:212
	buffer_store_dword v2, off, s[0:3], 0 offset:208
	;; [unrolled: 1-line block ×4, first 2 shown]
	s_and_saveexec_b64 s[6:7], vcc
	s_cbranch_execz .LBB30_175
; %bb.174:
	v_accvgpr_read_b32 v5, a74
	buffer_load_dword v2, v5, s[0:3], 0 offen
	buffer_load_dword v3, v5, s[0:3], 0 offen offset:4
	buffer_load_dword v4, v5, s[0:3], 0 offen offset:8
	s_nop 0
	buffer_load_dword v5, v5, s[0:3], 0 offen offset:12
	s_nop 0
	buffer_store_dword v108, off, s[0:3], 0 offset:192
	buffer_store_dword v108, off, s[0:3], 0 offset:196
	;; [unrolled: 1-line block ×4, first 2 shown]
	s_waitcnt vmcnt(4)
	ds_write_b128 v1, v[2:5]
.LBB30_175:
	s_or_b64 exec, exec, s[6:7]
	s_waitcnt lgkmcnt(0)
	; wave barrier
	s_waitcnt lgkmcnt(0)
	buffer_load_dword v2, off, s[0:3], 0 offset:208
	buffer_load_dword v3, off, s[0:3], 0 offset:212
	;; [unrolled: 1-line block ×72, first 2 shown]
	ds_read_b128 v[110:113], v108 offset:704
	buffer_load_dword v72, off, s[0:3], 0 offset:192
	buffer_load_dword v73, off, s[0:3], 0 offset:196
	;; [unrolled: 1-line block ×4, first 2 shown]
	ds_read_b128 v[114:117], v108 offset:720
	ds_read_b128 v[118:121], v108 offset:736
	;; [unrolled: 1-line block ×11, first 2 shown]
	s_waitcnt vmcnt(62) lgkmcnt(11)
	v_mul_f64 v[76:77], v[110:111], v[8:9]
	v_mul_f64 v[8:9], v[112:113], v[8:9]
	v_fmac_f64_e32 v[76:77], v[112:113], v[2:3]
	v_fma_f64 v[2:3], v[110:111], v[2:3], -v[8:9]
	s_waitcnt lgkmcnt(10)
	v_mul_f64 v[78:79], v[114:115], v[10:11]
	v_mul_f64 v[8:9], v[116:117], v[10:11]
	v_fmac_f64_e32 v[78:79], v[116:117], v[4:5]
	v_add_f64 v[2:3], v[2:3], 0
	v_fma_f64 v[4:5], v[114:115], v[4:5], -v[8:9]
	v_add_f64 v[76:77], v[76:77], 0
	v_add_f64 v[2:3], v[2:3], v[4:5]
	s_waitcnt lgkmcnt(9)
	v_mul_f64 v[4:5], v[120:121], v[12:13]
	v_add_f64 v[76:77], v[76:77], v[78:79]
	v_mul_f64 v[78:79], v[118:119], v[12:13]
	v_fma_f64 v[4:5], v[118:119], v[6:7], -v[4:5]
	v_fmac_f64_e32 v[78:79], v[120:121], v[6:7]
	v_add_f64 v[2:3], v[2:3], v[4:5]
	s_waitcnt vmcnt(60) lgkmcnt(8)
	v_mul_f64 v[4:5], v[124:125], v[18:19]
	v_add_f64 v[76:77], v[76:77], v[78:79]
	v_mul_f64 v[78:79], v[122:123], v[18:19]
	s_waitcnt vmcnt(58)
	v_fma_f64 v[4:5], v[122:123], v[20:21], -v[4:5]
	v_fmac_f64_e32 v[78:79], v[124:125], v[20:21]
	v_add_f64 v[2:3], v[2:3], v[4:5]
	s_waitcnt vmcnt(56) lgkmcnt(7)
	v_mul_f64 v[4:5], v[128:129], v[14:15]
	v_add_f64 v[76:77], v[76:77], v[78:79]
	v_mul_f64 v[78:79], v[126:127], v[14:15]
	v_fma_f64 v[4:5], v[126:127], v[16:17], -v[4:5]
	v_fmac_f64_e32 v[78:79], v[128:129], v[16:17]
	v_add_f64 v[2:3], v[2:3], v[4:5]
	s_waitcnt vmcnt(52) lgkmcnt(6)
	v_mul_f64 v[4:5], v[132:133], v[26:27]
	v_add_f64 v[76:77], v[76:77], v[78:79]
	v_mul_f64 v[78:79], v[130:131], v[26:27]
	s_waitcnt vmcnt(50)
	v_fma_f64 v[4:5], v[130:131], v[28:29], -v[4:5]
	v_fmac_f64_e32 v[78:79], v[132:133], v[28:29]
	v_add_f64 v[2:3], v[2:3], v[4:5]
	s_waitcnt vmcnt(48) lgkmcnt(5)
	v_mul_f64 v[4:5], v[136:137], v[22:23]
	v_add_f64 v[76:77], v[76:77], v[78:79]
	v_mul_f64 v[78:79], v[134:135], v[22:23]
	v_fma_f64 v[4:5], v[134:135], v[24:25], -v[4:5]
	v_fmac_f64_e32 v[78:79], v[136:137], v[24:25]
	v_add_f64 v[2:3], v[2:3], v[4:5]
	s_waitcnt vmcnt(44) lgkmcnt(4)
	v_mul_f64 v[4:5], v[140:141], v[34:35]
	v_add_f64 v[76:77], v[76:77], v[78:79]
	v_mul_f64 v[78:79], v[138:139], v[34:35]
	s_waitcnt vmcnt(42)
	v_fma_f64 v[4:5], v[138:139], v[36:37], -v[4:5]
	v_fmac_f64_e32 v[78:79], v[140:141], v[36:37]
	v_add_f64 v[2:3], v[2:3], v[4:5]
	s_waitcnt vmcnt(40) lgkmcnt(3)
	v_mul_f64 v[4:5], v[144:145], v[30:31]
	v_add_f64 v[76:77], v[76:77], v[78:79]
	v_mul_f64 v[78:79], v[142:143], v[30:31]
	v_fma_f64 v[4:5], v[142:143], v[32:33], -v[4:5]
	v_fmac_f64_e32 v[78:79], v[144:145], v[32:33]
	v_add_f64 v[2:3], v[2:3], v[4:5]
	s_waitcnt vmcnt(36) lgkmcnt(2)
	v_mul_f64 v[4:5], v[148:149], v[104:105]
	v_add_f64 v[76:77], v[76:77], v[78:79]
	v_mul_f64 v[78:79], v[146:147], v[104:105]
	ds_read_b128 v[158:161], v108 offset:896
	ds_read_b128 v[162:165], v108 offset:912
	s_waitcnt vmcnt(34)
	v_fma_f64 v[4:5], v[146:147], v[106:107], -v[4:5]
	v_fmac_f64_e32 v[78:79], v[148:149], v[106:107]
	v_add_f64 v[2:3], v[2:3], v[4:5]
	s_waitcnt vmcnt(32) lgkmcnt(3)
	v_mul_f64 v[4:5], v[152:153], v[38:39]
	v_add_f64 v[76:77], v[76:77], v[78:79]
	v_mul_f64 v[78:79], v[150:151], v[38:39]
	v_fma_f64 v[4:5], v[150:151], v[40:41], -v[4:5]
	v_fmac_f64_e32 v[78:79], v[152:153], v[40:41]
	v_add_f64 v[2:3], v[2:3], v[4:5]
	s_waitcnt vmcnt(28) lgkmcnt(2)
	v_mul_f64 v[4:5], v[156:157], v[48:49]
	v_add_f64 v[76:77], v[76:77], v[78:79]
	v_mul_f64 v[78:79], v[154:155], v[48:49]
	ds_read_b128 v[166:169], v108 offset:928
	ds_read_b128 v[170:173], v108 offset:944
	s_waitcnt vmcnt(26)
	v_fma_f64 v[4:5], v[154:155], v[50:51], -v[4:5]
	v_fmac_f64_e32 v[78:79], v[156:157], v[50:51]
	v_add_f64 v[2:3], v[2:3], v[4:5]
	s_waitcnt vmcnt(24) lgkmcnt(3)
	;; [unrolled: 17-line block ×3, first 2 shown]
	v_mul_f64 v[4:5], v[168:169], v[52:53]
	v_add_f64 v[76:77], v[76:77], v[78:79]
	v_mul_f64 v[78:79], v[166:167], v[52:53]
	v_fma_f64 v[4:5], v[166:167], v[54:55], -v[4:5]
	v_fmac_f64_e32 v[78:79], v[168:169], v[54:55]
	v_add_f64 v[2:3], v[2:3], v[4:5]
	s_waitcnt vmcnt(12) lgkmcnt(2)
	v_mul_f64 v[4:5], v[172:173], v[64:65]
	v_add_f64 v[76:77], v[76:77], v[78:79]
	v_mul_f64 v[78:79], v[170:171], v[64:65]
	s_waitcnt vmcnt(10)
	v_fma_f64 v[4:5], v[170:171], v[66:67], -v[4:5]
	v_fmac_f64_e32 v[78:79], v[172:173], v[66:67]
	v_add_f64 v[2:3], v[2:3], v[4:5]
	s_waitcnt vmcnt(8) lgkmcnt(1)
	v_mul_f64 v[4:5], v[176:177], v[60:61]
	v_add_f64 v[76:77], v[76:77], v[78:79]
	v_mul_f64 v[78:79], v[174:175], v[60:61]
	v_fma_f64 v[4:5], v[174:175], v[62:63], -v[4:5]
	v_fmac_f64_e32 v[78:79], v[176:177], v[62:63]
	v_add_f64 v[2:3], v[2:3], v[4:5]
	s_waitcnt vmcnt(6) lgkmcnt(0)
	v_mul_f64 v[4:5], v[180:181], v[68:69]
	v_add_f64 v[76:77], v[76:77], v[78:79]
	v_mul_f64 v[78:79], v[178:179], v[68:69]
	s_waitcnt vmcnt(4)
	v_fma_f64 v[4:5], v[178:179], v[70:71], -v[4:5]
	v_fmac_f64_e32 v[78:79], v[180:181], v[70:71]
	v_add_f64 v[2:3], v[2:3], v[4:5]
	v_add_f64 v[76:77], v[76:77], v[78:79]
	s_waitcnt vmcnt(2)
	v_add_f64 v[2:3], v[72:73], -v[2:3]
	v_cmp_lt_u32_e32 vcc, 11, v243
	s_waitcnt vmcnt(0)
	v_add_f64 v[4:5], v[74:75], -v[76:77]
	buffer_store_dword v3, off, s[0:3], 0 offset:196
	buffer_store_dword v2, off, s[0:3], 0 offset:192
	;; [unrolled: 1-line block ×4, first 2 shown]
	s_and_saveexec_b64 s[6:7], vcc
	s_cbranch_execz .LBB30_177
; %bb.176:
	v_accvgpr_read_b32 v5, a75
	buffer_load_dword v2, v5, s[0:3], 0 offen
	buffer_load_dword v3, v5, s[0:3], 0 offen offset:4
	buffer_load_dword v4, v5, s[0:3], 0 offen offset:8
	s_nop 0
	buffer_load_dword v5, v5, s[0:3], 0 offen offset:12
	v_mov_b32_e32 v6, 0
	buffer_store_dword v6, off, s[0:3], 0 offset:176
	buffer_store_dword v6, off, s[0:3], 0 offset:180
	;; [unrolled: 1-line block ×4, first 2 shown]
	s_waitcnt vmcnt(4)
	ds_write_b128 v1, v[2:5]
.LBB30_177:
	s_or_b64 exec, exec, s[6:7]
	s_waitcnt lgkmcnt(0)
	; wave barrier
	s_waitcnt lgkmcnt(0)
	buffer_load_dword v2, off, s[0:3], 0 offset:192
	buffer_load_dword v3, off, s[0:3], 0 offset:196
	buffer_load_dword v8, off, s[0:3], 0 offset:200
	buffer_load_dword v9, off, s[0:3], 0 offset:204
	buffer_load_dword v4, off, s[0:3], 0 offset:208
	buffer_load_dword v5, off, s[0:3], 0 offset:212
	buffer_load_dword v10, off, s[0:3], 0 offset:216
	buffer_load_dword v11, off, s[0:3], 0 offset:220
	buffer_load_dword v6, off, s[0:3], 0 offset:224
	buffer_load_dword v7, off, s[0:3], 0 offset:228
	buffer_load_dword v12, off, s[0:3], 0 offset:232
	buffer_load_dword v13, off, s[0:3], 0 offset:236
	buffer_load_dword v15, off, s[0:3], 0 offset:268
	buffer_load_dword v17, off, s[0:3], 0 offset:260
	buffer_load_dword v19, off, s[0:3], 0 offset:252
	buffer_load_dword v18, off, s[0:3], 0 offset:248
	buffer_load_dword v21, off, s[0:3], 0 offset:244
	buffer_load_dword v20, off, s[0:3], 0 offset:240
	buffer_load_dword v14, off, s[0:3], 0 offset:264
	buffer_load_dword v16, off, s[0:3], 0 offset:256
	buffer_load_dword v23, off, s[0:3], 0 offset:300
	buffer_load_dword v25, off, s[0:3], 0 offset:292
	buffer_load_dword v27, off, s[0:3], 0 offset:284
	buffer_load_dword v26, off, s[0:3], 0 offset:280
	buffer_load_dword v29, off, s[0:3], 0 offset:276
	buffer_load_dword v28, off, s[0:3], 0 offset:272
	buffer_load_dword v22, off, s[0:3], 0 offset:296
	buffer_load_dword v24, off, s[0:3], 0 offset:288
	buffer_load_dword v31, off, s[0:3], 0 offset:332
	buffer_load_dword v33, off, s[0:3], 0 offset:324
	buffer_load_dword v35, off, s[0:3], 0 offset:316
	buffer_load_dword v34, off, s[0:3], 0 offset:312
	buffer_load_dword v37, off, s[0:3], 0 offset:308
	buffer_load_dword v36, off, s[0:3], 0 offset:304
	buffer_load_dword v30, off, s[0:3], 0 offset:328
	buffer_load_dword v32, off, s[0:3], 0 offset:320
	buffer_load_dword v39, off, s[0:3], 0 offset:364
	buffer_load_dword v41, off, s[0:3], 0 offset:356
	buffer_load_dword v105, off, s[0:3], 0 offset:348
	buffer_load_dword v104, off, s[0:3], 0 offset:344
	buffer_load_dword v107, off, s[0:3], 0 offset:340
	buffer_load_dword v106, off, s[0:3], 0 offset:336
	buffer_load_dword v38, off, s[0:3], 0 offset:360
	buffer_load_dword v40, off, s[0:3], 0 offset:352
	buffer_load_dword v109, off, s[0:3], 0 offset:396
	buffer_load_dword v111, off, s[0:3], 0 offset:388
	buffer_load_dword v113, off, s[0:3], 0 offset:380
	buffer_load_dword v112, off, s[0:3], 0 offset:376
	buffer_load_dword v115, off, s[0:3], 0 offset:372
	buffer_load_dword v114, off, s[0:3], 0 offset:368
	buffer_load_dword v108, off, s[0:3], 0 offset:392
	buffer_load_dword v110, off, s[0:3], 0 offset:384
	buffer_load_dword v45, off, s[0:3], 0 offset:428
	buffer_load_dword v47, off, s[0:3], 0 offset:420
	buffer_load_dword v49, off, s[0:3], 0 offset:412
	buffer_load_dword v48, off, s[0:3], 0 offset:408
	buffer_load_dword v51, off, s[0:3], 0 offset:404
	buffer_load_dword v50, off, s[0:3], 0 offset:400
	buffer_load_dword v44, off, s[0:3], 0 offset:424
	buffer_load_dword v46, off, s[0:3], 0 offset:416
	buffer_load_dword v53, off, s[0:3], 0 offset:460
	buffer_load_dword v55, off, s[0:3], 0 offset:452
	buffer_load_dword v57, off, s[0:3], 0 offset:444
	buffer_load_dword v56, off, s[0:3], 0 offset:440
	buffer_load_dword v59, off, s[0:3], 0 offset:436
	buffer_load_dword v58, off, s[0:3], 0 offset:432
	buffer_load_dword v52, off, s[0:3], 0 offset:456
	buffer_load_dword v54, off, s[0:3], 0 offset:448
	buffer_load_dword v61, off, s[0:3], 0 offset:492
	buffer_load_dword v63, off, s[0:3], 0 offset:484
	buffer_load_dword v65, off, s[0:3], 0 offset:476
	buffer_load_dword v64, off, s[0:3], 0 offset:472
	buffer_load_dword v67, off, s[0:3], 0 offset:468
	buffer_load_dword v66, off, s[0:3], 0 offset:464
	buffer_load_dword v60, off, s[0:3], 0 offset:488
	buffer_load_dword v62, off, s[0:3], 0 offset:480
	v_mov_b32_e32 v116, 0
	ds_read_b128 v[118:121], v116 offset:688
	buffer_load_dword v68, off, s[0:3], 0 offset:176
	buffer_load_dword v69, off, s[0:3], 0 offset:180
	;; [unrolled: 1-line block ×4, first 2 shown]
	ds_read_b128 v[122:125], v116 offset:704
	ds_read_b128 v[126:129], v116 offset:720
	;; [unrolled: 1-line block ×7, first 2 shown]
	s_waitcnt vmcnt(62) lgkmcnt(7)
	v_mul_f64 v[72:73], v[118:119], v[8:9]
	v_mul_f64 v[8:9], v[120:121], v[8:9]
	v_fmac_f64_e32 v[72:73], v[120:121], v[2:3]
	s_waitcnt lgkmcnt(6)
	v_mul_f64 v[74:75], v[122:123], v[10:11]
	v_fma_f64 v[2:3], v[118:119], v[2:3], -v[8:9]
	v_mul_f64 v[8:9], v[124:125], v[10:11]
	v_fmac_f64_e32 v[74:75], v[124:125], v[4:5]
	v_add_f64 v[2:3], v[2:3], 0
	v_fma_f64 v[4:5], v[122:123], v[4:5], -v[8:9]
	v_add_f64 v[72:73], v[72:73], 0
	v_add_f64 v[2:3], v[2:3], v[4:5]
	s_waitcnt lgkmcnt(5)
	v_mul_f64 v[4:5], v[128:129], v[12:13]
	v_add_f64 v[72:73], v[72:73], v[74:75]
	v_mul_f64 v[74:75], v[126:127], v[12:13]
	v_fma_f64 v[4:5], v[126:127], v[6:7], -v[4:5]
	v_fmac_f64_e32 v[74:75], v[128:129], v[6:7]
	v_add_f64 v[2:3], v[2:3], v[4:5]
	s_waitcnt lgkmcnt(4)
	v_mul_f64 v[4:5], v[132:133], v[18:19]
	v_add_f64 v[72:73], v[72:73], v[74:75]
	v_mul_f64 v[74:75], v[130:131], v[18:19]
	v_fma_f64 v[4:5], v[130:131], v[20:21], -v[4:5]
	v_fmac_f64_e32 v[74:75], v[132:133], v[20:21]
	v_add_f64 v[2:3], v[2:3], v[4:5]
	s_waitcnt vmcnt(61) lgkmcnt(3)
	v_mul_f64 v[4:5], v[136:137], v[14:15]
	v_add_f64 v[72:73], v[72:73], v[74:75]
	v_mul_f64 v[74:75], v[134:135], v[14:15]
	s_waitcnt vmcnt(60)
	v_fma_f64 v[4:5], v[134:135], v[16:17], -v[4:5]
	v_fmac_f64_e32 v[74:75], v[136:137], v[16:17]
	v_add_f64 v[2:3], v[2:3], v[4:5]
	s_waitcnt vmcnt(56) lgkmcnt(2)
	v_mul_f64 v[4:5], v[140:141], v[26:27]
	v_add_f64 v[72:73], v[72:73], v[74:75]
	v_mul_f64 v[74:75], v[138:139], v[26:27]
	ds_read_b128 v[150:153], v116 offset:816
	ds_read_b128 v[154:157], v116 offset:832
	s_waitcnt vmcnt(54)
	v_fma_f64 v[4:5], v[138:139], v[28:29], -v[4:5]
	v_fmac_f64_e32 v[74:75], v[140:141], v[28:29]
	v_add_f64 v[2:3], v[2:3], v[4:5]
	s_waitcnt vmcnt(53) lgkmcnt(3)
	v_mul_f64 v[4:5], v[144:145], v[22:23]
	v_add_f64 v[72:73], v[72:73], v[74:75]
	v_mul_f64 v[74:75], v[142:143], v[22:23]
	s_waitcnt vmcnt(52)
	v_fma_f64 v[4:5], v[142:143], v[24:25], -v[4:5]
	v_fmac_f64_e32 v[74:75], v[144:145], v[24:25]
	v_add_f64 v[2:3], v[2:3], v[4:5]
	s_waitcnt vmcnt(48) lgkmcnt(2)
	v_mul_f64 v[4:5], v[148:149], v[34:35]
	v_add_f64 v[72:73], v[72:73], v[74:75]
	v_mul_f64 v[74:75], v[146:147], v[34:35]
	ds_read_b128 v[158:161], v116 offset:848
	ds_read_b128 v[162:165], v116 offset:864
	s_waitcnt vmcnt(46)
	;; [unrolled: 18-line block ×5, first 2 shown]
	v_fma_f64 v[4:5], v[170:171], v[50:51], -v[4:5]
	v_fmac_f64_e32 v[74:75], v[172:173], v[50:51]
	v_add_f64 v[2:3], v[2:3], v[4:5]
	s_waitcnt vmcnt(21) lgkmcnt(3)
	v_mul_f64 v[4:5], v[176:177], v[44:45]
	v_add_f64 v[72:73], v[72:73], v[74:75]
	v_mul_f64 v[74:75], v[174:175], v[44:45]
	s_waitcnt vmcnt(20)
	v_fma_f64 v[4:5], v[174:175], v[46:47], -v[4:5]
	v_fmac_f64_e32 v[74:75], v[176:177], v[46:47]
	v_add_f64 v[2:3], v[2:3], v[4:5]
	s_waitcnt vmcnt(16) lgkmcnt(2)
	v_mul_f64 v[4:5], v[180:181], v[56:57]
	v_add_f64 v[72:73], v[72:73], v[74:75]
	v_mul_f64 v[74:75], v[178:179], v[56:57]
	ds_read_b128 v[190:193], v116 offset:976
	s_waitcnt vmcnt(14)
	v_fma_f64 v[4:5], v[178:179], v[58:59], -v[4:5]
	v_fmac_f64_e32 v[74:75], v[180:181], v[58:59]
	v_add_f64 v[2:3], v[2:3], v[4:5]
	s_waitcnt vmcnt(13) lgkmcnt(2)
	v_mul_f64 v[4:5], v[184:185], v[52:53]
	v_add_f64 v[72:73], v[72:73], v[74:75]
	v_mul_f64 v[74:75], v[182:183], v[52:53]
	s_waitcnt vmcnt(12)
	v_fma_f64 v[4:5], v[182:183], v[54:55], -v[4:5]
	v_fmac_f64_e32 v[74:75], v[184:185], v[54:55]
	v_add_f64 v[2:3], v[2:3], v[4:5]
	s_waitcnt vmcnt(8) lgkmcnt(1)
	v_mul_f64 v[4:5], v[188:189], v[64:65]
	v_add_f64 v[72:73], v[72:73], v[74:75]
	v_mul_f64 v[74:75], v[186:187], v[64:65]
	;; [unrolled: 8-line block ×3, first 2 shown]
	s_waitcnt vmcnt(4)
	v_fma_f64 v[4:5], v[190:191], v[62:63], -v[4:5]
	v_fmac_f64_e32 v[74:75], v[192:193], v[62:63]
	v_add_f64 v[2:3], v[2:3], v[4:5]
	v_add_f64 v[72:73], v[72:73], v[74:75]
	s_waitcnt vmcnt(2)
	v_add_f64 v[2:3], v[68:69], -v[2:3]
	v_cmp_lt_u32_e32 vcc, 10, v243
	s_waitcnt vmcnt(0)
	v_add_f64 v[4:5], v[70:71], -v[72:73]
	buffer_store_dword v3, off, s[0:3], 0 offset:180
	buffer_store_dword v2, off, s[0:3], 0 offset:176
	;; [unrolled: 1-line block ×4, first 2 shown]
	s_and_saveexec_b64 s[6:7], vcc
	s_cbranch_execz .LBB30_179
; %bb.178:
	v_accvgpr_read_b32 v5, a76
	buffer_load_dword v2, v5, s[0:3], 0 offen
	buffer_load_dword v3, v5, s[0:3], 0 offen offset:4
	buffer_load_dword v4, v5, s[0:3], 0 offen offset:8
	s_nop 0
	buffer_load_dword v5, v5, s[0:3], 0 offen offset:12
	s_nop 0
	buffer_store_dword v116, off, s[0:3], 0 offset:160
	buffer_store_dword v116, off, s[0:3], 0 offset:164
	;; [unrolled: 1-line block ×4, first 2 shown]
	s_waitcnt vmcnt(4)
	ds_write_b128 v1, v[2:5]
.LBB30_179:
	s_or_b64 exec, exec, s[6:7]
	s_waitcnt lgkmcnt(0)
	; wave barrier
	s_waitcnt lgkmcnt(0)
	buffer_load_dword v2, off, s[0:3], 0 offset:176
	buffer_load_dword v3, off, s[0:3], 0 offset:180
	;; [unrolled: 1-line block ×76, first 2 shown]
	ds_read_b128 v[118:121], v116 offset:672
	buffer_load_dword v69, off, s[0:3], 0 offset:492
	buffer_load_dword v68, off, s[0:3], 0 offset:488
	;; [unrolled: 1-line block ×8, first 2 shown]
	ds_read_b128 v[122:125], v116 offset:688
	ds_read_b128 v[126:129], v116 offset:704
	;; [unrolled: 1-line block ×7, first 2 shown]
	s_waitcnt vmcnt(62) lgkmcnt(7)
	v_mul_f64 v[76:77], v[118:119], v[8:9]
	v_mul_f64 v[8:9], v[120:121], v[8:9]
	v_fmac_f64_e32 v[76:77], v[120:121], v[2:3]
	v_fma_f64 v[2:3], v[118:119], v[2:3], -v[8:9]
	s_waitcnt lgkmcnt(6)
	v_mul_f64 v[78:79], v[122:123], v[10:11]
	v_mul_f64 v[8:9], v[124:125], v[10:11]
	v_fmac_f64_e32 v[78:79], v[124:125], v[4:5]
	v_add_f64 v[2:3], v[2:3], 0
	v_fma_f64 v[4:5], v[122:123], v[4:5], -v[8:9]
	v_add_f64 v[76:77], v[76:77], 0
	v_add_f64 v[2:3], v[2:3], v[4:5]
	s_waitcnt lgkmcnt(5)
	v_mul_f64 v[4:5], v[128:129], v[12:13]
	v_add_f64 v[76:77], v[76:77], v[78:79]
	v_mul_f64 v[78:79], v[126:127], v[12:13]
	v_fma_f64 v[4:5], v[126:127], v[6:7], -v[4:5]
	v_fmac_f64_e32 v[78:79], v[128:129], v[6:7]
	v_add_f64 v[2:3], v[2:3], v[4:5]
	s_waitcnt lgkmcnt(4)
	v_mul_f64 v[4:5], v[132:133], v[18:19]
	v_add_f64 v[76:77], v[76:77], v[78:79]
	v_mul_f64 v[78:79], v[130:131], v[18:19]
	v_fma_f64 v[4:5], v[130:131], v[20:21], -v[4:5]
	v_fmac_f64_e32 v[78:79], v[132:133], v[20:21]
	v_add_f64 v[2:3], v[2:3], v[4:5]
	s_waitcnt lgkmcnt(3)
	v_mul_f64 v[4:5], v[136:137], v[14:15]
	v_add_f64 v[76:77], v[76:77], v[78:79]
	v_mul_f64 v[78:79], v[134:135], v[14:15]
	v_fma_f64 v[4:5], v[134:135], v[16:17], -v[4:5]
	v_fmac_f64_e32 v[78:79], v[136:137], v[16:17]
	v_add_f64 v[2:3], v[2:3], v[4:5]
	s_waitcnt vmcnt(58) lgkmcnt(2)
	v_mul_f64 v[4:5], v[140:141], v[26:27]
	v_add_f64 v[76:77], v[76:77], v[78:79]
	v_mul_f64 v[78:79], v[138:139], v[26:27]
	ds_read_b128 v[150:153], v116 offset:800
	ds_read_b128 v[154:157], v116 offset:816
	s_waitcnt vmcnt(56)
	v_fma_f64 v[4:5], v[138:139], v[28:29], -v[4:5]
	v_fmac_f64_e32 v[78:79], v[140:141], v[28:29]
	v_add_f64 v[2:3], v[2:3], v[4:5]
	s_waitcnt lgkmcnt(3)
	v_mul_f64 v[4:5], v[144:145], v[22:23]
	v_add_f64 v[76:77], v[76:77], v[78:79]
	v_mul_f64 v[78:79], v[142:143], v[22:23]
	v_fma_f64 v[4:5], v[142:143], v[24:25], -v[4:5]
	v_fmac_f64_e32 v[78:79], v[144:145], v[24:25]
	v_add_f64 v[2:3], v[2:3], v[4:5]
	s_waitcnt vmcnt(50) lgkmcnt(2)
	v_mul_f64 v[4:5], v[148:149], v[34:35]
	v_add_f64 v[76:77], v[76:77], v[78:79]
	v_mul_f64 v[78:79], v[146:147], v[34:35]
	ds_read_b128 v[158:161], v116 offset:832
	ds_read_b128 v[162:165], v116 offset:848
	s_waitcnt vmcnt(48)
	v_fma_f64 v[4:5], v[146:147], v[36:37], -v[4:5]
	v_fmac_f64_e32 v[78:79], v[148:149], v[36:37]
	v_add_f64 v[2:3], v[2:3], v[4:5]
	s_waitcnt lgkmcnt(3)
	v_mul_f64 v[4:5], v[152:153], v[30:31]
	v_add_f64 v[76:77], v[76:77], v[78:79]
	v_mul_f64 v[78:79], v[150:151], v[30:31]
	v_fma_f64 v[4:5], v[150:151], v[32:33], -v[4:5]
	v_fmac_f64_e32 v[78:79], v[152:153], v[32:33]
	;; [unrolled: 17-line block ×6, first 2 shown]
	v_add_f64 v[2:3], v[2:3], v[4:5]
	s_waitcnt vmcnt(10) lgkmcnt(2)
	v_mul_f64 v[4:5], v[188:189], v[64:65]
	v_add_f64 v[76:77], v[76:77], v[78:79]
	v_mul_f64 v[78:79], v[186:187], v[64:65]
	s_waitcnt vmcnt(8)
	v_fma_f64 v[4:5], v[186:187], v[66:67], -v[4:5]
	v_fmac_f64_e32 v[78:79], v[188:189], v[66:67]
	v_add_f64 v[2:3], v[2:3], v[4:5]
	s_waitcnt lgkmcnt(1)
	v_mul_f64 v[4:5], v[192:193], v[60:61]
	v_add_f64 v[76:77], v[76:77], v[78:79]
	v_mul_f64 v[78:79], v[190:191], v[60:61]
	v_fma_f64 v[4:5], v[190:191], v[62:63], -v[4:5]
	v_fmac_f64_e32 v[78:79], v[192:193], v[62:63]
	v_add_f64 v[2:3], v[2:3], v[4:5]
	s_waitcnt vmcnt(6) lgkmcnt(0)
	v_mul_f64 v[4:5], v[196:197], v[68:69]
	v_add_f64 v[76:77], v[76:77], v[78:79]
	v_mul_f64 v[78:79], v[194:195], v[68:69]
	s_waitcnt vmcnt(4)
	v_fma_f64 v[4:5], v[194:195], v[70:71], -v[4:5]
	v_fmac_f64_e32 v[78:79], v[196:197], v[70:71]
	v_add_f64 v[2:3], v[2:3], v[4:5]
	v_add_f64 v[76:77], v[76:77], v[78:79]
	s_waitcnt vmcnt(2)
	v_add_f64 v[2:3], v[72:73], -v[2:3]
	v_cmp_lt_u32_e32 vcc, 9, v243
	s_waitcnt vmcnt(0)
	v_add_f64 v[4:5], v[74:75], -v[76:77]
	buffer_store_dword v3, off, s[0:3], 0 offset:164
	buffer_store_dword v2, off, s[0:3], 0 offset:160
	;; [unrolled: 1-line block ×4, first 2 shown]
	s_and_saveexec_b64 s[6:7], vcc
	s_cbranch_execz .LBB30_181
; %bb.180:
	v_accvgpr_read_b32 v5, a77
	buffer_load_dword v2, v5, s[0:3], 0 offen
	buffer_load_dword v3, v5, s[0:3], 0 offen offset:4
	buffer_load_dword v4, v5, s[0:3], 0 offen offset:8
	s_nop 0
	buffer_load_dword v5, v5, s[0:3], 0 offen offset:12
	v_mov_b32_e32 v6, 0
	buffer_store_dword v6, off, s[0:3], 0 offset:144
	buffer_store_dword v6, off, s[0:3], 0 offset:148
	;; [unrolled: 1-line block ×4, first 2 shown]
	s_waitcnt vmcnt(4)
	ds_write_b128 v1, v[2:5]
.LBB30_181:
	s_or_b64 exec, exec, s[6:7]
	s_waitcnt lgkmcnt(0)
	; wave barrier
	s_waitcnt lgkmcnt(0)
	buffer_load_dword v4, off, s[0:3], 0 offset:144
	buffer_load_dword v5, off, s[0:3], 0 offset:148
	;; [unrolled: 1-line block ×84, first 2 shown]
	v_mov_b32_e32 v148, 0
	ds_read_b128 v[128:131], v148 offset:656
	buffer_load_dword v65, off, s[0:3], 0 offset:492
	buffer_load_dword v64, off, s[0:3], 0 offset:488
	;; [unrolled: 1-line block ×4, first 2 shown]
	ds_read_b128 v[132:135], v148 offset:672
	ds_read_b128 v[136:139], v148 offset:688
	;; [unrolled: 1-line block ×5, first 2 shown]
	s_waitcnt vmcnt(62) lgkmcnt(5)
	v_mul_f64 v[68:69], v[128:129], v[12:13]
	v_mul_f64 v[12:13], v[130:131], v[12:13]
	v_fmac_f64_e32 v[68:69], v[130:131], v[6:7]
	s_waitcnt lgkmcnt(4)
	v_mul_f64 v[70:71], v[132:133], v[14:15]
	v_fma_f64 v[6:7], v[128:129], v[6:7], -v[12:13]
	v_mul_f64 v[12:13], v[134:135], v[14:15]
	v_fmac_f64_e32 v[70:71], v[134:135], v[8:9]
	v_add_f64 v[6:7], v[6:7], 0
	v_fma_f64 v[8:9], v[132:133], v[8:9], -v[12:13]
	v_add_f64 v[68:69], v[68:69], 0
	v_add_f64 v[6:7], v[6:7], v[8:9]
	s_waitcnt lgkmcnt(3)
	v_mul_f64 v[8:9], v[138:139], v[16:17]
	v_add_f64 v[68:69], v[68:69], v[70:71]
	v_mul_f64 v[70:71], v[136:137], v[16:17]
	v_fma_f64 v[8:9], v[136:137], v[10:11], -v[8:9]
	v_fmac_f64_e32 v[70:71], v[138:139], v[10:11]
	v_add_f64 v[6:7], v[6:7], v[8:9]
	s_waitcnt lgkmcnt(2)
	v_mul_f64 v[8:9], v[142:143], v[22:23]
	v_add_f64 v[68:69], v[68:69], v[70:71]
	v_mul_f64 v[70:71], v[140:141], v[22:23]
	ds_read_b128 v[154:157], v148 offset:752
	ds_read_b128 v[158:161], v148 offset:768
	v_fma_f64 v[8:9], v[140:141], v[24:25], -v[8:9]
	v_fmac_f64_e32 v[70:71], v[142:143], v[24:25]
	v_add_f64 v[6:7], v[6:7], v[8:9]
	s_waitcnt lgkmcnt(3)
	v_mul_f64 v[8:9], v[146:147], v[18:19]
	v_add_f64 v[68:69], v[68:69], v[70:71]
	v_mul_f64 v[70:71], v[144:145], v[18:19]
	v_fma_f64 v[8:9], v[144:145], v[20:21], -v[8:9]
	v_fmac_f64_e32 v[70:71], v[146:147], v[20:21]
	v_add_f64 v[6:7], v[6:7], v[8:9]
	s_waitcnt vmcnt(58) lgkmcnt(2)
	v_mul_f64 v[8:9], v[152:153], v[30:31]
	v_add_f64 v[68:69], v[68:69], v[70:71]
	v_mul_f64 v[70:71], v[150:151], v[30:31]
	ds_read_b128 v[162:165], v148 offset:784
	ds_read_b128 v[166:169], v148 offset:800
	s_waitcnt vmcnt(56)
	v_fma_f64 v[8:9], v[150:151], v[32:33], -v[8:9]
	v_fmac_f64_e32 v[70:71], v[152:153], v[32:33]
	v_add_f64 v[6:7], v[6:7], v[8:9]
	s_waitcnt lgkmcnt(3)
	v_mul_f64 v[8:9], v[156:157], v[26:27]
	v_add_f64 v[68:69], v[68:69], v[70:71]
	v_mul_f64 v[70:71], v[154:155], v[26:27]
	v_fma_f64 v[8:9], v[154:155], v[28:29], -v[8:9]
	v_fmac_f64_e32 v[70:71], v[156:157], v[28:29]
	v_add_f64 v[6:7], v[6:7], v[8:9]
	s_waitcnt vmcnt(50) lgkmcnt(2)
	v_mul_f64 v[8:9], v[160:161], v[38:39]
	v_add_f64 v[68:69], v[68:69], v[70:71]
	v_mul_f64 v[70:71], v[158:159], v[38:39]
	ds_read_b128 v[170:173], v148 offset:816
	ds_read_b128 v[174:177], v148 offset:832
	s_waitcnt vmcnt(48)
	v_fma_f64 v[8:9], v[158:159], v[40:41], -v[8:9]
	v_fmac_f64_e32 v[70:71], v[160:161], v[40:41]
	v_add_f64 v[6:7], v[6:7], v[8:9]
	s_waitcnt lgkmcnt(3)
	v_mul_f64 v[8:9], v[164:165], v[34:35]
	v_add_f64 v[68:69], v[68:69], v[70:71]
	v_mul_f64 v[70:71], v[162:163], v[34:35]
	v_fma_f64 v[8:9], v[162:163], v[36:37], -v[8:9]
	v_fmac_f64_e32 v[70:71], v[164:165], v[36:37]
	v_add_f64 v[6:7], v[6:7], v[8:9]
	s_waitcnt vmcnt(42) lgkmcnt(2)
	v_mul_f64 v[8:9], v[168:169], v[108:109]
	v_add_f64 v[68:69], v[68:69], v[70:71]
	v_mul_f64 v[70:71], v[166:167], v[108:109]
	ds_read_b128 v[178:181], v148 offset:848
	ds_read_b128 v[182:185], v148 offset:864
	s_waitcnt vmcnt(40)
	v_fma_f64 v[8:9], v[166:167], v[110:111], -v[8:9]
	v_fmac_f64_e32 v[70:71], v[168:169], v[110:111]
	v_add_f64 v[6:7], v[6:7], v[8:9]
	s_waitcnt lgkmcnt(3)
	v_mul_f64 v[8:9], v[172:173], v[104:105]
	v_add_f64 v[68:69], v[68:69], v[70:71]
	v_mul_f64 v[70:71], v[170:171], v[104:105]
	v_fma_f64 v[8:9], v[170:171], v[106:107], -v[8:9]
	v_fmac_f64_e32 v[70:71], v[172:173], v[106:107]
	v_add_f64 v[6:7], v[6:7], v[8:9]
	s_waitcnt vmcnt(34) lgkmcnt(2)
	v_mul_f64 v[8:9], v[176:177], v[116:117]
	v_add_f64 v[68:69], v[68:69], v[70:71]
	v_mul_f64 v[70:71], v[174:175], v[116:117]
	ds_read_b128 v[186:189], v148 offset:880
	ds_read_b128 v[190:193], v148 offset:896
	s_waitcnt vmcnt(32)
	v_fma_f64 v[8:9], v[174:175], v[118:119], -v[8:9]
	v_fmac_f64_e32 v[70:71], v[176:177], v[118:119]
	v_add_f64 v[6:7], v[6:7], v[8:9]
	s_waitcnt lgkmcnt(3)
	v_mul_f64 v[8:9], v[180:181], v[112:113]
	v_add_f64 v[68:69], v[68:69], v[70:71]
	v_mul_f64 v[70:71], v[178:179], v[112:113]
	v_fma_f64 v[8:9], v[178:179], v[114:115], -v[8:9]
	v_fmac_f64_e32 v[70:71], v[180:181], v[114:115]
	v_add_f64 v[6:7], v[6:7], v[8:9]
	s_waitcnt vmcnt(26) lgkmcnt(2)
	v_mul_f64 v[8:9], v[184:185], v[124:125]
	v_add_f64 v[68:69], v[68:69], v[70:71]
	v_mul_f64 v[70:71], v[182:183], v[124:125]
	ds_read_b128 v[194:197], v148 offset:912
	ds_read_b128 v[198:201], v148 offset:928
	s_waitcnt vmcnt(24)
	v_fma_f64 v[8:9], v[182:183], v[126:127], -v[8:9]
	v_fmac_f64_e32 v[70:71], v[184:185], v[126:127]
	v_add_f64 v[6:7], v[6:7], v[8:9]
	s_waitcnt lgkmcnt(3)
	v_mul_f64 v[8:9], v[188:189], v[120:121]
	v_add_f64 v[68:69], v[68:69], v[70:71]
	v_mul_f64 v[70:71], v[186:187], v[120:121]
	v_fma_f64 v[8:9], v[186:187], v[122:123], -v[8:9]
	v_fmac_f64_e32 v[70:71], v[188:189], v[122:123]
	v_add_f64 v[6:7], v[6:7], v[8:9]
	s_waitcnt vmcnt(18) lgkmcnt(2)
	v_mul_f64 v[8:9], v[192:193], v[48:49]
	v_add_f64 v[68:69], v[68:69], v[70:71]
	v_mul_f64 v[70:71], v[190:191], v[48:49]
	ds_read_b128 v[206:209], v148 offset:944
	ds_read_b128 v[210:213], v148 offset:960
	s_waitcnt vmcnt(16)
	v_fma_f64 v[8:9], v[190:191], v[50:51], -v[8:9]
	v_fmac_f64_e32 v[70:71], v[192:193], v[50:51]
	v_add_f64 v[6:7], v[6:7], v[8:9]
	s_waitcnt lgkmcnt(3)
	v_mul_f64 v[8:9], v[196:197], v[44:45]
	v_add_f64 v[68:69], v[68:69], v[70:71]
	v_mul_f64 v[70:71], v[194:195], v[44:45]
	v_fma_f64 v[8:9], v[194:195], v[46:47], -v[8:9]
	v_fmac_f64_e32 v[70:71], v[196:197], v[46:47]
	v_add_f64 v[6:7], v[6:7], v[8:9]
	s_waitcnt vmcnt(10) lgkmcnt(2)
	v_mul_f64 v[8:9], v[200:201], v[56:57]
	v_add_f64 v[68:69], v[68:69], v[70:71]
	v_mul_f64 v[70:71], v[198:199], v[56:57]
	ds_read_b128 v[244:247], v148 offset:976
	s_waitcnt vmcnt(8)
	v_fma_f64 v[8:9], v[198:199], v[58:59], -v[8:9]
	v_fmac_f64_e32 v[70:71], v[200:201], v[58:59]
	v_add_f64 v[6:7], v[6:7], v[8:9]
	s_waitcnt lgkmcnt(2)
	v_mul_f64 v[8:9], v[208:209], v[52:53]
	v_add_f64 v[68:69], v[68:69], v[70:71]
	v_mul_f64 v[70:71], v[206:207], v[52:53]
	v_fma_f64 v[8:9], v[206:207], v[54:55], -v[8:9]
	v_fmac_f64_e32 v[70:71], v[208:209], v[54:55]
	v_add_f64 v[6:7], v[6:7], v[8:9]
	s_waitcnt vmcnt(6) lgkmcnt(1)
	v_mul_f64 v[8:9], v[212:213], v[60:61]
	v_add_f64 v[68:69], v[68:69], v[70:71]
	v_mul_f64 v[70:71], v[210:211], v[60:61]
	s_waitcnt vmcnt(4)
	v_fma_f64 v[8:9], v[210:211], v[62:63], -v[8:9]
	v_fmac_f64_e32 v[70:71], v[212:213], v[62:63]
	v_add_f64 v[6:7], v[6:7], v[8:9]
	s_waitcnt vmcnt(2) lgkmcnt(0)
	v_mul_f64 v[8:9], v[246:247], v[64:65]
	v_add_f64 v[68:69], v[68:69], v[70:71]
	v_mul_f64 v[70:71], v[244:245], v[64:65]
	s_waitcnt vmcnt(0)
	v_fma_f64 v[8:9], v[244:245], v[66:67], -v[8:9]
	v_fmac_f64_e32 v[70:71], v[246:247], v[66:67]
	v_add_f64 v[6:7], v[6:7], v[8:9]
	v_add_f64 v[68:69], v[68:69], v[70:71]
	v_add_f64 v[4:5], v[4:5], -v[6:7]
	v_cmp_lt_u32_e32 vcc, 8, v243
	v_add_f64 v[2:3], v[2:3], -v[68:69]
	buffer_store_dword v5, off, s[0:3], 0 offset:148
	buffer_store_dword v4, off, s[0:3], 0 offset:144
	;; [unrolled: 1-line block ×4, first 2 shown]
	s_and_saveexec_b64 s[6:7], vcc
	s_cbranch_execz .LBB30_183
; %bb.182:
	v_accvgpr_read_b32 v5, a78
	buffer_load_dword v2, v5, s[0:3], 0 offen
	buffer_load_dword v3, v5, s[0:3], 0 offen offset:4
	buffer_load_dword v4, v5, s[0:3], 0 offen offset:8
	s_nop 0
	buffer_load_dword v5, v5, s[0:3], 0 offen offset:12
	s_nop 0
	buffer_store_dword v148, off, s[0:3], 0 offset:128
	buffer_store_dword v148, off, s[0:3], 0 offset:132
	;; [unrolled: 1-line block ×4, first 2 shown]
	s_waitcnt vmcnt(4)
	ds_write_b128 v1, v[2:5]
.LBB30_183:
	s_or_b64 exec, exec, s[6:7]
	s_waitcnt lgkmcnt(0)
	; wave barrier
	s_waitcnt lgkmcnt(0)
	ds_read_b128 v[14:17], v148 offset:640
	ds_read_b128 v[10:13], v148 offset:656
	;; [unrolled: 1-line block ×4, first 2 shown]
	buffer_load_dword v20, off, s[0:3], 0 offset:128
	buffer_load_dword v21, off, s[0:3], 0 offset:132
	;; [unrolled: 1-line block ×92, first 2 shown]
	s_waitcnt vmcnt(62) lgkmcnt(3)
	v_mul_f64 v[64:65], v[14:15], v[28:29]
	v_fmac_f64_e32 v[64:65], v[16:17], v[22:23]
	s_waitcnt lgkmcnt(2)
	v_mul_f64 v[70:71], v[10:11], v[30:31]
	v_add_f64 v[64:65], v[64:65], 0
	v_fmac_f64_e32 v[70:71], v[12:13], v[24:25]
	ds_read_b128 v[150:153], v148 offset:704
	ds_read_b128 v[154:157], v148 offset:720
	v_add_f64 v[64:65], v[64:65], v[70:71]
	s_waitcnt lgkmcnt(3)
	v_mul_f64 v[70:71], v[6:7], v[32:33]
	v_mul_f64 v[16:17], v[16:17], v[28:29]
	v_fmac_f64_e32 v[70:71], v[8:9], v[26:27]
	v_fma_f64 v[14:15], v[14:15], v[22:23], -v[16:17]
	v_mul_f64 v[12:13], v[12:13], v[30:31]
	v_add_f64 v[64:65], v[64:65], v[70:71]
	s_waitcnt lgkmcnt(2)
	v_mul_f64 v[70:71], v[2:3], v[38:39]
	v_add_f64 v[14:15], v[14:15], 0
	v_fma_f64 v[10:11], v[10:11], v[24:25], -v[12:13]
	v_mul_f64 v[8:9], v[8:9], v[32:33]
	v_fmac_f64_e32 v[70:71], v[4:5], v[40:41]
	ds_read_b128 v[158:161], v148 offset:736
	ds_read_b128 v[162:165], v148 offset:752
	v_add_f64 v[10:11], v[14:15], v[10:11]
	v_fma_f64 v[6:7], v[6:7], v[26:27], -v[8:9]
	v_mul_f64 v[4:5], v[4:5], v[38:39]
	v_add_f64 v[6:7], v[10:11], v[6:7]
	v_fma_f64 v[2:3], v[2:3], v[40:41], -v[4:5]
	s_waitcnt lgkmcnt(3)
	v_mul_f64 v[4:5], v[152:153], v[34:35]
	v_add_f64 v[64:65], v[64:65], v[70:71]
	v_mul_f64 v[70:71], v[150:151], v[34:35]
	v_add_f64 v[2:3], v[6:7], v[2:3]
	v_fma_f64 v[4:5], v[150:151], v[36:37], -v[4:5]
	v_fmac_f64_e32 v[70:71], v[152:153], v[36:37]
	v_add_f64 v[2:3], v[2:3], v[4:5]
	s_waitcnt lgkmcnt(2)
	v_mul_f64 v[4:5], v[156:157], v[108:109]
	v_add_f64 v[64:65], v[64:65], v[70:71]
	v_mul_f64 v[70:71], v[154:155], v[108:109]
	ds_read_b128 v[166:169], v148 offset:768
	ds_read_b128 v[170:173], v148 offset:784
	s_waitcnt vmcnt(60)
	v_fma_f64 v[4:5], v[154:155], v[110:111], -v[4:5]
	v_fmac_f64_e32 v[70:71], v[156:157], v[110:111]
	v_add_f64 v[2:3], v[2:3], v[4:5]
	s_waitcnt lgkmcnt(3)
	v_mul_f64 v[4:5], v[160:161], v[104:105]
	v_add_f64 v[64:65], v[64:65], v[70:71]
	v_mul_f64 v[70:71], v[158:159], v[104:105]
	v_fma_f64 v[4:5], v[158:159], v[106:107], -v[4:5]
	v_fmac_f64_e32 v[70:71], v[160:161], v[106:107]
	v_add_f64 v[2:3], v[2:3], v[4:5]
	s_waitcnt vmcnt(54) lgkmcnt(2)
	v_mul_f64 v[4:5], v[164:165], v[116:117]
	v_add_f64 v[64:65], v[64:65], v[70:71]
	v_mul_f64 v[70:71], v[162:163], v[116:117]
	ds_read_b128 v[174:177], v148 offset:800
	ds_read_b128 v[178:181], v148 offset:816
	s_waitcnt vmcnt(52)
	v_fma_f64 v[4:5], v[162:163], v[118:119], -v[4:5]
	v_fmac_f64_e32 v[70:71], v[164:165], v[118:119]
	v_add_f64 v[2:3], v[2:3], v[4:5]
	s_waitcnt lgkmcnt(3)
	v_mul_f64 v[4:5], v[168:169], v[112:113]
	v_add_f64 v[64:65], v[64:65], v[70:71]
	v_mul_f64 v[70:71], v[166:167], v[112:113]
	v_fma_f64 v[4:5], v[166:167], v[114:115], -v[4:5]
	v_fmac_f64_e32 v[70:71], v[168:169], v[114:115]
	v_add_f64 v[2:3], v[2:3], v[4:5]
	s_waitcnt vmcnt(46) lgkmcnt(2)
	;; [unrolled: 17-line block ×7, first 2 shown]
	v_mul_f64 v[4:5], v[246:247], v[60:61]
	v_add_f64 v[64:65], v[64:65], v[70:71]
	v_mul_f64 v[70:71], v[244:245], v[60:61]
	s_waitcnt vmcnt(4)
	v_fma_f64 v[4:5], v[244:245], v[62:63], -v[4:5]
	v_fmac_f64_e32 v[70:71], v[246:247], v[62:63]
	v_add_f64 v[2:3], v[2:3], v[4:5]
	s_waitcnt lgkmcnt(1)
	v_mul_f64 v[4:5], v[250:251], v[56:57]
	v_add_f64 v[64:65], v[64:65], v[70:71]
	v_mul_f64 v[70:71], v[248:249], v[56:57]
	v_fma_f64 v[4:5], v[248:249], v[58:59], -v[4:5]
	v_fmac_f64_e32 v[70:71], v[250:251], v[58:59]
	v_add_f64 v[2:3], v[2:3], v[4:5]
	s_waitcnt vmcnt(2) lgkmcnt(0)
	v_mul_f64 v[4:5], v[254:255], v[66:67]
	v_add_f64 v[64:65], v[64:65], v[70:71]
	v_mul_f64 v[70:71], v[252:253], v[66:67]
	s_waitcnt vmcnt(0)
	v_fma_f64 v[4:5], v[252:253], v[68:69], -v[4:5]
	v_fmac_f64_e32 v[70:71], v[254:255], v[68:69]
	v_add_f64 v[2:3], v[2:3], v[4:5]
	v_add_f64 v[64:65], v[64:65], v[70:71]
	v_add_f64 v[2:3], v[20:21], -v[2:3]
	v_cmp_lt_u32_e32 vcc, 7, v243
	v_add_f64 v[4:5], v[18:19], -v[64:65]
	buffer_store_dword v3, off, s[0:3], 0 offset:132
	buffer_store_dword v2, off, s[0:3], 0 offset:128
	;; [unrolled: 1-line block ×4, first 2 shown]
	s_and_saveexec_b64 s[6:7], vcc
	s_cbranch_execz .LBB30_185
; %bb.184:
	v_accvgpr_read_b32 v5, a80
	buffer_load_dword v2, v5, s[0:3], 0 offen
	buffer_load_dword v3, v5, s[0:3], 0 offen offset:4
	buffer_load_dword v4, v5, s[0:3], 0 offen offset:8
	s_nop 0
	buffer_load_dword v5, v5, s[0:3], 0 offen offset:12
	v_mov_b32_e32 v6, 0
	buffer_store_dword v6, off, s[0:3], 0 offset:112
	buffer_store_dword v6, off, s[0:3], 0 offset:116
	;; [unrolled: 1-line block ×4, first 2 shown]
	s_waitcnt vmcnt(4)
	ds_write_b128 v1, v[2:5]
.LBB30_185:
	s_or_b64 exec, exec, s[6:7]
	s_waitcnt lgkmcnt(0)
	; wave barrier
	s_waitcnt lgkmcnt(0)
	buffer_load_dword v9, off, s[0:3], 0 offset:140
	buffer_load_dword v6, off, s[0:3], 0 offset:152
	;; [unrolled: 1-line block ×64, first 2 shown]
	v_mov_b32_e32 v160, 0
	ds_read_b128 v[136:139], v160 offset:624
	ds_read_b128 v[140:143], v160 offset:640
	buffer_load_dword v129, off, s[0:3], 0 offset:396
	buffer_load_dword v128, off, s[0:3], 0 offset:392
	;; [unrolled: 1-line block ×8, first 2 shown]
	ds_read_b128 v[144:147], v160 offset:656
	ds_read_b128 v[148:151], v160 offset:672
	buffer_load_dword v49, off, s[0:3], 0 offset:428
	buffer_load_dword v48, off, s[0:3], 0 offset:424
	;; [unrolled: 1-line block ×24, first 2 shown]
	ds_read_b128 v[152:155], v160 offset:688
	ds_read_b128 v[156:159], v160 offset:704
	;; [unrolled: 1-line block ×19, first 2 shown]
	v_cmp_lt_u32_e32 vcc, 6, v243
	s_waitcnt vmcnt(62) lgkmcnt(14)
	v_mul_f64 v[46:47], v[140:141], v[6:7]
	v_mul_f64 v[44:45], v[136:137], v[8:9]
	;; [unrolled: 1-line block ×3, first 2 shown]
	v_fma_f64 v[8:9], v[136:137], v[10:11], -v[8:9]
	v_mul_f64 v[6:7], v[142:143], v[6:7]
	v_fmac_f64_e32 v[44:45], v[138:139], v[10:11]
	v_add_f64 v[8:9], v[8:9], 0
	v_add_f64 v[44:45], v[44:45], 0
	v_fma_f64 v[6:7], v[140:141], v[14:15], -v[6:7]
	v_fmac_f64_e32 v[46:47], v[142:143], v[14:15]
	v_add_f64 v[6:7], v[8:9], v[6:7]
	v_mul_f64 v[8:9], v[146:147], v[16:17]
	v_add_f64 v[44:45], v[44:45], v[46:47]
	v_mul_f64 v[46:47], v[144:145], v[16:17]
	v_fma_f64 v[8:9], v[144:145], v[12:13], -v[8:9]
	v_fmac_f64_e32 v[46:47], v[146:147], v[12:13]
	v_add_f64 v[6:7], v[6:7], v[8:9]
	v_mul_f64 v[8:9], v[150:151], v[22:23]
	v_add_f64 v[44:45], v[44:45], v[46:47]
	v_mul_f64 v[46:47], v[148:149], v[22:23]
	;; [unrolled: 6-line block ×5, first 2 shown]
	v_fma_f64 v[8:9], v[162:163], v[28:29], -v[8:9]
	v_fmac_f64_e32 v[46:47], v[164:165], v[28:29]
	v_add_f64 v[6:7], v[6:7], v[8:9]
	s_waitcnt vmcnt(58)
	v_mul_f64 v[8:9], v[168:169], v[38:39]
	v_add_f64 v[44:45], v[44:45], v[46:47]
	v_mul_f64 v[46:47], v[166:167], v[38:39]
	s_waitcnt vmcnt(56)
	v_fma_f64 v[8:9], v[166:167], v[40:41], -v[8:9]
	v_fmac_f64_e32 v[46:47], v[168:169], v[40:41]
	v_add_f64 v[6:7], v[6:7], v[8:9]
	v_mul_f64 v[8:9], v[172:173], v[34:35]
	v_add_f64 v[44:45], v[44:45], v[46:47]
	v_mul_f64 v[46:47], v[170:171], v[34:35]
	v_fma_f64 v[8:9], v[170:171], v[36:37], -v[8:9]
	v_fmac_f64_e32 v[46:47], v[172:173], v[36:37]
	v_add_f64 v[6:7], v[6:7], v[8:9]
	s_waitcnt vmcnt(50) lgkmcnt(13)
	v_mul_f64 v[8:9], v[176:177], v[108:109]
	v_add_f64 v[44:45], v[44:45], v[46:47]
	v_mul_f64 v[46:47], v[174:175], v[108:109]
	s_waitcnt vmcnt(48)
	v_fma_f64 v[8:9], v[174:175], v[110:111], -v[8:9]
	v_fmac_f64_e32 v[46:47], v[176:177], v[110:111]
	v_add_f64 v[6:7], v[6:7], v[8:9]
	s_waitcnt lgkmcnt(12)
	v_mul_f64 v[8:9], v[180:181], v[104:105]
	v_add_f64 v[44:45], v[44:45], v[46:47]
	v_mul_f64 v[46:47], v[178:179], v[104:105]
	v_fma_f64 v[8:9], v[178:179], v[106:107], -v[8:9]
	v_fmac_f64_e32 v[46:47], v[180:181], v[106:107]
	v_add_f64 v[6:7], v[6:7], v[8:9]
	s_waitcnt vmcnt(42) lgkmcnt(11)
	v_mul_f64 v[8:9], v[184:185], v[116:117]
	v_add_f64 v[44:45], v[44:45], v[46:47]
	v_mul_f64 v[46:47], v[182:183], v[116:117]
	s_waitcnt vmcnt(40)
	v_fma_f64 v[8:9], v[182:183], v[118:119], -v[8:9]
	v_fmac_f64_e32 v[46:47], v[184:185], v[118:119]
	v_add_f64 v[6:7], v[6:7], v[8:9]
	s_waitcnt lgkmcnt(10)
	;; [unrolled: 15-line block ×7, first 2 shown]
	v_mul_f64 v[8:9], v[220:221], v[64:65]
	v_add_f64 v[44:45], v[44:45], v[46:47]
	v_mul_f64 v[46:47], v[218:219], v[64:65]
	v_fma_f64 v[8:9], v[218:219], v[66:67], -v[8:9]
	v_fmac_f64_e32 v[46:47], v[220:221], v[66:67]
	v_add_f64 v[6:7], v[6:7], v[8:9]
	v_add_f64 v[44:45], v[44:45], v[46:47]
	v_add_f64 v[4:5], v[4:5], -v[6:7]
	v_add_f64 v[2:3], v[2:3], -v[44:45]
	buffer_store_dword v5, off, s[0:3], 0 offset:116
	buffer_store_dword v4, off, s[0:3], 0 offset:112
	;; [unrolled: 1-line block ×4, first 2 shown]
	s_and_saveexec_b64 s[6:7], vcc
	s_cbranch_execz .LBB30_187
; %bb.186:
	v_accvgpr_read_b32 v5, a82
	buffer_load_dword v2, v5, s[0:3], 0 offen
	buffer_load_dword v3, v5, s[0:3], 0 offen offset:4
	buffer_load_dword v4, v5, s[0:3], 0 offen offset:8
	s_nop 0
	buffer_load_dword v5, v5, s[0:3], 0 offen offset:12
	s_nop 0
	buffer_store_dword v160, off, s[0:3], 0 offset:96
	buffer_store_dword v160, off, s[0:3], 0 offset:100
	;; [unrolled: 1-line block ×4, first 2 shown]
	s_waitcnt vmcnt(4)
	ds_write_b128 v1, v[2:5]
.LBB30_187:
	s_or_b64 exec, exec, s[6:7]
	s_waitcnt lgkmcnt(0)
	; wave barrier
	s_waitcnt lgkmcnt(0)
	buffer_load_dword v22, off, s[0:3], 0 offset:112
	buffer_load_dword v23, off, s[0:3], 0 offset:116
	;; [unrolled: 1-line block ×16, first 2 shown]
	ds_read_b128 v[2:5], v160 offset:608
	ds_read_b128 v[6:9], v160 offset:624
	;; [unrolled: 1-line block ×4, first 2 shown]
	buffer_load_dword v35, off, s[0:3], 0 offset:188
	buffer_load_dword v34, off, s[0:3], 0 offset:184
	;; [unrolled: 1-line block ×48, first 2 shown]
	v_cmp_lt_u32_e32 vcc, 5, v243
	s_waitcnt vmcnt(60) lgkmcnt(3)
	v_mul_f64 v[44:45], v[2:3], v[24:25]
	v_fmac_f64_e32 v[44:45], v[4:5], v[22:23]
	v_add_f64 v[44:45], v[44:45], 0
	v_mul_f64 v[4:5], v[4:5], v[24:25]
	s_waitcnt vmcnt(56) lgkmcnt(2)
	v_mul_f64 v[46:47], v[6:7], v[32:33]
	v_fma_f64 v[2:3], v[2:3], v[22:23], -v[4:5]
	v_mul_f64 v[4:5], v[8:9], v[32:33]
	v_add_f64 v[2:3], v[2:3], 0
	s_waitcnt vmcnt(52)
	v_fmac_f64_e32 v[46:47], v[8:9], v[28:29]
	v_add_f64 v[44:45], v[44:45], v[46:47]
	buffer_load_dword v145, off, s[0:3], 0 offset:380
	buffer_load_dword v144, off, s[0:3], 0 offset:376
	;; [unrolled: 1-line block ×32, first 2 shown]
	ds_read_b128 v[162:165], v160 offset:672
	buffer_load_dword v65, off, s[0:3], 0 offset:492
	buffer_load_dword v64, off, s[0:3], 0 offset:488
	;; [unrolled: 1-line block ×4, first 2 shown]
	v_fma_f64 v[4:5], v[6:7], v[28:29], -v[4:5]
	v_add_f64 v[2:3], v[2:3], v[4:5]
	s_waitcnt lgkmcnt(2)
	v_mul_f64 v[4:5], v[12:13], v[26:27]
	v_mul_f64 v[48:49], v[10:11], v[26:27]
	ds_read_b128 v[166:169], v160 offset:688
	ds_read_b128 v[170:173], v160 offset:704
	v_fma_f64 v[4:5], v[10:11], v[30:31], -v[4:5]
	v_fmac_f64_e32 v[48:49], v[12:13], v[30:31]
	v_add_f64 v[2:3], v[2:3], v[4:5]
	s_waitcnt vmcnt(62) lgkmcnt(3)
	v_mul_f64 v[4:5], v[16:17], v[38:39]
	v_add_f64 v[44:45], v[44:45], v[48:49]
	v_mul_f64 v[48:49], v[14:15], v[38:39]
	v_fma_f64 v[4:5], v[14:15], v[40:41], -v[4:5]
	v_fmac_f64_e32 v[48:49], v[16:17], v[40:41]
	v_add_f64 v[2:3], v[2:3], v[4:5]
	s_waitcnt lgkmcnt(2)
	v_mul_f64 v[4:5], v[164:165], v[34:35]
	v_add_f64 v[44:45], v[44:45], v[48:49]
	v_mul_f64 v[48:49], v[162:163], v[34:35]
	ds_read_b128 v[174:177], v160 offset:720
	ds_read_b128 v[178:181], v160 offset:736
	v_fma_f64 v[4:5], v[162:163], v[36:37], -v[4:5]
	v_fmac_f64_e32 v[48:49], v[164:165], v[36:37]
	v_add_f64 v[2:3], v[2:3], v[4:5]
	s_waitcnt lgkmcnt(3)
	v_mul_f64 v[4:5], v[168:169], v[108:109]
	v_add_f64 v[44:45], v[44:45], v[48:49]
	v_mul_f64 v[48:49], v[166:167], v[108:109]
	v_fma_f64 v[4:5], v[166:167], v[110:111], -v[4:5]
	v_fmac_f64_e32 v[48:49], v[168:169], v[110:111]
	v_add_f64 v[2:3], v[2:3], v[4:5]
	s_waitcnt lgkmcnt(2)
	v_mul_f64 v[4:5], v[172:173], v[104:105]
	v_add_f64 v[44:45], v[44:45], v[48:49]
	v_mul_f64 v[48:49], v[170:171], v[104:105]
	ds_read_b128 v[182:185], v160 offset:752
	ds_read_b128 v[186:189], v160 offset:768
	v_fma_f64 v[4:5], v[170:171], v[106:107], -v[4:5]
	v_fmac_f64_e32 v[48:49], v[172:173], v[106:107]
	v_add_f64 v[2:3], v[2:3], v[4:5]
	s_waitcnt lgkmcnt(3)
	v_mul_f64 v[4:5], v[176:177], v[116:117]
	v_add_f64 v[44:45], v[44:45], v[48:49]
	v_mul_f64 v[48:49], v[174:175], v[116:117]
	s_waitcnt vmcnt(60)
	v_fma_f64 v[4:5], v[174:175], v[118:119], -v[4:5]
	v_fmac_f64_e32 v[48:49], v[176:177], v[118:119]
	v_add_f64 v[2:3], v[2:3], v[4:5]
	s_waitcnt lgkmcnt(2)
	v_mul_f64 v[4:5], v[180:181], v[112:113]
	v_add_f64 v[44:45], v[44:45], v[48:49]
	v_mul_f64 v[48:49], v[178:179], v[112:113]
	ds_read_b128 v[190:193], v160 offset:784
	ds_read_b128 v[194:197], v160 offset:800
	v_fma_f64 v[4:5], v[178:179], v[114:115], -v[4:5]
	v_fmac_f64_e32 v[48:49], v[180:181], v[114:115]
	v_add_f64 v[2:3], v[2:3], v[4:5]
	s_waitcnt vmcnt(54) lgkmcnt(3)
	v_mul_f64 v[4:5], v[184:185], v[124:125]
	v_add_f64 v[44:45], v[44:45], v[48:49]
	v_mul_f64 v[48:49], v[182:183], v[124:125]
	s_waitcnt vmcnt(52)
	v_fma_f64 v[4:5], v[182:183], v[126:127], -v[4:5]
	v_fmac_f64_e32 v[48:49], v[184:185], v[126:127]
	v_add_f64 v[2:3], v[2:3], v[4:5]
	s_waitcnt lgkmcnt(2)
	v_mul_f64 v[4:5], v[188:189], v[120:121]
	v_add_f64 v[44:45], v[44:45], v[48:49]
	v_mul_f64 v[48:49], v[186:187], v[120:121]
	ds_read_b128 v[198:201], v160 offset:816
	ds_read_b128 v[206:209], v160 offset:832
	v_fma_f64 v[4:5], v[186:187], v[122:123], -v[4:5]
	v_fmac_f64_e32 v[48:49], v[188:189], v[122:123]
	v_add_f64 v[2:3], v[2:3], v[4:5]
	s_waitcnt vmcnt(46) lgkmcnt(3)
	;; [unrolled: 17-line block ×6, first 2 shown]
	v_mul_f64 v[4:5], v[250:251], v[52:53]
	v_add_f64 v[44:45], v[44:45], v[48:49]
	v_mul_f64 v[48:49], v[248:249], v[52:53]
	s_waitcnt vmcnt(12)
	v_fma_f64 v[4:5], v[248:249], v[54:55], -v[4:5]
	v_fmac_f64_e32 v[48:49], v[250:251], v[54:55]
	v_add_f64 v[2:3], v[2:3], v[4:5]
	s_waitcnt lgkmcnt(2)
	v_mul_f64 v[4:5], v[254:255], v[46:47]
	v_add_f64 v[44:45], v[44:45], v[48:49]
	v_mul_f64 v[48:49], v[252:253], v[46:47]
	ds_read_b128 v[230:233], v160 offset:976
	v_fma_f64 v[4:5], v[252:253], v[50:51], -v[4:5]
	v_fmac_f64_e32 v[48:49], v[254:255], v[50:51]
	v_add_f64 v[2:3], v[2:3], v[4:5]
	s_waitcnt vmcnt(6) lgkmcnt(2)
	v_mul_f64 v[4:5], v[224:225], v[60:61]
	v_add_f64 v[44:45], v[44:45], v[48:49]
	v_mul_f64 v[48:49], v[222:223], v[60:61]
	s_waitcnt vmcnt(4)
	v_fma_f64 v[4:5], v[222:223], v[62:63], -v[4:5]
	v_fmac_f64_e32 v[48:49], v[224:225], v[62:63]
	v_add_f64 v[2:3], v[2:3], v[4:5]
	s_waitcnt lgkmcnt(1)
	v_mul_f64 v[4:5], v[228:229], v[56:57]
	v_add_f64 v[44:45], v[44:45], v[48:49]
	v_mul_f64 v[48:49], v[226:227], v[56:57]
	v_fma_f64 v[4:5], v[226:227], v[58:59], -v[4:5]
	v_fmac_f64_e32 v[48:49], v[228:229], v[58:59]
	v_add_f64 v[2:3], v[2:3], v[4:5]
	s_waitcnt vmcnt(2) lgkmcnt(0)
	v_mul_f64 v[4:5], v[232:233], v[64:65]
	v_add_f64 v[44:45], v[44:45], v[48:49]
	v_mul_f64 v[48:49], v[230:231], v[64:65]
	s_waitcnt vmcnt(0)
	v_fma_f64 v[4:5], v[230:231], v[66:67], -v[4:5]
	v_fmac_f64_e32 v[48:49], v[232:233], v[66:67]
	v_add_f64 v[2:3], v[2:3], v[4:5]
	v_add_f64 v[44:45], v[44:45], v[48:49]
	v_add_f64 v[2:3], v[20:21], -v[2:3]
	v_add_f64 v[4:5], v[18:19], -v[44:45]
	buffer_store_dword v3, off, s[0:3], 0 offset:100
	buffer_store_dword v2, off, s[0:3], 0 offset:96
	;; [unrolled: 1-line block ×4, first 2 shown]
	s_and_saveexec_b64 s[6:7], vcc
	s_cbranch_execz .LBB30_189
; %bb.188:
	v_accvgpr_read_b32 v5, a79
	buffer_load_dword v2, v5, s[0:3], 0 offen
	buffer_load_dword v3, v5, s[0:3], 0 offen offset:4
	buffer_load_dword v4, v5, s[0:3], 0 offen offset:8
	s_nop 0
	buffer_load_dword v5, v5, s[0:3], 0 offen offset:12
	v_mov_b32_e32 v6, 0
	buffer_store_dword v6, off, s[0:3], 0 offset:80
	buffer_store_dword v6, off, s[0:3], 0 offset:84
	;; [unrolled: 1-line block ×4, first 2 shown]
	s_waitcnt vmcnt(4)
	ds_write_b128 v1, v[2:5]
.LBB30_189:
	s_or_b64 exec, exec, s[6:7]
	s_waitcnt lgkmcnt(0)
	; wave barrier
	s_waitcnt lgkmcnt(0)
	buffer_load_dword v22, off, s[0:3], 0 offset:96
	buffer_load_dword v23, off, s[0:3], 0 offset:100
	;; [unrolled: 1-line block ×64, first 2 shown]
	v_mov_b32_e32 v176, 0
	ds_read_b128 v[18:21], v176 offset:592
	ds_read_b128 v[14:17], v176 offset:608
	;; [unrolled: 1-line block ×5, first 2 shown]
	v_cmp_lt_u32_e32 vcc, 4, v243
	s_waitcnt vmcnt(60) lgkmcnt(4)
	v_mul_f64 v[44:45], v[18:19], v[26:27]
	v_fmac_f64_e32 v[44:45], v[20:21], v[22:23]
	v_add_f64 v[44:45], v[44:45], 0
	v_mul_f64 v[20:21], v[20:21], v[26:27]
	s_waitcnt vmcnt(56) lgkmcnt(3)
	v_mul_f64 v[46:47], v[14:15], v[28:29]
	v_fmac_f64_e32 v[46:47], v[16:17], v[24:25]
	s_waitcnt vmcnt(54) lgkmcnt(2)
	v_mul_f64 v[48:49], v[10:11], v[30:31]
	v_add_f64 v[44:45], v[44:45], v[46:47]
	v_fma_f64 v[18:19], v[18:19], v[22:23], -v[20:21]
	v_mul_f64 v[16:17], v[16:17], v[28:29]
	s_waitcnt vmcnt(50) lgkmcnt(1)
	v_mul_f64 v[50:51], v[6:7], v[40:41]
	v_add_f64 v[18:19], v[18:19], 0
	s_waitcnt vmcnt(48)
	v_fmac_f64_e32 v[48:49], v[12:13], v[106:107]
	v_add_f64 v[44:45], v[44:45], v[48:49]
	buffer_load_dword v149, off, s[0:3], 0 offset:364
	buffer_load_dword v148, off, s[0:3], 0 offset:360
	;; [unrolled: 1-line block ×40, first 2 shown]
	ds_read_b128 v[164:167], v176 offset:672
	ds_read_b128 v[168:171], v176 offset:688
	s_waitcnt vmcnt(62)
	v_fmac_f64_e32 v[50:51], v[8:9], v[104:105]
	v_fma_f64 v[14:15], v[14:15], v[24:25], -v[16:17]
	v_mul_f64 v[12:13], v[12:13], v[30:31]
	v_add_f64 v[44:45], v[44:45], v[50:51]
	s_waitcnt lgkmcnt(2)
	v_mul_f64 v[50:51], v[2:3], v[36:37]
	v_add_f64 v[14:15], v[18:19], v[14:15]
	v_fma_f64 v[10:11], v[10:11], v[106:107], -v[12:13]
	v_mul_f64 v[8:9], v[8:9], v[40:41]
	v_fmac_f64_e32 v[50:51], v[4:5], v[38:39]
	ds_read_b128 v[172:175], v176 offset:704
	ds_read_b128 v[178:181], v176 offset:720
	v_add_f64 v[10:11], v[14:15], v[10:11]
	v_fma_f64 v[6:7], v[6:7], v[104:105], -v[8:9]
	v_mul_f64 v[4:5], v[4:5], v[36:37]
	v_add_f64 v[6:7], v[10:11], v[6:7]
	v_fma_f64 v[2:3], v[2:3], v[38:39], -v[4:5]
	s_waitcnt lgkmcnt(3)
	v_mul_f64 v[4:5], v[166:167], v[112:113]
	v_add_f64 v[44:45], v[44:45], v[50:51]
	v_mul_f64 v[50:51], v[164:165], v[112:113]
	v_add_f64 v[2:3], v[6:7], v[2:3]
	v_fma_f64 v[4:5], v[164:165], v[114:115], -v[4:5]
	v_fmac_f64_e32 v[50:51], v[166:167], v[114:115]
	v_add_f64 v[2:3], v[2:3], v[4:5]
	s_waitcnt lgkmcnt(2)
	v_mul_f64 v[4:5], v[170:171], v[108:109]
	v_add_f64 v[44:45], v[44:45], v[50:51]
	v_mul_f64 v[50:51], v[168:169], v[108:109]
	ds_read_b128 v[182:185], v176 offset:736
	ds_read_b128 v[186:189], v176 offset:752
	v_fma_f64 v[4:5], v[168:169], v[110:111], -v[4:5]
	v_fmac_f64_e32 v[50:51], v[170:171], v[110:111]
	v_add_f64 v[2:3], v[2:3], v[4:5]
	s_waitcnt lgkmcnt(3)
	v_mul_f64 v[4:5], v[174:175], v[120:121]
	v_add_f64 v[44:45], v[44:45], v[50:51]
	v_mul_f64 v[50:51], v[172:173], v[120:121]
	v_fma_f64 v[4:5], v[172:173], v[122:123], -v[4:5]
	v_fmac_f64_e32 v[50:51], v[174:175], v[122:123]
	v_add_f64 v[2:3], v[2:3], v[4:5]
	s_waitcnt lgkmcnt(2)
	v_mul_f64 v[4:5], v[180:181], v[116:117]
	v_add_f64 v[44:45], v[44:45], v[50:51]
	v_mul_f64 v[50:51], v[178:179], v[116:117]
	ds_read_b128 v[190:193], v176 offset:768
	ds_read_b128 v[194:197], v176 offset:784
	v_fma_f64 v[4:5], v[178:179], v[118:119], -v[4:5]
	v_fmac_f64_e32 v[50:51], v[180:181], v[118:119]
	v_add_f64 v[2:3], v[2:3], v[4:5]
	s_waitcnt vmcnt(58) lgkmcnt(3)
	v_mul_f64 v[4:5], v[184:185], v[128:129]
	v_add_f64 v[44:45], v[44:45], v[50:51]
	v_mul_f64 v[50:51], v[182:183], v[128:129]
	s_waitcnt vmcnt(56)
	v_fma_f64 v[4:5], v[182:183], v[130:131], -v[4:5]
	v_fmac_f64_e32 v[50:51], v[184:185], v[130:131]
	v_add_f64 v[2:3], v[2:3], v[4:5]
	s_waitcnt lgkmcnt(2)
	v_mul_f64 v[4:5], v[188:189], v[124:125]
	v_add_f64 v[44:45], v[44:45], v[50:51]
	v_mul_f64 v[50:51], v[186:187], v[124:125]
	ds_read_b128 v[198:201], v176 offset:800
	ds_read_b128 v[206:209], v176 offset:816
	v_fma_f64 v[4:5], v[186:187], v[126:127], -v[4:5]
	v_fmac_f64_e32 v[50:51], v[188:189], v[126:127]
	v_add_f64 v[2:3], v[2:3], v[4:5]
	s_waitcnt vmcnt(50) lgkmcnt(3)
	v_mul_f64 v[4:5], v[192:193], v[136:137]
	v_add_f64 v[44:45], v[44:45], v[50:51]
	v_mul_f64 v[50:51], v[190:191], v[136:137]
	s_waitcnt vmcnt(48)
	v_fma_f64 v[4:5], v[190:191], v[138:139], -v[4:5]
	v_fmac_f64_e32 v[50:51], v[192:193], v[138:139]
	v_add_f64 v[2:3], v[2:3], v[4:5]
	s_waitcnt lgkmcnt(2)
	v_mul_f64 v[4:5], v[196:197], v[132:133]
	v_add_f64 v[44:45], v[44:45], v[50:51]
	v_mul_f64 v[50:51], v[194:195], v[132:133]
	ds_read_b128 v[210:213], v176 offset:832
	ds_read_b128 v[214:217], v176 offset:848
	v_fma_f64 v[4:5], v[194:195], v[134:135], -v[4:5]
	v_fmac_f64_e32 v[50:51], v[196:197], v[134:135]
	v_add_f64 v[2:3], v[2:3], v[4:5]
	s_waitcnt vmcnt(42) lgkmcnt(3)
	v_mul_f64 v[4:5], v[200:201], v[144:145]
	v_add_f64 v[44:45], v[44:45], v[50:51]
	v_mul_f64 v[50:51], v[198:199], v[144:145]
	s_waitcnt vmcnt(40)
	v_fma_f64 v[4:5], v[198:199], v[146:147], -v[4:5]
	v_fmac_f64_e32 v[50:51], v[200:201], v[146:147]
	v_add_f64 v[2:3], v[2:3], v[4:5]
	s_waitcnt lgkmcnt(2)
	v_mul_f64 v[4:5], v[208:209], v[140:141]
	v_add_f64 v[44:45], v[44:45], v[50:51]
	v_mul_f64 v[50:51], v[206:207], v[140:141]
	ds_read_b128 v[218:221], v176 offset:864
	ds_read_b128 v[222:225], v176 offset:880
	v_fma_f64 v[4:5], v[206:207], v[142:143], -v[4:5]
	v_fmac_f64_e32 v[50:51], v[208:209], v[142:143]
	v_add_f64 v[2:3], v[2:3], v[4:5]
	s_waitcnt vmcnt(34) lgkmcnt(3)
	v_mul_f64 v[4:5], v[212:213], v[152:153]
	v_add_f64 v[44:45], v[44:45], v[50:51]
	v_mul_f64 v[50:51], v[210:211], v[152:153]
	s_waitcnt vmcnt(32)
	v_fma_f64 v[4:5], v[210:211], v[154:155], -v[4:5]
	v_fmac_f64_e32 v[50:51], v[212:213], v[154:155]
	v_add_f64 v[2:3], v[2:3], v[4:5]
	s_waitcnt lgkmcnt(2)
	v_mul_f64 v[4:5], v[216:217], v[148:149]
	v_add_f64 v[44:45], v[44:45], v[50:51]
	v_mul_f64 v[50:51], v[214:215], v[148:149]
	ds_read_b128 v[226:229], v176 offset:896
	ds_read_b128 v[230:233], v176 offset:912
	v_fma_f64 v[4:5], v[214:215], v[150:151], -v[4:5]
	v_fmac_f64_e32 v[50:51], v[216:217], v[150:151]
	v_add_f64 v[2:3], v[2:3], v[4:5]
	s_waitcnt vmcnt(26) lgkmcnt(3)
	v_mul_f64 v[4:5], v[220:221], v[160:161]
	v_add_f64 v[44:45], v[44:45], v[50:51]
	v_mul_f64 v[50:51], v[218:219], v[160:161]
	s_waitcnt vmcnt(24)
	v_fma_f64 v[4:5], v[218:219], v[162:163], -v[4:5]
	v_fmac_f64_e32 v[50:51], v[220:221], v[162:163]
	v_add_f64 v[2:3], v[2:3], v[4:5]
	s_waitcnt lgkmcnt(2)
	v_mul_f64 v[4:5], v[224:225], v[156:157]
	v_add_f64 v[44:45], v[44:45], v[50:51]
	v_mul_f64 v[50:51], v[222:223], v[156:157]
	ds_read_b128 v[244:247], v176 offset:928
	ds_read_b128 v[248:251], v176 offset:944
	v_fma_f64 v[4:5], v[222:223], v[158:159], -v[4:5]
	v_fmac_f64_e32 v[50:51], v[224:225], v[158:159]
	v_add_f64 v[2:3], v[2:3], v[4:5]
	s_waitcnt vmcnt(18) lgkmcnt(3)
	v_mul_f64 v[4:5], v[228:229], v[52:53]
	v_add_f64 v[44:45], v[44:45], v[50:51]
	v_mul_f64 v[50:51], v[226:227], v[52:53]
	s_waitcnt vmcnt(16)
	v_fma_f64 v[4:5], v[226:227], v[54:55], -v[4:5]
	v_fmac_f64_e32 v[50:51], v[228:229], v[54:55]
	v_add_f64 v[2:3], v[2:3], v[4:5]
	s_waitcnt lgkmcnt(2)
	v_mul_f64 v[4:5], v[232:233], v[46:47]
	v_add_f64 v[44:45], v[44:45], v[50:51]
	v_mul_f64 v[50:51], v[230:231], v[46:47]
	ds_read_b128 v[252:255], v176 offset:960
	ds_read_b128 v[234:237], v176 offset:976
	v_fma_f64 v[4:5], v[230:231], v[48:49], -v[4:5]
	v_fmac_f64_e32 v[50:51], v[232:233], v[48:49]
	v_add_f64 v[2:3], v[2:3], v[4:5]
	s_waitcnt vmcnt(10) lgkmcnt(3)
	v_mul_f64 v[4:5], v[246:247], v[60:61]
	v_add_f64 v[44:45], v[44:45], v[50:51]
	v_mul_f64 v[50:51], v[244:245], v[60:61]
	s_waitcnt vmcnt(8)
	v_fma_f64 v[4:5], v[244:245], v[62:63], -v[4:5]
	v_fmac_f64_e32 v[50:51], v[246:247], v[62:63]
	v_add_f64 v[2:3], v[2:3], v[4:5]
	s_waitcnt lgkmcnt(2)
	v_mul_f64 v[4:5], v[250:251], v[56:57]
	v_add_f64 v[44:45], v[44:45], v[50:51]
	v_mul_f64 v[50:51], v[248:249], v[56:57]
	v_fma_f64 v[4:5], v[248:249], v[58:59], -v[4:5]
	v_fmac_f64_e32 v[50:51], v[250:251], v[58:59]
	v_add_f64 v[2:3], v[2:3], v[4:5]
	s_waitcnt vmcnt(2) lgkmcnt(1)
	v_mul_f64 v[4:5], v[254:255], v[68:69]
	v_add_f64 v[44:45], v[44:45], v[50:51]
	v_mul_f64 v[50:51], v[252:253], v[68:69]
	s_waitcnt vmcnt(0)
	v_fma_f64 v[4:5], v[252:253], v[70:71], -v[4:5]
	v_fmac_f64_e32 v[50:51], v[254:255], v[70:71]
	v_add_f64 v[2:3], v[2:3], v[4:5]
	s_waitcnt lgkmcnt(0)
	v_mul_f64 v[4:5], v[236:237], v[64:65]
	v_add_f64 v[44:45], v[44:45], v[50:51]
	v_mul_f64 v[50:51], v[234:235], v[64:65]
	v_fma_f64 v[4:5], v[234:235], v[66:67], -v[4:5]
	v_fmac_f64_e32 v[50:51], v[236:237], v[66:67]
	v_add_f64 v[2:3], v[2:3], v[4:5]
	v_add_f64 v[44:45], v[44:45], v[50:51]
	v_add_f64 v[2:3], v[34:35], -v[2:3]
	v_add_f64 v[4:5], v[32:33], -v[44:45]
	buffer_store_dword v3, off, s[0:3], 0 offset:84
	buffer_store_dword v2, off, s[0:3], 0 offset:80
	;; [unrolled: 1-line block ×4, first 2 shown]
	s_and_saveexec_b64 s[6:7], vcc
	s_cbranch_execz .LBB30_191
; %bb.190:
	v_accvgpr_read_b32 v5, a81
	buffer_load_dword v2, v5, s[0:3], 0 offen
	buffer_load_dword v3, v5, s[0:3], 0 offen offset:4
	buffer_load_dword v4, v5, s[0:3], 0 offen offset:8
	s_nop 0
	buffer_load_dword v5, v5, s[0:3], 0 offen offset:12
	s_nop 0
	buffer_store_dword v176, off, s[0:3], 0 offset:64
	buffer_store_dword v176, off, s[0:3], 0 offset:68
	;; [unrolled: 1-line block ×4, first 2 shown]
	s_waitcnt vmcnt(4)
	ds_write_b128 v1, v[2:5]
.LBB30_191:
	s_or_b64 exec, exec, s[6:7]
	s_waitcnt lgkmcnt(0)
	; wave barrier
	s_waitcnt lgkmcnt(0)
	buffer_load_dword v26, off, s[0:3], 0 offset:80
	buffer_load_dword v27, off, s[0:3], 0 offset:84
	;; [unrolled: 1-line block ×24, first 2 shown]
	ds_read_b128 v[22:25], v176 offset:576
	ds_read_b128 v[18:21], v176 offset:592
	;; [unrolled: 1-line block ×6, first 2 shown]
	buffer_load_dword v113, off, s[0:3], 0 offset:188
	buffer_load_dword v112, off, s[0:3], 0 offset:184
	;; [unrolled: 1-line block ×40, first 2 shown]
	v_cmp_lt_u32_e32 vcc, 3, v243
	s_waitcnt vmcnt(60) lgkmcnt(5)
	v_mul_f64 v[44:45], v[22:23], v[28:29]
	v_fmac_f64_e32 v[44:45], v[24:25], v[26:27]
	s_waitcnt vmcnt(58) lgkmcnt(4)
	v_mul_f64 v[46:47], v[18:19], v[30:31]
	v_add_f64 v[44:45], v[44:45], 0
	s_waitcnt vmcnt(56) lgkmcnt(3)
	v_mul_f64 v[48:49], v[10:11], v[32:33]
	v_mul_f64 v[24:25], v[24:25], v[28:29]
	s_waitcnt vmcnt(54) lgkmcnt(1)
	v_mul_f64 v[52:53], v[2:3], v[38:39]
	v_fma_f64 v[22:23], v[22:23], v[26:27], -v[24:25]
	v_add_f64 v[22:23], v[22:23], 0
	s_waitcnt vmcnt(51)
	v_mul_f64 v[50:51], v[6:7], v[104:105]
	s_waitcnt vmcnt(49)
	v_fmac_f64_e32 v[46:47], v[20:21], v[110:111]
	v_add_f64 v[44:45], v[44:45], v[46:47]
	s_waitcnt vmcnt(47)
	v_fmac_f64_e32 v[48:49], v[12:13], v[108:109]
	v_add_f64 v[44:45], v[44:45], v[48:49]
	;; [unrolled: 3-line block ×3, first 2 shown]
	buffer_load_dword v153, off, s[0:3], 0 offset:348
	buffer_load_dword v152, off, s[0:3], 0 offset:344
	;; [unrolled: 1-line block ×40, first 2 shown]
	s_waitcnt vmcnt(62)
	v_fmac_f64_e32 v[52:53], v[4:5], v[40:41]
	v_add_f64 v[44:45], v[44:45], v[52:53]
	ds_read_b128 v[178:181], v176 offset:672
	buffer_load_dword v53, off, s[0:3], 0 offset:492
	buffer_load_dword v52, off, s[0:3], 0 offset:488
	;; [unrolled: 1-line block ×4, first 2 shown]
	v_mul_f64 v[20:21], v[20:21], v[30:31]
	v_fma_f64 v[18:19], v[18:19], v[110:111], -v[20:21]
	v_mul_f64 v[12:13], v[12:13], v[32:33]
	ds_read_b128 v[182:185], v176 offset:688
	ds_read_b128 v[186:189], v176 offset:704
	v_add_f64 v[18:19], v[22:23], v[18:19]
	v_fma_f64 v[10:11], v[10:11], v[108:109], -v[12:13]
	v_mul_f64 v[8:9], v[8:9], v[104:105]
	s_waitcnt lgkmcnt(3)
	v_mul_f64 v[46:47], v[14:15], v[116:117]
	v_add_f64 v[10:11], v[18:19], v[10:11]
	v_fma_f64 v[6:7], v[6:7], v[106:107], -v[8:9]
	v_mul_f64 v[4:5], v[4:5], v[38:39]
	v_fmac_f64_e32 v[46:47], v[16:17], v[118:119]
	v_add_f64 v[6:7], v[10:11], v[6:7]
	v_fma_f64 v[2:3], v[2:3], v[40:41], -v[4:5]
	v_mul_f64 v[4:5], v[16:17], v[116:117]
	v_add_f64 v[44:45], v[44:45], v[46:47]
	s_waitcnt lgkmcnt(2)
	v_mul_f64 v[46:47], v[178:179], v[112:113]
	v_add_f64 v[2:3], v[6:7], v[2:3]
	v_fma_f64 v[4:5], v[14:15], v[118:119], -v[4:5]
	v_fmac_f64_e32 v[46:47], v[180:181], v[114:115]
	ds_read_b128 v[190:193], v176 offset:720
	ds_read_b128 v[194:197], v176 offset:736
	v_add_f64 v[2:3], v[2:3], v[4:5]
	v_mul_f64 v[4:5], v[180:181], v[112:113]
	v_add_f64 v[44:45], v[44:45], v[46:47]
	s_waitcnt lgkmcnt(3)
	v_mul_f64 v[46:47], v[182:183], v[124:125]
	v_fma_f64 v[4:5], v[178:179], v[114:115], -v[4:5]
	v_fmac_f64_e32 v[46:47], v[184:185], v[126:127]
	v_add_f64 v[2:3], v[2:3], v[4:5]
	v_mul_f64 v[4:5], v[184:185], v[124:125]
	v_add_f64 v[44:45], v[44:45], v[46:47]
	s_waitcnt lgkmcnt(2)
	v_mul_f64 v[46:47], v[186:187], v[120:121]
	v_fma_f64 v[4:5], v[182:183], v[126:127], -v[4:5]
	v_fmac_f64_e32 v[46:47], v[188:189], v[122:123]
	ds_read_b128 v[198:201], v176 offset:752
	ds_read_b128 v[206:209], v176 offset:768
	v_add_f64 v[2:3], v[2:3], v[4:5]
	v_mul_f64 v[4:5], v[188:189], v[120:121]
	v_add_f64 v[44:45], v[44:45], v[46:47]
	s_waitcnt vmcnt(62) lgkmcnt(3)
	v_mul_f64 v[46:47], v[190:191], v[132:133]
	v_fma_f64 v[4:5], v[186:187], v[122:123], -v[4:5]
	s_waitcnt vmcnt(60)
	v_fmac_f64_e32 v[46:47], v[192:193], v[134:135]
	v_add_f64 v[2:3], v[2:3], v[4:5]
	v_mul_f64 v[4:5], v[192:193], v[132:133]
	v_add_f64 v[44:45], v[44:45], v[46:47]
	s_waitcnt lgkmcnt(2)
	v_mul_f64 v[46:47], v[194:195], v[128:129]
	v_fma_f64 v[4:5], v[190:191], v[134:135], -v[4:5]
	v_fmac_f64_e32 v[46:47], v[196:197], v[130:131]
	ds_read_b128 v[210:213], v176 offset:784
	ds_read_b128 v[214:217], v176 offset:800
	v_add_f64 v[2:3], v[2:3], v[4:5]
	v_mul_f64 v[4:5], v[196:197], v[128:129]
	v_add_f64 v[44:45], v[44:45], v[46:47]
	s_waitcnt vmcnt(54) lgkmcnt(3)
	v_mul_f64 v[46:47], v[198:199], v[140:141]
	v_fma_f64 v[4:5], v[194:195], v[130:131], -v[4:5]
	s_waitcnt vmcnt(52)
	;; [unrolled: 17-line block ×6, first 2 shown]
	v_fmac_f64_e32 v[46:47], v[236:237], v[174:175]
	v_add_f64 v[2:3], v[2:3], v[4:5]
	v_mul_f64 v[4:5], v[236:237], v[172:173]
	v_add_f64 v[44:45], v[44:45], v[46:47]
	s_waitcnt lgkmcnt(2)
	v_mul_f64 v[46:47], v[244:245], v[168:169]
	v_fma_f64 v[4:5], v[234:235], v[174:175], -v[4:5]
	v_fmac_f64_e32 v[46:47], v[246:247], v[170:171]
	v_add_f64 v[2:3], v[2:3], v[4:5]
	v_mul_f64 v[4:5], v[246:247], v[168:169]
	v_add_f64 v[44:45], v[44:45], v[46:47]
	s_waitcnt vmcnt(14) lgkmcnt(1)
	v_mul_f64 v[46:47], v[248:249], v[54:55]
	ds_read_b128 v[238:241], v176 offset:944
	ds_read_b128 v[202:205], v176 offset:960
	v_fma_f64 v[4:5], v[244:245], v[170:171], -v[4:5]
	s_waitcnt vmcnt(12)
	v_fmac_f64_e32 v[46:47], v[250:251], v[56:57]
	v_add_f64 v[2:3], v[2:3], v[4:5]
	v_mul_f64 v[4:5], v[250:251], v[54:55]
	v_add_f64 v[44:45], v[44:45], v[46:47]
	s_waitcnt lgkmcnt(2)
	v_mul_f64 v[46:47], v[252:253], v[48:49]
	v_fma_f64 v[4:5], v[248:249], v[56:57], -v[4:5]
	v_fmac_f64_e32 v[46:47], v[254:255], v[50:51]
	v_add_f64 v[2:3], v[2:3], v[4:5]
	v_mul_f64 v[4:5], v[254:255], v[48:49]
	v_add_f64 v[68:69], v[44:45], v[46:47]
	ds_read_b128 v[44:47], v176 offset:976
	v_fma_f64 v[4:5], v[252:253], v[50:51], -v[4:5]
	v_add_f64 v[2:3], v[2:3], v[4:5]
	s_waitcnt vmcnt(6) lgkmcnt(2)
	v_mul_f64 v[4:5], v[240:241], v[62:63]
	v_mul_f64 v[70:71], v[238:239], v[62:63]
	s_waitcnt vmcnt(4)
	v_fma_f64 v[4:5], v[238:239], v[64:65], -v[4:5]
	v_fmac_f64_e32 v[70:71], v[240:241], v[64:65]
	v_add_f64 v[2:3], v[2:3], v[4:5]
	s_waitcnt lgkmcnt(1)
	v_mul_f64 v[4:5], v[204:205], v[58:59]
	v_add_f64 v[68:69], v[68:69], v[70:71]
	v_mul_f64 v[70:71], v[202:203], v[58:59]
	v_fma_f64 v[4:5], v[202:203], v[60:61], -v[4:5]
	v_fmac_f64_e32 v[70:71], v[204:205], v[60:61]
	v_add_f64 v[2:3], v[2:3], v[4:5]
	s_waitcnt vmcnt(2) lgkmcnt(0)
	v_mul_f64 v[4:5], v[46:47], v[52:53]
	v_add_f64 v[68:69], v[68:69], v[70:71]
	v_mul_f64 v[70:71], v[44:45], v[52:53]
	s_waitcnt vmcnt(0)
	v_fma_f64 v[4:5], v[44:45], v[66:67], -v[4:5]
	v_fmac_f64_e32 v[70:71], v[46:47], v[66:67]
	v_add_f64 v[2:3], v[2:3], v[4:5]
	v_add_f64 v[68:69], v[68:69], v[70:71]
	v_add_f64 v[2:3], v[36:37], -v[2:3]
	v_add_f64 v[4:5], v[34:35], -v[68:69]
	buffer_store_dword v3, off, s[0:3], 0 offset:68
	buffer_store_dword v2, off, s[0:3], 0 offset:64
	;; [unrolled: 1-line block ×4, first 2 shown]
	s_and_saveexec_b64 s[6:7], vcc
	s_cbranch_execz .LBB30_193
; %bb.192:
	buffer_load_dword v2, v242, s[0:3], 0 offen
	buffer_load_dword v3, v242, s[0:3], 0 offen offset:4
	buffer_load_dword v4, v242, s[0:3], 0 offen offset:8
	;; [unrolled: 1-line block ×3, first 2 shown]
	v_mov_b32_e32 v6, 0
	buffer_store_dword v6, off, s[0:3], 0 offset:48
	buffer_store_dword v6, off, s[0:3], 0 offset:52
	;; [unrolled: 1-line block ×4, first 2 shown]
	s_waitcnt vmcnt(4)
	ds_write_b128 v1, v[2:5]
.LBB30_193:
	s_or_b64 exec, exec, s[6:7]
	s_waitcnt lgkmcnt(0)
	; wave barrier
	s_waitcnt lgkmcnt(0)
	buffer_load_dword v30, off, s[0:3], 0 offset:64
	buffer_load_dword v31, off, s[0:3], 0 offset:68
	;; [unrolled: 1-line block ×56, first 2 shown]
	v_mov_b32_e32 v196, 0
	ds_read_b128 v[26:29], v196 offset:560
	ds_read_b128 v[22:25], v196 offset:576
	;; [unrolled: 1-line block ×7, first 2 shown]
	buffer_load_dword v149, off, s[0:3], 0 offset:300
	buffer_load_dword v148, off, s[0:3], 0 offset:296
	;; [unrolled: 1-line block ×56, first 2 shown]
	ds_read_b128 v[190:193], v196 offset:704
	ds_read_b128 v[198:201], v196 offset:720
	;; [unrolled: 1-line block ×15, first 2 shown]
	v_cmp_lt_u32_e32 vcc, 2, v243
	ds_read_b128 v[186:189], v196 offset:688
	ds_read_b128 v[56:59], v196 offset:976
	s_waitcnt vmcnt(62) lgkmcnt(14)
	v_mul_f64 v[44:45], v[26:27], v[34:35]
	v_fmac_f64_e32 v[44:45], v[28:29], v[30:31]
	v_add_f64 v[44:45], v[44:45], 0
	v_mul_f64 v[28:29], v[28:29], v[34:35]
	v_mul_f64 v[46:47], v[22:23], v[36:37]
	v_fmac_f64_e32 v[46:47], v[24:25], v[32:33]
	v_mul_f64 v[48:49], v[18:19], v[38:39]
	v_add_f64 v[44:45], v[44:45], v[46:47]
	v_mul_f64 v[52:53], v[10:11], v[40:41]
	v_fma_f64 v[26:27], v[26:27], v[30:31], -v[28:29]
	v_fmac_f64_e32 v[52:53], v[12:13], v[104:105]
	v_mul_f64 v[24:25], v[24:25], v[36:37]
	v_mul_f64 v[50:51], v[14:15], v[110:111]
	v_add_f64 v[26:27], v[26:27], 0
	v_fma_f64 v[22:23], v[22:23], v[32:33], -v[24:25]
	v_add_f64 v[22:23], v[26:27], v[22:23]
	v_mul_f64 v[172:173], v[6:7], v[116:117]
	v_mul_f64 v[12:13], v[12:13], v[40:41]
	v_fmac_f64_e32 v[48:49], v[20:21], v[122:123]
	v_add_f64 v[44:45], v[44:45], v[48:49]
	v_fmac_f64_e32 v[50:51], v[16:17], v[120:121]
	v_add_f64 v[44:45], v[44:45], v[50:51]
	v_add_f64 v[178:179], v[44:45], v[52:53]
	ds_read_b128 v[44:47], v196 offset:672
	v_fmac_f64_e32 v[172:173], v[8:9], v[118:119]
	v_mul_f64 v[50:51], v[2:3], v[112:113]
	v_mul_f64 v[20:21], v[20:21], v[38:39]
	v_add_f64 v[48:49], v[178:179], v[172:173]
	v_fmac_f64_e32 v[50:51], v[4:5], v[114:115]
	v_fma_f64 v[18:19], v[18:19], v[122:123], -v[20:21]
	v_mul_f64 v[16:17], v[16:17], v[110:111]
	v_add_f64 v[48:49], v[48:49], v[50:51]
	s_waitcnt lgkmcnt(0)
	v_mul_f64 v[50:51], v[44:45], v[128:129]
	v_add_f64 v[18:19], v[22:23], v[18:19]
	v_fma_f64 v[14:15], v[14:15], v[120:121], -v[16:17]
	v_fmac_f64_e32 v[50:51], v[46:47], v[130:131]
	v_add_f64 v[14:15], v[18:19], v[14:15]
	v_fma_f64 v[10:11], v[10:11], v[104:105], -v[12:13]
	v_mul_f64 v[8:9], v[8:9], v[116:117]
	v_add_f64 v[48:49], v[48:49], v[50:51]
	v_mul_f64 v[50:51], v[186:187], v[124:125]
	v_add_f64 v[10:11], v[14:15], v[10:11]
	v_fma_f64 v[6:7], v[6:7], v[118:119], -v[8:9]
	v_mul_f64 v[4:5], v[4:5], v[112:113]
	v_fmac_f64_e32 v[50:51], v[188:189], v[126:127]
	v_add_f64 v[6:7], v[10:11], v[6:7]
	v_fma_f64 v[2:3], v[2:3], v[114:115], -v[4:5]
	v_mul_f64 v[4:5], v[46:47], v[128:129]
	v_add_f64 v[48:49], v[48:49], v[50:51]
	v_mul_f64 v[50:51], v[190:191], v[136:137]
	v_add_f64 v[2:3], v[6:7], v[2:3]
	v_fma_f64 v[4:5], v[44:45], v[130:131], -v[4:5]
	v_fmac_f64_e32 v[50:51], v[192:193], v[138:139]
	v_add_f64 v[2:3], v[2:3], v[4:5]
	v_mul_f64 v[4:5], v[188:189], v[124:125]
	v_add_f64 v[48:49], v[48:49], v[50:51]
	v_mul_f64 v[50:51], v[198:199], v[132:133]
	v_fma_f64 v[4:5], v[186:187], v[126:127], -v[4:5]
	v_fmac_f64_e32 v[50:51], v[200:201], v[134:135]
	v_add_f64 v[2:3], v[2:3], v[4:5]
	v_mul_f64 v[4:5], v[192:193], v[136:137]
	v_add_f64 v[48:49], v[48:49], v[50:51]
	s_waitcnt vmcnt(58)
	v_mul_f64 v[50:51], v[202:203], v[144:145]
	v_fma_f64 v[4:5], v[190:191], v[138:139], -v[4:5]
	s_waitcnt vmcnt(56)
	v_fmac_f64_e32 v[50:51], v[204:205], v[146:147]
	v_add_f64 v[2:3], v[2:3], v[4:5]
	v_mul_f64 v[4:5], v[200:201], v[132:133]
	v_add_f64 v[48:49], v[48:49], v[50:51]
	v_mul_f64 v[50:51], v[206:207], v[140:141]
	v_fma_f64 v[4:5], v[198:199], v[134:135], -v[4:5]
	v_fmac_f64_e32 v[50:51], v[208:209], v[142:143]
	v_add_f64 v[2:3], v[2:3], v[4:5]
	v_mul_f64 v[4:5], v[204:205], v[144:145]
	v_add_f64 v[48:49], v[48:49], v[50:51]
	s_waitcnt vmcnt(50)
	v_mul_f64 v[50:51], v[210:211], v[152:153]
	v_fma_f64 v[4:5], v[202:203], v[146:147], -v[4:5]
	s_waitcnt vmcnt(48)
	;; [unrolled: 14-line block ×6, first 2 shown]
	v_fmac_f64_e32 v[50:51], v[246:247], v[64:65]
	v_add_f64 v[2:3], v[2:3], v[4:5]
	v_mul_f64 v[4:5], v[240:241], v[174:175]
	v_add_f64 v[48:49], v[48:49], v[50:51]
	v_mul_f64 v[50:51], v[248:249], v[184:185]
	v_fma_f64 v[4:5], v[238:239], v[176:177], -v[4:5]
	v_fmac_f64_e32 v[50:51], v[250:251], v[60:61]
	v_add_f64 v[2:3], v[2:3], v[4:5]
	v_mul_f64 v[4:5], v[246:247], v[62:63]
	v_add_f64 v[52:53], v[48:49], v[50:51]
	ds_read_b128 v[48:51], v196 offset:944
	s_waitcnt vmcnt(10)
	v_mul_f64 v[54:55], v[252:253], v[70:71]
	v_fma_f64 v[4:5], v[244:245], v[64:65], -v[4:5]
	s_waitcnt vmcnt(8)
	v_fmac_f64_e32 v[54:55], v[254:255], v[72:73]
	v_add_f64 v[2:3], v[2:3], v[4:5]
	v_mul_f64 v[4:5], v[250:251], v[184:185]
	v_add_f64 v[172:173], v[52:53], v[54:55]
	ds_read_b128 v[52:55], v196 offset:960
	v_fma_f64 v[4:5], v[248:249], v[60:61], -v[4:5]
	v_add_f64 v[2:3], v[2:3], v[4:5]
	v_mul_f64 v[4:5], v[254:255], v[70:71]
	v_fma_f64 v[4:5], v[252:253], v[72:73], -v[4:5]
	v_add_f64 v[2:3], v[2:3], v[4:5]
	s_waitcnt lgkmcnt(1)
	v_mul_f64 v[4:5], v[50:51], v[66:67]
	v_mul_f64 v[178:179], v[48:49], v[66:67]
	v_fma_f64 v[4:5], v[48:49], v[68:69], -v[4:5]
	v_fmac_f64_e32 v[178:179], v[50:51], v[68:69]
	v_add_f64 v[2:3], v[2:3], v[4:5]
	s_waitcnt vmcnt(2) lgkmcnt(0)
	v_mul_f64 v[4:5], v[54:55], v[78:79]
	v_add_f64 v[172:173], v[172:173], v[178:179]
	v_mul_f64 v[178:179], v[52:53], v[78:79]
	s_waitcnt vmcnt(0)
	v_fma_f64 v[4:5], v[52:53], v[194:195], -v[4:5]
	v_fmac_f64_e32 v[178:179], v[54:55], v[194:195]
	v_add_f64 v[2:3], v[2:3], v[4:5]
	v_mul_f64 v[4:5], v[58:59], v[74:75]
	v_add_f64 v[172:173], v[172:173], v[178:179]
	v_mul_f64 v[178:179], v[56:57], v[74:75]
	v_fma_f64 v[4:5], v[56:57], v[76:77], -v[4:5]
	v_fmac_f64_e32 v[178:179], v[58:59], v[76:77]
	v_add_f64 v[2:3], v[2:3], v[4:5]
	v_add_f64 v[172:173], v[172:173], v[178:179]
	v_add_f64 v[2:3], v[108:109], -v[2:3]
	v_add_f64 v[4:5], v[106:107], -v[172:173]
	buffer_store_dword v3, off, s[0:3], 0 offset:52
	buffer_store_dword v2, off, s[0:3], 0 offset:48
	;; [unrolled: 1-line block ×4, first 2 shown]
	s_and_saveexec_b64 s[6:7], vcc
	s_cbranch_execz .LBB30_195
; %bb.194:
	v_accvgpr_read_b32 v5, a83
	buffer_load_dword v2, v5, s[0:3], 0 offen
	buffer_load_dword v3, v5, s[0:3], 0 offen offset:4
	buffer_load_dword v4, v5, s[0:3], 0 offen offset:8
	s_nop 0
	buffer_load_dword v5, v5, s[0:3], 0 offen offset:12
	s_nop 0
	buffer_store_dword v196, off, s[0:3], 0 offset:32
	buffer_store_dword v196, off, s[0:3], 0 offset:36
	;; [unrolled: 1-line block ×4, first 2 shown]
	s_waitcnt vmcnt(4)
	ds_write_b128 v1, v[2:5]
.LBB30_195:
	s_or_b64 exec, exec, s[6:7]
	s_waitcnt lgkmcnt(0)
	; wave barrier
	s_waitcnt lgkmcnt(0)
	buffer_load_dword v34, off, s[0:3], 0 offset:48
	buffer_load_dword v35, off, s[0:3], 0 offset:52
	;; [unrolled: 1-line block ×32, first 2 shown]
	ds_read_b128 v[30:33], v196 offset:544
	ds_read_b128 v[26:29], v196 offset:560
	ds_read_b128 v[22:25], v196 offset:576
	ds_read_b128 v[18:21], v196 offset:592
	ds_read_b128 v[10:13], v196 offset:608
	ds_read_b128 v[6:9], v196 offset:624
	ds_read_b128 v[2:5], v196 offset:640
	ds_read_b128 v[14:17], v196 offset:656
	buffer_load_dword v129, off, s[0:3], 0 offset:188
	buffer_load_dword v128, off, s[0:3], 0 offset:184
	;; [unrolled: 1-line block ×80, first 2 shown]
	v_cmp_lt_u32_e32 vcc, 1, v243
	s_waitcnt vmcnt(62) lgkmcnt(7)
	v_mul_f64 v[44:45], v[30:31], v[38:39]
	v_fmac_f64_e32 v[44:45], v[32:33], v[34:35]
	v_add_f64 v[44:45], v[44:45], 0
	v_mul_f64 v[32:33], v[32:33], v[38:39]
	s_waitcnt lgkmcnt(6)
	v_mul_f64 v[46:47], v[26:27], v[40:41]
	v_fmac_f64_e32 v[46:47], v[28:29], v[36:37]
	s_waitcnt lgkmcnt(5)
	v_mul_f64 v[48:49], v[22:23], v[104:105]
	v_add_f64 v[44:45], v[44:45], v[46:47]
	s_waitcnt lgkmcnt(4)
	v_mul_f64 v[50:51], v[18:19], v[110:111]
	v_fma_f64 v[30:31], v[30:31], v[34:35], -v[32:33]
	s_waitcnt lgkmcnt(1)
	v_mul_f64 v[184:185], v[2:3], v[112:113]
	v_mul_f64 v[28:29], v[28:29], v[40:41]
	v_add_f64 v[30:31], v[30:31], 0
	v_mul_f64 v[54:55], v[6:7], v[116:117]
	v_fma_f64 v[26:27], v[26:27], v[36:37], -v[28:29]
	v_mul_f64 v[52:53], v[10:11], v[118:119]
	v_add_f64 v[26:27], v[30:31], v[26:27]
	v_fmac_f64_e32 v[52:53], v[12:13], v[120:121]
	v_mul_f64 v[12:13], v[12:13], v[118:119]
	v_fmac_f64_e32 v[48:49], v[24:25], v[126:127]
	v_add_f64 v[44:45], v[44:45], v[48:49]
	v_fmac_f64_e32 v[50:51], v[20:21], v[124:125]
	v_add_f64 v[44:45], v[44:45], v[50:51]
	;; [unrolled: 2-line block ×3, first 2 shown]
	v_add_f64 v[186:187], v[44:45], v[54:55]
	ds_read_b128 v[44:47], v196 offset:672
	buffer_load_dword v81, off, s[0:3], 0 offset:492
	buffer_load_dword v80, off, s[0:3], 0 offset:488
	;; [unrolled: 1-line block ×4, first 2 shown]
	v_fmac_f64_e32 v[184:185], v[4:5], v[114:115]
	s_waitcnt lgkmcnt(1)
	v_mul_f64 v[50:51], v[14:15], v[132:133]
	v_add_f64 v[48:49], v[186:187], v[184:185]
	v_fmac_f64_e32 v[50:51], v[16:17], v[134:135]
	v_add_f64 v[52:53], v[48:49], v[50:51]
	ds_read_b128 v[48:51], v196 offset:688
	v_mul_f64 v[24:25], v[24:25], v[104:105]
	v_fma_f64 v[22:23], v[22:23], v[126:127], -v[24:25]
	v_mul_f64 v[20:21], v[20:21], v[110:111]
	v_add_f64 v[22:23], v[26:27], v[22:23]
	v_fma_f64 v[18:19], v[18:19], v[124:125], -v[20:21]
	s_waitcnt lgkmcnt(1)
	v_mul_f64 v[54:55], v[44:45], v[128:129]
	v_add_f64 v[18:19], v[22:23], v[18:19]
	v_fma_f64 v[10:11], v[10:11], v[120:121], -v[12:13]
	v_mul_f64 v[8:9], v[8:9], v[116:117]
	v_fmac_f64_e32 v[54:55], v[46:47], v[130:131]
	v_add_f64 v[10:11], v[18:19], v[10:11]
	v_fma_f64 v[6:7], v[6:7], v[122:123], -v[8:9]
	v_mul_f64 v[4:5], v[4:5], v[112:113]
	v_add_f64 v[56:57], v[52:53], v[54:55]
	ds_read_b128 v[52:55], v196 offset:704
	s_waitcnt lgkmcnt(1)
	v_mul_f64 v[58:59], v[48:49], v[140:141]
	v_add_f64 v[6:7], v[10:11], v[6:7]
	v_fma_f64 v[2:3], v[2:3], v[114:115], -v[4:5]
	v_mul_f64 v[4:5], v[16:17], v[132:133]
	v_fmac_f64_e32 v[58:59], v[50:51], v[142:143]
	v_add_f64 v[2:3], v[6:7], v[2:3]
	v_fma_f64 v[4:5], v[14:15], v[134:135], -v[4:5]
	v_add_f64 v[60:61], v[56:57], v[58:59]
	ds_read_b128 v[56:59], v196 offset:720
	ds_read_b128 v[184:187], v196 offset:736
	v_add_f64 v[2:3], v[2:3], v[4:5]
	v_mul_f64 v[4:5], v[46:47], v[128:129]
	v_fma_f64 v[4:5], v[44:45], v[130:131], -v[4:5]
	v_add_f64 v[2:3], v[2:3], v[4:5]
	v_mul_f64 v[4:5], v[50:51], v[140:141]
	s_waitcnt lgkmcnt(2)
	v_mul_f64 v[62:63], v[52:53], v[136:137]
	v_fma_f64 v[4:5], v[48:49], v[142:143], -v[4:5]
	v_fmac_f64_e32 v[62:63], v[54:55], v[138:139]
	ds_read_b128 v[198:201], v196 offset:752
	ds_read_b128 v[202:205], v196 offset:768
	v_add_f64 v[2:3], v[2:3], v[4:5]
	v_mul_f64 v[4:5], v[54:55], v[136:137]
	v_add_f64 v[60:61], v[60:61], v[62:63]
	s_waitcnt vmcnt(62) lgkmcnt(3)
	v_mul_f64 v[62:63], v[56:57], v[148:149]
	v_fma_f64 v[4:5], v[52:53], v[138:139], -v[4:5]
	s_waitcnt vmcnt(60)
	v_fmac_f64_e32 v[62:63], v[58:59], v[150:151]
	v_add_f64 v[2:3], v[2:3], v[4:5]
	v_mul_f64 v[4:5], v[58:59], v[148:149]
	v_add_f64 v[60:61], v[60:61], v[62:63]
	s_waitcnt lgkmcnt(2)
	v_mul_f64 v[62:63], v[184:185], v[144:145]
	v_fma_f64 v[4:5], v[56:57], v[150:151], -v[4:5]
	v_fmac_f64_e32 v[62:63], v[186:187], v[146:147]
	ds_read_b128 v[206:209], v196 offset:784
	ds_read_b128 v[210:213], v196 offset:800
	v_add_f64 v[2:3], v[2:3], v[4:5]
	v_mul_f64 v[4:5], v[186:187], v[144:145]
	v_add_f64 v[60:61], v[60:61], v[62:63]
	s_waitcnt vmcnt(54) lgkmcnt(3)
	v_mul_f64 v[62:63], v[198:199], v[156:157]
	v_fma_f64 v[4:5], v[184:185], v[146:147], -v[4:5]
	s_waitcnt vmcnt(52)
	v_fmac_f64_e32 v[62:63], v[200:201], v[158:159]
	v_add_f64 v[2:3], v[2:3], v[4:5]
	v_mul_f64 v[4:5], v[200:201], v[156:157]
	v_add_f64 v[60:61], v[60:61], v[62:63]
	s_waitcnt lgkmcnt(2)
	v_mul_f64 v[62:63], v[202:203], v[152:153]
	v_fma_f64 v[4:5], v[198:199], v[158:159], -v[4:5]
	v_fmac_f64_e32 v[62:63], v[204:205], v[154:155]
	ds_read_b128 v[214:217], v196 offset:816
	ds_read_b128 v[218:221], v196 offset:832
	v_add_f64 v[2:3], v[2:3], v[4:5]
	v_mul_f64 v[4:5], v[204:205], v[152:153]
	v_add_f64 v[60:61], v[60:61], v[62:63]
	s_waitcnt vmcnt(46) lgkmcnt(3)
	v_mul_f64 v[62:63], v[206:207], v[164:165]
	v_fma_f64 v[4:5], v[202:203], v[154:155], -v[4:5]
	s_waitcnt vmcnt(44)
	v_fmac_f64_e32 v[62:63], v[208:209], v[166:167]
	v_add_f64 v[2:3], v[2:3], v[4:5]
	v_mul_f64 v[4:5], v[208:209], v[164:165]
	v_add_f64 v[60:61], v[60:61], v[62:63]
	s_waitcnt lgkmcnt(2)
	v_mul_f64 v[62:63], v[210:211], v[160:161]
	v_fma_f64 v[4:5], v[206:207], v[166:167], -v[4:5]
	v_fmac_f64_e32 v[62:63], v[212:213], v[162:163]
	ds_read_b128 v[222:225], v196 offset:848
	ds_read_b128 v[226:229], v196 offset:864
	v_add_f64 v[2:3], v[2:3], v[4:5]
	v_mul_f64 v[4:5], v[212:213], v[160:161]
	v_add_f64 v[60:61], v[60:61], v[62:63]
	s_waitcnt vmcnt(38) lgkmcnt(3)
	v_mul_f64 v[62:63], v[214:215], v[172:173]
	v_fma_f64 v[4:5], v[210:211], v[162:163], -v[4:5]
	s_waitcnt vmcnt(36)
	v_fmac_f64_e32 v[62:63], v[216:217], v[174:175]
	v_add_f64 v[2:3], v[2:3], v[4:5]
	v_mul_f64 v[4:5], v[216:217], v[172:173]
	v_add_f64 v[60:61], v[60:61], v[62:63]
	s_waitcnt lgkmcnt(2)
	v_mul_f64 v[62:63], v[218:219], v[168:169]
	v_fma_f64 v[4:5], v[214:215], v[174:175], -v[4:5]
	v_fmac_f64_e32 v[62:63], v[220:221], v[170:171]
	ds_read_b128 v[230:233], v196 offset:880
	ds_read_b128 v[234:237], v196 offset:896
	v_add_f64 v[2:3], v[2:3], v[4:5]
	v_mul_f64 v[4:5], v[220:221], v[168:169]
	v_add_f64 v[60:61], v[60:61], v[62:63]
	s_waitcnt vmcnt(30) lgkmcnt(3)
	v_mul_f64 v[62:63], v[222:223], v[180:181]
	v_fma_f64 v[4:5], v[218:219], v[170:171], -v[4:5]
	s_waitcnt vmcnt(28)
	v_fmac_f64_e32 v[62:63], v[224:225], v[182:183]
	v_add_f64 v[2:3], v[2:3], v[4:5]
	v_mul_f64 v[4:5], v[224:225], v[180:181]
	v_add_f64 v[60:61], v[60:61], v[62:63]
	s_waitcnt lgkmcnt(2)
	v_mul_f64 v[62:63], v[226:227], v[176:177]
	v_fma_f64 v[4:5], v[222:223], v[182:183], -v[4:5]
	v_fmac_f64_e32 v[62:63], v[228:229], v[178:179]
	ds_read_b128 v[238:241], v196 offset:912
	ds_read_b128 v[244:247], v196 offset:928
	v_add_f64 v[2:3], v[2:3], v[4:5]
	v_mul_f64 v[4:5], v[228:229], v[176:177]
	v_add_f64 v[60:61], v[60:61], v[62:63]
	s_waitcnt vmcnt(22) lgkmcnt(3)
	v_mul_f64 v[62:63], v[230:231], v[192:193]
	v_fma_f64 v[4:5], v[226:227], v[178:179], -v[4:5]
	s_waitcnt vmcnt(20)
	v_fmac_f64_e32 v[62:63], v[232:233], v[194:195]
	v_add_f64 v[2:3], v[2:3], v[4:5]
	v_mul_f64 v[4:5], v[232:233], v[192:193]
	v_add_f64 v[60:61], v[60:61], v[62:63]
	s_waitcnt lgkmcnt(2)
	v_mul_f64 v[62:63], v[234:235], v[188:189]
	v_fma_f64 v[4:5], v[230:231], v[194:195], -v[4:5]
	v_fmac_f64_e32 v[62:63], v[236:237], v[190:191]
	v_add_f64 v[2:3], v[2:3], v[4:5]
	v_mul_f64 v[4:5], v[236:237], v[188:189]
	v_add_f64 v[60:61], v[60:61], v[62:63]
	s_waitcnt vmcnt(14) lgkmcnt(1)
	v_mul_f64 v[62:63], v[238:239], v[68:69]
	ds_read_b128 v[248:251], v196 offset:944
	ds_read_b128 v[252:255], v196 offset:960
	v_fma_f64 v[4:5], v[234:235], v[190:191], -v[4:5]
	s_waitcnt vmcnt(12)
	v_fmac_f64_e32 v[62:63], v[240:241], v[70:71]
	v_add_f64 v[2:3], v[2:3], v[4:5]
	v_mul_f64 v[4:5], v[240:241], v[68:69]
	v_add_f64 v[60:61], v[60:61], v[62:63]
	s_waitcnt lgkmcnt(2)
	v_mul_f64 v[62:63], v[244:245], v[64:65]
	v_fma_f64 v[4:5], v[238:239], v[70:71], -v[4:5]
	v_fmac_f64_e32 v[62:63], v[246:247], v[66:67]
	v_add_f64 v[2:3], v[2:3], v[4:5]
	v_mul_f64 v[4:5], v[246:247], v[64:65]
	v_add_f64 v[84:85], v[60:61], v[62:63]
	ds_read_b128 v[60:63], v196 offset:976
	v_fma_f64 v[4:5], v[244:245], v[66:67], -v[4:5]
	v_add_f64 v[2:3], v[2:3], v[4:5]
	s_waitcnt vmcnt(6) lgkmcnt(2)
	v_mul_f64 v[4:5], v[250:251], v[76:77]
	v_mul_f64 v[86:87], v[248:249], v[76:77]
	s_waitcnt vmcnt(4)
	v_fma_f64 v[4:5], v[248:249], v[78:79], -v[4:5]
	v_fmac_f64_e32 v[86:87], v[250:251], v[78:79]
	v_add_f64 v[2:3], v[2:3], v[4:5]
	s_waitcnt lgkmcnt(1)
	v_mul_f64 v[4:5], v[254:255], v[72:73]
	v_add_f64 v[84:85], v[84:85], v[86:87]
	v_mul_f64 v[86:87], v[252:253], v[72:73]
	v_fma_f64 v[4:5], v[252:253], v[74:75], -v[4:5]
	v_fmac_f64_e32 v[86:87], v[254:255], v[74:75]
	v_add_f64 v[2:3], v[2:3], v[4:5]
	s_waitcnt vmcnt(2) lgkmcnt(0)
	v_mul_f64 v[4:5], v[62:63], v[80:81]
	v_add_f64 v[84:85], v[84:85], v[86:87]
	v_mul_f64 v[86:87], v[60:61], v[80:81]
	s_waitcnt vmcnt(0)
	v_fma_f64 v[4:5], v[60:61], v[82:83], -v[4:5]
	v_fmac_f64_e32 v[86:87], v[62:63], v[82:83]
	v_add_f64 v[2:3], v[2:3], v[4:5]
	v_add_f64 v[84:85], v[84:85], v[86:87]
	v_add_f64 v[2:3], v[108:109], -v[2:3]
	v_add_f64 v[4:5], v[106:107], -v[84:85]
	buffer_store_dword v3, off, s[0:3], 0 offset:36
	buffer_store_dword v2, off, s[0:3], 0 offset:32
	;; [unrolled: 1-line block ×4, first 2 shown]
	s_and_saveexec_b64 s[6:7], vcc
	s_cbranch_execz .LBB30_197
; %bb.196:
	v_accvgpr_read_b32 v5, a84
	buffer_load_dword v2, v5, s[0:3], 0 offen
	buffer_load_dword v3, v5, s[0:3], 0 offen offset:4
	buffer_load_dword v4, v5, s[0:3], 0 offen offset:8
	s_nop 0
	buffer_load_dword v5, v5, s[0:3], 0 offen offset:12
	v_mov_b32_e32 v6, 0
	buffer_store_dword v6, off, s[0:3], 0 offset:16
	buffer_store_dword v6, off, s[0:3], 0 offset:20
	;; [unrolled: 1-line block ×4, first 2 shown]
	s_waitcnt vmcnt(4)
	ds_write_b128 v1, v[2:5]
.LBB30_197:
	s_or_b64 exec, exec, s[6:7]
	s_waitcnt lgkmcnt(0)
	; wave barrier
	s_waitcnt lgkmcnt(0)
	buffer_load_dword v38, off, s[0:3], 0 offset:32
	buffer_load_dword v39, off, s[0:3], 0 offset:36
	buffer_load_dword v104, off, s[0:3], 0 offset:40
	buffer_load_dword v105, off, s[0:3], 0 offset:44
	buffer_load_dword v40, off, s[0:3], 0 offset:48
	buffer_load_dword v41, off, s[0:3], 0 offset:52
	buffer_load_dword v106, off, s[0:3], 0 offset:56
	buffer_load_dword v107, off, s[0:3], 0 offset:60
	buffer_load_dword v108, off, s[0:3], 0 offset:72
	buffer_load_dword v109, off, s[0:3], 0 offset:76
	buffer_load_dword v111, off, s[0:3], 0 offset:108
	buffer_load_dword v110, off, s[0:3], 0 offset:104
	buffer_load_dword v113, off, s[0:3], 0 offset:100
	buffer_load_dword v112, off, s[0:3], 0 offset:96
	buffer_load_dword v115, off, s[0:3], 0 offset:92
	buffer_load_dword v114, off, s[0:3], 0 offset:88
	buffer_load_dword v117, off, s[0:3], 0 offset:140
	buffer_load_dword v116, off, s[0:3], 0 offset:136
	buffer_load_dword v119, off, s[0:3], 0 offset:132
	buffer_load_dword v118, off, s[0:3], 0 offset:128
	buffer_load_dword v121, off, s[0:3], 0 offset:124
	buffer_load_dword v120, off, s[0:3], 0 offset:120
	buffer_load_dword v127, off, s[0:3], 0 offset:172
	buffer_load_dword v129, off, s[0:3], 0 offset:164
	buffer_load_dword v131, off, s[0:3], 0 offset:156
	buffer_load_dword v130, off, s[0:3], 0 offset:152
	buffer_load_dword v138, off, s[0:3], 0 offset:64
	buffer_load_dword v139, off, s[0:3], 0 offset:68
	buffer_load_dword v137, off, s[0:3], 0 offset:84
	buffer_load_dword v136, off, s[0:3], 0 offset:80
	buffer_load_dword v135, off, s[0:3], 0 offset:116
	buffer_load_dword v134, off, s[0:3], 0 offset:112
	buffer_load_dword v133, off, s[0:3], 0 offset:148
	buffer_load_dword v132, off, s[0:3], 0 offset:144
	buffer_load_dword v126, off, s[0:3], 0 offset:168
	buffer_load_dword v128, off, s[0:3], 0 offset:160
	buffer_load_dword v124, off, s[0:3], 0 offset:16
	buffer_load_dword v125, off, s[0:3], 0 offset:20
	buffer_load_dword v122, off, s[0:3], 0 offset:24
	buffer_load_dword v123, off, s[0:3], 0 offset:28
	buffer_load_dword v141, off, s[0:3], 0 offset:204
	buffer_load_dword v140, off, s[0:3], 0 offset:200
	buffer_load_dword v143, off, s[0:3], 0 offset:196
	buffer_load_dword v142, off, s[0:3], 0 offset:192
	buffer_load_dword v145, off, s[0:3], 0 offset:188
	buffer_load_dword v144, off, s[0:3], 0 offset:184
	buffer_load_dword v147, off, s[0:3], 0 offset:180
	buffer_load_dword v146, off, s[0:3], 0 offset:176
	v_mov_b32_e32 v244, 0
	ds_read_b128 v[34:37], v244 offset:528
	ds_read_b128 v[30:33], v244 offset:544
	;; [unrolled: 1-line block ×9, first 2 shown]
	buffer_load_dword v149, off, s[0:3], 0 offset:236
	buffer_load_dword v148, off, s[0:3], 0 offset:232
	buffer_load_dword v151, off, s[0:3], 0 offset:228
	buffer_load_dword v150, off, s[0:3], 0 offset:224
	buffer_load_dword v153, off, s[0:3], 0 offset:220
	buffer_load_dword v152, off, s[0:3], 0 offset:216
	buffer_load_dword v155, off, s[0:3], 0 offset:212
	buffer_load_dword v154, off, s[0:3], 0 offset:208
	buffer_load_dword v157, off, s[0:3], 0 offset:268
	buffer_load_dword v156, off, s[0:3], 0 offset:264
	buffer_load_dword v159, off, s[0:3], 0 offset:260
	buffer_load_dword v158, off, s[0:3], 0 offset:256
	buffer_load_dword v161, off, s[0:3], 0 offset:252
	buffer_load_dword v160, off, s[0:3], 0 offset:248
	buffer_load_dword v163, off, s[0:3], 0 offset:244
	buffer_load_dword v162, off, s[0:3], 0 offset:240
	buffer_load_dword v165, off, s[0:3], 0 offset:300
	buffer_load_dword v164, off, s[0:3], 0 offset:296
	buffer_load_dword v167, off, s[0:3], 0 offset:292
	buffer_load_dword v166, off, s[0:3], 0 offset:288
	buffer_load_dword v169, off, s[0:3], 0 offset:284
	buffer_load_dword v168, off, s[0:3], 0 offset:280
	buffer_load_dword v171, off, s[0:3], 0 offset:276
	buffer_load_dword v170, off, s[0:3], 0 offset:272
	buffer_load_dword v177, off, s[0:3], 0 offset:332
	buffer_load_dword v176, off, s[0:3], 0 offset:328
	buffer_load_dword v179, off, s[0:3], 0 offset:324
	buffer_load_dword v178, off, s[0:3], 0 offset:320
	buffer_load_dword v181, off, s[0:3], 0 offset:316
	buffer_load_dword v180, off, s[0:3], 0 offset:312
	buffer_load_dword v183, off, s[0:3], 0 offset:308
	buffer_load_dword v182, off, s[0:3], 0 offset:304
	buffer_load_dword v185, off, s[0:3], 0 offset:364
	buffer_load_dword v184, off, s[0:3], 0 offset:360
	buffer_load_dword v187, off, s[0:3], 0 offset:356
	buffer_load_dword v186, off, s[0:3], 0 offset:352
	buffer_load_dword v189, off, s[0:3], 0 offset:348
	buffer_load_dword v188, off, s[0:3], 0 offset:344
	buffer_load_dword v191, off, s[0:3], 0 offset:340
	buffer_load_dword v190, off, s[0:3], 0 offset:336
	buffer_load_dword v193, off, s[0:3], 0 offset:396
	buffer_load_dword v192, off, s[0:3], 0 offset:392
	buffer_load_dword v195, off, s[0:3], 0 offset:388
	buffer_load_dword v194, off, s[0:3], 0 offset:384
	buffer_load_dword v197, off, s[0:3], 0 offset:380
	buffer_load_dword v196, off, s[0:3], 0 offset:376
	buffer_load_dword v199, off, s[0:3], 0 offset:372
	buffer_load_dword v198, off, s[0:3], 0 offset:368
	buffer_load_dword v201, off, s[0:3], 0 offset:428
	buffer_load_dword v200, off, s[0:3], 0 offset:424
	buffer_load_dword v203, off, s[0:3], 0 offset:420
	buffer_load_dword v202, off, s[0:3], 0 offset:416
	buffer_load_dword v77, off, s[0:3], 0 offset:412
	buffer_load_dword v76, off, s[0:3], 0 offset:408
	buffer_load_dword v79, off, s[0:3], 0 offset:404
	buffer_load_dword v78, off, s[0:3], 0 offset:400
	buffer_load_dword v81, off, s[0:3], 0 offset:460
	buffer_load_dword v80, off, s[0:3], 0 offset:456
	buffer_load_dword v83, off, s[0:3], 0 offset:452
	buffer_load_dword v82, off, s[0:3], 0 offset:448
	buffer_load_dword v85, off, s[0:3], 0 offset:444
	buffer_load_dword v84, off, s[0:3], 0 offset:440
	buffer_load_dword v87, off, s[0:3], 0 offset:436
	buffer_load_dword v86, off, s[0:3], 0 offset:432
	buffer_load_dword v241, off, s[0:3], 0 offset:492
	buffer_load_dword v240, off, s[0:3], 0 offset:488
	buffer_load_dword v255, off, s[0:3], 0 offset:484
	buffer_load_dword v254, off, s[0:3], 0 offset:480
	buffer_load_dword v89, off, s[0:3], 0 offset:476
	buffer_load_dword v88, off, s[0:3], 0 offset:472
	buffer_load_dword v91, off, s[0:3], 0 offset:468
	buffer_load_dword v90, off, s[0:3], 0 offset:464
	ds_read_b128 v[204:207], v244 offset:768
	ds_read_b128 v[208:211], v244 offset:784
	;; [unrolled: 1-line block ×11, first 2 shown]
	v_cmp_ne_u32_e32 vcc, 0, v243
	ds_read_b128 v[72:75], v244 offset:976
	s_waitcnt vmcnt(62) lgkmcnt(14)
	v_mul_f64 v[44:45], v[34:35], v[104:105]
	v_fmac_f64_e32 v[44:45], v[36:37], v[38:39]
	v_add_f64 v[44:45], v[44:45], 0
	v_mul_f64 v[36:37], v[36:37], v[104:105]
	v_mul_f64 v[46:47], v[30:31], v[106:107]
	v_fmac_f64_e32 v[46:47], v[32:33], v[40:41]
	v_mul_f64 v[48:49], v[26:27], v[108:109]
	v_add_f64 v[44:45], v[44:45], v[46:47]
	v_mul_f64 v[52:53], v[18:19], v[110:111]
	v_fma_f64 v[34:35], v[34:35], v[38:39], -v[36:37]
	v_fmac_f64_e32 v[52:53], v[20:21], v[112:113]
	v_mul_f64 v[32:33], v[32:33], v[106:107]
	v_mul_f64 v[50:51], v[22:23], v[114:115]
	v_add_f64 v[34:35], v[34:35], 0
	v_mul_f64 v[56:57], v[10:11], v[116:117]
	v_fma_f64 v[30:31], v[30:31], v[40:41], -v[32:33]
	v_fmac_f64_e32 v[56:57], v[12:13], v[118:119]
	v_add_f64 v[30:31], v[34:35], v[30:31]
	v_mul_f64 v[54:55], v[14:15], v[120:121]
	v_mul_f64 v[20:21], v[20:21], v[110:111]
	v_fma_f64 v[18:19], v[18:19], v[112:113], -v[20:21]
	v_mul_f64 v[12:13], v[12:13], v[116:117]
	s_waitcnt lgkmcnt(13)
	v_mul_f64 v[172:173], v[6:7], v[130:131]
	v_fma_f64 v[10:11], v[10:11], v[118:119], -v[12:13]
	v_fmac_f64_e32 v[48:49], v[28:29], v[138:139]
	v_add_f64 v[44:45], v[44:45], v[48:49]
	v_fmac_f64_e32 v[50:51], v[24:25], v[136:137]
	v_add_f64 v[44:45], v[44:45], v[50:51]
	;; [unrolled: 2-line block ×3, first 2 shown]
	v_add_f64 v[44:45], v[44:45], v[54:55]
	v_add_f64 v[174:175], v[44:45], v[56:57]
	ds_read_b128 v[44:47], v244 offset:672
	v_fmac_f64_e32 v[172:173], v[8:9], v[132:133]
	s_waitcnt lgkmcnt(13)
	v_mul_f64 v[50:51], v[2:3], v[126:127]
	v_add_f64 v[48:49], v[174:175], v[172:173]
	v_fmac_f64_e32 v[50:51], v[4:5], v[128:129]
	v_add_f64 v[52:53], v[48:49], v[50:51]
	ds_read_b128 v[48:51], v244 offset:688
	s_waitcnt lgkmcnt(1)
	v_mul_f64 v[54:55], v[44:45], v[144:145]
	v_fmac_f64_e32 v[54:55], v[46:47], v[146:147]
	v_add_f64 v[56:57], v[52:53], v[54:55]
	ds_read_b128 v[52:55], v244 offset:704
	v_mul_f64 v[28:29], v[28:29], v[108:109]
	v_fma_f64 v[26:27], v[26:27], v[138:139], -v[28:29]
	v_mul_f64 v[24:25], v[24:25], v[114:115]
	v_add_f64 v[26:27], v[30:31], v[26:27]
	v_fma_f64 v[22:23], v[22:23], v[136:137], -v[24:25]
	s_waitcnt lgkmcnt(1)
	v_mul_f64 v[58:59], v[48:49], v[140:141]
	v_add_f64 v[22:23], v[26:27], v[22:23]
	v_mul_f64 v[16:17], v[16:17], v[120:121]
	v_fmac_f64_e32 v[58:59], v[50:51], v[142:143]
	v_add_f64 v[18:19], v[22:23], v[18:19]
	v_fma_f64 v[14:15], v[14:15], v[134:135], -v[16:17]
	v_add_f64 v[60:61], v[56:57], v[58:59]
	ds_read_b128 v[56:59], v244 offset:720
	s_waitcnt lgkmcnt(1)
	v_mul_f64 v[62:63], v[52:53], v[152:153]
	v_add_f64 v[14:15], v[18:19], v[14:15]
	v_mul_f64 v[8:9], v[8:9], v[130:131]
	v_fmac_f64_e32 v[62:63], v[54:55], v[154:155]
	v_add_f64 v[10:11], v[14:15], v[10:11]
	v_fma_f64 v[6:7], v[6:7], v[132:133], -v[8:9]
	v_mul_f64 v[4:5], v[4:5], v[126:127]
	v_add_f64 v[64:65], v[60:61], v[62:63]
	ds_read_b128 v[60:63], v244 offset:736
	ds_read_b128 v[172:175], v244 offset:752
	v_add_f64 v[6:7], v[10:11], v[6:7]
	v_fma_f64 v[2:3], v[2:3], v[128:129], -v[4:5]
	v_mul_f64 v[4:5], v[46:47], v[144:145]
	v_add_f64 v[2:3], v[6:7], v[2:3]
	v_fma_f64 v[4:5], v[44:45], v[146:147], -v[4:5]
	v_add_f64 v[2:3], v[2:3], v[4:5]
	v_mul_f64 v[4:5], v[50:51], v[140:141]
	s_waitcnt lgkmcnt(2)
	v_mul_f64 v[66:67], v[56:57], v[148:149]
	v_fma_f64 v[4:5], v[48:49], v[142:143], -v[4:5]
	v_fmac_f64_e32 v[66:67], v[58:59], v[150:151]
	v_add_f64 v[2:3], v[2:3], v[4:5]
	v_mul_f64 v[4:5], v[54:55], v[152:153]
	v_add_f64 v[64:65], v[64:65], v[66:67]
	s_waitcnt vmcnt(58) lgkmcnt(1)
	v_mul_f64 v[66:67], v[60:61], v[160:161]
	v_fma_f64 v[4:5], v[52:53], v[154:155], -v[4:5]
	s_waitcnt vmcnt(56)
	v_fmac_f64_e32 v[66:67], v[62:63], v[162:163]
	v_add_f64 v[2:3], v[2:3], v[4:5]
	v_mul_f64 v[4:5], v[58:59], v[148:149]
	v_add_f64 v[64:65], v[64:65], v[66:67]
	s_waitcnt lgkmcnt(0)
	v_mul_f64 v[66:67], v[172:173], v[156:157]
	v_fma_f64 v[4:5], v[56:57], v[150:151], -v[4:5]
	v_fmac_f64_e32 v[66:67], v[174:175], v[158:159]
	v_add_f64 v[2:3], v[2:3], v[4:5]
	v_mul_f64 v[4:5], v[62:63], v[160:161]
	v_add_f64 v[64:65], v[64:65], v[66:67]
	s_waitcnt vmcnt(50)
	v_mul_f64 v[66:67], v[204:205], v[168:169]
	v_fma_f64 v[4:5], v[60:61], v[162:163], -v[4:5]
	s_waitcnt vmcnt(48)
	v_fmac_f64_e32 v[66:67], v[206:207], v[170:171]
	v_add_f64 v[2:3], v[2:3], v[4:5]
	v_mul_f64 v[4:5], v[174:175], v[156:157]
	v_add_f64 v[64:65], v[64:65], v[66:67]
	v_mul_f64 v[66:67], v[208:209], v[164:165]
	v_fma_f64 v[4:5], v[172:173], v[158:159], -v[4:5]
	v_fmac_f64_e32 v[66:67], v[210:211], v[166:167]
	v_add_f64 v[2:3], v[2:3], v[4:5]
	v_mul_f64 v[4:5], v[206:207], v[168:169]
	v_add_f64 v[64:65], v[64:65], v[66:67]
	s_waitcnt vmcnt(42)
	v_mul_f64 v[66:67], v[212:213], v[180:181]
	v_fma_f64 v[4:5], v[204:205], v[170:171], -v[4:5]
	s_waitcnt vmcnt(40)
	v_fmac_f64_e32 v[66:67], v[214:215], v[182:183]
	v_add_f64 v[2:3], v[2:3], v[4:5]
	v_mul_f64 v[4:5], v[210:211], v[164:165]
	v_add_f64 v[64:65], v[64:65], v[66:67]
	;; [unrolled: 14-line block ×5, first 2 shown]
	v_mul_f64 v[66:67], v[246:247], v[200:201]
	v_fma_f64 v[4:5], v[232:233], v[194:195], -v[4:5]
	v_fmac_f64_e32 v[66:67], v[248:249], v[202:203]
	v_add_f64 v[2:3], v[2:3], v[4:5]
	v_mul_f64 v[4:5], v[238:239], v[76:77]
	v_add_f64 v[68:69], v[64:65], v[66:67]
	ds_read_b128 v[64:67], v244 offset:944
	s_waitcnt vmcnt(10)
	v_mul_f64 v[70:71], v[250:251], v[84:85]
	v_fma_f64 v[4:5], v[236:237], v[78:79], -v[4:5]
	s_waitcnt vmcnt(8)
	v_fmac_f64_e32 v[70:71], v[252:253], v[86:87]
	v_add_f64 v[2:3], v[2:3], v[4:5]
	v_mul_f64 v[4:5], v[248:249], v[200:201]
	v_add_f64 v[92:93], v[68:69], v[70:71]
	ds_read_b128 v[68:71], v244 offset:960
	v_fma_f64 v[4:5], v[246:247], v[202:203], -v[4:5]
	v_add_f64 v[2:3], v[2:3], v[4:5]
	v_mul_f64 v[4:5], v[252:253], v[84:85]
	v_fma_f64 v[4:5], v[250:251], v[86:87], -v[4:5]
	v_add_f64 v[2:3], v[2:3], v[4:5]
	s_waitcnt lgkmcnt(1)
	v_mul_f64 v[4:5], v[66:67], v[80:81]
	v_mul_f64 v[94:95], v[64:65], v[80:81]
	v_fma_f64 v[4:5], v[64:65], v[82:83], -v[4:5]
	v_fmac_f64_e32 v[94:95], v[66:67], v[82:83]
	v_add_f64 v[2:3], v[2:3], v[4:5]
	s_waitcnt vmcnt(2) lgkmcnt(0)
	v_mul_f64 v[4:5], v[70:71], v[88:89]
	v_add_f64 v[92:93], v[92:93], v[94:95]
	v_mul_f64 v[94:95], v[68:69], v[88:89]
	s_waitcnt vmcnt(0)
	v_fma_f64 v[4:5], v[68:69], v[90:91], -v[4:5]
	v_fmac_f64_e32 v[94:95], v[70:71], v[90:91]
	v_add_f64 v[2:3], v[2:3], v[4:5]
	v_mul_f64 v[4:5], v[74:75], v[240:241]
	v_add_f64 v[92:93], v[92:93], v[94:95]
	v_mul_f64 v[94:95], v[72:73], v[240:241]
	v_fma_f64 v[4:5], v[72:73], v[254:255], -v[4:5]
	v_fmac_f64_e32 v[94:95], v[74:75], v[254:255]
	v_add_f64 v[2:3], v[2:3], v[4:5]
	v_add_f64 v[92:93], v[92:93], v[94:95]
	v_add_f64 v[2:3], v[124:125], -v[2:3]
	v_add_f64 v[4:5], v[122:123], -v[92:93]
	buffer_store_dword v3, off, s[0:3], 0 offset:20
	buffer_store_dword v2, off, s[0:3], 0 offset:16
	;; [unrolled: 1-line block ×4, first 2 shown]
	s_and_saveexec_b64 s[6:7], vcc
	s_cbranch_execz .LBB30_199
; %bb.198:
	buffer_load_dword v2, off, s[0:3], 0
	buffer_load_dword v3, off, s[0:3], 0 offset:4
	buffer_load_dword v4, off, s[0:3], 0 offset:8
	;; [unrolled: 1-line block ×3, first 2 shown]
	s_nop 0
	buffer_store_dword v244, off, s[0:3], 0
	buffer_store_dword v244, off, s[0:3], 0 offset:4
	buffer_store_dword v244, off, s[0:3], 0 offset:8
	;; [unrolled: 1-line block ×3, first 2 shown]
	s_waitcnt vmcnt(4)
	ds_write_b128 v1, v[2:5]
.LBB30_199:
	s_or_b64 exec, exec, s[6:7]
	s_waitcnt lgkmcnt(0)
	; wave barrier
	s_waitcnt lgkmcnt(0)
	buffer_load_dword v110, off, s[0:3], 0 offset:16
	buffer_load_dword v111, off, s[0:3], 0 offset:20
	buffer_load_dword v112, off, s[0:3], 0 offset:24
	buffer_load_dword v113, off, s[0:3], 0 offset:28
	buffer_load_dword v104, off, s[0:3], 0 offset:32
	buffer_load_dword v105, off, s[0:3], 0 offset:36
	buffer_load_dword v106, off, s[0:3], 0 offset:40
	buffer_load_dword v107, off, s[0:3], 0 offset:44
	buffer_load_dword v108, off, s[0:3], 0 offset:56
	buffer_load_dword v109, off, s[0:3], 0 offset:60
	buffer_load_dword v115, off, s[0:3], 0 offset:92
	buffer_load_dword v114, off, s[0:3], 0 offset:88
	buffer_load_dword v117, off, s[0:3], 0 offset:84
	buffer_load_dword v116, off, s[0:3], 0 offset:80
	buffer_load_dword v119, off, s[0:3], 0 offset:76
	buffer_load_dword v118, off, s[0:3], 0 offset:72
	buffer_load_dword v125, off, s[0:3], 0 offset:108
	buffer_load_dword v124, off, s[0:3], 0 offset:104
	buffer_load_dword v127, off, s[0:3], 0 offset:156
	buffer_load_dword v126, off, s[0:3], 0 offset:152
	buffer_load_dword v129, off, s[0:3], 0 offset:148
	buffer_load_dword v131, off, s[0:3], 0 offset:140
	buffer_load_dword v130, off, s[0:3], 0 offset:136
	buffer_load_dword v133, off, s[0:3], 0 offset:124
	buffer_load_dword v132, off, s[0:3], 0 offset:120
	buffer_load_dword v135, off, s[0:3], 0 offset:116
	buffer_load_dword v134, off, s[0:3], 0 offset:112
	buffer_load_dword v142, off, s[0:3], 0 offset:48
	buffer_load_dword v143, off, s[0:3], 0 offset:52
	buffer_load_dword v141, off, s[0:3], 0 offset:68
	buffer_load_dword v140, off, s[0:3], 0 offset:64
	buffer_load_dword v139, off, s[0:3], 0 offset:100
	buffer_load_dword v138, off, s[0:3], 0 offset:96
	buffer_load_dword v137, off, s[0:3], 0 offset:132
	buffer_load_dword v136, off, s[0:3], 0 offset:128
	buffer_load_dword v128, off, s[0:3], 0 offset:144
	buffer_load_dword v122, off, s[0:3], 0
	buffer_load_dword v123, off, s[0:3], 0 offset:4
	buffer_load_dword v120, off, s[0:3], 0 offset:8
	;; [unrolled: 1-line block ×3, first 2 shown]
	ds_read_b128 v[38:41], v244 offset:512
	ds_read_b128 v[34:37], v244 offset:528
	;; [unrolled: 1-line block ×10, first 2 shown]
	buffer_load_dword v145, off, s[0:3], 0 offset:188
	buffer_load_dword v144, off, s[0:3], 0 offset:184
	;; [unrolled: 1-line block ×80, first 2 shown]
	s_and_b64 vcc, exec, s[26:27]
	s_waitcnt vmcnt(62) lgkmcnt(9)
	v_mul_f64 v[44:45], v[38:39], v[112:113]
	v_fmac_f64_e32 v[44:45], v[40:41], v[110:111]
	v_add_f64 v[44:45], v[44:45], 0
	v_mul_f64 v[40:41], v[40:41], v[112:113]
	s_waitcnt lgkmcnt(8)
	v_mul_f64 v[46:47], v[34:35], v[106:107]
	v_fmac_f64_e32 v[46:47], v[36:37], v[104:105]
	s_waitcnt lgkmcnt(7)
	v_mul_f64 v[48:49], v[30:31], v[108:109]
	v_add_f64 v[44:45], v[44:45], v[46:47]
	s_waitcnt lgkmcnt(5)
	v_mul_f64 v[52:53], v[22:23], v[114:115]
	v_fma_f64 v[110:111], v[38:39], v[110:111], -v[40:41]
	v_fmac_f64_e32 v[52:53], v[24:25], v[116:117]
	v_mul_f64 v[36:37], v[36:37], v[106:107]
	v_mul_f64 v[50:51], v[26:27], v[118:119]
	v_fma_f64 v[34:35], v[34:35], v[104:105], -v[36:37]
	s_waitcnt lgkmcnt(4)
	v_mul_f64 v[54:55], v[18:19], v[124:125]
	v_mul_f64 v[24:25], v[24:25], v[114:115]
	s_waitcnt lgkmcnt(1)
	v_mul_f64 v[186:187], v[2:3], v[126:127]
	v_fma_f64 v[22:23], v[22:23], v[116:117], -v[24:25]
	v_mul_f64 v[184:185], v[6:7], v[130:131]
	v_mul_f64 v[56:57], v[10:11], v[132:133]
	v_fmac_f64_e32 v[56:57], v[12:13], v[134:135]
	v_mul_f64 v[12:13], v[12:13], v[132:133]
	v_fmac_f64_e32 v[48:49], v[32:33], v[142:143]
	v_add_f64 v[44:45], v[44:45], v[48:49]
	v_fmac_f64_e32 v[50:51], v[28:29], v[140:141]
	v_add_f64 v[44:45], v[44:45], v[50:51]
	;; [unrolled: 2-line block ×3, first 2 shown]
	v_add_f64 v[44:45], v[44:45], v[54:55]
	v_fmac_f64_e32 v[184:185], v[8:9], v[136:137]
	v_add_f64 v[188:189], v[44:45], v[56:57]
	v_fmac_f64_e32 v[186:187], v[4:5], v[128:129]
	v_add_f64 v[44:45], v[188:189], v[184:185]
	v_add_f64 v[48:49], v[44:45], v[186:187]
	ds_read_b128 v[44:47], v244 offset:672
	buffer_load_dword v189, off, s[0:3], 0 offset:492
	buffer_load_dword v188, off, s[0:3], 0 offset:488
	;; [unrolled: 1-line block ×4, first 2 shown]
	s_waitcnt lgkmcnt(1)
	v_mul_f64 v[50:51], v[14:15], v[148:149]
	v_fmac_f64_e32 v[50:51], v[16:17], v[150:151]
	v_add_f64 v[52:53], v[48:49], v[50:51]
	ds_read_b128 v[48:51], v244 offset:688
	s_waitcnt lgkmcnt(1)
	v_mul_f64 v[54:55], v[44:45], v[144:145]
	v_fmac_f64_e32 v[54:55], v[46:47], v[146:147]
	v_add_f64 v[56:57], v[52:53], v[54:55]
	ds_read_b128 v[52:55], v244 offset:704
	;; [unrolled: 5-line block ×4, first 2 shown]
	s_waitcnt vmcnt(62) lgkmcnt(1)
	v_mul_f64 v[66:67], v[56:57], v[164:165]
	s_waitcnt vmcnt(60)
	v_fmac_f64_e32 v[66:67], v[58:59], v[166:167]
	v_add_f64 v[68:69], v[64:65], v[66:67]
	ds_read_b128 v[64:67], v244 offset:752
	s_waitcnt lgkmcnt(1)
	v_mul_f64 v[70:71], v[60:61], v[160:161]
	v_fmac_f64_e32 v[70:71], v[62:63], v[162:163]
	v_add_f64 v[72:73], v[68:69], v[70:71]
	ds_read_b128 v[68:71], v244 offset:768
	s_waitcnt vmcnt(54) lgkmcnt(1)
	v_mul_f64 v[74:75], v[64:65], v[172:173]
	s_waitcnt vmcnt(52)
	v_fmac_f64_e32 v[74:75], v[66:67], v[174:175]
	v_add_f64 v[76:77], v[72:73], v[74:75]
	ds_read_b128 v[72:75], v244 offset:784
	ds_read_b128 v[184:187], v244 offset:800
	s_waitcnt lgkmcnt(2)
	v_mul_f64 v[78:79], v[68:69], v[168:169]
	v_fmac_f64_e32 v[78:79], v[70:71], v[170:171]
	ds_read_b128 v[214:217], v244 offset:816
	ds_read_b128 v[218:221], v244 offset:832
	v_add_f64 v[76:77], v[76:77], v[78:79]
	s_waitcnt vmcnt(46) lgkmcnt(3)
	v_mul_f64 v[78:79], v[72:73], v[180:181]
	s_waitcnt vmcnt(44)
	v_fmac_f64_e32 v[78:79], v[74:75], v[182:183]
	v_add_f64 v[76:77], v[76:77], v[78:79]
	s_waitcnt lgkmcnt(2)
	v_mul_f64 v[78:79], v[184:185], v[176:177]
	v_fmac_f64_e32 v[78:79], v[186:187], v[178:179]
	ds_read_b128 v[222:225], v244 offset:848
	ds_read_b128 v[226:229], v244 offset:864
	v_add_f64 v[76:77], v[76:77], v[78:79]
	s_waitcnt vmcnt(38) lgkmcnt(3)
	v_mul_f64 v[78:79], v[214:215], v[194:195]
	s_waitcnt vmcnt(36)
	v_fmac_f64_e32 v[78:79], v[216:217], v[196:197]
	v_add_f64 v[76:77], v[76:77], v[78:79]
	;; [unrolled: 11-line block ×4, first 2 shown]
	s_waitcnt lgkmcnt(2)
	v_mul_f64 v[78:79], v[234:235], v[206:207]
	v_fmac_f64_e32 v[78:79], v[236:237], v[208:209]
	v_add_f64 v[76:77], v[76:77], v[78:79]
	s_waitcnt vmcnt(14) lgkmcnt(1)
	v_mul_f64 v[78:79], v[238:239], v[84:85]
	s_waitcnt vmcnt(12)
	v_fmac_f64_e32 v[78:79], v[240:241], v[86:87]
	ds_read_b128 v[250:253], v244 offset:944
	v_add_f64 v[76:77], v[76:77], v[78:79]
	s_waitcnt lgkmcnt(1)
	v_mul_f64 v[78:79], v[246:247], v[80:81]
	v_fmac_f64_e32 v[78:79], v[248:249], v[82:83]
	v_add_f64 v[96:97], v[76:77], v[78:79]
	ds_read_b128 v[76:79], v244 offset:960
	ds_read_b128 v[38:41], v244 offset:976
	s_waitcnt vmcnt(6) lgkmcnt(2)
	v_mul_f64 v[98:99], v[250:251], v[92:93]
	s_waitcnt vmcnt(4)
	v_fmac_f64_e32 v[98:99], v[252:253], v[94:95]
	v_add_f64 v[96:97], v[96:97], v[98:99]
	s_waitcnt lgkmcnt(1)
	v_mul_f64 v[98:99], v[76:77], v[88:89]
	v_fmac_f64_e32 v[98:99], v[78:79], v[90:91]
	v_add_f64 v[96:97], v[96:97], v[98:99]
	s_waitcnt vmcnt(2) lgkmcnt(0)
	v_mul_f64 v[98:99], v[38:39], v[188:189]
	s_waitcnt vmcnt(0)
	v_fmac_f64_e32 v[98:99], v[40:41], v[254:255]
	v_add_f64 v[96:97], v[96:97], v[98:99]
	v_add_f64 v[98:99], v[110:111], 0
	v_mul_f64 v[32:33], v[32:33], v[108:109]
	v_add_f64 v[34:35], v[98:99], v[34:35]
	v_fma_f64 v[30:31], v[30:31], v[142:143], -v[32:33]
	v_mul_f64 v[28:29], v[28:29], v[118:119]
	v_add_f64 v[30:31], v[34:35], v[30:31]
	v_fma_f64 v[26:27], v[26:27], v[140:141], -v[28:29]
	v_add_f64 v[26:27], v[30:31], v[26:27]
	v_mul_f64 v[20:21], v[20:21], v[124:125]
	v_add_f64 v[22:23], v[26:27], v[22:23]
	v_fma_f64 v[18:19], v[18:19], v[138:139], -v[20:21]
	v_add_f64 v[18:19], v[22:23], v[18:19]
	v_fma_f64 v[10:11], v[10:11], v[134:135], -v[12:13]
	v_mul_f64 v[8:9], v[8:9], v[130:131]
	v_add_f64 v[10:11], v[18:19], v[10:11]
	v_fma_f64 v[6:7], v[6:7], v[136:137], -v[8:9]
	v_mul_f64 v[4:5], v[4:5], v[126:127]
	v_add_f64 v[6:7], v[10:11], v[6:7]
	v_fma_f64 v[2:3], v[2:3], v[128:129], -v[4:5]
	v_mul_f64 v[4:5], v[16:17], v[148:149]
	v_add_f64 v[2:3], v[6:7], v[2:3]
	v_fma_f64 v[4:5], v[14:15], v[150:151], -v[4:5]
	v_add_f64 v[2:3], v[2:3], v[4:5]
	v_mul_f64 v[4:5], v[46:47], v[144:145]
	v_fma_f64 v[4:5], v[44:45], v[146:147], -v[4:5]
	v_add_f64 v[2:3], v[2:3], v[4:5]
	v_mul_f64 v[4:5], v[50:51], v[156:157]
	;; [unrolled: 3-line block ×20, first 2 shown]
	v_fma_f64 v[4:5], v[38:39], v[254:255], -v[4:5]
	v_add_f64 v[2:3], v[2:3], v[4:5]
	v_add_f64 v[2:3], v[122:123], -v[2:3]
	v_add_f64 v[4:5], v[120:121], -v[96:97]
	buffer_store_dword v3, off, s[0:3], 0 offset:4
	buffer_store_dword v2, off, s[0:3], 0
	buffer_store_dword v5, off, s[0:3], 0 offset:12
	buffer_store_dword v4, off, s[0:3], 0 offset:8
	s_cbranch_vccz .LBB30_261
; %bb.200:
	v_pk_mov_b32 v[2:3], s[24:25], s[24:25] op_sel:[0,1]
	flat_load_dword v1, v[2:3] offset:116
	s_load_dwordx2 s[4:5], s[4:5], 0x4
	v_bfe_u32 v3, v0, 10, 10
	v_bfe_u32 v0, v0, 20, 10
	s_waitcnt lgkmcnt(0)
	s_lshr_b32 s4, s4, 16
	s_mul_i32 s4, s4, s5
	v_mul_u32_u24_e32 v2, s4, v243
	v_mul_u32_u24_e32 v3, s5, v3
	v_add3_u32 v0, v2, v3, v0
	v_mov_b32_e32 v2, 0x3e8
	v_lshl_add_u32 v0, v0, 4, v2
	s_waitcnt vmcnt(0)
	v_add_u32_e32 v2, -1, v1
	v_cmp_ne_u32_e32 vcc, 29, v2
	s_and_saveexec_b64 s[4:5], vcc
	s_cbranch_execz .LBB30_202
; %bb.201:
	v_mov_b32_e32 v1, 0
	v_accvgpr_read_b32 v10, a57
	v_lshl_add_u32 v1, v2, 4, v1
	buffer_load_dword v2, v10, s[0:3], 0 offen
	buffer_load_dword v3, v10, s[0:3], 0 offen offset:4
	buffer_load_dword v4, v10, s[0:3], 0 offen offset:8
	buffer_load_dword v5, v10, s[0:3], 0 offen offset:12
	buffer_load_dword v6, v1, s[0:3], 0 offen
	buffer_load_dword v7, v1, s[0:3], 0 offen offset:4
	buffer_load_dword v8, v1, s[0:3], 0 offen offset:8
	buffer_load_dword v9, v1, s[0:3], 0 offen offset:12
	s_waitcnt vmcnt(4)
	ds_write2_b64 v0, v[2:3], v[4:5] offset1:1
	s_waitcnt vmcnt(3)
	buffer_store_dword v6, v10, s[0:3], 0 offen
	s_waitcnt vmcnt(3)
	buffer_store_dword v7, v10, s[0:3], 0 offen offset:4
	s_waitcnt vmcnt(3)
	buffer_store_dword v8, v10, s[0:3], 0 offen offset:8
	s_waitcnt vmcnt(3)
	buffer_store_dword v9, v10, s[0:3], 0 offen offset:12
	buffer_store_dword v5, v1, s[0:3], 0 offen offset:12
	buffer_store_dword v4, v1, s[0:3], 0 offen offset:8
	buffer_store_dword v3, v1, s[0:3], 0 offen offset:4
	buffer_store_dword v2, v1, s[0:3], 0 offen
.LBB30_202:
	s_or_b64 exec, exec, s[4:5]
	v_pk_mov_b32 v[2:3], s[24:25], s[24:25] op_sel:[0,1]
	flat_load_dword v1, v[2:3] offset:112
	s_waitcnt vmcnt(0) lgkmcnt(0)
	v_add_u32_e32 v2, -1, v1
	v_cmp_ne_u32_e32 vcc, 28, v2
	s_and_saveexec_b64 s[4:5], vcc
	s_cbranch_execz .LBB30_204
; %bb.203:
	v_mov_b32_e32 v1, 0
	v_accvgpr_read_b32 v10, a58
	v_lshl_add_u32 v1, v2, 4, v1
	buffer_load_dword v2, v10, s[0:3], 0 offen
	buffer_load_dword v3, v10, s[0:3], 0 offen offset:4
	buffer_load_dword v4, v10, s[0:3], 0 offen offset:8
	buffer_load_dword v5, v10, s[0:3], 0 offen offset:12
	buffer_load_dword v6, v1, s[0:3], 0 offen
	buffer_load_dword v7, v1, s[0:3], 0 offen offset:4
	buffer_load_dword v8, v1, s[0:3], 0 offen offset:8
	buffer_load_dword v9, v1, s[0:3], 0 offen offset:12
	s_waitcnt vmcnt(4)
	ds_write2_b64 v0, v[2:3], v[4:5] offset1:1
	s_waitcnt vmcnt(3)
	buffer_store_dword v6, v10, s[0:3], 0 offen
	s_waitcnt vmcnt(3)
	buffer_store_dword v7, v10, s[0:3], 0 offen offset:4
	s_waitcnt vmcnt(3)
	buffer_store_dword v8, v10, s[0:3], 0 offen offset:8
	s_waitcnt vmcnt(3)
	buffer_store_dword v9, v10, s[0:3], 0 offen offset:12
	buffer_store_dword v5, v1, s[0:3], 0 offen offset:12
	buffer_store_dword v4, v1, s[0:3], 0 offen offset:8
	buffer_store_dword v3, v1, s[0:3], 0 offen offset:4
	buffer_store_dword v2, v1, s[0:3], 0 offen
.LBB30_204:
	s_or_b64 exec, exec, s[4:5]
	v_pk_mov_b32 v[2:3], s[24:25], s[24:25] op_sel:[0,1]
	flat_load_dword v1, v[2:3] offset:108
	s_waitcnt vmcnt(0) lgkmcnt(0)
	;; [unrolled: 35-line block ×26, first 2 shown]
	v_add_u32_e32 v2, -1, v1
	v_cmp_ne_u32_e32 vcc, 3, v2
	s_and_saveexec_b64 s[4:5], vcc
	s_cbranch_execz .LBB30_254
; %bb.253:
	v_mov_b32_e32 v1, 0
	v_lshl_add_u32 v1, v2, 4, v1
	buffer_load_dword v2, v242, s[0:3], 0 offen
	buffer_load_dword v3, v242, s[0:3], 0 offen offset:4
	buffer_load_dword v4, v242, s[0:3], 0 offen offset:8
	;; [unrolled: 1-line block ×3, first 2 shown]
	buffer_load_dword v6, v1, s[0:3], 0 offen
	buffer_load_dword v7, v1, s[0:3], 0 offen offset:4
	buffer_load_dword v8, v1, s[0:3], 0 offen offset:8
	buffer_load_dword v9, v1, s[0:3], 0 offen offset:12
	s_waitcnt vmcnt(4)
	ds_write2_b64 v0, v[2:3], v[4:5] offset1:1
	s_waitcnt vmcnt(3)
	buffer_store_dword v6, v242, s[0:3], 0 offen
	s_waitcnt vmcnt(3)
	buffer_store_dword v7, v242, s[0:3], 0 offen offset:4
	s_waitcnt vmcnt(3)
	buffer_store_dword v8, v242, s[0:3], 0 offen offset:8
	s_waitcnt vmcnt(3)
	buffer_store_dword v9, v242, s[0:3], 0 offen offset:12
	buffer_store_dword v5, v1, s[0:3], 0 offen offset:12
	buffer_store_dword v4, v1, s[0:3], 0 offen offset:8
	;; [unrolled: 1-line block ×3, first 2 shown]
	buffer_store_dword v2, v1, s[0:3], 0 offen
.LBB30_254:
	s_or_b64 exec, exec, s[4:5]
	v_pk_mov_b32 v[2:3], s[24:25], s[24:25] op_sel:[0,1]
	flat_load_dword v1, v[2:3] offset:8
	s_waitcnt vmcnt(0) lgkmcnt(0)
	v_add_u32_e32 v2, -1, v1
	v_cmp_ne_u32_e32 vcc, 2, v2
	s_and_saveexec_b64 s[4:5], vcc
	s_cbranch_execz .LBB30_256
; %bb.255:
	v_mov_b32_e32 v1, 0
	v_accvgpr_read_b32 v10, a83
	v_lshl_add_u32 v1, v2, 4, v1
	buffer_load_dword v2, v10, s[0:3], 0 offen
	buffer_load_dword v3, v10, s[0:3], 0 offen offset:4
	buffer_load_dword v4, v10, s[0:3], 0 offen offset:8
	;; [unrolled: 1-line block ×3, first 2 shown]
	buffer_load_dword v6, v1, s[0:3], 0 offen
	buffer_load_dword v7, v1, s[0:3], 0 offen offset:4
	buffer_load_dword v8, v1, s[0:3], 0 offen offset:8
	;; [unrolled: 1-line block ×3, first 2 shown]
	s_waitcnt vmcnt(4)
	ds_write2_b64 v0, v[2:3], v[4:5] offset1:1
	s_waitcnt vmcnt(3)
	buffer_store_dword v6, v10, s[0:3], 0 offen
	s_waitcnt vmcnt(3)
	buffer_store_dword v7, v10, s[0:3], 0 offen offset:4
	s_waitcnt vmcnt(3)
	buffer_store_dword v8, v10, s[0:3], 0 offen offset:8
	;; [unrolled: 2-line block ×3, first 2 shown]
	buffer_store_dword v5, v1, s[0:3], 0 offen offset:12
	buffer_store_dword v4, v1, s[0:3], 0 offen offset:8
	;; [unrolled: 1-line block ×3, first 2 shown]
	buffer_store_dword v2, v1, s[0:3], 0 offen
.LBB30_256:
	s_or_b64 exec, exec, s[4:5]
	v_pk_mov_b32 v[2:3], s[24:25], s[24:25] op_sel:[0,1]
	flat_load_dword v1, v[2:3] offset:4
	s_waitcnt vmcnt(0) lgkmcnt(0)
	v_add_u32_e32 v2, -1, v1
	v_cmp_ne_u32_e32 vcc, 1, v2
	s_and_saveexec_b64 s[4:5], vcc
	s_cbranch_execz .LBB30_258
; %bb.257:
	v_mov_b32_e32 v1, 0
	v_accvgpr_read_b32 v10, a84
	v_lshl_add_u32 v1, v2, 4, v1
	buffer_load_dword v2, v10, s[0:3], 0 offen
	buffer_load_dword v3, v10, s[0:3], 0 offen offset:4
	buffer_load_dword v4, v10, s[0:3], 0 offen offset:8
	;; [unrolled: 1-line block ×3, first 2 shown]
	buffer_load_dword v6, v1, s[0:3], 0 offen
	buffer_load_dword v7, v1, s[0:3], 0 offen offset:4
	buffer_load_dword v8, v1, s[0:3], 0 offen offset:8
	;; [unrolled: 1-line block ×3, first 2 shown]
	s_waitcnt vmcnt(4)
	ds_write2_b64 v0, v[2:3], v[4:5] offset1:1
	s_waitcnt vmcnt(3)
	buffer_store_dword v6, v10, s[0:3], 0 offen
	s_waitcnt vmcnt(3)
	buffer_store_dword v7, v10, s[0:3], 0 offen offset:4
	s_waitcnt vmcnt(3)
	buffer_store_dword v8, v10, s[0:3], 0 offen offset:8
	;; [unrolled: 2-line block ×3, first 2 shown]
	buffer_store_dword v5, v1, s[0:3], 0 offen offset:12
	buffer_store_dword v4, v1, s[0:3], 0 offen offset:8
	;; [unrolled: 1-line block ×3, first 2 shown]
	buffer_store_dword v2, v1, s[0:3], 0 offen
.LBB30_258:
	s_or_b64 exec, exec, s[4:5]
	v_pk_mov_b32 v[2:3], s[24:25], s[24:25] op_sel:[0,1]
	flat_load_dword v1, v[2:3]
	s_waitcnt vmcnt(0) lgkmcnt(0)
	v_add_u32_e32 v2, -1, v1
	v_cmp_ne_u32_e32 vcc, 0, v2
	s_and_saveexec_b64 s[4:5], vcc
	s_cbranch_execz .LBB30_260
; %bb.259:
	v_mov_b32_e32 v1, 0
	v_lshl_add_u32 v1, v2, 4, v1
	buffer_load_dword v2, off, s[0:3], 0
	buffer_load_dword v3, off, s[0:3], 0 offset:4
	buffer_load_dword v4, off, s[0:3], 0 offset:8
	;; [unrolled: 1-line block ×3, first 2 shown]
	buffer_load_dword v6, v1, s[0:3], 0 offen
	buffer_load_dword v7, v1, s[0:3], 0 offen offset:4
	buffer_load_dword v8, v1, s[0:3], 0 offen offset:8
	;; [unrolled: 1-line block ×3, first 2 shown]
	s_waitcnt vmcnt(4)
	ds_write2_b64 v0, v[2:3], v[4:5] offset1:1
	s_waitcnt vmcnt(3)
	buffer_store_dword v6, off, s[0:3], 0
	s_waitcnt vmcnt(3)
	buffer_store_dword v7, off, s[0:3], 0 offset:4
	s_waitcnt vmcnt(3)
	buffer_store_dword v8, off, s[0:3], 0 offset:8
	;; [unrolled: 2-line block ×3, first 2 shown]
	buffer_store_dword v5, v1, s[0:3], 0 offen offset:12
	buffer_store_dword v4, v1, s[0:3], 0 offen offset:8
	buffer_store_dword v3, v1, s[0:3], 0 offen offset:4
	buffer_store_dword v2, v1, s[0:3], 0 offen
.LBB30_260:
	s_or_b64 exec, exec, s[4:5]
.LBB30_261:
	buffer_load_dword v0, off, s[0:3], 0
	buffer_load_dword v1, off, s[0:3], 0 offset:4
	buffer_load_dword v2, off, s[0:3], 0 offset:8
	;; [unrolled: 1-line block ×3, first 2 shown]
	v_accvgpr_read_b32 v20, a84
	buffer_load_dword v4, v20, s[0:3], 0 offen
	buffer_load_dword v5, v20, s[0:3], 0 offen offset:4
	buffer_load_dword v6, v20, s[0:3], 0 offen offset:8
	;; [unrolled: 1-line block ×3, first 2 shown]
	v_accvgpr_read_b32 v16, a83
	buffer_load_dword v9, v16, s[0:3], 0 offen offset:4
	buffer_load_dword v10, v16, s[0:3], 0 offen offset:8
	buffer_load_dword v11, v16, s[0:3], 0 offen offset:12
	buffer_load_dword v12, v242, s[0:3], 0 offen
	buffer_load_dword v13, v242, s[0:3], 0 offen offset:4
	buffer_load_dword v14, v242, s[0:3], 0 offen offset:8
	buffer_load_dword v8, v16, s[0:3], 0 offen
	buffer_load_dword v15, v242, s[0:3], 0 offen offset:12
	v_accvgpr_read_b32 v36, a81
	buffer_load_dword v17, v36, s[0:3], 0 offen offset:4
	buffer_load_dword v18, v36, s[0:3], 0 offen offset:8
	;; [unrolled: 1-line block ×3, first 2 shown]
	v_accvgpr_read_b32 v32, a79
                                        ; kill: killed $vgpr20
                                        ; kill: killed $vgpr16
	buffer_load_dword v20, v32, s[0:3], 0 offen
	buffer_load_dword v21, v32, s[0:3], 0 offen offset:4
	buffer_load_dword v22, v32, s[0:3], 0 offen offset:8
	buffer_load_dword v16, v36, s[0:3], 0 offen
	buffer_load_dword v23, v32, s[0:3], 0 offen offset:12
	v_accvgpr_read_b32 v37, a82
	buffer_load_dword v25, v37, s[0:3], 0 offen offset:4
	buffer_load_dword v26, v37, s[0:3], 0 offen offset:8
	;; [unrolled: 1-line block ×3, first 2 shown]
	v_accvgpr_read_b32 v35, a80
	buffer_load_dword v28, v35, s[0:3], 0 offen
	buffer_load_dword v29, v35, s[0:3], 0 offen offset:4
	buffer_load_dword v30, v35, s[0:3], 0 offen offset:8
	buffer_load_dword v24, v37, s[0:3], 0 offen
	buffer_load_dword v31, v35, s[0:3], 0 offen offset:12
	v_accvgpr_read_b32 v44, a78
	buffer_load_dword v33, v44, s[0:3], 0 offen offset:4
	buffer_load_dword v34, v44, s[0:3], 0 offen offset:8
                                        ; kill: killed $vgpr36
                                        ; kill: killed $vgpr37
                                        ; kill: killed $vgpr32
                                        ; kill: killed $vgpr35
	buffer_load_dword v35, v44, s[0:3], 0 offen offset:12
	v_accvgpr_read_b32 v40, a77
	buffer_load_dword v36, v40, s[0:3], 0 offen
	buffer_load_dword v37, v40, s[0:3], 0 offen offset:4
	buffer_load_dword v38, v40, s[0:3], 0 offen offset:8
	buffer_load_dword v32, v44, s[0:3], 0 offen
	buffer_load_dword v39, v40, s[0:3], 0 offen offset:12
	v_accvgpr_read_b32 v41, a76
	buffer_load_dword v45, v41, s[0:3], 0 offen offset:4
	buffer_load_dword v46, v41, s[0:3], 0 offen offset:8
	;; [unrolled: 1-line block ×3, first 2 shown]
                                        ; kill: killed $vgpr40
	v_accvgpr_read_b32 v40, a75
                                        ; kill: killed $vgpr44
	buffer_load_dword v48, v40, s[0:3], 0 offen
	buffer_load_dword v49, v40, s[0:3], 0 offen offset:4
	buffer_load_dword v50, v40, s[0:3], 0 offen offset:8
	buffer_load_dword v44, v41, s[0:3], 0 offen
	buffer_load_dword v51, v40, s[0:3], 0 offen offset:12
	v_accvgpr_read_b32 v41, a74
	buffer_load_dword v53, v41, s[0:3], 0 offen offset:4
	buffer_load_dword v54, v41, s[0:3], 0 offen offset:8
	buffer_load_dword v55, v41, s[0:3], 0 offen offset:12
	v_accvgpr_read_b32 v40, a73
	buffer_load_dword v56, v40, s[0:3], 0 offen
	buffer_load_dword v57, v40, s[0:3], 0 offen offset:4
	buffer_load_dword v58, v40, s[0:3], 0 offen offset:8
	buffer_load_dword v52, v41, s[0:3], 0 offen
	buffer_load_dword v59, v40, s[0:3], 0 offen offset:12
	v_accvgpr_read_b32 v41, a72
	buffer_load_dword v61, v41, s[0:3], 0 offen offset:4
	buffer_load_dword v62, v41, s[0:3], 0 offen offset:8
	buffer_load_dword v63, v41, s[0:3], 0 offen offset:12
	v_accvgpr_read_b32 v40, a71
	;; [unrolled: 10-line block ×8, first 2 shown]
	buffer_load_dword v136, v40, s[0:3], 0 offen
	buffer_load_dword v137, v40, s[0:3], 0 offen offset:4
	buffer_load_dword v138, v40, s[0:3], 0 offen offset:8
	buffer_load_dword v132, v41, s[0:3], 0 offen
	buffer_load_dword v139, v40, s[0:3], 0 offen offset:12
	v_accvgpr_read_b32 v41, a58
	v_accvgpr_read_b32 v40, a57
	buffer_load_dword v141, v41, s[0:3], 0 offen offset:4
	buffer_load_dword v142, v41, s[0:3], 0 offen offset:8
	;; [unrolled: 1-line block ×3, first 2 shown]
	buffer_load_dword v144, v40, s[0:3], 0 offen
	buffer_load_dword v145, v40, s[0:3], 0 offen offset:4
	buffer_load_dword v146, v40, s[0:3], 0 offen offset:8
	buffer_load_dword v140, v41, s[0:3], 0 offen
	buffer_load_dword v147, v40, s[0:3], 0 offen offset:12
	v_accvgpr_read_b32 v40, a56
	buffer_load_dword v148, v40, s[0:3], 0 offen
	buffer_load_dword v149, v40, s[0:3], 0 offen offset:4
	buffer_load_dword v150, v40, s[0:3], 0 offen offset:8
	;; [unrolled: 1-line block ×3, first 2 shown]
                                        ; kill: killed $vgpr242
	s_waitcnt vmcnt(62)
	global_store_dwordx4 v[42:43], v[0:3], off
	s_nop 0
	v_accvgpr_read_b32 v0, a0
	v_accvgpr_read_b32 v1, a1
	global_store_dwordx4 v[0:1], v[4:7], off
	v_accvgpr_read_b32 v0, a2
	v_accvgpr_read_b32 v1, a3
	global_store_dwordx4 v[0:1], v[8:11], off
	;; [unrolled: 3-line block ×13, first 2 shown]
	v_accvgpr_read_b32 v0, a26
	v_accvgpr_read_b32 v1, a27
	s_waitcnt vmcnt(62)
	global_store_dwordx4 v[0:1], v[60:63], off
	v_accvgpr_read_b32 v0, a28
	v_accvgpr_read_b32 v1, a29
	global_store_dwordx4 v[0:1], v[64:67], off
	v_accvgpr_read_b32 v0, a30
	v_accvgpr_read_b32 v1, a31
	;; [unrolled: 3-line block ×4, first 2 shown]
	s_waitcnt vmcnt(62)
	global_store_dwordx4 v[0:1], v[76:79], off
	v_accvgpr_read_b32 v0, a36
	v_accvgpr_read_b32 v1, a37
	global_store_dwordx4 v[0:1], v[104:107], off
	v_accvgpr_read_b32 v0, a38
	v_accvgpr_read_b32 v1, a39
	s_waitcnt vmcnt(57)
	global_store_dwordx4 v[0:1], v[108:111], off
	v_accvgpr_read_b32 v0, a40
	v_accvgpr_read_b32 v1, a41
	s_waitcnt vmcnt(57)
	;; [unrolled: 4-line block ×9, first 2 shown]
	global_store_dwordx4 v[0:1], v[140:143], off
	s_waitcnt vmcnt(33)
	global_store_dwordx4 v[100:101], v[144:147], off
	s_waitcnt vmcnt(30)
	global_store_dwordx4 v[102:103], v[148:151], off
	s_endpgm
	.section	.rodata,"a",@progbits
	.p2align	6, 0x0
	.amdhsa_kernel _ZN9rocsolver6v33100L18getri_kernel_smallILi31E19rocblas_complex_numIdEPS3_EEvT1_iilPiilS6_bb
		.amdhsa_group_segment_fixed_size 2024
		.amdhsa_private_segment_fixed_size 512
		.amdhsa_kernarg_size 60
		.amdhsa_user_sgpr_count 10
		.amdhsa_user_sgpr_private_segment_buffer 1
		.amdhsa_user_sgpr_dispatch_ptr 1
		.amdhsa_user_sgpr_queue_ptr 0
		.amdhsa_user_sgpr_kernarg_segment_ptr 1
		.amdhsa_user_sgpr_dispatch_id 0
		.amdhsa_user_sgpr_flat_scratch_init 1
		.amdhsa_user_sgpr_kernarg_preload_length 0
		.amdhsa_user_sgpr_kernarg_preload_offset 0
		.amdhsa_user_sgpr_private_segment_size 0
		.amdhsa_uses_dynamic_stack 0
		.amdhsa_system_sgpr_private_segment_wavefront_offset 1
		.amdhsa_system_sgpr_workgroup_id_x 1
		.amdhsa_system_sgpr_workgroup_id_y 0
		.amdhsa_system_sgpr_workgroup_id_z 0
		.amdhsa_system_sgpr_workgroup_info 0
		.amdhsa_system_vgpr_workitem_id 2
		.amdhsa_next_free_vgpr 341
		.amdhsa_next_free_sgpr 28
		.amdhsa_accum_offset 256
		.amdhsa_reserve_vcc 1
		.amdhsa_reserve_flat_scratch 1
		.amdhsa_float_round_mode_32 0
		.amdhsa_float_round_mode_16_64 0
		.amdhsa_float_denorm_mode_32 3
		.amdhsa_float_denorm_mode_16_64 3
		.amdhsa_dx10_clamp 1
		.amdhsa_ieee_mode 1
		.amdhsa_fp16_overflow 0
		.amdhsa_tg_split 0
		.amdhsa_exception_fp_ieee_invalid_op 0
		.amdhsa_exception_fp_denorm_src 0
		.amdhsa_exception_fp_ieee_div_zero 0
		.amdhsa_exception_fp_ieee_overflow 0
		.amdhsa_exception_fp_ieee_underflow 0
		.amdhsa_exception_fp_ieee_inexact 0
		.amdhsa_exception_int_div_zero 0
	.end_amdhsa_kernel
	.section	.text._ZN9rocsolver6v33100L18getri_kernel_smallILi31E19rocblas_complex_numIdEPS3_EEvT1_iilPiilS6_bb,"axG",@progbits,_ZN9rocsolver6v33100L18getri_kernel_smallILi31E19rocblas_complex_numIdEPS3_EEvT1_iilPiilS6_bb,comdat
.Lfunc_end30:
	.size	_ZN9rocsolver6v33100L18getri_kernel_smallILi31E19rocblas_complex_numIdEPS3_EEvT1_iilPiilS6_bb, .Lfunc_end30-_ZN9rocsolver6v33100L18getri_kernel_smallILi31E19rocblas_complex_numIdEPS3_EEvT1_iilPiilS6_bb
                                        ; -- End function
	.section	.AMDGPU.csdata,"",@progbits
; Kernel info:
; codeLenInByte = 69792
; NumSgprs: 34
; NumVgprs: 256
; NumAgprs: 85
; TotalNumVgprs: 341
; ScratchSize: 512
; MemoryBound: 0
; FloatMode: 240
; IeeeMode: 1
; LDSByteSize: 2024 bytes/workgroup (compile time only)
; SGPRBlocks: 4
; VGPRBlocks: 42
; NumSGPRsForWavesPerEU: 34
; NumVGPRsForWavesPerEU: 341
; AccumOffset: 256
; Occupancy: 1
; WaveLimiterHint : 1
; COMPUTE_PGM_RSRC2:SCRATCH_EN: 1
; COMPUTE_PGM_RSRC2:USER_SGPR: 10
; COMPUTE_PGM_RSRC2:TRAP_HANDLER: 0
; COMPUTE_PGM_RSRC2:TGID_X_EN: 1
; COMPUTE_PGM_RSRC2:TGID_Y_EN: 0
; COMPUTE_PGM_RSRC2:TGID_Z_EN: 0
; COMPUTE_PGM_RSRC2:TIDIG_COMP_CNT: 2
; COMPUTE_PGM_RSRC3_GFX90A:ACCUM_OFFSET: 63
; COMPUTE_PGM_RSRC3_GFX90A:TG_SPLIT: 0
	.section	.text._ZN9rocsolver6v33100L18getri_kernel_smallILi32E19rocblas_complex_numIdEPS3_EEvT1_iilPiilS6_bb,"axG",@progbits,_ZN9rocsolver6v33100L18getri_kernel_smallILi32E19rocblas_complex_numIdEPS3_EEvT1_iilPiilS6_bb,comdat
	.globl	_ZN9rocsolver6v33100L18getri_kernel_smallILi32E19rocblas_complex_numIdEPS3_EEvT1_iilPiilS6_bb ; -- Begin function _ZN9rocsolver6v33100L18getri_kernel_smallILi32E19rocblas_complex_numIdEPS3_EEvT1_iilPiilS6_bb
	.p2align	8
	.type	_ZN9rocsolver6v33100L18getri_kernel_smallILi32E19rocblas_complex_numIdEPS3_EEvT1_iilPiilS6_bb,@function
_ZN9rocsolver6v33100L18getri_kernel_smallILi32E19rocblas_complex_numIdEPS3_EEvT1_iilPiilS6_bb: ; @_ZN9rocsolver6v33100L18getri_kernel_smallILi32E19rocblas_complex_numIdEPS3_EEvT1_iilPiilS6_bb
; %bb.0:
	s_add_u32 flat_scratch_lo, s6, s9
	s_addc_u32 flat_scratch_hi, s7, 0
	s_add_u32 s0, s0, s9
	s_addc_u32 s1, s1, 0
	v_cmp_gt_u32_e32 vcc, 32, v0
	s_and_saveexec_b64 s[6:7], vcc
	s_cbranch_execz .LBB31_142
; %bb.1:
	s_load_dword s22, s[4:5], 0x38
	s_load_dwordx4 s[16:19], s[4:5], 0x10
	s_load_dwordx4 s[12:15], s[4:5], 0x28
                                        ; implicit-def: $sgpr10_sgpr11
	s_waitcnt lgkmcnt(0)
	s_bitcmp1_b32 s22, 8
	s_cselect_b64 s[20:21], -1, 0
	s_ashr_i32 s9, s8, 31
	s_bfe_u32 s6, s22, 0x10008
	s_cmp_eq_u32 s6, 0
	s_cbranch_scc1 .LBB31_3
; %bb.2:
	s_load_dword s6, s[4:5], 0x20
	s_mul_i32 s7, s8, s13
	s_mul_hi_u32 s10, s8, s12
	s_mul_i32 s11, s9, s12
	s_add_i32 s10, s10, s7
	s_add_i32 s11, s10, s11
	s_mul_i32 s10, s8, s12
	s_waitcnt lgkmcnt(0)
	s_ashr_i32 s7, s6, 31
	s_lshl_b64 s[10:11], s[10:11], 2
	s_add_u32 s10, s18, s10
	s_addc_u32 s11, s19, s11
	s_lshl_b64 s[6:7], s[6:7], 2
	s_add_u32 s10, s10, s6
	s_addc_u32 s11, s11, s7
.LBB31_3:
	s_load_dwordx4 s[4:7], s[4:5], 0x0
	s_mul_i32 s12, s8, s17
	s_mul_hi_u32 s13, s8, s16
	s_add_i32 s17, s13, s12
	v_lshlrev_b32_e32 v1, 4, v0
	s_waitcnt lgkmcnt(0)
	s_ashr_i32 s13, s6, 31
	s_mov_b32 s12, s6
	s_mul_i32 s6, s9, s16
	s_add_i32 s17, s17, s6
	s_mul_i32 s16, s8, s16
	s_lshl_b64 s[16:17], s[16:17], 4
	s_add_u32 s6, s4, s16
	s_addc_u32 s16, s5, s17
	s_lshl_b64 s[4:5], s[12:13], 4
	s_add_u32 s4, s6, s4
	s_addc_u32 s5, s16, s5
	s_add_i32 s6, s7, s7
	v_add_u32_e32 v4, s6, v0
	v_ashrrev_i32_e32 v5, 31, v4
	v_add_u32_e32 v2, s7, v4
	v_lshlrev_b64 v[4:5], 4, v[4:5]
	v_mov_b32_e32 v3, s5
	v_add_co_u32_e32 v4, vcc, s4, v4
	v_addc_co_u32_e32 v5, vcc, v3, v5, vcc
	global_load_dwordx4 v[20:23], v1, s[4:5]
	v_add_co_u32_e32 v44, vcc, s4, v1
	s_mov_b32 s12, s7
	s_ashr_i32 s13, s7, 31
	v_addc_co_u32_e32 v45, vcc, 0, v3, vcc
	s_lshl_b64 s[12:13], s[12:13], 4
	v_mov_b32_e32 v3, s13
	v_add_co_u32_e32 v24, vcc, s12, v44
	v_addc_co_u32_e32 v25, vcc, v45, v3, vcc
	v_accvgpr_write_b32 a2, v24
	v_accvgpr_write_b32 a3, v25
	global_load_dwordx4 v[24:27], v[24:25], off
	v_ashrrev_i32_e32 v3, 31, v2
	global_load_dwordx4 v[28:31], v[4:5], off
	v_add_u32_e32 v6, s7, v2
	v_accvgpr_write_b32 a0, v4
	v_lshlrev_b64 v[2:3], 4, v[2:3]
	v_accvgpr_write_b32 a1, v5
	v_mov_b32_e32 v4, s5
	v_add_co_u32_e32 v32, vcc, s4, v2
	v_addc_co_u32_e32 v33, vcc, v4, v3, vcc
	v_accvgpr_write_b32 a4, v32
	v_ashrrev_i32_e32 v7, 31, v6
	v_accvgpr_write_b32 a5, v33
	global_load_dwordx4 v[32:35], v[32:33], off
	v_lshlrev_b64 v[2:3], 4, v[6:7]
	v_add_co_u32_e32 v2, vcc, s4, v2
	v_add_u32_e32 v8, s7, v6
	v_addc_co_u32_e32 v3, vcc, v4, v3, vcc
	v_accvgpr_write_b32 a7, v3
	global_load_dwordx4 v[36:39], v[2:3], off
	v_ashrrev_i32_e32 v9, 31, v8
	v_accvgpr_write_b32 a6, v2
	v_lshlrev_b64 v[2:3], 4, v[8:9]
	v_add_co_u32_e32 v6, vcc, s4, v2
	v_add_u32_e32 v10, s7, v8
	v_addc_co_u32_e32 v7, vcc, v4, v3, vcc
	v_ashrrev_i32_e32 v11, 31, v10
	global_load_dwordx4 v[66:69], v[6:7], off
	v_lshlrev_b64 v[2:3], 4, v[10:11]
	v_add_co_u32_e32 v2, vcc, s4, v2
	v_add_u32_e32 v12, s7, v10
	v_addc_co_u32_e32 v3, vcc, v4, v3, vcc
	global_load_dwordx4 v[70:73], v[2:3], off
	v_accvgpr_write_b32 a11, v3
	v_ashrrev_i32_e32 v13, 31, v12
	v_accvgpr_write_b32 a9, v7
	v_accvgpr_write_b32 a10, v2
	v_lshlrev_b64 v[2:3], 4, v[12:13]
	v_accvgpr_write_b32 a8, v6
	v_add_co_u32_e32 v6, vcc, s4, v2
	v_add_u32_e32 v14, s7, v12
	v_addc_co_u32_e32 v7, vcc, v4, v3, vcc
	v_ashrrev_i32_e32 v15, 31, v14
	global_load_dwordx4 v[10:13], v[6:7], off
	v_lshlrev_b64 v[2:3], 4, v[14:15]
	v_add_co_u32_e32 v2, vcc, s4, v2
	v_add_u32_e32 v16, s7, v14
	v_addc_co_u32_e32 v3, vcc, v4, v3, vcc
	global_load_dwordx4 v[74:77], v[2:3], off
	v_accvgpr_write_b32 a15, v3
	v_ashrrev_i32_e32 v17, 31, v16
	v_accvgpr_write_b32 a13, v7
	v_accvgpr_write_b32 a14, v2
	v_lshlrev_b64 v[2:3], 4, v[16:17]
	v_accvgpr_write_b32 a12, v6
	v_add_co_u32_e32 v6, vcc, s4, v2
	v_add_u32_e32 v18, s7, v16
	v_addc_co_u32_e32 v7, vcc, v4, v3, vcc
	v_ashrrev_i32_e32 v19, 31, v18
	global_load_dwordx4 v[14:17], v[6:7], off
	v_lshlrev_b64 v[2:3], 4, v[18:19]
	v_add_co_u32_e32 v2, vcc, s4, v2
	v_accvgpr_write_b32 a17, v7
	v_addc_co_u32_e32 v3, vcc, v4, v3, vcc
	v_accvgpr_write_b32 a16, v6
	global_load_dwordx4 v[6:9], v[2:3], off
	v_add_u32_e32 v18, s7, v18
	v_add_u32_e32 v40, s7, v18
	;; [unrolled: 1-line block ×19, first 2 shown]
	v_accvgpr_write_b32 a19, v3
	v_add_u32_e32 v104, s7, v102
	v_accvgpr_write_b32 a18, v2
	v_add_u32_e32 v2, s7, v104
	v_ashrrev_i32_e32 v3, 31, v2
	v_lshlrev_b64 v[2:3], 4, v[2:3]
	v_add_co_u32_e32 v2, vcc, s4, v2
	v_addc_co_u32_e32 v3, vcc, v4, v3, vcc
	v_accvgpr_write_b32 a21, v3
	v_ashrrev_i32_e32 v19, 31, v18
	v_accvgpr_write_b32 a20, v2
	global_load_dwordx4 v[2:5], v[2:3], off
	s_waitcnt vmcnt(11)
	buffer_store_dword v23, off, s[0:3], 0 offset:28
	buffer_store_dword v22, off, s[0:3], 0 offset:24
	buffer_store_dword v21, off, s[0:3], 0 offset:20
	buffer_store_dword v20, off, s[0:3], 0 offset:16
	s_waitcnt vmcnt(14)
	buffer_store_dword v27, off, s[0:3], 0 offset:44
	buffer_store_dword v26, off, s[0:3], 0 offset:40
	buffer_store_dword v25, off, s[0:3], 0 offset:36
	buffer_store_dword v24, off, s[0:3], 0 offset:32
	;; [unrolled: 5-line block ×10, first 2 shown]
	s_waitcnt vmcnt(41)
	buffer_store_dword v6, off, s[0:3], 0 offset:176
	v_lshlrev_b64 v[10:11], 4, v[18:19]
	v_mov_b32_e32 v6, s5
	v_add_co_u32_e32 v12, vcc, s4, v10
	v_ashrrev_i32_e32 v41, 31, v40
	v_addc_co_u32_e32 v13, vcc, v6, v11, vcc
	v_lshlrev_b64 v[10:11], 4, v[40:41]
	v_add_co_u32_e32 v14, vcc, s4, v10
	v_ashrrev_i32_e32 v43, 31, v42
	v_addc_co_u32_e32 v15, vcc, v6, v11, vcc
	v_lshlrev_b64 v[18:19], 4, v[42:43]
	;; [unrolled: 4-line block ×9, first 2 shown]
	v_add_co_u32_e32 v46, vcc, s4, v46
	v_addc_co_u32_e32 v47, vcc, v6, v47, vcc
	v_accvgpr_write_b32 a40, v46
	v_ashrrev_i32_e32 v61, 31, v60
	v_accvgpr_write_b32 a38, v42
	global_load_dwordx4 v[106:109], v[42:43], off
	global_load_dwordx4 v[110:113], v[46:47], off
	v_accvgpr_write_b32 a41, v47
	v_lshlrev_b64 v[46:47], 4, v[60:61]
	v_accvgpr_write_b32 a39, v43
	v_add_co_u32_e32 v42, vcc, s4, v46
	v_ashrrev_i32_e32 v63, 31, v62
	v_addc_co_u32_e32 v43, vcc, v6, v47, vcc
	v_lshlrev_b64 v[46:47], 4, v[62:63]
	v_add_co_u32_e32 v46, vcc, s4, v46
	v_addc_co_u32_e32 v47, vcc, v6, v47, vcc
	v_accvgpr_write_b32 a44, v46
	v_ashrrev_i32_e32 v65, 31, v64
	v_accvgpr_write_b32 a42, v42
	global_load_dwordx4 v[114:117], v[42:43], off
	global_load_dwordx4 v[118:121], v[46:47], off
	v_accvgpr_write_b32 a45, v47
	v_lshlrev_b64 v[46:47], 4, v[64:65]
	v_accvgpr_write_b32 a43, v43
	v_add_co_u32_e32 v42, vcc, s4, v46
	v_ashrrev_i32_e32 v79, 31, v78
	v_addc_co_u32_e32 v43, vcc, v6, v47, vcc
	v_lshlrev_b64 v[46:47], 4, v[78:79]
	;; [unrolled: 14-line block ×4, first 2 shown]
	v_accvgpr_write_b32 a23, v13
	v_accvgpr_write_b32 a25, v15
	;; [unrolled: 1-line block ×8, first 2 shown]
	v_add_co_u32_e32 v100, vcc, s4, v46
	v_accvgpr_write_b32 a22, v12
	global_load_dwordx4 v[10:13], v[12:13], off
	v_accvgpr_write_b32 a24, v14
	global_load_dwordx4 v[14:17], v[14:15], off
	;; [unrolled: 2-line block ×8, first 2 shown]
	v_addc_co_u32_e32 v101, vcc, v6, v47, vcc
	global_load_dwordx4 v[138:141], v[42:43], off
	global_load_dwordx4 v[142:145], v[100:101], off
	v_ashrrev_i32_e32 v103, 31, v102
	v_lshlrev_b64 v[46:47], 4, v[102:103]
	v_add_co_u32_e32 v102, vcc, s4, v46
	v_addc_co_u32_e32 v103, vcc, v6, v47, vcc
	v_ashrrev_i32_e32 v105, 31, v104
	global_load_dwordx4 v[146:149], v[102:103], off
	v_lshlrev_b64 v[46:47], 4, v[104:105]
	v_add_co_u32_e32 v104, vcc, s4, v46
	v_addc_co_u32_e32 v105, vcc, v6, v47, vcc
	global_load_dwordx4 v[150:153], v[104:105], off
	s_nop 0
	buffer_store_dword v7, off, s[0:3], 0 offset:180
	buffer_store_dword v8, off, s[0:3], 0 offset:184
	buffer_store_dword v9, off, s[0:3], 0 offset:188
	s_waitcnt vmcnt(14)
	buffer_store_dword v10, off, s[0:3], 0 offset:192
	buffer_store_dword v11, off, s[0:3], 0 offset:196
	buffer_store_dword v12, off, s[0:3], 0 offset:200
	buffer_store_dword v13, off, s[0:3], 0 offset:204
	s_waitcnt vmcnt(17)
	buffer_store_dword v17, off, s[0:3], 0 offset:220
	;; [unrolled: 5-line block ×8, first 2 shown]
	buffer_store_dword v40, off, s[0:3], 0 offset:312
	buffer_store_dword v39, off, s[0:3], 0 offset:308
	;; [unrolled: 1-line block ×35, first 2 shown]
	s_waitcnt vmcnt(62)
	buffer_store_dword v141, off, s[0:3], 0 offset:460
	buffer_store_dword v140, off, s[0:3], 0 offset:456
	;; [unrolled: 1-line block ×20, first 2 shown]
	v_mov_b32_e32 v2, 16
	v_add_u32_e32 v3, 16, v2
	v_accvgpr_write_b32 a84, v3
	v_add_u32_e32 v3, 32, v2
	v_accvgpr_write_b32 a86, v3
	;; [unrolled: 2-line block ×29, first 2 shown]
	v_accvgpr_write_b32 a58, v3
	v_add_u32_e32 v3, 0x1e0, v2
	v_add_u32_e32 v2, 0x1f0, v2
	v_accvgpr_write_b32 a54, v42
	v_accvgpr_write_b32 a57, v3
	;; [unrolled: 1-line block ×3, first 2 shown]
	s_bitcmp0_b32 s22, 0
	s_mov_b64 s[6:7], -1
	s_cbranch_scc1 .LBB31_140
; %bb.4:
	v_cmp_eq_u32_e64 s[4:5], 0, v0
	s_and_saveexec_b64 s[6:7], s[4:5]
	s_cbranch_execz .LBB31_6
; %bb.5:
	v_mov_b32_e32 v2, 0
	ds_write_b32 v2, v2 offset:1024
.LBB31_6:
	s_or_b64 exec, exec, s[6:7]
	v_mov_b32_e32 v2, 16
	v_lshl_add_u32 v12, v0, 4, v2
	s_waitcnt lgkmcnt(0)
	; wave barrier
	s_waitcnt lgkmcnt(0)
	buffer_load_dword v2, v12, s[0:3], 0 offen
	buffer_load_dword v3, v12, s[0:3], 0 offen offset:4
	buffer_load_dword v4, v12, s[0:3], 0 offen offset:8
	;; [unrolled: 1-line block ×3, first 2 shown]
	s_waitcnt vmcnt(2)
	v_cmp_eq_f64_e32 vcc, 0, v[2:3]
	s_waitcnt vmcnt(0)
	v_cmp_eq_f64_e64 s[6:7], 0, v[4:5]
	s_and_b64 s[6:7], vcc, s[6:7]
	s_and_saveexec_b64 s[12:13], s[6:7]
	s_cbranch_execz .LBB31_10
; %bb.7:
	v_mov_b32_e32 v2, 0
	ds_read_b32 v4, v2 offset:1024
	v_add_u32_e32 v3, 1, v0
	s_waitcnt lgkmcnt(0)
	v_readfirstlane_b32 s6, v4
	s_cmp_eq_u32 s6, 0
	s_cselect_b64 s[16:17], -1, 0
	v_cmp_gt_i32_e32 vcc, s6, v3
	s_or_b64 s[16:17], s[16:17], vcc
	s_and_b64 exec, exec, s[16:17]
	s_cbranch_execz .LBB31_10
; %bb.8:
	s_mov_b64 s[16:17], 0
	v_mov_b32_e32 v4, s6
.LBB31_9:                               ; =>This Inner Loop Header: Depth=1
	ds_cmpst_rtn_b32 v4, v2, v4, v3 offset:1024
	s_waitcnt lgkmcnt(0)
	v_cmp_ne_u32_e32 vcc, 0, v4
	v_cmp_le_i32_e64 s[6:7], v4, v3
	s_and_b64 s[6:7], vcc, s[6:7]
	s_and_b64 s[6:7], exec, s[6:7]
	s_or_b64 s[16:17], s[6:7], s[16:17]
	s_andn2_b64 exec, exec, s[16:17]
	s_cbranch_execnz .LBB31_9
.LBB31_10:
	s_or_b64 exec, exec, s[12:13]
	v_mov_b32_e32 v3, 0
	s_waitcnt lgkmcnt(0)
	; wave barrier
	ds_read_b32 v2, v3 offset:1024
	s_and_saveexec_b64 s[6:7], s[4:5]
	s_cbranch_execz .LBB31_12
; %bb.11:
	s_lshl_b64 s[12:13], s[8:9], 2
	s_add_u32 s12, s14, s12
	s_addc_u32 s13, s15, s13
	s_waitcnt lgkmcnt(0)
	global_store_dword v3, v2, s[12:13]
.LBB31_12:
	s_or_b64 exec, exec, s[6:7]
	s_waitcnt lgkmcnt(0)
	v_cmp_ne_u32_e32 vcc, 0, v2
	s_mov_b64 s[6:7], 0
	s_cbranch_vccnz .LBB31_140
; %bb.13:
	buffer_load_dword v7, v12, s[0:3], 0 offen offset:4
	buffer_load_dword v6, v12, s[0:3], 0 offen
	buffer_load_dword v9, v12, s[0:3], 0 offen offset:12
	buffer_load_dword v8, v12, s[0:3], 0 offen offset:8
                                        ; implicit-def: $vgpr10_vgpr11
	s_waitcnt vmcnt(3)
	v_xor_b32_e32 v3, 0x80000000, v7
	s_waitcnt vmcnt(2)
	v_cmp_gt_f64_e32 vcc, 0, v[6:7]
	s_waitcnt vmcnt(1)
	v_xor_b32_e32 v4, 0x80000000, v9
	v_cndmask_b32_e32 v3, v7, v3, vcc
	s_waitcnt vmcnt(0)
	v_cmp_gt_f64_e32 vcc, 0, v[8:9]
	v_mov_b32_e32 v2, v6
	v_cndmask_b32_e32 v5, v9, v4, vcc
	v_mov_b32_e32 v4, v8
	v_cmp_ngt_f64_e32 vcc, v[2:3], v[4:5]
                                        ; implicit-def: $vgpr4_vgpr5
	s_and_saveexec_b64 s[6:7], vcc
	s_xor_b64 s[6:7], exec, s[6:7]
	s_cbranch_execz .LBB31_15
; %bb.14:
	v_div_scale_f64 v[2:3], s[12:13], v[8:9], v[8:9], v[6:7]
	v_rcp_f64_e32 v[4:5], v[2:3]
	v_div_scale_f64 v[10:11], vcc, v[6:7], v[8:9], v[6:7]
	v_fma_f64 v[14:15], -v[2:3], v[4:5], 1.0
	v_fmac_f64_e32 v[4:5], v[4:5], v[14:15]
	v_fma_f64 v[14:15], -v[2:3], v[4:5], 1.0
	v_fmac_f64_e32 v[4:5], v[4:5], v[14:15]
	v_mul_f64 v[14:15], v[10:11], v[4:5]
	v_fma_f64 v[2:3], -v[2:3], v[14:15], v[10:11]
	v_div_fmas_f64 v[2:3], v[2:3], v[4:5], v[14:15]
	v_div_fixup_f64 v[2:3], v[2:3], v[8:9], v[6:7]
	v_fmac_f64_e32 v[8:9], v[6:7], v[2:3]
	v_div_scale_f64 v[4:5], s[12:13], v[8:9], v[8:9], 1.0
	v_rcp_f64_e32 v[6:7], v[4:5]
	v_fma_f64 v[10:11], -v[4:5], v[6:7], 1.0
	v_fmac_f64_e32 v[6:7], v[6:7], v[10:11]
	v_fma_f64 v[10:11], -v[4:5], v[6:7], 1.0
	v_fmac_f64_e32 v[6:7], v[6:7], v[10:11]
	v_div_scale_f64 v[10:11], vcc, 1.0, v[8:9], 1.0
	v_mul_f64 v[14:15], v[10:11], v[6:7]
	v_fma_f64 v[4:5], -v[4:5], v[14:15], v[10:11]
	s_nop 1
	v_div_fmas_f64 v[4:5], v[4:5], v[6:7], v[14:15]
	v_div_fixup_f64 v[4:5], v[4:5], v[8:9], 1.0
	v_mul_f64 v[10:11], v[2:3], v[4:5]
	v_xor_b32_e32 v5, 0x80000000, v5
	v_xor_b32_e32 v3, 0x80000000, v11
	v_mov_b32_e32 v2, v10
                                        ; implicit-def: $vgpr6_vgpr7
                                        ; implicit-def: $vgpr8_vgpr9
.LBB31_15:
	s_andn2_saveexec_b64 s[6:7], s[6:7]
	s_cbranch_execz .LBB31_17
; %bb.16:
	v_div_scale_f64 v[2:3], s[12:13], v[6:7], v[6:7], v[8:9]
	v_rcp_f64_e32 v[4:5], v[2:3]
	v_div_scale_f64 v[10:11], vcc, v[8:9], v[6:7], v[8:9]
	v_fma_f64 v[14:15], -v[2:3], v[4:5], 1.0
	v_fmac_f64_e32 v[4:5], v[4:5], v[14:15]
	v_fma_f64 v[14:15], -v[2:3], v[4:5], 1.0
	v_fmac_f64_e32 v[4:5], v[4:5], v[14:15]
	v_mul_f64 v[14:15], v[10:11], v[4:5]
	v_fma_f64 v[2:3], -v[2:3], v[14:15], v[10:11]
	v_div_fmas_f64 v[2:3], v[2:3], v[4:5], v[14:15]
	v_div_fixup_f64 v[4:5], v[2:3], v[6:7], v[8:9]
	v_fmac_f64_e32 v[6:7], v[8:9], v[4:5]
	v_div_scale_f64 v[2:3], s[12:13], v[6:7], v[6:7], 1.0
	v_rcp_f64_e32 v[8:9], v[2:3]
	v_fma_f64 v[10:11], -v[2:3], v[8:9], 1.0
	v_fmac_f64_e32 v[8:9], v[8:9], v[10:11]
	v_fma_f64 v[10:11], -v[2:3], v[8:9], 1.0
	v_fmac_f64_e32 v[8:9], v[8:9], v[10:11]
	v_div_scale_f64 v[10:11], vcc, 1.0, v[6:7], 1.0
	v_mul_f64 v[14:15], v[10:11], v[8:9]
	v_fma_f64 v[2:3], -v[2:3], v[14:15], v[10:11]
	s_nop 1
	v_div_fmas_f64 v[2:3], v[2:3], v[8:9], v[14:15]
	v_div_fixup_f64 v[10:11], v[2:3], v[6:7], 1.0
	v_xor_b32_e32 v3, 0x80000000, v11
	v_mov_b32_e32 v2, v10
	v_mul_f64 v[4:5], v[4:5], -v[10:11]
.LBB31_17:
	s_or_b64 exec, exec, s[6:7]
	buffer_store_dword v11, v12, s[0:3], 0 offen offset:4
	buffer_store_dword v10, v12, s[0:3], 0 offen
	buffer_store_dword v5, v12, s[0:3], 0 offen offset:12
	buffer_store_dword v4, v12, s[0:3], 0 offen offset:8
	v_accvgpr_read_b32 v6, a84
	buffer_load_dword v11, v6, s[0:3], 0 offen offset:12
	buffer_load_dword v10, v6, s[0:3], 0 offen offset:8
	;; [unrolled: 1-line block ×3, first 2 shown]
	buffer_load_dword v8, v6, s[0:3], 0 offen
	v_xor_b32_e32 v5, 0x80000000, v5
	v_add_u32_e32 v6, 0x200, v1
	ds_write_b128 v1, v[2:5]
	s_waitcnt vmcnt(0)
	ds_write_b128 v1, v[8:11] offset:512
	s_waitcnt lgkmcnt(0)
	; wave barrier
	s_waitcnt lgkmcnt(0)
	s_and_saveexec_b64 s[6:7], s[4:5]
	s_cbranch_execz .LBB31_19
; %bb.18:
	buffer_load_dword v14, v12, s[0:3], 0 offen offset:8
	buffer_load_dword v15, v12, s[0:3], 0 offen offset:12
	buffer_load_dword v16, v12, s[0:3], 0 offen
	buffer_load_dword v17, v12, s[0:3], 0 offen offset:4
	ds_read_b128 v[2:5], v6
	v_mov_b32_e32 v7, 0
	ds_read_b128 v[8:11], v7 offset:16
	s_waitcnt vmcnt(2) lgkmcnt(1)
	v_mul_f64 v[18:19], v[4:5], v[14:15]
	v_mul_f64 v[14:15], v[2:3], v[14:15]
	s_waitcnt vmcnt(0)
	v_fmac_f64_e32 v[14:15], v[4:5], v[16:17]
	v_fma_f64 v[2:3], v[2:3], v[16:17], -v[18:19]
	v_add_f64 v[4:5], v[14:15], 0
	v_add_f64 v[2:3], v[2:3], 0
	s_waitcnt lgkmcnt(0)
	v_mul_f64 v[14:15], v[4:5], v[10:11]
	v_mul_f64 v[10:11], v[2:3], v[10:11]
	v_fma_f64 v[2:3], v[2:3], v[8:9], -v[14:15]
	v_fmac_f64_e32 v[10:11], v[4:5], v[8:9]
	buffer_store_dword v2, off, s[0:3], 0 offset:32
	buffer_store_dword v3, off, s[0:3], 0 offset:36
	;; [unrolled: 1-line block ×4, first 2 shown]
.LBB31_19:
	s_or_b64 exec, exec, s[6:7]
	v_accvgpr_read_b32 v5, a86
	s_waitcnt lgkmcnt(0)
	; wave barrier
	buffer_load_dword v2, v5, s[0:3], 0 offen
	buffer_load_dword v3, v5, s[0:3], 0 offen offset:4
	buffer_load_dword v4, v5, s[0:3], 0 offen offset:8
	s_nop 0
	buffer_load_dword v5, v5, s[0:3], 0 offen offset:12
	v_cmp_gt_u32_e32 vcc, 2, v0
	s_waitcnt vmcnt(0)
	ds_write_b128 v6, v[2:5]
	s_waitcnt lgkmcnt(0)
	; wave barrier
	s_waitcnt lgkmcnt(0)
	s_and_saveexec_b64 s[6:7], vcc
	s_cbranch_execz .LBB31_23
; %bb.20:
	buffer_load_dword v8, v12, s[0:3], 0 offen offset:8
	buffer_load_dword v9, v12, s[0:3], 0 offen offset:12
	buffer_load_dword v10, v12, s[0:3], 0 offen
	buffer_load_dword v11, v12, s[0:3], 0 offen offset:4
	ds_read_b128 v[2:5], v6
	s_waitcnt vmcnt(2) lgkmcnt(0)
	v_mul_f64 v[12:13], v[4:5], v[8:9]
	v_mul_f64 v[8:9], v[2:3], v[8:9]
	s_waitcnt vmcnt(0)
	v_fma_f64 v[2:3], v[2:3], v[10:11], -v[12:13]
	v_fmac_f64_e32 v[8:9], v[4:5], v[10:11]
	v_add_f64 v[4:5], v[2:3], 0
	v_add_f64 v[2:3], v[8:9], 0
	s_and_saveexec_b64 s[12:13], s[4:5]
	s_cbranch_execz .LBB31_22
; %bb.21:
	buffer_load_dword v12, off, s[0:3], 0 offset:40
	buffer_load_dword v13, off, s[0:3], 0 offset:44
	;; [unrolled: 1-line block ×4, first 2 shown]
	v_mov_b32_e32 v7, 0
	ds_read_b128 v[8:11], v7 offset:528
	s_waitcnt vmcnt(2) lgkmcnt(0)
	v_mul_f64 v[16:17], v[8:9], v[12:13]
	v_mul_f64 v[12:13], v[10:11], v[12:13]
	s_waitcnt vmcnt(0)
	v_fmac_f64_e32 v[16:17], v[10:11], v[14:15]
	v_fma_f64 v[8:9], v[8:9], v[14:15], -v[12:13]
	v_add_f64 v[2:3], v[2:3], v[16:17]
	v_add_f64 v[4:5], v[4:5], v[8:9]
.LBB31_22:
	s_or_b64 exec, exec, s[12:13]
	v_mov_b32_e32 v7, 0
	ds_read_b128 v[8:11], v7 offset:32
	s_waitcnt lgkmcnt(0)
	v_mul_f64 v[12:13], v[2:3], v[10:11]
	v_mul_f64 v[10:11], v[4:5], v[10:11]
	v_fma_f64 v[4:5], v[4:5], v[8:9], -v[12:13]
	v_fmac_f64_e32 v[10:11], v[2:3], v[8:9]
	buffer_store_dword v5, off, s[0:3], 0 offset:52
	buffer_store_dword v4, off, s[0:3], 0 offset:48
	;; [unrolled: 1-line block ×4, first 2 shown]
.LBB31_23:
	s_or_b64 exec, exec, s[6:7]
	v_accvgpr_read_b32 v5, a85
	s_waitcnt lgkmcnt(0)
	; wave barrier
	buffer_load_dword v2, v5, s[0:3], 0 offen
	buffer_load_dword v3, v5, s[0:3], 0 offen offset:4
	buffer_load_dword v4, v5, s[0:3], 0 offen offset:8
	s_nop 0
	buffer_load_dword v5, v5, s[0:3], 0 offen offset:12
	v_cmp_gt_u32_e32 vcc, 3, v0
	v_add_u32_e32 v7, -1, v0
	s_waitcnt vmcnt(0)
	ds_write_b128 v6, v[2:5]
	s_waitcnt lgkmcnt(0)
	; wave barrier
	s_waitcnt lgkmcnt(0)
	s_and_saveexec_b64 s[4:5], vcc
	s_cbranch_execz .LBB31_27
; %bb.24:
	v_pk_mov_b32 v[2:3], 0, 0
	v_add_u32_e32 v8, -1, v0
	v_add_u32_e32 v9, 0x200, v1
	v_add_u32_e32 v10, 16, v1
	s_mov_b64 s[6:7], 0
	v_pk_mov_b32 v[4:5], v[2:3], v[2:3] op_sel:[0,1]
.LBB31_25:                              ; =>This Inner Loop Header: Depth=1
	buffer_load_dword v16, v10, s[0:3], 0 offen offset:8
	buffer_load_dword v17, v10, s[0:3], 0 offen offset:12
	buffer_load_dword v18, v10, s[0:3], 0 offen
	buffer_load_dword v19, v10, s[0:3], 0 offen offset:4
	ds_read_b128 v[12:15], v9
	v_add_u32_e32 v8, 1, v8
	v_cmp_lt_u32_e32 vcc, 1, v8
	v_add_u32_e32 v9, 16, v9
	v_add_u32_e32 v10, 16, v10
	s_or_b64 s[6:7], vcc, s[6:7]
	s_waitcnt vmcnt(2) lgkmcnt(0)
	v_mul_f64 v[20:21], v[14:15], v[16:17]
	v_mul_f64 v[16:17], v[12:13], v[16:17]
	s_waitcnt vmcnt(0)
	v_fma_f64 v[12:13], v[12:13], v[18:19], -v[20:21]
	v_fmac_f64_e32 v[16:17], v[14:15], v[18:19]
	v_add_f64 v[4:5], v[4:5], v[12:13]
	v_add_f64 v[2:3], v[2:3], v[16:17]
	s_andn2_b64 exec, exec, s[6:7]
	s_cbranch_execnz .LBB31_25
; %bb.26:
	s_or_b64 exec, exec, s[6:7]
	v_mov_b32_e32 v8, 0
	ds_read_b128 v[8:11], v8 offset:48
	s_waitcnt lgkmcnt(0)
	v_mul_f64 v[12:13], v[2:3], v[10:11]
	v_mul_f64 v[10:11], v[4:5], v[10:11]
	v_fma_f64 v[4:5], v[4:5], v[8:9], -v[12:13]
	v_fmac_f64_e32 v[10:11], v[2:3], v[8:9]
	buffer_store_dword v5, off, s[0:3], 0 offset:68
	buffer_store_dword v4, off, s[0:3], 0 offset:64
	buffer_store_dword v11, off, s[0:3], 0 offset:76
	buffer_store_dword v10, off, s[0:3], 0 offset:72
.LBB31_27:
	s_or_b64 exec, exec, s[4:5]
	v_accvgpr_read_b32 v5, a81
	s_waitcnt lgkmcnt(0)
	; wave barrier
	buffer_load_dword v2, v5, s[0:3], 0 offen
	buffer_load_dword v3, v5, s[0:3], 0 offen offset:4
	buffer_load_dword v4, v5, s[0:3], 0 offen offset:8
	s_nop 0
	buffer_load_dword v5, v5, s[0:3], 0 offen offset:12
	v_cmp_gt_u32_e32 vcc, 4, v0
	s_waitcnt vmcnt(0)
	ds_write_b128 v6, v[2:5]
	s_waitcnt lgkmcnt(0)
	; wave barrier
	s_waitcnt lgkmcnt(0)
	s_and_saveexec_b64 s[4:5], vcc
	s_cbranch_execz .LBB31_31
; %bb.28:
	v_pk_mov_b32 v[2:3], 0, 0
	v_add_u32_e32 v8, -1, v0
	v_add_u32_e32 v9, 0x200, v1
	v_add_u32_e32 v10, 16, v1
	s_mov_b64 s[6:7], 0
	v_pk_mov_b32 v[4:5], v[2:3], v[2:3] op_sel:[0,1]
.LBB31_29:                              ; =>This Inner Loop Header: Depth=1
	buffer_load_dword v16, v10, s[0:3], 0 offen offset:8
	buffer_load_dword v17, v10, s[0:3], 0 offen offset:12
	buffer_load_dword v18, v10, s[0:3], 0 offen
	buffer_load_dword v19, v10, s[0:3], 0 offen offset:4
	ds_read_b128 v[12:15], v9
	v_add_u32_e32 v8, 1, v8
	v_cmp_lt_u32_e32 vcc, 2, v8
	v_add_u32_e32 v9, 16, v9
	v_add_u32_e32 v10, 16, v10
	s_or_b64 s[6:7], vcc, s[6:7]
	s_waitcnt vmcnt(2) lgkmcnt(0)
	v_mul_f64 v[20:21], v[14:15], v[16:17]
	v_mul_f64 v[16:17], v[12:13], v[16:17]
	s_waitcnt vmcnt(0)
	v_fma_f64 v[12:13], v[12:13], v[18:19], -v[20:21]
	v_fmac_f64_e32 v[16:17], v[14:15], v[18:19]
	v_add_f64 v[4:5], v[4:5], v[12:13]
	v_add_f64 v[2:3], v[2:3], v[16:17]
	s_andn2_b64 exec, exec, s[6:7]
	s_cbranch_execnz .LBB31_29
; %bb.30:
	s_or_b64 exec, exec, s[6:7]
	v_mov_b32_e32 v8, 0
	ds_read_b128 v[8:11], v8 offset:64
	s_waitcnt lgkmcnt(0)
	v_mul_f64 v[12:13], v[2:3], v[10:11]
	v_mul_f64 v[10:11], v[4:5], v[10:11]
	v_fma_f64 v[4:5], v[4:5], v[8:9], -v[12:13]
	v_fmac_f64_e32 v[10:11], v[2:3], v[8:9]
	buffer_store_dword v5, off, s[0:3], 0 offset:84
	buffer_store_dword v4, off, s[0:3], 0 offset:80
	buffer_store_dword v11, off, s[0:3], 0 offset:92
	buffer_store_dword v10, off, s[0:3], 0 offset:88
.LBB31_31:
	s_or_b64 exec, exec, s[4:5]
	v_accvgpr_read_b32 v5, a83
	s_waitcnt lgkmcnt(0)
	; wave barrier
	buffer_load_dword v2, v5, s[0:3], 0 offen
	buffer_load_dword v3, v5, s[0:3], 0 offen offset:4
	buffer_load_dword v4, v5, s[0:3], 0 offen offset:8
	s_nop 0
	buffer_load_dword v5, v5, s[0:3], 0 offen offset:12
	v_cmp_gt_u32_e32 vcc, 5, v0
	;; [unrolled: 59-line block ×19, first 2 shown]
	s_waitcnt vmcnt(0)
	ds_write_b128 v6, v[2:5]
	s_waitcnt lgkmcnt(0)
	; wave barrier
	s_waitcnt lgkmcnt(0)
	s_and_saveexec_b64 s[4:5], vcc
	s_cbranch_execz .LBB31_103
; %bb.100:
	v_pk_mov_b32 v[2:3], 0, 0
	v_add_u32_e32 v8, -1, v0
	v_add_u32_e32 v9, 0x200, v1
	v_add_u32_e32 v10, 16, v1
	s_mov_b64 s[6:7], 0
	v_pk_mov_b32 v[4:5], v[2:3], v[2:3] op_sel:[0,1]
.LBB31_101:                             ; =>This Inner Loop Header: Depth=1
	buffer_load_dword v16, v10, s[0:3], 0 offen offset:8
	buffer_load_dword v17, v10, s[0:3], 0 offen offset:12
	buffer_load_dword v18, v10, s[0:3], 0 offen
	buffer_load_dword v19, v10, s[0:3], 0 offen offset:4
	ds_read_b128 v[12:15], v9
	v_add_u32_e32 v8, 1, v8
	v_cmp_lt_u32_e32 vcc, 20, v8
	v_add_u32_e32 v9, 16, v9
	v_add_u32_e32 v10, 16, v10
	s_or_b64 s[6:7], vcc, s[6:7]
	s_waitcnt vmcnt(2) lgkmcnt(0)
	v_mul_f64 v[20:21], v[14:15], v[16:17]
	v_mul_f64 v[16:17], v[12:13], v[16:17]
	s_waitcnt vmcnt(0)
	v_fma_f64 v[12:13], v[12:13], v[18:19], -v[20:21]
	v_fmac_f64_e32 v[16:17], v[14:15], v[18:19]
	v_add_f64 v[4:5], v[4:5], v[12:13]
	v_add_f64 v[2:3], v[2:3], v[16:17]
	s_andn2_b64 exec, exec, s[6:7]
	s_cbranch_execnz .LBB31_101
; %bb.102:
	s_or_b64 exec, exec, s[6:7]
	v_mov_b32_e32 v8, 0
	ds_read_b128 v[8:11], v8 offset:352
	s_waitcnt lgkmcnt(0)
	v_mul_f64 v[12:13], v[2:3], v[10:11]
	v_mul_f64 v[10:11], v[4:5], v[10:11]
	v_fma_f64 v[4:5], v[4:5], v[8:9], -v[12:13]
	v_fmac_f64_e32 v[10:11], v[2:3], v[8:9]
	buffer_store_dword v5, off, s[0:3], 0 offset:372
	buffer_store_dword v4, off, s[0:3], 0 offset:368
	buffer_store_dword v11, off, s[0:3], 0 offset:380
	buffer_store_dword v10, off, s[0:3], 0 offset:376
.LBB31_103:
	s_or_b64 exec, exec, s[4:5]
	v_accvgpr_read_b32 v5, a64
	s_waitcnt lgkmcnt(0)
	; wave barrier
	buffer_load_dword v2, v5, s[0:3], 0 offen
	buffer_load_dword v3, v5, s[0:3], 0 offen offset:4
	buffer_load_dword v4, v5, s[0:3], 0 offen offset:8
	s_nop 0
	buffer_load_dword v5, v5, s[0:3], 0 offen offset:12
	v_cmp_gt_u32_e32 vcc, 23, v0
	s_waitcnt vmcnt(0)
	ds_write_b128 v6, v[2:5]
	s_waitcnt lgkmcnt(0)
	; wave barrier
	s_waitcnt lgkmcnt(0)
	s_and_saveexec_b64 s[4:5], vcc
	s_cbranch_execz .LBB31_107
; %bb.104:
	v_pk_mov_b32 v[2:3], 0, 0
	v_add_u32_e32 v8, -1, v0
	v_add_u32_e32 v9, 0x200, v1
	v_add_u32_e32 v10, 16, v1
	s_mov_b64 s[6:7], 0
	v_pk_mov_b32 v[4:5], v[2:3], v[2:3] op_sel:[0,1]
.LBB31_105:                             ; =>This Inner Loop Header: Depth=1
	buffer_load_dword v16, v10, s[0:3], 0 offen offset:8
	buffer_load_dword v17, v10, s[0:3], 0 offen offset:12
	buffer_load_dword v18, v10, s[0:3], 0 offen
	buffer_load_dword v19, v10, s[0:3], 0 offen offset:4
	ds_read_b128 v[12:15], v9
	v_add_u32_e32 v8, 1, v8
	v_cmp_lt_u32_e32 vcc, 21, v8
	v_add_u32_e32 v9, 16, v9
	v_add_u32_e32 v10, 16, v10
	s_or_b64 s[6:7], vcc, s[6:7]
	s_waitcnt vmcnt(2) lgkmcnt(0)
	v_mul_f64 v[20:21], v[14:15], v[16:17]
	v_mul_f64 v[16:17], v[12:13], v[16:17]
	s_waitcnt vmcnt(0)
	v_fma_f64 v[12:13], v[12:13], v[18:19], -v[20:21]
	v_fmac_f64_e32 v[16:17], v[14:15], v[18:19]
	v_add_f64 v[4:5], v[4:5], v[12:13]
	v_add_f64 v[2:3], v[2:3], v[16:17]
	s_andn2_b64 exec, exec, s[6:7]
	s_cbranch_execnz .LBB31_105
; %bb.106:
	s_or_b64 exec, exec, s[6:7]
	v_mov_b32_e32 v8, 0
	ds_read_b128 v[8:11], v8 offset:368
	s_waitcnt lgkmcnt(0)
	v_mul_f64 v[12:13], v[2:3], v[10:11]
	v_mul_f64 v[10:11], v[4:5], v[10:11]
	v_fma_f64 v[4:5], v[4:5], v[8:9], -v[12:13]
	v_fmac_f64_e32 v[10:11], v[2:3], v[8:9]
	buffer_store_dword v5, off, s[0:3], 0 offset:388
	buffer_store_dword v4, off, s[0:3], 0 offset:384
	buffer_store_dword v11, off, s[0:3], 0 offset:396
	buffer_store_dword v10, off, s[0:3], 0 offset:392
.LBB31_107:
	s_or_b64 exec, exec, s[4:5]
	v_accvgpr_read_b32 v5, a63
	s_waitcnt lgkmcnt(0)
	; wave barrier
	buffer_load_dword v2, v5, s[0:3], 0 offen
	buffer_load_dword v3, v5, s[0:3], 0 offen offset:4
	buffer_load_dword v4, v5, s[0:3], 0 offen offset:8
	s_nop 0
	buffer_load_dword v5, v5, s[0:3], 0 offen offset:12
	v_cmp_gt_u32_e32 vcc, 24, v0
	;; [unrolled: 59-line block ×8, first 2 shown]
	s_waitcnt vmcnt(0)
	ds_write_b128 v6, v[2:5]
	s_waitcnt lgkmcnt(0)
	; wave barrier
	s_waitcnt lgkmcnt(0)
	s_and_saveexec_b64 s[4:5], vcc
	s_cbranch_execz .LBB31_135
; %bb.132:
	v_pk_mov_b32 v[2:3], 0, 0
	v_add_u32_e32 v8, -1, v0
	v_add_u32_e32 v9, 0x200, v1
	v_add_u32_e32 v10, 16, v1
	s_mov_b64 s[6:7], 0
	v_pk_mov_b32 v[4:5], v[2:3], v[2:3] op_sel:[0,1]
.LBB31_133:                             ; =>This Inner Loop Header: Depth=1
	buffer_load_dword v16, v10, s[0:3], 0 offen offset:8
	buffer_load_dword v17, v10, s[0:3], 0 offen offset:12
	buffer_load_dword v18, v10, s[0:3], 0 offen
	buffer_load_dword v19, v10, s[0:3], 0 offen offset:4
	ds_read_b128 v[12:15], v9
	v_add_u32_e32 v8, 1, v8
	v_cmp_lt_u32_e32 vcc, 28, v8
	v_add_u32_e32 v9, 16, v9
	v_add_u32_e32 v10, 16, v10
	s_or_b64 s[6:7], vcc, s[6:7]
	s_waitcnt vmcnt(2) lgkmcnt(0)
	v_mul_f64 v[20:21], v[14:15], v[16:17]
	v_mul_f64 v[16:17], v[12:13], v[16:17]
	s_waitcnt vmcnt(0)
	v_fma_f64 v[12:13], v[12:13], v[18:19], -v[20:21]
	v_fmac_f64_e32 v[16:17], v[14:15], v[18:19]
	v_add_f64 v[4:5], v[4:5], v[12:13]
	v_add_f64 v[2:3], v[2:3], v[16:17]
	s_andn2_b64 exec, exec, s[6:7]
	s_cbranch_execnz .LBB31_133
; %bb.134:
	s_or_b64 exec, exec, s[6:7]
	v_mov_b32_e32 v8, 0
	ds_read_b128 v[8:11], v8 offset:480
	s_waitcnt lgkmcnt(0)
	v_mul_f64 v[12:13], v[2:3], v[10:11]
	v_mul_f64 v[10:11], v[4:5], v[10:11]
	v_fma_f64 v[4:5], v[4:5], v[8:9], -v[12:13]
	v_fmac_f64_e32 v[10:11], v[2:3], v[8:9]
	buffer_store_dword v5, off, s[0:3], 0 offset:500
	buffer_store_dword v4, off, s[0:3], 0 offset:496
	buffer_store_dword v11, off, s[0:3], 0 offset:508
	buffer_store_dword v10, off, s[0:3], 0 offset:504
.LBB31_135:
	s_or_b64 exec, exec, s[4:5]
	v_accvgpr_read_b32 v5, a56
	s_waitcnt lgkmcnt(0)
	; wave barrier
	buffer_load_dword v2, v5, s[0:3], 0 offen
	buffer_load_dword v3, v5, s[0:3], 0 offen offset:4
	buffer_load_dword v4, v5, s[0:3], 0 offen offset:8
	s_nop 0
	buffer_load_dword v5, v5, s[0:3], 0 offen offset:12
	v_cmp_ne_u32_e32 vcc, 31, v0
	s_waitcnt vmcnt(0)
	ds_write_b128 v6, v[2:5]
	s_waitcnt lgkmcnt(0)
	; wave barrier
	s_waitcnt lgkmcnt(0)
	s_and_saveexec_b64 s[4:5], vcc
	s_cbranch_execz .LBB31_139
; %bb.136:
	v_pk_mov_b32 v[2:3], 0, 0
	v_add_u32_e32 v6, 0x200, v1
	v_add_u32_e32 v1, 16, v1
	s_mov_b64 s[6:7], 0
	v_pk_mov_b32 v[4:5], v[2:3], v[2:3] op_sel:[0,1]
.LBB31_137:                             ; =>This Inner Loop Header: Depth=1
	buffer_load_dword v12, v1, s[0:3], 0 offen offset:8
	buffer_load_dword v13, v1, s[0:3], 0 offen offset:12
	buffer_load_dword v14, v1, s[0:3], 0 offen
	buffer_load_dword v15, v1, s[0:3], 0 offen offset:4
	ds_read_b128 v[8:11], v6
	v_add_u32_e32 v7, 1, v7
	v_cmp_lt_u32_e32 vcc, 29, v7
	v_add_u32_e32 v6, 16, v6
	v_add_u32_e32 v1, 16, v1
	s_or_b64 s[6:7], vcc, s[6:7]
	s_waitcnt vmcnt(2) lgkmcnt(0)
	v_mul_f64 v[16:17], v[10:11], v[12:13]
	v_mul_f64 v[12:13], v[8:9], v[12:13]
	s_waitcnt vmcnt(0)
	v_fma_f64 v[8:9], v[8:9], v[14:15], -v[16:17]
	v_fmac_f64_e32 v[12:13], v[10:11], v[14:15]
	v_add_f64 v[4:5], v[4:5], v[8:9]
	v_add_f64 v[2:3], v[2:3], v[12:13]
	s_andn2_b64 exec, exec, s[6:7]
	s_cbranch_execnz .LBB31_137
; %bb.138:
	s_or_b64 exec, exec, s[6:7]
	v_mov_b32_e32 v1, 0
	ds_read_b128 v[6:9], v1 offset:496
	s_waitcnt lgkmcnt(0)
	v_mul_f64 v[10:11], v[2:3], v[8:9]
	v_mul_f64 v[8:9], v[4:5], v[8:9]
	v_fma_f64 v[4:5], v[4:5], v[6:7], -v[10:11]
	v_fmac_f64_e32 v[8:9], v[2:3], v[6:7]
	buffer_store_dword v5, off, s[0:3], 0 offset:516
	buffer_store_dword v4, off, s[0:3], 0 offset:512
	buffer_store_dword v9, off, s[0:3], 0 offset:524
	buffer_store_dword v8, off, s[0:3], 0 offset:520
.LBB31_139:
	s_or_b64 exec, exec, s[4:5]
	s_mov_b64 s[6:7], -1
	s_waitcnt lgkmcnt(0)
	; wave barrier
.LBB31_140:
	s_and_b64 vcc, exec, s[6:7]
	s_cbranch_vccz .LBB31_142
; %bb.141:
	s_lshl_b64 s[4:5], s[8:9], 2
	s_add_u32 s4, s14, s4
	s_addc_u32 s5, s15, s5
	v_mov_b32_e32 v1, 0
	global_load_dword v1, v1, s[4:5]
	s_waitcnt vmcnt(0)
	v_cmp_ne_u32_e32 vcc, 0, v1
	s_cbranch_vccz .LBB31_143
.LBB31_142:
	s_endpgm
.LBB31_143:
	v_mov_b32_e32 v1, 0x200
	v_lshl_add_u32 v1, v0, 4, v1
	v_cmp_eq_u32_e32 vcc, 31, v0
	s_and_saveexec_b64 s[4:5], vcc
	s_cbranch_execz .LBB31_145
; %bb.144:
	v_accvgpr_read_b32 v5, a57
	buffer_load_dword v2, v5, s[0:3], 0 offen
	buffer_load_dword v3, v5, s[0:3], 0 offen offset:4
	buffer_load_dword v4, v5, s[0:3], 0 offen offset:8
	s_nop 0
	buffer_load_dword v5, v5, s[0:3], 0 offen offset:12
	v_mov_b32_e32 v6, 0
	buffer_store_dword v6, off, s[0:3], 0 offset:496
	buffer_store_dword v6, off, s[0:3], 0 offset:500
	;; [unrolled: 1-line block ×4, first 2 shown]
	s_waitcnt vmcnt(4)
	ds_write_b128 v1, v[2:5]
.LBB31_145:
	s_or_b64 exec, exec, s[4:5]
	s_waitcnt lgkmcnt(0)
	; wave barrier
	s_waitcnt lgkmcnt(0)
	buffer_load_dword v8, off, s[0:3], 0 offset:520
	buffer_load_dword v9, off, s[0:3], 0 offset:524
	buffer_load_dword v10, off, s[0:3], 0 offset:512
	buffer_load_dword v11, off, s[0:3], 0 offset:516
	buffer_load_dword v12, off, s[0:3], 0 offset:496
	buffer_load_dword v13, off, s[0:3], 0 offset:500
	buffer_load_dword v14, off, s[0:3], 0 offset:504
	buffer_load_dword v15, off, s[0:3], 0 offset:508
	v_mov_b32_e32 v2, 0
	ds_read_b128 v[4:7], v2 offset:1008
	v_cmp_lt_u32_e32 vcc, 29, v0
	s_waitcnt vmcnt(6) lgkmcnt(0)
	v_mul_f64 v[16:17], v[4:5], v[8:9]
	v_mul_f64 v[8:9], v[6:7], v[8:9]
	s_waitcnt vmcnt(4)
	v_fma_f64 v[4:5], v[4:5], v[10:11], -v[8:9]
	v_fmac_f64_e32 v[16:17], v[6:7], v[10:11]
	v_add_f64 v[4:5], v[4:5], 0
	v_add_f64 v[6:7], v[16:17], 0
	s_waitcnt vmcnt(2)
	v_add_f64 v[4:5], v[12:13], -v[4:5]
	s_waitcnt vmcnt(0)
	v_add_f64 v[6:7], v[14:15], -v[6:7]
	buffer_store_dword v4, off, s[0:3], 0 offset:496
	buffer_store_dword v5, off, s[0:3], 0 offset:500
	buffer_store_dword v6, off, s[0:3], 0 offset:504
	buffer_store_dword v7, off, s[0:3], 0 offset:508
	s_and_saveexec_b64 s[4:5], vcc
	s_cbranch_execz .LBB31_147
; %bb.146:
	v_accvgpr_read_b32 v3, a58
	buffer_load_dword v4, v3, s[0:3], 0 offen
	buffer_load_dword v5, v3, s[0:3], 0 offen offset:4
	buffer_load_dword v6, v3, s[0:3], 0 offen offset:8
	;; [unrolled: 1-line block ×3, first 2 shown]
	s_nop 0
	buffer_store_dword v2, off, s[0:3], 0 offset:480
	buffer_store_dword v2, off, s[0:3], 0 offset:484
	;; [unrolled: 1-line block ×4, first 2 shown]
	s_waitcnt vmcnt(4)
	ds_write_b128 v1, v[4:7]
.LBB31_147:
	s_or_b64 exec, exec, s[4:5]
	s_waitcnt lgkmcnt(0)
	; wave barrier
	s_waitcnt lgkmcnt(0)
	buffer_load_dword v12, off, s[0:3], 0 offset:504
	buffer_load_dword v13, off, s[0:3], 0 offset:508
	;; [unrolled: 1-line block ×12, first 2 shown]
	ds_read_b128 v[4:7], v2 offset:992
	ds_read_b128 v[8:11], v2 offset:1008
	v_cmp_lt_u32_e32 vcc, 28, v0
	s_waitcnt vmcnt(10) lgkmcnt(1)
	v_mul_f64 v[2:3], v[4:5], v[12:13]
	v_mul_f64 v[12:13], v[6:7], v[12:13]
	s_waitcnt vmcnt(8) lgkmcnt(0)
	v_mul_f64 v[24:25], v[8:9], v[14:15]
	v_mul_f64 v[14:15], v[10:11], v[14:15]
	s_waitcnt vmcnt(6)
	v_fma_f64 v[4:5], v[4:5], v[16:17], -v[12:13]
	v_fmac_f64_e32 v[2:3], v[6:7], v[16:17]
	s_waitcnt vmcnt(4)
	v_fma_f64 v[6:7], v[8:9], v[18:19], -v[14:15]
	v_add_f64 v[4:5], v[4:5], 0
	v_fmac_f64_e32 v[24:25], v[10:11], v[18:19]
	v_add_f64 v[2:3], v[2:3], 0
	v_add_f64 v[4:5], v[4:5], v[6:7]
	;; [unrolled: 1-line block ×3, first 2 shown]
	s_waitcnt vmcnt(2)
	v_add_f64 v[4:5], v[20:21], -v[4:5]
	s_waitcnt vmcnt(0)
	v_add_f64 v[2:3], v[22:23], -v[2:3]
	buffer_store_dword v4, off, s[0:3], 0 offset:480
	buffer_store_dword v5, off, s[0:3], 0 offset:484
	;; [unrolled: 1-line block ×4, first 2 shown]
	s_and_saveexec_b64 s[4:5], vcc
	s_cbranch_execz .LBB31_149
; %bb.148:
	v_accvgpr_read_b32 v5, a59
	buffer_load_dword v2, v5, s[0:3], 0 offen
	buffer_load_dword v3, v5, s[0:3], 0 offen offset:4
	buffer_load_dword v4, v5, s[0:3], 0 offen offset:8
	s_nop 0
	buffer_load_dword v5, v5, s[0:3], 0 offen offset:12
	v_mov_b32_e32 v6, 0
	buffer_store_dword v6, off, s[0:3], 0 offset:464
	buffer_store_dword v6, off, s[0:3], 0 offset:468
	;; [unrolled: 1-line block ×4, first 2 shown]
	s_waitcnt vmcnt(4)
	ds_write_b128 v1, v[2:5]
.LBB31_149:
	s_or_b64 exec, exec, s[4:5]
	s_waitcnt lgkmcnt(0)
	; wave barrier
	s_waitcnt lgkmcnt(0)
	buffer_load_dword v16, off, s[0:3], 0 offset:488
	buffer_load_dword v17, off, s[0:3], 0 offset:492
	;; [unrolled: 1-line block ×16, first 2 shown]
	v_mov_b32_e32 v2, 0
	ds_read_b128 v[4:7], v2 offset:976
	ds_read_b128 v[8:11], v2 offset:992
	;; [unrolled: 1-line block ×3, first 2 shown]
	v_cmp_lt_u32_e32 vcc, 27, v0
	s_waitcnt vmcnt(14) lgkmcnt(2)
	v_mul_f64 v[32:33], v[4:5], v[16:17]
	v_mul_f64 v[16:17], v[6:7], v[16:17]
	s_waitcnt vmcnt(12) lgkmcnt(1)
	v_mul_f64 v[34:35], v[8:9], v[18:19]
	v_mul_f64 v[18:19], v[10:11], v[18:19]
	;; [unrolled: 3-line block ×3, first 2 shown]
	s_waitcnt vmcnt(8)
	v_fma_f64 v[4:5], v[4:5], v[22:23], -v[16:17]
	v_fmac_f64_e32 v[32:33], v[6:7], v[22:23]
	s_waitcnt vmcnt(6)
	v_fma_f64 v[6:7], v[8:9], v[24:25], -v[18:19]
	v_add_f64 v[4:5], v[4:5], 0
	v_fmac_f64_e32 v[34:35], v[10:11], v[24:25]
	s_waitcnt vmcnt(4)
	v_fma_f64 v[8:9], v[12:13], v[26:27], -v[20:21]
	v_add_f64 v[10:11], v[32:33], 0
	v_add_f64 v[4:5], v[4:5], v[6:7]
	v_fmac_f64_e32 v[36:37], v[14:15], v[26:27]
	v_add_f64 v[10:11], v[10:11], v[34:35]
	v_add_f64 v[4:5], v[4:5], v[8:9]
	;; [unrolled: 1-line block ×3, first 2 shown]
	s_waitcnt vmcnt(2)
	v_add_f64 v[4:5], v[28:29], -v[4:5]
	s_waitcnt vmcnt(0)
	v_add_f64 v[6:7], v[30:31], -v[6:7]
	buffer_store_dword v4, off, s[0:3], 0 offset:464
	buffer_store_dword v5, off, s[0:3], 0 offset:468
	;; [unrolled: 1-line block ×4, first 2 shown]
	s_and_saveexec_b64 s[4:5], vcc
	s_cbranch_execz .LBB31_151
; %bb.150:
	v_accvgpr_read_b32 v3, a60
	buffer_load_dword v4, v3, s[0:3], 0 offen
	buffer_load_dword v5, v3, s[0:3], 0 offen offset:4
	buffer_load_dword v6, v3, s[0:3], 0 offen offset:8
	buffer_load_dword v7, v3, s[0:3], 0 offen offset:12
	s_nop 0
	buffer_store_dword v2, off, s[0:3], 0 offset:448
	buffer_store_dword v2, off, s[0:3], 0 offset:452
	;; [unrolled: 1-line block ×4, first 2 shown]
	s_waitcnt vmcnt(4)
	ds_write_b128 v1, v[4:7]
.LBB31_151:
	s_or_b64 exec, exec, s[4:5]
	s_waitcnt lgkmcnt(0)
	; wave barrier
	s_waitcnt lgkmcnt(0)
	buffer_load_dword v20, off, s[0:3], 0 offset:472
	buffer_load_dword v21, off, s[0:3], 0 offset:476
	;; [unrolled: 1-line block ×20, first 2 shown]
	ds_read_b128 v[4:7], v2 offset:960
	ds_read_b128 v[8:11], v2 offset:976
	;; [unrolled: 1-line block ×4, first 2 shown]
	v_cmp_lt_u32_e32 vcc, 26, v0
	s_waitcnt vmcnt(18) lgkmcnt(3)
	v_mul_f64 v[2:3], v[4:5], v[20:21]
	v_mul_f64 v[20:21], v[6:7], v[20:21]
	s_waitcnt vmcnt(16) lgkmcnt(2)
	v_mul_f64 v[40:41], v[8:9], v[22:23]
	v_mul_f64 v[22:23], v[10:11], v[22:23]
	;; [unrolled: 3-line block ×4, first 2 shown]
	s_waitcnt vmcnt(10)
	v_fma_f64 v[4:5], v[4:5], v[28:29], -v[20:21]
	v_fmac_f64_e32 v[2:3], v[6:7], v[28:29]
	s_waitcnt vmcnt(8)
	v_fma_f64 v[6:7], v[8:9], v[30:31], -v[22:23]
	v_add_f64 v[4:5], v[4:5], 0
	v_fmac_f64_e32 v[40:41], v[10:11], v[30:31]
	s_waitcnt vmcnt(6)
	v_fma_f64 v[8:9], v[12:13], v[32:33], -v[24:25]
	v_add_f64 v[2:3], v[2:3], 0
	v_add_f64 v[4:5], v[4:5], v[6:7]
	v_fmac_f64_e32 v[46:47], v[14:15], v[32:33]
	s_waitcnt vmcnt(4)
	v_fma_f64 v[10:11], v[16:17], v[34:35], -v[26:27]
	v_add_f64 v[2:3], v[2:3], v[40:41]
	v_add_f64 v[4:5], v[4:5], v[8:9]
	v_fmac_f64_e32 v[48:49], v[18:19], v[34:35]
	v_add_f64 v[2:3], v[2:3], v[46:47]
	v_add_f64 v[4:5], v[4:5], v[10:11]
	;; [unrolled: 1-line block ×3, first 2 shown]
	s_waitcnt vmcnt(2)
	v_add_f64 v[4:5], v[36:37], -v[4:5]
	s_waitcnt vmcnt(0)
	v_add_f64 v[2:3], v[38:39], -v[2:3]
	buffer_store_dword v4, off, s[0:3], 0 offset:448
	buffer_store_dword v5, off, s[0:3], 0 offset:452
	;; [unrolled: 1-line block ×4, first 2 shown]
	s_and_saveexec_b64 s[4:5], vcc
	s_cbranch_execz .LBB31_153
; %bb.152:
	v_accvgpr_read_b32 v5, a61
	buffer_load_dword v2, v5, s[0:3], 0 offen
	buffer_load_dword v3, v5, s[0:3], 0 offen offset:4
	buffer_load_dword v4, v5, s[0:3], 0 offen offset:8
	s_nop 0
	buffer_load_dword v5, v5, s[0:3], 0 offen offset:12
	v_mov_b32_e32 v6, 0
	buffer_store_dword v6, off, s[0:3], 0 offset:432
	buffer_store_dword v6, off, s[0:3], 0 offset:436
	;; [unrolled: 1-line block ×4, first 2 shown]
	s_waitcnt vmcnt(4)
	ds_write_b128 v1, v[2:5]
.LBB31_153:
	s_or_b64 exec, exec, s[4:5]
	s_waitcnt lgkmcnt(0)
	; wave barrier
	s_waitcnt lgkmcnt(0)
	buffer_load_dword v24, off, s[0:3], 0 offset:456
	buffer_load_dword v25, off, s[0:3], 0 offset:460
	;; [unrolled: 1-line block ×24, first 2 shown]
	v_mov_b32_e32 v2, 0
	ds_read_b128 v[4:7], v2 offset:944
	ds_read_b128 v[8:11], v2 offset:960
	ds_read_b128 v[12:15], v2 offset:976
	ds_read_b128 v[16:19], v2 offset:992
	ds_read_b128 v[20:23], v2 offset:1008
	v_cmp_lt_u32_e32 vcc, 25, v0
	s_waitcnt vmcnt(22) lgkmcnt(4)
	v_mul_f64 v[52:53], v[4:5], v[24:25]
	v_mul_f64 v[24:25], v[6:7], v[24:25]
	s_waitcnt vmcnt(20) lgkmcnt(3)
	v_mul_f64 v[54:55], v[8:9], v[26:27]
	v_mul_f64 v[26:27], v[10:11], v[26:27]
	;; [unrolled: 3-line block ×4, first 2 shown]
	s_waitcnt vmcnt(13) lgkmcnt(0)
	v_mul_f64 v[60:61], v[20:21], v[30:31]
	s_waitcnt vmcnt(11)
	v_fma_f64 v[4:5], v[4:5], v[36:37], -v[24:25]
	v_fmac_f64_e32 v[52:53], v[6:7], v[36:37]
	s_waitcnt vmcnt(9)
	v_fma_f64 v[6:7], v[8:9], v[38:39], -v[26:27]
	v_add_f64 v[4:5], v[4:5], 0
	v_fmac_f64_e32 v[54:55], v[10:11], v[38:39]
	s_waitcnt vmcnt(7)
	v_fmac_f64_e32 v[56:57], v[14:15], v[40:41]
	v_fma_f64 v[8:9], v[12:13], v[40:41], -v[28:29]
	v_add_f64 v[14:15], v[52:53], 0
	v_add_f64 v[4:5], v[4:5], v[6:7]
	v_mul_f64 v[30:31], v[22:23], v[30:31]
	s_waitcnt vmcnt(5)
	v_fma_f64 v[10:11], v[16:17], v[46:47], -v[34:35]
	v_add_f64 v[14:15], v[14:15], v[54:55]
	v_add_f64 v[4:5], v[4:5], v[8:9]
	v_fmac_f64_e32 v[58:59], v[18:19], v[46:47]
	s_waitcnt vmcnt(4)
	v_fma_f64 v[12:13], v[20:21], v[32:33], -v[30:31]
	v_add_f64 v[6:7], v[14:15], v[56:57]
	v_add_f64 v[4:5], v[4:5], v[10:11]
	v_fmac_f64_e32 v[60:61], v[22:23], v[32:33]
	v_add_f64 v[6:7], v[6:7], v[58:59]
	v_add_f64 v[4:5], v[4:5], v[12:13]
	;; [unrolled: 1-line block ×3, first 2 shown]
	s_waitcnt vmcnt(2)
	v_add_f64 v[4:5], v[48:49], -v[4:5]
	s_waitcnt vmcnt(0)
	v_add_f64 v[6:7], v[50:51], -v[6:7]
	buffer_store_dword v5, off, s[0:3], 0 offset:436
	buffer_store_dword v4, off, s[0:3], 0 offset:432
	;; [unrolled: 1-line block ×4, first 2 shown]
	s_and_saveexec_b64 s[4:5], vcc
	s_cbranch_execz .LBB31_155
; %bb.154:
	v_accvgpr_read_b32 v3, a62
	buffer_load_dword v4, v3, s[0:3], 0 offen
	buffer_load_dword v5, v3, s[0:3], 0 offen offset:4
	buffer_load_dword v6, v3, s[0:3], 0 offen offset:8
	;; [unrolled: 1-line block ×3, first 2 shown]
	s_nop 0
	buffer_store_dword v2, off, s[0:3], 0 offset:416
	buffer_store_dword v2, off, s[0:3], 0 offset:420
	;; [unrolled: 1-line block ×4, first 2 shown]
	s_waitcnt vmcnt(4)
	ds_write_b128 v1, v[4:7]
.LBB31_155:
	s_or_b64 exec, exec, s[4:5]
	s_waitcnt lgkmcnt(0)
	; wave barrier
	s_waitcnt lgkmcnt(0)
	buffer_load_dword v28, off, s[0:3], 0 offset:440
	buffer_load_dword v29, off, s[0:3], 0 offset:444
	;; [unrolled: 1-line block ×28, first 2 shown]
	ds_read_b128 v[4:7], v2 offset:928
	ds_read_b128 v[8:11], v2 offset:944
	;; [unrolled: 1-line block ×6, first 2 shown]
	v_cmp_lt_u32_e32 vcc, 24, v0
	s_waitcnt vmcnt(26) lgkmcnt(5)
	v_mul_f64 v[2:3], v[4:5], v[28:29]
	v_mul_f64 v[28:29], v[6:7], v[28:29]
	s_waitcnt vmcnt(24) lgkmcnt(4)
	v_mul_f64 v[60:61], v[8:9], v[30:31]
	v_mul_f64 v[30:31], v[10:11], v[30:31]
	;; [unrolled: 3-line block ×4, first 2 shown]
	s_waitcnt vmcnt(17)
	v_mul_f64 v[64:65], v[16:17], v[38:39]
	v_mul_f64 v[38:39], v[18:19], v[38:39]
	s_waitcnt vmcnt(15) lgkmcnt(0)
	v_mul_f64 v[68:69], v[24:25], v[40:41]
	v_mul_f64 v[40:41], v[26:27], v[40:41]
	s_waitcnt vmcnt(14)
	v_fmac_f64_e32 v[66:67], v[22:23], v[36:37]
	s_waitcnt vmcnt(12)
	v_fma_f64 v[4:5], v[4:5], v[46:47], -v[28:29]
	v_fmac_f64_e32 v[2:3], v[6:7], v[46:47]
	s_waitcnt vmcnt(10)
	v_fma_f64 v[6:7], v[8:9], v[48:49], -v[30:31]
	v_add_f64 v[4:5], v[4:5], 0
	v_fmac_f64_e32 v[60:61], v[10:11], v[48:49]
	s_waitcnt vmcnt(8)
	v_fma_f64 v[8:9], v[12:13], v[50:51], -v[32:33]
	v_add_f64 v[2:3], v[2:3], 0
	v_add_f64 v[4:5], v[4:5], v[6:7]
	v_fmac_f64_e32 v[62:63], v[14:15], v[50:51]
	s_waitcnt vmcnt(6)
	v_fma_f64 v[10:11], v[16:17], v[52:53], -v[38:39]
	v_add_f64 v[2:3], v[2:3], v[60:61]
	v_add_f64 v[4:5], v[4:5], v[8:9]
	v_fmac_f64_e32 v[64:65], v[18:19], v[52:53]
	v_fma_f64 v[12:13], v[20:21], v[36:37], -v[34:35]
	v_add_f64 v[2:3], v[2:3], v[62:63]
	v_add_f64 v[4:5], v[4:5], v[10:11]
	s_waitcnt vmcnt(4)
	v_fma_f64 v[14:15], v[24:25], v[54:55], -v[40:41]
	v_add_f64 v[2:3], v[2:3], v[64:65]
	v_add_f64 v[4:5], v[4:5], v[12:13]
	v_fmac_f64_e32 v[68:69], v[26:27], v[54:55]
	v_add_f64 v[2:3], v[2:3], v[66:67]
	v_add_f64 v[4:5], v[4:5], v[14:15]
	;; [unrolled: 1-line block ×3, first 2 shown]
	s_waitcnt vmcnt(2)
	v_add_f64 v[4:5], v[56:57], -v[4:5]
	s_waitcnt vmcnt(0)
	v_add_f64 v[2:3], v[58:59], -v[2:3]
	buffer_store_dword v5, off, s[0:3], 0 offset:420
	buffer_store_dword v4, off, s[0:3], 0 offset:416
	;; [unrolled: 1-line block ×4, first 2 shown]
	s_and_saveexec_b64 s[4:5], vcc
	s_cbranch_execz .LBB31_157
; %bb.156:
	v_accvgpr_read_b32 v5, a63
	buffer_load_dword v2, v5, s[0:3], 0 offen
	buffer_load_dword v3, v5, s[0:3], 0 offen offset:4
	buffer_load_dword v4, v5, s[0:3], 0 offen offset:8
	s_nop 0
	buffer_load_dword v5, v5, s[0:3], 0 offen offset:12
	v_mov_b32_e32 v6, 0
	buffer_store_dword v6, off, s[0:3], 0 offset:400
	buffer_store_dword v6, off, s[0:3], 0 offset:404
	;; [unrolled: 1-line block ×4, first 2 shown]
	s_waitcnt vmcnt(4)
	ds_write_b128 v1, v[2:5]
.LBB31_157:
	s_or_b64 exec, exec, s[4:5]
	v_mov_b32_e32 v6, 0
	s_waitcnt lgkmcnt(0)
	; wave barrier
	s_waitcnt lgkmcnt(0)
	ds_read_b128 v[8:11], v6 offset:912
	ds_read_b128 v[12:15], v6 offset:928
	;; [unrolled: 1-line block ×4, first 2 shown]
	buffer_load_dword v4, off, s[0:3], 0 offset:400
	buffer_load_dword v5, off, s[0:3], 0 offset:404
	buffer_load_dword v2, off, s[0:3], 0 offset:408
	buffer_load_dword v3, off, s[0:3], 0 offset:412
	buffer_load_dword v36, off, s[0:3], 0 offset:416
	buffer_load_dword v37, off, s[0:3], 0 offset:420
	buffer_load_dword v38, off, s[0:3], 0 offset:424
	buffer_load_dword v39, off, s[0:3], 0 offset:428
	buffer_load_dword v40, off, s[0:3], 0 offset:432
	buffer_load_dword v41, off, s[0:3], 0 offset:436
	buffer_load_dword v46, off, s[0:3], 0 offset:440
	buffer_load_dword v47, off, s[0:3], 0 offset:444
	buffer_load_dword v48, off, s[0:3], 0 offset:448
	buffer_load_dword v49, off, s[0:3], 0 offset:452
	buffer_load_dword v50, off, s[0:3], 0 offset:456
	buffer_load_dword v51, off, s[0:3], 0 offset:460
	buffer_load_dword v53, off, s[0:3], 0 offset:468
	buffer_load_dword v52, off, s[0:3], 0 offset:464
	buffer_load_dword v55, off, s[0:3], 0 offset:476
	buffer_load_dword v54, off, s[0:3], 0 offset:472
	v_cmp_lt_u32_e32 vcc, 23, v0
	s_waitcnt vmcnt(12) lgkmcnt(3)
	v_mul_f64 v[24:25], v[8:9], v[38:39]
	v_fmac_f64_e32 v[24:25], v[10:11], v[36:37]
	v_add_f64 v[24:25], v[24:25], 0
	v_mul_f64 v[10:11], v[10:11], v[38:39]
	s_waitcnt vmcnt(8) lgkmcnt(2)
	v_mul_f64 v[26:27], v[12:13], v[46:47]
	v_fmac_f64_e32 v[26:27], v[14:15], v[40:41]
	v_add_f64 v[24:25], v[24:25], v[26:27]
	v_fma_f64 v[8:9], v[8:9], v[36:37], -v[10:11]
	s_waitcnt vmcnt(4) lgkmcnt(1)
	v_mul_f64 v[26:27], v[16:17], v[50:51]
	v_fmac_f64_e32 v[26:27], v[18:19], v[48:49]
	v_add_f64 v[24:25], v[24:25], v[26:27]
	s_waitcnt vmcnt(0) lgkmcnt(0)
	v_mul_f64 v[26:27], v[20:21], v[54:55]
	v_fmac_f64_e32 v[26:27], v[22:23], v[52:53]
	v_add_f64 v[28:29], v[24:25], v[26:27]
	ds_read_b128 v[24:27], v6 offset:976
	buffer_load_dword v57, off, s[0:3], 0 offset:484
	buffer_load_dword v56, off, s[0:3], 0 offset:480
	;; [unrolled: 1-line block ×4, first 2 shown]
	v_mul_f64 v[10:11], v[14:15], v[46:47]
	v_add_f64 v[8:9], v[8:9], 0
	v_fma_f64 v[10:11], v[12:13], v[40:41], -v[10:11]
	v_add_f64 v[8:9], v[8:9], v[10:11]
	v_mul_f64 v[10:11], v[18:19], v[50:51]
	v_fma_f64 v[10:11], v[16:17], v[48:49], -v[10:11]
	v_add_f64 v[8:9], v[8:9], v[10:11]
	v_mul_f64 v[10:11], v[22:23], v[54:55]
	v_fma_f64 v[10:11], v[20:21], v[52:53], -v[10:11]
	v_add_f64 v[8:9], v[8:9], v[10:11]
	s_waitcnt vmcnt(0) lgkmcnt(0)
	v_mul_f64 v[30:31], v[24:25], v[58:59]
	v_fmac_f64_e32 v[30:31], v[26:27], v[56:57]
	v_add_f64 v[32:33], v[28:29], v[30:31]
	ds_read_b128 v[28:31], v6 offset:992
	buffer_load_dword v61, off, s[0:3], 0 offset:500
	buffer_load_dword v60, off, s[0:3], 0 offset:496
	;; [unrolled: 1-line block ×4, first 2 shown]
	v_mul_f64 v[10:11], v[26:27], v[58:59]
	v_fma_f64 v[10:11], v[24:25], v[56:57], -v[10:11]
	v_add_f64 v[8:9], v[8:9], v[10:11]
	s_waitcnt vmcnt(0) lgkmcnt(0)
	v_mul_f64 v[34:35], v[28:29], v[62:63]
	v_fmac_f64_e32 v[34:35], v[30:31], v[60:61]
	v_add_f64 v[64:65], v[32:33], v[34:35]
	ds_read_b128 v[32:35], v6 offset:1008
	buffer_load_dword v67, off, s[0:3], 0 offset:516
	buffer_load_dword v66, off, s[0:3], 0 offset:512
	;; [unrolled: 1-line block ×4, first 2 shown]
	v_mul_f64 v[10:11], v[30:31], v[62:63]
	v_fma_f64 v[10:11], v[28:29], v[60:61], -v[10:11]
	v_add_f64 v[8:9], v[8:9], v[10:11]
	s_waitcnt vmcnt(0) lgkmcnt(0)
	v_mul_f64 v[10:11], v[34:35], v[68:69]
	v_mul_f64 v[70:71], v[32:33], v[68:69]
	v_fma_f64 v[10:11], v[32:33], v[66:67], -v[10:11]
	v_fmac_f64_e32 v[70:71], v[34:35], v[66:67]
	v_add_f64 v[8:9], v[8:9], v[10:11]
	v_add_f64 v[64:65], v[64:65], v[70:71]
	v_add_f64 v[4:5], v[4:5], -v[8:9]
	v_add_f64 v[2:3], v[2:3], -v[64:65]
	buffer_store_dword v5, off, s[0:3], 0 offset:404
	buffer_store_dword v4, off, s[0:3], 0 offset:400
	;; [unrolled: 1-line block ×4, first 2 shown]
	s_and_saveexec_b64 s[4:5], vcc
	s_cbranch_execz .LBB31_159
; %bb.158:
	v_accvgpr_read_b32 v5, a64
	buffer_load_dword v2, v5, s[0:3], 0 offen
	buffer_load_dword v3, v5, s[0:3], 0 offen offset:4
	buffer_load_dword v4, v5, s[0:3], 0 offen offset:8
	s_nop 0
	buffer_load_dword v5, v5, s[0:3], 0 offen offset:12
	s_nop 0
	buffer_store_dword v6, off, s[0:3], 0 offset:384
	buffer_store_dword v6, off, s[0:3], 0 offset:388
	;; [unrolled: 1-line block ×4, first 2 shown]
	s_waitcnt vmcnt(4)
	ds_write_b128 v1, v[2:5]
.LBB31_159:
	s_or_b64 exec, exec, s[4:5]
	s_waitcnt lgkmcnt(0)
	; wave barrier
	s_waitcnt lgkmcnt(0)
	buffer_load_dword v36, off, s[0:3], 0 offset:408
	buffer_load_dword v37, off, s[0:3], 0 offset:412
	;; [unrolled: 1-line block ×36, first 2 shown]
	ds_read_b128 v[2:5], v6 offset:896
	ds_read_b128 v[8:11], v6 offset:912
	;; [unrolled: 1-line block ×8, first 2 shown]
	v_cmp_lt_u32_e32 vcc, 22, v0
	s_waitcnt vmcnt(34) lgkmcnt(7)
	v_mul_f64 v[6:7], v[2:3], v[36:37]
	v_mul_f64 v[36:37], v[4:5], v[36:37]
	s_waitcnt vmcnt(32) lgkmcnt(6)
	v_mul_f64 v[76:77], v[8:9], v[38:39]
	v_mul_f64 v[38:39], v[10:11], v[38:39]
	;; [unrolled: 3-line block ×4, first 2 shown]
	s_waitcnt vmcnt(25)
	v_mul_f64 v[80:81], v[16:17], v[50:51]
	v_mul_f64 v[50:51], v[18:19], v[50:51]
	s_waitcnt vmcnt(23) lgkmcnt(1)
	v_mul_f64 v[106:107], v[28:29], v[52:53]
	v_mul_f64 v[52:53], v[30:31], v[52:53]
	s_waitcnt vmcnt(20)
	v_mul_f64 v[84:85], v[24:25], v[56:57]
	v_mul_f64 v[56:57], v[26:27], v[56:57]
	s_waitcnt vmcnt(18) lgkmcnt(0)
	v_mul_f64 v[108:109], v[32:33], v[58:59]
	s_waitcnt vmcnt(17)
	v_fmac_f64_e32 v[82:83], v[22:23], v[48:49]
	s_waitcnt vmcnt(16)
	v_fmac_f64_e32 v[106:107], v[30:31], v[54:55]
	s_waitcnt vmcnt(14)
	v_fma_f64 v[2:3], v[2:3], v[60:61], -v[36:37]
	v_fmac_f64_e32 v[6:7], v[4:5], v[60:61]
	s_waitcnt vmcnt(12)
	v_fma_f64 v[4:5], v[8:9], v[62:63], -v[38:39]
	v_add_f64 v[2:3], v[2:3], 0
	v_fmac_f64_e32 v[76:77], v[10:11], v[62:63]
	s_waitcnt vmcnt(10)
	v_fma_f64 v[8:9], v[12:13], v[64:65], -v[40:41]
	v_add_f64 v[6:7], v[6:7], 0
	v_add_f64 v[2:3], v[2:3], v[4:5]
	v_fmac_f64_e32 v[78:79], v[14:15], v[64:65]
	s_waitcnt vmcnt(8)
	v_fma_f64 v[10:11], v[16:17], v[66:67], -v[50:51]
	v_add_f64 v[6:7], v[6:7], v[76:77]
	v_add_f64 v[2:3], v[2:3], v[8:9]
	v_fmac_f64_e32 v[80:81], v[18:19], v[66:67]
	v_fma_f64 v[12:13], v[20:21], v[48:49], -v[46:47]
	v_add_f64 v[4:5], v[6:7], v[78:79]
	v_add_f64 v[2:3], v[2:3], v[10:11]
	s_waitcnt vmcnt(6)
	v_fma_f64 v[14:15], v[24:25], v[68:69], -v[56:57]
	v_add_f64 v[4:5], v[4:5], v[80:81]
	v_add_f64 v[2:3], v[2:3], v[12:13]
	v_fmac_f64_e32 v[84:85], v[26:27], v[68:69]
	v_fma_f64 v[16:17], v[28:29], v[54:55], -v[52:53]
	v_add_f64 v[4:5], v[4:5], v[82:83]
	v_add_f64 v[2:3], v[2:3], v[14:15]
	v_mul_f64 v[6:7], v[34:35], v[58:59]
	v_add_f64 v[4:5], v[4:5], v[84:85]
	v_add_f64 v[2:3], v[2:3], v[16:17]
	s_waitcnt vmcnt(4)
	v_fma_f64 v[6:7], v[32:33], v[70:71], -v[6:7]
	v_fmac_f64_e32 v[108:109], v[34:35], v[70:71]
	v_add_f64 v[4:5], v[4:5], v[106:107]
	v_add_f64 v[2:3], v[2:3], v[6:7]
	;; [unrolled: 1-line block ×3, first 2 shown]
	s_waitcnt vmcnt(2)
	v_add_f64 v[2:3], v[72:73], -v[2:3]
	s_waitcnt vmcnt(0)
	v_add_f64 v[4:5], v[74:75], -v[4:5]
	buffer_store_dword v3, off, s[0:3], 0 offset:388
	buffer_store_dword v2, off, s[0:3], 0 offset:384
	;; [unrolled: 1-line block ×4, first 2 shown]
	s_and_saveexec_b64 s[4:5], vcc
	s_cbranch_execz .LBB31_161
; %bb.160:
	v_accvgpr_read_b32 v5, a65
	buffer_load_dword v2, v5, s[0:3], 0 offen
	buffer_load_dword v3, v5, s[0:3], 0 offen offset:4
	buffer_load_dword v4, v5, s[0:3], 0 offen offset:8
	s_nop 0
	buffer_load_dword v5, v5, s[0:3], 0 offen offset:12
	v_mov_b32_e32 v6, 0
	buffer_store_dword v6, off, s[0:3], 0 offset:368
	buffer_store_dword v6, off, s[0:3], 0 offset:372
	;; [unrolled: 1-line block ×4, first 2 shown]
	s_waitcnt vmcnt(4)
	ds_write_b128 v1, v[2:5]
.LBB31_161:
	s_or_b64 exec, exec, s[4:5]
	s_waitcnt lgkmcnt(0)
	; wave barrier
	s_waitcnt lgkmcnt(0)
	buffer_load_dword v40, off, s[0:3], 0 offset:392
	buffer_load_dword v41, off, s[0:3], 0 offset:396
	;; [unrolled: 1-line block ×40, first 2 shown]
	v_mov_b32_e32 v6, 0
	ds_read_b128 v[2:5], v6 offset:880
	ds_read_b128 v[8:11], v6 offset:896
	;; [unrolled: 1-line block ×9, first 2 shown]
	v_cmp_lt_u32_e32 vcc, 21, v0
	s_waitcnt vmcnt(38) lgkmcnt(8)
	v_mul_f64 v[84:85], v[2:3], v[40:41]
	v_mul_f64 v[40:41], v[4:5], v[40:41]
	s_waitcnt vmcnt(36) lgkmcnt(7)
	v_mul_f64 v[106:107], v[8:9], v[46:47]
	v_mul_f64 v[46:47], v[10:11], v[46:47]
	;; [unrolled: 3-line block ×3, first 2 shown]
	s_waitcnt vmcnt(32) lgkmcnt(4)
	v_mul_f64 v[112:113], v[20:21], v[50:51]
	s_waitcnt vmcnt(30)
	v_fmac_f64_e32 v[112:113], v[22:23], v[52:53]
	s_waitcnt vmcnt(28)
	v_mul_f64 v[110:111], v[16:17], v[54:55]
	v_mul_f64 v[54:55], v[18:19], v[54:55]
	s_waitcnt vmcnt(26) lgkmcnt(2)
	v_mul_f64 v[116:117], v[28:29], v[56:57]
	s_waitcnt vmcnt(24)
	v_fmac_f64_e32 v[116:117], v[30:31], v[58:59]
	s_waitcnt vmcnt(22)
	v_mul_f64 v[114:115], v[24:25], v[60:61]
	s_waitcnt vmcnt(18) lgkmcnt(1)
	v_mul_f64 v[118:119], v[32:33], v[66:67]
	s_waitcnt vmcnt(17) lgkmcnt(0)
	v_mul_f64 v[120:121], v[36:37], v[62:63]
	s_waitcnt vmcnt(15)
	v_fma_f64 v[2:3], v[2:3], v[68:69], -v[40:41]
	v_fmac_f64_e32 v[84:85], v[4:5], v[68:69]
	s_waitcnt vmcnt(13)
	v_fma_f64 v[4:5], v[8:9], v[70:71], -v[46:47]
	v_add_f64 v[2:3], v[2:3], 0
	s_waitcnt vmcnt(11)
	v_fma_f64 v[8:9], v[12:13], v[72:73], -v[48:49]
	v_add_f64 v[2:3], v[2:3], v[4:5]
	v_fmac_f64_e32 v[106:107], v[10:11], v[70:71]
	s_waitcnt vmcnt(9)
	v_fma_f64 v[10:11], v[16:17], v[74:75], -v[54:55]
	v_add_f64 v[2:3], v[2:3], v[8:9]
	v_mul_f64 v[8:9], v[22:23], v[50:51]
	v_add_f64 v[2:3], v[2:3], v[10:11]
	v_fma_f64 v[8:9], v[20:21], v[52:53], -v[8:9]
	v_add_f64 v[2:3], v[2:3], v[8:9]
	v_mul_f64 v[8:9], v[26:27], v[60:61]
	v_add_f64 v[12:13], v[84:85], 0
	s_waitcnt vmcnt(7)
	v_fma_f64 v[8:9], v[24:25], v[76:77], -v[8:9]
	v_fmac_f64_e32 v[108:109], v[14:15], v[72:73]
	v_add_f64 v[12:13], v[12:13], v[106:107]
	v_add_f64 v[2:3], v[2:3], v[8:9]
	v_mul_f64 v[8:9], v[30:31], v[56:57]
	v_fmac_f64_e32 v[110:111], v[18:19], v[74:75]
	v_add_f64 v[4:5], v[12:13], v[108:109]
	v_fma_f64 v[8:9], v[28:29], v[58:59], -v[8:9]
	v_add_f64 v[4:5], v[4:5], v[110:111]
	v_add_f64 v[2:3], v[2:3], v[8:9]
	v_mul_f64 v[8:9], v[34:35], v[66:67]
	v_fmac_f64_e32 v[114:115], v[26:27], v[76:77]
	v_add_f64 v[4:5], v[4:5], v[112:113]
	s_waitcnt vmcnt(5)
	v_fma_f64 v[8:9], v[32:33], v[78:79], -v[8:9]
	v_add_f64 v[4:5], v[4:5], v[114:115]
	v_add_f64 v[2:3], v[2:3], v[8:9]
	v_mul_f64 v[8:9], v[38:39], v[62:63]
	v_fmac_f64_e32 v[118:119], v[34:35], v[78:79]
	v_add_f64 v[4:5], v[4:5], v[116:117]
	s_waitcnt vmcnt(4)
	v_fma_f64 v[8:9], v[36:37], v[64:65], -v[8:9]
	v_fmac_f64_e32 v[120:121], v[38:39], v[64:65]
	v_add_f64 v[4:5], v[4:5], v[118:119]
	v_add_f64 v[2:3], v[2:3], v[8:9]
	;; [unrolled: 1-line block ×3, first 2 shown]
	s_waitcnt vmcnt(2)
	v_add_f64 v[2:3], v[80:81], -v[2:3]
	s_waitcnt vmcnt(0)
	v_add_f64 v[4:5], v[82:83], -v[4:5]
	buffer_store_dword v3, off, s[0:3], 0 offset:372
	buffer_store_dword v2, off, s[0:3], 0 offset:368
	buffer_store_dword v5, off, s[0:3], 0 offset:380
	buffer_store_dword v4, off, s[0:3], 0 offset:376
	s_and_saveexec_b64 s[4:5], vcc
	s_cbranch_execz .LBB31_163
; %bb.162:
	v_accvgpr_read_b32 v5, a66
	buffer_load_dword v2, v5, s[0:3], 0 offen
	buffer_load_dword v3, v5, s[0:3], 0 offen offset:4
	buffer_load_dword v4, v5, s[0:3], 0 offen offset:8
	s_nop 0
	buffer_load_dword v5, v5, s[0:3], 0 offen offset:12
	s_nop 0
	buffer_store_dword v6, off, s[0:3], 0 offset:352
	buffer_store_dword v6, off, s[0:3], 0 offset:356
	;; [unrolled: 1-line block ×4, first 2 shown]
	s_waitcnt vmcnt(4)
	ds_write_b128 v1, v[2:5]
.LBB31_163:
	s_or_b64 exec, exec, s[4:5]
	s_waitcnt lgkmcnt(0)
	; wave barrier
	s_waitcnt lgkmcnt(0)
	buffer_load_dword v4, off, s[0:3], 0 offset:368
	buffer_load_dword v5, off, s[0:3], 0 offset:372
	;; [unrolled: 1-line block ×44, first 2 shown]
	ds_read_b128 v[8:11], v6 offset:864
	ds_read_b128 v[12:15], v6 offset:880
	;; [unrolled: 1-line block ×10, first 2 shown]
	v_cmp_lt_u32_e32 vcc, 20, v0
	s_waitcnt vmcnt(40) lgkmcnt(9)
	v_mul_f64 v[6:7], v[8:9], v[40:41]
	v_mul_f64 v[40:41], v[10:11], v[40:41]
	s_waitcnt vmcnt(38) lgkmcnt(8)
	v_mul_f64 v[84:85], v[12:13], v[46:47]
	v_mul_f64 v[46:47], v[14:15], v[46:47]
	v_fmac_f64_e32 v[6:7], v[10:11], v[4:5]
	v_fma_f64 v[4:5], v[8:9], v[4:5], -v[40:41]
	s_waitcnt vmcnt(36) lgkmcnt(7)
	v_mul_f64 v[114:115], v[16:17], v[2:3]
	v_add_f64 v[4:5], v[4:5], 0
	v_mul_f64 v[2:3], v[18:19], v[2:3]
	v_add_f64 v[6:7], v[6:7], 0
	s_waitcnt vmcnt(30) lgkmcnt(6)
	v_mul_f64 v[116:117], v[20:21], v[52:53]
	s_waitcnt lgkmcnt(5)
	v_mul_f64 v[118:119], v[24:25], v[48:49]
	v_fmac_f64_e32 v[118:119], v[26:27], v[50:51]
	s_waitcnt vmcnt(28) lgkmcnt(3)
	v_mul_f64 v[122:123], v[32:33], v[54:55]
	s_waitcnt vmcnt(26)
	v_fmac_f64_e32 v[122:123], v[34:35], v[56:57]
	s_waitcnt vmcnt(24)
	v_mul_f64 v[120:121], v[28:29], v[58:59]
	s_waitcnt vmcnt(22) lgkmcnt(1)
	v_mul_f64 v[126:127], v[106:107], v[60:61]
	s_waitcnt vmcnt(20)
	v_fmac_f64_e32 v[126:127], v[108:109], v[62:63]
	s_waitcnt vmcnt(18)
	v_mul_f64 v[124:125], v[36:37], v[64:65]
	s_waitcnt vmcnt(16) lgkmcnt(0)
	v_mul_f64 v[128:129], v[110:111], v[66:67]
	s_waitcnt vmcnt(14)
	v_fma_f64 v[8:9], v[12:13], v[68:69], -v[46:47]
	v_add_f64 v[4:5], v[4:5], v[8:9]
	s_waitcnt vmcnt(12)
	v_fma_f64 v[2:3], v[16:17], v[70:71], -v[2:3]
	v_add_f64 v[2:3], v[4:5], v[2:3]
	v_mul_f64 v[4:5], v[22:23], v[52:53]
	s_waitcnt vmcnt(10)
	v_fma_f64 v[4:5], v[20:21], v[72:73], -v[4:5]
	v_add_f64 v[2:3], v[2:3], v[4:5]
	v_mul_f64 v[4:5], v[26:27], v[48:49]
	v_fma_f64 v[4:5], v[24:25], v[50:51], -v[4:5]
	v_add_f64 v[2:3], v[2:3], v[4:5]
	v_mul_f64 v[4:5], v[30:31], v[58:59]
	s_waitcnt vmcnt(8)
	v_fma_f64 v[4:5], v[28:29], v[74:75], -v[4:5]
	v_fmac_f64_e32 v[84:85], v[14:15], v[68:69]
	v_add_f64 v[2:3], v[2:3], v[4:5]
	v_mul_f64 v[4:5], v[34:35], v[54:55]
	v_fmac_f64_e32 v[114:115], v[18:19], v[70:71]
	v_add_f64 v[6:7], v[6:7], v[84:85]
	v_fma_f64 v[4:5], v[32:33], v[56:57], -v[4:5]
	v_fmac_f64_e32 v[116:117], v[22:23], v[72:73]
	v_add_f64 v[6:7], v[6:7], v[114:115]
	v_add_f64 v[2:3], v[2:3], v[4:5]
	v_mul_f64 v[4:5], v[38:39], v[64:65]
	v_add_f64 v[6:7], v[6:7], v[116:117]
	s_waitcnt vmcnt(6)
	v_fma_f64 v[4:5], v[36:37], v[76:77], -v[4:5]
	v_fmac_f64_e32 v[120:121], v[30:31], v[74:75]
	v_add_f64 v[6:7], v[6:7], v[118:119]
	v_add_f64 v[2:3], v[2:3], v[4:5]
	v_mul_f64 v[4:5], v[108:109], v[60:61]
	v_add_f64 v[6:7], v[6:7], v[120:121]
	v_fma_f64 v[4:5], v[106:107], v[62:63], -v[4:5]
	v_fmac_f64_e32 v[124:125], v[38:39], v[76:77]
	v_add_f64 v[6:7], v[6:7], v[122:123]
	v_add_f64 v[2:3], v[2:3], v[4:5]
	v_mul_f64 v[4:5], v[112:113], v[66:67]
	v_add_f64 v[6:7], v[6:7], v[124:125]
	s_waitcnt vmcnt(4)
	v_fma_f64 v[4:5], v[110:111], v[78:79], -v[4:5]
	v_fmac_f64_e32 v[128:129], v[112:113], v[78:79]
	v_add_f64 v[6:7], v[6:7], v[126:127]
	v_add_f64 v[2:3], v[2:3], v[4:5]
	;; [unrolled: 1-line block ×3, first 2 shown]
	s_waitcnt vmcnt(2)
	v_add_f64 v[2:3], v[80:81], -v[2:3]
	s_waitcnt vmcnt(0)
	v_add_f64 v[4:5], v[82:83], -v[6:7]
	buffer_store_dword v3, off, s[0:3], 0 offset:356
	buffer_store_dword v2, off, s[0:3], 0 offset:352
	;; [unrolled: 1-line block ×4, first 2 shown]
	s_and_saveexec_b64 s[4:5], vcc
	s_cbranch_execz .LBB31_165
; %bb.164:
	v_accvgpr_read_b32 v5, a67
	buffer_load_dword v2, v5, s[0:3], 0 offen
	buffer_load_dword v3, v5, s[0:3], 0 offen offset:4
	buffer_load_dword v4, v5, s[0:3], 0 offen offset:8
	s_nop 0
	buffer_load_dword v5, v5, s[0:3], 0 offen offset:12
	v_mov_b32_e32 v6, 0
	buffer_store_dword v6, off, s[0:3], 0 offset:336
	buffer_store_dword v6, off, s[0:3], 0 offset:340
	buffer_store_dword v6, off, s[0:3], 0 offset:344
	buffer_store_dword v6, off, s[0:3], 0 offset:348
	s_waitcnt vmcnt(4)
	ds_write_b128 v1, v[2:5]
.LBB31_165:
	s_or_b64 exec, exec, s[4:5]
	s_waitcnt lgkmcnt(0)
	; wave barrier
	s_waitcnt lgkmcnt(0)
	buffer_load_dword v2, off, s[0:3], 0 offset:352
	buffer_load_dword v3, off, s[0:3], 0 offset:356
	;; [unrolled: 1-line block ×48, first 2 shown]
	v_mov_b32_e32 v12, 0
	ds_read_b128 v[14:17], v12 offset:848
	ds_read_b128 v[18:21], v12 offset:864
	;; [unrolled: 1-line block ×11, first 2 shown]
	v_cmp_lt_u32_e32 vcc, 19, v0
	s_waitcnt vmcnt(44) lgkmcnt(10)
	v_mul_f64 v[84:85], v[14:15], v[6:7]
	v_mul_f64 v[6:7], v[16:17], v[6:7]
	v_fmac_f64_e32 v[84:85], v[16:17], v[2:3]
	v_fma_f64 v[2:3], v[14:15], v[2:3], -v[6:7]
	s_waitcnt vmcnt(40) lgkmcnt(9)
	v_mul_f64 v[122:123], v[18:19], v[8:9]
	v_mul_f64 v[6:7], v[20:21], v[8:9]
	v_fmac_f64_e32 v[122:123], v[20:21], v[4:5]
	v_add_f64 v[2:3], v[2:3], 0
	v_fma_f64 v[4:5], v[18:19], v[4:5], -v[6:7]
	v_add_f64 v[2:3], v[2:3], v[4:5]
	s_waitcnt vmcnt(38) lgkmcnt(8)
	v_mul_f64 v[4:5], v[24:25], v[10:11]
	v_mul_f64 v[124:125], v[22:23], v[10:11]
	v_add_f64 v[84:85], v[84:85], 0
	s_waitcnt vmcnt(32) lgkmcnt(7)
	v_mul_f64 v[126:127], v[26:27], v[50:51]
	v_add_f64 v[84:85], v[84:85], v[122:123]
	s_waitcnt lgkmcnt(6)
	v_mul_f64 v[128:129], v[30:31], v[46:47]
	v_fmac_f64_e32 v[128:129], v[32:33], v[48:49]
	s_waitcnt vmcnt(30) lgkmcnt(4)
	v_mul_f64 v[132:133], v[38:39], v[52:53]
	s_waitcnt vmcnt(26)
	v_mul_f64 v[130:131], v[34:35], v[56:57]
	v_fmac_f64_e32 v[132:133], v[40:41], v[54:55]
	s_waitcnt vmcnt(24) lgkmcnt(2)
	v_mul_f64 v[136:137], v[110:111], v[58:59]
	s_waitcnt vmcnt(22)
	v_fmac_f64_e32 v[136:137], v[112:113], v[60:61]
	s_waitcnt vmcnt(20)
	v_mul_f64 v[134:135], v[106:107], v[62:63]
	s_waitcnt vmcnt(16) lgkmcnt(1)
	v_mul_f64 v[138:139], v[114:115], v[68:69]
	s_waitcnt vmcnt(14)
	v_fma_f64 v[4:5], v[22:23], v[70:71], -v[4:5]
	v_add_f64 v[2:3], v[2:3], v[4:5]
	v_mul_f64 v[4:5], v[28:29], v[50:51]
	s_waitcnt vmcnt(12)
	v_fma_f64 v[4:5], v[26:27], v[72:73], -v[4:5]
	v_add_f64 v[2:3], v[2:3], v[4:5]
	v_mul_f64 v[4:5], v[32:33], v[46:47]
	v_fma_f64 v[4:5], v[30:31], v[48:49], -v[4:5]
	v_add_f64 v[2:3], v[2:3], v[4:5]
	v_mul_f64 v[4:5], v[36:37], v[56:57]
	s_waitcnt vmcnt(10)
	v_fma_f64 v[4:5], v[34:35], v[74:75], -v[4:5]
	v_add_f64 v[2:3], v[2:3], v[4:5]
	v_mul_f64 v[4:5], v[40:41], v[52:53]
	v_fma_f64 v[4:5], v[38:39], v[54:55], -v[4:5]
	v_fmac_f64_e32 v[124:125], v[24:25], v[70:71]
	v_add_f64 v[2:3], v[2:3], v[4:5]
	v_mul_f64 v[4:5], v[108:109], v[62:63]
	v_fmac_f64_e32 v[126:127], v[28:29], v[72:73]
	v_add_f64 v[84:85], v[84:85], v[124:125]
	s_waitcnt vmcnt(8)
	v_fma_f64 v[4:5], v[106:107], v[76:77], -v[4:5]
	v_add_f64 v[84:85], v[84:85], v[126:127]
	v_add_f64 v[2:3], v[2:3], v[4:5]
	v_mul_f64 v[4:5], v[112:113], v[58:59]
	v_fmac_f64_e32 v[130:131], v[36:37], v[74:75]
	v_add_f64 v[84:85], v[84:85], v[128:129]
	v_fma_f64 v[4:5], v[110:111], v[60:61], -v[4:5]
	v_add_f64 v[84:85], v[84:85], v[130:131]
	v_add_f64 v[2:3], v[2:3], v[4:5]
	v_mul_f64 v[4:5], v[116:117], v[68:69]
	v_fmac_f64_e32 v[134:135], v[108:109], v[76:77]
	v_add_f64 v[84:85], v[84:85], v[132:133]
	s_waitcnt vmcnt(6)
	v_fma_f64 v[4:5], v[114:115], v[78:79], -v[4:5]
	v_add_f64 v[84:85], v[84:85], v[134:135]
	v_add_f64 v[2:3], v[2:3], v[4:5]
	s_waitcnt vmcnt(5) lgkmcnt(0)
	v_mul_f64 v[4:5], v[120:121], v[64:65]
	v_fmac_f64_e32 v[138:139], v[116:117], v[78:79]
	v_add_f64 v[84:85], v[84:85], v[136:137]
	v_mul_f64 v[122:123], v[118:119], v[64:65]
	s_waitcnt vmcnt(4)
	v_fma_f64 v[4:5], v[118:119], v[66:67], -v[4:5]
	v_add_f64 v[84:85], v[84:85], v[138:139]
	v_fmac_f64_e32 v[122:123], v[120:121], v[66:67]
	v_add_f64 v[2:3], v[2:3], v[4:5]
	v_add_f64 v[84:85], v[84:85], v[122:123]
	s_waitcnt vmcnt(2)
	v_add_f64 v[2:3], v[80:81], -v[2:3]
	s_waitcnt vmcnt(0)
	v_add_f64 v[4:5], v[82:83], -v[84:85]
	buffer_store_dword v3, off, s[0:3], 0 offset:340
	buffer_store_dword v2, off, s[0:3], 0 offset:336
	;; [unrolled: 1-line block ×4, first 2 shown]
	s_and_saveexec_b64 s[4:5], vcc
	s_cbranch_execz .LBB31_167
; %bb.166:
	v_accvgpr_read_b32 v5, a68
	buffer_load_dword v2, v5, s[0:3], 0 offen
	buffer_load_dword v3, v5, s[0:3], 0 offen offset:4
	buffer_load_dword v4, v5, s[0:3], 0 offen offset:8
	s_nop 0
	buffer_load_dword v5, v5, s[0:3], 0 offen offset:12
	s_nop 0
	buffer_store_dword v12, off, s[0:3], 0 offset:320
	buffer_store_dword v12, off, s[0:3], 0 offset:324
	;; [unrolled: 1-line block ×4, first 2 shown]
	s_waitcnt vmcnt(4)
	ds_write_b128 v1, v[2:5]
.LBB31_167:
	s_or_b64 exec, exec, s[4:5]
	s_waitcnt lgkmcnt(0)
	; wave barrier
	s_waitcnt lgkmcnt(0)
	buffer_load_dword v2, off, s[0:3], 0 offset:336
	buffer_load_dword v3, off, s[0:3], 0 offset:340
	;; [unrolled: 1-line block ×52, first 2 shown]
	ds_read_b128 v[14:17], v12 offset:832
	ds_read_b128 v[18:21], v12 offset:848
	;; [unrolled: 1-line block ×10, first 2 shown]
	v_cmp_lt_u32_e32 vcc, 18, v0
	s_waitcnt vmcnt(48) lgkmcnt(9)
	v_mul_f64 v[118:119], v[14:15], v[6:7]
	v_mul_f64 v[6:7], v[16:17], v[6:7]
	v_fmac_f64_e32 v[118:119], v[16:17], v[2:3]
	v_fma_f64 v[2:3], v[14:15], v[2:3], -v[6:7]
	s_waitcnt vmcnt(44) lgkmcnt(8)
	v_mul_f64 v[120:121], v[18:19], v[8:9]
	v_mul_f64 v[6:7], v[20:21], v[8:9]
	v_fmac_f64_e32 v[120:121], v[20:21], v[4:5]
	v_add_f64 v[2:3], v[2:3], 0
	v_fma_f64 v[4:5], v[18:19], v[4:5], -v[6:7]
	v_add_f64 v[2:3], v[2:3], v[4:5]
	s_waitcnt vmcnt(42) lgkmcnt(7)
	v_mul_f64 v[4:5], v[24:25], v[10:11]
	v_mul_f64 v[122:123], v[22:23], v[10:11]
	v_add_f64 v[118:119], v[118:119], 0
	s_waitcnt vmcnt(36) lgkmcnt(6)
	v_mul_f64 v[124:125], v[26:27], v[50:51]
	v_add_f64 v[118:119], v[118:119], v[120:121]
	s_waitcnt lgkmcnt(5)
	v_mul_f64 v[128:129], v[30:31], v[46:47]
	v_fmac_f64_e32 v[128:129], v[32:33], v[48:49]
	s_waitcnt vmcnt(34) lgkmcnt(3)
	v_mul_f64 v[132:133], v[38:39], v[52:53]
	s_waitcnt vmcnt(30)
	v_mul_f64 v[130:131], v[34:35], v[56:57]
	v_fmac_f64_e32 v[132:133], v[40:41], v[54:55]
	s_waitcnt vmcnt(26) lgkmcnt(2)
	v_mul_f64 v[134:135], v[106:107], v[62:63]
	s_waitcnt vmcnt(25) lgkmcnt(1)
	v_mul_f64 v[136:137], v[110:111], v[58:59]
	s_waitcnt vmcnt(23)
	v_fma_f64 v[4:5], v[22:23], v[64:65], -v[4:5]
	v_add_f64 v[2:3], v[2:3], v[4:5]
	v_mul_f64 v[4:5], v[28:29], v[50:51]
	s_waitcnt vmcnt(21)
	v_fma_f64 v[4:5], v[26:27], v[66:67], -v[4:5]
	v_fmac_f64_e32 v[122:123], v[24:25], v[64:65]
	v_add_f64 v[2:3], v[2:3], v[4:5]
	v_mul_f64 v[4:5], v[32:33], v[46:47]
	v_fmac_f64_e32 v[124:125], v[28:29], v[66:67]
	v_add_f64 v[118:119], v[118:119], v[122:123]
	v_fma_f64 v[4:5], v[30:31], v[48:49], -v[4:5]
	v_add_f64 v[118:119], v[118:119], v[124:125]
	v_add_f64 v[2:3], v[2:3], v[4:5]
	v_mul_f64 v[4:5], v[36:37], v[56:57]
	s_waitcnt vmcnt(19)
	v_fmac_f64_e32 v[130:131], v[36:37], v[68:69]
	v_add_f64 v[118:119], v[118:119], v[128:129]
	v_fma_f64 v[4:5], v[34:35], v[68:69], -v[4:5]
	v_add_f64 v[118:119], v[118:119], v[130:131]
	v_add_f64 v[2:3], v[2:3], v[4:5]
	v_mul_f64 v[4:5], v[40:41], v[52:53]
	s_waitcnt vmcnt(17)
	v_fmac_f64_e32 v[134:135], v[108:109], v[70:71]
	v_add_f64 v[118:119], v[118:119], v[132:133]
	v_fma_f64 v[4:5], v[38:39], v[54:55], -v[4:5]
	s_waitcnt vmcnt(16)
	v_fmac_f64_e32 v[136:137], v[112:113], v[60:61]
	v_add_f64 v[118:119], v[118:119], v[134:135]
	v_add_f64 v[2:3], v[2:3], v[4:5]
	v_mul_f64 v[4:5], v[108:109], v[62:63]
	v_add_f64 v[128:129], v[118:119], v[136:137]
	ds_read_b128 v[118:121], v12 offset:992
	ds_read_b128 v[122:125], v12 offset:1008
	v_fma_f64 v[4:5], v[106:107], v[70:71], -v[4:5]
	v_add_f64 v[2:3], v[2:3], v[4:5]
	v_mul_f64 v[4:5], v[112:113], v[58:59]
	v_fma_f64 v[4:5], v[110:111], v[60:61], -v[4:5]
	v_add_f64 v[2:3], v[2:3], v[4:5]
	s_waitcnt vmcnt(12) lgkmcnt(2)
	v_mul_f64 v[4:5], v[116:117], v[76:77]
	v_mul_f64 v[130:131], v[114:115], v[76:77]
	s_waitcnt vmcnt(10)
	v_fma_f64 v[4:5], v[114:115], v[78:79], -v[4:5]
	v_fmac_f64_e32 v[130:131], v[116:117], v[78:79]
	v_add_f64 v[2:3], v[2:3], v[4:5]
	s_waitcnt vmcnt(8) lgkmcnt(1)
	v_mul_f64 v[4:5], v[120:121], v[72:73]
	v_add_f64 v[12:13], v[128:129], v[130:131]
	v_mul_f64 v[128:129], v[118:119], v[72:73]
	v_fma_f64 v[4:5], v[118:119], v[74:75], -v[4:5]
	v_fmac_f64_e32 v[128:129], v[120:121], v[74:75]
	v_add_f64 v[2:3], v[2:3], v[4:5]
	s_waitcnt vmcnt(6) lgkmcnt(0)
	v_mul_f64 v[4:5], v[124:125], v[80:81]
	v_add_f64 v[12:13], v[12:13], v[128:129]
	v_mul_f64 v[128:129], v[122:123], v[80:81]
	s_waitcnt vmcnt(4)
	v_fma_f64 v[4:5], v[122:123], v[82:83], -v[4:5]
	v_fmac_f64_e32 v[128:129], v[124:125], v[82:83]
	v_add_f64 v[2:3], v[2:3], v[4:5]
	v_add_f64 v[12:13], v[12:13], v[128:129]
	s_waitcnt vmcnt(2)
	v_add_f64 v[2:3], v[84:85], -v[2:3]
	s_waitcnt vmcnt(0)
	v_add_f64 v[4:5], v[126:127], -v[12:13]
	buffer_store_dword v3, off, s[0:3], 0 offset:324
	buffer_store_dword v2, off, s[0:3], 0 offset:320
	buffer_store_dword v5, off, s[0:3], 0 offset:332
	buffer_store_dword v4, off, s[0:3], 0 offset:328
	s_and_saveexec_b64 s[4:5], vcc
	s_cbranch_execz .LBB31_169
; %bb.168:
	v_accvgpr_read_b32 v5, a69
	buffer_load_dword v2, v5, s[0:3], 0 offen
	buffer_load_dword v3, v5, s[0:3], 0 offen offset:4
	buffer_load_dword v4, v5, s[0:3], 0 offen offset:8
	s_nop 0
	buffer_load_dword v5, v5, s[0:3], 0 offen offset:12
	v_mov_b32_e32 v6, 0
	buffer_store_dword v6, off, s[0:3], 0 offset:304
	buffer_store_dword v6, off, s[0:3], 0 offset:308
	buffer_store_dword v6, off, s[0:3], 0 offset:312
	buffer_store_dword v6, off, s[0:3], 0 offset:316
	s_waitcnt vmcnt(4)
	ds_write_b128 v1, v[2:5]
.LBB31_169:
	s_or_b64 exec, exec, s[4:5]
	s_waitcnt lgkmcnt(0)
	; wave barrier
	s_waitcnt lgkmcnt(0)
	buffer_load_dword v2, off, s[0:3], 0 offset:320
	buffer_load_dword v3, off, s[0:3], 0 offset:324
	;; [unrolled: 1-line block ×56, first 2 shown]
	v_mov_b32_e32 v24, 0
	ds_read_b128 v[18:21], v24 offset:816
	ds_read_b128 v[26:29], v24 offset:832
	;; [unrolled: 1-line block ×9, first 2 shown]
	v_cmp_lt_u32_e32 vcc, 17, v0
	s_waitcnt vmcnt(52) lgkmcnt(8)
	v_mul_f64 v[84:85], v[18:19], v[6:7]
	v_mul_f64 v[6:7], v[20:21], v[6:7]
	v_fmac_f64_e32 v[84:85], v[20:21], v[2:3]
	v_fma_f64 v[2:3], v[18:19], v[2:3], -v[6:7]
	s_waitcnt vmcnt(48) lgkmcnt(7)
	v_mul_f64 v[118:119], v[26:27], v[8:9]
	v_mul_f64 v[6:7], v[28:29], v[8:9]
	s_waitcnt vmcnt(46) lgkmcnt(6)
	v_mul_f64 v[120:121], v[30:31], v[10:11]
	v_fmac_f64_e32 v[118:119], v[28:29], v[4:5]
	v_add_f64 v[84:85], v[84:85], 0
	v_add_f64 v[2:3], v[2:3], 0
	v_fma_f64 v[4:5], v[26:27], v[4:5], -v[6:7]
	v_add_f64 v[84:85], v[84:85], v[118:119]
	s_waitcnt vmcnt(40) lgkmcnt(5)
	v_mul_f64 v[122:123], v[34:35], v[16:17]
	v_add_f64 v[2:3], v[2:3], v[4:5]
	v_mul_f64 v[4:5], v[32:33], v[10:11]
	s_waitcnt lgkmcnt(4)
	v_mul_f64 v[124:125], v[38:39], v[12:13]
	s_waitcnt vmcnt(36) lgkmcnt(3)
	v_mul_f64 v[126:127], v[106:107], v[48:49]
	v_fmac_f64_e32 v[124:125], v[40:41], v[14:15]
	s_waitcnt vmcnt(35) lgkmcnt(2)
	v_mul_f64 v[128:129], v[110:111], v[22:23]
	s_waitcnt vmcnt(33)
	v_fmac_f64_e32 v[120:121], v[32:33], v[50:51]
	v_add_f64 v[84:85], v[84:85], v[120:121]
	s_waitcnt vmcnt(31)
	v_fmac_f64_e32 v[122:123], v[36:37], v[52:53]
	v_fma_f64 v[4:5], v[30:31], v[50:51], -v[4:5]
	v_add_f64 v[84:85], v[84:85], v[122:123]
	v_add_f64 v[2:3], v[2:3], v[4:5]
	v_mul_f64 v[4:5], v[36:37], v[16:17]
	s_waitcnt vmcnt(29)
	v_fmac_f64_e32 v[126:127], v[108:109], v[54:55]
	v_add_f64 v[84:85], v[84:85], v[124:125]
	v_fma_f64 v[4:5], v[34:35], v[52:53], -v[4:5]
	s_waitcnt vmcnt(28)
	v_fmac_f64_e32 v[128:129], v[112:113], v[46:47]
	v_add_f64 v[84:85], v[84:85], v[126:127]
	ds_read_b128 v[118:121], v24 offset:944
	s_waitcnt vmcnt(24) lgkmcnt(2)
	v_mul_f64 v[122:123], v[114:115], v[60:61]
	v_add_f64 v[2:3], v[2:3], v[4:5]
	v_mul_f64 v[4:5], v[40:41], v[12:13]
	v_add_f64 v[84:85], v[84:85], v[128:129]
	s_waitcnt vmcnt(22)
	v_fmac_f64_e32 v[122:123], v[116:117], v[62:63]
	v_fma_f64 v[4:5], v[38:39], v[14:15], -v[4:5]
	v_add_f64 v[84:85], v[84:85], v[122:123]
	ds_read_b128 v[122:125], v24 offset:960
	v_add_f64 v[2:3], v[2:3], v[4:5]
	v_mul_f64 v[4:5], v[108:109], v[48:49]
	v_fma_f64 v[4:5], v[106:107], v[54:55], -v[4:5]
	v_add_f64 v[2:3], v[2:3], v[4:5]
	v_mul_f64 v[4:5], v[112:113], v[22:23]
	s_waitcnt vmcnt(20) lgkmcnt(1)
	v_mul_f64 v[126:127], v[118:119], v[56:57]
	v_fma_f64 v[4:5], v[110:111], v[46:47], -v[4:5]
	v_fmac_f64_e32 v[126:127], v[120:121], v[58:59]
	v_add_f64 v[2:3], v[2:3], v[4:5]
	v_mul_f64 v[4:5], v[116:117], v[60:61]
	v_add_f64 v[84:85], v[84:85], v[126:127]
	ds_read_b128 v[126:129], v24 offset:976
	s_waitcnt vmcnt(16) lgkmcnt(1)
	v_mul_f64 v[130:131], v[122:123], v[68:69]
	v_fma_f64 v[4:5], v[114:115], v[62:63], -v[4:5]
	s_waitcnt vmcnt(14)
	v_fmac_f64_e32 v[130:131], v[124:125], v[70:71]
	v_add_f64 v[2:3], v[2:3], v[4:5]
	v_mul_f64 v[4:5], v[120:121], v[56:57]
	v_add_f64 v[84:85], v[84:85], v[130:131]
	ds_read_b128 v[130:133], v24 offset:992
	v_fma_f64 v[4:5], v[118:119], v[58:59], -v[4:5]
	v_add_f64 v[2:3], v[2:3], v[4:5]
	v_mul_f64 v[4:5], v[124:125], v[68:69]
	v_fma_f64 v[4:5], v[122:123], v[70:71], -v[4:5]
	v_add_f64 v[2:3], v[2:3], v[4:5]
	s_waitcnt vmcnt(12) lgkmcnt(1)
	v_mul_f64 v[4:5], v[128:129], v[64:65]
	v_mul_f64 v[138:139], v[126:127], v[64:65]
	v_fma_f64 v[4:5], v[126:127], v[66:67], -v[4:5]
	v_fmac_f64_e32 v[138:139], v[128:129], v[66:67]
	v_add_f64 v[2:3], v[2:3], v[4:5]
	s_waitcnt vmcnt(8) lgkmcnt(0)
	v_mul_f64 v[4:5], v[132:133], v[76:77]
	v_add_f64 v[84:85], v[84:85], v[138:139]
	v_mul_f64 v[138:139], v[130:131], v[76:77]
	s_waitcnt vmcnt(6)
	v_fma_f64 v[4:5], v[130:131], v[78:79], -v[4:5]
	v_fmac_f64_e32 v[138:139], v[132:133], v[78:79]
	v_add_f64 v[2:3], v[2:3], v[4:5]
	s_waitcnt vmcnt(5)
	v_mul_f64 v[4:5], v[136:137], v[72:73]
	v_add_f64 v[84:85], v[84:85], v[138:139]
	v_mul_f64 v[138:139], v[134:135], v[72:73]
	s_waitcnt vmcnt(4)
	v_fma_f64 v[4:5], v[134:135], v[74:75], -v[4:5]
	v_fmac_f64_e32 v[138:139], v[136:137], v[74:75]
	v_add_f64 v[2:3], v[2:3], v[4:5]
	v_add_f64 v[84:85], v[84:85], v[138:139]
	s_waitcnt vmcnt(2)
	v_add_f64 v[2:3], v[80:81], -v[2:3]
	s_waitcnt vmcnt(0)
	v_add_f64 v[4:5], v[82:83], -v[84:85]
	buffer_store_dword v3, off, s[0:3], 0 offset:308
	buffer_store_dword v2, off, s[0:3], 0 offset:304
	;; [unrolled: 1-line block ×4, first 2 shown]
	s_and_saveexec_b64 s[4:5], vcc
	s_cbranch_execz .LBB31_171
; %bb.170:
	v_accvgpr_read_b32 v5, a70
	buffer_load_dword v2, v5, s[0:3], 0 offen
	buffer_load_dword v3, v5, s[0:3], 0 offen offset:4
	buffer_load_dword v4, v5, s[0:3], 0 offen offset:8
	s_nop 0
	buffer_load_dword v5, v5, s[0:3], 0 offen offset:12
	s_nop 0
	buffer_store_dword v24, off, s[0:3], 0 offset:288
	buffer_store_dword v24, off, s[0:3], 0 offset:292
	;; [unrolled: 1-line block ×4, first 2 shown]
	s_waitcnt vmcnt(4)
	ds_write_b128 v1, v[2:5]
.LBB31_171:
	s_or_b64 exec, exec, s[4:5]
	s_waitcnt lgkmcnt(0)
	; wave barrier
	s_waitcnt lgkmcnt(0)
	buffer_load_dword v2, off, s[0:3], 0 offset:304
	buffer_load_dword v3, off, s[0:3], 0 offset:308
	;; [unrolled: 1-line block ×60, first 2 shown]
	ds_read_b128 v[26:29], v24 offset:800
	ds_read_b128 v[30:33], v24 offset:816
	ds_read_b128 v[34:37], v24 offset:832
	ds_read_b128 v[38:41], v24 offset:848
	ds_read_b128 v[106:109], v24 offset:864
	ds_read_b128 v[110:113], v24 offset:880
	ds_read_b128 v[114:117], v24 offset:896
	ds_read_b128 v[118:121], v24 offset:912
	v_cmp_lt_u32_e32 vcc, 16, v0
	ds_read_b128 v[142:145], v24 offset:1008
	s_waitcnt vmcnt(56) lgkmcnt(8)
	v_mul_f64 v[84:85], v[26:27], v[6:7]
	v_fmac_f64_e32 v[84:85], v[28:29], v[2:3]
	v_add_f64 v[84:85], v[84:85], 0
	v_mul_f64 v[6:7], v[28:29], v[6:7]
	s_waitcnt vmcnt(52) lgkmcnt(7)
	v_mul_f64 v[122:123], v[30:31], v[8:9]
	v_fmac_f64_e32 v[122:123], v[32:33], v[4:5]
	s_waitcnt vmcnt(50) lgkmcnt(6)
	v_mul_f64 v[124:125], v[34:35], v[10:11]
	v_add_f64 v[84:85], v[84:85], v[122:123]
	s_waitcnt vmcnt(48) lgkmcnt(4)
	v_mul_f64 v[128:129], v[106:107], v[12:13]
	v_fma_f64 v[2:3], v[26:27], v[2:3], -v[6:7]
	s_waitcnt vmcnt(46)
	v_fmac_f64_e32 v[128:129], v[108:109], v[14:15]
	v_mul_f64 v[6:7], v[32:33], v[8:9]
	s_waitcnt vmcnt(44)
	v_mul_f64 v[126:127], v[38:39], v[16:17]
	v_add_f64 v[2:3], v[2:3], 0
	v_fma_f64 v[4:5], v[30:31], v[4:5], -v[6:7]
	v_add_f64 v[2:3], v[2:3], v[4:5]
	s_waitcnt vmcnt(40) lgkmcnt(3)
	v_mul_f64 v[130:131], v[110:111], v[22:23]
	v_mul_f64 v[4:5], v[36:37], v[10:11]
	s_waitcnt vmcnt(38)
	v_fmac_f64_e32 v[124:125], v[36:37], v[46:47]
	v_add_f64 v[84:85], v[84:85], v[124:125]
	s_waitcnt vmcnt(36)
	v_fmac_f64_e32 v[126:127], v[40:41], v[48:49]
	v_add_f64 v[84:85], v[84:85], v[126:127]
	s_waitcnt vmcnt(34)
	v_fmac_f64_e32 v[130:131], v[112:113], v[50:51]
	v_add_f64 v[84:85], v[84:85], v[128:129]
	s_waitcnt vmcnt(32) lgkmcnt(2)
	v_mul_f64 v[122:123], v[114:115], v[18:19]
	v_add_f64 v[84:85], v[84:85], v[130:131]
	v_fmac_f64_e32 v[122:123], v[116:117], v[20:21]
	v_add_f64 v[84:85], v[84:85], v[122:123]
	ds_read_b128 v[122:125], v24 offset:928
	v_fma_f64 v[4:5], v[34:35], v[46:47], -v[4:5]
	v_add_f64 v[2:3], v[2:3], v[4:5]
	v_mul_f64 v[4:5], v[40:41], v[16:17]
	v_fma_f64 v[4:5], v[38:39], v[48:49], -v[4:5]
	s_waitcnt vmcnt(28) lgkmcnt(2)
	v_mul_f64 v[126:127], v[118:119], v[56:57]
	v_add_f64 v[2:3], v[2:3], v[4:5]
	v_mul_f64 v[4:5], v[108:109], v[12:13]
	s_waitcnt vmcnt(26)
	v_fmac_f64_e32 v[126:127], v[120:121], v[58:59]
	v_fma_f64 v[4:5], v[106:107], v[14:15], -v[4:5]
	v_add_f64 v[84:85], v[84:85], v[126:127]
	ds_read_b128 v[126:129], v24 offset:944
	s_waitcnt vmcnt(24) lgkmcnt(1)
	v_mul_f64 v[130:131], v[122:123], v[52:53]
	v_add_f64 v[2:3], v[2:3], v[4:5]
	v_mul_f64 v[4:5], v[112:113], v[22:23]
	v_fmac_f64_e32 v[130:131], v[124:125], v[54:55]
	v_fma_f64 v[4:5], v[110:111], v[50:51], -v[4:5]
	v_add_f64 v[84:85], v[84:85], v[130:131]
	ds_read_b128 v[130:133], v24 offset:960
	v_add_f64 v[2:3], v[2:3], v[4:5]
	v_mul_f64 v[4:5], v[116:117], v[18:19]
	v_fma_f64 v[4:5], v[114:115], v[20:21], -v[4:5]
	v_add_f64 v[2:3], v[2:3], v[4:5]
	v_mul_f64 v[4:5], v[120:121], v[56:57]
	s_waitcnt vmcnt(20) lgkmcnt(1)
	v_mul_f64 v[134:135], v[126:127], v[64:65]
	v_fma_f64 v[4:5], v[118:119], v[58:59], -v[4:5]
	s_waitcnt vmcnt(18)
	v_fmac_f64_e32 v[134:135], v[128:129], v[66:67]
	v_add_f64 v[2:3], v[2:3], v[4:5]
	v_mul_f64 v[4:5], v[124:125], v[52:53]
	v_add_f64 v[84:85], v[84:85], v[134:135]
	ds_read_b128 v[134:137], v24 offset:976
	s_waitcnt vmcnt(16) lgkmcnt(1)
	v_mul_f64 v[138:139], v[130:131], v[60:61]
	v_fma_f64 v[4:5], v[122:123], v[54:55], -v[4:5]
	v_fmac_f64_e32 v[138:139], v[132:133], v[62:63]
	v_add_f64 v[2:3], v[2:3], v[4:5]
	v_mul_f64 v[4:5], v[128:129], v[64:65]
	v_add_f64 v[84:85], v[84:85], v[138:139]
	ds_read_b128 v[138:141], v24 offset:992
	v_fma_f64 v[4:5], v[126:127], v[66:67], -v[4:5]
	v_add_f64 v[2:3], v[2:3], v[4:5]
	v_mul_f64 v[4:5], v[132:133], v[60:61]
	v_fma_f64 v[4:5], v[130:131], v[62:63], -v[4:5]
	v_add_f64 v[2:3], v[2:3], v[4:5]
	s_waitcnt vmcnt(12) lgkmcnt(1)
	v_mul_f64 v[4:5], v[136:137], v[72:73]
	v_mul_f64 v[146:147], v[134:135], v[72:73]
	s_waitcnt vmcnt(10)
	v_fma_f64 v[4:5], v[134:135], v[74:75], -v[4:5]
	v_fmac_f64_e32 v[146:147], v[136:137], v[74:75]
	v_add_f64 v[2:3], v[2:3], v[4:5]
	s_waitcnt vmcnt(8) lgkmcnt(0)
	v_mul_f64 v[4:5], v[140:141], v[68:69]
	v_add_f64 v[24:25], v[84:85], v[146:147]
	v_mul_f64 v[84:85], v[138:139], v[68:69]
	v_fma_f64 v[4:5], v[138:139], v[70:71], -v[4:5]
	v_fmac_f64_e32 v[84:85], v[140:141], v[70:71]
	v_add_f64 v[2:3], v[2:3], v[4:5]
	s_waitcnt vmcnt(6)
	v_mul_f64 v[4:5], v[144:145], v[76:77]
	v_add_f64 v[24:25], v[24:25], v[84:85]
	v_mul_f64 v[84:85], v[142:143], v[76:77]
	s_waitcnt vmcnt(4)
	v_fma_f64 v[4:5], v[142:143], v[78:79], -v[4:5]
	v_fmac_f64_e32 v[84:85], v[144:145], v[78:79]
	v_add_f64 v[2:3], v[2:3], v[4:5]
	v_add_f64 v[24:25], v[24:25], v[84:85]
	s_waitcnt vmcnt(2)
	v_add_f64 v[2:3], v[80:81], -v[2:3]
	s_waitcnt vmcnt(0)
	v_add_f64 v[4:5], v[82:83], -v[24:25]
	buffer_store_dword v3, off, s[0:3], 0 offset:292
	buffer_store_dword v2, off, s[0:3], 0 offset:288
	;; [unrolled: 1-line block ×4, first 2 shown]
	s_and_saveexec_b64 s[4:5], vcc
	s_cbranch_execz .LBB31_173
; %bb.172:
	v_accvgpr_read_b32 v5, a71
	buffer_load_dword v2, v5, s[0:3], 0 offen
	buffer_load_dword v3, v5, s[0:3], 0 offen offset:4
	buffer_load_dword v4, v5, s[0:3], 0 offen offset:8
	s_nop 0
	buffer_load_dword v5, v5, s[0:3], 0 offen offset:12
	v_mov_b32_e32 v6, 0
	buffer_store_dword v6, off, s[0:3], 0 offset:272
	buffer_store_dword v6, off, s[0:3], 0 offset:276
	;; [unrolled: 1-line block ×4, first 2 shown]
	s_waitcnt vmcnt(4)
	ds_write_b128 v1, v[2:5]
.LBB31_173:
	s_or_b64 exec, exec, s[4:5]
	s_waitcnt lgkmcnt(0)
	; wave barrier
	s_waitcnt lgkmcnt(0)
	buffer_load_dword v2, off, s[0:3], 0 offset:288
	buffer_load_dword v3, off, s[0:3], 0 offset:292
	;; [unrolled: 1-line block ×64, first 2 shown]
	v_mov_b32_e32 v38, 0
	ds_read_b128 v[30:33], v38 offset:784
	ds_read_b128 v[34:37], v38 offset:800
	;; [unrolled: 1-line block ×13, first 2 shown]
	v_cmp_lt_u32_e32 vcc, 15, v0
	ds_read_b128 v[126:129], v38 offset:896
	s_waitcnt vmcnt(60) lgkmcnt(13)
	v_mul_f64 v[80:81], v[30:31], v[6:7]
	v_mul_f64 v[6:7], v[32:33], v[6:7]
	v_fmac_f64_e32 v[80:81], v[32:33], v[2:3]
	v_fma_f64 v[2:3], v[30:31], v[2:3], -v[6:7]
	s_waitcnt vmcnt(56) lgkmcnt(12)
	v_mul_f64 v[82:83], v[34:35], v[8:9]
	v_mul_f64 v[6:7], v[36:37], v[8:9]
	s_waitcnt vmcnt(54) lgkmcnt(11)
	v_mul_f64 v[84:85], v[106:107], v[10:11]
	v_fmac_f64_e32 v[82:83], v[36:37], v[4:5]
	v_add_f64 v[80:81], v[80:81], 0
	v_add_f64 v[2:3], v[2:3], 0
	v_fma_f64 v[4:5], v[34:35], v[4:5], -v[6:7]
	s_waitcnt vmcnt(50) lgkmcnt(10)
	v_mul_f64 v[122:123], v[110:111], v[16:17]
	v_add_f64 v[80:81], v[80:81], v[82:83]
	s_waitcnt vmcnt(47)
	v_fmac_f64_e32 v[84:85], v[108:109], v[20:21]
	v_add_f64 v[2:3], v[2:3], v[4:5]
	v_mul_f64 v[4:5], v[108:109], v[10:11]
	s_waitcnt lgkmcnt(9)
	v_mul_f64 v[124:125], v[114:115], v[12:13]
	s_waitcnt vmcnt(45)
	v_fmac_f64_e32 v[122:123], v[112:113], v[18:19]
	v_add_f64 v[80:81], v[80:81], v[84:85]
	v_fma_f64 v[4:5], v[106:107], v[20:21], -v[4:5]
	v_add_f64 v[80:81], v[80:81], v[122:123]
	s_waitcnt vmcnt(44)
	v_fmac_f64_e32 v[124:125], v[116:117], v[14:15]
	v_add_f64 v[2:3], v[2:3], v[4:5]
	v_mul_f64 v[4:5], v[112:113], v[16:17]
	v_add_f64 v[80:81], v[80:81], v[124:125]
	ds_read_b128 v[122:125], v38 offset:880
	v_fma_f64 v[4:5], v[110:111], v[18:19], -v[4:5]
	v_add_f64 v[2:3], v[2:3], v[4:5]
	v_mul_f64 v[4:5], v[116:117], v[12:13]
	v_fma_f64 v[4:5], v[114:115], v[14:15], -v[4:5]
	v_add_f64 v[2:3], v[2:3], v[4:5]
	s_waitcnt vmcnt(40) lgkmcnt(9)
	v_mul_f64 v[4:5], v[120:121], v[26:27]
	v_mul_f64 v[82:83], v[118:119], v[26:27]
	s_waitcnt vmcnt(38)
	v_fma_f64 v[4:5], v[118:119], v[28:29], -v[4:5]
	v_fmac_f64_e32 v[82:83], v[120:121], v[28:29]
	v_add_f64 v[2:3], v[2:3], v[4:5]
	s_waitcnt vmcnt(36) lgkmcnt(0)
	v_mul_f64 v[4:5], v[124:125], v[22:23]
	v_add_f64 v[80:81], v[80:81], v[82:83]
	v_mul_f64 v[82:83], v[122:123], v[22:23]
	v_fma_f64 v[4:5], v[122:123], v[24:25], -v[4:5]
	v_fmac_f64_e32 v[82:83], v[124:125], v[24:25]
	v_add_f64 v[2:3], v[2:3], v[4:5]
	s_waitcnt vmcnt(32)
	v_mul_f64 v[4:5], v[128:129], v[48:49]
	v_add_f64 v[80:81], v[80:81], v[82:83]
	v_mul_f64 v[82:83], v[126:127], v[48:49]
	s_waitcnt vmcnt(30)
	v_fma_f64 v[4:5], v[126:127], v[50:51], -v[4:5]
	v_fmac_f64_e32 v[82:83], v[128:129], v[50:51]
	v_add_f64 v[2:3], v[2:3], v[4:5]
	s_waitcnt vmcnt(28)
	v_mul_f64 v[4:5], v[132:133], v[40:41]
	v_add_f64 v[80:81], v[80:81], v[82:83]
	v_mul_f64 v[82:83], v[130:131], v[40:41]
	v_fma_f64 v[4:5], v[130:131], v[46:47], -v[4:5]
	v_fmac_f64_e32 v[82:83], v[132:133], v[46:47]
	v_add_f64 v[2:3], v[2:3], v[4:5]
	s_waitcnt vmcnt(24)
	v_mul_f64 v[4:5], v[136:137], v[56:57]
	v_add_f64 v[80:81], v[80:81], v[82:83]
	v_mul_f64 v[82:83], v[134:135], v[56:57]
	s_waitcnt vmcnt(22)
	v_fma_f64 v[4:5], v[134:135], v[58:59], -v[4:5]
	v_fmac_f64_e32 v[82:83], v[136:137], v[58:59]
	v_add_f64 v[2:3], v[2:3], v[4:5]
	s_waitcnt vmcnt(20)
	;; [unrolled: 15-line block ×4, first 2 shown]
	v_mul_f64 v[4:5], v[156:157], v[68:69]
	v_add_f64 v[80:81], v[80:81], v[82:83]
	v_mul_f64 v[82:83], v[154:155], v[68:69]
	s_waitcnt vmcnt(4)
	v_fma_f64 v[4:5], v[154:155], v[70:71], -v[4:5]
	v_fmac_f64_e32 v[82:83], v[156:157], v[70:71]
	v_add_f64 v[2:3], v[2:3], v[4:5]
	v_add_f64 v[80:81], v[80:81], v[82:83]
	s_waitcnt vmcnt(2)
	v_add_f64 v[2:3], v[76:77], -v[2:3]
	s_waitcnt vmcnt(0)
	v_add_f64 v[4:5], v[78:79], -v[80:81]
	buffer_store_dword v3, off, s[0:3], 0 offset:276
	buffer_store_dword v2, off, s[0:3], 0 offset:272
	;; [unrolled: 1-line block ×4, first 2 shown]
	s_and_saveexec_b64 s[4:5], vcc
	s_cbranch_execz .LBB31_175
; %bb.174:
	v_accvgpr_read_b32 v5, a72
	buffer_load_dword v2, v5, s[0:3], 0 offen
	buffer_load_dword v3, v5, s[0:3], 0 offen offset:4
	buffer_load_dword v4, v5, s[0:3], 0 offen offset:8
	s_nop 0
	buffer_load_dword v5, v5, s[0:3], 0 offen offset:12
	s_nop 0
	buffer_store_dword v38, off, s[0:3], 0 offset:256
	buffer_store_dword v38, off, s[0:3], 0 offset:260
	;; [unrolled: 1-line block ×4, first 2 shown]
	s_waitcnt vmcnt(4)
	ds_write_b128 v1, v[2:5]
.LBB31_175:
	s_or_b64 exec, exec, s[4:5]
	s_waitcnt lgkmcnt(0)
	; wave barrier
	s_waitcnt lgkmcnt(0)
	buffer_load_dword v2, off, s[0:3], 0 offset:272
	buffer_load_dword v3, off, s[0:3], 0 offset:276
	;; [unrolled: 1-line block ×64, first 2 shown]
	ds_read_b128 v[106:109], v38 offset:768
	ds_read_b128 v[110:113], v38 offset:784
	;; [unrolled: 1-line block ×4, first 2 shown]
	buffer_load_dword v74, off, s[0:3], 0 offset:256
	buffer_load_dword v75, off, s[0:3], 0 offset:260
	;; [unrolled: 1-line block ×4, first 2 shown]
	ds_read_b128 v[122:125], v38 offset:832
	ds_read_b128 v[126:129], v38 offset:848
	;; [unrolled: 1-line block ×11, first 2 shown]
	v_cmp_lt_u32_e32 vcc, 14, v0
	s_waitcnt vmcnt(62) lgkmcnt(14)
	v_mul_f64 v[40:41], v[106:107], v[4:5]
	v_mul_f64 v[4:5], v[108:109], v[4:5]
	v_fmac_f64_e32 v[40:41], v[108:109], v[2:3]
	v_fma_f64 v[2:3], v[106:107], v[2:3], -v[4:5]
	s_waitcnt lgkmcnt(13)
	v_mul_f64 v[4:5], v[112:113], v[6:7]
	v_add_f64 v[2:3], v[2:3], 0
	v_mul_f64 v[78:79], v[110:111], v[6:7]
	s_waitcnt vmcnt(60) lgkmcnt(12)
	v_mul_f64 v[80:81], v[114:115], v[8:9]
	v_add_f64 v[40:41], v[40:41], 0
	s_waitcnt vmcnt(56) lgkmcnt(11)
	v_mul_f64 v[82:83], v[118:119], v[14:15]
	s_waitcnt vmcnt(54)
	v_fma_f64 v[4:5], v[110:111], v[20:21], -v[4:5]
	v_add_f64 v[2:3], v[2:3], v[4:5]
	v_mul_f64 v[4:5], v[116:117], v[8:9]
	v_fmac_f64_e32 v[78:79], v[112:113], v[20:21]
	s_waitcnt vmcnt(52)
	v_fma_f64 v[4:5], v[114:115], v[18:19], -v[4:5]
	v_fmac_f64_e32 v[80:81], v[116:117], v[18:19]
	v_add_f64 v[40:41], v[40:41], v[78:79]
	v_add_f64 v[2:3], v[2:3], v[4:5]
	v_mul_f64 v[4:5], v[120:121], v[14:15]
	v_add_f64 v[40:41], v[40:41], v[80:81]
	s_waitcnt vmcnt(50)
	v_fmac_f64_e32 v[82:83], v[120:121], v[16:17]
	s_waitcnt vmcnt(48) lgkmcnt(10)
	v_mul_f64 v[78:79], v[122:123], v[10:11]
	v_fma_f64 v[4:5], v[118:119], v[16:17], -v[4:5]
	v_add_f64 v[40:41], v[40:41], v[82:83]
	v_fmac_f64_e32 v[78:79], v[124:125], v[12:13]
	v_add_f64 v[2:3], v[2:3], v[4:5]
	v_mul_f64 v[4:5], v[124:125], v[10:11]
	v_add_f64 v[40:41], v[40:41], v[78:79]
	s_waitcnt vmcnt(44) lgkmcnt(9)
	v_mul_f64 v[78:79], v[126:127], v[26:27]
	v_fma_f64 v[4:5], v[122:123], v[12:13], -v[4:5]
	s_waitcnt vmcnt(42)
	v_fmac_f64_e32 v[78:79], v[128:129], v[28:29]
	v_add_f64 v[2:3], v[2:3], v[4:5]
	v_mul_f64 v[4:5], v[128:129], v[26:27]
	v_add_f64 v[40:41], v[40:41], v[78:79]
	s_waitcnt vmcnt(40) lgkmcnt(8)
	v_mul_f64 v[78:79], v[130:131], v[22:23]
	v_fma_f64 v[4:5], v[126:127], v[28:29], -v[4:5]
	v_fmac_f64_e32 v[78:79], v[132:133], v[24:25]
	v_add_f64 v[2:3], v[2:3], v[4:5]
	v_mul_f64 v[4:5], v[132:133], v[22:23]
	v_add_f64 v[40:41], v[40:41], v[78:79]
	s_waitcnt vmcnt(36) lgkmcnt(7)
	v_mul_f64 v[78:79], v[134:135], v[34:35]
	v_fma_f64 v[4:5], v[130:131], v[24:25], -v[4:5]
	s_waitcnt vmcnt(34)
	v_fmac_f64_e32 v[78:79], v[136:137], v[36:37]
	v_add_f64 v[2:3], v[2:3], v[4:5]
	v_mul_f64 v[4:5], v[136:137], v[34:35]
	v_add_f64 v[40:41], v[40:41], v[78:79]
	s_waitcnt vmcnt(32) lgkmcnt(6)
	v_mul_f64 v[78:79], v[138:139], v[30:31]
	v_fma_f64 v[4:5], v[134:135], v[36:37], -v[4:5]
	;; [unrolled: 15-line block ×4, first 2 shown]
	v_fmac_f64_e32 v[78:79], v[156:157], v[56:57]
	v_add_f64 v[2:3], v[2:3], v[4:5]
	v_mul_f64 v[4:5], v[156:157], v[54:55]
	v_add_f64 v[78:79], v[40:41], v[78:79]
	ds_read_b128 v[38:41], v38 offset:1008
	v_fma_f64 v[4:5], v[154:155], v[56:57], -v[4:5]
	v_add_f64 v[2:3], v[2:3], v[4:5]
	s_waitcnt vmcnt(12) lgkmcnt(2)
	v_mul_f64 v[4:5], v[160:161], v[66:67]
	v_mul_f64 v[80:81], v[158:159], v[66:67]
	s_waitcnt vmcnt(10)
	v_fma_f64 v[4:5], v[158:159], v[68:69], -v[4:5]
	v_fmac_f64_e32 v[80:81], v[160:161], v[68:69]
	v_add_f64 v[2:3], v[2:3], v[4:5]
	s_waitcnt vmcnt(8) lgkmcnt(1)
	v_mul_f64 v[4:5], v[164:165], v[62:63]
	v_add_f64 v[78:79], v[78:79], v[80:81]
	v_mul_f64 v[80:81], v[162:163], v[62:63]
	v_fma_f64 v[4:5], v[162:163], v[64:65], -v[4:5]
	v_fmac_f64_e32 v[80:81], v[164:165], v[64:65]
	v_add_f64 v[2:3], v[2:3], v[4:5]
	s_waitcnt vmcnt(6) lgkmcnt(0)
	v_mul_f64 v[4:5], v[40:41], v[70:71]
	v_add_f64 v[78:79], v[78:79], v[80:81]
	v_mul_f64 v[80:81], v[38:39], v[70:71]
	s_waitcnt vmcnt(4)
	v_fma_f64 v[4:5], v[38:39], v[72:73], -v[4:5]
	v_fmac_f64_e32 v[80:81], v[40:41], v[72:73]
	v_add_f64 v[2:3], v[2:3], v[4:5]
	v_add_f64 v[78:79], v[78:79], v[80:81]
	s_waitcnt vmcnt(2)
	v_add_f64 v[2:3], v[74:75], -v[2:3]
	s_waitcnt vmcnt(0)
	v_add_f64 v[4:5], v[76:77], -v[78:79]
	buffer_store_dword v3, off, s[0:3], 0 offset:260
	buffer_store_dword v2, off, s[0:3], 0 offset:256
	buffer_store_dword v5, off, s[0:3], 0 offset:268
	buffer_store_dword v4, off, s[0:3], 0 offset:264
	s_and_saveexec_b64 s[4:5], vcc
	s_cbranch_execz .LBB31_177
; %bb.176:
	v_accvgpr_read_b32 v5, a73
	buffer_load_dword v2, v5, s[0:3], 0 offen
	buffer_load_dword v3, v5, s[0:3], 0 offen offset:4
	buffer_load_dword v4, v5, s[0:3], 0 offen offset:8
	s_nop 0
	buffer_load_dword v5, v5, s[0:3], 0 offen offset:12
	v_mov_b32_e32 v6, 0
	buffer_store_dword v6, off, s[0:3], 0 offset:240
	buffer_store_dword v6, off, s[0:3], 0 offset:244
	;; [unrolled: 1-line block ×4, first 2 shown]
	s_waitcnt vmcnt(4)
	ds_write_b128 v1, v[2:5]
.LBB31_177:
	s_or_b64 exec, exec, s[4:5]
	s_waitcnt lgkmcnt(0)
	; wave barrier
	s_waitcnt lgkmcnt(0)
	buffer_load_dword v2, off, s[0:3], 0 offset:256
	buffer_load_dword v3, off, s[0:3], 0 offset:260
	;; [unrolled: 1-line block ×68, first 2 shown]
	v_mov_b32_e32 v110, 0
	ds_read_b128 v[106:109], v110 offset:752
	ds_read_b128 v[112:115], v110 offset:768
	buffer_load_dword v74, off, s[0:3], 0 offset:240
	buffer_load_dword v75, off, s[0:3], 0 offset:244
	;; [unrolled: 1-line block ×4, first 2 shown]
	ds_read_b128 v[116:119], v110 offset:784
	ds_read_b128 v[120:123], v110 offset:800
	ds_read_b128 v[124:127], v110 offset:816
	ds_read_b128 v[128:131], v110 offset:832
	ds_read_b128 v[132:135], v110 offset:848
	ds_read_b128 v[136:139], v110 offset:864
	ds_read_b128 v[140:143], v110 offset:880
	ds_read_b128 v[144:147], v110 offset:896
	ds_read_b128 v[148:151], v110 offset:912
	ds_read_b128 v[152:155], v110 offset:928
	ds_read_b128 v[156:159], v110 offset:944
	ds_read_b128 v[160:163], v110 offset:960
	ds_read_b128 v[164:167], v110 offset:976
	ds_read_b128 v[168:171], v110 offset:992
	s_waitcnt vmcnt(62) lgkmcnt(14)
	v_mul_f64 v[78:79], v[106:107], v[8:9]
	v_mul_f64 v[8:9], v[108:109], v[8:9]
	v_fmac_f64_e32 v[78:79], v[108:109], v[2:3]
	v_mul_f64 v[80:81], v[112:113], v[10:11]
	v_fma_f64 v[2:3], v[106:107], v[2:3], -v[8:9]
	v_mul_f64 v[8:9], v[114:115], v[10:11]
	v_fmac_f64_e32 v[80:81], v[114:115], v[4:5]
	v_add_f64 v[2:3], v[2:3], 0
	v_fma_f64 v[4:5], v[112:113], v[4:5], -v[8:9]
	v_add_f64 v[78:79], v[78:79], 0
	v_add_f64 v[2:3], v[2:3], v[4:5]
	s_waitcnt vmcnt(60) lgkmcnt(13)
	v_mul_f64 v[4:5], v[118:119], v[12:13]
	v_add_f64 v[78:79], v[78:79], v[80:81]
	v_mul_f64 v[80:81], v[116:117], v[12:13]
	v_fma_f64 v[4:5], v[116:117], v[6:7], -v[4:5]
	v_fmac_f64_e32 v[80:81], v[118:119], v[6:7]
	v_add_f64 v[2:3], v[2:3], v[4:5]
	s_waitcnt vmcnt(56) lgkmcnt(12)
	v_mul_f64 v[4:5], v[122:123], v[18:19]
	v_add_f64 v[78:79], v[78:79], v[80:81]
	v_mul_f64 v[80:81], v[120:121], v[18:19]
	s_waitcnt vmcnt(54)
	v_fma_f64 v[4:5], v[120:121], v[20:21], -v[4:5]
	v_fmac_f64_e32 v[80:81], v[122:123], v[20:21]
	v_add_f64 v[2:3], v[2:3], v[4:5]
	s_waitcnt vmcnt(52) lgkmcnt(11)
	v_mul_f64 v[4:5], v[126:127], v[14:15]
	v_add_f64 v[78:79], v[78:79], v[80:81]
	v_mul_f64 v[80:81], v[124:125], v[14:15]
	v_fma_f64 v[4:5], v[124:125], v[16:17], -v[4:5]
	v_fmac_f64_e32 v[80:81], v[126:127], v[16:17]
	v_add_f64 v[2:3], v[2:3], v[4:5]
	s_waitcnt vmcnt(48) lgkmcnt(10)
	v_mul_f64 v[4:5], v[130:131], v[26:27]
	v_add_f64 v[78:79], v[78:79], v[80:81]
	v_mul_f64 v[80:81], v[128:129], v[26:27]
	s_waitcnt vmcnt(46)
	v_fma_f64 v[4:5], v[128:129], v[28:29], -v[4:5]
	v_fmac_f64_e32 v[80:81], v[130:131], v[28:29]
	;; [unrolled: 15-line block ×5, first 2 shown]
	v_add_f64 v[2:3], v[2:3], v[4:5]
	s_waitcnt vmcnt(20) lgkmcnt(3)
	v_mul_f64 v[4:5], v[158:159], v[50:51]
	v_add_f64 v[78:79], v[78:79], v[80:81]
	v_mul_f64 v[80:81], v[156:157], v[50:51]
	v_fma_f64 v[4:5], v[156:157], v[52:53], -v[4:5]
	v_fmac_f64_e32 v[80:81], v[158:159], v[52:53]
	v_add_f64 v[2:3], v[2:3], v[4:5]
	s_waitcnt vmcnt(16) lgkmcnt(2)
	v_mul_f64 v[4:5], v[162:163], v[62:63]
	v_add_f64 v[78:79], v[78:79], v[80:81]
	v_mul_f64 v[80:81], v[160:161], v[62:63]
	ds_read_b128 v[172:175], v110 offset:1008
	s_waitcnt vmcnt(14)
	v_fma_f64 v[4:5], v[160:161], v[64:65], -v[4:5]
	v_fmac_f64_e32 v[80:81], v[162:163], v[64:65]
	v_add_f64 v[2:3], v[2:3], v[4:5]
	s_waitcnt vmcnt(12) lgkmcnt(2)
	v_mul_f64 v[4:5], v[166:167], v[58:59]
	v_add_f64 v[78:79], v[78:79], v[80:81]
	v_mul_f64 v[80:81], v[164:165], v[58:59]
	v_fma_f64 v[4:5], v[164:165], v[60:61], -v[4:5]
	v_fmac_f64_e32 v[80:81], v[166:167], v[60:61]
	v_add_f64 v[2:3], v[2:3], v[4:5]
	s_waitcnt vmcnt(8) lgkmcnt(1)
	v_mul_f64 v[4:5], v[170:171], v[70:71]
	v_add_f64 v[78:79], v[78:79], v[80:81]
	v_mul_f64 v[80:81], v[168:169], v[70:71]
	s_waitcnt vmcnt(6)
	v_fma_f64 v[4:5], v[168:169], v[72:73], -v[4:5]
	v_fmac_f64_e32 v[80:81], v[170:171], v[72:73]
	v_add_f64 v[2:3], v[2:3], v[4:5]
	s_waitcnt vmcnt(5) lgkmcnt(0)
	v_mul_f64 v[4:5], v[174:175], v[66:67]
	v_add_f64 v[78:79], v[78:79], v[80:81]
	v_mul_f64 v[80:81], v[172:173], v[66:67]
	s_waitcnt vmcnt(4)
	v_fma_f64 v[4:5], v[172:173], v[68:69], -v[4:5]
	v_fmac_f64_e32 v[80:81], v[174:175], v[68:69]
	v_add_f64 v[2:3], v[2:3], v[4:5]
	v_add_f64 v[78:79], v[78:79], v[80:81]
	s_waitcnt vmcnt(2)
	v_add_f64 v[2:3], v[74:75], -v[2:3]
	v_cmp_lt_u32_e32 vcc, 13, v0
	s_waitcnt vmcnt(0)
	v_add_f64 v[4:5], v[76:77], -v[78:79]
	buffer_store_dword v3, off, s[0:3], 0 offset:244
	buffer_store_dword v2, off, s[0:3], 0 offset:240
	;; [unrolled: 1-line block ×4, first 2 shown]
	s_and_saveexec_b64 s[4:5], vcc
	s_cbranch_execz .LBB31_179
; %bb.178:
	v_accvgpr_read_b32 v5, a74
	buffer_load_dword v2, v5, s[0:3], 0 offen
	buffer_load_dword v3, v5, s[0:3], 0 offen offset:4
	buffer_load_dword v4, v5, s[0:3], 0 offen offset:8
	s_nop 0
	buffer_load_dword v5, v5, s[0:3], 0 offen offset:12
	s_nop 0
	buffer_store_dword v110, off, s[0:3], 0 offset:224
	buffer_store_dword v110, off, s[0:3], 0 offset:228
	;; [unrolled: 1-line block ×4, first 2 shown]
	s_waitcnt vmcnt(4)
	ds_write_b128 v1, v[2:5]
.LBB31_179:
	s_or_b64 exec, exec, s[4:5]
	s_waitcnt lgkmcnt(0)
	; wave barrier
	s_waitcnt lgkmcnt(0)
	buffer_load_dword v2, off, s[0:3], 0 offset:240
	buffer_load_dword v3, off, s[0:3], 0 offset:244
	buffer_load_dword v8, off, s[0:3], 0 offset:248
	buffer_load_dword v9, off, s[0:3], 0 offset:252
	buffer_load_dword v4, off, s[0:3], 0 offset:256
	buffer_load_dword v5, off, s[0:3], 0 offset:260
	buffer_load_dword v10, off, s[0:3], 0 offset:264
	buffer_load_dword v11, off, s[0:3], 0 offset:268
	buffer_load_dword v6, off, s[0:3], 0 offset:272
	buffer_load_dword v7, off, s[0:3], 0 offset:276
	buffer_load_dword v12, off, s[0:3], 0 offset:280
	buffer_load_dword v13, off, s[0:3], 0 offset:284
	buffer_load_dword v14, off, s[0:3], 0 offset:312
	buffer_load_dword v16, off, s[0:3], 0 offset:304
	buffer_load_dword v19, off, s[0:3], 0 offset:300
	buffer_load_dword v18, off, s[0:3], 0 offset:296
	buffer_load_dword v21, off, s[0:3], 0 offset:292
	buffer_load_dword v20, off, s[0:3], 0 offset:288
	buffer_load_dword v17, off, s[0:3], 0 offset:308
	buffer_load_dword v15, off, s[0:3], 0 offset:316
	buffer_load_dword v22, off, s[0:3], 0 offset:344
	buffer_load_dword v24, off, s[0:3], 0 offset:336
	buffer_load_dword v27, off, s[0:3], 0 offset:332
	buffer_load_dword v26, off, s[0:3], 0 offset:328
	buffer_load_dword v29, off, s[0:3], 0 offset:324
	buffer_load_dword v28, off, s[0:3], 0 offset:320
	buffer_load_dword v25, off, s[0:3], 0 offset:340
	buffer_load_dword v23, off, s[0:3], 0 offset:348
	buffer_load_dword v30, off, s[0:3], 0 offset:376
	buffer_load_dword v32, off, s[0:3], 0 offset:368
	buffer_load_dword v35, off, s[0:3], 0 offset:364
	buffer_load_dword v34, off, s[0:3], 0 offset:360
	buffer_load_dword v37, off, s[0:3], 0 offset:356
	buffer_load_dword v36, off, s[0:3], 0 offset:352
	buffer_load_dword v33, off, s[0:3], 0 offset:372
	buffer_load_dword v31, off, s[0:3], 0 offset:380
	buffer_load_dword v38, off, s[0:3], 0 offset:408
	buffer_load_dword v40, off, s[0:3], 0 offset:400
	buffer_load_dword v107, off, s[0:3], 0 offset:396
	buffer_load_dword v106, off, s[0:3], 0 offset:392
	buffer_load_dword v109, off, s[0:3], 0 offset:388
	buffer_load_dword v108, off, s[0:3], 0 offset:384
	buffer_load_dword v41, off, s[0:3], 0 offset:404
	buffer_load_dword v39, off, s[0:3], 0 offset:412
	buffer_load_dword v46, off, s[0:3], 0 offset:440
	buffer_load_dword v48, off, s[0:3], 0 offset:432
	buffer_load_dword v51, off, s[0:3], 0 offset:428
	buffer_load_dword v50, off, s[0:3], 0 offset:424
	buffer_load_dword v53, off, s[0:3], 0 offset:420
	buffer_load_dword v52, off, s[0:3], 0 offset:416
	buffer_load_dword v49, off, s[0:3], 0 offset:436
	buffer_load_dword v47, off, s[0:3], 0 offset:444
	buffer_load_dword v54, off, s[0:3], 0 offset:472
	buffer_load_dword v56, off, s[0:3], 0 offset:464
	buffer_load_dword v59, off, s[0:3], 0 offset:460
	buffer_load_dword v58, off, s[0:3], 0 offset:456
	buffer_load_dword v61, off, s[0:3], 0 offset:452
	buffer_load_dword v60, off, s[0:3], 0 offset:448
	buffer_load_dword v57, off, s[0:3], 0 offset:468
	buffer_load_dword v55, off, s[0:3], 0 offset:476
	buffer_load_dword v62, off, s[0:3], 0 offset:504
	buffer_load_dword v64, off, s[0:3], 0 offset:496
	buffer_load_dword v67, off, s[0:3], 0 offset:492
	buffer_load_dword v66, off, s[0:3], 0 offset:488
	buffer_load_dword v69, off, s[0:3], 0 offset:484
	buffer_load_dword v68, off, s[0:3], 0 offset:480
	buffer_load_dword v65, off, s[0:3], 0 offset:500
	buffer_load_dword v63, off, s[0:3], 0 offset:508
	buffer_load_dword v71, off, s[0:3], 0 offset:524
	buffer_load_dword v70, off, s[0:3], 0 offset:520
	buffer_load_dword v73, off, s[0:3], 0 offset:516
	buffer_load_dword v72, off, s[0:3], 0 offset:512
	ds_read_b128 v[112:115], v110 offset:736
	buffer_load_dword v74, off, s[0:3], 0 offset:224
	buffer_load_dword v75, off, s[0:3], 0 offset:228
	;; [unrolled: 1-line block ×4, first 2 shown]
	ds_read_b128 v[116:119], v110 offset:752
	ds_read_b128 v[120:123], v110 offset:768
	;; [unrolled: 1-line block ×11, first 2 shown]
	s_waitcnt vmcnt(62) lgkmcnt(11)
	v_mul_f64 v[78:79], v[112:113], v[8:9]
	v_mul_f64 v[8:9], v[114:115], v[8:9]
	v_fmac_f64_e32 v[78:79], v[114:115], v[2:3]
	v_fma_f64 v[2:3], v[112:113], v[2:3], -v[8:9]
	s_waitcnt lgkmcnt(10)
	v_mul_f64 v[80:81], v[116:117], v[10:11]
	v_mul_f64 v[8:9], v[118:119], v[10:11]
	v_fmac_f64_e32 v[80:81], v[118:119], v[4:5]
	v_add_f64 v[2:3], v[2:3], 0
	v_fma_f64 v[4:5], v[116:117], v[4:5], -v[8:9]
	v_add_f64 v[78:79], v[78:79], 0
	v_add_f64 v[2:3], v[2:3], v[4:5]
	s_waitcnt lgkmcnt(9)
	v_mul_f64 v[4:5], v[122:123], v[12:13]
	v_add_f64 v[78:79], v[78:79], v[80:81]
	v_mul_f64 v[80:81], v[120:121], v[12:13]
	v_fma_f64 v[4:5], v[120:121], v[6:7], -v[4:5]
	v_fmac_f64_e32 v[80:81], v[122:123], v[6:7]
	v_add_f64 v[2:3], v[2:3], v[4:5]
	s_waitcnt vmcnt(60) lgkmcnt(8)
	v_mul_f64 v[4:5], v[126:127], v[18:19]
	v_add_f64 v[78:79], v[78:79], v[80:81]
	v_mul_f64 v[80:81], v[124:125], v[18:19]
	s_waitcnt vmcnt(58)
	v_fma_f64 v[4:5], v[124:125], v[20:21], -v[4:5]
	v_fmac_f64_e32 v[80:81], v[126:127], v[20:21]
	v_add_f64 v[2:3], v[2:3], v[4:5]
	s_waitcnt vmcnt(56) lgkmcnt(7)
	v_mul_f64 v[4:5], v[130:131], v[14:15]
	v_add_f64 v[78:79], v[78:79], v[80:81]
	v_mul_f64 v[80:81], v[128:129], v[14:15]
	v_fma_f64 v[4:5], v[128:129], v[16:17], -v[4:5]
	v_fmac_f64_e32 v[80:81], v[130:131], v[16:17]
	v_add_f64 v[2:3], v[2:3], v[4:5]
	s_waitcnt vmcnt(52) lgkmcnt(6)
	v_mul_f64 v[4:5], v[134:135], v[26:27]
	v_add_f64 v[78:79], v[78:79], v[80:81]
	v_mul_f64 v[80:81], v[132:133], v[26:27]
	s_waitcnt vmcnt(50)
	v_fma_f64 v[4:5], v[132:133], v[28:29], -v[4:5]
	v_fmac_f64_e32 v[80:81], v[134:135], v[28:29]
	v_add_f64 v[2:3], v[2:3], v[4:5]
	s_waitcnt vmcnt(48) lgkmcnt(5)
	;; [unrolled: 15-line block ×3, first 2 shown]
	v_mul_f64 v[4:5], v[146:147], v[30:31]
	v_add_f64 v[78:79], v[78:79], v[80:81]
	v_mul_f64 v[80:81], v[144:145], v[30:31]
	v_fma_f64 v[4:5], v[144:145], v[32:33], -v[4:5]
	v_fmac_f64_e32 v[80:81], v[146:147], v[32:33]
	v_add_f64 v[2:3], v[2:3], v[4:5]
	s_waitcnt vmcnt(36) lgkmcnt(2)
	v_mul_f64 v[4:5], v[150:151], v[106:107]
	v_add_f64 v[78:79], v[78:79], v[80:81]
	v_mul_f64 v[80:81], v[148:149], v[106:107]
	ds_read_b128 v[160:163], v110 offset:928
	ds_read_b128 v[164:167], v110 offset:944
	s_waitcnt vmcnt(34)
	v_fma_f64 v[4:5], v[148:149], v[108:109], -v[4:5]
	v_fmac_f64_e32 v[80:81], v[150:151], v[108:109]
	v_add_f64 v[2:3], v[2:3], v[4:5]
	s_waitcnt vmcnt(32) lgkmcnt(3)
	v_mul_f64 v[4:5], v[154:155], v[38:39]
	v_add_f64 v[78:79], v[78:79], v[80:81]
	v_mul_f64 v[80:81], v[152:153], v[38:39]
	v_fma_f64 v[4:5], v[152:153], v[40:41], -v[4:5]
	v_fmac_f64_e32 v[80:81], v[154:155], v[40:41]
	v_add_f64 v[2:3], v[2:3], v[4:5]
	s_waitcnt vmcnt(28) lgkmcnt(2)
	v_mul_f64 v[4:5], v[158:159], v[50:51]
	v_add_f64 v[78:79], v[78:79], v[80:81]
	v_mul_f64 v[80:81], v[156:157], v[50:51]
	ds_read_b128 v[168:171], v110 offset:960
	ds_read_b128 v[172:175], v110 offset:976
	s_waitcnt vmcnt(26)
	v_fma_f64 v[4:5], v[156:157], v[52:53], -v[4:5]
	v_fmac_f64_e32 v[80:81], v[158:159], v[52:53]
	v_add_f64 v[2:3], v[2:3], v[4:5]
	s_waitcnt vmcnt(24) lgkmcnt(3)
	;; [unrolled: 17-line block ×3, first 2 shown]
	v_mul_f64 v[4:5], v[170:171], v[54:55]
	v_add_f64 v[78:79], v[78:79], v[80:81]
	v_mul_f64 v[80:81], v[168:169], v[54:55]
	v_fma_f64 v[4:5], v[168:169], v[56:57], -v[4:5]
	v_fmac_f64_e32 v[80:81], v[170:171], v[56:57]
	v_add_f64 v[2:3], v[2:3], v[4:5]
	s_waitcnt vmcnt(12) lgkmcnt(2)
	v_mul_f64 v[4:5], v[174:175], v[66:67]
	v_add_f64 v[78:79], v[78:79], v[80:81]
	v_mul_f64 v[80:81], v[172:173], v[66:67]
	s_waitcnt vmcnt(10)
	v_fma_f64 v[4:5], v[172:173], v[68:69], -v[4:5]
	v_fmac_f64_e32 v[80:81], v[174:175], v[68:69]
	v_add_f64 v[2:3], v[2:3], v[4:5]
	s_waitcnt vmcnt(8) lgkmcnt(1)
	v_mul_f64 v[4:5], v[178:179], v[62:63]
	v_add_f64 v[78:79], v[78:79], v[80:81]
	v_mul_f64 v[80:81], v[176:177], v[62:63]
	v_fma_f64 v[4:5], v[176:177], v[64:65], -v[4:5]
	v_fmac_f64_e32 v[80:81], v[178:179], v[64:65]
	v_add_f64 v[2:3], v[2:3], v[4:5]
	s_waitcnt vmcnt(6) lgkmcnt(0)
	v_mul_f64 v[4:5], v[182:183], v[70:71]
	v_add_f64 v[78:79], v[78:79], v[80:81]
	v_mul_f64 v[80:81], v[180:181], v[70:71]
	s_waitcnt vmcnt(4)
	v_fma_f64 v[4:5], v[180:181], v[72:73], -v[4:5]
	v_fmac_f64_e32 v[80:81], v[182:183], v[72:73]
	v_add_f64 v[2:3], v[2:3], v[4:5]
	v_add_f64 v[78:79], v[78:79], v[80:81]
	s_waitcnt vmcnt(2)
	v_add_f64 v[2:3], v[74:75], -v[2:3]
	v_cmp_lt_u32_e32 vcc, 12, v0
	s_waitcnt vmcnt(0)
	v_add_f64 v[4:5], v[76:77], -v[78:79]
	buffer_store_dword v3, off, s[0:3], 0 offset:228
	buffer_store_dword v2, off, s[0:3], 0 offset:224
	;; [unrolled: 1-line block ×4, first 2 shown]
	s_and_saveexec_b64 s[4:5], vcc
	s_cbranch_execz .LBB31_181
; %bb.180:
	v_accvgpr_read_b32 v5, a75
	buffer_load_dword v2, v5, s[0:3], 0 offen
	buffer_load_dword v3, v5, s[0:3], 0 offen offset:4
	buffer_load_dword v4, v5, s[0:3], 0 offen offset:8
	s_nop 0
	buffer_load_dword v5, v5, s[0:3], 0 offen offset:12
	v_mov_b32_e32 v6, 0
	buffer_store_dword v6, off, s[0:3], 0 offset:208
	buffer_store_dword v6, off, s[0:3], 0 offset:212
	;; [unrolled: 1-line block ×4, first 2 shown]
	s_waitcnt vmcnt(4)
	ds_write_b128 v1, v[2:5]
.LBB31_181:
	s_or_b64 exec, exec, s[4:5]
	s_waitcnt lgkmcnt(0)
	; wave barrier
	s_waitcnt lgkmcnt(0)
	buffer_load_dword v2, off, s[0:3], 0 offset:224
	buffer_load_dword v3, off, s[0:3], 0 offset:228
	;; [unrolled: 1-line block ×76, first 2 shown]
	v_mov_b32_e32 v118, 0
	ds_read_b128 v[120:123], v118 offset:720
	buffer_load_dword v70, off, s[0:3], 0 offset:208
	buffer_load_dword v71, off, s[0:3], 0 offset:212
	;; [unrolled: 1-line block ×4, first 2 shown]
	ds_read_b128 v[124:127], v118 offset:736
	ds_read_b128 v[128:131], v118 offset:752
	;; [unrolled: 1-line block ×7, first 2 shown]
	s_waitcnt vmcnt(62) lgkmcnt(7)
	v_mul_f64 v[74:75], v[120:121], v[8:9]
	v_mul_f64 v[8:9], v[122:123], v[8:9]
	v_fmac_f64_e32 v[74:75], v[122:123], v[2:3]
	s_waitcnt lgkmcnt(6)
	v_mul_f64 v[76:77], v[124:125], v[10:11]
	v_fma_f64 v[2:3], v[120:121], v[2:3], -v[8:9]
	v_mul_f64 v[8:9], v[126:127], v[10:11]
	v_fmac_f64_e32 v[76:77], v[126:127], v[4:5]
	v_add_f64 v[2:3], v[2:3], 0
	v_fma_f64 v[4:5], v[124:125], v[4:5], -v[8:9]
	v_add_f64 v[74:75], v[74:75], 0
	v_add_f64 v[2:3], v[2:3], v[4:5]
	s_waitcnt lgkmcnt(5)
	v_mul_f64 v[4:5], v[130:131], v[12:13]
	v_add_f64 v[74:75], v[74:75], v[76:77]
	v_mul_f64 v[76:77], v[128:129], v[12:13]
	v_fma_f64 v[4:5], v[128:129], v[6:7], -v[4:5]
	v_fmac_f64_e32 v[76:77], v[130:131], v[6:7]
	v_add_f64 v[2:3], v[2:3], v[4:5]
	s_waitcnt lgkmcnt(4)
	v_mul_f64 v[4:5], v[134:135], v[18:19]
	v_add_f64 v[74:75], v[74:75], v[76:77]
	v_mul_f64 v[76:77], v[132:133], v[18:19]
	v_fma_f64 v[4:5], v[132:133], v[20:21], -v[4:5]
	v_fmac_f64_e32 v[76:77], v[134:135], v[20:21]
	v_add_f64 v[2:3], v[2:3], v[4:5]
	s_waitcnt vmcnt(61) lgkmcnt(3)
	v_mul_f64 v[4:5], v[138:139], v[14:15]
	v_add_f64 v[74:75], v[74:75], v[76:77]
	v_mul_f64 v[76:77], v[136:137], v[14:15]
	s_waitcnt vmcnt(60)
	v_fma_f64 v[4:5], v[136:137], v[16:17], -v[4:5]
	v_fmac_f64_e32 v[76:77], v[138:139], v[16:17]
	v_add_f64 v[2:3], v[2:3], v[4:5]
	s_waitcnt vmcnt(56) lgkmcnt(2)
	v_mul_f64 v[4:5], v[142:143], v[26:27]
	v_add_f64 v[74:75], v[74:75], v[76:77]
	v_mul_f64 v[76:77], v[140:141], v[26:27]
	ds_read_b128 v[152:155], v118 offset:848
	ds_read_b128 v[156:159], v118 offset:864
	s_waitcnt vmcnt(54)
	v_fma_f64 v[4:5], v[140:141], v[28:29], -v[4:5]
	v_fmac_f64_e32 v[76:77], v[142:143], v[28:29]
	v_add_f64 v[2:3], v[2:3], v[4:5]
	s_waitcnt vmcnt(53) lgkmcnt(3)
	v_mul_f64 v[4:5], v[146:147], v[22:23]
	v_add_f64 v[74:75], v[74:75], v[76:77]
	v_mul_f64 v[76:77], v[144:145], v[22:23]
	s_waitcnt vmcnt(52)
	v_fma_f64 v[4:5], v[144:145], v[24:25], -v[4:5]
	v_fmac_f64_e32 v[76:77], v[146:147], v[24:25]
	v_add_f64 v[2:3], v[2:3], v[4:5]
	s_waitcnt vmcnt(48) lgkmcnt(2)
	v_mul_f64 v[4:5], v[150:151], v[34:35]
	v_add_f64 v[74:75], v[74:75], v[76:77]
	v_mul_f64 v[76:77], v[148:149], v[34:35]
	ds_read_b128 v[160:163], v118 offset:880
	ds_read_b128 v[164:167], v118 offset:896
	s_waitcnt vmcnt(46)
	;; [unrolled: 18-line block ×5, first 2 shown]
	v_fma_f64 v[4:5], v[172:173], v[52:53], -v[4:5]
	v_fmac_f64_e32 v[76:77], v[174:175], v[52:53]
	v_add_f64 v[2:3], v[2:3], v[4:5]
	s_waitcnt vmcnt(21) lgkmcnt(3)
	v_mul_f64 v[4:5], v[178:179], v[46:47]
	v_add_f64 v[74:75], v[74:75], v[76:77]
	v_mul_f64 v[76:77], v[176:177], v[46:47]
	s_waitcnt vmcnt(20)
	v_fma_f64 v[4:5], v[176:177], v[48:49], -v[4:5]
	v_fmac_f64_e32 v[76:77], v[178:179], v[48:49]
	v_add_f64 v[2:3], v[2:3], v[4:5]
	s_waitcnt vmcnt(16) lgkmcnt(2)
	v_mul_f64 v[4:5], v[182:183], v[58:59]
	v_add_f64 v[74:75], v[74:75], v[76:77]
	v_mul_f64 v[76:77], v[180:181], v[58:59]
	ds_read_b128 v[192:195], v118 offset:1008
	s_waitcnt vmcnt(14)
	v_fma_f64 v[4:5], v[180:181], v[60:61], -v[4:5]
	v_fmac_f64_e32 v[76:77], v[182:183], v[60:61]
	v_add_f64 v[2:3], v[2:3], v[4:5]
	s_waitcnt vmcnt(13) lgkmcnt(2)
	v_mul_f64 v[4:5], v[186:187], v[54:55]
	v_add_f64 v[74:75], v[74:75], v[76:77]
	v_mul_f64 v[76:77], v[184:185], v[54:55]
	s_waitcnt vmcnt(12)
	v_fma_f64 v[4:5], v[184:185], v[56:57], -v[4:5]
	v_fmac_f64_e32 v[76:77], v[186:187], v[56:57]
	v_add_f64 v[2:3], v[2:3], v[4:5]
	s_waitcnt vmcnt(8) lgkmcnt(1)
	v_mul_f64 v[4:5], v[190:191], v[66:67]
	v_add_f64 v[74:75], v[74:75], v[76:77]
	v_mul_f64 v[76:77], v[188:189], v[66:67]
	;; [unrolled: 8-line block ×3, first 2 shown]
	s_waitcnt vmcnt(4)
	v_fma_f64 v[4:5], v[192:193], v[64:65], -v[4:5]
	v_fmac_f64_e32 v[76:77], v[194:195], v[64:65]
	v_add_f64 v[2:3], v[2:3], v[4:5]
	v_add_f64 v[74:75], v[74:75], v[76:77]
	s_waitcnt vmcnt(2)
	v_add_f64 v[2:3], v[70:71], -v[2:3]
	v_cmp_lt_u32_e32 vcc, 11, v0
	s_waitcnt vmcnt(0)
	v_add_f64 v[4:5], v[72:73], -v[74:75]
	buffer_store_dword v3, off, s[0:3], 0 offset:212
	buffer_store_dword v2, off, s[0:3], 0 offset:208
	;; [unrolled: 1-line block ×4, first 2 shown]
	s_and_saveexec_b64 s[4:5], vcc
	s_cbranch_execz .LBB31_183
; %bb.182:
	v_accvgpr_read_b32 v5, a76
	buffer_load_dword v2, v5, s[0:3], 0 offen
	buffer_load_dword v3, v5, s[0:3], 0 offen offset:4
	buffer_load_dword v4, v5, s[0:3], 0 offen offset:8
	s_nop 0
	buffer_load_dword v5, v5, s[0:3], 0 offen offset:12
	s_nop 0
	buffer_store_dword v118, off, s[0:3], 0 offset:192
	buffer_store_dword v118, off, s[0:3], 0 offset:196
	;; [unrolled: 1-line block ×4, first 2 shown]
	s_waitcnt vmcnt(4)
	ds_write_b128 v1, v[2:5]
.LBB31_183:
	s_or_b64 exec, exec, s[4:5]
	s_waitcnt lgkmcnt(0)
	; wave barrier
	s_waitcnt lgkmcnt(0)
	buffer_load_dword v2, off, s[0:3], 0 offset:208
	buffer_load_dword v3, off, s[0:3], 0 offset:212
	;; [unrolled: 1-line block ×76, first 2 shown]
	ds_read_b128 v[120:123], v118 offset:704
	buffer_load_dword v71, off, s[0:3], 0 offset:524
	buffer_load_dword v70, off, s[0:3], 0 offset:520
	;; [unrolled: 1-line block ×8, first 2 shown]
	ds_read_b128 v[124:127], v118 offset:720
	ds_read_b128 v[128:131], v118 offset:736
	;; [unrolled: 1-line block ×7, first 2 shown]
	s_waitcnt vmcnt(62) lgkmcnt(7)
	v_mul_f64 v[78:79], v[120:121], v[8:9]
	v_mul_f64 v[8:9], v[122:123], v[8:9]
	v_fmac_f64_e32 v[78:79], v[122:123], v[2:3]
	v_fma_f64 v[2:3], v[120:121], v[2:3], -v[8:9]
	s_waitcnt lgkmcnt(6)
	v_mul_f64 v[80:81], v[124:125], v[10:11]
	v_mul_f64 v[8:9], v[126:127], v[10:11]
	v_fmac_f64_e32 v[80:81], v[126:127], v[4:5]
	v_add_f64 v[2:3], v[2:3], 0
	v_fma_f64 v[4:5], v[124:125], v[4:5], -v[8:9]
	v_add_f64 v[78:79], v[78:79], 0
	v_add_f64 v[2:3], v[2:3], v[4:5]
	s_waitcnt lgkmcnt(5)
	v_mul_f64 v[4:5], v[130:131], v[12:13]
	v_add_f64 v[78:79], v[78:79], v[80:81]
	v_mul_f64 v[80:81], v[128:129], v[12:13]
	v_fma_f64 v[4:5], v[128:129], v[6:7], -v[4:5]
	v_fmac_f64_e32 v[80:81], v[130:131], v[6:7]
	v_add_f64 v[2:3], v[2:3], v[4:5]
	s_waitcnt lgkmcnt(4)
	v_mul_f64 v[4:5], v[134:135], v[18:19]
	v_add_f64 v[78:79], v[78:79], v[80:81]
	v_mul_f64 v[80:81], v[132:133], v[18:19]
	v_fma_f64 v[4:5], v[132:133], v[20:21], -v[4:5]
	v_fmac_f64_e32 v[80:81], v[134:135], v[20:21]
	;; [unrolled: 7-line block ×3, first 2 shown]
	v_add_f64 v[2:3], v[2:3], v[4:5]
	s_waitcnt vmcnt(58) lgkmcnt(2)
	v_mul_f64 v[4:5], v[142:143], v[26:27]
	v_add_f64 v[78:79], v[78:79], v[80:81]
	v_mul_f64 v[80:81], v[140:141], v[26:27]
	ds_read_b128 v[152:155], v118 offset:832
	ds_read_b128 v[156:159], v118 offset:848
	s_waitcnt vmcnt(56)
	v_fma_f64 v[4:5], v[140:141], v[28:29], -v[4:5]
	v_fmac_f64_e32 v[80:81], v[142:143], v[28:29]
	v_add_f64 v[2:3], v[2:3], v[4:5]
	s_waitcnt lgkmcnt(3)
	v_mul_f64 v[4:5], v[146:147], v[22:23]
	v_add_f64 v[78:79], v[78:79], v[80:81]
	v_mul_f64 v[80:81], v[144:145], v[22:23]
	v_fma_f64 v[4:5], v[144:145], v[24:25], -v[4:5]
	v_fmac_f64_e32 v[80:81], v[146:147], v[24:25]
	v_add_f64 v[2:3], v[2:3], v[4:5]
	s_waitcnt vmcnt(50) lgkmcnt(2)
	v_mul_f64 v[4:5], v[150:151], v[34:35]
	v_add_f64 v[78:79], v[78:79], v[80:81]
	v_mul_f64 v[80:81], v[148:149], v[34:35]
	ds_read_b128 v[160:163], v118 offset:864
	ds_read_b128 v[164:167], v118 offset:880
	s_waitcnt vmcnt(48)
	v_fma_f64 v[4:5], v[148:149], v[36:37], -v[4:5]
	v_fmac_f64_e32 v[80:81], v[150:151], v[36:37]
	v_add_f64 v[2:3], v[2:3], v[4:5]
	s_waitcnt lgkmcnt(3)
	v_mul_f64 v[4:5], v[154:155], v[30:31]
	v_add_f64 v[78:79], v[78:79], v[80:81]
	v_mul_f64 v[80:81], v[152:153], v[30:31]
	v_fma_f64 v[4:5], v[152:153], v[32:33], -v[4:5]
	v_fmac_f64_e32 v[80:81], v[154:155], v[32:33]
	;; [unrolled: 17-line block ×6, first 2 shown]
	v_add_f64 v[2:3], v[2:3], v[4:5]
	s_waitcnt vmcnt(10) lgkmcnt(2)
	v_mul_f64 v[4:5], v[190:191], v[66:67]
	v_add_f64 v[78:79], v[78:79], v[80:81]
	v_mul_f64 v[80:81], v[188:189], v[66:67]
	s_waitcnt vmcnt(8)
	v_fma_f64 v[4:5], v[188:189], v[68:69], -v[4:5]
	v_fmac_f64_e32 v[80:81], v[190:191], v[68:69]
	v_add_f64 v[2:3], v[2:3], v[4:5]
	s_waitcnt lgkmcnt(1)
	v_mul_f64 v[4:5], v[194:195], v[62:63]
	v_add_f64 v[78:79], v[78:79], v[80:81]
	v_mul_f64 v[80:81], v[192:193], v[62:63]
	v_fma_f64 v[4:5], v[192:193], v[64:65], -v[4:5]
	v_fmac_f64_e32 v[80:81], v[194:195], v[64:65]
	v_add_f64 v[2:3], v[2:3], v[4:5]
	s_waitcnt vmcnt(6) lgkmcnt(0)
	v_mul_f64 v[4:5], v[198:199], v[70:71]
	v_add_f64 v[78:79], v[78:79], v[80:81]
	v_mul_f64 v[80:81], v[196:197], v[70:71]
	s_waitcnt vmcnt(4)
	v_fma_f64 v[4:5], v[196:197], v[72:73], -v[4:5]
	v_fmac_f64_e32 v[80:81], v[198:199], v[72:73]
	v_add_f64 v[2:3], v[2:3], v[4:5]
	v_add_f64 v[78:79], v[78:79], v[80:81]
	s_waitcnt vmcnt(2)
	v_add_f64 v[2:3], v[74:75], -v[2:3]
	v_cmp_lt_u32_e32 vcc, 10, v0
	s_waitcnt vmcnt(0)
	v_add_f64 v[4:5], v[76:77], -v[78:79]
	buffer_store_dword v3, off, s[0:3], 0 offset:196
	buffer_store_dword v2, off, s[0:3], 0 offset:192
	;; [unrolled: 1-line block ×4, first 2 shown]
	s_and_saveexec_b64 s[4:5], vcc
	s_cbranch_execz .LBB31_185
; %bb.184:
	v_accvgpr_read_b32 v5, a77
	buffer_load_dword v2, v5, s[0:3], 0 offen
	buffer_load_dword v3, v5, s[0:3], 0 offen offset:4
	buffer_load_dword v4, v5, s[0:3], 0 offen offset:8
	s_nop 0
	buffer_load_dword v5, v5, s[0:3], 0 offen offset:12
	v_mov_b32_e32 v6, 0
	buffer_store_dword v6, off, s[0:3], 0 offset:176
	buffer_store_dword v6, off, s[0:3], 0 offset:180
	;; [unrolled: 1-line block ×4, first 2 shown]
	s_waitcnt vmcnt(4)
	ds_write_b128 v1, v[2:5]
.LBB31_185:
	s_or_b64 exec, exec, s[4:5]
	s_waitcnt lgkmcnt(0)
	; wave barrier
	s_waitcnt lgkmcnt(0)
	buffer_load_dword v4, off, s[0:3], 0 offset:176
	buffer_load_dword v5, off, s[0:3], 0 offset:180
	;; [unrolled: 1-line block ×84, first 2 shown]
	v_mov_b32_e32 v150, 0
	ds_read_b128 v[130:133], v150 offset:688
	buffer_load_dword v67, off, s[0:3], 0 offset:524
	buffer_load_dword v66, off, s[0:3], 0 offset:520
	;; [unrolled: 1-line block ×4, first 2 shown]
	ds_read_b128 v[134:137], v150 offset:704
	ds_read_b128 v[138:141], v150 offset:720
	;; [unrolled: 1-line block ×5, first 2 shown]
	s_waitcnt vmcnt(62) lgkmcnt(5)
	v_mul_f64 v[70:71], v[130:131], v[12:13]
	v_mul_f64 v[12:13], v[132:133], v[12:13]
	v_fmac_f64_e32 v[70:71], v[132:133], v[6:7]
	s_waitcnt lgkmcnt(4)
	v_mul_f64 v[72:73], v[134:135], v[14:15]
	v_fma_f64 v[6:7], v[130:131], v[6:7], -v[12:13]
	v_mul_f64 v[12:13], v[136:137], v[14:15]
	v_fmac_f64_e32 v[72:73], v[136:137], v[8:9]
	v_add_f64 v[6:7], v[6:7], 0
	v_fma_f64 v[8:9], v[134:135], v[8:9], -v[12:13]
	v_add_f64 v[70:71], v[70:71], 0
	v_add_f64 v[6:7], v[6:7], v[8:9]
	s_waitcnt lgkmcnt(3)
	v_mul_f64 v[8:9], v[140:141], v[16:17]
	v_add_f64 v[70:71], v[70:71], v[72:73]
	v_mul_f64 v[72:73], v[138:139], v[16:17]
	v_fma_f64 v[8:9], v[138:139], v[10:11], -v[8:9]
	v_fmac_f64_e32 v[72:73], v[140:141], v[10:11]
	v_add_f64 v[6:7], v[6:7], v[8:9]
	s_waitcnt lgkmcnt(2)
	v_mul_f64 v[8:9], v[144:145], v[22:23]
	v_add_f64 v[70:71], v[70:71], v[72:73]
	v_mul_f64 v[72:73], v[142:143], v[22:23]
	ds_read_b128 v[156:159], v150 offset:784
	ds_read_b128 v[160:163], v150 offset:800
	v_fma_f64 v[8:9], v[142:143], v[24:25], -v[8:9]
	v_fmac_f64_e32 v[72:73], v[144:145], v[24:25]
	v_add_f64 v[6:7], v[6:7], v[8:9]
	s_waitcnt lgkmcnt(3)
	v_mul_f64 v[8:9], v[148:149], v[18:19]
	v_add_f64 v[70:71], v[70:71], v[72:73]
	v_mul_f64 v[72:73], v[146:147], v[18:19]
	v_fma_f64 v[8:9], v[146:147], v[20:21], -v[8:9]
	v_fmac_f64_e32 v[72:73], v[148:149], v[20:21]
	v_add_f64 v[6:7], v[6:7], v[8:9]
	s_waitcnt vmcnt(58) lgkmcnt(2)
	v_mul_f64 v[8:9], v[154:155], v[30:31]
	v_add_f64 v[70:71], v[70:71], v[72:73]
	v_mul_f64 v[72:73], v[152:153], v[30:31]
	ds_read_b128 v[164:167], v150 offset:816
	ds_read_b128 v[168:171], v150 offset:832
	s_waitcnt vmcnt(56)
	v_fma_f64 v[8:9], v[152:153], v[32:33], -v[8:9]
	v_fmac_f64_e32 v[72:73], v[154:155], v[32:33]
	v_add_f64 v[6:7], v[6:7], v[8:9]
	s_waitcnt lgkmcnt(3)
	v_mul_f64 v[8:9], v[158:159], v[26:27]
	v_add_f64 v[70:71], v[70:71], v[72:73]
	v_mul_f64 v[72:73], v[156:157], v[26:27]
	v_fma_f64 v[8:9], v[156:157], v[28:29], -v[8:9]
	v_fmac_f64_e32 v[72:73], v[158:159], v[28:29]
	v_add_f64 v[6:7], v[6:7], v[8:9]
	s_waitcnt vmcnt(50) lgkmcnt(2)
	v_mul_f64 v[8:9], v[162:163], v[38:39]
	v_add_f64 v[70:71], v[70:71], v[72:73]
	v_mul_f64 v[72:73], v[160:161], v[38:39]
	ds_read_b128 v[172:175], v150 offset:848
	ds_read_b128 v[176:179], v150 offset:864
	s_waitcnt vmcnt(48)
	v_fma_f64 v[8:9], v[160:161], v[40:41], -v[8:9]
	v_fmac_f64_e32 v[72:73], v[162:163], v[40:41]
	v_add_f64 v[6:7], v[6:7], v[8:9]
	s_waitcnt lgkmcnt(3)
	v_mul_f64 v[8:9], v[166:167], v[34:35]
	v_add_f64 v[70:71], v[70:71], v[72:73]
	v_mul_f64 v[72:73], v[164:165], v[34:35]
	v_fma_f64 v[8:9], v[164:165], v[36:37], -v[8:9]
	v_fmac_f64_e32 v[72:73], v[166:167], v[36:37]
	v_add_f64 v[6:7], v[6:7], v[8:9]
	s_waitcnt vmcnt(42) lgkmcnt(2)
	v_mul_f64 v[8:9], v[170:171], v[110:111]
	v_add_f64 v[70:71], v[70:71], v[72:73]
	v_mul_f64 v[72:73], v[168:169], v[110:111]
	ds_read_b128 v[180:183], v150 offset:880
	ds_read_b128 v[184:187], v150 offset:896
	s_waitcnt vmcnt(40)
	v_fma_f64 v[8:9], v[168:169], v[112:113], -v[8:9]
	v_fmac_f64_e32 v[72:73], v[170:171], v[112:113]
	v_add_f64 v[6:7], v[6:7], v[8:9]
	s_waitcnt lgkmcnt(3)
	v_mul_f64 v[8:9], v[174:175], v[106:107]
	v_add_f64 v[70:71], v[70:71], v[72:73]
	v_mul_f64 v[72:73], v[172:173], v[106:107]
	v_fma_f64 v[8:9], v[172:173], v[108:109], -v[8:9]
	v_fmac_f64_e32 v[72:73], v[174:175], v[108:109]
	v_add_f64 v[6:7], v[6:7], v[8:9]
	s_waitcnt vmcnt(34) lgkmcnt(2)
	v_mul_f64 v[8:9], v[178:179], v[118:119]
	v_add_f64 v[70:71], v[70:71], v[72:73]
	v_mul_f64 v[72:73], v[176:177], v[118:119]
	ds_read_b128 v[188:191], v150 offset:912
	ds_read_b128 v[192:195], v150 offset:928
	s_waitcnt vmcnt(32)
	v_fma_f64 v[8:9], v[176:177], v[120:121], -v[8:9]
	v_fmac_f64_e32 v[72:73], v[178:179], v[120:121]
	v_add_f64 v[6:7], v[6:7], v[8:9]
	s_waitcnt lgkmcnt(3)
	v_mul_f64 v[8:9], v[182:183], v[114:115]
	v_add_f64 v[70:71], v[70:71], v[72:73]
	v_mul_f64 v[72:73], v[180:181], v[114:115]
	v_fma_f64 v[8:9], v[180:181], v[116:117], -v[8:9]
	v_fmac_f64_e32 v[72:73], v[182:183], v[116:117]
	v_add_f64 v[6:7], v[6:7], v[8:9]
	s_waitcnt vmcnt(26) lgkmcnt(2)
	v_mul_f64 v[8:9], v[186:187], v[126:127]
	v_add_f64 v[70:71], v[70:71], v[72:73]
	v_mul_f64 v[72:73], v[184:185], v[126:127]
	ds_read_b128 v[196:199], v150 offset:944
	ds_read_b128 v[200:203], v150 offset:960
	s_waitcnt vmcnt(24)
	v_fma_f64 v[8:9], v[184:185], v[128:129], -v[8:9]
	v_fmac_f64_e32 v[72:73], v[186:187], v[128:129]
	v_add_f64 v[6:7], v[6:7], v[8:9]
	s_waitcnt lgkmcnt(3)
	v_mul_f64 v[8:9], v[190:191], v[122:123]
	v_add_f64 v[70:71], v[70:71], v[72:73]
	v_mul_f64 v[72:73], v[188:189], v[122:123]
	v_fma_f64 v[8:9], v[188:189], v[124:125], -v[8:9]
	v_fmac_f64_e32 v[72:73], v[190:191], v[124:125]
	v_add_f64 v[6:7], v[6:7], v[8:9]
	s_waitcnt vmcnt(18) lgkmcnt(2)
	v_mul_f64 v[8:9], v[194:195], v[50:51]
	v_add_f64 v[70:71], v[70:71], v[72:73]
	v_mul_f64 v[72:73], v[192:193], v[50:51]
	ds_read_b128 v[204:207], v150 offset:976
	ds_read_b128 v[208:211], v150 offset:992
	s_waitcnt vmcnt(16)
	v_fma_f64 v[8:9], v[192:193], v[52:53], -v[8:9]
	v_fmac_f64_e32 v[72:73], v[194:195], v[52:53]
	v_add_f64 v[6:7], v[6:7], v[8:9]
	s_waitcnt lgkmcnt(3)
	v_mul_f64 v[8:9], v[198:199], v[46:47]
	v_add_f64 v[70:71], v[70:71], v[72:73]
	v_mul_f64 v[72:73], v[196:197], v[46:47]
	v_fma_f64 v[8:9], v[196:197], v[48:49], -v[8:9]
	v_fmac_f64_e32 v[72:73], v[198:199], v[48:49]
	v_add_f64 v[6:7], v[6:7], v[8:9]
	s_waitcnt vmcnt(10) lgkmcnt(2)
	v_mul_f64 v[8:9], v[202:203], v[58:59]
	v_add_f64 v[70:71], v[70:71], v[72:73]
	v_mul_f64 v[72:73], v[200:201], v[58:59]
	ds_read_b128 v[212:215], v150 offset:1008
	s_waitcnt vmcnt(8)
	v_fma_f64 v[8:9], v[200:201], v[60:61], -v[8:9]
	v_fmac_f64_e32 v[72:73], v[202:203], v[60:61]
	v_add_f64 v[6:7], v[6:7], v[8:9]
	s_waitcnt lgkmcnt(2)
	v_mul_f64 v[8:9], v[206:207], v[54:55]
	v_add_f64 v[70:71], v[70:71], v[72:73]
	v_mul_f64 v[72:73], v[204:205], v[54:55]
	v_fma_f64 v[8:9], v[204:205], v[56:57], -v[8:9]
	v_fmac_f64_e32 v[72:73], v[206:207], v[56:57]
	v_add_f64 v[6:7], v[6:7], v[8:9]
	s_waitcnt vmcnt(6) lgkmcnt(1)
	v_mul_f64 v[8:9], v[210:211], v[62:63]
	v_add_f64 v[70:71], v[70:71], v[72:73]
	v_mul_f64 v[72:73], v[208:209], v[62:63]
	s_waitcnt vmcnt(4)
	v_fma_f64 v[8:9], v[208:209], v[64:65], -v[8:9]
	v_fmac_f64_e32 v[72:73], v[210:211], v[64:65]
	v_add_f64 v[6:7], v[6:7], v[8:9]
	s_waitcnt vmcnt(2) lgkmcnt(0)
	v_mul_f64 v[8:9], v[214:215], v[66:67]
	v_add_f64 v[70:71], v[70:71], v[72:73]
	v_mul_f64 v[72:73], v[212:213], v[66:67]
	s_waitcnt vmcnt(0)
	v_fma_f64 v[8:9], v[212:213], v[68:69], -v[8:9]
	v_fmac_f64_e32 v[72:73], v[214:215], v[68:69]
	v_add_f64 v[6:7], v[6:7], v[8:9]
	v_add_f64 v[70:71], v[70:71], v[72:73]
	v_add_f64 v[4:5], v[4:5], -v[6:7]
	v_cmp_lt_u32_e32 vcc, 9, v0
	v_add_f64 v[2:3], v[2:3], -v[70:71]
	buffer_store_dword v5, off, s[0:3], 0 offset:180
	buffer_store_dword v4, off, s[0:3], 0 offset:176
	buffer_store_dword v3, off, s[0:3], 0 offset:188
	buffer_store_dword v2, off, s[0:3], 0 offset:184
	s_and_saveexec_b64 s[4:5], vcc
	s_cbranch_execz .LBB31_187
; %bb.186:
	v_accvgpr_read_b32 v5, a78
	buffer_load_dword v2, v5, s[0:3], 0 offen
	buffer_load_dword v3, v5, s[0:3], 0 offen offset:4
	buffer_load_dword v4, v5, s[0:3], 0 offen offset:8
	s_nop 0
	buffer_load_dword v5, v5, s[0:3], 0 offen offset:12
	s_nop 0
	buffer_store_dword v150, off, s[0:3], 0 offset:160
	buffer_store_dword v150, off, s[0:3], 0 offset:164
	buffer_store_dword v150, off, s[0:3], 0 offset:168
	buffer_store_dword v150, off, s[0:3], 0 offset:172
	s_waitcnt vmcnt(4)
	ds_write_b128 v1, v[2:5]
.LBB31_187:
	s_or_b64 exec, exec, s[4:5]
	s_waitcnt lgkmcnt(0)
	; wave barrier
	s_waitcnt lgkmcnt(0)
	ds_read_b128 v[14:17], v150 offset:672
	ds_read_b128 v[10:13], v150 offset:688
	;; [unrolled: 1-line block ×4, first 2 shown]
	buffer_load_dword v20, off, s[0:3], 0 offset:160
	buffer_load_dword v21, off, s[0:3], 0 offset:164
	;; [unrolled: 1-line block ×92, first 2 shown]
	s_waitcnt vmcnt(62) lgkmcnt(3)
	v_mul_f64 v[66:67], v[14:15], v[28:29]
	v_fmac_f64_e32 v[66:67], v[16:17], v[22:23]
	s_waitcnt lgkmcnt(2)
	v_mul_f64 v[72:73], v[10:11], v[30:31]
	v_add_f64 v[66:67], v[66:67], 0
	v_fmac_f64_e32 v[72:73], v[12:13], v[24:25]
	ds_read_b128 v[152:155], v150 offset:736
	ds_read_b128 v[156:159], v150 offset:752
	v_add_f64 v[66:67], v[66:67], v[72:73]
	s_waitcnt lgkmcnt(3)
	v_mul_f64 v[72:73], v[6:7], v[32:33]
	v_mul_f64 v[16:17], v[16:17], v[28:29]
	v_fmac_f64_e32 v[72:73], v[8:9], v[26:27]
	v_fma_f64 v[14:15], v[14:15], v[22:23], -v[16:17]
	v_mul_f64 v[12:13], v[12:13], v[30:31]
	v_add_f64 v[66:67], v[66:67], v[72:73]
	s_waitcnt lgkmcnt(2)
	v_mul_f64 v[72:73], v[2:3], v[38:39]
	v_add_f64 v[14:15], v[14:15], 0
	v_fma_f64 v[10:11], v[10:11], v[24:25], -v[12:13]
	v_mul_f64 v[8:9], v[8:9], v[32:33]
	v_fmac_f64_e32 v[72:73], v[4:5], v[40:41]
	ds_read_b128 v[160:163], v150 offset:768
	ds_read_b128 v[164:167], v150 offset:784
	v_add_f64 v[10:11], v[14:15], v[10:11]
	v_fma_f64 v[6:7], v[6:7], v[26:27], -v[8:9]
	v_mul_f64 v[4:5], v[4:5], v[38:39]
	v_add_f64 v[6:7], v[10:11], v[6:7]
	v_fma_f64 v[2:3], v[2:3], v[40:41], -v[4:5]
	s_waitcnt lgkmcnt(3)
	v_mul_f64 v[4:5], v[154:155], v[34:35]
	v_add_f64 v[66:67], v[66:67], v[72:73]
	v_mul_f64 v[72:73], v[152:153], v[34:35]
	v_add_f64 v[2:3], v[6:7], v[2:3]
	v_fma_f64 v[4:5], v[152:153], v[36:37], -v[4:5]
	v_fmac_f64_e32 v[72:73], v[154:155], v[36:37]
	v_add_f64 v[2:3], v[2:3], v[4:5]
	s_waitcnt lgkmcnt(2)
	v_mul_f64 v[4:5], v[158:159], v[110:111]
	v_add_f64 v[66:67], v[66:67], v[72:73]
	v_mul_f64 v[72:73], v[156:157], v[110:111]
	ds_read_b128 v[168:171], v150 offset:800
	ds_read_b128 v[172:175], v150 offset:816
	s_waitcnt vmcnt(60)
	v_fma_f64 v[4:5], v[156:157], v[112:113], -v[4:5]
	v_fmac_f64_e32 v[72:73], v[158:159], v[112:113]
	v_add_f64 v[2:3], v[2:3], v[4:5]
	s_waitcnt lgkmcnt(3)
	v_mul_f64 v[4:5], v[162:163], v[106:107]
	v_add_f64 v[66:67], v[66:67], v[72:73]
	v_mul_f64 v[72:73], v[160:161], v[106:107]
	v_fma_f64 v[4:5], v[160:161], v[108:109], -v[4:5]
	v_fmac_f64_e32 v[72:73], v[162:163], v[108:109]
	v_add_f64 v[2:3], v[2:3], v[4:5]
	s_waitcnt vmcnt(54) lgkmcnt(2)
	v_mul_f64 v[4:5], v[166:167], v[118:119]
	v_add_f64 v[66:67], v[66:67], v[72:73]
	v_mul_f64 v[72:73], v[164:165], v[118:119]
	ds_read_b128 v[176:179], v150 offset:832
	ds_read_b128 v[180:183], v150 offset:848
	s_waitcnt vmcnt(52)
	v_fma_f64 v[4:5], v[164:165], v[120:121], -v[4:5]
	v_fmac_f64_e32 v[72:73], v[166:167], v[120:121]
	v_add_f64 v[2:3], v[2:3], v[4:5]
	s_waitcnt lgkmcnt(3)
	v_mul_f64 v[4:5], v[170:171], v[114:115]
	v_add_f64 v[66:67], v[66:67], v[72:73]
	v_mul_f64 v[72:73], v[168:169], v[114:115]
	v_fma_f64 v[4:5], v[168:169], v[116:117], -v[4:5]
	v_fmac_f64_e32 v[72:73], v[170:171], v[116:117]
	v_add_f64 v[2:3], v[2:3], v[4:5]
	s_waitcnt vmcnt(46) lgkmcnt(2)
	;; [unrolled: 17-line block ×7, first 2 shown]
	v_mul_f64 v[4:5], v[214:215], v[62:63]
	v_add_f64 v[66:67], v[66:67], v[72:73]
	v_mul_f64 v[72:73], v[212:213], v[62:63]
	s_waitcnt vmcnt(4)
	v_fma_f64 v[4:5], v[212:213], v[64:65], -v[4:5]
	v_fmac_f64_e32 v[72:73], v[214:215], v[64:65]
	v_add_f64 v[2:3], v[2:3], v[4:5]
	s_waitcnt lgkmcnt(1)
	v_mul_f64 v[4:5], v[218:219], v[58:59]
	v_add_f64 v[66:67], v[66:67], v[72:73]
	v_mul_f64 v[72:73], v[216:217], v[58:59]
	v_fma_f64 v[4:5], v[216:217], v[60:61], -v[4:5]
	v_fmac_f64_e32 v[72:73], v[218:219], v[60:61]
	v_add_f64 v[2:3], v[2:3], v[4:5]
	s_waitcnt vmcnt(2) lgkmcnt(0)
	v_mul_f64 v[4:5], v[254:255], v[68:69]
	v_add_f64 v[66:67], v[66:67], v[72:73]
	v_mul_f64 v[72:73], v[252:253], v[68:69]
	s_waitcnt vmcnt(0)
	v_fma_f64 v[4:5], v[252:253], v[70:71], -v[4:5]
	v_fmac_f64_e32 v[72:73], v[254:255], v[70:71]
	v_add_f64 v[2:3], v[2:3], v[4:5]
	v_add_f64 v[66:67], v[66:67], v[72:73]
	v_add_f64 v[2:3], v[20:21], -v[2:3]
	v_cmp_lt_u32_e32 vcc, 8, v0
	v_add_f64 v[4:5], v[18:19], -v[66:67]
	buffer_store_dword v3, off, s[0:3], 0 offset:164
	buffer_store_dword v2, off, s[0:3], 0 offset:160
	;; [unrolled: 1-line block ×4, first 2 shown]
	s_and_saveexec_b64 s[4:5], vcc
	s_cbranch_execz .LBB31_189
; %bb.188:
	v_accvgpr_read_b32 v5, a79
	buffer_load_dword v2, v5, s[0:3], 0 offen
	buffer_load_dword v3, v5, s[0:3], 0 offen offset:4
	buffer_load_dword v4, v5, s[0:3], 0 offen offset:8
	s_nop 0
	buffer_load_dword v5, v5, s[0:3], 0 offen offset:12
	v_mov_b32_e32 v6, 0
	buffer_store_dword v6, off, s[0:3], 0 offset:144
	buffer_store_dword v6, off, s[0:3], 0 offset:148
	;; [unrolled: 1-line block ×4, first 2 shown]
	s_waitcnt vmcnt(4)
	ds_write_b128 v1, v[2:5]
.LBB31_189:
	s_or_b64 exec, exec, s[4:5]
	s_waitcnt lgkmcnt(0)
	; wave barrier
	s_waitcnt lgkmcnt(0)
	buffer_load_dword v9, off, s[0:3], 0 offset:172
	buffer_load_dword v6, off, s[0:3], 0 offset:184
	buffer_load_dword v7, off, s[0:3], 0 offset:188
	buffer_load_dword v8, off, s[0:3], 0 offset:168
	buffer_load_dword v10, off, s[0:3], 0 offset:160
	buffer_load_dword v11, off, s[0:3], 0 offset:164
	buffer_load_dword v4, off, s[0:3], 0 offset:144
	buffer_load_dword v5, off, s[0:3], 0 offset:148
	buffer_load_dword v2, off, s[0:3], 0 offset:152
	buffer_load_dword v3, off, s[0:3], 0 offset:156
	buffer_load_dword v14, off, s[0:3], 0 offset:176
	buffer_load_dword v12, off, s[0:3], 0 offset:192
	buffer_load_dword v13, off, s[0:3], 0 offset:196
	buffer_load_dword v16, off, s[0:3], 0 offset:200
	buffer_load_dword v17, off, s[0:3], 0 offset:204
	buffer_load_dword v15, off, s[0:3], 0 offset:180
	buffer_load_dword v19, off, s[0:3], 0 offset:236
	buffer_load_dword v18, off, s[0:3], 0 offset:232
	buffer_load_dword v21, off, s[0:3], 0 offset:228
	buffer_load_dword v20, off, s[0:3], 0 offset:224
	buffer_load_dword v23, off, s[0:3], 0 offset:220
	buffer_load_dword v22, off, s[0:3], 0 offset:216
	buffer_load_dword v25, off, s[0:3], 0 offset:212
	buffer_load_dword v24, off, s[0:3], 0 offset:208
	buffer_load_dword v27, off, s[0:3], 0 offset:268
	buffer_load_dword v26, off, s[0:3], 0 offset:264
	buffer_load_dword v29, off, s[0:3], 0 offset:260
	buffer_load_dword v28, off, s[0:3], 0 offset:256
	buffer_load_dword v31, off, s[0:3], 0 offset:252
	buffer_load_dword v30, off, s[0:3], 0 offset:248
	buffer_load_dword v33, off, s[0:3], 0 offset:244
	buffer_load_dword v32, off, s[0:3], 0 offset:240
	buffer_load_dword v35, off, s[0:3], 0 offset:300
	buffer_load_dword v34, off, s[0:3], 0 offset:296
	buffer_load_dword v37, off, s[0:3], 0 offset:292
	buffer_load_dword v36, off, s[0:3], 0 offset:288
	buffer_load_dword v39, off, s[0:3], 0 offset:284
	buffer_load_dword v38, off, s[0:3], 0 offset:280
	buffer_load_dword v41, off, s[0:3], 0 offset:276
	buffer_load_dword v40, off, s[0:3], 0 offset:272
	buffer_load_dword v107, off, s[0:3], 0 offset:332
	buffer_load_dword v106, off, s[0:3], 0 offset:328
	buffer_load_dword v109, off, s[0:3], 0 offset:324
	buffer_load_dword v108, off, s[0:3], 0 offset:320
	buffer_load_dword v111, off, s[0:3], 0 offset:316
	buffer_load_dword v110, off, s[0:3], 0 offset:312
	buffer_load_dword v113, off, s[0:3], 0 offset:308
	buffer_load_dword v112, off, s[0:3], 0 offset:304
	buffer_load_dword v115, off, s[0:3], 0 offset:364
	buffer_load_dword v114, off, s[0:3], 0 offset:360
	buffer_load_dword v117, off, s[0:3], 0 offset:356
	buffer_load_dword v116, off, s[0:3], 0 offset:352
	buffer_load_dword v119, off, s[0:3], 0 offset:348
	buffer_load_dword v118, off, s[0:3], 0 offset:344
	buffer_load_dword v121, off, s[0:3], 0 offset:340
	buffer_load_dword v120, off, s[0:3], 0 offset:336
	buffer_load_dword v123, off, s[0:3], 0 offset:396
	buffer_load_dword v122, off, s[0:3], 0 offset:392
	buffer_load_dword v125, off, s[0:3], 0 offset:388
	buffer_load_dword v124, off, s[0:3], 0 offset:384
	buffer_load_dword v127, off, s[0:3], 0 offset:380
	buffer_load_dword v126, off, s[0:3], 0 offset:376
	buffer_load_dword v129, off, s[0:3], 0 offset:372
	buffer_load_dword v128, off, s[0:3], 0 offset:368
	v_mov_b32_e32 v162, 0
	ds_read_b128 v[138:141], v162 offset:656
	ds_read_b128 v[142:145], v162 offset:672
	buffer_load_dword v131, off, s[0:3], 0 offset:428
	buffer_load_dword v130, off, s[0:3], 0 offset:424
	;; [unrolled: 1-line block ×8, first 2 shown]
	ds_read_b128 v[146:149], v162 offset:688
	ds_read_b128 v[150:153], v162 offset:704
	buffer_load_dword v51, off, s[0:3], 0 offset:460
	buffer_load_dword v50, off, s[0:3], 0 offset:456
	;; [unrolled: 1-line block ×24, first 2 shown]
	ds_read_b128 v[154:157], v162 offset:720
	ds_read_b128 v[158:161], v162 offset:736
	;; [unrolled: 1-line block ×19, first 2 shown]
	v_cmp_lt_u32_e32 vcc, 7, v0
	s_waitcnt vmcnt(62) lgkmcnt(14)
	v_mul_f64 v[48:49], v[142:143], v[6:7]
	v_mul_f64 v[46:47], v[138:139], v[8:9]
	v_mul_f64 v[8:9], v[140:141], v[8:9]
	v_fma_f64 v[8:9], v[138:139], v[10:11], -v[8:9]
	v_mul_f64 v[6:7], v[144:145], v[6:7]
	v_fmac_f64_e32 v[46:47], v[140:141], v[10:11]
	v_add_f64 v[8:9], v[8:9], 0
	v_add_f64 v[46:47], v[46:47], 0
	v_fma_f64 v[6:7], v[142:143], v[14:15], -v[6:7]
	v_fmac_f64_e32 v[48:49], v[144:145], v[14:15]
	v_add_f64 v[6:7], v[8:9], v[6:7]
	v_mul_f64 v[8:9], v[148:149], v[16:17]
	v_add_f64 v[46:47], v[46:47], v[48:49]
	v_mul_f64 v[48:49], v[146:147], v[16:17]
	v_fma_f64 v[8:9], v[146:147], v[12:13], -v[8:9]
	v_fmac_f64_e32 v[48:49], v[148:149], v[12:13]
	v_add_f64 v[6:7], v[6:7], v[8:9]
	v_mul_f64 v[8:9], v[152:153], v[22:23]
	v_add_f64 v[46:47], v[46:47], v[48:49]
	v_mul_f64 v[48:49], v[150:151], v[22:23]
	;; [unrolled: 6-line block ×5, first 2 shown]
	v_fma_f64 v[8:9], v[164:165], v[28:29], -v[8:9]
	v_fmac_f64_e32 v[48:49], v[166:167], v[28:29]
	v_add_f64 v[6:7], v[6:7], v[8:9]
	s_waitcnt vmcnt(58)
	v_mul_f64 v[8:9], v[170:171], v[38:39]
	v_add_f64 v[46:47], v[46:47], v[48:49]
	v_mul_f64 v[48:49], v[168:169], v[38:39]
	s_waitcnt vmcnt(56)
	v_fma_f64 v[8:9], v[168:169], v[40:41], -v[8:9]
	v_fmac_f64_e32 v[48:49], v[170:171], v[40:41]
	v_add_f64 v[6:7], v[6:7], v[8:9]
	v_mul_f64 v[8:9], v[174:175], v[34:35]
	v_add_f64 v[46:47], v[46:47], v[48:49]
	v_mul_f64 v[48:49], v[172:173], v[34:35]
	v_fma_f64 v[8:9], v[172:173], v[36:37], -v[8:9]
	v_fmac_f64_e32 v[48:49], v[174:175], v[36:37]
	v_add_f64 v[6:7], v[6:7], v[8:9]
	s_waitcnt vmcnt(50) lgkmcnt(13)
	v_mul_f64 v[8:9], v[178:179], v[110:111]
	v_add_f64 v[46:47], v[46:47], v[48:49]
	v_mul_f64 v[48:49], v[176:177], v[110:111]
	s_waitcnt vmcnt(48)
	v_fma_f64 v[8:9], v[176:177], v[112:113], -v[8:9]
	v_fmac_f64_e32 v[48:49], v[178:179], v[112:113]
	v_add_f64 v[6:7], v[6:7], v[8:9]
	s_waitcnt lgkmcnt(12)
	v_mul_f64 v[8:9], v[182:183], v[106:107]
	v_add_f64 v[46:47], v[46:47], v[48:49]
	v_mul_f64 v[48:49], v[180:181], v[106:107]
	v_fma_f64 v[8:9], v[180:181], v[108:109], -v[8:9]
	v_fmac_f64_e32 v[48:49], v[182:183], v[108:109]
	v_add_f64 v[6:7], v[6:7], v[8:9]
	s_waitcnt vmcnt(42) lgkmcnt(11)
	v_mul_f64 v[8:9], v[186:187], v[118:119]
	v_add_f64 v[46:47], v[46:47], v[48:49]
	v_mul_f64 v[48:49], v[184:185], v[118:119]
	s_waitcnt vmcnt(40)
	v_fma_f64 v[8:9], v[184:185], v[120:121], -v[8:9]
	v_fmac_f64_e32 v[48:49], v[186:187], v[120:121]
	v_add_f64 v[6:7], v[6:7], v[8:9]
	s_waitcnt lgkmcnt(10)
	;; [unrolled: 15-line block ×7, first 2 shown]
	v_mul_f64 v[8:9], v[226:227], v[66:67]
	v_add_f64 v[46:47], v[46:47], v[48:49]
	v_mul_f64 v[48:49], v[224:225], v[66:67]
	v_fma_f64 v[8:9], v[224:225], v[68:69], -v[8:9]
	v_fmac_f64_e32 v[48:49], v[226:227], v[68:69]
	v_add_f64 v[6:7], v[6:7], v[8:9]
	v_add_f64 v[46:47], v[46:47], v[48:49]
	v_add_f64 v[4:5], v[4:5], -v[6:7]
	v_add_f64 v[2:3], v[2:3], -v[46:47]
	buffer_store_dword v5, off, s[0:3], 0 offset:148
	buffer_store_dword v4, off, s[0:3], 0 offset:144
	;; [unrolled: 1-line block ×4, first 2 shown]
	s_and_saveexec_b64 s[4:5], vcc
	s_cbranch_execz .LBB31_191
; %bb.190:
	v_accvgpr_read_b32 v5, a80
	buffer_load_dword v2, v5, s[0:3], 0 offen
	buffer_load_dword v3, v5, s[0:3], 0 offen offset:4
	buffer_load_dword v4, v5, s[0:3], 0 offen offset:8
	s_nop 0
	buffer_load_dword v5, v5, s[0:3], 0 offen offset:12
	s_nop 0
	buffer_store_dword v162, off, s[0:3], 0 offset:128
	buffer_store_dword v162, off, s[0:3], 0 offset:132
	;; [unrolled: 1-line block ×4, first 2 shown]
	s_waitcnt vmcnt(4)
	ds_write_b128 v1, v[2:5]
.LBB31_191:
	s_or_b64 exec, exec, s[4:5]
	s_waitcnt lgkmcnt(0)
	; wave barrier
	s_waitcnt lgkmcnt(0)
	buffer_load_dword v22, off, s[0:3], 0 offset:144
	buffer_load_dword v23, off, s[0:3], 0 offset:148
	;; [unrolled: 1-line block ×16, first 2 shown]
	ds_read_b128 v[2:5], v162 offset:640
	ds_read_b128 v[6:9], v162 offset:656
	ds_read_b128 v[10:13], v162 offset:672
	ds_read_b128 v[14:17], v162 offset:688
	buffer_load_dword v35, off, s[0:3], 0 offset:220
	buffer_load_dword v34, off, s[0:3], 0 offset:216
	;; [unrolled: 1-line block ×48, first 2 shown]
	v_cmp_lt_u32_e32 vcc, 6, v0
	s_waitcnt vmcnt(60) lgkmcnt(3)
	v_mul_f64 v[46:47], v[2:3], v[24:25]
	v_fmac_f64_e32 v[46:47], v[4:5], v[22:23]
	v_add_f64 v[46:47], v[46:47], 0
	v_mul_f64 v[4:5], v[4:5], v[24:25]
	s_waitcnt vmcnt(56) lgkmcnt(2)
	v_mul_f64 v[48:49], v[6:7], v[32:33]
	v_fma_f64 v[2:3], v[2:3], v[22:23], -v[4:5]
	v_mul_f64 v[4:5], v[8:9], v[32:33]
	v_add_f64 v[2:3], v[2:3], 0
	s_waitcnt vmcnt(52)
	v_fmac_f64_e32 v[48:49], v[8:9], v[28:29]
	v_add_f64 v[46:47], v[46:47], v[48:49]
	buffer_load_dword v147, off, s[0:3], 0 offset:412
	buffer_load_dword v146, off, s[0:3], 0 offset:408
	;; [unrolled: 1-line block ×32, first 2 shown]
	ds_read_b128 v[164:167], v162 offset:704
	buffer_load_dword v67, off, s[0:3], 0 offset:524
	buffer_load_dword v66, off, s[0:3], 0 offset:520
	;; [unrolled: 1-line block ×4, first 2 shown]
	v_fma_f64 v[4:5], v[6:7], v[28:29], -v[4:5]
	v_add_f64 v[2:3], v[2:3], v[4:5]
	s_waitcnt lgkmcnt(2)
	v_mul_f64 v[4:5], v[12:13], v[26:27]
	v_mul_f64 v[50:51], v[10:11], v[26:27]
	ds_read_b128 v[168:171], v162 offset:720
	ds_read_b128 v[172:175], v162 offset:736
	v_fma_f64 v[4:5], v[10:11], v[30:31], -v[4:5]
	v_fmac_f64_e32 v[50:51], v[12:13], v[30:31]
	v_add_f64 v[2:3], v[2:3], v[4:5]
	s_waitcnt vmcnt(62) lgkmcnt(3)
	v_mul_f64 v[4:5], v[16:17], v[38:39]
	v_add_f64 v[46:47], v[46:47], v[50:51]
	v_mul_f64 v[50:51], v[14:15], v[38:39]
	v_fma_f64 v[4:5], v[14:15], v[40:41], -v[4:5]
	v_fmac_f64_e32 v[50:51], v[16:17], v[40:41]
	v_add_f64 v[2:3], v[2:3], v[4:5]
	s_waitcnt lgkmcnt(2)
	v_mul_f64 v[4:5], v[166:167], v[34:35]
	v_add_f64 v[46:47], v[46:47], v[50:51]
	v_mul_f64 v[50:51], v[164:165], v[34:35]
	ds_read_b128 v[176:179], v162 offset:752
	ds_read_b128 v[180:183], v162 offset:768
	v_fma_f64 v[4:5], v[164:165], v[36:37], -v[4:5]
	v_fmac_f64_e32 v[50:51], v[166:167], v[36:37]
	v_add_f64 v[2:3], v[2:3], v[4:5]
	s_waitcnt lgkmcnt(3)
	v_mul_f64 v[4:5], v[170:171], v[110:111]
	v_add_f64 v[46:47], v[46:47], v[50:51]
	v_mul_f64 v[50:51], v[168:169], v[110:111]
	v_fma_f64 v[4:5], v[168:169], v[112:113], -v[4:5]
	v_fmac_f64_e32 v[50:51], v[170:171], v[112:113]
	v_add_f64 v[2:3], v[2:3], v[4:5]
	s_waitcnt lgkmcnt(2)
	v_mul_f64 v[4:5], v[174:175], v[106:107]
	v_add_f64 v[46:47], v[46:47], v[50:51]
	v_mul_f64 v[50:51], v[172:173], v[106:107]
	ds_read_b128 v[184:187], v162 offset:784
	ds_read_b128 v[188:191], v162 offset:800
	v_fma_f64 v[4:5], v[172:173], v[108:109], -v[4:5]
	v_fmac_f64_e32 v[50:51], v[174:175], v[108:109]
	v_add_f64 v[2:3], v[2:3], v[4:5]
	s_waitcnt lgkmcnt(3)
	v_mul_f64 v[4:5], v[178:179], v[118:119]
	v_add_f64 v[46:47], v[46:47], v[50:51]
	v_mul_f64 v[50:51], v[176:177], v[118:119]
	s_waitcnt vmcnt(60)
	v_fma_f64 v[4:5], v[176:177], v[120:121], -v[4:5]
	v_fmac_f64_e32 v[50:51], v[178:179], v[120:121]
	v_add_f64 v[2:3], v[2:3], v[4:5]
	s_waitcnt lgkmcnt(2)
	v_mul_f64 v[4:5], v[182:183], v[114:115]
	v_add_f64 v[46:47], v[46:47], v[50:51]
	v_mul_f64 v[50:51], v[180:181], v[114:115]
	ds_read_b128 v[192:195], v162 offset:816
	ds_read_b128 v[196:199], v162 offset:832
	v_fma_f64 v[4:5], v[180:181], v[116:117], -v[4:5]
	v_fmac_f64_e32 v[50:51], v[182:183], v[116:117]
	v_add_f64 v[2:3], v[2:3], v[4:5]
	s_waitcnt vmcnt(54) lgkmcnt(3)
	v_mul_f64 v[4:5], v[186:187], v[126:127]
	v_add_f64 v[46:47], v[46:47], v[50:51]
	v_mul_f64 v[50:51], v[184:185], v[126:127]
	s_waitcnt vmcnt(52)
	v_fma_f64 v[4:5], v[184:185], v[128:129], -v[4:5]
	v_fmac_f64_e32 v[50:51], v[186:187], v[128:129]
	v_add_f64 v[2:3], v[2:3], v[4:5]
	s_waitcnt lgkmcnt(2)
	v_mul_f64 v[4:5], v[190:191], v[122:123]
	v_add_f64 v[46:47], v[46:47], v[50:51]
	v_mul_f64 v[50:51], v[188:189], v[122:123]
	ds_read_b128 v[200:203], v162 offset:848
	ds_read_b128 v[204:207], v162 offset:864
	v_fma_f64 v[4:5], v[188:189], v[124:125], -v[4:5]
	v_fmac_f64_e32 v[50:51], v[190:191], v[124:125]
	v_add_f64 v[2:3], v[2:3], v[4:5]
	s_waitcnt vmcnt(46) lgkmcnt(3)
	;; [unrolled: 17-line block ×6, first 2 shown]
	v_mul_f64 v[4:5], v[226:227], v[54:55]
	v_add_f64 v[46:47], v[46:47], v[50:51]
	v_mul_f64 v[50:51], v[224:225], v[54:55]
	s_waitcnt vmcnt(12)
	v_fma_f64 v[4:5], v[224:225], v[56:57], -v[4:5]
	v_fmac_f64_e32 v[50:51], v[226:227], v[56:57]
	v_add_f64 v[2:3], v[2:3], v[4:5]
	s_waitcnt lgkmcnt(2)
	v_mul_f64 v[4:5], v[254:255], v[48:49]
	v_add_f64 v[46:47], v[46:47], v[50:51]
	v_mul_f64 v[50:51], v[252:253], v[48:49]
	ds_read_b128 v[236:239], v162 offset:1008
	v_fma_f64 v[4:5], v[252:253], v[52:53], -v[4:5]
	v_fmac_f64_e32 v[50:51], v[254:255], v[52:53]
	v_add_f64 v[2:3], v[2:3], v[4:5]
	s_waitcnt vmcnt(6) lgkmcnt(2)
	v_mul_f64 v[4:5], v[230:231], v[62:63]
	v_add_f64 v[46:47], v[46:47], v[50:51]
	v_mul_f64 v[50:51], v[228:229], v[62:63]
	s_waitcnt vmcnt(4)
	v_fma_f64 v[4:5], v[228:229], v[64:65], -v[4:5]
	v_fmac_f64_e32 v[50:51], v[230:231], v[64:65]
	v_add_f64 v[2:3], v[2:3], v[4:5]
	s_waitcnt lgkmcnt(1)
	v_mul_f64 v[4:5], v[234:235], v[58:59]
	v_add_f64 v[46:47], v[46:47], v[50:51]
	v_mul_f64 v[50:51], v[232:233], v[58:59]
	v_fma_f64 v[4:5], v[232:233], v[60:61], -v[4:5]
	v_fmac_f64_e32 v[50:51], v[234:235], v[60:61]
	v_add_f64 v[2:3], v[2:3], v[4:5]
	s_waitcnt vmcnt(2) lgkmcnt(0)
	v_mul_f64 v[4:5], v[238:239], v[66:67]
	v_add_f64 v[46:47], v[46:47], v[50:51]
	v_mul_f64 v[50:51], v[236:237], v[66:67]
	s_waitcnt vmcnt(0)
	v_fma_f64 v[4:5], v[236:237], v[68:69], -v[4:5]
	v_fmac_f64_e32 v[50:51], v[238:239], v[68:69]
	v_add_f64 v[2:3], v[2:3], v[4:5]
	v_add_f64 v[46:47], v[46:47], v[50:51]
	v_add_f64 v[2:3], v[20:21], -v[2:3]
	v_add_f64 v[4:5], v[18:19], -v[46:47]
	buffer_store_dword v3, off, s[0:3], 0 offset:132
	buffer_store_dword v2, off, s[0:3], 0 offset:128
	;; [unrolled: 1-line block ×4, first 2 shown]
	s_and_saveexec_b64 s[4:5], vcc
	s_cbranch_execz .LBB31_193
; %bb.192:
	v_accvgpr_read_b32 v5, a82
	buffer_load_dword v2, v5, s[0:3], 0 offen
	buffer_load_dword v3, v5, s[0:3], 0 offen offset:4
	buffer_load_dword v4, v5, s[0:3], 0 offen offset:8
	s_nop 0
	buffer_load_dword v5, v5, s[0:3], 0 offen offset:12
	v_mov_b32_e32 v6, 0
	buffer_store_dword v6, off, s[0:3], 0 offset:112
	buffer_store_dword v6, off, s[0:3], 0 offset:116
	;; [unrolled: 1-line block ×4, first 2 shown]
	s_waitcnt vmcnt(4)
	ds_write_b128 v1, v[2:5]
.LBB31_193:
	s_or_b64 exec, exec, s[4:5]
	s_waitcnt lgkmcnt(0)
	; wave barrier
	s_waitcnt lgkmcnt(0)
	buffer_load_dword v22, off, s[0:3], 0 offset:128
	buffer_load_dword v23, off, s[0:3], 0 offset:132
	;; [unrolled: 1-line block ×64, first 2 shown]
	v_mov_b32_e32 v178, 0
	ds_read_b128 v[18:21], v178 offset:624
	ds_read_b128 v[14:17], v178 offset:640
	;; [unrolled: 1-line block ×5, first 2 shown]
	v_cmp_lt_u32_e32 vcc, 5, v0
	s_waitcnt vmcnt(60) lgkmcnt(4)
	v_mul_f64 v[46:47], v[18:19], v[26:27]
	v_fmac_f64_e32 v[46:47], v[20:21], v[22:23]
	v_add_f64 v[46:47], v[46:47], 0
	v_mul_f64 v[20:21], v[20:21], v[26:27]
	s_waitcnt vmcnt(56) lgkmcnt(3)
	v_mul_f64 v[48:49], v[14:15], v[28:29]
	v_fmac_f64_e32 v[48:49], v[16:17], v[24:25]
	s_waitcnt vmcnt(54) lgkmcnt(2)
	v_mul_f64 v[50:51], v[10:11], v[30:31]
	v_add_f64 v[46:47], v[46:47], v[48:49]
	v_fma_f64 v[18:19], v[18:19], v[22:23], -v[20:21]
	v_mul_f64 v[16:17], v[16:17], v[28:29]
	s_waitcnt vmcnt(50) lgkmcnt(1)
	v_mul_f64 v[52:53], v[6:7], v[40:41]
	v_add_f64 v[18:19], v[18:19], 0
	s_waitcnt vmcnt(48)
	v_fmac_f64_e32 v[50:51], v[12:13], v[108:109]
	v_add_f64 v[46:47], v[46:47], v[50:51]
	buffer_load_dword v151, off, s[0:3], 0 offset:396
	buffer_load_dword v150, off, s[0:3], 0 offset:392
	;; [unrolled: 1-line block ×40, first 2 shown]
	ds_read_b128 v[166:169], v178 offset:704
	ds_read_b128 v[170:173], v178 offset:720
	s_waitcnt vmcnt(62)
	v_fmac_f64_e32 v[52:53], v[8:9], v[106:107]
	v_fma_f64 v[14:15], v[14:15], v[24:25], -v[16:17]
	v_mul_f64 v[12:13], v[12:13], v[30:31]
	v_add_f64 v[46:47], v[46:47], v[52:53]
	s_waitcnt lgkmcnt(2)
	v_mul_f64 v[52:53], v[2:3], v[36:37]
	v_add_f64 v[14:15], v[18:19], v[14:15]
	v_fma_f64 v[10:11], v[10:11], v[108:109], -v[12:13]
	v_mul_f64 v[8:9], v[8:9], v[40:41]
	v_fmac_f64_e32 v[52:53], v[4:5], v[38:39]
	ds_read_b128 v[174:177], v178 offset:736
	ds_read_b128 v[180:183], v178 offset:752
	v_add_f64 v[10:11], v[14:15], v[10:11]
	v_fma_f64 v[6:7], v[6:7], v[106:107], -v[8:9]
	v_mul_f64 v[4:5], v[4:5], v[36:37]
	v_add_f64 v[6:7], v[10:11], v[6:7]
	v_fma_f64 v[2:3], v[2:3], v[38:39], -v[4:5]
	s_waitcnt lgkmcnt(3)
	v_mul_f64 v[4:5], v[168:169], v[114:115]
	v_add_f64 v[46:47], v[46:47], v[52:53]
	v_mul_f64 v[52:53], v[166:167], v[114:115]
	v_add_f64 v[2:3], v[6:7], v[2:3]
	v_fma_f64 v[4:5], v[166:167], v[116:117], -v[4:5]
	v_fmac_f64_e32 v[52:53], v[168:169], v[116:117]
	v_add_f64 v[2:3], v[2:3], v[4:5]
	s_waitcnt lgkmcnt(2)
	v_mul_f64 v[4:5], v[172:173], v[110:111]
	v_add_f64 v[46:47], v[46:47], v[52:53]
	v_mul_f64 v[52:53], v[170:171], v[110:111]
	ds_read_b128 v[184:187], v178 offset:768
	ds_read_b128 v[188:191], v178 offset:784
	v_fma_f64 v[4:5], v[170:171], v[112:113], -v[4:5]
	v_fmac_f64_e32 v[52:53], v[172:173], v[112:113]
	v_add_f64 v[2:3], v[2:3], v[4:5]
	s_waitcnt lgkmcnt(3)
	v_mul_f64 v[4:5], v[176:177], v[122:123]
	v_add_f64 v[46:47], v[46:47], v[52:53]
	v_mul_f64 v[52:53], v[174:175], v[122:123]
	v_fma_f64 v[4:5], v[174:175], v[124:125], -v[4:5]
	v_fmac_f64_e32 v[52:53], v[176:177], v[124:125]
	v_add_f64 v[2:3], v[2:3], v[4:5]
	s_waitcnt lgkmcnt(2)
	v_mul_f64 v[4:5], v[182:183], v[118:119]
	v_add_f64 v[46:47], v[46:47], v[52:53]
	v_mul_f64 v[52:53], v[180:181], v[118:119]
	ds_read_b128 v[192:195], v178 offset:800
	ds_read_b128 v[196:199], v178 offset:816
	v_fma_f64 v[4:5], v[180:181], v[120:121], -v[4:5]
	v_fmac_f64_e32 v[52:53], v[182:183], v[120:121]
	v_add_f64 v[2:3], v[2:3], v[4:5]
	s_waitcnt vmcnt(58) lgkmcnt(3)
	v_mul_f64 v[4:5], v[186:187], v[130:131]
	v_add_f64 v[46:47], v[46:47], v[52:53]
	v_mul_f64 v[52:53], v[184:185], v[130:131]
	s_waitcnt vmcnt(56)
	v_fma_f64 v[4:5], v[184:185], v[132:133], -v[4:5]
	v_fmac_f64_e32 v[52:53], v[186:187], v[132:133]
	v_add_f64 v[2:3], v[2:3], v[4:5]
	s_waitcnt lgkmcnt(2)
	v_mul_f64 v[4:5], v[190:191], v[126:127]
	v_add_f64 v[46:47], v[46:47], v[52:53]
	v_mul_f64 v[52:53], v[188:189], v[126:127]
	ds_read_b128 v[200:203], v178 offset:832
	ds_read_b128 v[204:207], v178 offset:848
	v_fma_f64 v[4:5], v[188:189], v[128:129], -v[4:5]
	v_fmac_f64_e32 v[52:53], v[190:191], v[128:129]
	v_add_f64 v[2:3], v[2:3], v[4:5]
	s_waitcnt vmcnt(50) lgkmcnt(3)
	v_mul_f64 v[4:5], v[194:195], v[138:139]
	v_add_f64 v[46:47], v[46:47], v[52:53]
	v_mul_f64 v[52:53], v[192:193], v[138:139]
	s_waitcnt vmcnt(48)
	;; [unrolled: 17-line block ×7, first 2 shown]
	v_fma_f64 v[4:5], v[232:233], v[64:65], -v[4:5]
	v_fmac_f64_e32 v[52:53], v[234:235], v[64:65]
	v_add_f64 v[2:3], v[2:3], v[4:5]
	s_waitcnt lgkmcnt(2)
	v_mul_f64 v[4:5], v[238:239], v[58:59]
	v_add_f64 v[46:47], v[46:47], v[52:53]
	v_mul_f64 v[52:53], v[236:237], v[58:59]
	v_fma_f64 v[4:5], v[236:237], v[60:61], -v[4:5]
	v_fmac_f64_e32 v[52:53], v[238:239], v[60:61]
	v_add_f64 v[2:3], v[2:3], v[4:5]
	s_waitcnt vmcnt(2) lgkmcnt(1)
	v_mul_f64 v[4:5], v[254:255], v[70:71]
	v_add_f64 v[46:47], v[46:47], v[52:53]
	v_mul_f64 v[52:53], v[252:253], v[70:71]
	s_waitcnt vmcnt(0)
	v_fma_f64 v[4:5], v[252:253], v[72:73], -v[4:5]
	v_fmac_f64_e32 v[52:53], v[254:255], v[72:73]
	v_add_f64 v[2:3], v[2:3], v[4:5]
	s_waitcnt lgkmcnt(0)
	v_mul_f64 v[4:5], v[242:243], v[66:67]
	v_add_f64 v[46:47], v[46:47], v[52:53]
	v_mul_f64 v[52:53], v[240:241], v[66:67]
	v_fma_f64 v[4:5], v[240:241], v[68:69], -v[4:5]
	v_fmac_f64_e32 v[52:53], v[242:243], v[68:69]
	v_add_f64 v[2:3], v[2:3], v[4:5]
	v_add_f64 v[46:47], v[46:47], v[52:53]
	v_add_f64 v[2:3], v[34:35], -v[2:3]
	v_add_f64 v[4:5], v[32:33], -v[46:47]
	buffer_store_dword v3, off, s[0:3], 0 offset:116
	buffer_store_dword v2, off, s[0:3], 0 offset:112
	;; [unrolled: 1-line block ×4, first 2 shown]
	s_and_saveexec_b64 s[4:5], vcc
	s_cbranch_execz .LBB31_195
; %bb.194:
	v_accvgpr_read_b32 v5, a83
	buffer_load_dword v2, v5, s[0:3], 0 offen
	buffer_load_dword v3, v5, s[0:3], 0 offen offset:4
	buffer_load_dword v4, v5, s[0:3], 0 offen offset:8
	s_nop 0
	buffer_load_dword v5, v5, s[0:3], 0 offen offset:12
	s_nop 0
	buffer_store_dword v178, off, s[0:3], 0 offset:96
	buffer_store_dword v178, off, s[0:3], 0 offset:100
	;; [unrolled: 1-line block ×4, first 2 shown]
	s_waitcnt vmcnt(4)
	ds_write_b128 v1, v[2:5]
.LBB31_195:
	s_or_b64 exec, exec, s[4:5]
	s_waitcnt lgkmcnt(0)
	; wave barrier
	s_waitcnt lgkmcnt(0)
	buffer_load_dword v26, off, s[0:3], 0 offset:112
	buffer_load_dword v27, off, s[0:3], 0 offset:116
	;; [unrolled: 1-line block ×24, first 2 shown]
	ds_read_b128 v[22:25], v178 offset:608
	ds_read_b128 v[18:21], v178 offset:624
	;; [unrolled: 1-line block ×6, first 2 shown]
	buffer_load_dword v115, off, s[0:3], 0 offset:220
	buffer_load_dword v114, off, s[0:3], 0 offset:216
	;; [unrolled: 1-line block ×40, first 2 shown]
	v_cmp_lt_u32_e32 vcc, 4, v0
	s_waitcnt vmcnt(60) lgkmcnt(5)
	v_mul_f64 v[46:47], v[22:23], v[28:29]
	v_fmac_f64_e32 v[46:47], v[24:25], v[26:27]
	s_waitcnt vmcnt(58) lgkmcnt(4)
	v_mul_f64 v[48:49], v[18:19], v[30:31]
	v_add_f64 v[46:47], v[46:47], 0
	s_waitcnt vmcnt(56) lgkmcnt(3)
	v_mul_f64 v[50:51], v[10:11], v[32:33]
	v_mul_f64 v[24:25], v[24:25], v[28:29]
	s_waitcnt vmcnt(54) lgkmcnt(1)
	v_mul_f64 v[54:55], v[2:3], v[38:39]
	v_fma_f64 v[22:23], v[22:23], v[26:27], -v[24:25]
	v_add_f64 v[22:23], v[22:23], 0
	s_waitcnt vmcnt(51)
	v_mul_f64 v[52:53], v[6:7], v[106:107]
	s_waitcnt vmcnt(49)
	v_fmac_f64_e32 v[48:49], v[20:21], v[112:113]
	v_add_f64 v[46:47], v[46:47], v[48:49]
	s_waitcnt vmcnt(47)
	v_fmac_f64_e32 v[50:51], v[12:13], v[110:111]
	v_add_f64 v[46:47], v[46:47], v[50:51]
	;; [unrolled: 3-line block ×3, first 2 shown]
	buffer_load_dword v155, off, s[0:3], 0 offset:380
	buffer_load_dword v154, off, s[0:3], 0 offset:376
	;; [unrolled: 1-line block ×40, first 2 shown]
	s_waitcnt vmcnt(62)
	v_fmac_f64_e32 v[54:55], v[4:5], v[40:41]
	v_add_f64 v[46:47], v[46:47], v[54:55]
	ds_read_b128 v[180:183], v178 offset:704
	buffer_load_dword v55, off, s[0:3], 0 offset:524
	buffer_load_dword v54, off, s[0:3], 0 offset:520
	;; [unrolled: 1-line block ×4, first 2 shown]
	v_mul_f64 v[20:21], v[20:21], v[30:31]
	v_fma_f64 v[18:19], v[18:19], v[112:113], -v[20:21]
	v_mul_f64 v[12:13], v[12:13], v[32:33]
	ds_read_b128 v[184:187], v178 offset:720
	ds_read_b128 v[188:191], v178 offset:736
	v_add_f64 v[18:19], v[22:23], v[18:19]
	v_fma_f64 v[10:11], v[10:11], v[110:111], -v[12:13]
	v_mul_f64 v[8:9], v[8:9], v[106:107]
	s_waitcnt lgkmcnt(3)
	v_mul_f64 v[48:49], v[14:15], v[118:119]
	v_add_f64 v[10:11], v[18:19], v[10:11]
	v_fma_f64 v[6:7], v[6:7], v[108:109], -v[8:9]
	v_mul_f64 v[4:5], v[4:5], v[38:39]
	v_fmac_f64_e32 v[48:49], v[16:17], v[120:121]
	v_add_f64 v[6:7], v[10:11], v[6:7]
	v_fma_f64 v[2:3], v[2:3], v[40:41], -v[4:5]
	v_mul_f64 v[4:5], v[16:17], v[118:119]
	v_add_f64 v[46:47], v[46:47], v[48:49]
	s_waitcnt lgkmcnt(2)
	v_mul_f64 v[48:49], v[180:181], v[114:115]
	v_add_f64 v[2:3], v[6:7], v[2:3]
	v_fma_f64 v[4:5], v[14:15], v[120:121], -v[4:5]
	v_fmac_f64_e32 v[48:49], v[182:183], v[116:117]
	ds_read_b128 v[192:195], v178 offset:752
	ds_read_b128 v[196:199], v178 offset:768
	v_add_f64 v[2:3], v[2:3], v[4:5]
	v_mul_f64 v[4:5], v[182:183], v[114:115]
	v_add_f64 v[46:47], v[46:47], v[48:49]
	s_waitcnt lgkmcnt(3)
	v_mul_f64 v[48:49], v[184:185], v[126:127]
	v_fma_f64 v[4:5], v[180:181], v[116:117], -v[4:5]
	v_fmac_f64_e32 v[48:49], v[186:187], v[128:129]
	v_add_f64 v[2:3], v[2:3], v[4:5]
	v_mul_f64 v[4:5], v[186:187], v[126:127]
	v_add_f64 v[46:47], v[46:47], v[48:49]
	s_waitcnt lgkmcnt(2)
	v_mul_f64 v[48:49], v[188:189], v[122:123]
	v_fma_f64 v[4:5], v[184:185], v[128:129], -v[4:5]
	v_fmac_f64_e32 v[48:49], v[190:191], v[124:125]
	ds_read_b128 v[200:203], v178 offset:784
	ds_read_b128 v[204:207], v178 offset:800
	v_add_f64 v[2:3], v[2:3], v[4:5]
	v_mul_f64 v[4:5], v[190:191], v[122:123]
	v_add_f64 v[46:47], v[46:47], v[48:49]
	s_waitcnt vmcnt(62) lgkmcnt(3)
	v_mul_f64 v[48:49], v[192:193], v[134:135]
	v_fma_f64 v[4:5], v[188:189], v[124:125], -v[4:5]
	s_waitcnt vmcnt(60)
	v_fmac_f64_e32 v[48:49], v[194:195], v[136:137]
	v_add_f64 v[2:3], v[2:3], v[4:5]
	v_mul_f64 v[4:5], v[194:195], v[134:135]
	v_add_f64 v[46:47], v[46:47], v[48:49]
	s_waitcnt lgkmcnt(2)
	v_mul_f64 v[48:49], v[196:197], v[130:131]
	v_fma_f64 v[4:5], v[192:193], v[136:137], -v[4:5]
	v_fmac_f64_e32 v[48:49], v[198:199], v[132:133]
	ds_read_b128 v[208:211], v178 offset:816
	ds_read_b128 v[212:215], v178 offset:832
	v_add_f64 v[2:3], v[2:3], v[4:5]
	v_mul_f64 v[4:5], v[198:199], v[130:131]
	v_add_f64 v[46:47], v[46:47], v[48:49]
	s_waitcnt vmcnt(54) lgkmcnt(3)
	v_mul_f64 v[48:49], v[200:201], v[142:143]
	v_fma_f64 v[4:5], v[196:197], v[132:133], -v[4:5]
	s_waitcnt vmcnt(52)
	;; [unrolled: 17-line block ×6, first 2 shown]
	v_fmac_f64_e32 v[48:49], v[234:235], v[176:177]
	v_add_f64 v[2:3], v[2:3], v[4:5]
	v_mul_f64 v[4:5], v[234:235], v[174:175]
	v_add_f64 v[46:47], v[46:47], v[48:49]
	s_waitcnt lgkmcnt(2)
	v_mul_f64 v[48:49], v[236:237], v[170:171]
	v_fma_f64 v[4:5], v[232:233], v[176:177], -v[4:5]
	v_fmac_f64_e32 v[48:49], v[238:239], v[172:173]
	v_add_f64 v[2:3], v[2:3], v[4:5]
	v_mul_f64 v[4:5], v[238:239], v[170:171]
	v_add_f64 v[46:47], v[46:47], v[48:49]
	s_waitcnt vmcnt(14) lgkmcnt(1)
	v_mul_f64 v[48:49], v[240:241], v[56:57]
	ds_read_b128 v[244:247], v178 offset:976
	ds_read_b128 v[248:251], v178 offset:992
	v_fma_f64 v[4:5], v[236:237], v[172:173], -v[4:5]
	s_waitcnt vmcnt(12)
	v_fmac_f64_e32 v[48:49], v[242:243], v[58:59]
	v_add_f64 v[2:3], v[2:3], v[4:5]
	v_mul_f64 v[4:5], v[242:243], v[56:57]
	v_add_f64 v[46:47], v[46:47], v[48:49]
	s_waitcnt lgkmcnt(2)
	v_mul_f64 v[48:49], v[252:253], v[50:51]
	v_fma_f64 v[4:5], v[240:241], v[58:59], -v[4:5]
	v_fmac_f64_e32 v[48:49], v[254:255], v[52:53]
	v_add_f64 v[2:3], v[2:3], v[4:5]
	v_mul_f64 v[4:5], v[254:255], v[50:51]
	v_add_f64 v[70:71], v[46:47], v[48:49]
	ds_read_b128 v[46:49], v178 offset:1008
	v_fma_f64 v[4:5], v[252:253], v[52:53], -v[4:5]
	v_add_f64 v[2:3], v[2:3], v[4:5]
	s_waitcnt vmcnt(6) lgkmcnt(2)
	v_mul_f64 v[4:5], v[246:247], v[64:65]
	v_mul_f64 v[72:73], v[244:245], v[64:65]
	s_waitcnt vmcnt(4)
	v_fma_f64 v[4:5], v[244:245], v[66:67], -v[4:5]
	v_fmac_f64_e32 v[72:73], v[246:247], v[66:67]
	v_add_f64 v[2:3], v[2:3], v[4:5]
	s_waitcnt lgkmcnt(1)
	v_mul_f64 v[4:5], v[250:251], v[60:61]
	v_add_f64 v[70:71], v[70:71], v[72:73]
	v_mul_f64 v[72:73], v[248:249], v[60:61]
	v_fma_f64 v[4:5], v[248:249], v[62:63], -v[4:5]
	v_fmac_f64_e32 v[72:73], v[250:251], v[62:63]
	v_add_f64 v[2:3], v[2:3], v[4:5]
	s_waitcnt vmcnt(2) lgkmcnt(0)
	v_mul_f64 v[4:5], v[48:49], v[54:55]
	v_add_f64 v[70:71], v[70:71], v[72:73]
	v_mul_f64 v[72:73], v[46:47], v[54:55]
	s_waitcnt vmcnt(0)
	v_fma_f64 v[4:5], v[46:47], v[68:69], -v[4:5]
	v_fmac_f64_e32 v[72:73], v[48:49], v[68:69]
	v_add_f64 v[2:3], v[2:3], v[4:5]
	v_add_f64 v[70:71], v[70:71], v[72:73]
	v_add_f64 v[2:3], v[36:37], -v[2:3]
	v_add_f64 v[4:5], v[34:35], -v[70:71]
	buffer_store_dword v3, off, s[0:3], 0 offset:100
	buffer_store_dword v2, off, s[0:3], 0 offset:96
	;; [unrolled: 1-line block ×4, first 2 shown]
	s_and_saveexec_b64 s[4:5], vcc
	s_cbranch_execz .LBB31_197
; %bb.196:
	v_accvgpr_read_b32 v5, a81
	buffer_load_dword v2, v5, s[0:3], 0 offen
	buffer_load_dword v3, v5, s[0:3], 0 offen offset:4
	buffer_load_dword v4, v5, s[0:3], 0 offen offset:8
	s_nop 0
	buffer_load_dword v5, v5, s[0:3], 0 offen offset:12
	v_mov_b32_e32 v6, 0
	buffer_store_dword v6, off, s[0:3], 0 offset:80
	buffer_store_dword v6, off, s[0:3], 0 offset:84
	;; [unrolled: 1-line block ×4, first 2 shown]
	s_waitcnt vmcnt(4)
	ds_write_b128 v1, v[2:5]
.LBB31_197:
	s_or_b64 exec, exec, s[4:5]
	s_waitcnt lgkmcnt(0)
	; wave barrier
	s_waitcnt lgkmcnt(0)
	buffer_load_dword v30, off, s[0:3], 0 offset:96
	buffer_load_dword v31, off, s[0:3], 0 offset:100
	;; [unrolled: 1-line block ×56, first 2 shown]
	v_mov_b32_e32 v198, 0
	ds_read_b128 v[26:29], v198 offset:592
	ds_read_b128 v[22:25], v198 offset:608
	;; [unrolled: 1-line block ×7, first 2 shown]
	buffer_load_dword v151, off, s[0:3], 0 offset:332
	buffer_load_dword v150, off, s[0:3], 0 offset:328
	buffer_load_dword v153, off, s[0:3], 0 offset:324
	buffer_load_dword v152, off, s[0:3], 0 offset:320
	buffer_load_dword v155, off, s[0:3], 0 offset:316
	buffer_load_dword v154, off, s[0:3], 0 offset:312
	buffer_load_dword v157, off, s[0:3], 0 offset:308
	buffer_load_dword v156, off, s[0:3], 0 offset:304
	buffer_load_dword v159, off, s[0:3], 0 offset:364
	buffer_load_dword v158, off, s[0:3], 0 offset:360
	buffer_load_dword v161, off, s[0:3], 0 offset:356
	buffer_load_dword v160, off, s[0:3], 0 offset:352
	buffer_load_dword v163, off, s[0:3], 0 offset:348
	buffer_load_dword v162, off, s[0:3], 0 offset:344
	buffer_load_dword v165, off, s[0:3], 0 offset:340
	buffer_load_dword v164, off, s[0:3], 0 offset:336
	buffer_load_dword v167, off, s[0:3], 0 offset:396
	buffer_load_dword v166, off, s[0:3], 0 offset:392
	buffer_load_dword v169, off, s[0:3], 0 offset:388
	buffer_load_dword v168, off, s[0:3], 0 offset:384
	buffer_load_dword v171, off, s[0:3], 0 offset:380
	buffer_load_dword v170, off, s[0:3], 0 offset:376
	buffer_load_dword v173, off, s[0:3], 0 offset:372
	buffer_load_dword v172, off, s[0:3], 0 offset:368
	buffer_load_dword v177, off, s[0:3], 0 offset:428
	buffer_load_dword v176, off, s[0:3], 0 offset:424
	buffer_load_dword v179, off, s[0:3], 0 offset:420
	buffer_load_dword v178, off, s[0:3], 0 offset:416
	buffer_load_dword v183, off, s[0:3], 0 offset:412
	buffer_load_dword v182, off, s[0:3], 0 offset:408
	buffer_load_dword v185, off, s[0:3], 0 offset:404
	buffer_load_dword v184, off, s[0:3], 0 offset:400
	buffer_load_dword v187, off, s[0:3], 0 offset:460
	buffer_load_dword v186, off, s[0:3], 0 offset:456
	buffer_load_dword v63, off, s[0:3], 0 offset:452
	buffer_load_dword v62, off, s[0:3], 0 offset:448
	buffer_load_dword v65, off, s[0:3], 0 offset:444
	buffer_load_dword v64, off, s[0:3], 0 offset:440
	buffer_load_dword v67, off, s[0:3], 0 offset:436
	buffer_load_dword v66, off, s[0:3], 0 offset:432
	buffer_load_dword v69, off, s[0:3], 0 offset:492
	buffer_load_dword v68, off, s[0:3], 0 offset:488
	buffer_load_dword v71, off, s[0:3], 0 offset:484
	buffer_load_dword v70, off, s[0:3], 0 offset:480
	buffer_load_dword v73, off, s[0:3], 0 offset:476
	buffer_load_dword v72, off, s[0:3], 0 offset:472
	buffer_load_dword v75, off, s[0:3], 0 offset:468
	buffer_load_dword v74, off, s[0:3], 0 offset:464
	buffer_load_dword v77, off, s[0:3], 0 offset:524
	buffer_load_dword v76, off, s[0:3], 0 offset:520
	buffer_load_dword v79, off, s[0:3], 0 offset:516
	buffer_load_dword v78, off, s[0:3], 0 offset:512
	buffer_load_dword v81, off, s[0:3], 0 offset:508
	buffer_load_dword v80, off, s[0:3], 0 offset:504
	buffer_load_dword v83, off, s[0:3], 0 offset:500
	buffer_load_dword v82, off, s[0:3], 0 offset:496
	ds_read_b128 v[192:195], v198 offset:736
	ds_read_b128 v[200:203], v198 offset:752
	;; [unrolled: 1-line block ×15, first 2 shown]
	v_cmp_lt_u32_e32 vcc, 3, v0
	ds_read_b128 v[188:191], v198 offset:720
	ds_read_b128 v[58:61], v198 offset:1008
	s_waitcnt vmcnt(62) lgkmcnt(14)
	v_mul_f64 v[46:47], v[26:27], v[34:35]
	v_fmac_f64_e32 v[46:47], v[28:29], v[30:31]
	v_add_f64 v[46:47], v[46:47], 0
	v_mul_f64 v[28:29], v[28:29], v[34:35]
	v_mul_f64 v[48:49], v[22:23], v[36:37]
	v_fmac_f64_e32 v[48:49], v[24:25], v[32:33]
	v_mul_f64 v[50:51], v[18:19], v[38:39]
	v_add_f64 v[46:47], v[46:47], v[48:49]
	v_mul_f64 v[54:55], v[10:11], v[40:41]
	v_fma_f64 v[26:27], v[26:27], v[30:31], -v[28:29]
	v_fmac_f64_e32 v[54:55], v[12:13], v[106:107]
	v_mul_f64 v[24:25], v[24:25], v[36:37]
	v_mul_f64 v[52:53], v[14:15], v[112:113]
	v_add_f64 v[26:27], v[26:27], 0
	v_fma_f64 v[22:23], v[22:23], v[32:33], -v[24:25]
	v_add_f64 v[22:23], v[26:27], v[22:23]
	v_mul_f64 v[174:175], v[6:7], v[118:119]
	v_mul_f64 v[12:13], v[12:13], v[40:41]
	v_fmac_f64_e32 v[50:51], v[20:21], v[124:125]
	v_add_f64 v[46:47], v[46:47], v[50:51]
	v_fmac_f64_e32 v[52:53], v[16:17], v[122:123]
	v_add_f64 v[46:47], v[46:47], v[52:53]
	v_add_f64 v[180:181], v[46:47], v[54:55]
	ds_read_b128 v[46:49], v198 offset:704
	v_fmac_f64_e32 v[174:175], v[8:9], v[120:121]
	v_mul_f64 v[52:53], v[2:3], v[114:115]
	v_mul_f64 v[20:21], v[20:21], v[38:39]
	v_add_f64 v[50:51], v[180:181], v[174:175]
	v_fmac_f64_e32 v[52:53], v[4:5], v[116:117]
	v_fma_f64 v[18:19], v[18:19], v[124:125], -v[20:21]
	v_mul_f64 v[16:17], v[16:17], v[112:113]
	v_add_f64 v[50:51], v[50:51], v[52:53]
	s_waitcnt lgkmcnt(0)
	v_mul_f64 v[52:53], v[46:47], v[130:131]
	v_add_f64 v[18:19], v[22:23], v[18:19]
	v_fma_f64 v[14:15], v[14:15], v[122:123], -v[16:17]
	v_fmac_f64_e32 v[52:53], v[48:49], v[132:133]
	v_add_f64 v[14:15], v[18:19], v[14:15]
	v_fma_f64 v[10:11], v[10:11], v[106:107], -v[12:13]
	v_mul_f64 v[8:9], v[8:9], v[118:119]
	v_add_f64 v[50:51], v[50:51], v[52:53]
	v_mul_f64 v[52:53], v[188:189], v[126:127]
	v_add_f64 v[10:11], v[14:15], v[10:11]
	v_fma_f64 v[6:7], v[6:7], v[120:121], -v[8:9]
	v_mul_f64 v[4:5], v[4:5], v[114:115]
	v_fmac_f64_e32 v[52:53], v[190:191], v[128:129]
	v_add_f64 v[6:7], v[10:11], v[6:7]
	v_fma_f64 v[2:3], v[2:3], v[116:117], -v[4:5]
	v_mul_f64 v[4:5], v[48:49], v[130:131]
	v_add_f64 v[50:51], v[50:51], v[52:53]
	v_mul_f64 v[52:53], v[192:193], v[138:139]
	v_add_f64 v[2:3], v[6:7], v[2:3]
	v_fma_f64 v[4:5], v[46:47], v[132:133], -v[4:5]
	v_fmac_f64_e32 v[52:53], v[194:195], v[140:141]
	v_add_f64 v[2:3], v[2:3], v[4:5]
	v_mul_f64 v[4:5], v[190:191], v[126:127]
	v_add_f64 v[50:51], v[50:51], v[52:53]
	v_mul_f64 v[52:53], v[200:201], v[134:135]
	v_fma_f64 v[4:5], v[188:189], v[128:129], -v[4:5]
	v_fmac_f64_e32 v[52:53], v[202:203], v[136:137]
	v_add_f64 v[2:3], v[2:3], v[4:5]
	v_mul_f64 v[4:5], v[194:195], v[138:139]
	v_add_f64 v[50:51], v[50:51], v[52:53]
	s_waitcnt vmcnt(58)
	v_mul_f64 v[52:53], v[204:205], v[146:147]
	v_fma_f64 v[4:5], v[192:193], v[140:141], -v[4:5]
	s_waitcnt vmcnt(56)
	v_fmac_f64_e32 v[52:53], v[206:207], v[148:149]
	v_add_f64 v[2:3], v[2:3], v[4:5]
	v_mul_f64 v[4:5], v[202:203], v[134:135]
	v_add_f64 v[50:51], v[50:51], v[52:53]
	v_mul_f64 v[52:53], v[208:209], v[142:143]
	v_fma_f64 v[4:5], v[200:201], v[136:137], -v[4:5]
	v_fmac_f64_e32 v[52:53], v[210:211], v[144:145]
	v_add_f64 v[2:3], v[2:3], v[4:5]
	v_mul_f64 v[4:5], v[206:207], v[146:147]
	v_add_f64 v[50:51], v[50:51], v[52:53]
	s_waitcnt vmcnt(50)
	v_mul_f64 v[52:53], v[212:213], v[154:155]
	v_fma_f64 v[4:5], v[204:205], v[148:149], -v[4:5]
	s_waitcnt vmcnt(48)
	;; [unrolled: 14-line block ×6, first 2 shown]
	v_fmac_f64_e32 v[52:53], v[246:247], v[66:67]
	v_add_f64 v[2:3], v[2:3], v[4:5]
	v_mul_f64 v[4:5], v[242:243], v[176:177]
	v_add_f64 v[50:51], v[50:51], v[52:53]
	v_mul_f64 v[52:53], v[248:249], v[186:187]
	v_fma_f64 v[4:5], v[240:241], v[178:179], -v[4:5]
	v_fmac_f64_e32 v[52:53], v[250:251], v[62:63]
	v_add_f64 v[2:3], v[2:3], v[4:5]
	v_mul_f64 v[4:5], v[246:247], v[64:65]
	v_add_f64 v[54:55], v[50:51], v[52:53]
	ds_read_b128 v[50:53], v198 offset:976
	s_waitcnt vmcnt(10)
	v_mul_f64 v[56:57], v[252:253], v[72:73]
	v_fma_f64 v[4:5], v[244:245], v[66:67], -v[4:5]
	s_waitcnt vmcnt(8)
	v_fmac_f64_e32 v[56:57], v[254:255], v[74:75]
	v_add_f64 v[2:3], v[2:3], v[4:5]
	v_mul_f64 v[4:5], v[250:251], v[186:187]
	v_add_f64 v[84:85], v[54:55], v[56:57]
	ds_read_b128 v[54:57], v198 offset:992
	v_fma_f64 v[4:5], v[248:249], v[62:63], -v[4:5]
	v_add_f64 v[2:3], v[2:3], v[4:5]
	v_mul_f64 v[4:5], v[254:255], v[72:73]
	v_fma_f64 v[4:5], v[252:253], v[74:75], -v[4:5]
	v_add_f64 v[2:3], v[2:3], v[4:5]
	s_waitcnt lgkmcnt(1)
	v_mul_f64 v[4:5], v[52:53], v[68:69]
	v_mul_f64 v[174:175], v[50:51], v[68:69]
	v_fma_f64 v[4:5], v[50:51], v[70:71], -v[4:5]
	v_fmac_f64_e32 v[174:175], v[52:53], v[70:71]
	v_add_f64 v[2:3], v[2:3], v[4:5]
	s_waitcnt vmcnt(2) lgkmcnt(0)
	v_mul_f64 v[4:5], v[56:57], v[80:81]
	v_add_f64 v[84:85], v[84:85], v[174:175]
	v_mul_f64 v[174:175], v[54:55], v[80:81]
	s_waitcnt vmcnt(0)
	v_fma_f64 v[4:5], v[54:55], v[82:83], -v[4:5]
	v_fmac_f64_e32 v[174:175], v[56:57], v[82:83]
	v_add_f64 v[2:3], v[2:3], v[4:5]
	v_mul_f64 v[4:5], v[60:61], v[76:77]
	v_add_f64 v[84:85], v[84:85], v[174:175]
	v_mul_f64 v[174:175], v[58:59], v[76:77]
	v_fma_f64 v[4:5], v[58:59], v[78:79], -v[4:5]
	v_fmac_f64_e32 v[174:175], v[60:61], v[78:79]
	v_add_f64 v[2:3], v[2:3], v[4:5]
	v_add_f64 v[84:85], v[84:85], v[174:175]
	v_add_f64 v[2:3], v[110:111], -v[2:3]
	v_add_f64 v[4:5], v[108:109], -v[84:85]
	buffer_store_dword v3, off, s[0:3], 0 offset:84
	buffer_store_dword v2, off, s[0:3], 0 offset:80
	;; [unrolled: 1-line block ×4, first 2 shown]
	s_and_saveexec_b64 s[4:5], vcc
	s_cbranch_execz .LBB31_199
; %bb.198:
	v_accvgpr_read_b32 v5, a85
	buffer_load_dword v2, v5, s[0:3], 0 offen
	buffer_load_dword v3, v5, s[0:3], 0 offen offset:4
	buffer_load_dword v4, v5, s[0:3], 0 offen offset:8
	s_nop 0
	buffer_load_dword v5, v5, s[0:3], 0 offen offset:12
	s_nop 0
	buffer_store_dword v198, off, s[0:3], 0 offset:64
	buffer_store_dword v198, off, s[0:3], 0 offset:68
	;; [unrolled: 1-line block ×4, first 2 shown]
	s_waitcnt vmcnt(4)
	ds_write_b128 v1, v[2:5]
.LBB31_199:
	s_or_b64 exec, exec, s[4:5]
	s_waitcnt lgkmcnt(0)
	; wave barrier
	s_waitcnt lgkmcnt(0)
	buffer_load_dword v34, off, s[0:3], 0 offset:80
	buffer_load_dword v35, off, s[0:3], 0 offset:84
	;; [unrolled: 1-line block ×32, first 2 shown]
	ds_read_b128 v[30:33], v198 offset:576
	ds_read_b128 v[26:29], v198 offset:592
	;; [unrolled: 1-line block ×8, first 2 shown]
	buffer_load_dword v131, off, s[0:3], 0 offset:220
	buffer_load_dword v130, off, s[0:3], 0 offset:216
	;; [unrolled: 1-line block ×80, first 2 shown]
	v_cmp_lt_u32_e32 vcc, 2, v0
	s_waitcnt vmcnt(62) lgkmcnt(7)
	v_mul_f64 v[46:47], v[30:31], v[38:39]
	v_fmac_f64_e32 v[46:47], v[32:33], v[34:35]
	v_add_f64 v[46:47], v[46:47], 0
	v_mul_f64 v[32:33], v[32:33], v[38:39]
	s_waitcnt lgkmcnt(6)
	v_mul_f64 v[48:49], v[26:27], v[40:41]
	v_fmac_f64_e32 v[48:49], v[28:29], v[36:37]
	s_waitcnt lgkmcnt(5)
	v_mul_f64 v[50:51], v[22:23], v[106:107]
	v_add_f64 v[46:47], v[46:47], v[48:49]
	s_waitcnt lgkmcnt(4)
	v_mul_f64 v[52:53], v[18:19], v[112:113]
	v_fma_f64 v[30:31], v[30:31], v[34:35], -v[32:33]
	s_waitcnt lgkmcnt(1)
	v_mul_f64 v[186:187], v[2:3], v[114:115]
	v_mul_f64 v[28:29], v[28:29], v[40:41]
	v_add_f64 v[30:31], v[30:31], 0
	v_mul_f64 v[56:57], v[6:7], v[118:119]
	v_fma_f64 v[26:27], v[26:27], v[36:37], -v[28:29]
	v_mul_f64 v[54:55], v[10:11], v[120:121]
	v_add_f64 v[26:27], v[30:31], v[26:27]
	v_fmac_f64_e32 v[54:55], v[12:13], v[122:123]
	v_mul_f64 v[12:13], v[12:13], v[120:121]
	v_fmac_f64_e32 v[50:51], v[24:25], v[128:129]
	v_add_f64 v[46:47], v[46:47], v[50:51]
	v_fmac_f64_e32 v[52:53], v[20:21], v[126:127]
	v_add_f64 v[46:47], v[46:47], v[52:53]
	;; [unrolled: 2-line block ×3, first 2 shown]
	v_add_f64 v[188:189], v[46:47], v[56:57]
	ds_read_b128 v[46:49], v198 offset:704
	buffer_load_dword v83, off, s[0:3], 0 offset:524
	buffer_load_dword v82, off, s[0:3], 0 offset:520
	;; [unrolled: 1-line block ×4, first 2 shown]
	v_fmac_f64_e32 v[186:187], v[4:5], v[116:117]
	s_waitcnt lgkmcnt(1)
	v_mul_f64 v[52:53], v[14:15], v[134:135]
	v_add_f64 v[50:51], v[188:189], v[186:187]
	v_fmac_f64_e32 v[52:53], v[16:17], v[136:137]
	v_add_f64 v[54:55], v[50:51], v[52:53]
	ds_read_b128 v[50:53], v198 offset:720
	v_mul_f64 v[24:25], v[24:25], v[106:107]
	v_fma_f64 v[22:23], v[22:23], v[128:129], -v[24:25]
	v_mul_f64 v[20:21], v[20:21], v[112:113]
	v_add_f64 v[22:23], v[26:27], v[22:23]
	v_fma_f64 v[18:19], v[18:19], v[126:127], -v[20:21]
	s_waitcnt lgkmcnt(1)
	v_mul_f64 v[56:57], v[46:47], v[130:131]
	v_add_f64 v[18:19], v[22:23], v[18:19]
	v_fma_f64 v[10:11], v[10:11], v[122:123], -v[12:13]
	v_mul_f64 v[8:9], v[8:9], v[118:119]
	v_fmac_f64_e32 v[56:57], v[48:49], v[132:133]
	v_add_f64 v[10:11], v[18:19], v[10:11]
	v_fma_f64 v[6:7], v[6:7], v[124:125], -v[8:9]
	v_mul_f64 v[4:5], v[4:5], v[114:115]
	v_add_f64 v[58:59], v[54:55], v[56:57]
	ds_read_b128 v[54:57], v198 offset:736
	s_waitcnt lgkmcnt(1)
	v_mul_f64 v[60:61], v[50:51], v[142:143]
	v_add_f64 v[6:7], v[10:11], v[6:7]
	v_fma_f64 v[2:3], v[2:3], v[116:117], -v[4:5]
	v_mul_f64 v[4:5], v[16:17], v[134:135]
	v_fmac_f64_e32 v[60:61], v[52:53], v[144:145]
	v_add_f64 v[2:3], v[6:7], v[2:3]
	v_fma_f64 v[4:5], v[14:15], v[136:137], -v[4:5]
	v_add_f64 v[62:63], v[58:59], v[60:61]
	ds_read_b128 v[58:61], v198 offset:752
	ds_read_b128 v[186:189], v198 offset:768
	v_add_f64 v[2:3], v[2:3], v[4:5]
	v_mul_f64 v[4:5], v[48:49], v[130:131]
	v_fma_f64 v[4:5], v[46:47], v[132:133], -v[4:5]
	v_add_f64 v[2:3], v[2:3], v[4:5]
	v_mul_f64 v[4:5], v[52:53], v[142:143]
	s_waitcnt lgkmcnt(2)
	v_mul_f64 v[64:65], v[54:55], v[138:139]
	v_fma_f64 v[4:5], v[50:51], v[144:145], -v[4:5]
	v_fmac_f64_e32 v[64:65], v[56:57], v[140:141]
	ds_read_b128 v[200:203], v198 offset:784
	ds_read_b128 v[204:207], v198 offset:800
	v_add_f64 v[2:3], v[2:3], v[4:5]
	v_mul_f64 v[4:5], v[56:57], v[138:139]
	v_add_f64 v[62:63], v[62:63], v[64:65]
	s_waitcnt vmcnt(62) lgkmcnt(3)
	v_mul_f64 v[64:65], v[58:59], v[150:151]
	v_fma_f64 v[4:5], v[54:55], v[140:141], -v[4:5]
	s_waitcnt vmcnt(60)
	v_fmac_f64_e32 v[64:65], v[60:61], v[152:153]
	v_add_f64 v[2:3], v[2:3], v[4:5]
	v_mul_f64 v[4:5], v[60:61], v[150:151]
	v_add_f64 v[62:63], v[62:63], v[64:65]
	s_waitcnt lgkmcnt(2)
	v_mul_f64 v[64:65], v[186:187], v[146:147]
	v_fma_f64 v[4:5], v[58:59], v[152:153], -v[4:5]
	v_fmac_f64_e32 v[64:65], v[188:189], v[148:149]
	ds_read_b128 v[208:211], v198 offset:816
	ds_read_b128 v[212:215], v198 offset:832
	v_add_f64 v[2:3], v[2:3], v[4:5]
	v_mul_f64 v[4:5], v[188:189], v[146:147]
	v_add_f64 v[62:63], v[62:63], v[64:65]
	s_waitcnt vmcnt(54) lgkmcnt(3)
	v_mul_f64 v[64:65], v[200:201], v[158:159]
	v_fma_f64 v[4:5], v[186:187], v[148:149], -v[4:5]
	s_waitcnt vmcnt(52)
	v_fmac_f64_e32 v[64:65], v[202:203], v[160:161]
	v_add_f64 v[2:3], v[2:3], v[4:5]
	v_mul_f64 v[4:5], v[202:203], v[158:159]
	v_add_f64 v[62:63], v[62:63], v[64:65]
	s_waitcnt lgkmcnt(2)
	v_mul_f64 v[64:65], v[204:205], v[154:155]
	v_fma_f64 v[4:5], v[200:201], v[160:161], -v[4:5]
	v_fmac_f64_e32 v[64:65], v[206:207], v[156:157]
	ds_read_b128 v[216:219], v198 offset:848
	ds_read_b128 v[220:223], v198 offset:864
	v_add_f64 v[2:3], v[2:3], v[4:5]
	v_mul_f64 v[4:5], v[206:207], v[154:155]
	v_add_f64 v[62:63], v[62:63], v[64:65]
	s_waitcnt vmcnt(46) lgkmcnt(3)
	v_mul_f64 v[64:65], v[208:209], v[166:167]
	v_fma_f64 v[4:5], v[204:205], v[156:157], -v[4:5]
	s_waitcnt vmcnt(44)
	v_fmac_f64_e32 v[64:65], v[210:211], v[168:169]
	v_add_f64 v[2:3], v[2:3], v[4:5]
	v_mul_f64 v[4:5], v[210:211], v[166:167]
	v_add_f64 v[62:63], v[62:63], v[64:65]
	s_waitcnt lgkmcnt(2)
	v_mul_f64 v[64:65], v[212:213], v[162:163]
	v_fma_f64 v[4:5], v[208:209], v[168:169], -v[4:5]
	v_fmac_f64_e32 v[64:65], v[214:215], v[164:165]
	ds_read_b128 v[224:227], v198 offset:880
	ds_read_b128 v[228:231], v198 offset:896
	v_add_f64 v[2:3], v[2:3], v[4:5]
	v_mul_f64 v[4:5], v[214:215], v[162:163]
	v_add_f64 v[62:63], v[62:63], v[64:65]
	s_waitcnt vmcnt(38) lgkmcnt(3)
	v_mul_f64 v[64:65], v[216:217], v[174:175]
	v_fma_f64 v[4:5], v[212:213], v[164:165], -v[4:5]
	s_waitcnt vmcnt(36)
	v_fmac_f64_e32 v[64:65], v[218:219], v[176:177]
	v_add_f64 v[2:3], v[2:3], v[4:5]
	v_mul_f64 v[4:5], v[218:219], v[174:175]
	v_add_f64 v[62:63], v[62:63], v[64:65]
	s_waitcnt lgkmcnt(2)
	v_mul_f64 v[64:65], v[220:221], v[170:171]
	v_fma_f64 v[4:5], v[216:217], v[176:177], -v[4:5]
	v_fmac_f64_e32 v[64:65], v[222:223], v[172:173]
	ds_read_b128 v[232:235], v198 offset:912
	ds_read_b128 v[236:239], v198 offset:928
	v_add_f64 v[2:3], v[2:3], v[4:5]
	v_mul_f64 v[4:5], v[222:223], v[170:171]
	v_add_f64 v[62:63], v[62:63], v[64:65]
	s_waitcnt vmcnt(30) lgkmcnt(3)
	v_mul_f64 v[64:65], v[224:225], v[182:183]
	v_fma_f64 v[4:5], v[220:221], v[172:173], -v[4:5]
	s_waitcnt vmcnt(28)
	v_fmac_f64_e32 v[64:65], v[226:227], v[184:185]
	v_add_f64 v[2:3], v[2:3], v[4:5]
	v_mul_f64 v[4:5], v[226:227], v[182:183]
	v_add_f64 v[62:63], v[62:63], v[64:65]
	s_waitcnt lgkmcnt(2)
	v_mul_f64 v[64:65], v[228:229], v[178:179]
	v_fma_f64 v[4:5], v[224:225], v[184:185], -v[4:5]
	v_fmac_f64_e32 v[64:65], v[230:231], v[180:181]
	ds_read_b128 v[240:243], v198 offset:944
	ds_read_b128 v[244:247], v198 offset:960
	v_add_f64 v[2:3], v[2:3], v[4:5]
	v_mul_f64 v[4:5], v[230:231], v[178:179]
	v_add_f64 v[62:63], v[62:63], v[64:65]
	s_waitcnt vmcnt(22) lgkmcnt(3)
	v_mul_f64 v[64:65], v[232:233], v[194:195]
	v_fma_f64 v[4:5], v[228:229], v[180:181], -v[4:5]
	s_waitcnt vmcnt(20)
	v_fmac_f64_e32 v[64:65], v[234:235], v[196:197]
	v_add_f64 v[2:3], v[2:3], v[4:5]
	v_mul_f64 v[4:5], v[234:235], v[194:195]
	v_add_f64 v[62:63], v[62:63], v[64:65]
	s_waitcnt lgkmcnt(2)
	v_mul_f64 v[64:65], v[236:237], v[190:191]
	v_fma_f64 v[4:5], v[232:233], v[196:197], -v[4:5]
	v_fmac_f64_e32 v[64:65], v[238:239], v[192:193]
	v_add_f64 v[2:3], v[2:3], v[4:5]
	v_mul_f64 v[4:5], v[238:239], v[190:191]
	v_add_f64 v[62:63], v[62:63], v[64:65]
	s_waitcnt vmcnt(14) lgkmcnt(1)
	v_mul_f64 v[64:65], v[240:241], v[70:71]
	ds_read_b128 v[248:251], v198 offset:976
	ds_read_b128 v[252:255], v198 offset:992
	v_fma_f64 v[4:5], v[236:237], v[192:193], -v[4:5]
	s_waitcnt vmcnt(12)
	v_fmac_f64_e32 v[64:65], v[242:243], v[72:73]
	v_add_f64 v[2:3], v[2:3], v[4:5]
	v_mul_f64 v[4:5], v[242:243], v[70:71]
	v_add_f64 v[62:63], v[62:63], v[64:65]
	s_waitcnt lgkmcnt(2)
	v_mul_f64 v[64:65], v[244:245], v[66:67]
	v_fma_f64 v[4:5], v[240:241], v[72:73], -v[4:5]
	v_fmac_f64_e32 v[64:65], v[246:247], v[68:69]
	v_add_f64 v[2:3], v[2:3], v[4:5]
	v_mul_f64 v[4:5], v[246:247], v[66:67]
	v_add_f64 v[42:43], v[62:63], v[64:65]
	ds_read_b128 v[62:65], v198 offset:1008
	v_fma_f64 v[4:5], v[244:245], v[68:69], -v[4:5]
	v_add_f64 v[2:3], v[2:3], v[4:5]
	s_waitcnt vmcnt(6) lgkmcnt(2)
	v_mul_f64 v[4:5], v[250:251], v[78:79]
	v_mul_f64 v[86:87], v[248:249], v[78:79]
	s_waitcnt vmcnt(4)
	v_fma_f64 v[4:5], v[248:249], v[80:81], -v[4:5]
	v_fmac_f64_e32 v[86:87], v[250:251], v[80:81]
	v_add_f64 v[2:3], v[2:3], v[4:5]
	s_waitcnt lgkmcnt(1)
	v_mul_f64 v[4:5], v[254:255], v[74:75]
	v_add_f64 v[42:43], v[42:43], v[86:87]
	v_mul_f64 v[86:87], v[252:253], v[74:75]
	v_fma_f64 v[4:5], v[252:253], v[76:77], -v[4:5]
	v_fmac_f64_e32 v[86:87], v[254:255], v[76:77]
	v_add_f64 v[2:3], v[2:3], v[4:5]
	s_waitcnt vmcnt(2) lgkmcnt(0)
	v_mul_f64 v[4:5], v[64:65], v[82:83]
	v_add_f64 v[42:43], v[42:43], v[86:87]
	v_mul_f64 v[86:87], v[62:63], v[82:83]
	s_waitcnt vmcnt(0)
	v_fma_f64 v[4:5], v[62:63], v[84:85], -v[4:5]
	v_fmac_f64_e32 v[86:87], v[64:65], v[84:85]
	v_add_f64 v[2:3], v[2:3], v[4:5]
	v_add_f64 v[42:43], v[42:43], v[86:87]
	v_add_f64 v[2:3], v[110:111], -v[2:3]
	v_add_f64 v[4:5], v[108:109], -v[42:43]
	buffer_store_dword v3, off, s[0:3], 0 offset:68
	buffer_store_dword v2, off, s[0:3], 0 offset:64
	;; [unrolled: 1-line block ×4, first 2 shown]
	s_and_saveexec_b64 s[4:5], vcc
	s_cbranch_execz .LBB31_201
; %bb.200:
	v_accvgpr_read_b32 v5, a86
	buffer_load_dword v2, v5, s[0:3], 0 offen
	buffer_load_dword v3, v5, s[0:3], 0 offen offset:4
	buffer_load_dword v4, v5, s[0:3], 0 offen offset:8
	s_nop 0
	buffer_load_dword v5, v5, s[0:3], 0 offen offset:12
	v_mov_b32_e32 v6, 0
	buffer_store_dword v6, off, s[0:3], 0 offset:48
	buffer_store_dword v6, off, s[0:3], 0 offset:52
	buffer_store_dword v6, off, s[0:3], 0 offset:56
	buffer_store_dword v6, off, s[0:3], 0 offset:60
	s_waitcnt vmcnt(4)
	ds_write_b128 v1, v[2:5]
.LBB31_201:
	s_or_b64 exec, exec, s[4:5]
	s_waitcnt lgkmcnt(0)
	; wave barrier
	s_waitcnt lgkmcnt(0)
	buffer_load_dword v38, off, s[0:3], 0 offset:64
	buffer_load_dword v39, off, s[0:3], 0 offset:68
	;; [unrolled: 1-line block ×48, first 2 shown]
	v_mov_b32_e32 v214, 0
	ds_read_b128 v[34:37], v214 offset:560
	ds_read_b128 v[30:33], v214 offset:576
	;; [unrolled: 1-line block ×9, first 2 shown]
	v_cmp_lt_u32_e32 vcc, 1, v0
	s_waitcnt vmcnt(44) lgkmcnt(8)
	v_mul_f64 v[42:43], v[34:35], v[106:107]
	v_fmac_f64_e32 v[42:43], v[36:37], v[38:39]
	v_add_f64 v[42:43], v[42:43], 0
	v_mul_f64 v[36:37], v[36:37], v[106:107]
	s_waitcnt vmcnt(40) lgkmcnt(7)
	v_mul_f64 v[46:47], v[30:31], v[108:109]
	v_fmac_f64_e32 v[46:47], v[32:33], v[40:41]
	s_waitcnt vmcnt(38) lgkmcnt(6)
	v_mul_f64 v[48:49], v[26:27], v[110:111]
	v_add_f64 v[42:43], v[42:43], v[46:47]
	s_waitcnt vmcnt(36) lgkmcnt(4)
	v_mul_f64 v[52:53], v[18:19], v[112:113]
	v_fma_f64 v[34:35], v[34:35], v[38:39], -v[36:37]
	s_waitcnt vmcnt(34)
	v_fmac_f64_e32 v[52:53], v[20:21], v[114:115]
	v_mul_f64 v[32:33], v[32:33], v[108:109]
	s_waitcnt vmcnt(32)
	v_mul_f64 v[50:51], v[22:23], v[116:117]
	v_add_f64 v[34:35], v[34:35], 0
	s_waitcnt vmcnt(30) lgkmcnt(2)
	v_mul_f64 v[56:57], v[10:11], v[118:119]
	v_fma_f64 v[30:31], v[30:31], v[40:41], -v[32:33]
	s_waitcnt vmcnt(28)
	v_fmac_f64_e32 v[56:57], v[12:13], v[120:121]
	v_add_f64 v[30:31], v[34:35], v[30:31]
	s_waitcnt vmcnt(26)
	v_mul_f64 v[54:55], v[14:15], v[122:123]
	v_mul_f64 v[20:21], v[20:21], v[112:113]
	v_fma_f64 v[18:19], v[18:19], v[114:115], -v[20:21]
	v_mul_f64 v[12:13], v[12:13], v[118:119]
	s_waitcnt vmcnt(22) lgkmcnt(1)
	v_mul_f64 v[174:175], v[6:7], v[132:133]
	v_fma_f64 v[10:11], v[10:11], v[120:121], -v[12:13]
	s_waitcnt vmcnt(20)
	v_fmac_f64_e32 v[48:49], v[28:29], v[140:141]
	v_add_f64 v[42:43], v[42:43], v[48:49]
	s_waitcnt vmcnt(18)
	v_fmac_f64_e32 v[50:51], v[24:25], v[138:139]
	v_add_f64 v[42:43], v[42:43], v[50:51]
	;; [unrolled: 3-line block ×3, first 2 shown]
	v_add_f64 v[42:43], v[42:43], v[54:55]
	v_add_f64 v[176:177], v[42:43], v[56:57]
	buffer_load_dword v151, off, s[0:3], 0 offset:268
	buffer_load_dword v150, off, s[0:3], 0 offset:264
	;; [unrolled: 1-line block ×72, first 2 shown]
	ds_read_b128 v[46:49], v214 offset:704
	s_waitcnt vmcnt(62)
	v_fmac_f64_e32 v[174:175], v[8:9], v[134:135]
	s_waitcnt lgkmcnt(1)
	v_mul_f64 v[52:53], v[2:3], v[128:129]
	v_add_f64 v[50:51], v[176:177], v[174:175]
	v_fmac_f64_e32 v[52:53], v[4:5], v[130:131]
	v_add_f64 v[54:55], v[50:51], v[52:53]
	ds_read_b128 v[50:53], v214 offset:720
	s_waitcnt lgkmcnt(1)
	v_mul_f64 v[56:57], v[46:47], v[146:147]
	v_fmac_f64_e32 v[56:57], v[48:49], v[148:149]
	v_add_f64 v[58:59], v[54:55], v[56:57]
	ds_read_b128 v[54:57], v214 offset:736
	v_mul_f64 v[28:29], v[28:29], v[110:111]
	v_fma_f64 v[26:27], v[26:27], v[140:141], -v[28:29]
	v_mul_f64 v[24:25], v[24:25], v[116:117]
	v_add_f64 v[26:27], v[30:31], v[26:27]
	v_fma_f64 v[22:23], v[22:23], v[138:139], -v[24:25]
	s_waitcnt lgkmcnt(1)
	v_mul_f64 v[60:61], v[50:51], v[142:143]
	v_add_f64 v[22:23], v[26:27], v[22:23]
	v_mul_f64 v[16:17], v[16:17], v[122:123]
	v_fmac_f64_e32 v[60:61], v[52:53], v[144:145]
	v_add_f64 v[18:19], v[22:23], v[18:19]
	v_fma_f64 v[14:15], v[14:15], v[136:137], -v[16:17]
	v_add_f64 v[62:63], v[58:59], v[60:61]
	ds_read_b128 v[58:61], v214 offset:752
	s_waitcnt lgkmcnt(1)
	v_mul_f64 v[64:65], v[54:55], v[154:155]
	v_add_f64 v[14:15], v[18:19], v[14:15]
	v_mul_f64 v[8:9], v[8:9], v[132:133]
	v_fmac_f64_e32 v[64:65], v[56:57], v[156:157]
	v_add_f64 v[10:11], v[14:15], v[10:11]
	v_fma_f64 v[6:7], v[6:7], v[134:135], -v[8:9]
	v_mul_f64 v[4:5], v[4:5], v[128:129]
	v_add_f64 v[66:67], v[62:63], v[64:65]
	ds_read_b128 v[62:65], v214 offset:768
	ds_read_b128 v[174:177], v214 offset:784
	v_add_f64 v[6:7], v[10:11], v[6:7]
	v_fma_f64 v[2:3], v[2:3], v[130:131], -v[4:5]
	v_mul_f64 v[4:5], v[48:49], v[146:147]
	v_add_f64 v[2:3], v[6:7], v[2:3]
	v_fma_f64 v[4:5], v[46:47], v[148:149], -v[4:5]
	v_add_f64 v[2:3], v[2:3], v[4:5]
	v_mul_f64 v[4:5], v[52:53], v[142:143]
	s_waitcnt lgkmcnt(2)
	v_mul_f64 v[68:69], v[58:59], v[150:151]
	v_fma_f64 v[4:5], v[50:51], v[144:145], -v[4:5]
	v_fmac_f64_e32 v[68:69], v[60:61], v[152:153]
	ds_read_b128 v[206:209], v214 offset:800
	ds_read_b128 v[210:213], v214 offset:816
	v_add_f64 v[2:3], v[2:3], v[4:5]
	v_mul_f64 v[4:5], v[56:57], v[154:155]
	v_add_f64 v[66:67], v[66:67], v[68:69]
	s_waitcnt vmcnt(58) lgkmcnt(3)
	v_mul_f64 v[68:69], v[62:63], v[162:163]
	v_fma_f64 v[4:5], v[54:55], v[156:157], -v[4:5]
	s_waitcnt vmcnt(56)
	v_fmac_f64_e32 v[68:69], v[64:65], v[164:165]
	v_add_f64 v[2:3], v[2:3], v[4:5]
	v_mul_f64 v[4:5], v[60:61], v[150:151]
	v_add_f64 v[66:67], v[66:67], v[68:69]
	s_waitcnt lgkmcnt(2)
	v_mul_f64 v[68:69], v[174:175], v[158:159]
	v_fma_f64 v[4:5], v[58:59], v[152:153], -v[4:5]
	v_fmac_f64_e32 v[68:69], v[176:177], v[160:161]
	ds_read_b128 v[216:219], v214 offset:832
	ds_read_b128 v[220:223], v214 offset:848
	v_add_f64 v[2:3], v[2:3], v[4:5]
	v_mul_f64 v[4:5], v[64:65], v[162:163]
	v_add_f64 v[66:67], v[66:67], v[68:69]
	s_waitcnt vmcnt(50) lgkmcnt(3)
	v_mul_f64 v[68:69], v[206:207], v[170:171]
	v_fma_f64 v[4:5], v[62:63], v[164:165], -v[4:5]
	s_waitcnt vmcnt(48)
	v_fmac_f64_e32 v[68:69], v[208:209], v[172:173]
	v_add_f64 v[2:3], v[2:3], v[4:5]
	v_mul_f64 v[4:5], v[176:177], v[158:159]
	v_add_f64 v[66:67], v[66:67], v[68:69]
	;; [unrolled: 17-line block ×6, first 2 shown]
	s_waitcnt lgkmcnt(2)
	v_mul_f64 v[68:69], v[244:245], v[202:203]
	v_fma_f64 v[4:5], v[236:237], v[196:197], -v[4:5]
	v_fmac_f64_e32 v[68:69], v[246:247], v[204:205]
	v_add_f64 v[2:3], v[2:3], v[4:5]
	v_mul_f64 v[4:5], v[242:243], v[42:43]
	v_add_f64 v[66:67], v[66:67], v[68:69]
	s_waitcnt vmcnt(10) lgkmcnt(1)
	v_mul_f64 v[68:69], v[248:249], v[80:81]
	v_fma_f64 v[4:5], v[240:241], v[74:75], -v[4:5]
	s_waitcnt vmcnt(8)
	v_fmac_f64_e32 v[68:69], v[250:251], v[82:83]
	v_add_f64 v[2:3], v[2:3], v[4:5]
	v_mul_f64 v[4:5], v[246:247], v[202:203]
	v_add_f64 v[92:93], v[66:67], v[68:69]
	ds_read_b128 v[66:69], v214 offset:992
	ds_read_b128 v[70:73], v214 offset:1008
	v_fma_f64 v[4:5], v[244:245], v[204:205], -v[4:5]
	v_add_f64 v[2:3], v[2:3], v[4:5]
	v_mul_f64 v[4:5], v[250:251], v[80:81]
	v_fma_f64 v[4:5], v[248:249], v[82:83], -v[4:5]
	v_add_f64 v[2:3], v[2:3], v[4:5]
	s_waitcnt lgkmcnt(2)
	v_mul_f64 v[4:5], v[254:255], v[76:77]
	v_mul_f64 v[94:95], v[252:253], v[76:77]
	v_fma_f64 v[4:5], v[252:253], v[78:79], -v[4:5]
	v_fmac_f64_e32 v[94:95], v[254:255], v[78:79]
	v_add_f64 v[2:3], v[2:3], v[4:5]
	s_waitcnt vmcnt(2) lgkmcnt(1)
	v_mul_f64 v[4:5], v[68:69], v[88:89]
	v_add_f64 v[92:93], v[92:93], v[94:95]
	v_mul_f64 v[94:95], v[66:67], v[88:89]
	s_waitcnt vmcnt(0)
	v_fma_f64 v[4:5], v[66:67], v[90:91], -v[4:5]
	v_fmac_f64_e32 v[94:95], v[68:69], v[90:91]
	v_add_f64 v[2:3], v[2:3], v[4:5]
	s_waitcnt lgkmcnt(0)
	v_mul_f64 v[4:5], v[72:73], v[84:85]
	v_add_f64 v[92:93], v[92:93], v[94:95]
	v_mul_f64 v[94:95], v[70:71], v[84:85]
	v_fma_f64 v[4:5], v[70:71], v[86:87], -v[4:5]
	v_fmac_f64_e32 v[94:95], v[72:73], v[86:87]
	v_add_f64 v[2:3], v[2:3], v[4:5]
	v_add_f64 v[92:93], v[92:93], v[94:95]
	v_add_f64 v[2:3], v[126:127], -v[2:3]
	v_add_f64 v[4:5], v[124:125], -v[92:93]
	buffer_store_dword v3, off, s[0:3], 0 offset:52
	buffer_store_dword v2, off, s[0:3], 0 offset:48
	;; [unrolled: 1-line block ×4, first 2 shown]
	s_and_saveexec_b64 s[4:5], vcc
	s_cbranch_execz .LBB31_203
; %bb.202:
	v_accvgpr_read_b32 v5, a84
	buffer_load_dword v2, v5, s[0:3], 0 offen
	buffer_load_dword v3, v5, s[0:3], 0 offen offset:4
	buffer_load_dword v4, v5, s[0:3], 0 offen offset:8
	s_nop 0
	buffer_load_dword v5, v5, s[0:3], 0 offen offset:12
	s_nop 0
	buffer_store_dword v214, off, s[0:3], 0 offset:32
	buffer_store_dword v214, off, s[0:3], 0 offset:36
	;; [unrolled: 1-line block ×4, first 2 shown]
	s_waitcnt vmcnt(4)
	ds_write_b128 v1, v[2:5]
.LBB31_203:
	s_or_b64 exec, exec, s[4:5]
	s_waitcnt lgkmcnt(0)
	; wave barrier
	s_waitcnt lgkmcnt(0)
	buffer_load_dword v112, off, s[0:3], 0 offset:48
	buffer_load_dword v113, off, s[0:3], 0 offset:52
	buffer_load_dword v114, off, s[0:3], 0 offset:56
	buffer_load_dword v115, off, s[0:3], 0 offset:60
	buffer_load_dword v106, off, s[0:3], 0 offset:64
	buffer_load_dword v107, off, s[0:3], 0 offset:68
	buffer_load_dword v108, off, s[0:3], 0 offset:72
	buffer_load_dword v109, off, s[0:3], 0 offset:76
	buffer_load_dword v110, off, s[0:3], 0 offset:88
	buffer_load_dword v111, off, s[0:3], 0 offset:92
	buffer_load_dword v117, off, s[0:3], 0 offset:124
	buffer_load_dword v116, off, s[0:3], 0 offset:120
	buffer_load_dword v119, off, s[0:3], 0 offset:116
	buffer_load_dword v118, off, s[0:3], 0 offset:112
	buffer_load_dword v121, off, s[0:3], 0 offset:108
	buffer_load_dword v120, off, s[0:3], 0 offset:104
	buffer_load_dword v127, off, s[0:3], 0 offset:140
	buffer_load_dword v126, off, s[0:3], 0 offset:136
	buffer_load_dword v129, off, s[0:3], 0 offset:188
	buffer_load_dword v128, off, s[0:3], 0 offset:184
	buffer_load_dword v131, off, s[0:3], 0 offset:180
	buffer_load_dword v133, off, s[0:3], 0 offset:172
	buffer_load_dword v132, off, s[0:3], 0 offset:168
	buffer_load_dword v135, off, s[0:3], 0 offset:156
	buffer_load_dword v134, off, s[0:3], 0 offset:152
	buffer_load_dword v137, off, s[0:3], 0 offset:148
	buffer_load_dword v136, off, s[0:3], 0 offset:144
	buffer_load_dword v144, off, s[0:3], 0 offset:80
	buffer_load_dword v145, off, s[0:3], 0 offset:84
	buffer_load_dword v143, off, s[0:3], 0 offset:100
	buffer_load_dword v142, off, s[0:3], 0 offset:96
	buffer_load_dword v141, off, s[0:3], 0 offset:132
	buffer_load_dword v140, off, s[0:3], 0 offset:128
	buffer_load_dword v139, off, s[0:3], 0 offset:164
	buffer_load_dword v138, off, s[0:3], 0 offset:160
	buffer_load_dword v130, off, s[0:3], 0 offset:176
	buffer_load_dword v124, off, s[0:3], 0 offset:32
	buffer_load_dword v125, off, s[0:3], 0 offset:36
	buffer_load_dword v122, off, s[0:3], 0 offset:40
	buffer_load_dword v123, off, s[0:3], 0 offset:44
	ds_read_b128 v[38:41], v214 offset:544
	ds_read_b128 v[34:37], v214 offset:560
	;; [unrolled: 1-line block ×10, first 2 shown]
	buffer_load_dword v147, off, s[0:3], 0 offset:220
	buffer_load_dword v146, off, s[0:3], 0 offset:216
	buffer_load_dword v149, off, s[0:3], 0 offset:212
	buffer_load_dword v148, off, s[0:3], 0 offset:208
	buffer_load_dword v151, off, s[0:3], 0 offset:204
	buffer_load_dword v150, off, s[0:3], 0 offset:200
	buffer_load_dword v153, off, s[0:3], 0 offset:196
	buffer_load_dword v152, off, s[0:3], 0 offset:192
	v_cmp_ne_u32_e32 vcc, 0, v0
	s_waitcnt vmcnt(44) lgkmcnt(9)
	v_mul_f64 v[42:43], v[38:39], v[114:115]
	v_fmac_f64_e32 v[42:43], v[40:41], v[112:113]
	v_add_f64 v[42:43], v[42:43], 0
	v_mul_f64 v[40:41], v[40:41], v[114:115]
	s_waitcnt vmcnt(40) lgkmcnt(8)
	v_mul_f64 v[46:47], v[34:35], v[108:109]
	v_fmac_f64_e32 v[46:47], v[36:37], v[106:107]
	s_waitcnt vmcnt(38) lgkmcnt(7)
	v_mul_f64 v[48:49], v[30:31], v[110:111]
	v_add_f64 v[42:43], v[42:43], v[46:47]
	s_waitcnt vmcnt(36) lgkmcnt(5)
	v_mul_f64 v[52:53], v[22:23], v[116:117]
	v_mul_f64 v[36:37], v[36:37], v[108:109]
	s_waitcnt vmcnt(34)
	v_fmac_f64_e32 v[52:53], v[24:25], v[118:119]
	v_fma_f64 v[34:35], v[34:35], v[106:107], -v[36:37]
	s_waitcnt vmcnt(32)
	v_mul_f64 v[50:51], v[26:27], v[120:121]
	v_mul_f64 v[24:25], v[24:25], v[116:117]
	s_waitcnt vmcnt(30) lgkmcnt(4)
	v_mul_f64 v[54:55], v[18:19], v[126:127]
	v_fma_f64 v[22:23], v[22:23], v[118:119], -v[24:25]
	s_waitcnt vmcnt(28) lgkmcnt(1)
	v_mul_f64 v[186:187], v[2:3], v[128:129]
	s_waitcnt vmcnt(25)
	v_mul_f64 v[58:59], v[6:7], v[132:133]
	s_waitcnt vmcnt(23)
	;; [unrolled: 2-line block ×3, first 2 shown]
	v_fmac_f64_e32 v[56:57], v[12:13], v[136:137]
	v_mul_f64 v[12:13], v[12:13], v[134:135]
	s_waitcnt vmcnt(19)
	v_fmac_f64_e32 v[48:49], v[32:33], v[144:145]
	v_add_f64 v[42:43], v[42:43], v[48:49]
	s_waitcnt vmcnt(17)
	v_fmac_f64_e32 v[50:51], v[28:29], v[142:143]
	v_add_f64 v[42:43], v[42:43], v[50:51]
	;; [unrolled: 3-line block ×3, first 2 shown]
	v_add_f64 v[42:43], v[42:43], v[54:55]
	s_waitcnt vmcnt(13)
	v_fmac_f64_e32 v[58:59], v[8:9], v[138:139]
	v_add_f64 v[42:43], v[42:43], v[56:57]
	v_add_f64 v[188:189], v[42:43], v[58:59]
	buffer_load_dword v155, off, s[0:3], 0 offset:252
	buffer_load_dword v154, off, s[0:3], 0 offset:248
	;; [unrolled: 1-line block ×72, first 2 shown]
	ds_read_b128 v[46:49], v214 offset:704
	s_waitcnt vmcnt(62)
	v_fmac_f64_e32 v[186:187], v[4:5], v[130:131]
	s_waitcnt lgkmcnt(1)
	v_mul_f64 v[52:53], v[14:15], v[150:151]
	v_add_f64 v[50:51], v[188:189], v[186:187]
	v_fmac_f64_e32 v[52:53], v[16:17], v[152:153]
	buffer_load_dword v89, off, s[0:3], 0 offset:524
	buffer_load_dword v88, off, s[0:3], 0 offset:520
	;; [unrolled: 1-line block ×4, first 2 shown]
	v_add_f64 v[54:55], v[50:51], v[52:53]
	ds_read_b128 v[50:53], v214 offset:720
	s_waitcnt lgkmcnt(1)
	v_mul_f64 v[56:57], v[46:47], v[146:147]
	v_fmac_f64_e32 v[56:57], v[48:49], v[148:149]
	v_add_f64 v[58:59], v[54:55], v[56:57]
	ds_read_b128 v[54:57], v214 offset:736
	ds_read_b128 v[186:189], v214 offset:816
	;; [unrolled: 1-line block ×3, first 2 shown]
	s_waitcnt lgkmcnt(3)
	v_mul_f64 v[60:61], v[50:51], v[158:159]
	v_fmac_f64_e32 v[60:61], v[52:53], v[160:161]
	v_add_f64 v[62:63], v[58:59], v[60:61]
	ds_read_b128 v[58:61], v214 offset:752
	s_waitcnt lgkmcnt(3)
	v_mul_f64 v[64:65], v[54:55], v[154:155]
	v_fmac_f64_e32 v[64:65], v[56:57], v[156:157]
	v_add_f64 v[66:67], v[62:63], v[64:65]
	ds_read_b128 v[62:65], v214 offset:768
	s_waitcnt vmcnt(62) lgkmcnt(1)
	v_mul_f64 v[68:69], v[58:59], v[166:167]
	s_waitcnt vmcnt(60)
	v_fmac_f64_e32 v[68:69], v[60:61], v[168:169]
	v_add_f64 v[70:71], v[66:67], v[68:69]
	ds_read_b128 v[66:69], v214 offset:784
	s_waitcnt lgkmcnt(1)
	v_mul_f64 v[72:73], v[62:63], v[162:163]
	v_fmac_f64_e32 v[72:73], v[64:65], v[164:165]
	v_add_f64 v[92:93], v[70:71], v[72:73]
	ds_read_b128 v[70:73], v214 offset:800
	s_waitcnt vmcnt(54) lgkmcnt(1)
	v_mul_f64 v[94:95], v[66:67], v[174:175]
	s_waitcnt vmcnt(52)
	v_fmac_f64_e32 v[94:95], v[68:69], v[176:177]
	v_add_f64 v[92:93], v[92:93], v[94:95]
	ds_read_b128 v[220:223], v214 offset:848
	ds_read_b128 v[224:227], v214 offset:864
	s_waitcnt lgkmcnt(2)
	v_mul_f64 v[94:95], v[70:71], v[170:171]
	v_fmac_f64_e32 v[94:95], v[72:73], v[172:173]
	v_add_f64 v[92:93], v[92:93], v[94:95]
	s_waitcnt vmcnt(46)
	v_mul_f64 v[94:95], v[186:187], v[182:183]
	s_waitcnt vmcnt(44)
	v_fmac_f64_e32 v[94:95], v[188:189], v[184:185]
	v_add_f64 v[92:93], v[92:93], v[94:95]
	v_mul_f64 v[94:95], v[216:217], v[178:179]
	v_fmac_f64_e32 v[94:95], v[218:219], v[180:181]
	ds_read_b128 v[228:231], v214 offset:880
	ds_read_b128 v[232:235], v214 offset:896
	v_add_f64 v[92:93], v[92:93], v[94:95]
	s_waitcnt vmcnt(38) lgkmcnt(3)
	v_mul_f64 v[94:95], v[220:221], v[194:195]
	s_waitcnt vmcnt(36)
	v_fmac_f64_e32 v[94:95], v[222:223], v[196:197]
	v_add_f64 v[92:93], v[92:93], v[94:95]
	s_waitcnt lgkmcnt(2)
	v_mul_f64 v[94:95], v[224:225], v[190:191]
	v_fmac_f64_e32 v[94:95], v[226:227], v[192:193]
	ds_read_b128 v[236:239], v214 offset:912
	ds_read_b128 v[240:243], v214 offset:928
	v_add_f64 v[92:93], v[92:93], v[94:95]
	s_waitcnt vmcnt(30) lgkmcnt(3)
	v_mul_f64 v[94:95], v[228:229], v[202:203]
	s_waitcnt vmcnt(28)
	v_fmac_f64_e32 v[94:95], v[230:231], v[204:205]
	v_add_f64 v[92:93], v[92:93], v[94:95]
	s_waitcnt lgkmcnt(2)
	;; [unrolled: 11-line block ×3, first 2 shown]
	v_mul_f64 v[94:95], v[240:241], v[206:207]
	v_fmac_f64_e32 v[94:95], v[242:243], v[208:209]
	v_add_f64 v[92:93], v[92:93], v[94:95]
	v_mul_f64 v[32:33], v[32:33], v[110:111]
	s_waitcnt vmcnt(14) lgkmcnt(1)
	v_mul_f64 v[94:95], v[244:245], v[76:77]
	v_fma_f64 v[30:31], v[30:31], v[144:145], -v[32:33]
	s_waitcnt vmcnt(12)
	v_fmac_f64_e32 v[94:95], v[246:247], v[78:79]
	v_add_f64 v[92:93], v[92:93], v[94:95]
	s_waitcnt lgkmcnt(0)
	v_mul_f64 v[94:95], v[248:249], v[42:43]
	v_fmac_f64_e32 v[94:95], v[250:251], v[74:75]
	v_add_f64 v[92:93], v[92:93], v[94:95]
	v_fma_f64 v[94:95], v[38:39], v[112:113], -v[40:41]
	v_add_f64 v[94:95], v[94:95], 0
	v_add_f64 v[34:35], v[94:95], v[34:35]
	v_mul_f64 v[28:29], v[28:29], v[120:121]
	v_add_f64 v[30:31], v[34:35], v[30:31]
	v_fma_f64 v[26:27], v[26:27], v[142:143], -v[28:29]
	v_add_f64 v[26:27], v[30:31], v[26:27]
	v_mul_f64 v[20:21], v[20:21], v[126:127]
	v_add_f64 v[22:23], v[26:27], v[22:23]
	v_fma_f64 v[18:19], v[18:19], v[140:141], -v[20:21]
	v_add_f64 v[18:19], v[22:23], v[18:19]
	v_fma_f64 v[10:11], v[10:11], v[136:137], -v[12:13]
	v_mul_f64 v[8:9], v[8:9], v[132:133]
	v_add_f64 v[10:11], v[18:19], v[10:11]
	v_fma_f64 v[6:7], v[6:7], v[138:139], -v[8:9]
	v_mul_f64 v[4:5], v[4:5], v[128:129]
	;; [unrolled: 3-line block ×3, first 2 shown]
	v_add_f64 v[2:3], v[6:7], v[2:3]
	v_fma_f64 v[4:5], v[14:15], v[152:153], -v[4:5]
	v_add_f64 v[2:3], v[2:3], v[4:5]
	v_mul_f64 v[4:5], v[48:49], v[146:147]
	v_fma_f64 v[4:5], v[46:47], v[148:149], -v[4:5]
	v_add_f64 v[2:3], v[2:3], v[4:5]
	v_mul_f64 v[4:5], v[52:53], v[158:159]
	;; [unrolled: 3-line block ×15, first 2 shown]
	ds_read_b128 v[252:255], v214 offset:976
	ds_read_b128 v[38:41], v214 offset:992
	v_fma_f64 v[4:5], v[240:241], v[208:209], -v[4:5]
	v_add_f64 v[2:3], v[2:3], v[4:5]
	v_mul_f64 v[4:5], v[246:247], v[76:77]
	v_fma_f64 v[4:5], v[244:245], v[78:79], -v[4:5]
	v_add_f64 v[2:3], v[2:3], v[4:5]
	v_mul_f64 v[4:5], v[250:251], v[42:43]
	ds_read_b128 v[112:115], v214 offset:1008
	v_fma_f64 v[4:5], v[248:249], v[74:75], -v[4:5]
	v_add_f64 v[2:3], v[2:3], v[4:5]
	s_waitcnt vmcnt(6) lgkmcnt(2)
	v_mul_f64 v[4:5], v[254:255], v[84:85]
	v_mul_f64 v[96:97], v[252:253], v[84:85]
	s_waitcnt vmcnt(4)
	v_fma_f64 v[4:5], v[252:253], v[86:87], -v[4:5]
	v_fmac_f64_e32 v[96:97], v[254:255], v[86:87]
	v_add_f64 v[2:3], v[2:3], v[4:5]
	s_waitcnt lgkmcnt(1)
	v_mul_f64 v[4:5], v[40:41], v[80:81]
	v_add_f64 v[92:93], v[92:93], v[96:97]
	v_mul_f64 v[96:97], v[38:39], v[80:81]
	v_fma_f64 v[4:5], v[38:39], v[82:83], -v[4:5]
	v_fmac_f64_e32 v[96:97], v[40:41], v[82:83]
	v_add_f64 v[2:3], v[2:3], v[4:5]
	s_waitcnt vmcnt(2) lgkmcnt(0)
	v_mul_f64 v[4:5], v[114:115], v[88:89]
	v_add_f64 v[92:93], v[92:93], v[96:97]
	v_mul_f64 v[96:97], v[112:113], v[88:89]
	s_waitcnt vmcnt(0)
	v_fma_f64 v[4:5], v[112:113], v[90:91], -v[4:5]
	v_fmac_f64_e32 v[96:97], v[114:115], v[90:91]
	v_add_f64 v[2:3], v[2:3], v[4:5]
	v_add_f64 v[92:93], v[92:93], v[96:97]
	v_add_f64 v[2:3], v[124:125], -v[2:3]
	v_add_f64 v[4:5], v[122:123], -v[92:93]
	buffer_store_dword v3, off, s[0:3], 0 offset:36
	buffer_store_dword v2, off, s[0:3], 0 offset:32
	;; [unrolled: 1-line block ×4, first 2 shown]
	s_and_saveexec_b64 s[4:5], vcc
	s_cbranch_execz .LBB31_205
; %bb.204:
	buffer_load_dword v2, off, s[0:3], 0 offset:16
	buffer_load_dword v3, off, s[0:3], 0 offset:20
	buffer_load_dword v4, off, s[0:3], 0 offset:24
	buffer_load_dword v5, off, s[0:3], 0 offset:28
	v_mov_b32_e32 v0, 0
	buffer_store_dword v0, off, s[0:3], 0 offset:16
	buffer_store_dword v0, off, s[0:3], 0 offset:20
	;; [unrolled: 1-line block ×4, first 2 shown]
	s_waitcnt vmcnt(4)
	ds_write_b128 v1, v[2:5]
.LBB31_205:
	s_or_b64 exec, exec, s[4:5]
	s_waitcnt lgkmcnt(0)
	; wave barrier
	s_waitcnt lgkmcnt(0)
	buffer_load_dword v110, off, s[0:3], 0 offset:32
	buffer_load_dword v111, off, s[0:3], 0 offset:36
	;; [unrolled: 1-line block ×48, first 2 shown]
	v_mov_b32_e32 v251, 0
	ds_read_b128 v[36:39], v251 offset:528
	ds_read_b128 v[32:35], v251 offset:544
	;; [unrolled: 1-line block ×10, first 2 shown]
	s_and_b64 vcc, exec, s[20:21]
	s_waitcnt vmcnt(44) lgkmcnt(9)
	v_mul_f64 v[42:43], v[36:37], v[112:113]
	v_fmac_f64_e32 v[42:43], v[38:39], v[110:111]
	v_add_f64 v[42:43], v[42:43], 0
	v_mul_f64 v[38:39], v[38:39], v[112:113]
	s_waitcnt vmcnt(40) lgkmcnt(8)
	v_mul_f64 v[46:47], v[32:33], v[108:109]
	v_fmac_f64_e32 v[46:47], v[34:35], v[106:107]
	s_waitcnt vmcnt(38) lgkmcnt(7)
	v_mul_f64 v[48:49], v[28:29], v[40:41]
	v_add_f64 v[42:43], v[42:43], v[46:47]
	s_waitcnt vmcnt(36) lgkmcnt(5)
	v_mul_f64 v[52:53], v[20:21], v[114:115]
	v_fma_f64 v[98:99], v[36:37], v[110:111], -v[38:39]
	s_waitcnt vmcnt(34)
	v_fmac_f64_e32 v[52:53], v[22:23], v[116:117]
	v_mul_f64 v[34:35], v[34:35], v[108:109]
	s_waitcnt vmcnt(32)
	v_mul_f64 v[50:51], v[24:25], v[118:119]
	v_fma_f64 v[106:107], v[32:33], v[106:107], -v[34:35]
	s_waitcnt vmcnt(30) lgkmcnt(3)
	v_mul_f64 v[56:57], v[12:13], v[120:121]
	v_add_f64 v[98:99], v[98:99], 0
	s_waitcnt vmcnt(28)
	v_fmac_f64_e32 v[56:57], v[14:15], v[122:123]
	v_add_f64 v[98:99], v[98:99], v[106:107]
	s_waitcnt vmcnt(26)
	v_mul_f64 v[54:55], v[16:17], v[124:125]
	v_mul_f64 v[22:23], v[22:23], v[114:115]
	s_waitcnt vmcnt(24) lgkmcnt(1)
	v_mul_f64 v[60:61], v[4:5], v[126:127]
	v_fma_f64 v[20:21], v[20:21], v[116:117], -v[22:23]
	s_waitcnt vmcnt(22)
	v_fmac_f64_e32 v[60:61], v[6:7], v[128:129]
	v_mul_f64 v[14:15], v[14:15], v[120:121]
	s_waitcnt vmcnt(20)
	v_mul_f64 v[58:59], v[8:9], v[130:131]
	v_fma_f64 v[12:13], v[12:13], v[122:123], -v[14:15]
	v_mul_f64 v[6:7], v[6:7], v[126:127]
	v_fma_f64 v[4:5], v[4:5], v[128:129], -v[6:7]
	s_waitcnt vmcnt(15) lgkmcnt(0)
	v_mul_f64 v[186:187], v[0:1], v[140:141]
	s_waitcnt vmcnt(13)
	v_fmac_f64_e32 v[48:49], v[30:31], v[150:151]
	v_add_f64 v[42:43], v[42:43], v[48:49]
	s_waitcnt vmcnt(11)
	v_fmac_f64_e32 v[50:51], v[26:27], v[148:149]
	v_add_f64 v[42:43], v[42:43], v[50:51]
	;; [unrolled: 3-line block ×3, first 2 shown]
	v_add_f64 v[42:43], v[42:43], v[54:55]
	s_waitcnt vmcnt(7)
	v_fmac_f64_e32 v[58:59], v[10:11], v[144:145]
	v_add_f64 v[42:43], v[42:43], v[56:57]
	v_add_f64 v[42:43], v[42:43], v[58:59]
	;; [unrolled: 1-line block ×3, first 2 shown]
	buffer_load_dword v153, off, s[0:3], 0 offset:236
	buffer_load_dword v152, off, s[0:3], 0 offset:232
	;; [unrolled: 1-line block ×72, first 2 shown]
	s_waitcnt vmcnt(62)
	v_fmac_f64_e32 v[186:187], v[2:3], v[142:143]
	v_add_f64 v[54:55], v[194:195], v[186:187]
	ds_read_b128 v[46:49], v251 offset:688
	ds_read_b128 v[50:53], v251 offset:704
	buffer_load_dword v93, off, s[0:3], 0 offset:524
	buffer_load_dword v92, off, s[0:3], 0 offset:520
	;; [unrolled: 1-line block ×8, first 2 shown]
	v_mul_f64 v[30:31], v[30:31], v[40:41]
	v_fma_f64 v[28:29], v[28:29], v[150:151], -v[30:31]
	s_waitcnt lgkmcnt(1)
	v_mul_f64 v[56:57], v[46:47], v[138:139]
	v_fmac_f64_e32 v[56:57], v[48:49], v[136:137]
	v_add_f64 v[58:59], v[54:55], v[56:57]
	ds_read_b128 v[54:57], v251 offset:720
	v_mul_f64 v[26:27], v[26:27], v[118:119]
	v_add_f64 v[28:29], v[98:99], v[28:29]
	v_fma_f64 v[24:25], v[24:25], v[148:149], -v[26:27]
	s_waitcnt lgkmcnt(1)
	v_mul_f64 v[60:61], v[50:51], v[156:157]
	v_add_f64 v[24:25], v[28:29], v[24:25]
	v_fmac_f64_e32 v[60:61], v[52:53], v[158:159]
	v_add_f64 v[62:63], v[58:59], v[60:61]
	ds_read_b128 v[58:61], v251 offset:736
	s_waitcnt lgkmcnt(1)
	v_mul_f64 v[64:65], v[54:55], v[152:153]
	v_mul_f64 v[18:19], v[18:19], v[124:125]
	v_fmac_f64_e32 v[64:65], v[56:57], v[154:155]
	v_add_f64 v[20:21], v[24:25], v[20:21]
	v_fma_f64 v[16:17], v[16:17], v[146:147], -v[18:19]
	v_add_f64 v[66:67], v[62:63], v[64:65]
	ds_read_b128 v[62:65], v251 offset:752
	v_add_f64 v[16:17], v[20:21], v[16:17]
	v_mul_f64 v[10:11], v[10:11], v[130:131]
	v_add_f64 v[12:13], v[16:17], v[12:13]
	v_fma_f64 v[8:9], v[8:9], v[144:145], -v[10:11]
	v_add_f64 v[8:9], v[12:13], v[8:9]
	v_mul_f64 v[2:3], v[2:3], v[140:141]
	s_waitcnt vmcnt(62) lgkmcnt(1)
	v_mul_f64 v[68:69], v[58:59], v[164:165]
	v_add_f64 v[4:5], v[8:9], v[4:5]
	v_fma_f64 v[0:1], v[0:1], v[142:143], -v[2:3]
	v_mul_f64 v[2:3], v[48:49], v[138:139]
	v_fmac_f64_e32 v[68:69], v[60:61], v[166:167]
	v_add_f64 v[0:1], v[4:5], v[0:1]
	v_fma_f64 v[2:3], v[46:47], v[136:137], -v[2:3]
	v_add_f64 v[70:71], v[66:67], v[68:69]
	ds_read_b128 v[66:69], v251 offset:768
	s_waitcnt lgkmcnt(1)
	v_mul_f64 v[72:73], v[62:63], v[160:161]
	v_add_f64 v[0:1], v[0:1], v[2:3]
	v_mul_f64 v[2:3], v[52:53], v[156:157]
	v_fmac_f64_e32 v[72:73], v[64:65], v[162:163]
	v_fma_f64 v[2:3], v[50:51], v[158:159], -v[2:3]
	v_add_f64 v[74:75], v[70:71], v[72:73]
	ds_read_b128 v[70:73], v251 offset:784
	ds_read_b128 v[220:223], v251 offset:800
	v_add_f64 v[0:1], v[0:1], v[2:3]
	v_mul_f64 v[2:3], v[56:57], v[152:153]
	v_fma_f64 v[2:3], v[54:55], v[154:155], -v[2:3]
	v_add_f64 v[0:1], v[0:1], v[2:3]
	v_mul_f64 v[2:3], v[60:61], v[164:165]
	s_waitcnt vmcnt(58) lgkmcnt(2)
	v_mul_f64 v[76:77], v[66:67], v[172:173]
	v_fma_f64 v[2:3], v[58:59], v[166:167], -v[2:3]
	s_waitcnt vmcnt(56)
	v_fmac_f64_e32 v[76:77], v[68:69], v[174:175]
	ds_read_b128 v[224:227], v251 offset:816
	ds_read_b128 v[228:231], v251 offset:832
	v_add_f64 v[0:1], v[0:1], v[2:3]
	v_mul_f64 v[2:3], v[64:65], v[160:161]
	v_add_f64 v[74:75], v[74:75], v[76:77]
	s_waitcnt lgkmcnt(3)
	v_mul_f64 v[76:77], v[70:71], v[168:169]
	v_fma_f64 v[2:3], v[62:63], v[162:163], -v[2:3]
	v_fmac_f64_e32 v[76:77], v[72:73], v[170:171]
	v_add_f64 v[0:1], v[0:1], v[2:3]
	v_mul_f64 v[2:3], v[68:69], v[172:173]
	v_add_f64 v[74:75], v[74:75], v[76:77]
	s_waitcnt vmcnt(50) lgkmcnt(2)
	v_mul_f64 v[76:77], v[220:221], v[180:181]
	v_fma_f64 v[2:3], v[66:67], v[174:175], -v[2:3]
	s_waitcnt vmcnt(48)
	v_fmac_f64_e32 v[76:77], v[222:223], v[182:183]
	ds_read_b128 v[232:235], v251 offset:848
	ds_read_b128 v[236:239], v251 offset:864
	v_add_f64 v[0:1], v[0:1], v[2:3]
	v_mul_f64 v[2:3], v[72:73], v[168:169]
	v_add_f64 v[74:75], v[74:75], v[76:77]
	s_waitcnt lgkmcnt(3)
	v_mul_f64 v[76:77], v[224:225], v[176:177]
	v_fma_f64 v[2:3], v[70:71], v[170:171], -v[2:3]
	v_fmac_f64_e32 v[76:77], v[226:227], v[178:179]
	v_add_f64 v[0:1], v[0:1], v[2:3]
	v_mul_f64 v[2:3], v[222:223], v[180:181]
	v_add_f64 v[74:75], v[74:75], v[76:77]
	;; [unrolled: 17-line block ×3, first 2 shown]
	s_waitcnt vmcnt(34) lgkmcnt(2)
	v_mul_f64 v[76:77], v[236:237], v[200:201]
	v_fma_f64 v[2:3], v[228:229], v[192:193], -v[2:3]
	s_waitcnt vmcnt(32)
	v_fmac_f64_e32 v[76:77], v[238:239], v[202:203]
	ds_read_b128 v[252:255], v251 offset:912
	v_add_f64 v[0:1], v[0:1], v[2:3]
	v_mul_f64 v[2:3], v[234:235], v[184:185]
	v_add_f64 v[74:75], v[74:75], v[76:77]
	s_waitcnt lgkmcnt(2)
	v_mul_f64 v[76:77], v[240:241], v[196:197]
	v_fma_f64 v[2:3], v[232:233], v[188:189], -v[2:3]
	v_fmac_f64_e32 v[76:77], v[242:243], v[198:199]
	v_add_f64 v[0:1], v[0:1], v[2:3]
	v_mul_f64 v[2:3], v[238:239], v[200:201]
	v_add_f64 v[74:75], v[74:75], v[76:77]
	s_waitcnt vmcnt(26) lgkmcnt(1)
	v_mul_f64 v[76:77], v[244:245], v[208:209]
	v_fma_f64 v[2:3], v[236:237], v[202:203], -v[2:3]
	s_waitcnt vmcnt(24)
	v_fmac_f64_e32 v[76:77], v[246:247], v[210:211]
	v_add_f64 v[0:1], v[0:1], v[2:3]
	v_mul_f64 v[2:3], v[242:243], v[196:197]
	v_add_f64 v[78:79], v[74:75], v[76:77]
	ds_read_b128 v[74:77], v251 offset:928
	s_waitcnt lgkmcnt(1)
	v_mul_f64 v[80:81], v[252:253], v[204:205]
	v_fma_f64 v[2:3], v[240:241], v[198:199], -v[2:3]
	v_fmac_f64_e32 v[80:81], v[254:255], v[206:207]
	v_add_f64 v[0:1], v[0:1], v[2:3]
	v_mul_f64 v[2:3], v[246:247], v[208:209]
	v_add_f64 v[194:195], v[78:79], v[80:81]
	ds_read_b128 v[78:81], v251 offset:944
	ds_read_b128 v[82:85], v251 offset:960
	v_fma_f64 v[2:3], v[244:245], v[210:211], -v[2:3]
	v_add_f64 v[0:1], v[0:1], v[2:3]
	v_mul_f64 v[2:3], v[254:255], v[204:205]
	v_fma_f64 v[2:3], v[252:253], v[206:207], -v[2:3]
	v_add_f64 v[0:1], v[0:1], v[2:3]
	s_waitcnt vmcnt(18) lgkmcnt(2)
	v_mul_f64 v[2:3], v[76:77], v[216:217]
	ds_read_b128 v[36:39], v251 offset:976
	ds_read_b128 v[110:113], v251 offset:992
	s_waitcnt vmcnt(16)
	v_fma_f64 v[2:3], v[74:75], v[218:219], -v[2:3]
	v_mul_f64 v[248:249], v[74:75], v[216:217]
	v_add_f64 v[0:1], v[0:1], v[2:3]
	s_waitcnt lgkmcnt(3)
	v_mul_f64 v[2:3], v[80:81], v[212:213]
	v_fmac_f64_e32 v[248:249], v[76:77], v[218:219]
	v_fma_f64 v[2:3], v[78:79], v[214:215], -v[2:3]
	v_add_f64 v[194:195], v[194:195], v[248:249]
	v_mul_f64 v[248:249], v[78:79], v[212:213]
	v_add_f64 v[0:1], v[0:1], v[2:3]
	s_waitcnt vmcnt(10) lgkmcnt(2)
	v_mul_f64 v[2:3], v[84:85], v[88:89]
	v_fmac_f64_e32 v[248:249], v[80:81], v[214:215]
	ds_read_b128 v[32:35], v251 offset:1008
	s_waitcnt vmcnt(8)
	v_fma_f64 v[2:3], v[82:83], v[90:91], -v[2:3]
	v_add_f64 v[194:195], v[194:195], v[248:249]
	v_mul_f64 v[248:249], v[82:83], v[88:89]
	v_add_f64 v[0:1], v[0:1], v[2:3]
	s_waitcnt lgkmcnt(2)
	v_mul_f64 v[2:3], v[38:39], v[42:43]
	v_fmac_f64_e32 v[248:249], v[84:85], v[90:91]
	v_mul_f64 v[108:109], v[36:37], v[42:43]
	v_fma_f64 v[2:3], v[36:37], v[86:87], -v[2:3]
	v_add_f64 v[194:195], v[194:195], v[248:249]
	v_fmac_f64_e32 v[108:109], v[38:39], v[86:87]
	v_add_f64 v[0:1], v[0:1], v[2:3]
	s_waitcnt vmcnt(2) lgkmcnt(1)
	v_mul_f64 v[2:3], v[112:113], v[96:97]
	v_add_f64 v[108:109], v[194:195], v[108:109]
	v_mul_f64 v[194:195], v[110:111], v[96:97]
	s_waitcnt vmcnt(0)
	v_fma_f64 v[2:3], v[110:111], v[186:187], -v[2:3]
	v_fmac_f64_e32 v[194:195], v[112:113], v[186:187]
	v_add_f64 v[0:1], v[0:1], v[2:3]
	s_waitcnt lgkmcnt(0)
	v_mul_f64 v[2:3], v[34:35], v[92:93]
	v_add_f64 v[108:109], v[108:109], v[194:195]
	v_mul_f64 v[194:195], v[32:33], v[92:93]
	v_fma_f64 v[2:3], v[32:33], v[94:95], -v[2:3]
	v_fmac_f64_e32 v[194:195], v[34:35], v[94:95]
	v_add_f64 v[0:1], v[0:1], v[2:3]
	v_add_f64 v[108:109], v[108:109], v[194:195]
	v_add_f64 v[0:1], v[134:135], -v[0:1]
	v_add_f64 v[2:3], v[132:133], -v[108:109]
	buffer_store_dword v1, off, s[0:3], 0 offset:20
	buffer_store_dword v0, off, s[0:3], 0 offset:16
	;; [unrolled: 1-line block ×4, first 2 shown]
	s_cbranch_vccz .LBB31_269
; %bb.206:
	v_pk_mov_b32 v[0:1], s[10:11], s[10:11] op_sel:[0,1]
	flat_load_dword v0, v[0:1] offset:120
	s_waitcnt vmcnt(0) lgkmcnt(0)
	v_add_u32_e32 v0, -1, v0
	v_cmp_ne_u32_e32 vcc, 30, v0
	s_and_saveexec_b64 s[4:5], vcc
	s_cbranch_execz .LBB31_208
; %bb.207:
	v_mov_b32_e32 v1, 16
	v_accvgpr_read_b32 v9, a57
	v_lshl_add_u32 v0, v0, 4, v1
	buffer_load_dword v1, v9, s[0:3], 0 offen offset:4
	buffer_load_dword v2, v9, s[0:3], 0 offen offset:8
	buffer_load_dword v3, v9, s[0:3], 0 offen offset:12
	buffer_load_dword v4, v0, s[0:3], 0 offen
	buffer_load_dword v5, v0, s[0:3], 0 offen offset:4
	buffer_load_dword v6, v0, s[0:3], 0 offen offset:8
	buffer_load_dword v7, v0, s[0:3], 0 offen offset:12
	buffer_load_dword v8, v9, s[0:3], 0 offen
	s_waitcnt vmcnt(4)
	buffer_store_dword v4, v9, s[0:3], 0 offen
	s_waitcnt vmcnt(4)
	buffer_store_dword v5, v9, s[0:3], 0 offen offset:4
	s_waitcnt vmcnt(4)
	buffer_store_dword v6, v9, s[0:3], 0 offen offset:8
	s_waitcnt vmcnt(4)
	buffer_store_dword v7, v9, s[0:3], 0 offen offset:12
	buffer_store_dword v3, v0, s[0:3], 0 offen offset:12
	buffer_store_dword v2, v0, s[0:3], 0 offen offset:8
	buffer_store_dword v1, v0, s[0:3], 0 offen offset:4
	s_waitcnt vmcnt(7)
	buffer_store_dword v8, v0, s[0:3], 0 offen
.LBB31_208:
	s_or_b64 exec, exec, s[4:5]
	v_pk_mov_b32 v[0:1], s[10:11], s[10:11] op_sel:[0,1]
	flat_load_dword v0, v[0:1] offset:116
	s_waitcnt vmcnt(0) lgkmcnt(0)
	v_add_u32_e32 v0, -1, v0
	v_cmp_ne_u32_e32 vcc, 29, v0
	s_and_saveexec_b64 s[4:5], vcc
	s_cbranch_execz .LBB31_210
; %bb.209:
	v_mov_b32_e32 v1, 16
	v_accvgpr_read_b32 v9, a58
	v_lshl_add_u32 v0, v0, 4, v1
	buffer_load_dword v1, v9, s[0:3], 0 offen offset:4
	buffer_load_dword v2, v9, s[0:3], 0 offen offset:8
	buffer_load_dword v3, v9, s[0:3], 0 offen offset:12
	buffer_load_dword v4, v0, s[0:3], 0 offen
	buffer_load_dword v5, v0, s[0:3], 0 offen offset:4
	buffer_load_dword v6, v0, s[0:3], 0 offen offset:8
	buffer_load_dword v7, v0, s[0:3], 0 offen offset:12
	buffer_load_dword v8, v9, s[0:3], 0 offen
	s_waitcnt vmcnt(4)
	buffer_store_dword v4, v9, s[0:3], 0 offen
	s_waitcnt vmcnt(4)
	buffer_store_dword v5, v9, s[0:3], 0 offen offset:4
	s_waitcnt vmcnt(4)
	buffer_store_dword v6, v9, s[0:3], 0 offen offset:8
	s_waitcnt vmcnt(4)
	buffer_store_dword v7, v9, s[0:3], 0 offen offset:12
	buffer_store_dword v3, v0, s[0:3], 0 offen offset:12
	buffer_store_dword v2, v0, s[0:3], 0 offen offset:8
	buffer_store_dword v1, v0, s[0:3], 0 offen offset:4
	s_waitcnt vmcnt(7)
	buffer_store_dword v8, v0, s[0:3], 0 offen
.LBB31_210:
	s_or_b64 exec, exec, s[4:5]
	;; [unrolled: 34-line block ×30, first 2 shown]
	v_pk_mov_b32 v[0:1], s[10:11], s[10:11] op_sel:[0,1]
	flat_load_dword v0, v[0:1]
	s_waitcnt vmcnt(0) lgkmcnt(0)
	v_add_u32_e32 v0, -1, v0
	v_cmp_ne_u32_e32 vcc, 0, v0
	s_and_saveexec_b64 s[4:5], vcc
	s_cbranch_execz .LBB31_268
; %bb.267:
	v_mov_b32_e32 v1, 16
	v_lshl_add_u32 v0, v0, 4, v1
	buffer_load_dword v1, v0, s[0:3], 0 offen
	buffer_load_dword v2, v0, s[0:3], 0 offen offset:4
	buffer_load_dword v3, v0, s[0:3], 0 offen offset:8
	;; [unrolled: 1-line block ×3, first 2 shown]
	buffer_load_dword v5, off, s[0:3], 0 offset:28
	buffer_load_dword v6, off, s[0:3], 0 offset:24
	;; [unrolled: 1-line block ×4, first 2 shown]
	s_waitcnt vmcnt(7)
	buffer_store_dword v1, off, s[0:3], 0 offset:16
	s_waitcnt vmcnt(7)
	buffer_store_dword v2, off, s[0:3], 0 offset:20
	;; [unrolled: 2-line block ×4, first 2 shown]
	s_waitcnt vmcnt(7)
	buffer_store_dword v5, v0, s[0:3], 0 offen offset:12
	s_waitcnt vmcnt(7)
	buffer_store_dword v6, v0, s[0:3], 0 offen offset:8
	;; [unrolled: 2-line block ×3, first 2 shown]
	s_waitcnt vmcnt(7)
	buffer_store_dword v8, v0, s[0:3], 0 offen
.LBB31_268:
	s_or_b64 exec, exec, s[4:5]
.LBB31_269:
	buffer_load_dword v0, off, s[0:3], 0 offset:16
	buffer_load_dword v1, off, s[0:3], 0 offset:20
	;; [unrolled: 1-line block ×4, first 2 shown]
	v_accvgpr_read_b32 v19, a84
	buffer_load_dword v5, v19, s[0:3], 0 offen offset:4
	buffer_load_dword v6, v19, s[0:3], 0 offen offset:8
	;; [unrolled: 1-line block ×3, first 2 shown]
	v_accvgpr_read_b32 v21, a86
	buffer_load_dword v8, v21, s[0:3], 0 offen
	buffer_load_dword v9, v21, s[0:3], 0 offen offset:4
	buffer_load_dword v10, v21, s[0:3], 0 offen offset:8
	buffer_load_dword v4, v19, s[0:3], 0 offen
	buffer_load_dword v11, v21, s[0:3], 0 offen offset:12
	v_accvgpr_read_b32 v20, a85
	buffer_load_dword v13, v20, s[0:3], 0 offen offset:4
	buffer_load_dword v14, v20, s[0:3], 0 offen offset:8
	;; [unrolled: 1-line block ×3, first 2 shown]
	v_accvgpr_read_b32 v28, a81
	buffer_load_dword v16, v28, s[0:3], 0 offen
	buffer_load_dword v17, v28, s[0:3], 0 offen offset:4
	buffer_load_dword v18, v28, s[0:3], 0 offen offset:8
	buffer_load_dword v12, v20, s[0:3], 0 offen
                                        ; kill: killed $vgpr21
                                        ; kill: killed $vgpr19
                                        ; kill: killed $vgpr20
	buffer_load_dword v19, v28, s[0:3], 0 offen offset:12
	v_accvgpr_read_b32 v36, a83
	buffer_load_dword v21, v36, s[0:3], 0 offen offset:4
	buffer_load_dword v22, v36, s[0:3], 0 offen offset:8
	buffer_load_dword v23, v36, s[0:3], 0 offen offset:12
	v_accvgpr_read_b32 v35, a82
	buffer_load_dword v24, v35, s[0:3], 0 offen
	buffer_load_dword v25, v35, s[0:3], 0 offen offset:4
	buffer_load_dword v26, v35, s[0:3], 0 offen offset:8
	buffer_load_dword v20, v36, s[0:3], 0 offen
	buffer_load_dword v27, v35, s[0:3], 0 offen offset:12
	v_accvgpr_read_b32 v41, a80
	buffer_load_dword v29, v41, s[0:3], 0 offen offset:4
	buffer_load_dword v30, v41, s[0:3], 0 offen offset:8
	;; [unrolled: 1-line block ×3, first 2 shown]
	v_accvgpr_read_b32 v40, a79
	buffer_load_dword v32, v40, s[0:3], 0 offen
	buffer_load_dword v33, v40, s[0:3], 0 offen offset:4
	buffer_load_dword v34, v40, s[0:3], 0 offen offset:8
                                        ; kill: killed $vgpr36
                                        ; kill: killed $vgpr28
                                        ; kill: killed $vgpr35
	buffer_load_dword v28, v41, s[0:3], 0 offen
	buffer_load_dword v35, v40, s[0:3], 0 offen offset:12
	v_accvgpr_read_b32 v36, a78
	buffer_load_dword v37, v36, s[0:3], 0 offen offset:4
	buffer_load_dword v38, v36, s[0:3], 0 offen offset:8
	;; [unrolled: 1-line block ×3, first 2 shown]
                                        ; kill: killed $vgpr40
	v_accvgpr_read_b32 v40, a77
	buffer_load_dword v46, v40, s[0:3], 0 offen
	buffer_load_dword v47, v40, s[0:3], 0 offen offset:4
	buffer_load_dword v48, v40, s[0:3], 0 offen offset:8
	s_nop 0
	buffer_load_dword v36, v36, s[0:3], 0 offen
	s_nop 0
	buffer_load_dword v49, v40, s[0:3], 0 offen offset:12
                                        ; kill: killed $vgpr41
	v_accvgpr_read_b32 v41, a76
	buffer_load_dword v51, v41, s[0:3], 0 offen offset:4
	buffer_load_dword v52, v41, s[0:3], 0 offen offset:8
	buffer_load_dword v53, v41, s[0:3], 0 offen offset:12
	v_accvgpr_read_b32 v40, a75
	buffer_load_dword v54, v40, s[0:3], 0 offen
	buffer_load_dword v55, v40, s[0:3], 0 offen offset:4
	buffer_load_dword v56, v40, s[0:3], 0 offen offset:8
	buffer_load_dword v50, v41, s[0:3], 0 offen
	buffer_load_dword v57, v40, s[0:3], 0 offen offset:12
	v_accvgpr_read_b32 v41, a74
	buffer_load_dword v59, v41, s[0:3], 0 offen offset:4
	buffer_load_dword v60, v41, s[0:3], 0 offen offset:8
	buffer_load_dword v61, v41, s[0:3], 0 offen offset:12
	v_accvgpr_read_b32 v40, a73
	buffer_load_dword v62, v40, s[0:3], 0 offen
	buffer_load_dword v63, v40, s[0:3], 0 offen offset:4
	buffer_load_dword v64, v40, s[0:3], 0 offen offset:8
	buffer_load_dword v58, v41, s[0:3], 0 offen
	buffer_load_dword v65, v40, s[0:3], 0 offen offset:12
	;; [unrolled: 10-line block ×8, first 2 shown]
	v_accvgpr_read_b32 v41, a60
	v_accvgpr_read_b32 v40, a59
	buffer_load_dword v135, v41, s[0:3], 0 offen offset:4
	buffer_load_dword v136, v41, s[0:3], 0 offen offset:8
	;; [unrolled: 1-line block ×3, first 2 shown]
	buffer_load_dword v138, v40, s[0:3], 0 offen
	buffer_load_dword v139, v40, s[0:3], 0 offen offset:4
	buffer_load_dword v140, v40, s[0:3], 0 offen offset:8
	buffer_load_dword v134, v41, s[0:3], 0 offen
	buffer_load_dword v141, v40, s[0:3], 0 offen offset:12
	v_accvgpr_read_b32 v41, a58
	v_accvgpr_read_b32 v40, a57
	buffer_load_dword v143, v41, s[0:3], 0 offen offset:4
	buffer_load_dword v144, v41, s[0:3], 0 offen offset:8
	;; [unrolled: 1-line block ×3, first 2 shown]
	buffer_load_dword v146, v40, s[0:3], 0 offen
	buffer_load_dword v147, v40, s[0:3], 0 offen offset:4
	buffer_load_dword v148, v40, s[0:3], 0 offen offset:8
	buffer_load_dword v142, v41, s[0:3], 0 offen
	buffer_load_dword v149, v40, s[0:3], 0 offen offset:12
	v_accvgpr_read_b32 v40, a56
	buffer_load_dword v150, v40, s[0:3], 0 offen
	buffer_load_dword v151, v40, s[0:3], 0 offen offset:4
	buffer_load_dword v152, v40, s[0:3], 0 offen offset:8
	;; [unrolled: 1-line block ×3, first 2 shown]
	s_waitcnt vmcnt(62)
	global_store_dwordx4 v[44:45], v[0:3], off
	s_nop 0
	v_accvgpr_read_b32 v0, a2
	v_accvgpr_read_b32 v1, a3
	global_store_dwordx4 v[0:1], v[4:7], off
	v_accvgpr_read_b32 v0, a0
	v_accvgpr_read_b32 v1, a1
	global_store_dwordx4 v[0:1], v[8:11], off
	;; [unrolled: 3-line block ×14, first 2 shown]
	v_accvgpr_read_b32 v0, a30
	v_accvgpr_read_b32 v1, a31
	s_waitcnt vmcnt(62)
	global_store_dwordx4 v[0:1], v[66:69], off
	v_accvgpr_read_b32 v0, a32
	v_accvgpr_read_b32 v1, a33
	global_store_dwordx4 v[0:1], v[70:73], off
	v_accvgpr_read_b32 v0, a34
	v_accvgpr_read_b32 v1, a35
	;; [unrolled: 3-line block ×4, first 2 shown]
	s_waitcnt vmcnt(62)
	global_store_dwordx4 v[0:1], v[82:85], off
	v_accvgpr_read_b32 v0, a40
	v_accvgpr_read_b32 v1, a41
	global_store_dwordx4 v[0:1], v[106:109], off
	v_accvgpr_read_b32 v0, a42
	v_accvgpr_read_b32 v1, a43
	s_waitcnt vmcnt(58)
	global_store_dwordx4 v[0:1], v[110:113], off
	v_accvgpr_read_b32 v0, a44
	v_accvgpr_read_b32 v1, a45
	s_waitcnt vmcnt(58)
	;; [unrolled: 4-line block ×7, first 2 shown]
	global_store_dwordx4 v[0:1], v[134:137], off
	s_waitcnt vmcnt(40)
	global_store_dwordx4 v[100:101], v[138:141], off
	s_waitcnt vmcnt(34)
	;; [unrolled: 2-line block ×3, first 2 shown]
	global_store_dwordx4 v[104:105], v[146:149], off
	v_accvgpr_read_b32 v0, a20
	v_accvgpr_read_b32 v1, a21
	s_waitcnt vmcnt(31)
	global_store_dwordx4 v[0:1], v[150:153], off
	s_endpgm
	.section	.rodata,"a",@progbits
	.p2align	6, 0x0
	.amdhsa_kernel _ZN9rocsolver6v33100L18getri_kernel_smallILi32E19rocblas_complex_numIdEPS3_EEvT1_iilPiilS6_bb
		.amdhsa_group_segment_fixed_size 1032
		.amdhsa_private_segment_fixed_size 544
		.amdhsa_kernarg_size 60
		.amdhsa_user_sgpr_count 8
		.amdhsa_user_sgpr_private_segment_buffer 1
		.amdhsa_user_sgpr_dispatch_ptr 0
		.amdhsa_user_sgpr_queue_ptr 0
		.amdhsa_user_sgpr_kernarg_segment_ptr 1
		.amdhsa_user_sgpr_dispatch_id 0
		.amdhsa_user_sgpr_flat_scratch_init 1
		.amdhsa_user_sgpr_kernarg_preload_length 0
		.amdhsa_user_sgpr_kernarg_preload_offset 0
		.amdhsa_user_sgpr_private_segment_size 0
		.amdhsa_uses_dynamic_stack 0
		.amdhsa_system_sgpr_private_segment_wavefront_offset 1
		.amdhsa_system_sgpr_workgroup_id_x 1
		.amdhsa_system_sgpr_workgroup_id_y 0
		.amdhsa_system_sgpr_workgroup_id_z 0
		.amdhsa_system_sgpr_workgroup_info 0
		.amdhsa_system_vgpr_workitem_id 0
		.amdhsa_next_free_vgpr 343
		.amdhsa_next_free_sgpr 23
		.amdhsa_accum_offset 256
		.amdhsa_reserve_vcc 1
		.amdhsa_reserve_flat_scratch 1
		.amdhsa_float_round_mode_32 0
		.amdhsa_float_round_mode_16_64 0
		.amdhsa_float_denorm_mode_32 3
		.amdhsa_float_denorm_mode_16_64 3
		.amdhsa_dx10_clamp 1
		.amdhsa_ieee_mode 1
		.amdhsa_fp16_overflow 0
		.amdhsa_tg_split 0
		.amdhsa_exception_fp_ieee_invalid_op 0
		.amdhsa_exception_fp_denorm_src 0
		.amdhsa_exception_fp_ieee_div_zero 0
		.amdhsa_exception_fp_ieee_overflow 0
		.amdhsa_exception_fp_ieee_underflow 0
		.amdhsa_exception_fp_ieee_inexact 0
		.amdhsa_exception_int_div_zero 0
	.end_amdhsa_kernel
	.section	.text._ZN9rocsolver6v33100L18getri_kernel_smallILi32E19rocblas_complex_numIdEPS3_EEvT1_iilPiilS6_bb,"axG",@progbits,_ZN9rocsolver6v33100L18getri_kernel_smallILi32E19rocblas_complex_numIdEPS3_EEvT1_iilPiilS6_bb,comdat
.Lfunc_end31:
	.size	_ZN9rocsolver6v33100L18getri_kernel_smallILi32E19rocblas_complex_numIdEPS3_EEvT1_iilPiilS6_bb, .Lfunc_end31-_ZN9rocsolver6v33100L18getri_kernel_smallILi32E19rocblas_complex_numIdEPS3_EEvT1_iilPiilS6_bb
                                        ; -- End function
	.section	.AMDGPU.csdata,"",@progbits
; Kernel info:
; codeLenInByte = 73412
; NumSgprs: 29
; NumVgprs: 256
; NumAgprs: 87
; TotalNumVgprs: 343
; ScratchSize: 544
; MemoryBound: 0
; FloatMode: 240
; IeeeMode: 1
; LDSByteSize: 1032 bytes/workgroup (compile time only)
; SGPRBlocks: 3
; VGPRBlocks: 42
; NumSGPRsForWavesPerEU: 29
; NumVGPRsForWavesPerEU: 343
; AccumOffset: 256
; Occupancy: 1
; WaveLimiterHint : 1
; COMPUTE_PGM_RSRC2:SCRATCH_EN: 1
; COMPUTE_PGM_RSRC2:USER_SGPR: 8
; COMPUTE_PGM_RSRC2:TRAP_HANDLER: 0
; COMPUTE_PGM_RSRC2:TGID_X_EN: 1
; COMPUTE_PGM_RSRC2:TGID_Y_EN: 0
; COMPUTE_PGM_RSRC2:TGID_Z_EN: 0
; COMPUTE_PGM_RSRC2:TIDIG_COMP_CNT: 0
; COMPUTE_PGM_RSRC3_GFX90A:ACCUM_OFFSET: 63
; COMPUTE_PGM_RSRC3_GFX90A:TG_SPLIT: 0
	.section	.text._ZN9rocsolver6v33100L18getri_kernel_smallILi33E19rocblas_complex_numIdEPS3_EEvT1_iilPiilS6_bb,"axG",@progbits,_ZN9rocsolver6v33100L18getri_kernel_smallILi33E19rocblas_complex_numIdEPS3_EEvT1_iilPiilS6_bb,comdat
	.globl	_ZN9rocsolver6v33100L18getri_kernel_smallILi33E19rocblas_complex_numIdEPS3_EEvT1_iilPiilS6_bb ; -- Begin function _ZN9rocsolver6v33100L18getri_kernel_smallILi33E19rocblas_complex_numIdEPS3_EEvT1_iilPiilS6_bb
	.p2align	8
	.type	_ZN9rocsolver6v33100L18getri_kernel_smallILi33E19rocblas_complex_numIdEPS3_EEvT1_iilPiilS6_bb,@function
_ZN9rocsolver6v33100L18getri_kernel_smallILi33E19rocblas_complex_numIdEPS3_EEvT1_iilPiilS6_bb: ; @_ZN9rocsolver6v33100L18getri_kernel_smallILi33E19rocblas_complex_numIdEPS3_EEvT1_iilPiilS6_bb
; %bb.0:
	s_add_u32 flat_scratch_lo, s6, s9
	s_addc_u32 flat_scratch_hi, s7, 0
	s_add_u32 s0, s0, s9
	s_addc_u32 s1, s1, 0
	v_cmp_gt_u32_e32 vcc, 33, v0
	s_and_saveexec_b64 s[6:7], vcc
	s_cbranch_execz .LBB32_146
; %bb.1:
	s_load_dword s22, s[4:5], 0x38
	s_load_dwordx4 s[16:19], s[4:5], 0x10
	s_load_dwordx4 s[12:15], s[4:5], 0x28
                                        ; implicit-def: $sgpr10_sgpr11
	s_waitcnt lgkmcnt(0)
	s_bitcmp1_b32 s22, 8
	s_cselect_b64 s[20:21], -1, 0
	s_ashr_i32 s9, s8, 31
	s_bfe_u32 s6, s22, 0x10008
	s_cmp_eq_u32 s6, 0
	s_cbranch_scc1 .LBB32_3
; %bb.2:
	s_load_dword s6, s[4:5], 0x20
	s_mul_i32 s7, s8, s13
	s_mul_hi_u32 s10, s8, s12
	s_mul_i32 s11, s9, s12
	s_add_i32 s10, s10, s7
	s_add_i32 s11, s10, s11
	s_mul_i32 s10, s8, s12
	s_waitcnt lgkmcnt(0)
	s_ashr_i32 s7, s6, 31
	s_lshl_b64 s[10:11], s[10:11], 2
	s_add_u32 s10, s18, s10
	s_addc_u32 s11, s19, s11
	s_lshl_b64 s[6:7], s[6:7], 2
	s_add_u32 s10, s10, s6
	s_addc_u32 s11, s11, s7
.LBB32_3:
	s_load_dwordx4 s[4:7], s[4:5], 0x0
	s_mul_i32 s12, s8, s17
	s_mul_hi_u32 s13, s8, s16
	s_add_i32 s17, s13, s12
	v_lshlrev_b32_e32 v1, 4, v0
	s_waitcnt lgkmcnt(0)
	s_ashr_i32 s13, s6, 31
	s_mov_b32 s12, s6
	s_mul_i32 s6, s9, s16
	s_add_i32 s17, s17, s6
	s_mul_i32 s16, s8, s16
	s_lshl_b64 s[16:17], s[16:17], 4
	s_add_u32 s6, s4, s16
	s_addc_u32 s16, s5, s17
	s_lshl_b64 s[4:5], s[12:13], 4
	s_add_u32 s4, s6, s4
	s_addc_u32 s5, s16, s5
	v_mov_b32_e32 v2, s5
	v_add_co_u32_e32 v118, vcc, s4, v1
	s_ashr_i32 s13, s7, 31
	s_mov_b32 s12, s7
	s_add_i32 s6, s7, s7
	v_addc_co_u32_e32 v119, vcc, 0, v2, vcc
	global_load_dwordx4 v[2:5], v1, s[4:5]
	s_lshl_b64 s[12:13], s[12:13], 4
	v_add_u32_e32 v14, s6, v0
	v_mov_b32_e32 v6, s13
	v_add_co_u32_e32 v10, vcc, s12, v118
	v_ashrrev_i32_e32 v15, 31, v14
	v_addc_co_u32_e32 v11, vcc, v119, v6, vcc
	v_lshlrev_b64 v[6:7], 4, v[14:15]
	v_mov_b32_e32 v8, s5
	v_add_co_u32_e32 v12, vcc, s4, v6
	v_addc_co_u32_e32 v13, vcc, v8, v7, vcc
	global_load_dwordx4 v[6:9], v[10:11], off
	v_add_u32_e32 v14, s7, v14
	v_ashrrev_i32_e32 v15, 31, v14
	v_lshlrev_b64 v[16:17], 4, v[14:15]
	v_mov_b32_e32 v15, s5
	v_add_co_u32_e32 v20, vcc, s4, v16
	v_add_u32_e32 v14, s7, v14
	v_addc_co_u32_e32 v21, vcc, v15, v17, vcc
	v_ashrrev_i32_e32 v15, 31, v14
	v_add_u32_e32 v16, s7, v14
	v_lshlrev_b64 v[14:15], 4, v[14:15]
	v_mov_b32_e32 v18, s5
	v_ashrrev_i32_e32 v17, 31, v16
	v_add_co_u32_e32 v28, vcc, s4, v14
	v_add_u32_e32 v22, s7, v16
	v_addc_co_u32_e32 v29, vcc, v18, v15, vcc
	v_lshlrev_b64 v[24:25], 4, v[16:17]
	v_mov_b32_e32 v26, s5
	v_ashrrev_i32_e32 v23, 31, v22
	v_add_co_u32_e32 v24, vcc, s4, v24
	v_accvgpr_write_b32 a0, v10
	v_accvgpr_write_b32 a2, v12
	v_add_u32_e32 v30, s7, v22
	v_addc_co_u32_e32 v25, vcc, v26, v25, vcc
	v_lshlrev_b64 v[22:23], 4, v[22:23]
	v_accvgpr_write_b32 a1, v11
	v_accvgpr_write_b32 a3, v13
	global_load_dwordx4 v[10:13], v[12:13], off
	v_mov_b32_e32 v27, s5
	global_load_dwordx4 v[14:17], v[20:21], off
	v_ashrrev_i32_e32 v31, 31, v30
	v_add_co_u32_e32 v26, vcc, s4, v22
	v_addc_co_u32_e32 v27, vcc, v27, v23, vcc
	v_lshlrev_b64 v[32:33], 4, v[30:31]
	v_add_u32_e32 v38, s7, v30
	v_mov_b32_e32 v31, s5
	v_add_co_u32_e32 v34, vcc, s4, v32
	v_ashrrev_i32_e32 v39, 31, v38
	v_addc_co_u32_e32 v35, vcc, v31, v33, vcc
	v_lshlrev_b64 v[30:31], 4, v[38:39]
	v_add_u32_e32 v38, s7, v38
	v_mov_b32_e32 v32, s5
	v_add_co_u32_e32 v36, vcc, s4, v30
	v_ashrrev_i32_e32 v39, 31, v38
	;; [unrolled: 6-line block ×3, first 2 shown]
	v_accvgpr_write_b32 a4, v20
	v_addc_co_u32_e32 v43, vcc, v39, v41, vcc
	v_lshlrev_b64 v[38:39], 4, v[46:47]
	v_add_u32_e32 v50, s7, v46
	v_accvgpr_write_b32 a5, v21
	global_load_dwordx4 v[18:21], v[28:29], off
	global_load_dwordx4 v[30:33], v[34:35], off
	v_mov_b32_e32 v40, s5
	v_add_co_u32_e32 v44, vcc, s4, v38
	v_ashrrev_i32_e32 v51, 31, v50
	v_addc_co_u32_e32 v45, vcc, v40, v39, vcc
	v_lshlrev_b64 v[46:47], 4, v[50:51]
	v_mov_b32_e32 v48, s5
	v_add_co_u32_e32 v46, vcc, s4, v46
	v_add_u32_e32 v50, s7, v50
	v_accvgpr_write_b32 a6, v28
	v_accvgpr_write_b32 a8, v24
	;; [unrolled: 1-line block ×7, first 2 shown]
	v_addc_co_u32_e32 v47, vcc, v48, v47, vcc
	v_accvgpr_write_b32 a20, v46
	v_ashrrev_i32_e32 v51, 31, v50
	v_accvgpr_write_b32 a7, v29
	v_accvgpr_write_b32 a9, v25
	global_load_dwordx4 v[22:25], v[24:25], off
	v_accvgpr_write_b32 a11, v27
	global_load_dwordx4 v[26:29], v[26:27], off
	v_accvgpr_write_b32 a13, v35
	v_accvgpr_write_b32 a15, v37
	global_load_dwordx4 v[34:37], v[36:37], off
	v_accvgpr_write_b32 a17, v43
	global_load_dwordx4 v[38:41], v[42:43], off
	;; [unrolled: 2-line block ×4, first 2 shown]
	s_waitcnt vmcnt(11)
	buffer_store_dword v5, off, s[0:3], 0 offset:28
	buffer_store_dword v4, off, s[0:3], 0 offset:24
	;; [unrolled: 1-line block ×4, first 2 shown]
	s_waitcnt vmcnt(14)
	buffer_store_dword v9, off, s[0:3], 0 offset:44
	v_lshlrev_b64 v[2:3], 4, v[50:51]
	v_mov_b32_e32 v4, s5
	v_add_co_u32_e32 v2, vcc, s4, v2
	v_addc_co_u32_e32 v3, vcc, v4, v3, vcc
	v_accvgpr_write_b32 a23, v3
	v_accvgpr_write_b32 a22, v2
	global_load_dwordx4 v[2:5], v[2:3], off
	s_nop 0
	buffer_store_dword v8, off, s[0:3], 0 offset:40
	buffer_store_dword v7, off, s[0:3], 0 offset:36
	buffer_store_dword v6, off, s[0:3], 0 offset:32
	s_waitcnt vmcnt(18)
	buffer_store_dword v13, off, s[0:3], 0 offset:60
	buffer_store_dword v12, off, s[0:3], 0 offset:56
	buffer_store_dword v11, off, s[0:3], 0 offset:52
	buffer_store_dword v10, off, s[0:3], 0 offset:48
	s_waitcnt vmcnt(21)
	buffer_store_dword v17, off, s[0:3], 0 offset:76
	;; [unrolled: 5-line block ×5, first 2 shown]
	buffer_store_dword v28, off, s[0:3], 0 offset:120
	buffer_store_dword v27, off, s[0:3], 0 offset:116
	;; [unrolled: 1-line block ×7, first 2 shown]
	s_waitcnt vmcnt(36)
	buffer_store_dword v37, off, s[0:3], 0 offset:156
	buffer_store_dword v36, off, s[0:3], 0 offset:152
	buffer_store_dword v35, off, s[0:3], 0 offset:148
	buffer_store_dword v34, off, s[0:3], 0 offset:144
	s_waitcnt vmcnt(39)
	buffer_store_dword v38, off, s[0:3], 0 offset:160
	buffer_store_dword v39, off, s[0:3], 0 offset:164
	buffer_store_dword v40, off, s[0:3], 0 offset:168
	buffer_store_dword v41, off, s[0:3], 0 offset:172
	;; [unrolled: 5-line block ×4, first 2 shown]
	v_add_u32_e32 v6, s7, v50
	v_ashrrev_i32_e32 v7, 31, v6
	v_lshlrev_b64 v[8:9], 4, v[6:7]
	v_add_u32_e32 v14, s7, v6
	v_mov_b32_e32 v7, s5
	v_add_co_u32_e32 v10, vcc, s4, v8
	v_ashrrev_i32_e32 v15, 31, v14
	v_addc_co_u32_e32 v11, vcc, v7, v9, vcc
	v_lshlrev_b64 v[6:7], 4, v[14:15]
	v_add_u32_e32 v14, s7, v14
	v_mov_b32_e32 v8, s5
	v_add_co_u32_e32 v12, vcc, s4, v6
	v_ashrrev_i32_e32 v15, 31, v14
	v_addc_co_u32_e32 v13, vcc, v8, v7, vcc
	global_load_dwordx4 v[6:9], v[10:11], off
	v_lshlrev_b64 v[16:17], 4, v[14:15]
	v_add_u32_e32 v22, s7, v14
	v_mov_b32_e32 v15, s5
	v_add_co_u32_e32 v18, vcc, s4, v16
	v_ashrrev_i32_e32 v23, 31, v22
	v_addc_co_u32_e32 v19, vcc, v15, v17, vcc
	v_lshlrev_b64 v[14:15], 4, v[22:23]
	v_accvgpr_write_b32 a25, v11
	v_accvgpr_write_b32 a27, v13
	v_mov_b32_e32 v16, s5
	v_add_co_u32_e32 v20, vcc, s4, v14
	v_accvgpr_write_b32 a24, v10
	v_accvgpr_write_b32 a26, v12
	v_addc_co_u32_e32 v21, vcc, v16, v15, vcc
	global_load_dwordx4 v[14:17], v[18:19], off
	v_add_u32_e32 v22, s7, v22
	global_load_dwordx4 v[10:13], v[12:13], off
	v_accvgpr_write_b32 a29, v19
	v_accvgpr_write_b32 a31, v21
	v_ashrrev_i32_e32 v23, 31, v22
	v_accvgpr_write_b32 a28, v18
	v_accvgpr_write_b32 a30, v20
	global_load_dwordx4 v[18:21], v[20:21], off
	v_lshlrev_b64 v[24:25], 4, v[22:23]
	v_add_u32_e32 v30, s7, v22
	s_waitcnt vmcnt(47)
	buffer_store_dword v5, off, s[0:3], 0 offset:220
	v_mov_b32_e32 v5, s5
	v_add_co_u32_e32 v24, vcc, s4, v24
	v_ashrrev_i32_e32 v31, 31, v30
	v_addc_co_u32_e32 v25, vcc, v5, v25, vcc
	v_lshlrev_b64 v[22:23], 4, v[30:31]
	v_add_co_u32_e32 v26, vcc, s4, v22
	v_accvgpr_write_b32 a33, v25
	v_addc_co_u32_e32 v27, vcc, v5, v23, vcc
	v_accvgpr_write_b32 a32, v24
	global_load_dwordx4 v[22:25], v[24:25], off
	v_add_u32_e32 v30, s7, v30
	v_accvgpr_write_b32 a35, v27
	v_ashrrev_i32_e32 v31, 31, v30
	v_accvgpr_write_b32 a34, v26
	global_load_dwordx4 v[26:29], v[26:27], off
	v_lshlrev_b64 v[32:33], 4, v[30:31]
	v_add_u32_e32 v38, s7, v30
	v_add_co_u32_e32 v32, vcc, s4, v32
	v_ashrrev_i32_e32 v39, 31, v38
	v_addc_co_u32_e32 v33, vcc, v5, v33, vcc
	v_lshlrev_b64 v[30:31], 4, v[38:39]
	v_add_co_u32_e32 v34, vcc, s4, v30
	v_accvgpr_write_b32 a37, v33
	v_addc_co_u32_e32 v35, vcc, v5, v31, vcc
	v_accvgpr_write_b32 a36, v32
	global_load_dwordx4 v[30:33], v[32:33], off
	v_add_u32_e32 v38, s7, v38
	v_accvgpr_write_b32 a39, v35
	v_ashrrev_i32_e32 v39, 31, v38
	v_accvgpr_write_b32 a38, v34
	global_load_dwordx4 v[34:37], v[34:35], off
	v_lshlrev_b64 v[40:41], 4, v[38:39]
	v_add_u32_e32 v46, s7, v38
	;; [unrolled: 16-line block ×6, first 2 shown]
	v_add_co_u32_e32 v72, vcc, s4, v72
	v_ashrrev_i32_e32 v79, 31, v78
	v_addc_co_u32_e32 v73, vcc, v5, v73, vcc
	v_lshlrev_b64 v[70:71], 4, v[78:79]
	v_add_co_u32_e32 v74, vcc, s4, v70
	v_accvgpr_write_b32 a56, v72
	v_addc_co_u32_e32 v75, vcc, v5, v71, vcc
	v_accvgpr_write_b32 a57, v73
	global_load_dwordx4 v[70:73], v[72:73], off
	v_accvgpr_write_b32 a58, v74
	v_add_u32_e32 v78, s7, v78
	v_accvgpr_write_b32 a59, v75
	global_load_dwordx4 v[74:77], v[74:75], off
	v_ashrrev_i32_e32 v79, 31, v78
	v_lshlrev_b64 v[80:81], 4, v[78:79]
	v_add_co_u32_e32 v180, vcc, s4, v80
	v_add_u32_e32 v78, s7, v78
	v_addc_co_u32_e32 v181, vcc, v5, v81, vcc
	v_ashrrev_i32_e32 v79, 31, v78
	v_lshlrev_b64 v[82:83], 4, v[78:79]
	global_load_dwordx4 v[78:81], v[180:181], off
	v_add_co_u32_e32 v182, vcc, s4, v82
	v_addc_co_u32_e32 v183, vcc, v5, v83, vcc
	global_load_dwordx4 v[82:85], v[182:183], off
	s_nop 0
	buffer_store_dword v4, off, s[0:3], 0 offset:216
	buffer_store_dword v3, off, s[0:3], 0 offset:212
	;; [unrolled: 1-line block ×3, first 2 shown]
	s_waitcnt vmcnt(23)
	buffer_store_dword v9, off, s[0:3], 0 offset:236
	buffer_store_dword v8, off, s[0:3], 0 offset:232
	;; [unrolled: 1-line block ×4, first 2 shown]
	s_waitcnt vmcnt(25)
	buffer_store_dword v13, off, s[0:3], 0 offset:252
	buffer_store_dword v12, off, s[0:3], 0 offset:248
	;; [unrolled: 1-line block ×8, first 2 shown]
	s_waitcnt vmcnt(32)
	buffer_store_dword v21, off, s[0:3], 0 offset:284
	buffer_store_dword v20, off, s[0:3], 0 offset:280
	buffer_store_dword v19, off, s[0:3], 0 offset:276
	buffer_store_dword v18, off, s[0:3], 0 offset:272
	s_waitcnt vmcnt(34)
	buffer_store_dword v25, off, s[0:3], 0 offset:300
	buffer_store_dword v24, off, s[0:3], 0 offset:296
	buffer_store_dword v23, off, s[0:3], 0 offset:292
	buffer_store_dword v22, off, s[0:3], 0 offset:288
	;; [unrolled: 5-line block ×12, first 2 shown]
	buffer_store_dword v69, off, s[0:3], 0 offset:476
	buffer_store_dword v68, off, s[0:3], 0 offset:472
	buffer_store_dword v67, off, s[0:3], 0 offset:468
	buffer_store_dword v66, off, s[0:3], 0 offset:464
	buffer_store_dword v73, off, s[0:3], 0 offset:492
	buffer_store_dword v72, off, s[0:3], 0 offset:488
	buffer_store_dword v71, off, s[0:3], 0 offset:484
	buffer_store_dword v70, off, s[0:3], 0 offset:480
	s_waitcnt vmcnt(62)
	buffer_store_dword v77, off, s[0:3], 0 offset:508
	buffer_store_dword v76, off, s[0:3], 0 offset:504
	;; [unrolled: 1-line block ×12, first 2 shown]
	v_mov_b32_e32 v2, 16
	v_add_u32_e32 v3, 16, v2
	v_accvgpr_write_b32 a90, v3
	v_add_u32_e32 v3, 32, v2
	v_accvgpr_write_b32 a89, v3
	;; [unrolled: 2-line block ×30, first 2 shown]
	v_add_u32_e32 v3, 0x1f0, v2
	v_add_u32_e32 v2, 0x200, v2
	v_accvgpr_write_b32 a61, v3
	v_accvgpr_write_b32 a60, v2
	s_bitcmp0_b32 s22, 0
	s_mov_b64 s[6:7], -1
	s_cbranch_scc1 .LBB32_144
; %bb.4:
	v_cmp_eq_u32_e64 s[4:5], 0, v0
	s_and_saveexec_b64 s[6:7], s[4:5]
	s_cbranch_execz .LBB32_6
; %bb.5:
	v_mov_b32_e32 v2, 0
	ds_write_b32 v2, v2 offset:1056
.LBB32_6:
	s_or_b64 exec, exec, s[6:7]
	v_mov_b32_e32 v2, 16
	v_lshl_add_u32 v12, v0, 4, v2
	s_waitcnt lgkmcnt(0)
	; wave barrier
	s_waitcnt lgkmcnt(0)
	buffer_load_dword v2, v12, s[0:3], 0 offen
	buffer_load_dword v3, v12, s[0:3], 0 offen offset:4
	buffer_load_dword v4, v12, s[0:3], 0 offen offset:8
	;; [unrolled: 1-line block ×3, first 2 shown]
	s_waitcnt vmcnt(2)
	v_cmp_eq_f64_e32 vcc, 0, v[2:3]
	s_waitcnt vmcnt(0)
	v_cmp_eq_f64_e64 s[6:7], 0, v[4:5]
	s_and_b64 s[6:7], vcc, s[6:7]
	s_and_saveexec_b64 s[12:13], s[6:7]
	s_cbranch_execz .LBB32_10
; %bb.7:
	v_mov_b32_e32 v2, 0
	ds_read_b32 v4, v2 offset:1056
	v_add_u32_e32 v3, 1, v0
	s_waitcnt lgkmcnt(0)
	v_readfirstlane_b32 s6, v4
	s_cmp_eq_u32 s6, 0
	s_cselect_b64 s[16:17], -1, 0
	v_cmp_gt_i32_e32 vcc, s6, v3
	s_or_b64 s[16:17], s[16:17], vcc
	s_and_b64 exec, exec, s[16:17]
	s_cbranch_execz .LBB32_10
; %bb.8:
	s_mov_b64 s[16:17], 0
	v_mov_b32_e32 v4, s6
.LBB32_9:                               ; =>This Inner Loop Header: Depth=1
	ds_cmpst_rtn_b32 v4, v2, v4, v3 offset:1056
	s_waitcnt lgkmcnt(0)
	v_cmp_ne_u32_e32 vcc, 0, v4
	v_cmp_le_i32_e64 s[6:7], v4, v3
	s_and_b64 s[6:7], vcc, s[6:7]
	s_and_b64 s[6:7], exec, s[6:7]
	s_or_b64 s[16:17], s[6:7], s[16:17]
	s_andn2_b64 exec, exec, s[16:17]
	s_cbranch_execnz .LBB32_9
.LBB32_10:
	s_or_b64 exec, exec, s[12:13]
	v_mov_b32_e32 v3, 0
	s_waitcnt lgkmcnt(0)
	; wave barrier
	ds_read_b32 v2, v3 offset:1056
	s_and_saveexec_b64 s[6:7], s[4:5]
	s_cbranch_execz .LBB32_12
; %bb.11:
	s_lshl_b64 s[12:13], s[8:9], 2
	s_add_u32 s12, s14, s12
	s_addc_u32 s13, s15, s13
	s_waitcnt lgkmcnt(0)
	global_store_dword v3, v2, s[12:13]
.LBB32_12:
	s_or_b64 exec, exec, s[6:7]
	s_waitcnt lgkmcnt(0)
	v_cmp_ne_u32_e32 vcc, 0, v2
	s_mov_b64 s[6:7], 0
	s_cbranch_vccnz .LBB32_144
; %bb.13:
	buffer_load_dword v7, v12, s[0:3], 0 offen offset:4
	buffer_load_dword v6, v12, s[0:3], 0 offen
	buffer_load_dword v9, v12, s[0:3], 0 offen offset:12
	buffer_load_dword v8, v12, s[0:3], 0 offen offset:8
                                        ; implicit-def: $vgpr10_vgpr11
	s_waitcnt vmcnt(3)
	v_xor_b32_e32 v3, 0x80000000, v7
	s_waitcnt vmcnt(2)
	v_cmp_gt_f64_e32 vcc, 0, v[6:7]
	s_waitcnt vmcnt(1)
	v_xor_b32_e32 v4, 0x80000000, v9
	v_cndmask_b32_e32 v3, v7, v3, vcc
	s_waitcnt vmcnt(0)
	v_cmp_gt_f64_e32 vcc, 0, v[8:9]
	v_mov_b32_e32 v2, v6
	v_cndmask_b32_e32 v5, v9, v4, vcc
	v_mov_b32_e32 v4, v8
	v_cmp_ngt_f64_e32 vcc, v[2:3], v[4:5]
                                        ; implicit-def: $vgpr4_vgpr5
	s_and_saveexec_b64 s[6:7], vcc
	s_xor_b64 s[6:7], exec, s[6:7]
	s_cbranch_execz .LBB32_15
; %bb.14:
	v_div_scale_f64 v[2:3], s[12:13], v[8:9], v[8:9], v[6:7]
	v_rcp_f64_e32 v[4:5], v[2:3]
	v_div_scale_f64 v[10:11], vcc, v[6:7], v[8:9], v[6:7]
	v_fma_f64 v[14:15], -v[2:3], v[4:5], 1.0
	v_fmac_f64_e32 v[4:5], v[4:5], v[14:15]
	v_fma_f64 v[14:15], -v[2:3], v[4:5], 1.0
	v_fmac_f64_e32 v[4:5], v[4:5], v[14:15]
	v_mul_f64 v[14:15], v[10:11], v[4:5]
	v_fma_f64 v[2:3], -v[2:3], v[14:15], v[10:11]
	v_div_fmas_f64 v[2:3], v[2:3], v[4:5], v[14:15]
	v_div_fixup_f64 v[2:3], v[2:3], v[8:9], v[6:7]
	v_fmac_f64_e32 v[8:9], v[6:7], v[2:3]
	v_div_scale_f64 v[4:5], s[12:13], v[8:9], v[8:9], 1.0
	v_rcp_f64_e32 v[6:7], v[4:5]
	v_fma_f64 v[10:11], -v[4:5], v[6:7], 1.0
	v_fmac_f64_e32 v[6:7], v[6:7], v[10:11]
	v_fma_f64 v[10:11], -v[4:5], v[6:7], 1.0
	v_fmac_f64_e32 v[6:7], v[6:7], v[10:11]
	v_div_scale_f64 v[10:11], vcc, 1.0, v[8:9], 1.0
	v_mul_f64 v[14:15], v[10:11], v[6:7]
	v_fma_f64 v[4:5], -v[4:5], v[14:15], v[10:11]
	s_nop 1
	v_div_fmas_f64 v[4:5], v[4:5], v[6:7], v[14:15]
	v_div_fixup_f64 v[4:5], v[4:5], v[8:9], 1.0
	v_mul_f64 v[10:11], v[2:3], v[4:5]
	v_xor_b32_e32 v5, 0x80000000, v5
	v_xor_b32_e32 v3, 0x80000000, v11
	v_mov_b32_e32 v2, v10
                                        ; implicit-def: $vgpr6_vgpr7
                                        ; implicit-def: $vgpr8_vgpr9
.LBB32_15:
	s_andn2_saveexec_b64 s[6:7], s[6:7]
	s_cbranch_execz .LBB32_17
; %bb.16:
	v_div_scale_f64 v[2:3], s[12:13], v[6:7], v[6:7], v[8:9]
	v_rcp_f64_e32 v[4:5], v[2:3]
	v_div_scale_f64 v[10:11], vcc, v[8:9], v[6:7], v[8:9]
	v_fma_f64 v[14:15], -v[2:3], v[4:5], 1.0
	v_fmac_f64_e32 v[4:5], v[4:5], v[14:15]
	v_fma_f64 v[14:15], -v[2:3], v[4:5], 1.0
	v_fmac_f64_e32 v[4:5], v[4:5], v[14:15]
	v_mul_f64 v[14:15], v[10:11], v[4:5]
	v_fma_f64 v[2:3], -v[2:3], v[14:15], v[10:11]
	v_div_fmas_f64 v[2:3], v[2:3], v[4:5], v[14:15]
	v_div_fixup_f64 v[4:5], v[2:3], v[6:7], v[8:9]
	v_fmac_f64_e32 v[6:7], v[8:9], v[4:5]
	v_div_scale_f64 v[2:3], s[12:13], v[6:7], v[6:7], 1.0
	v_rcp_f64_e32 v[8:9], v[2:3]
	v_fma_f64 v[10:11], -v[2:3], v[8:9], 1.0
	v_fmac_f64_e32 v[8:9], v[8:9], v[10:11]
	v_fma_f64 v[10:11], -v[2:3], v[8:9], 1.0
	v_fmac_f64_e32 v[8:9], v[8:9], v[10:11]
	v_div_scale_f64 v[10:11], vcc, 1.0, v[6:7], 1.0
	v_mul_f64 v[14:15], v[10:11], v[8:9]
	v_fma_f64 v[2:3], -v[2:3], v[14:15], v[10:11]
	s_nop 1
	v_div_fmas_f64 v[2:3], v[2:3], v[8:9], v[14:15]
	v_div_fixup_f64 v[10:11], v[2:3], v[6:7], 1.0
	v_xor_b32_e32 v3, 0x80000000, v11
	v_mov_b32_e32 v2, v10
	v_mul_f64 v[4:5], v[4:5], -v[10:11]
.LBB32_17:
	s_or_b64 exec, exec, s[6:7]
	buffer_store_dword v11, v12, s[0:3], 0 offen offset:4
	buffer_store_dword v10, v12, s[0:3], 0 offen
	buffer_store_dword v5, v12, s[0:3], 0 offen offset:12
	buffer_store_dword v4, v12, s[0:3], 0 offen offset:8
	v_accvgpr_read_b32 v6, a90
	buffer_load_dword v11, v6, s[0:3], 0 offen offset:12
	buffer_load_dword v10, v6, s[0:3], 0 offen offset:8
	;; [unrolled: 1-line block ×3, first 2 shown]
	buffer_load_dword v8, v6, s[0:3], 0 offen
	v_xor_b32_e32 v5, 0x80000000, v5
	v_add_u32_e32 v6, 0x210, v1
	ds_write_b128 v1, v[2:5]
	s_waitcnt vmcnt(0)
	ds_write_b128 v1, v[8:11] offset:528
	s_waitcnt lgkmcnt(0)
	; wave barrier
	s_waitcnt lgkmcnt(0)
	s_and_saveexec_b64 s[6:7], s[4:5]
	s_cbranch_execz .LBB32_19
; %bb.18:
	buffer_load_dword v14, v12, s[0:3], 0 offen offset:8
	buffer_load_dword v15, v12, s[0:3], 0 offen offset:12
	buffer_load_dword v16, v12, s[0:3], 0 offen
	buffer_load_dword v17, v12, s[0:3], 0 offen offset:4
	ds_read_b128 v[2:5], v6
	v_mov_b32_e32 v7, 0
	ds_read_b128 v[8:11], v7 offset:16
	s_waitcnt vmcnt(2) lgkmcnt(1)
	v_mul_f64 v[18:19], v[4:5], v[14:15]
	v_mul_f64 v[14:15], v[2:3], v[14:15]
	s_waitcnt vmcnt(0)
	v_fmac_f64_e32 v[14:15], v[4:5], v[16:17]
	v_fma_f64 v[2:3], v[2:3], v[16:17], -v[18:19]
	v_add_f64 v[4:5], v[14:15], 0
	v_add_f64 v[2:3], v[2:3], 0
	s_waitcnt lgkmcnt(0)
	v_mul_f64 v[14:15], v[4:5], v[10:11]
	v_mul_f64 v[10:11], v[2:3], v[10:11]
	v_fma_f64 v[2:3], v[2:3], v[8:9], -v[14:15]
	v_fmac_f64_e32 v[10:11], v[4:5], v[8:9]
	buffer_store_dword v2, off, s[0:3], 0 offset:32
	buffer_store_dword v3, off, s[0:3], 0 offset:36
	;; [unrolled: 1-line block ×4, first 2 shown]
.LBB32_19:
	s_or_b64 exec, exec, s[6:7]
	v_accvgpr_read_b32 v5, a89
	s_waitcnt lgkmcnt(0)
	; wave barrier
	buffer_load_dword v2, v5, s[0:3], 0 offen
	buffer_load_dword v3, v5, s[0:3], 0 offen offset:4
	buffer_load_dword v4, v5, s[0:3], 0 offen offset:8
	s_nop 0
	buffer_load_dword v5, v5, s[0:3], 0 offen offset:12
	v_cmp_gt_u32_e32 vcc, 2, v0
	s_waitcnt vmcnt(0)
	ds_write_b128 v6, v[2:5]
	s_waitcnt lgkmcnt(0)
	; wave barrier
	s_waitcnt lgkmcnt(0)
	s_and_saveexec_b64 s[6:7], vcc
	s_cbranch_execz .LBB32_23
; %bb.20:
	buffer_load_dword v8, v12, s[0:3], 0 offen offset:8
	buffer_load_dword v9, v12, s[0:3], 0 offen offset:12
	buffer_load_dword v10, v12, s[0:3], 0 offen
	buffer_load_dword v11, v12, s[0:3], 0 offen offset:4
	ds_read_b128 v[2:5], v6
	s_waitcnt vmcnt(2) lgkmcnt(0)
	v_mul_f64 v[12:13], v[4:5], v[8:9]
	v_mul_f64 v[8:9], v[2:3], v[8:9]
	s_waitcnt vmcnt(0)
	v_fma_f64 v[2:3], v[2:3], v[10:11], -v[12:13]
	v_fmac_f64_e32 v[8:9], v[4:5], v[10:11]
	v_add_f64 v[4:5], v[2:3], 0
	v_add_f64 v[2:3], v[8:9], 0
	s_and_saveexec_b64 s[12:13], s[4:5]
	s_cbranch_execz .LBB32_22
; %bb.21:
	buffer_load_dword v12, off, s[0:3], 0 offset:40
	buffer_load_dword v13, off, s[0:3], 0 offset:44
	;; [unrolled: 1-line block ×4, first 2 shown]
	v_mov_b32_e32 v7, 0
	ds_read_b128 v[8:11], v7 offset:544
	s_waitcnt vmcnt(2) lgkmcnt(0)
	v_mul_f64 v[16:17], v[8:9], v[12:13]
	v_mul_f64 v[12:13], v[10:11], v[12:13]
	s_waitcnt vmcnt(0)
	v_fmac_f64_e32 v[16:17], v[10:11], v[14:15]
	v_fma_f64 v[8:9], v[8:9], v[14:15], -v[12:13]
	v_add_f64 v[2:3], v[2:3], v[16:17]
	v_add_f64 v[4:5], v[4:5], v[8:9]
.LBB32_22:
	s_or_b64 exec, exec, s[12:13]
	v_mov_b32_e32 v7, 0
	ds_read_b128 v[8:11], v7 offset:32
	s_waitcnt lgkmcnt(0)
	v_mul_f64 v[12:13], v[2:3], v[10:11]
	v_mul_f64 v[10:11], v[4:5], v[10:11]
	v_fma_f64 v[4:5], v[4:5], v[8:9], -v[12:13]
	v_fmac_f64_e32 v[10:11], v[2:3], v[8:9]
	buffer_store_dword v5, off, s[0:3], 0 offset:52
	buffer_store_dword v4, off, s[0:3], 0 offset:48
	;; [unrolled: 1-line block ×4, first 2 shown]
.LBB32_23:
	s_or_b64 exec, exec, s[6:7]
	v_accvgpr_read_b32 v5, a91
	s_waitcnt lgkmcnt(0)
	; wave barrier
	buffer_load_dword v2, v5, s[0:3], 0 offen
	buffer_load_dword v3, v5, s[0:3], 0 offen offset:4
	buffer_load_dword v4, v5, s[0:3], 0 offen offset:8
	s_nop 0
	buffer_load_dword v5, v5, s[0:3], 0 offen offset:12
	v_cmp_gt_u32_e32 vcc, 3, v0
	v_add_u32_e32 v7, -1, v0
	s_waitcnt vmcnt(0)
	ds_write_b128 v6, v[2:5]
	s_waitcnt lgkmcnt(0)
	; wave barrier
	s_waitcnt lgkmcnt(0)
	s_and_saveexec_b64 s[4:5], vcc
	s_cbranch_execz .LBB32_27
; %bb.24:
	v_pk_mov_b32 v[2:3], 0, 0
	v_add_u32_e32 v8, -1, v0
	v_add_u32_e32 v9, 0x210, v1
	v_add_u32_e32 v10, 16, v1
	s_mov_b64 s[6:7], 0
	v_pk_mov_b32 v[4:5], v[2:3], v[2:3] op_sel:[0,1]
.LBB32_25:                              ; =>This Inner Loop Header: Depth=1
	buffer_load_dword v16, v10, s[0:3], 0 offen offset:8
	buffer_load_dword v17, v10, s[0:3], 0 offen offset:12
	buffer_load_dword v18, v10, s[0:3], 0 offen
	buffer_load_dword v19, v10, s[0:3], 0 offen offset:4
	ds_read_b128 v[12:15], v9
	v_add_u32_e32 v8, 1, v8
	v_cmp_lt_u32_e32 vcc, 1, v8
	v_add_u32_e32 v9, 16, v9
	v_add_u32_e32 v10, 16, v10
	s_or_b64 s[6:7], vcc, s[6:7]
	s_waitcnt vmcnt(2) lgkmcnt(0)
	v_mul_f64 v[20:21], v[14:15], v[16:17]
	v_mul_f64 v[16:17], v[12:13], v[16:17]
	s_waitcnt vmcnt(0)
	v_fma_f64 v[12:13], v[12:13], v[18:19], -v[20:21]
	v_fmac_f64_e32 v[16:17], v[14:15], v[18:19]
	v_add_f64 v[4:5], v[4:5], v[12:13]
	v_add_f64 v[2:3], v[2:3], v[16:17]
	s_andn2_b64 exec, exec, s[6:7]
	s_cbranch_execnz .LBB32_25
; %bb.26:
	s_or_b64 exec, exec, s[6:7]
	v_mov_b32_e32 v8, 0
	ds_read_b128 v[8:11], v8 offset:48
	s_waitcnt lgkmcnt(0)
	v_mul_f64 v[12:13], v[2:3], v[10:11]
	v_mul_f64 v[10:11], v[4:5], v[10:11]
	v_fma_f64 v[4:5], v[4:5], v[8:9], -v[12:13]
	v_fmac_f64_e32 v[10:11], v[2:3], v[8:9]
	buffer_store_dword v5, off, s[0:3], 0 offset:68
	buffer_store_dword v4, off, s[0:3], 0 offset:64
	buffer_store_dword v11, off, s[0:3], 0 offset:76
	buffer_store_dword v10, off, s[0:3], 0 offset:72
.LBB32_27:
	s_or_b64 exec, exec, s[4:5]
	v_accvgpr_read_b32 v5, a87
	s_waitcnt lgkmcnt(0)
	; wave barrier
	buffer_load_dword v2, v5, s[0:3], 0 offen
	buffer_load_dword v3, v5, s[0:3], 0 offen offset:4
	buffer_load_dword v4, v5, s[0:3], 0 offen offset:8
	s_nop 0
	buffer_load_dword v5, v5, s[0:3], 0 offen offset:12
	v_cmp_gt_u32_e32 vcc, 4, v0
	s_waitcnt vmcnt(0)
	ds_write_b128 v6, v[2:5]
	s_waitcnt lgkmcnt(0)
	; wave barrier
	s_waitcnt lgkmcnt(0)
	s_and_saveexec_b64 s[4:5], vcc
	s_cbranch_execz .LBB32_31
; %bb.28:
	v_pk_mov_b32 v[2:3], 0, 0
	v_add_u32_e32 v8, -1, v0
	v_add_u32_e32 v9, 0x210, v1
	v_add_u32_e32 v10, 16, v1
	s_mov_b64 s[6:7], 0
	v_pk_mov_b32 v[4:5], v[2:3], v[2:3] op_sel:[0,1]
.LBB32_29:                              ; =>This Inner Loop Header: Depth=1
	buffer_load_dword v16, v10, s[0:3], 0 offen offset:8
	buffer_load_dword v17, v10, s[0:3], 0 offen offset:12
	buffer_load_dword v18, v10, s[0:3], 0 offen
	buffer_load_dword v19, v10, s[0:3], 0 offen offset:4
	ds_read_b128 v[12:15], v9
	v_add_u32_e32 v8, 1, v8
	v_cmp_lt_u32_e32 vcc, 2, v8
	v_add_u32_e32 v9, 16, v9
	v_add_u32_e32 v10, 16, v10
	s_or_b64 s[6:7], vcc, s[6:7]
	s_waitcnt vmcnt(2) lgkmcnt(0)
	v_mul_f64 v[20:21], v[14:15], v[16:17]
	v_mul_f64 v[16:17], v[12:13], v[16:17]
	s_waitcnt vmcnt(0)
	v_fma_f64 v[12:13], v[12:13], v[18:19], -v[20:21]
	v_fmac_f64_e32 v[16:17], v[14:15], v[18:19]
	v_add_f64 v[4:5], v[4:5], v[12:13]
	v_add_f64 v[2:3], v[2:3], v[16:17]
	s_andn2_b64 exec, exec, s[6:7]
	s_cbranch_execnz .LBB32_29
; %bb.30:
	s_or_b64 exec, exec, s[6:7]
	v_mov_b32_e32 v8, 0
	ds_read_b128 v[8:11], v8 offset:64
	s_waitcnt lgkmcnt(0)
	v_mul_f64 v[12:13], v[2:3], v[10:11]
	v_mul_f64 v[10:11], v[4:5], v[10:11]
	v_fma_f64 v[4:5], v[4:5], v[8:9], -v[12:13]
	v_fmac_f64_e32 v[10:11], v[2:3], v[8:9]
	buffer_store_dword v5, off, s[0:3], 0 offset:84
	buffer_store_dword v4, off, s[0:3], 0 offset:80
	buffer_store_dword v11, off, s[0:3], 0 offset:92
	buffer_store_dword v10, off, s[0:3], 0 offset:88
.LBB32_31:
	s_or_b64 exec, exec, s[4:5]
	v_accvgpr_read_b32 v5, a85
	s_waitcnt lgkmcnt(0)
	; wave barrier
	buffer_load_dword v2, v5, s[0:3], 0 offen
	buffer_load_dword v3, v5, s[0:3], 0 offen offset:4
	buffer_load_dword v4, v5, s[0:3], 0 offen offset:8
	s_nop 0
	buffer_load_dword v5, v5, s[0:3], 0 offen offset:12
	v_cmp_gt_u32_e32 vcc, 5, v0
	;; [unrolled: 59-line block ×19, first 2 shown]
	s_waitcnt vmcnt(0)
	ds_write_b128 v6, v[2:5]
	s_waitcnt lgkmcnt(0)
	; wave barrier
	s_waitcnt lgkmcnt(0)
	s_and_saveexec_b64 s[4:5], vcc
	s_cbranch_execz .LBB32_103
; %bb.100:
	v_pk_mov_b32 v[2:3], 0, 0
	v_add_u32_e32 v8, -1, v0
	v_add_u32_e32 v9, 0x210, v1
	v_add_u32_e32 v10, 16, v1
	s_mov_b64 s[6:7], 0
	v_pk_mov_b32 v[4:5], v[2:3], v[2:3] op_sel:[0,1]
.LBB32_101:                             ; =>This Inner Loop Header: Depth=1
	buffer_load_dword v16, v10, s[0:3], 0 offen offset:8
	buffer_load_dword v17, v10, s[0:3], 0 offen offset:12
	buffer_load_dword v18, v10, s[0:3], 0 offen
	buffer_load_dword v19, v10, s[0:3], 0 offen offset:4
	ds_read_b128 v[12:15], v9
	v_add_u32_e32 v8, 1, v8
	v_cmp_lt_u32_e32 vcc, 20, v8
	v_add_u32_e32 v9, 16, v9
	v_add_u32_e32 v10, 16, v10
	s_or_b64 s[6:7], vcc, s[6:7]
	s_waitcnt vmcnt(2) lgkmcnt(0)
	v_mul_f64 v[20:21], v[14:15], v[16:17]
	v_mul_f64 v[16:17], v[12:13], v[16:17]
	s_waitcnt vmcnt(0)
	v_fma_f64 v[12:13], v[12:13], v[18:19], -v[20:21]
	v_fmac_f64_e32 v[16:17], v[14:15], v[18:19]
	v_add_f64 v[4:5], v[4:5], v[12:13]
	v_add_f64 v[2:3], v[2:3], v[16:17]
	s_andn2_b64 exec, exec, s[6:7]
	s_cbranch_execnz .LBB32_101
; %bb.102:
	s_or_b64 exec, exec, s[6:7]
	v_mov_b32_e32 v8, 0
	ds_read_b128 v[8:11], v8 offset:352
	s_waitcnt lgkmcnt(0)
	v_mul_f64 v[12:13], v[2:3], v[10:11]
	v_mul_f64 v[10:11], v[4:5], v[10:11]
	v_fma_f64 v[4:5], v[4:5], v[8:9], -v[12:13]
	v_fmac_f64_e32 v[10:11], v[2:3], v[8:9]
	buffer_store_dword v5, off, s[0:3], 0 offset:372
	buffer_store_dword v4, off, s[0:3], 0 offset:368
	buffer_store_dword v11, off, s[0:3], 0 offset:380
	buffer_store_dword v10, off, s[0:3], 0 offset:376
.LBB32_103:
	s_or_b64 exec, exec, s[4:5]
	v_accvgpr_read_b32 v5, a69
	s_waitcnt lgkmcnt(0)
	; wave barrier
	buffer_load_dword v2, v5, s[0:3], 0 offen
	buffer_load_dword v3, v5, s[0:3], 0 offen offset:4
	buffer_load_dword v4, v5, s[0:3], 0 offen offset:8
	s_nop 0
	buffer_load_dword v5, v5, s[0:3], 0 offen offset:12
	v_cmp_gt_u32_e32 vcc, 23, v0
	s_waitcnt vmcnt(0)
	ds_write_b128 v6, v[2:5]
	s_waitcnt lgkmcnt(0)
	; wave barrier
	s_waitcnt lgkmcnt(0)
	s_and_saveexec_b64 s[4:5], vcc
	s_cbranch_execz .LBB32_107
; %bb.104:
	v_pk_mov_b32 v[2:3], 0, 0
	v_add_u32_e32 v8, -1, v0
	v_add_u32_e32 v9, 0x210, v1
	v_add_u32_e32 v10, 16, v1
	s_mov_b64 s[6:7], 0
	v_pk_mov_b32 v[4:5], v[2:3], v[2:3] op_sel:[0,1]
.LBB32_105:                             ; =>This Inner Loop Header: Depth=1
	buffer_load_dword v16, v10, s[0:3], 0 offen offset:8
	buffer_load_dword v17, v10, s[0:3], 0 offen offset:12
	buffer_load_dword v18, v10, s[0:3], 0 offen
	buffer_load_dword v19, v10, s[0:3], 0 offen offset:4
	ds_read_b128 v[12:15], v9
	v_add_u32_e32 v8, 1, v8
	v_cmp_lt_u32_e32 vcc, 21, v8
	v_add_u32_e32 v9, 16, v9
	v_add_u32_e32 v10, 16, v10
	s_or_b64 s[6:7], vcc, s[6:7]
	s_waitcnt vmcnt(2) lgkmcnt(0)
	v_mul_f64 v[20:21], v[14:15], v[16:17]
	v_mul_f64 v[16:17], v[12:13], v[16:17]
	s_waitcnt vmcnt(0)
	v_fma_f64 v[12:13], v[12:13], v[18:19], -v[20:21]
	v_fmac_f64_e32 v[16:17], v[14:15], v[18:19]
	v_add_f64 v[4:5], v[4:5], v[12:13]
	v_add_f64 v[2:3], v[2:3], v[16:17]
	s_andn2_b64 exec, exec, s[6:7]
	s_cbranch_execnz .LBB32_105
; %bb.106:
	s_or_b64 exec, exec, s[6:7]
	v_mov_b32_e32 v8, 0
	ds_read_b128 v[8:11], v8 offset:368
	s_waitcnt lgkmcnt(0)
	v_mul_f64 v[12:13], v[2:3], v[10:11]
	v_mul_f64 v[10:11], v[4:5], v[10:11]
	v_fma_f64 v[4:5], v[4:5], v[8:9], -v[12:13]
	v_fmac_f64_e32 v[10:11], v[2:3], v[8:9]
	buffer_store_dword v5, off, s[0:3], 0 offset:388
	buffer_store_dword v4, off, s[0:3], 0 offset:384
	buffer_store_dword v11, off, s[0:3], 0 offset:396
	buffer_store_dword v10, off, s[0:3], 0 offset:392
.LBB32_107:
	s_or_b64 exec, exec, s[4:5]
	v_accvgpr_read_b32 v5, a68
	s_waitcnt lgkmcnt(0)
	; wave barrier
	buffer_load_dword v2, v5, s[0:3], 0 offen
	buffer_load_dword v3, v5, s[0:3], 0 offen offset:4
	buffer_load_dword v4, v5, s[0:3], 0 offen offset:8
	s_nop 0
	buffer_load_dword v5, v5, s[0:3], 0 offen offset:12
	v_cmp_gt_u32_e32 vcc, 24, v0
	s_waitcnt vmcnt(0)
	ds_write_b128 v6, v[2:5]
	s_waitcnt lgkmcnt(0)
	; wave barrier
	s_waitcnt lgkmcnt(0)
	s_and_saveexec_b64 s[4:5], vcc
	s_cbranch_execz .LBB32_111
; %bb.108:
	v_pk_mov_b32 v[2:3], 0, 0
	v_add_u32_e32 v8, -1, v0
	v_add_u32_e32 v9, 0x210, v1
	v_add_u32_e32 v10, 16, v1
	s_mov_b64 s[6:7], 0
	v_pk_mov_b32 v[4:5], v[2:3], v[2:3] op_sel:[0,1]
.LBB32_109:                             ; =>This Inner Loop Header: Depth=1
	buffer_load_dword v16, v10, s[0:3], 0 offen offset:8
	buffer_load_dword v17, v10, s[0:3], 0 offen offset:12
	buffer_load_dword v18, v10, s[0:3], 0 offen
	buffer_load_dword v19, v10, s[0:3], 0 offen offset:4
	ds_read_b128 v[12:15], v9
	v_add_u32_e32 v8, 1, v8
	v_cmp_lt_u32_e32 vcc, 22, v8
	v_add_u32_e32 v9, 16, v9
	v_add_u32_e32 v10, 16, v10
	s_or_b64 s[6:7], vcc, s[6:7]
	s_waitcnt vmcnt(2) lgkmcnt(0)
	v_mul_f64 v[20:21], v[14:15], v[16:17]
	v_mul_f64 v[16:17], v[12:13], v[16:17]
	s_waitcnt vmcnt(0)
	v_fma_f64 v[12:13], v[12:13], v[18:19], -v[20:21]
	v_fmac_f64_e32 v[16:17], v[14:15], v[18:19]
	v_add_f64 v[4:5], v[4:5], v[12:13]
	v_add_f64 v[2:3], v[2:3], v[16:17]
	s_andn2_b64 exec, exec, s[6:7]
	s_cbranch_execnz .LBB32_109
; %bb.110:
	s_or_b64 exec, exec, s[6:7]
	v_mov_b32_e32 v8, 0
	ds_read_b128 v[8:11], v8 offset:384
	s_waitcnt lgkmcnt(0)
	v_mul_f64 v[12:13], v[2:3], v[10:11]
	v_mul_f64 v[10:11], v[4:5], v[10:11]
	v_fma_f64 v[4:5], v[4:5], v[8:9], -v[12:13]
	v_fmac_f64_e32 v[10:11], v[2:3], v[8:9]
	buffer_store_dword v5, off, s[0:3], 0 offset:404
	buffer_store_dword v4, off, s[0:3], 0 offset:400
	buffer_store_dword v11, off, s[0:3], 0 offset:412
	buffer_store_dword v10, off, s[0:3], 0 offset:408
.LBB32_111:
	s_or_b64 exec, exec, s[4:5]
	v_accvgpr_read_b32 v5, a67
	s_waitcnt lgkmcnt(0)
	; wave barrier
	buffer_load_dword v2, v5, s[0:3], 0 offen
	buffer_load_dword v3, v5, s[0:3], 0 offen offset:4
	buffer_load_dword v4, v5, s[0:3], 0 offen offset:8
	s_nop 0
	buffer_load_dword v5, v5, s[0:3], 0 offen offset:12
	v_cmp_gt_u32_e32 vcc, 25, v0
	s_waitcnt vmcnt(0)
	ds_write_b128 v6, v[2:5]
	s_waitcnt lgkmcnt(0)
	; wave barrier
	s_waitcnt lgkmcnt(0)
	s_and_saveexec_b64 s[4:5], vcc
	s_cbranch_execz .LBB32_115
; %bb.112:
	v_pk_mov_b32 v[2:3], 0, 0
	v_add_u32_e32 v8, -1, v0
	v_add_u32_e32 v9, 0x210, v1
	v_add_u32_e32 v10, 16, v1
	s_mov_b64 s[6:7], 0
	v_pk_mov_b32 v[4:5], v[2:3], v[2:3] op_sel:[0,1]
.LBB32_113:                             ; =>This Inner Loop Header: Depth=1
	buffer_load_dword v16, v10, s[0:3], 0 offen offset:8
	buffer_load_dword v17, v10, s[0:3], 0 offen offset:12
	buffer_load_dword v18, v10, s[0:3], 0 offen
	buffer_load_dword v19, v10, s[0:3], 0 offen offset:4
	ds_read_b128 v[12:15], v9
	v_add_u32_e32 v8, 1, v8
	v_cmp_lt_u32_e32 vcc, 23, v8
	v_add_u32_e32 v9, 16, v9
	v_add_u32_e32 v10, 16, v10
	s_or_b64 s[6:7], vcc, s[6:7]
	s_waitcnt vmcnt(2) lgkmcnt(0)
	v_mul_f64 v[20:21], v[14:15], v[16:17]
	v_mul_f64 v[16:17], v[12:13], v[16:17]
	s_waitcnt vmcnt(0)
	v_fma_f64 v[12:13], v[12:13], v[18:19], -v[20:21]
	v_fmac_f64_e32 v[16:17], v[14:15], v[18:19]
	v_add_f64 v[4:5], v[4:5], v[12:13]
	v_add_f64 v[2:3], v[2:3], v[16:17]
	s_andn2_b64 exec, exec, s[6:7]
	s_cbranch_execnz .LBB32_113
; %bb.114:
	s_or_b64 exec, exec, s[6:7]
	v_mov_b32_e32 v8, 0
	ds_read_b128 v[8:11], v8 offset:400
	s_waitcnt lgkmcnt(0)
	v_mul_f64 v[12:13], v[2:3], v[10:11]
	v_mul_f64 v[10:11], v[4:5], v[10:11]
	v_fma_f64 v[4:5], v[4:5], v[8:9], -v[12:13]
	v_fmac_f64_e32 v[10:11], v[2:3], v[8:9]
	buffer_store_dword v5, off, s[0:3], 0 offset:420
	buffer_store_dword v4, off, s[0:3], 0 offset:416
	buffer_store_dword v11, off, s[0:3], 0 offset:428
	buffer_store_dword v10, off, s[0:3], 0 offset:424
.LBB32_115:
	s_or_b64 exec, exec, s[4:5]
	v_accvgpr_read_b32 v5, a66
	s_waitcnt lgkmcnt(0)
	; wave barrier
	buffer_load_dword v2, v5, s[0:3], 0 offen
	buffer_load_dword v3, v5, s[0:3], 0 offen offset:4
	buffer_load_dword v4, v5, s[0:3], 0 offen offset:8
	s_nop 0
	buffer_load_dword v5, v5, s[0:3], 0 offen offset:12
	v_cmp_gt_u32_e32 vcc, 26, v0
	s_waitcnt vmcnt(0)
	ds_write_b128 v6, v[2:5]
	s_waitcnt lgkmcnt(0)
	; wave barrier
	s_waitcnt lgkmcnt(0)
	s_and_saveexec_b64 s[4:5], vcc
	s_cbranch_execz .LBB32_119
; %bb.116:
	v_pk_mov_b32 v[2:3], 0, 0
	v_add_u32_e32 v8, -1, v0
	v_add_u32_e32 v9, 0x210, v1
	v_add_u32_e32 v10, 16, v1
	s_mov_b64 s[6:7], 0
	v_pk_mov_b32 v[4:5], v[2:3], v[2:3] op_sel:[0,1]
.LBB32_117:                             ; =>This Inner Loop Header: Depth=1
	buffer_load_dword v16, v10, s[0:3], 0 offen offset:8
	buffer_load_dword v17, v10, s[0:3], 0 offen offset:12
	buffer_load_dword v18, v10, s[0:3], 0 offen
	buffer_load_dword v19, v10, s[0:3], 0 offen offset:4
	ds_read_b128 v[12:15], v9
	v_add_u32_e32 v8, 1, v8
	v_cmp_lt_u32_e32 vcc, 24, v8
	v_add_u32_e32 v9, 16, v9
	v_add_u32_e32 v10, 16, v10
	s_or_b64 s[6:7], vcc, s[6:7]
	s_waitcnt vmcnt(2) lgkmcnt(0)
	v_mul_f64 v[20:21], v[14:15], v[16:17]
	v_mul_f64 v[16:17], v[12:13], v[16:17]
	s_waitcnt vmcnt(0)
	v_fma_f64 v[12:13], v[12:13], v[18:19], -v[20:21]
	v_fmac_f64_e32 v[16:17], v[14:15], v[18:19]
	v_add_f64 v[4:5], v[4:5], v[12:13]
	v_add_f64 v[2:3], v[2:3], v[16:17]
	s_andn2_b64 exec, exec, s[6:7]
	s_cbranch_execnz .LBB32_117
; %bb.118:
	s_or_b64 exec, exec, s[6:7]
	v_mov_b32_e32 v8, 0
	ds_read_b128 v[8:11], v8 offset:416
	s_waitcnt lgkmcnt(0)
	v_mul_f64 v[12:13], v[2:3], v[10:11]
	v_mul_f64 v[10:11], v[4:5], v[10:11]
	v_fma_f64 v[4:5], v[4:5], v[8:9], -v[12:13]
	v_fmac_f64_e32 v[10:11], v[2:3], v[8:9]
	buffer_store_dword v5, off, s[0:3], 0 offset:436
	buffer_store_dword v4, off, s[0:3], 0 offset:432
	buffer_store_dword v11, off, s[0:3], 0 offset:444
	buffer_store_dword v10, off, s[0:3], 0 offset:440
.LBB32_119:
	s_or_b64 exec, exec, s[4:5]
	v_accvgpr_read_b32 v5, a65
	s_waitcnt lgkmcnt(0)
	; wave barrier
	buffer_load_dword v2, v5, s[0:3], 0 offen
	buffer_load_dword v3, v5, s[0:3], 0 offen offset:4
	buffer_load_dword v4, v5, s[0:3], 0 offen offset:8
	s_nop 0
	buffer_load_dword v5, v5, s[0:3], 0 offen offset:12
	v_cmp_gt_u32_e32 vcc, 27, v0
	s_waitcnt vmcnt(0)
	ds_write_b128 v6, v[2:5]
	s_waitcnt lgkmcnt(0)
	; wave barrier
	s_waitcnt lgkmcnt(0)
	s_and_saveexec_b64 s[4:5], vcc
	s_cbranch_execz .LBB32_123
; %bb.120:
	v_pk_mov_b32 v[2:3], 0, 0
	v_add_u32_e32 v8, -1, v0
	v_add_u32_e32 v9, 0x210, v1
	v_add_u32_e32 v10, 16, v1
	s_mov_b64 s[6:7], 0
	v_pk_mov_b32 v[4:5], v[2:3], v[2:3] op_sel:[0,1]
.LBB32_121:                             ; =>This Inner Loop Header: Depth=1
	buffer_load_dword v16, v10, s[0:3], 0 offen offset:8
	buffer_load_dword v17, v10, s[0:3], 0 offen offset:12
	buffer_load_dword v18, v10, s[0:3], 0 offen
	buffer_load_dword v19, v10, s[0:3], 0 offen offset:4
	ds_read_b128 v[12:15], v9
	v_add_u32_e32 v8, 1, v8
	v_cmp_lt_u32_e32 vcc, 25, v8
	v_add_u32_e32 v9, 16, v9
	v_add_u32_e32 v10, 16, v10
	s_or_b64 s[6:7], vcc, s[6:7]
	s_waitcnt vmcnt(2) lgkmcnt(0)
	v_mul_f64 v[20:21], v[14:15], v[16:17]
	v_mul_f64 v[16:17], v[12:13], v[16:17]
	s_waitcnt vmcnt(0)
	v_fma_f64 v[12:13], v[12:13], v[18:19], -v[20:21]
	v_fmac_f64_e32 v[16:17], v[14:15], v[18:19]
	v_add_f64 v[4:5], v[4:5], v[12:13]
	v_add_f64 v[2:3], v[2:3], v[16:17]
	s_andn2_b64 exec, exec, s[6:7]
	s_cbranch_execnz .LBB32_121
; %bb.122:
	s_or_b64 exec, exec, s[6:7]
	v_mov_b32_e32 v8, 0
	ds_read_b128 v[8:11], v8 offset:432
	s_waitcnt lgkmcnt(0)
	v_mul_f64 v[12:13], v[2:3], v[10:11]
	v_mul_f64 v[10:11], v[4:5], v[10:11]
	v_fma_f64 v[4:5], v[4:5], v[8:9], -v[12:13]
	v_fmac_f64_e32 v[10:11], v[2:3], v[8:9]
	buffer_store_dword v5, off, s[0:3], 0 offset:452
	buffer_store_dword v4, off, s[0:3], 0 offset:448
	buffer_store_dword v11, off, s[0:3], 0 offset:460
	buffer_store_dword v10, off, s[0:3], 0 offset:456
.LBB32_123:
	s_or_b64 exec, exec, s[4:5]
	v_accvgpr_read_b32 v5, a64
	s_waitcnt lgkmcnt(0)
	; wave barrier
	buffer_load_dword v2, v5, s[0:3], 0 offen
	buffer_load_dword v3, v5, s[0:3], 0 offen offset:4
	buffer_load_dword v4, v5, s[0:3], 0 offen offset:8
	s_nop 0
	buffer_load_dword v5, v5, s[0:3], 0 offen offset:12
	v_cmp_gt_u32_e32 vcc, 28, v0
	s_waitcnt vmcnt(0)
	ds_write_b128 v6, v[2:5]
	s_waitcnt lgkmcnt(0)
	; wave barrier
	s_waitcnt lgkmcnt(0)
	s_and_saveexec_b64 s[4:5], vcc
	s_cbranch_execz .LBB32_127
; %bb.124:
	v_pk_mov_b32 v[2:3], 0, 0
	v_add_u32_e32 v8, -1, v0
	v_add_u32_e32 v9, 0x210, v1
	v_add_u32_e32 v10, 16, v1
	s_mov_b64 s[6:7], 0
	v_pk_mov_b32 v[4:5], v[2:3], v[2:3] op_sel:[0,1]
.LBB32_125:                             ; =>This Inner Loop Header: Depth=1
	buffer_load_dword v16, v10, s[0:3], 0 offen offset:8
	buffer_load_dword v17, v10, s[0:3], 0 offen offset:12
	buffer_load_dword v18, v10, s[0:3], 0 offen
	buffer_load_dword v19, v10, s[0:3], 0 offen offset:4
	ds_read_b128 v[12:15], v9
	v_add_u32_e32 v8, 1, v8
	v_cmp_lt_u32_e32 vcc, 26, v8
	v_add_u32_e32 v9, 16, v9
	v_add_u32_e32 v10, 16, v10
	s_or_b64 s[6:7], vcc, s[6:7]
	s_waitcnt vmcnt(2) lgkmcnt(0)
	v_mul_f64 v[20:21], v[14:15], v[16:17]
	v_mul_f64 v[16:17], v[12:13], v[16:17]
	s_waitcnt vmcnt(0)
	v_fma_f64 v[12:13], v[12:13], v[18:19], -v[20:21]
	v_fmac_f64_e32 v[16:17], v[14:15], v[18:19]
	v_add_f64 v[4:5], v[4:5], v[12:13]
	v_add_f64 v[2:3], v[2:3], v[16:17]
	s_andn2_b64 exec, exec, s[6:7]
	s_cbranch_execnz .LBB32_125
; %bb.126:
	s_or_b64 exec, exec, s[6:7]
	v_mov_b32_e32 v8, 0
	ds_read_b128 v[8:11], v8 offset:448
	s_waitcnt lgkmcnt(0)
	v_mul_f64 v[12:13], v[2:3], v[10:11]
	v_mul_f64 v[10:11], v[4:5], v[10:11]
	v_fma_f64 v[4:5], v[4:5], v[8:9], -v[12:13]
	v_fmac_f64_e32 v[10:11], v[2:3], v[8:9]
	buffer_store_dword v5, off, s[0:3], 0 offset:468
	buffer_store_dword v4, off, s[0:3], 0 offset:464
	buffer_store_dword v11, off, s[0:3], 0 offset:476
	buffer_store_dword v10, off, s[0:3], 0 offset:472
.LBB32_127:
	s_or_b64 exec, exec, s[4:5]
	v_accvgpr_read_b32 v5, a63
	s_waitcnt lgkmcnt(0)
	; wave barrier
	buffer_load_dword v2, v5, s[0:3], 0 offen
	buffer_load_dword v3, v5, s[0:3], 0 offen offset:4
	buffer_load_dword v4, v5, s[0:3], 0 offen offset:8
	s_nop 0
	buffer_load_dword v5, v5, s[0:3], 0 offen offset:12
	v_cmp_gt_u32_e32 vcc, 29, v0
	s_waitcnt vmcnt(0)
	ds_write_b128 v6, v[2:5]
	s_waitcnt lgkmcnt(0)
	; wave barrier
	s_waitcnt lgkmcnt(0)
	s_and_saveexec_b64 s[4:5], vcc
	s_cbranch_execz .LBB32_131
; %bb.128:
	v_pk_mov_b32 v[2:3], 0, 0
	v_add_u32_e32 v8, -1, v0
	v_add_u32_e32 v9, 0x210, v1
	v_add_u32_e32 v10, 16, v1
	s_mov_b64 s[6:7], 0
	v_pk_mov_b32 v[4:5], v[2:3], v[2:3] op_sel:[0,1]
.LBB32_129:                             ; =>This Inner Loop Header: Depth=1
	buffer_load_dword v16, v10, s[0:3], 0 offen offset:8
	buffer_load_dword v17, v10, s[0:3], 0 offen offset:12
	buffer_load_dword v18, v10, s[0:3], 0 offen
	buffer_load_dword v19, v10, s[0:3], 0 offen offset:4
	ds_read_b128 v[12:15], v9
	v_add_u32_e32 v8, 1, v8
	v_cmp_lt_u32_e32 vcc, 27, v8
	v_add_u32_e32 v9, 16, v9
	v_add_u32_e32 v10, 16, v10
	s_or_b64 s[6:7], vcc, s[6:7]
	s_waitcnt vmcnt(2) lgkmcnt(0)
	v_mul_f64 v[20:21], v[14:15], v[16:17]
	v_mul_f64 v[16:17], v[12:13], v[16:17]
	s_waitcnt vmcnt(0)
	v_fma_f64 v[12:13], v[12:13], v[18:19], -v[20:21]
	v_fmac_f64_e32 v[16:17], v[14:15], v[18:19]
	v_add_f64 v[4:5], v[4:5], v[12:13]
	v_add_f64 v[2:3], v[2:3], v[16:17]
	s_andn2_b64 exec, exec, s[6:7]
	s_cbranch_execnz .LBB32_129
; %bb.130:
	s_or_b64 exec, exec, s[6:7]
	v_mov_b32_e32 v8, 0
	ds_read_b128 v[8:11], v8 offset:464
	s_waitcnt lgkmcnt(0)
	v_mul_f64 v[12:13], v[2:3], v[10:11]
	v_mul_f64 v[10:11], v[4:5], v[10:11]
	v_fma_f64 v[4:5], v[4:5], v[8:9], -v[12:13]
	v_fmac_f64_e32 v[10:11], v[2:3], v[8:9]
	buffer_store_dword v5, off, s[0:3], 0 offset:484
	buffer_store_dword v4, off, s[0:3], 0 offset:480
	buffer_store_dword v11, off, s[0:3], 0 offset:492
	buffer_store_dword v10, off, s[0:3], 0 offset:488
.LBB32_131:
	s_or_b64 exec, exec, s[4:5]
	v_accvgpr_read_b32 v5, a62
	s_waitcnt lgkmcnt(0)
	; wave barrier
	buffer_load_dword v2, v5, s[0:3], 0 offen
	buffer_load_dword v3, v5, s[0:3], 0 offen offset:4
	buffer_load_dword v4, v5, s[0:3], 0 offen offset:8
	s_nop 0
	buffer_load_dword v5, v5, s[0:3], 0 offen offset:12
	v_cmp_gt_u32_e32 vcc, 30, v0
	s_waitcnt vmcnt(0)
	ds_write_b128 v6, v[2:5]
	s_waitcnt lgkmcnt(0)
	; wave barrier
	s_waitcnt lgkmcnt(0)
	s_and_saveexec_b64 s[4:5], vcc
	s_cbranch_execz .LBB32_135
; %bb.132:
	v_pk_mov_b32 v[2:3], 0, 0
	v_add_u32_e32 v8, -1, v0
	v_add_u32_e32 v9, 0x210, v1
	v_add_u32_e32 v10, 16, v1
	s_mov_b64 s[6:7], 0
	v_pk_mov_b32 v[4:5], v[2:3], v[2:3] op_sel:[0,1]
.LBB32_133:                             ; =>This Inner Loop Header: Depth=1
	buffer_load_dword v16, v10, s[0:3], 0 offen offset:8
	buffer_load_dword v17, v10, s[0:3], 0 offen offset:12
	buffer_load_dword v18, v10, s[0:3], 0 offen
	buffer_load_dword v19, v10, s[0:3], 0 offen offset:4
	ds_read_b128 v[12:15], v9
	v_add_u32_e32 v8, 1, v8
	v_cmp_lt_u32_e32 vcc, 28, v8
	v_add_u32_e32 v9, 16, v9
	v_add_u32_e32 v10, 16, v10
	s_or_b64 s[6:7], vcc, s[6:7]
	s_waitcnt vmcnt(2) lgkmcnt(0)
	v_mul_f64 v[20:21], v[14:15], v[16:17]
	v_mul_f64 v[16:17], v[12:13], v[16:17]
	s_waitcnt vmcnt(0)
	v_fma_f64 v[12:13], v[12:13], v[18:19], -v[20:21]
	v_fmac_f64_e32 v[16:17], v[14:15], v[18:19]
	v_add_f64 v[4:5], v[4:5], v[12:13]
	v_add_f64 v[2:3], v[2:3], v[16:17]
	s_andn2_b64 exec, exec, s[6:7]
	s_cbranch_execnz .LBB32_133
; %bb.134:
	s_or_b64 exec, exec, s[6:7]
	v_mov_b32_e32 v8, 0
	ds_read_b128 v[8:11], v8 offset:480
	s_waitcnt lgkmcnt(0)
	v_mul_f64 v[12:13], v[2:3], v[10:11]
	v_mul_f64 v[10:11], v[4:5], v[10:11]
	v_fma_f64 v[4:5], v[4:5], v[8:9], -v[12:13]
	v_fmac_f64_e32 v[10:11], v[2:3], v[8:9]
	buffer_store_dword v5, off, s[0:3], 0 offset:500
	buffer_store_dword v4, off, s[0:3], 0 offset:496
	buffer_store_dword v11, off, s[0:3], 0 offset:508
	buffer_store_dword v10, off, s[0:3], 0 offset:504
.LBB32_135:
	s_or_b64 exec, exec, s[4:5]
	v_accvgpr_read_b32 v5, a61
	s_waitcnt lgkmcnt(0)
	; wave barrier
	buffer_load_dword v2, v5, s[0:3], 0 offen
	buffer_load_dword v3, v5, s[0:3], 0 offen offset:4
	buffer_load_dword v4, v5, s[0:3], 0 offen offset:8
	s_nop 0
	buffer_load_dword v5, v5, s[0:3], 0 offen offset:12
	v_cmp_gt_u32_e32 vcc, 31, v0
	s_waitcnt vmcnt(0)
	ds_write_b128 v6, v[2:5]
	s_waitcnt lgkmcnt(0)
	; wave barrier
	s_waitcnt lgkmcnt(0)
	s_and_saveexec_b64 s[4:5], vcc
	s_cbranch_execz .LBB32_139
; %bb.136:
	v_pk_mov_b32 v[2:3], 0, 0
	v_add_u32_e32 v8, -1, v0
	v_add_u32_e32 v9, 0x210, v1
	v_add_u32_e32 v10, 16, v1
	s_mov_b64 s[6:7], 0
	v_pk_mov_b32 v[4:5], v[2:3], v[2:3] op_sel:[0,1]
.LBB32_137:                             ; =>This Inner Loop Header: Depth=1
	buffer_load_dword v16, v10, s[0:3], 0 offen offset:8
	buffer_load_dword v17, v10, s[0:3], 0 offen offset:12
	buffer_load_dword v18, v10, s[0:3], 0 offen
	buffer_load_dword v19, v10, s[0:3], 0 offen offset:4
	ds_read_b128 v[12:15], v9
	v_add_u32_e32 v8, 1, v8
	v_cmp_lt_u32_e32 vcc, 29, v8
	v_add_u32_e32 v9, 16, v9
	v_add_u32_e32 v10, 16, v10
	s_or_b64 s[6:7], vcc, s[6:7]
	s_waitcnt vmcnt(2) lgkmcnt(0)
	v_mul_f64 v[20:21], v[14:15], v[16:17]
	v_mul_f64 v[16:17], v[12:13], v[16:17]
	s_waitcnt vmcnt(0)
	v_fma_f64 v[12:13], v[12:13], v[18:19], -v[20:21]
	v_fmac_f64_e32 v[16:17], v[14:15], v[18:19]
	v_add_f64 v[4:5], v[4:5], v[12:13]
	v_add_f64 v[2:3], v[2:3], v[16:17]
	s_andn2_b64 exec, exec, s[6:7]
	s_cbranch_execnz .LBB32_137
; %bb.138:
	s_or_b64 exec, exec, s[6:7]
	v_mov_b32_e32 v8, 0
	ds_read_b128 v[8:11], v8 offset:496
	s_waitcnt lgkmcnt(0)
	v_mul_f64 v[12:13], v[2:3], v[10:11]
	v_mul_f64 v[10:11], v[4:5], v[10:11]
	v_fma_f64 v[4:5], v[4:5], v[8:9], -v[12:13]
	v_fmac_f64_e32 v[10:11], v[2:3], v[8:9]
	buffer_store_dword v5, off, s[0:3], 0 offset:516
	buffer_store_dword v4, off, s[0:3], 0 offset:512
	;; [unrolled: 1-line block ×4, first 2 shown]
.LBB32_139:
	s_or_b64 exec, exec, s[4:5]
	v_accvgpr_read_b32 v5, a60
	s_waitcnt lgkmcnt(0)
	; wave barrier
	buffer_load_dword v2, v5, s[0:3], 0 offen
	buffer_load_dword v3, v5, s[0:3], 0 offen offset:4
	buffer_load_dword v4, v5, s[0:3], 0 offen offset:8
	s_nop 0
	buffer_load_dword v5, v5, s[0:3], 0 offen offset:12
	v_cmp_ne_u32_e32 vcc, 32, v0
	s_waitcnt vmcnt(0)
	ds_write_b128 v6, v[2:5]
	s_waitcnt lgkmcnt(0)
	; wave barrier
	s_waitcnt lgkmcnt(0)
	s_and_saveexec_b64 s[4:5], vcc
	s_cbranch_execz .LBB32_143
; %bb.140:
	v_pk_mov_b32 v[2:3], 0, 0
	v_add_u32_e32 v6, 0x210, v1
	v_add_u32_e32 v1, 16, v1
	s_mov_b64 s[6:7], 0
	v_pk_mov_b32 v[4:5], v[2:3], v[2:3] op_sel:[0,1]
.LBB32_141:                             ; =>This Inner Loop Header: Depth=1
	buffer_load_dword v12, v1, s[0:3], 0 offen offset:8
	buffer_load_dword v13, v1, s[0:3], 0 offen offset:12
	buffer_load_dword v14, v1, s[0:3], 0 offen
	buffer_load_dword v15, v1, s[0:3], 0 offen offset:4
	ds_read_b128 v[8:11], v6
	v_add_u32_e32 v7, 1, v7
	v_cmp_lt_u32_e32 vcc, 30, v7
	v_add_u32_e32 v6, 16, v6
	v_add_u32_e32 v1, 16, v1
	s_or_b64 s[6:7], vcc, s[6:7]
	s_waitcnt vmcnt(2) lgkmcnt(0)
	v_mul_f64 v[16:17], v[10:11], v[12:13]
	v_mul_f64 v[12:13], v[8:9], v[12:13]
	s_waitcnt vmcnt(0)
	v_fma_f64 v[8:9], v[8:9], v[14:15], -v[16:17]
	v_fmac_f64_e32 v[12:13], v[10:11], v[14:15]
	v_add_f64 v[4:5], v[4:5], v[8:9]
	v_add_f64 v[2:3], v[2:3], v[12:13]
	s_andn2_b64 exec, exec, s[6:7]
	s_cbranch_execnz .LBB32_141
; %bb.142:
	s_or_b64 exec, exec, s[6:7]
	v_mov_b32_e32 v1, 0
	ds_read_b128 v[6:9], v1 offset:512
	s_waitcnt lgkmcnt(0)
	v_mul_f64 v[10:11], v[2:3], v[8:9]
	v_mul_f64 v[8:9], v[4:5], v[8:9]
	v_fma_f64 v[4:5], v[4:5], v[6:7], -v[10:11]
	v_fmac_f64_e32 v[8:9], v[2:3], v[6:7]
	buffer_store_dword v5, off, s[0:3], 0 offset:532
	buffer_store_dword v4, off, s[0:3], 0 offset:528
	;; [unrolled: 1-line block ×4, first 2 shown]
.LBB32_143:
	s_or_b64 exec, exec, s[4:5]
	s_mov_b64 s[6:7], -1
	s_waitcnt lgkmcnt(0)
	; wave barrier
.LBB32_144:
	s_and_b64 vcc, exec, s[6:7]
	s_cbranch_vccz .LBB32_146
; %bb.145:
	s_lshl_b64 s[4:5], s[8:9], 2
	s_add_u32 s4, s14, s4
	s_addc_u32 s5, s15, s5
	v_mov_b32_e32 v1, 0
	global_load_dword v1, v1, s[4:5]
	s_waitcnt vmcnt(0)
	v_cmp_ne_u32_e32 vcc, 0, v1
	s_cbranch_vccz .LBB32_147
.LBB32_146:
	s_endpgm
.LBB32_147:
	v_mov_b32_e32 v1, 0x210
	v_lshl_add_u32 v1, v0, 4, v1
	v_cmp_eq_u32_e32 vcc, 32, v0
	s_and_saveexec_b64 s[4:5], vcc
	s_cbranch_execz .LBB32_149
; %bb.148:
	v_accvgpr_read_b32 v5, a61
	buffer_load_dword v2, v5, s[0:3], 0 offen
	buffer_load_dword v3, v5, s[0:3], 0 offen offset:4
	buffer_load_dword v4, v5, s[0:3], 0 offen offset:8
	s_nop 0
	buffer_load_dword v5, v5, s[0:3], 0 offen offset:12
	v_mov_b32_e32 v6, 0
	buffer_store_dword v6, off, s[0:3], 0 offset:512
	buffer_store_dword v6, off, s[0:3], 0 offset:516
	;; [unrolled: 1-line block ×4, first 2 shown]
	s_waitcnt vmcnt(4)
	ds_write_b128 v1, v[2:5]
.LBB32_149:
	s_or_b64 exec, exec, s[4:5]
	s_waitcnt lgkmcnt(0)
	; wave barrier
	s_waitcnt lgkmcnt(0)
	buffer_load_dword v8, off, s[0:3], 0 offset:536
	buffer_load_dword v9, off, s[0:3], 0 offset:540
	;; [unrolled: 1-line block ×8, first 2 shown]
	v_mov_b32_e32 v2, 0
	ds_read_b128 v[4:7], v2 offset:1040
	v_cmp_lt_u32_e32 vcc, 30, v0
	s_waitcnt vmcnt(6) lgkmcnt(0)
	v_mul_f64 v[16:17], v[4:5], v[8:9]
	v_mul_f64 v[8:9], v[6:7], v[8:9]
	s_waitcnt vmcnt(4)
	v_fma_f64 v[4:5], v[4:5], v[10:11], -v[8:9]
	v_fmac_f64_e32 v[16:17], v[6:7], v[10:11]
	v_add_f64 v[4:5], v[4:5], 0
	v_add_f64 v[6:7], v[16:17], 0
	s_waitcnt vmcnt(2)
	v_add_f64 v[4:5], v[12:13], -v[4:5]
	s_waitcnt vmcnt(0)
	v_add_f64 v[6:7], v[14:15], -v[6:7]
	buffer_store_dword v4, off, s[0:3], 0 offset:512
	buffer_store_dword v5, off, s[0:3], 0 offset:516
	buffer_store_dword v6, off, s[0:3], 0 offset:520
	buffer_store_dword v7, off, s[0:3], 0 offset:524
	s_and_saveexec_b64 s[4:5], vcc
	s_cbranch_execz .LBB32_151
; %bb.150:
	v_accvgpr_read_b32 v3, a62
	buffer_load_dword v4, v3, s[0:3], 0 offen
	buffer_load_dword v5, v3, s[0:3], 0 offen offset:4
	buffer_load_dword v6, v3, s[0:3], 0 offen offset:8
	buffer_load_dword v7, v3, s[0:3], 0 offen offset:12
	s_nop 0
	buffer_store_dword v2, off, s[0:3], 0 offset:496
	buffer_store_dword v2, off, s[0:3], 0 offset:500
	;; [unrolled: 1-line block ×4, first 2 shown]
	s_waitcnt vmcnt(4)
	ds_write_b128 v1, v[4:7]
.LBB32_151:
	s_or_b64 exec, exec, s[4:5]
	s_waitcnt lgkmcnt(0)
	; wave barrier
	s_waitcnt lgkmcnt(0)
	buffer_load_dword v12, off, s[0:3], 0 offset:520
	buffer_load_dword v13, off, s[0:3], 0 offset:524
	;; [unrolled: 1-line block ×12, first 2 shown]
	ds_read_b128 v[4:7], v2 offset:1024
	ds_read_b128 v[8:11], v2 offset:1040
	v_cmp_lt_u32_e32 vcc, 29, v0
	s_waitcnt vmcnt(10) lgkmcnt(1)
	v_mul_f64 v[2:3], v[4:5], v[12:13]
	v_mul_f64 v[12:13], v[6:7], v[12:13]
	s_waitcnt vmcnt(8) lgkmcnt(0)
	v_mul_f64 v[24:25], v[8:9], v[14:15]
	v_mul_f64 v[14:15], v[10:11], v[14:15]
	s_waitcnt vmcnt(6)
	v_fma_f64 v[4:5], v[4:5], v[16:17], -v[12:13]
	v_fmac_f64_e32 v[2:3], v[6:7], v[16:17]
	s_waitcnt vmcnt(4)
	v_fma_f64 v[6:7], v[8:9], v[18:19], -v[14:15]
	v_add_f64 v[4:5], v[4:5], 0
	v_fmac_f64_e32 v[24:25], v[10:11], v[18:19]
	v_add_f64 v[2:3], v[2:3], 0
	v_add_f64 v[4:5], v[4:5], v[6:7]
	;; [unrolled: 1-line block ×3, first 2 shown]
	s_waitcnt vmcnt(2)
	v_add_f64 v[4:5], v[20:21], -v[4:5]
	s_waitcnt vmcnt(0)
	v_add_f64 v[2:3], v[22:23], -v[2:3]
	buffer_store_dword v4, off, s[0:3], 0 offset:496
	buffer_store_dword v5, off, s[0:3], 0 offset:500
	;; [unrolled: 1-line block ×4, first 2 shown]
	s_and_saveexec_b64 s[4:5], vcc
	s_cbranch_execz .LBB32_153
; %bb.152:
	v_accvgpr_read_b32 v5, a63
	buffer_load_dword v2, v5, s[0:3], 0 offen
	buffer_load_dword v3, v5, s[0:3], 0 offen offset:4
	buffer_load_dword v4, v5, s[0:3], 0 offen offset:8
	s_nop 0
	buffer_load_dword v5, v5, s[0:3], 0 offen offset:12
	v_mov_b32_e32 v6, 0
	buffer_store_dword v6, off, s[0:3], 0 offset:480
	buffer_store_dword v6, off, s[0:3], 0 offset:484
	;; [unrolled: 1-line block ×4, first 2 shown]
	s_waitcnt vmcnt(4)
	ds_write_b128 v1, v[2:5]
.LBB32_153:
	s_or_b64 exec, exec, s[4:5]
	s_waitcnt lgkmcnt(0)
	; wave barrier
	s_waitcnt lgkmcnt(0)
	buffer_load_dword v16, off, s[0:3], 0 offset:504
	buffer_load_dword v17, off, s[0:3], 0 offset:508
	;; [unrolled: 1-line block ×16, first 2 shown]
	v_mov_b32_e32 v2, 0
	ds_read_b128 v[4:7], v2 offset:1008
	ds_read_b128 v[8:11], v2 offset:1024
	;; [unrolled: 1-line block ×3, first 2 shown]
	v_cmp_lt_u32_e32 vcc, 28, v0
	s_waitcnt vmcnt(14) lgkmcnt(2)
	v_mul_f64 v[32:33], v[4:5], v[16:17]
	v_mul_f64 v[16:17], v[6:7], v[16:17]
	s_waitcnt vmcnt(12) lgkmcnt(1)
	v_mul_f64 v[34:35], v[8:9], v[18:19]
	v_mul_f64 v[18:19], v[10:11], v[18:19]
	;; [unrolled: 3-line block ×3, first 2 shown]
	s_waitcnt vmcnt(8)
	v_fma_f64 v[4:5], v[4:5], v[22:23], -v[16:17]
	v_fmac_f64_e32 v[32:33], v[6:7], v[22:23]
	s_waitcnt vmcnt(6)
	v_fma_f64 v[6:7], v[8:9], v[24:25], -v[18:19]
	v_add_f64 v[4:5], v[4:5], 0
	v_fmac_f64_e32 v[34:35], v[10:11], v[24:25]
	s_waitcnt vmcnt(4)
	v_fma_f64 v[8:9], v[12:13], v[26:27], -v[20:21]
	v_add_f64 v[10:11], v[32:33], 0
	v_add_f64 v[4:5], v[4:5], v[6:7]
	v_fmac_f64_e32 v[36:37], v[14:15], v[26:27]
	v_add_f64 v[10:11], v[10:11], v[34:35]
	v_add_f64 v[4:5], v[4:5], v[8:9]
	;; [unrolled: 1-line block ×3, first 2 shown]
	s_waitcnt vmcnt(2)
	v_add_f64 v[4:5], v[28:29], -v[4:5]
	s_waitcnt vmcnt(0)
	v_add_f64 v[6:7], v[30:31], -v[6:7]
	buffer_store_dword v4, off, s[0:3], 0 offset:480
	buffer_store_dword v5, off, s[0:3], 0 offset:484
	;; [unrolled: 1-line block ×4, first 2 shown]
	s_and_saveexec_b64 s[4:5], vcc
	s_cbranch_execz .LBB32_155
; %bb.154:
	v_accvgpr_read_b32 v3, a64
	buffer_load_dword v4, v3, s[0:3], 0 offen
	buffer_load_dword v5, v3, s[0:3], 0 offen offset:4
	buffer_load_dword v6, v3, s[0:3], 0 offen offset:8
	;; [unrolled: 1-line block ×3, first 2 shown]
	s_nop 0
	buffer_store_dword v2, off, s[0:3], 0 offset:464
	buffer_store_dword v2, off, s[0:3], 0 offset:468
	;; [unrolled: 1-line block ×4, first 2 shown]
	s_waitcnt vmcnt(4)
	ds_write_b128 v1, v[4:7]
.LBB32_155:
	s_or_b64 exec, exec, s[4:5]
	s_waitcnt lgkmcnt(0)
	; wave barrier
	s_waitcnt lgkmcnt(0)
	buffer_load_dword v20, off, s[0:3], 0 offset:488
	buffer_load_dword v21, off, s[0:3], 0 offset:492
	buffer_load_dword v22, off, s[0:3], 0 offset:504
	buffer_load_dword v23, off, s[0:3], 0 offset:508
	buffer_load_dword v24, off, s[0:3], 0 offset:520
	buffer_load_dword v25, off, s[0:3], 0 offset:524
	buffer_load_dword v27, off, s[0:3], 0 offset:540
	buffer_load_dword v26, off, s[0:3], 0 offset:536
	buffer_load_dword v28, off, s[0:3], 0 offset:480
	buffer_load_dword v29, off, s[0:3], 0 offset:484
	buffer_load_dword v30, off, s[0:3], 0 offset:496
	buffer_load_dword v31, off, s[0:3], 0 offset:500
	buffer_load_dword v32, off, s[0:3], 0 offset:512
	buffer_load_dword v33, off, s[0:3], 0 offset:516
	buffer_load_dword v35, off, s[0:3], 0 offset:532
	buffer_load_dword v34, off, s[0:3], 0 offset:528
	buffer_load_dword v36, off, s[0:3], 0 offset:464
	buffer_load_dword v37, off, s[0:3], 0 offset:468
	buffer_load_dword v38, off, s[0:3], 0 offset:472
	buffer_load_dword v39, off, s[0:3], 0 offset:476
	ds_read_b128 v[4:7], v2 offset:992
	ds_read_b128 v[8:11], v2 offset:1008
	;; [unrolled: 1-line block ×4, first 2 shown]
	v_cmp_lt_u32_e32 vcc, 27, v0
	s_waitcnt vmcnt(18) lgkmcnt(3)
	v_mul_f64 v[2:3], v[4:5], v[20:21]
	v_mul_f64 v[20:21], v[6:7], v[20:21]
	s_waitcnt vmcnt(16) lgkmcnt(2)
	v_mul_f64 v[40:41], v[8:9], v[22:23]
	v_mul_f64 v[22:23], v[10:11], v[22:23]
	;; [unrolled: 3-line block ×4, first 2 shown]
	s_waitcnt vmcnt(10)
	v_fma_f64 v[4:5], v[4:5], v[28:29], -v[20:21]
	v_fmac_f64_e32 v[2:3], v[6:7], v[28:29]
	s_waitcnt vmcnt(8)
	v_fma_f64 v[6:7], v[8:9], v[30:31], -v[22:23]
	v_add_f64 v[4:5], v[4:5], 0
	v_fmac_f64_e32 v[40:41], v[10:11], v[30:31]
	s_waitcnt vmcnt(6)
	v_fma_f64 v[8:9], v[12:13], v[32:33], -v[24:25]
	v_add_f64 v[2:3], v[2:3], 0
	v_add_f64 v[4:5], v[4:5], v[6:7]
	v_fmac_f64_e32 v[42:43], v[14:15], v[32:33]
	s_waitcnt vmcnt(4)
	v_fma_f64 v[10:11], v[16:17], v[34:35], -v[26:27]
	v_add_f64 v[2:3], v[2:3], v[40:41]
	v_add_f64 v[4:5], v[4:5], v[8:9]
	v_fmac_f64_e32 v[44:45], v[18:19], v[34:35]
	v_add_f64 v[2:3], v[2:3], v[42:43]
	v_add_f64 v[4:5], v[4:5], v[10:11]
	;; [unrolled: 1-line block ×3, first 2 shown]
	s_waitcnt vmcnt(2)
	v_add_f64 v[4:5], v[36:37], -v[4:5]
	s_waitcnt vmcnt(0)
	v_add_f64 v[2:3], v[38:39], -v[2:3]
	buffer_store_dword v4, off, s[0:3], 0 offset:464
	buffer_store_dword v5, off, s[0:3], 0 offset:468
	;; [unrolled: 1-line block ×4, first 2 shown]
	s_and_saveexec_b64 s[4:5], vcc
	s_cbranch_execz .LBB32_157
; %bb.156:
	v_accvgpr_read_b32 v5, a65
	buffer_load_dword v2, v5, s[0:3], 0 offen
	buffer_load_dword v3, v5, s[0:3], 0 offen offset:4
	buffer_load_dword v4, v5, s[0:3], 0 offen offset:8
	s_nop 0
	buffer_load_dword v5, v5, s[0:3], 0 offen offset:12
	v_mov_b32_e32 v6, 0
	buffer_store_dword v6, off, s[0:3], 0 offset:448
	buffer_store_dword v6, off, s[0:3], 0 offset:452
	;; [unrolled: 1-line block ×4, first 2 shown]
	s_waitcnt vmcnt(4)
	ds_write_b128 v1, v[2:5]
.LBB32_157:
	s_or_b64 exec, exec, s[4:5]
	s_waitcnt lgkmcnt(0)
	; wave barrier
	s_waitcnt lgkmcnt(0)
	buffer_load_dword v24, off, s[0:3], 0 offset:472
	buffer_load_dword v25, off, s[0:3], 0 offset:476
	;; [unrolled: 1-line block ×24, first 2 shown]
	v_mov_b32_e32 v2, 0
	ds_read_b128 v[4:7], v2 offset:976
	ds_read_b128 v[8:11], v2 offset:992
	;; [unrolled: 1-line block ×5, first 2 shown]
	v_cmp_lt_u32_e32 vcc, 26, v0
	s_waitcnt vmcnt(22) lgkmcnt(4)
	v_mul_f64 v[48:49], v[4:5], v[24:25]
	v_mul_f64 v[24:25], v[6:7], v[24:25]
	s_waitcnt vmcnt(20) lgkmcnt(3)
	v_mul_f64 v[50:51], v[8:9], v[26:27]
	v_mul_f64 v[26:27], v[10:11], v[26:27]
	;; [unrolled: 3-line block ×4, first 2 shown]
	s_waitcnt vmcnt(13) lgkmcnt(0)
	v_mul_f64 v[56:57], v[20:21], v[30:31]
	s_waitcnt vmcnt(11)
	v_fma_f64 v[4:5], v[4:5], v[36:37], -v[24:25]
	v_fmac_f64_e32 v[48:49], v[6:7], v[36:37]
	s_waitcnt vmcnt(9)
	v_fma_f64 v[6:7], v[8:9], v[38:39], -v[26:27]
	v_add_f64 v[4:5], v[4:5], 0
	v_fmac_f64_e32 v[50:51], v[10:11], v[38:39]
	s_waitcnt vmcnt(7)
	v_fmac_f64_e32 v[52:53], v[14:15], v[40:41]
	v_fma_f64 v[8:9], v[12:13], v[40:41], -v[28:29]
	v_add_f64 v[14:15], v[48:49], 0
	v_add_f64 v[4:5], v[4:5], v[6:7]
	v_mul_f64 v[30:31], v[22:23], v[30:31]
	s_waitcnt vmcnt(5)
	v_fma_f64 v[10:11], v[16:17], v[42:43], -v[34:35]
	v_add_f64 v[14:15], v[14:15], v[50:51]
	v_add_f64 v[4:5], v[4:5], v[8:9]
	v_fmac_f64_e32 v[54:55], v[18:19], v[42:43]
	s_waitcnt vmcnt(4)
	v_fma_f64 v[12:13], v[20:21], v[32:33], -v[30:31]
	v_add_f64 v[6:7], v[14:15], v[52:53]
	v_add_f64 v[4:5], v[4:5], v[10:11]
	v_fmac_f64_e32 v[56:57], v[22:23], v[32:33]
	v_add_f64 v[6:7], v[6:7], v[54:55]
	v_add_f64 v[4:5], v[4:5], v[12:13]
	;; [unrolled: 1-line block ×3, first 2 shown]
	s_waitcnt vmcnt(2)
	v_add_f64 v[4:5], v[44:45], -v[4:5]
	s_waitcnt vmcnt(0)
	v_add_f64 v[6:7], v[46:47], -v[6:7]
	buffer_store_dword v5, off, s[0:3], 0 offset:452
	buffer_store_dword v4, off, s[0:3], 0 offset:448
	;; [unrolled: 1-line block ×4, first 2 shown]
	s_and_saveexec_b64 s[4:5], vcc
	s_cbranch_execz .LBB32_159
; %bb.158:
	v_accvgpr_read_b32 v3, a66
	buffer_load_dword v4, v3, s[0:3], 0 offen
	buffer_load_dword v5, v3, s[0:3], 0 offen offset:4
	buffer_load_dword v6, v3, s[0:3], 0 offen offset:8
	;; [unrolled: 1-line block ×3, first 2 shown]
	s_nop 0
	buffer_store_dword v2, off, s[0:3], 0 offset:432
	buffer_store_dword v2, off, s[0:3], 0 offset:436
	;; [unrolled: 1-line block ×4, first 2 shown]
	s_waitcnt vmcnt(4)
	ds_write_b128 v1, v[4:7]
.LBB32_159:
	s_or_b64 exec, exec, s[4:5]
	s_waitcnt lgkmcnt(0)
	; wave barrier
	s_waitcnt lgkmcnt(0)
	buffer_load_dword v28, off, s[0:3], 0 offset:456
	buffer_load_dword v29, off, s[0:3], 0 offset:460
	;; [unrolled: 1-line block ×28, first 2 shown]
	ds_read_b128 v[4:7], v2 offset:960
	ds_read_b128 v[8:11], v2 offset:976
	;; [unrolled: 1-line block ×6, first 2 shown]
	v_cmp_lt_u32_e32 vcc, 25, v0
	s_waitcnt vmcnt(26) lgkmcnt(5)
	v_mul_f64 v[2:3], v[4:5], v[28:29]
	v_mul_f64 v[28:29], v[6:7], v[28:29]
	s_waitcnt vmcnt(24) lgkmcnt(4)
	v_mul_f64 v[56:57], v[8:9], v[30:31]
	v_mul_f64 v[30:31], v[10:11], v[30:31]
	;; [unrolled: 3-line block ×4, first 2 shown]
	s_waitcnt vmcnt(17)
	v_mul_f64 v[60:61], v[16:17], v[38:39]
	v_mul_f64 v[38:39], v[18:19], v[38:39]
	s_waitcnt vmcnt(15) lgkmcnt(0)
	v_mul_f64 v[64:65], v[24:25], v[40:41]
	v_mul_f64 v[40:41], v[26:27], v[40:41]
	s_waitcnt vmcnt(14)
	v_fmac_f64_e32 v[62:63], v[22:23], v[36:37]
	s_waitcnt vmcnt(12)
	v_fma_f64 v[4:5], v[4:5], v[42:43], -v[28:29]
	v_fmac_f64_e32 v[2:3], v[6:7], v[42:43]
	s_waitcnt vmcnt(10)
	v_fma_f64 v[6:7], v[8:9], v[44:45], -v[30:31]
	v_add_f64 v[4:5], v[4:5], 0
	v_fmac_f64_e32 v[56:57], v[10:11], v[44:45]
	s_waitcnt vmcnt(8)
	v_fma_f64 v[8:9], v[12:13], v[46:47], -v[32:33]
	v_add_f64 v[2:3], v[2:3], 0
	v_add_f64 v[4:5], v[4:5], v[6:7]
	v_fmac_f64_e32 v[58:59], v[14:15], v[46:47]
	s_waitcnt vmcnt(6)
	v_fma_f64 v[10:11], v[16:17], v[48:49], -v[38:39]
	v_add_f64 v[2:3], v[2:3], v[56:57]
	v_add_f64 v[4:5], v[4:5], v[8:9]
	v_fmac_f64_e32 v[60:61], v[18:19], v[48:49]
	v_fma_f64 v[12:13], v[20:21], v[36:37], -v[34:35]
	v_add_f64 v[2:3], v[2:3], v[58:59]
	v_add_f64 v[4:5], v[4:5], v[10:11]
	s_waitcnt vmcnt(4)
	v_fma_f64 v[14:15], v[24:25], v[50:51], -v[40:41]
	v_add_f64 v[2:3], v[2:3], v[60:61]
	v_add_f64 v[4:5], v[4:5], v[12:13]
	v_fmac_f64_e32 v[64:65], v[26:27], v[50:51]
	v_add_f64 v[2:3], v[2:3], v[62:63]
	v_add_f64 v[4:5], v[4:5], v[14:15]
	;; [unrolled: 1-line block ×3, first 2 shown]
	s_waitcnt vmcnt(2)
	v_add_f64 v[4:5], v[52:53], -v[4:5]
	s_waitcnt vmcnt(0)
	v_add_f64 v[2:3], v[54:55], -v[2:3]
	buffer_store_dword v5, off, s[0:3], 0 offset:436
	buffer_store_dword v4, off, s[0:3], 0 offset:432
	;; [unrolled: 1-line block ×4, first 2 shown]
	s_and_saveexec_b64 s[4:5], vcc
	s_cbranch_execz .LBB32_161
; %bb.160:
	v_accvgpr_read_b32 v5, a67
	buffer_load_dword v2, v5, s[0:3], 0 offen
	buffer_load_dword v3, v5, s[0:3], 0 offen offset:4
	buffer_load_dword v4, v5, s[0:3], 0 offen offset:8
	s_nop 0
	buffer_load_dword v5, v5, s[0:3], 0 offen offset:12
	v_mov_b32_e32 v6, 0
	buffer_store_dword v6, off, s[0:3], 0 offset:416
	buffer_store_dword v6, off, s[0:3], 0 offset:420
	;; [unrolled: 1-line block ×4, first 2 shown]
	s_waitcnt vmcnt(4)
	ds_write_b128 v1, v[2:5]
.LBB32_161:
	s_or_b64 exec, exec, s[4:5]
	v_mov_b32_e32 v6, 0
	s_waitcnt lgkmcnt(0)
	; wave barrier
	s_waitcnt lgkmcnt(0)
	ds_read_b128 v[8:11], v6 offset:944
	ds_read_b128 v[12:15], v6 offset:960
	;; [unrolled: 1-line block ×4, first 2 shown]
	buffer_load_dword v4, off, s[0:3], 0 offset:416
	buffer_load_dword v5, off, s[0:3], 0 offset:420
	;; [unrolled: 1-line block ×20, first 2 shown]
	v_cmp_lt_u32_e32 vcc, 24, v0
	s_waitcnt vmcnt(12) lgkmcnt(3)
	v_mul_f64 v[24:25], v[8:9], v[38:39]
	v_fmac_f64_e32 v[24:25], v[10:11], v[36:37]
	v_add_f64 v[24:25], v[24:25], 0
	v_mul_f64 v[10:11], v[10:11], v[38:39]
	s_waitcnt vmcnt(8) lgkmcnt(2)
	v_mul_f64 v[26:27], v[12:13], v[42:43]
	v_fmac_f64_e32 v[26:27], v[14:15], v[40:41]
	v_add_f64 v[24:25], v[24:25], v[26:27]
	v_fma_f64 v[8:9], v[8:9], v[36:37], -v[10:11]
	s_waitcnt vmcnt(4) lgkmcnt(1)
	v_mul_f64 v[26:27], v[16:17], v[46:47]
	v_fmac_f64_e32 v[26:27], v[18:19], v[44:45]
	v_add_f64 v[24:25], v[24:25], v[26:27]
	s_waitcnt vmcnt(0) lgkmcnt(0)
	v_mul_f64 v[26:27], v[20:21], v[50:51]
	v_fmac_f64_e32 v[26:27], v[22:23], v[48:49]
	v_add_f64 v[28:29], v[24:25], v[26:27]
	ds_read_b128 v[24:27], v6 offset:1008
	buffer_load_dword v53, off, s[0:3], 0 offset:500
	buffer_load_dword v52, off, s[0:3], 0 offset:496
	;; [unrolled: 1-line block ×4, first 2 shown]
	v_mul_f64 v[10:11], v[14:15], v[42:43]
	v_add_f64 v[8:9], v[8:9], 0
	v_fma_f64 v[10:11], v[12:13], v[40:41], -v[10:11]
	v_add_f64 v[8:9], v[8:9], v[10:11]
	v_mul_f64 v[10:11], v[18:19], v[46:47]
	v_fma_f64 v[10:11], v[16:17], v[44:45], -v[10:11]
	v_add_f64 v[8:9], v[8:9], v[10:11]
	v_mul_f64 v[10:11], v[22:23], v[50:51]
	v_fma_f64 v[10:11], v[20:21], v[48:49], -v[10:11]
	v_add_f64 v[8:9], v[8:9], v[10:11]
	s_waitcnt vmcnt(0) lgkmcnt(0)
	v_mul_f64 v[30:31], v[24:25], v[54:55]
	v_fmac_f64_e32 v[30:31], v[26:27], v[52:53]
	v_add_f64 v[32:33], v[28:29], v[30:31]
	ds_read_b128 v[28:31], v6 offset:1024
	buffer_load_dword v57, off, s[0:3], 0 offset:516
	buffer_load_dword v56, off, s[0:3], 0 offset:512
	buffer_load_dword v59, off, s[0:3], 0 offset:524
	buffer_load_dword v58, off, s[0:3], 0 offset:520
	v_mul_f64 v[10:11], v[26:27], v[54:55]
	v_fma_f64 v[10:11], v[24:25], v[52:53], -v[10:11]
	v_add_f64 v[8:9], v[8:9], v[10:11]
	s_waitcnt vmcnt(0) lgkmcnt(0)
	v_mul_f64 v[34:35], v[28:29], v[58:59]
	v_fmac_f64_e32 v[34:35], v[30:31], v[56:57]
	v_add_f64 v[60:61], v[32:33], v[34:35]
	ds_read_b128 v[32:35], v6 offset:1040
	buffer_load_dword v63, off, s[0:3], 0 offset:532
	buffer_load_dword v62, off, s[0:3], 0 offset:528
	;; [unrolled: 1-line block ×4, first 2 shown]
	v_mul_f64 v[10:11], v[30:31], v[58:59]
	v_fma_f64 v[10:11], v[28:29], v[56:57], -v[10:11]
	v_add_f64 v[8:9], v[8:9], v[10:11]
	s_waitcnt vmcnt(0) lgkmcnt(0)
	v_mul_f64 v[10:11], v[34:35], v[64:65]
	v_mul_f64 v[66:67], v[32:33], v[64:65]
	v_fma_f64 v[10:11], v[32:33], v[62:63], -v[10:11]
	v_fmac_f64_e32 v[66:67], v[34:35], v[62:63]
	v_add_f64 v[8:9], v[8:9], v[10:11]
	v_add_f64 v[60:61], v[60:61], v[66:67]
	v_add_f64 v[4:5], v[4:5], -v[8:9]
	v_add_f64 v[2:3], v[2:3], -v[60:61]
	buffer_store_dword v5, off, s[0:3], 0 offset:420
	buffer_store_dword v4, off, s[0:3], 0 offset:416
	;; [unrolled: 1-line block ×4, first 2 shown]
	s_and_saveexec_b64 s[4:5], vcc
	s_cbranch_execz .LBB32_163
; %bb.162:
	v_accvgpr_read_b32 v5, a68
	buffer_load_dword v2, v5, s[0:3], 0 offen
	buffer_load_dword v3, v5, s[0:3], 0 offen offset:4
	buffer_load_dword v4, v5, s[0:3], 0 offen offset:8
	s_nop 0
	buffer_load_dword v5, v5, s[0:3], 0 offen offset:12
	s_nop 0
	buffer_store_dword v6, off, s[0:3], 0 offset:400
	buffer_store_dword v6, off, s[0:3], 0 offset:404
	;; [unrolled: 1-line block ×4, first 2 shown]
	s_waitcnt vmcnt(4)
	ds_write_b128 v1, v[2:5]
.LBB32_163:
	s_or_b64 exec, exec, s[4:5]
	s_waitcnt lgkmcnt(0)
	; wave barrier
	s_waitcnt lgkmcnt(0)
	buffer_load_dword v36, off, s[0:3], 0 offset:424
	buffer_load_dword v37, off, s[0:3], 0 offset:428
	;; [unrolled: 1-line block ×36, first 2 shown]
	ds_read_b128 v[2:5], v6 offset:928
	ds_read_b128 v[8:11], v6 offset:944
	;; [unrolled: 1-line block ×8, first 2 shown]
	v_cmp_lt_u32_e32 vcc, 23, v0
	s_waitcnt vmcnt(34) lgkmcnt(7)
	v_mul_f64 v[6:7], v[2:3], v[36:37]
	v_mul_f64 v[36:37], v[4:5], v[36:37]
	s_waitcnt vmcnt(32) lgkmcnt(6)
	v_mul_f64 v[72:73], v[8:9], v[38:39]
	v_mul_f64 v[38:39], v[10:11], v[38:39]
	;; [unrolled: 3-line block ×4, first 2 shown]
	s_waitcnt vmcnt(25)
	v_mul_f64 v[76:77], v[16:17], v[46:47]
	v_mul_f64 v[46:47], v[18:19], v[46:47]
	s_waitcnt vmcnt(23) lgkmcnt(1)
	v_mul_f64 v[82:83], v[28:29], v[48:49]
	v_mul_f64 v[48:49], v[30:31], v[48:49]
	s_waitcnt vmcnt(20)
	v_mul_f64 v[80:81], v[24:25], v[52:53]
	v_mul_f64 v[52:53], v[26:27], v[52:53]
	s_waitcnt vmcnt(18) lgkmcnt(0)
	v_mul_f64 v[84:85], v[32:33], v[54:55]
	s_waitcnt vmcnt(17)
	v_fmac_f64_e32 v[78:79], v[22:23], v[44:45]
	s_waitcnt vmcnt(16)
	v_fmac_f64_e32 v[82:83], v[30:31], v[50:51]
	s_waitcnt vmcnt(14)
	v_fma_f64 v[2:3], v[2:3], v[56:57], -v[36:37]
	v_fmac_f64_e32 v[6:7], v[4:5], v[56:57]
	s_waitcnt vmcnt(12)
	v_fma_f64 v[4:5], v[8:9], v[58:59], -v[38:39]
	v_add_f64 v[2:3], v[2:3], 0
	v_fmac_f64_e32 v[72:73], v[10:11], v[58:59]
	s_waitcnt vmcnt(10)
	v_fma_f64 v[8:9], v[12:13], v[60:61], -v[40:41]
	v_add_f64 v[6:7], v[6:7], 0
	v_add_f64 v[2:3], v[2:3], v[4:5]
	v_fmac_f64_e32 v[74:75], v[14:15], v[60:61]
	s_waitcnt vmcnt(8)
	v_fma_f64 v[10:11], v[16:17], v[62:63], -v[46:47]
	v_add_f64 v[6:7], v[6:7], v[72:73]
	v_add_f64 v[2:3], v[2:3], v[8:9]
	v_fmac_f64_e32 v[76:77], v[18:19], v[62:63]
	v_fma_f64 v[12:13], v[20:21], v[44:45], -v[42:43]
	v_add_f64 v[4:5], v[6:7], v[74:75]
	v_add_f64 v[2:3], v[2:3], v[10:11]
	s_waitcnt vmcnt(6)
	v_fma_f64 v[14:15], v[24:25], v[64:65], -v[52:53]
	v_add_f64 v[4:5], v[4:5], v[76:77]
	v_add_f64 v[2:3], v[2:3], v[12:13]
	v_fmac_f64_e32 v[80:81], v[26:27], v[64:65]
	v_fma_f64 v[16:17], v[28:29], v[50:51], -v[48:49]
	v_add_f64 v[4:5], v[4:5], v[78:79]
	v_add_f64 v[2:3], v[2:3], v[14:15]
	v_mul_f64 v[6:7], v[34:35], v[54:55]
	v_add_f64 v[4:5], v[4:5], v[80:81]
	v_add_f64 v[2:3], v[2:3], v[16:17]
	s_waitcnt vmcnt(4)
	v_fma_f64 v[6:7], v[32:33], v[66:67], -v[6:7]
	v_fmac_f64_e32 v[84:85], v[34:35], v[66:67]
	v_add_f64 v[4:5], v[4:5], v[82:83]
	v_add_f64 v[2:3], v[2:3], v[6:7]
	;; [unrolled: 1-line block ×3, first 2 shown]
	s_waitcnt vmcnt(2)
	v_add_f64 v[2:3], v[68:69], -v[2:3]
	s_waitcnt vmcnt(0)
	v_add_f64 v[4:5], v[70:71], -v[4:5]
	buffer_store_dword v3, off, s[0:3], 0 offset:404
	buffer_store_dword v2, off, s[0:3], 0 offset:400
	;; [unrolled: 1-line block ×4, first 2 shown]
	s_and_saveexec_b64 s[4:5], vcc
	s_cbranch_execz .LBB32_165
; %bb.164:
	v_accvgpr_read_b32 v5, a69
	buffer_load_dword v2, v5, s[0:3], 0 offen
	buffer_load_dword v3, v5, s[0:3], 0 offen offset:4
	buffer_load_dword v4, v5, s[0:3], 0 offen offset:8
	s_nop 0
	buffer_load_dword v5, v5, s[0:3], 0 offen offset:12
	v_mov_b32_e32 v6, 0
	buffer_store_dword v6, off, s[0:3], 0 offset:384
	buffer_store_dword v6, off, s[0:3], 0 offset:388
	;; [unrolled: 1-line block ×4, first 2 shown]
	s_waitcnt vmcnt(4)
	ds_write_b128 v1, v[2:5]
.LBB32_165:
	s_or_b64 exec, exec, s[4:5]
	s_waitcnt lgkmcnt(0)
	; wave barrier
	s_waitcnt lgkmcnt(0)
	buffer_load_dword v40, off, s[0:3], 0 offset:408
	buffer_load_dword v41, off, s[0:3], 0 offset:412
	;; [unrolled: 1-line block ×40, first 2 shown]
	v_mov_b32_e32 v6, 0
	ds_read_b128 v[2:5], v6 offset:912
	ds_read_b128 v[8:11], v6 offset:928
	;; [unrolled: 1-line block ×9, first 2 shown]
	v_cmp_lt_u32_e32 vcc, 22, v0
	s_waitcnt vmcnt(38) lgkmcnt(8)
	v_mul_f64 v[80:81], v[2:3], v[40:41]
	v_mul_f64 v[40:41], v[4:5], v[40:41]
	s_waitcnt vmcnt(36) lgkmcnt(7)
	v_mul_f64 v[82:83], v[8:9], v[42:43]
	v_mul_f64 v[42:43], v[10:11], v[42:43]
	;; [unrolled: 3-line block ×3, first 2 shown]
	s_waitcnt vmcnt(32) lgkmcnt(4)
	v_mul_f64 v[88:89], v[20:21], v[46:47]
	s_waitcnt vmcnt(30)
	v_fmac_f64_e32 v[88:89], v[22:23], v[48:49]
	s_waitcnt vmcnt(28)
	v_mul_f64 v[86:87], v[16:17], v[50:51]
	v_mul_f64 v[50:51], v[18:19], v[50:51]
	s_waitcnt vmcnt(26) lgkmcnt(2)
	v_mul_f64 v[92:93], v[28:29], v[52:53]
	s_waitcnt vmcnt(24)
	v_fmac_f64_e32 v[92:93], v[30:31], v[54:55]
	s_waitcnt vmcnt(22)
	v_mul_f64 v[90:91], v[24:25], v[56:57]
	s_waitcnt vmcnt(18) lgkmcnt(1)
	v_mul_f64 v[94:95], v[32:33], v[62:63]
	s_waitcnt vmcnt(17) lgkmcnt(0)
	v_mul_f64 v[96:97], v[36:37], v[58:59]
	s_waitcnt vmcnt(15)
	v_fma_f64 v[2:3], v[2:3], v[64:65], -v[40:41]
	v_fmac_f64_e32 v[80:81], v[4:5], v[64:65]
	s_waitcnt vmcnt(13)
	v_fma_f64 v[4:5], v[8:9], v[66:67], -v[42:43]
	v_add_f64 v[2:3], v[2:3], 0
	s_waitcnt vmcnt(11)
	v_fma_f64 v[8:9], v[12:13], v[68:69], -v[44:45]
	v_add_f64 v[2:3], v[2:3], v[4:5]
	v_fmac_f64_e32 v[82:83], v[10:11], v[66:67]
	s_waitcnt vmcnt(9)
	v_fma_f64 v[10:11], v[16:17], v[70:71], -v[50:51]
	v_add_f64 v[2:3], v[2:3], v[8:9]
	v_mul_f64 v[8:9], v[22:23], v[46:47]
	v_add_f64 v[2:3], v[2:3], v[10:11]
	v_fma_f64 v[8:9], v[20:21], v[48:49], -v[8:9]
	v_add_f64 v[2:3], v[2:3], v[8:9]
	v_mul_f64 v[8:9], v[26:27], v[56:57]
	v_add_f64 v[12:13], v[80:81], 0
	s_waitcnt vmcnt(7)
	v_fma_f64 v[8:9], v[24:25], v[72:73], -v[8:9]
	v_fmac_f64_e32 v[84:85], v[14:15], v[68:69]
	v_add_f64 v[12:13], v[12:13], v[82:83]
	v_add_f64 v[2:3], v[2:3], v[8:9]
	v_mul_f64 v[8:9], v[30:31], v[52:53]
	v_fmac_f64_e32 v[86:87], v[18:19], v[70:71]
	v_add_f64 v[4:5], v[12:13], v[84:85]
	v_fma_f64 v[8:9], v[28:29], v[54:55], -v[8:9]
	v_add_f64 v[4:5], v[4:5], v[86:87]
	v_add_f64 v[2:3], v[2:3], v[8:9]
	v_mul_f64 v[8:9], v[34:35], v[62:63]
	v_fmac_f64_e32 v[90:91], v[26:27], v[72:73]
	v_add_f64 v[4:5], v[4:5], v[88:89]
	s_waitcnt vmcnt(5)
	v_fma_f64 v[8:9], v[32:33], v[74:75], -v[8:9]
	v_add_f64 v[4:5], v[4:5], v[90:91]
	v_add_f64 v[2:3], v[2:3], v[8:9]
	v_mul_f64 v[8:9], v[38:39], v[58:59]
	v_fmac_f64_e32 v[94:95], v[34:35], v[74:75]
	v_add_f64 v[4:5], v[4:5], v[92:93]
	s_waitcnt vmcnt(4)
	v_fma_f64 v[8:9], v[36:37], v[60:61], -v[8:9]
	v_fmac_f64_e32 v[96:97], v[38:39], v[60:61]
	v_add_f64 v[4:5], v[4:5], v[94:95]
	v_add_f64 v[2:3], v[2:3], v[8:9]
	;; [unrolled: 1-line block ×3, first 2 shown]
	s_waitcnt vmcnt(2)
	v_add_f64 v[2:3], v[76:77], -v[2:3]
	s_waitcnt vmcnt(0)
	v_add_f64 v[4:5], v[78:79], -v[4:5]
	buffer_store_dword v3, off, s[0:3], 0 offset:388
	buffer_store_dword v2, off, s[0:3], 0 offset:384
	;; [unrolled: 1-line block ×4, first 2 shown]
	s_and_saveexec_b64 s[4:5], vcc
	s_cbranch_execz .LBB32_167
; %bb.166:
	v_accvgpr_read_b32 v5, a70
	buffer_load_dword v2, v5, s[0:3], 0 offen
	buffer_load_dword v3, v5, s[0:3], 0 offen offset:4
	buffer_load_dword v4, v5, s[0:3], 0 offen offset:8
	s_nop 0
	buffer_load_dword v5, v5, s[0:3], 0 offen offset:12
	s_nop 0
	buffer_store_dword v6, off, s[0:3], 0 offset:368
	buffer_store_dword v6, off, s[0:3], 0 offset:372
	buffer_store_dword v6, off, s[0:3], 0 offset:376
	buffer_store_dword v6, off, s[0:3], 0 offset:380
	s_waitcnt vmcnt(4)
	ds_write_b128 v1, v[2:5]
.LBB32_167:
	s_or_b64 exec, exec, s[4:5]
	s_waitcnt lgkmcnt(0)
	; wave barrier
	s_waitcnt lgkmcnt(0)
	buffer_load_dword v4, off, s[0:3], 0 offset:384
	buffer_load_dword v5, off, s[0:3], 0 offset:388
	;; [unrolled: 1-line block ×44, first 2 shown]
	ds_read_b128 v[8:11], v6 offset:896
	ds_read_b128 v[12:15], v6 offset:912
	ds_read_b128 v[16:19], v6 offset:928
	ds_read_b128 v[20:23], v6 offset:944
	ds_read_b128 v[24:27], v6 offset:960
	ds_read_b128 v[28:31], v6 offset:976
	ds_read_b128 v[32:35], v6 offset:992
	ds_read_b128 v[36:39], v6 offset:1008
	ds_read_b128 v[40:43], v6 offset:1024
	ds_read_b128 v[44:47], v6 offset:1040
	v_cmp_lt_u32_e32 vcc, 21, v0
	s_waitcnt vmcnt(40) lgkmcnt(9)
	v_mul_f64 v[6:7], v[8:9], v[48:49]
	v_mul_f64 v[48:49], v[10:11], v[48:49]
	s_waitcnt vmcnt(38) lgkmcnt(8)
	v_mul_f64 v[88:89], v[12:13], v[50:51]
	v_mul_f64 v[50:51], v[14:15], v[50:51]
	v_fmac_f64_e32 v[6:7], v[10:11], v[4:5]
	v_fma_f64 v[4:5], v[8:9], v[4:5], -v[48:49]
	s_waitcnt vmcnt(36) lgkmcnt(7)
	v_mul_f64 v[90:91], v[16:17], v[2:3]
	v_add_f64 v[4:5], v[4:5], 0
	v_mul_f64 v[2:3], v[18:19], v[2:3]
	v_add_f64 v[6:7], v[6:7], 0
	s_waitcnt vmcnt(30) lgkmcnt(6)
	v_mul_f64 v[92:93], v[20:21], v[56:57]
	s_waitcnt lgkmcnt(5)
	v_mul_f64 v[94:95], v[24:25], v[52:53]
	v_fmac_f64_e32 v[94:95], v[26:27], v[54:55]
	s_waitcnt vmcnt(28) lgkmcnt(3)
	v_mul_f64 v[98:99], v[32:33], v[58:59]
	s_waitcnt vmcnt(26)
	v_fmac_f64_e32 v[98:99], v[34:35], v[60:61]
	s_waitcnt vmcnt(24)
	v_mul_f64 v[96:97], v[28:29], v[62:63]
	s_waitcnt vmcnt(22) lgkmcnt(1)
	v_mul_f64 v[102:103], v[40:41], v[64:65]
	s_waitcnt vmcnt(20)
	v_fmac_f64_e32 v[102:103], v[42:43], v[66:67]
	s_waitcnt vmcnt(18)
	v_mul_f64 v[100:101], v[36:37], v[68:69]
	s_waitcnt vmcnt(16) lgkmcnt(0)
	v_mul_f64 v[104:105], v[44:45], v[70:71]
	s_waitcnt vmcnt(14)
	v_fma_f64 v[8:9], v[12:13], v[72:73], -v[50:51]
	v_add_f64 v[4:5], v[4:5], v[8:9]
	s_waitcnt vmcnt(12)
	v_fma_f64 v[2:3], v[16:17], v[74:75], -v[2:3]
	v_add_f64 v[2:3], v[4:5], v[2:3]
	v_mul_f64 v[4:5], v[22:23], v[56:57]
	s_waitcnt vmcnt(10)
	v_fma_f64 v[4:5], v[20:21], v[76:77], -v[4:5]
	v_add_f64 v[2:3], v[2:3], v[4:5]
	v_mul_f64 v[4:5], v[26:27], v[52:53]
	v_fma_f64 v[4:5], v[24:25], v[54:55], -v[4:5]
	v_add_f64 v[2:3], v[2:3], v[4:5]
	v_mul_f64 v[4:5], v[30:31], v[62:63]
	s_waitcnt vmcnt(8)
	v_fma_f64 v[4:5], v[28:29], v[78:79], -v[4:5]
	v_fmac_f64_e32 v[88:89], v[14:15], v[72:73]
	v_add_f64 v[2:3], v[2:3], v[4:5]
	v_mul_f64 v[4:5], v[34:35], v[58:59]
	v_fmac_f64_e32 v[90:91], v[18:19], v[74:75]
	v_add_f64 v[6:7], v[6:7], v[88:89]
	v_fma_f64 v[4:5], v[32:33], v[60:61], -v[4:5]
	v_fmac_f64_e32 v[92:93], v[22:23], v[76:77]
	v_add_f64 v[6:7], v[6:7], v[90:91]
	v_add_f64 v[2:3], v[2:3], v[4:5]
	v_mul_f64 v[4:5], v[38:39], v[68:69]
	v_add_f64 v[6:7], v[6:7], v[92:93]
	s_waitcnt vmcnt(6)
	v_fma_f64 v[4:5], v[36:37], v[80:81], -v[4:5]
	v_fmac_f64_e32 v[96:97], v[30:31], v[78:79]
	v_add_f64 v[6:7], v[6:7], v[94:95]
	v_add_f64 v[2:3], v[2:3], v[4:5]
	v_mul_f64 v[4:5], v[42:43], v[64:65]
	v_add_f64 v[6:7], v[6:7], v[96:97]
	v_fma_f64 v[4:5], v[40:41], v[66:67], -v[4:5]
	v_fmac_f64_e32 v[100:101], v[38:39], v[80:81]
	v_add_f64 v[6:7], v[6:7], v[98:99]
	v_add_f64 v[2:3], v[2:3], v[4:5]
	v_mul_f64 v[4:5], v[46:47], v[70:71]
	v_add_f64 v[6:7], v[6:7], v[100:101]
	s_waitcnt vmcnt(4)
	v_fma_f64 v[4:5], v[44:45], v[82:83], -v[4:5]
	v_fmac_f64_e32 v[104:105], v[46:47], v[82:83]
	v_add_f64 v[6:7], v[6:7], v[102:103]
	v_add_f64 v[2:3], v[2:3], v[4:5]
	;; [unrolled: 1-line block ×3, first 2 shown]
	s_waitcnt vmcnt(2)
	v_add_f64 v[2:3], v[84:85], -v[2:3]
	s_waitcnt vmcnt(0)
	v_add_f64 v[4:5], v[86:87], -v[6:7]
	buffer_store_dword v3, off, s[0:3], 0 offset:372
	buffer_store_dword v2, off, s[0:3], 0 offset:368
	;; [unrolled: 1-line block ×4, first 2 shown]
	s_and_saveexec_b64 s[4:5], vcc
	s_cbranch_execz .LBB32_169
; %bb.168:
	v_accvgpr_read_b32 v5, a71
	buffer_load_dword v2, v5, s[0:3], 0 offen
	buffer_load_dword v3, v5, s[0:3], 0 offen offset:4
	buffer_load_dword v4, v5, s[0:3], 0 offen offset:8
	s_nop 0
	buffer_load_dword v5, v5, s[0:3], 0 offen offset:12
	v_mov_b32_e32 v6, 0
	buffer_store_dword v6, off, s[0:3], 0 offset:352
	buffer_store_dword v6, off, s[0:3], 0 offset:356
	;; [unrolled: 1-line block ×4, first 2 shown]
	s_waitcnt vmcnt(4)
	ds_write_b128 v1, v[2:5]
.LBB32_169:
	s_or_b64 exec, exec, s[4:5]
	s_waitcnt lgkmcnt(0)
	; wave barrier
	s_waitcnt lgkmcnt(0)
	buffer_load_dword v2, off, s[0:3], 0 offset:368
	buffer_load_dword v3, off, s[0:3], 0 offset:372
	;; [unrolled: 1-line block ×48, first 2 shown]
	v_mov_b32_e32 v12, 0
	ds_read_b128 v[14:17], v12 offset:880
	ds_read_b128 v[18:21], v12 offset:896
	;; [unrolled: 1-line block ×11, first 2 shown]
	v_cmp_lt_u32_e32 vcc, 20, v0
	s_waitcnt vmcnt(44) lgkmcnt(10)
	v_mul_f64 v[96:97], v[14:15], v[6:7]
	v_mul_f64 v[6:7], v[16:17], v[6:7]
	v_fmac_f64_e32 v[96:97], v[16:17], v[2:3]
	v_fma_f64 v[2:3], v[14:15], v[2:3], -v[6:7]
	s_waitcnt vmcnt(40) lgkmcnt(9)
	v_mul_f64 v[98:99], v[18:19], v[8:9]
	v_mul_f64 v[6:7], v[20:21], v[8:9]
	v_fmac_f64_e32 v[98:99], v[20:21], v[4:5]
	v_add_f64 v[2:3], v[2:3], 0
	v_fma_f64 v[4:5], v[18:19], v[4:5], -v[6:7]
	v_add_f64 v[2:3], v[2:3], v[4:5]
	s_waitcnt vmcnt(38) lgkmcnt(8)
	v_mul_f64 v[4:5], v[24:25], v[10:11]
	v_mul_f64 v[100:101], v[22:23], v[10:11]
	v_add_f64 v[96:97], v[96:97], 0
	s_waitcnt vmcnt(32) lgkmcnt(7)
	v_mul_f64 v[102:103], v[26:27], v[62:63]
	v_add_f64 v[96:97], v[96:97], v[98:99]
	s_waitcnt lgkmcnt(6)
	v_mul_f64 v[104:105], v[30:31], v[58:59]
	v_fmac_f64_e32 v[104:105], v[32:33], v[60:61]
	s_waitcnt vmcnt(30) lgkmcnt(4)
	v_mul_f64 v[108:109], v[38:39], v[64:65]
	s_waitcnt vmcnt(26)
	v_mul_f64 v[106:107], v[34:35], v[68:69]
	v_fmac_f64_e32 v[108:109], v[40:41], v[66:67]
	s_waitcnt vmcnt(24) lgkmcnt(2)
	v_mul_f64 v[112:113], v[46:47], v[70:71]
	s_waitcnt vmcnt(22)
	v_fmac_f64_e32 v[112:113], v[48:49], v[72:73]
	s_waitcnt vmcnt(20)
	v_mul_f64 v[110:111], v[42:43], v[74:75]
	s_waitcnt vmcnt(16) lgkmcnt(1)
	v_mul_f64 v[114:115], v[50:51], v[80:81]
	s_waitcnt vmcnt(14)
	v_fma_f64 v[4:5], v[22:23], v[82:83], -v[4:5]
	v_add_f64 v[2:3], v[2:3], v[4:5]
	v_mul_f64 v[4:5], v[28:29], v[62:63]
	s_waitcnt vmcnt(12)
	v_fma_f64 v[4:5], v[26:27], v[84:85], -v[4:5]
	v_add_f64 v[2:3], v[2:3], v[4:5]
	v_mul_f64 v[4:5], v[32:33], v[58:59]
	v_fma_f64 v[4:5], v[30:31], v[60:61], -v[4:5]
	v_add_f64 v[2:3], v[2:3], v[4:5]
	v_mul_f64 v[4:5], v[36:37], v[68:69]
	s_waitcnt vmcnt(10)
	v_fma_f64 v[4:5], v[34:35], v[86:87], -v[4:5]
	v_add_f64 v[2:3], v[2:3], v[4:5]
	v_mul_f64 v[4:5], v[40:41], v[64:65]
	v_fma_f64 v[4:5], v[38:39], v[66:67], -v[4:5]
	v_fmac_f64_e32 v[100:101], v[24:25], v[82:83]
	v_add_f64 v[2:3], v[2:3], v[4:5]
	v_mul_f64 v[4:5], v[44:45], v[74:75]
	v_fmac_f64_e32 v[102:103], v[28:29], v[84:85]
	v_add_f64 v[96:97], v[96:97], v[100:101]
	s_waitcnt vmcnt(8)
	v_fma_f64 v[4:5], v[42:43], v[88:89], -v[4:5]
	v_add_f64 v[96:97], v[96:97], v[102:103]
	v_add_f64 v[2:3], v[2:3], v[4:5]
	v_mul_f64 v[4:5], v[48:49], v[70:71]
	v_fmac_f64_e32 v[106:107], v[36:37], v[86:87]
	v_add_f64 v[96:97], v[96:97], v[104:105]
	v_fma_f64 v[4:5], v[46:47], v[72:73], -v[4:5]
	v_add_f64 v[96:97], v[96:97], v[106:107]
	v_add_f64 v[2:3], v[2:3], v[4:5]
	v_mul_f64 v[4:5], v[52:53], v[80:81]
	v_fmac_f64_e32 v[110:111], v[44:45], v[88:89]
	v_add_f64 v[96:97], v[96:97], v[108:109]
	s_waitcnt vmcnt(6)
	v_fma_f64 v[4:5], v[50:51], v[90:91], -v[4:5]
	v_add_f64 v[96:97], v[96:97], v[110:111]
	v_add_f64 v[2:3], v[2:3], v[4:5]
	s_waitcnt vmcnt(5) lgkmcnt(0)
	v_mul_f64 v[4:5], v[56:57], v[76:77]
	v_fmac_f64_e32 v[114:115], v[52:53], v[90:91]
	v_add_f64 v[96:97], v[96:97], v[112:113]
	v_mul_f64 v[98:99], v[54:55], v[76:77]
	s_waitcnt vmcnt(4)
	v_fma_f64 v[4:5], v[54:55], v[78:79], -v[4:5]
	v_add_f64 v[96:97], v[96:97], v[114:115]
	v_fmac_f64_e32 v[98:99], v[56:57], v[78:79]
	v_add_f64 v[2:3], v[2:3], v[4:5]
	v_add_f64 v[96:97], v[96:97], v[98:99]
	s_waitcnt vmcnt(2)
	v_add_f64 v[2:3], v[92:93], -v[2:3]
	s_waitcnt vmcnt(0)
	v_add_f64 v[4:5], v[94:95], -v[96:97]
	buffer_store_dword v3, off, s[0:3], 0 offset:356
	buffer_store_dword v2, off, s[0:3], 0 offset:352
	;; [unrolled: 1-line block ×4, first 2 shown]
	s_and_saveexec_b64 s[4:5], vcc
	s_cbranch_execz .LBB32_171
; %bb.170:
	v_accvgpr_read_b32 v5, a72
	buffer_load_dword v2, v5, s[0:3], 0 offen
	buffer_load_dword v3, v5, s[0:3], 0 offen offset:4
	buffer_load_dword v4, v5, s[0:3], 0 offen offset:8
	s_nop 0
	buffer_load_dword v5, v5, s[0:3], 0 offen offset:12
	s_nop 0
	buffer_store_dword v12, off, s[0:3], 0 offset:336
	buffer_store_dword v12, off, s[0:3], 0 offset:340
	;; [unrolled: 1-line block ×4, first 2 shown]
	s_waitcnt vmcnt(4)
	ds_write_b128 v1, v[2:5]
.LBB32_171:
	s_or_b64 exec, exec, s[4:5]
	s_waitcnt lgkmcnt(0)
	; wave barrier
	s_waitcnt lgkmcnt(0)
	buffer_load_dword v2, off, s[0:3], 0 offset:352
	buffer_load_dword v3, off, s[0:3], 0 offset:356
	;; [unrolled: 1-line block ×52, first 2 shown]
	ds_read_b128 v[14:17], v12 offset:864
	ds_read_b128 v[18:21], v12 offset:880
	;; [unrolled: 1-line block ×10, first 2 shown]
	v_cmp_lt_u32_e32 vcc, 19, v0
	s_waitcnt vmcnt(48) lgkmcnt(9)
	v_mul_f64 v[54:55], v[14:15], v[6:7]
	v_mul_f64 v[6:7], v[16:17], v[6:7]
	v_fmac_f64_e32 v[54:55], v[16:17], v[2:3]
	v_fma_f64 v[2:3], v[14:15], v[2:3], -v[6:7]
	s_waitcnt vmcnt(44) lgkmcnt(8)
	v_mul_f64 v[56:57], v[18:19], v[8:9]
	v_mul_f64 v[6:7], v[20:21], v[8:9]
	v_fmac_f64_e32 v[56:57], v[20:21], v[4:5]
	v_add_f64 v[2:3], v[2:3], 0
	v_fma_f64 v[4:5], v[18:19], v[4:5], -v[6:7]
	v_add_f64 v[2:3], v[2:3], v[4:5]
	s_waitcnt vmcnt(42) lgkmcnt(7)
	v_mul_f64 v[4:5], v[24:25], v[10:11]
	v_mul_f64 v[58:59], v[22:23], v[10:11]
	v_add_f64 v[54:55], v[54:55], 0
	s_waitcnt vmcnt(36) lgkmcnt(6)
	v_mul_f64 v[60:61], v[26:27], v[66:67]
	v_add_f64 v[54:55], v[54:55], v[56:57]
	s_waitcnt lgkmcnt(5)
	v_mul_f64 v[104:105], v[30:31], v[62:63]
	v_fmac_f64_e32 v[104:105], v[32:33], v[64:65]
	s_waitcnt vmcnt(34) lgkmcnt(3)
	v_mul_f64 v[108:109], v[38:39], v[68:69]
	s_waitcnt vmcnt(30)
	v_mul_f64 v[106:107], v[34:35], v[72:73]
	v_fmac_f64_e32 v[108:109], v[40:41], v[70:71]
	s_waitcnt vmcnt(26) lgkmcnt(2)
	v_mul_f64 v[110:111], v[42:43], v[78:79]
	s_waitcnt vmcnt(25) lgkmcnt(1)
	v_mul_f64 v[112:113], v[46:47], v[74:75]
	s_waitcnt vmcnt(23)
	v_fma_f64 v[4:5], v[22:23], v[80:81], -v[4:5]
	v_add_f64 v[2:3], v[2:3], v[4:5]
	v_mul_f64 v[4:5], v[28:29], v[66:67]
	s_waitcnt vmcnt(21)
	v_fma_f64 v[4:5], v[26:27], v[82:83], -v[4:5]
	v_fmac_f64_e32 v[58:59], v[24:25], v[80:81]
	v_add_f64 v[2:3], v[2:3], v[4:5]
	v_mul_f64 v[4:5], v[32:33], v[62:63]
	v_fmac_f64_e32 v[60:61], v[28:29], v[82:83]
	v_add_f64 v[54:55], v[54:55], v[58:59]
	v_fma_f64 v[4:5], v[30:31], v[64:65], -v[4:5]
	v_add_f64 v[54:55], v[54:55], v[60:61]
	v_add_f64 v[2:3], v[2:3], v[4:5]
	v_mul_f64 v[4:5], v[36:37], v[72:73]
	s_waitcnt vmcnt(19)
	v_fmac_f64_e32 v[106:107], v[36:37], v[84:85]
	v_add_f64 v[54:55], v[54:55], v[104:105]
	v_fma_f64 v[4:5], v[34:35], v[84:85], -v[4:5]
	v_add_f64 v[54:55], v[54:55], v[106:107]
	v_add_f64 v[2:3], v[2:3], v[4:5]
	v_mul_f64 v[4:5], v[40:41], v[68:69]
	s_waitcnt vmcnt(17)
	v_fmac_f64_e32 v[110:111], v[44:45], v[86:87]
	v_add_f64 v[54:55], v[54:55], v[108:109]
	v_fma_f64 v[4:5], v[38:39], v[70:71], -v[4:5]
	s_waitcnt vmcnt(16)
	v_fmac_f64_e32 v[112:113], v[48:49], v[76:77]
	v_add_f64 v[54:55], v[54:55], v[110:111]
	v_add_f64 v[2:3], v[2:3], v[4:5]
	v_mul_f64 v[4:5], v[44:45], v[78:79]
	v_add_f64 v[104:105], v[54:55], v[112:113]
	ds_read_b128 v[54:57], v12 offset:1024
	ds_read_b128 v[58:61], v12 offset:1040
	v_fma_f64 v[4:5], v[42:43], v[86:87], -v[4:5]
	v_add_f64 v[2:3], v[2:3], v[4:5]
	v_mul_f64 v[4:5], v[48:49], v[74:75]
	v_fma_f64 v[4:5], v[46:47], v[76:77], -v[4:5]
	v_add_f64 v[2:3], v[2:3], v[4:5]
	s_waitcnt vmcnt(12) lgkmcnt(2)
	v_mul_f64 v[4:5], v[52:53], v[92:93]
	v_mul_f64 v[106:107], v[50:51], v[92:93]
	s_waitcnt vmcnt(10)
	v_fma_f64 v[4:5], v[50:51], v[94:95], -v[4:5]
	v_fmac_f64_e32 v[106:107], v[52:53], v[94:95]
	v_add_f64 v[2:3], v[2:3], v[4:5]
	s_waitcnt vmcnt(8) lgkmcnt(1)
	v_mul_f64 v[4:5], v[56:57], v[88:89]
	v_add_f64 v[12:13], v[104:105], v[106:107]
	v_mul_f64 v[104:105], v[54:55], v[88:89]
	v_fma_f64 v[4:5], v[54:55], v[90:91], -v[4:5]
	v_fmac_f64_e32 v[104:105], v[56:57], v[90:91]
	v_add_f64 v[2:3], v[2:3], v[4:5]
	s_waitcnt vmcnt(6) lgkmcnt(0)
	v_mul_f64 v[4:5], v[60:61], v[96:97]
	v_add_f64 v[12:13], v[12:13], v[104:105]
	v_mul_f64 v[104:105], v[58:59], v[96:97]
	s_waitcnt vmcnt(4)
	v_fma_f64 v[4:5], v[58:59], v[98:99], -v[4:5]
	v_fmac_f64_e32 v[104:105], v[60:61], v[98:99]
	v_add_f64 v[2:3], v[2:3], v[4:5]
	v_add_f64 v[12:13], v[12:13], v[104:105]
	s_waitcnt vmcnt(2)
	v_add_f64 v[2:3], v[100:101], -v[2:3]
	s_waitcnt vmcnt(0)
	v_add_f64 v[4:5], v[102:103], -v[12:13]
	buffer_store_dword v3, off, s[0:3], 0 offset:340
	buffer_store_dword v2, off, s[0:3], 0 offset:336
	;; [unrolled: 1-line block ×4, first 2 shown]
	s_and_saveexec_b64 s[4:5], vcc
	s_cbranch_execz .LBB32_173
; %bb.172:
	v_accvgpr_read_b32 v5, a73
	buffer_load_dword v2, v5, s[0:3], 0 offen
	buffer_load_dword v3, v5, s[0:3], 0 offen offset:4
	buffer_load_dword v4, v5, s[0:3], 0 offen offset:8
	s_nop 0
	buffer_load_dword v5, v5, s[0:3], 0 offen offset:12
	v_mov_b32_e32 v6, 0
	buffer_store_dword v6, off, s[0:3], 0 offset:320
	buffer_store_dword v6, off, s[0:3], 0 offset:324
	;; [unrolled: 1-line block ×4, first 2 shown]
	s_waitcnt vmcnt(4)
	ds_write_b128 v1, v[2:5]
.LBB32_173:
	s_or_b64 exec, exec, s[4:5]
	s_waitcnt lgkmcnt(0)
	; wave barrier
	s_waitcnt lgkmcnt(0)
	buffer_load_dword v2, off, s[0:3], 0 offset:336
	buffer_load_dword v3, off, s[0:3], 0 offset:340
	;; [unrolled: 1-line block ×56, first 2 shown]
	v_mov_b32_e32 v24, 0
	ds_read_b128 v[18:21], v24 offset:848
	ds_read_b128 v[26:29], v24 offset:864
	;; [unrolled: 1-line block ×9, first 2 shown]
	v_cmp_lt_u32_e32 vcc, 18, v0
	s_waitcnt vmcnt(52) lgkmcnt(8)
	v_mul_f64 v[54:55], v[18:19], v[6:7]
	v_fmac_f64_e32 v[54:55], v[20:21], v[2:3]
	v_mul_f64 v[6:7], v[20:21], v[6:7]
	v_add_f64 v[54:55], v[54:55], 0
	s_waitcnt vmcnt(48) lgkmcnt(7)
	v_mul_f64 v[56:57], v[26:27], v[8:9]
	v_fmac_f64_e32 v[56:57], v[28:29], v[4:5]
	s_waitcnt vmcnt(46) lgkmcnt(6)
	v_mul_f64 v[58:59], v[30:31], v[10:11]
	v_fma_f64 v[2:3], v[18:19], v[2:3], -v[6:7]
	v_mul_f64 v[6:7], v[28:29], v[8:9]
	v_add_f64 v[54:55], v[54:55], v[56:57]
	v_add_f64 v[2:3], v[2:3], 0
	v_fma_f64 v[4:5], v[26:27], v[4:5], -v[6:7]
	s_waitcnt vmcnt(40) lgkmcnt(5)
	v_mul_f64 v[60:61], v[34:35], v[16:17]
	s_waitcnt lgkmcnt(4)
	v_mul_f64 v[62:63], v[38:39], v[12:13]
	v_add_f64 v[2:3], v[2:3], v[4:5]
	v_mul_f64 v[4:5], v[32:33], v[10:11]
	s_waitcnt vmcnt(36) lgkmcnt(3)
	v_mul_f64 v[64:65], v[42:43], v[76:77]
	v_fmac_f64_e32 v[62:63], v[40:41], v[14:15]
	s_waitcnt vmcnt(35) lgkmcnt(2)
	v_mul_f64 v[66:67], v[46:47], v[22:23]
	s_waitcnt vmcnt(33)
	v_fmac_f64_e32 v[58:59], v[32:33], v[78:79]
	v_add_f64 v[54:55], v[54:55], v[58:59]
	s_waitcnt vmcnt(31)
	v_fmac_f64_e32 v[60:61], v[36:37], v[80:81]
	v_add_f64 v[54:55], v[54:55], v[60:61]
	v_fma_f64 v[4:5], v[30:31], v[78:79], -v[4:5]
	s_waitcnt vmcnt(29)
	v_fmac_f64_e32 v[64:65], v[44:45], v[82:83]
	v_add_f64 v[54:55], v[54:55], v[62:63]
	v_add_f64 v[2:3], v[2:3], v[4:5]
	v_mul_f64 v[4:5], v[36:37], v[16:17]
	s_waitcnt vmcnt(28)
	v_fmac_f64_e32 v[66:67], v[48:49], v[74:75]
	v_add_f64 v[54:55], v[54:55], v[64:65]
	v_fma_f64 v[4:5], v[34:35], v[80:81], -v[4:5]
	v_add_f64 v[58:59], v[54:55], v[66:67]
	ds_read_b128 v[54:57], v24 offset:976
	s_waitcnt vmcnt(24) lgkmcnt(2)
	v_mul_f64 v[60:61], v[50:51], v[88:89]
	v_add_f64 v[2:3], v[2:3], v[4:5]
	v_mul_f64 v[4:5], v[40:41], v[12:13]
	s_waitcnt vmcnt(22)
	v_fmac_f64_e32 v[60:61], v[52:53], v[90:91]
	v_fma_f64 v[4:5], v[38:39], v[14:15], -v[4:5]
	v_add_f64 v[62:63], v[58:59], v[60:61]
	ds_read_b128 v[58:61], v24 offset:992
	v_add_f64 v[2:3], v[2:3], v[4:5]
	v_mul_f64 v[4:5], v[44:45], v[76:77]
	v_fma_f64 v[4:5], v[42:43], v[82:83], -v[4:5]
	v_add_f64 v[2:3], v[2:3], v[4:5]
	v_mul_f64 v[4:5], v[48:49], v[22:23]
	s_waitcnt vmcnt(20) lgkmcnt(1)
	v_mul_f64 v[64:65], v[54:55], v[84:85]
	v_fma_f64 v[4:5], v[46:47], v[74:75], -v[4:5]
	v_fmac_f64_e32 v[64:65], v[56:57], v[86:87]
	v_add_f64 v[2:3], v[2:3], v[4:5]
	v_mul_f64 v[4:5], v[52:53], v[88:89]
	v_add_f64 v[66:67], v[62:63], v[64:65]
	ds_read_b128 v[62:65], v24 offset:1008
	s_waitcnt vmcnt(16) lgkmcnt(1)
	v_mul_f64 v[68:69], v[58:59], v[96:97]
	v_fma_f64 v[4:5], v[50:51], v[90:91], -v[4:5]
	s_waitcnt vmcnt(14)
	v_fmac_f64_e32 v[68:69], v[60:61], v[98:99]
	v_add_f64 v[2:3], v[2:3], v[4:5]
	v_mul_f64 v[4:5], v[56:57], v[84:85]
	v_add_f64 v[112:113], v[66:67], v[68:69]
	ds_read_b128 v[66:69], v24 offset:1024
	v_fma_f64 v[4:5], v[54:55], v[86:87], -v[4:5]
	v_add_f64 v[2:3], v[2:3], v[4:5]
	v_mul_f64 v[4:5], v[60:61], v[96:97]
	v_fma_f64 v[4:5], v[58:59], v[98:99], -v[4:5]
	v_add_f64 v[2:3], v[2:3], v[4:5]
	s_waitcnt vmcnt(12) lgkmcnt(1)
	v_mul_f64 v[4:5], v[64:65], v[92:93]
	v_mul_f64 v[114:115], v[62:63], v[92:93]
	v_fma_f64 v[4:5], v[62:63], v[94:95], -v[4:5]
	v_fmac_f64_e32 v[114:115], v[64:65], v[94:95]
	v_add_f64 v[2:3], v[2:3], v[4:5]
	s_waitcnt vmcnt(8) lgkmcnt(0)
	v_mul_f64 v[4:5], v[68:69], v[104:105]
	v_add_f64 v[112:113], v[112:113], v[114:115]
	v_mul_f64 v[114:115], v[66:67], v[104:105]
	s_waitcnt vmcnt(6)
	v_fma_f64 v[4:5], v[66:67], v[106:107], -v[4:5]
	v_fmac_f64_e32 v[114:115], v[68:69], v[106:107]
	v_add_f64 v[2:3], v[2:3], v[4:5]
	s_waitcnt vmcnt(5)
	v_mul_f64 v[4:5], v[72:73], v[100:101]
	v_add_f64 v[112:113], v[112:113], v[114:115]
	v_mul_f64 v[114:115], v[70:71], v[100:101]
	s_waitcnt vmcnt(4)
	v_fma_f64 v[4:5], v[70:71], v[102:103], -v[4:5]
	v_fmac_f64_e32 v[114:115], v[72:73], v[102:103]
	v_add_f64 v[2:3], v[2:3], v[4:5]
	v_add_f64 v[112:113], v[112:113], v[114:115]
	s_waitcnt vmcnt(2)
	v_add_f64 v[2:3], v[108:109], -v[2:3]
	s_waitcnt vmcnt(0)
	v_add_f64 v[4:5], v[110:111], -v[112:113]
	buffer_store_dword v3, off, s[0:3], 0 offset:324
	buffer_store_dword v2, off, s[0:3], 0 offset:320
	;; [unrolled: 1-line block ×4, first 2 shown]
	s_and_saveexec_b64 s[4:5], vcc
	s_cbranch_execz .LBB32_175
; %bb.174:
	v_accvgpr_read_b32 v5, a74
	buffer_load_dword v2, v5, s[0:3], 0 offen
	buffer_load_dword v3, v5, s[0:3], 0 offen offset:4
	buffer_load_dword v4, v5, s[0:3], 0 offen offset:8
	s_nop 0
	buffer_load_dword v5, v5, s[0:3], 0 offen offset:12
	s_nop 0
	buffer_store_dword v24, off, s[0:3], 0 offset:304
	buffer_store_dword v24, off, s[0:3], 0 offset:308
	;; [unrolled: 1-line block ×4, first 2 shown]
	s_waitcnt vmcnt(4)
	ds_write_b128 v1, v[2:5]
.LBB32_175:
	s_or_b64 exec, exec, s[4:5]
	s_waitcnt lgkmcnt(0)
	; wave barrier
	s_waitcnt lgkmcnt(0)
	buffer_load_dword v2, off, s[0:3], 0 offset:320
	buffer_load_dword v3, off, s[0:3], 0 offset:324
	;; [unrolled: 1-line block ×60, first 2 shown]
	ds_read_b128 v[26:29], v24 offset:832
	ds_read_b128 v[30:33], v24 offset:848
	;; [unrolled: 1-line block ×8, first 2 shown]
	v_cmp_lt_u32_e32 vcc, 17, v0
	ds_read_b128 v[78:81], v24 offset:1040
	s_waitcnt vmcnt(56) lgkmcnt(8)
	v_mul_f64 v[58:59], v[26:27], v[6:7]
	v_fmac_f64_e32 v[58:59], v[28:29], v[2:3]
	v_add_f64 v[58:59], v[58:59], 0
	v_mul_f64 v[6:7], v[28:29], v[6:7]
	s_waitcnt vmcnt(52) lgkmcnt(7)
	v_mul_f64 v[60:61], v[30:31], v[8:9]
	v_fmac_f64_e32 v[60:61], v[32:33], v[4:5]
	s_waitcnt vmcnt(50) lgkmcnt(6)
	v_mul_f64 v[62:63], v[34:35], v[10:11]
	v_add_f64 v[58:59], v[58:59], v[60:61]
	s_waitcnt vmcnt(48) lgkmcnt(4)
	v_mul_f64 v[66:67], v[42:43], v[12:13]
	v_fma_f64 v[2:3], v[26:27], v[2:3], -v[6:7]
	s_waitcnt vmcnt(46)
	v_fmac_f64_e32 v[66:67], v[44:45], v[14:15]
	v_mul_f64 v[6:7], v[32:33], v[8:9]
	s_waitcnt vmcnt(44)
	v_mul_f64 v[64:65], v[38:39], v[16:17]
	v_add_f64 v[2:3], v[2:3], 0
	v_fma_f64 v[4:5], v[30:31], v[4:5], -v[6:7]
	v_add_f64 v[2:3], v[2:3], v[4:5]
	s_waitcnt vmcnt(40) lgkmcnt(3)
	v_mul_f64 v[68:69], v[46:47], v[22:23]
	v_mul_f64 v[4:5], v[36:37], v[10:11]
	s_waitcnt vmcnt(38)
	v_fmac_f64_e32 v[62:63], v[36:37], v[82:83]
	v_add_f64 v[58:59], v[58:59], v[62:63]
	s_waitcnt vmcnt(36)
	v_fmac_f64_e32 v[64:65], v[40:41], v[84:85]
	v_add_f64 v[58:59], v[58:59], v[64:65]
	;; [unrolled: 3-line block ×3, first 2 shown]
	s_waitcnt vmcnt(32) lgkmcnt(2)
	v_mul_f64 v[60:61], v[50:51], v[18:19]
	v_add_f64 v[58:59], v[58:59], v[68:69]
	v_fmac_f64_e32 v[60:61], v[52:53], v[20:21]
	v_add_f64 v[62:63], v[58:59], v[60:61]
	ds_read_b128 v[58:61], v24 offset:960
	v_fma_f64 v[4:5], v[34:35], v[82:83], -v[4:5]
	v_add_f64 v[2:3], v[2:3], v[4:5]
	v_mul_f64 v[4:5], v[40:41], v[16:17]
	v_fma_f64 v[4:5], v[38:39], v[84:85], -v[4:5]
	s_waitcnt vmcnt(28) lgkmcnt(2)
	v_mul_f64 v[64:65], v[54:55], v[92:93]
	v_add_f64 v[2:3], v[2:3], v[4:5]
	v_mul_f64 v[4:5], v[44:45], v[12:13]
	s_waitcnt vmcnt(26)
	v_fmac_f64_e32 v[64:65], v[56:57], v[94:95]
	v_fma_f64 v[4:5], v[42:43], v[14:15], -v[4:5]
	v_add_f64 v[66:67], v[62:63], v[64:65]
	ds_read_b128 v[62:65], v24 offset:976
	s_waitcnt vmcnt(24) lgkmcnt(1)
	v_mul_f64 v[68:69], v[58:59], v[88:89]
	v_add_f64 v[2:3], v[2:3], v[4:5]
	v_mul_f64 v[4:5], v[48:49], v[22:23]
	v_fmac_f64_e32 v[68:69], v[60:61], v[90:91]
	v_fma_f64 v[4:5], v[46:47], v[86:87], -v[4:5]
	v_add_f64 v[70:71], v[66:67], v[68:69]
	ds_read_b128 v[66:69], v24 offset:992
	v_add_f64 v[2:3], v[2:3], v[4:5]
	v_mul_f64 v[4:5], v[52:53], v[18:19]
	v_fma_f64 v[4:5], v[50:51], v[20:21], -v[4:5]
	v_add_f64 v[2:3], v[2:3], v[4:5]
	v_mul_f64 v[4:5], v[56:57], v[92:93]
	s_waitcnt vmcnt(20) lgkmcnt(1)
	v_mul_f64 v[72:73], v[62:63], v[100:101]
	v_fma_f64 v[4:5], v[54:55], v[94:95], -v[4:5]
	s_waitcnt vmcnt(18)
	v_fmac_f64_e32 v[72:73], v[64:65], v[102:103]
	v_add_f64 v[2:3], v[2:3], v[4:5]
	v_mul_f64 v[4:5], v[60:61], v[88:89]
	v_add_f64 v[74:75], v[70:71], v[72:73]
	ds_read_b128 v[70:73], v24 offset:1008
	s_waitcnt vmcnt(16) lgkmcnt(1)
	v_mul_f64 v[76:77], v[66:67], v[96:97]
	v_fma_f64 v[4:5], v[58:59], v[90:91], -v[4:5]
	v_fmac_f64_e32 v[76:77], v[68:69], v[98:99]
	v_add_f64 v[2:3], v[2:3], v[4:5]
	v_mul_f64 v[4:5], v[64:65], v[100:101]
	v_add_f64 v[122:123], v[74:75], v[76:77]
	ds_read_b128 v[74:77], v24 offset:1024
	v_fma_f64 v[4:5], v[62:63], v[102:103], -v[4:5]
	v_add_f64 v[2:3], v[2:3], v[4:5]
	v_mul_f64 v[4:5], v[68:69], v[96:97]
	v_fma_f64 v[4:5], v[66:67], v[98:99], -v[4:5]
	v_add_f64 v[2:3], v[2:3], v[4:5]
	s_waitcnt vmcnt(12) lgkmcnt(1)
	v_mul_f64 v[4:5], v[72:73], v[108:109]
	v_mul_f64 v[124:125], v[70:71], v[108:109]
	s_waitcnt vmcnt(10)
	v_fma_f64 v[4:5], v[70:71], v[110:111], -v[4:5]
	v_fmac_f64_e32 v[124:125], v[72:73], v[110:111]
	v_add_f64 v[2:3], v[2:3], v[4:5]
	s_waitcnt vmcnt(8) lgkmcnt(0)
	v_mul_f64 v[4:5], v[76:77], v[104:105]
	v_add_f64 v[24:25], v[122:123], v[124:125]
	v_mul_f64 v[122:123], v[74:75], v[104:105]
	v_fma_f64 v[4:5], v[74:75], v[106:107], -v[4:5]
	v_fmac_f64_e32 v[122:123], v[76:77], v[106:107]
	v_add_f64 v[2:3], v[2:3], v[4:5]
	s_waitcnt vmcnt(6)
	v_mul_f64 v[4:5], v[80:81], v[112:113]
	v_add_f64 v[24:25], v[24:25], v[122:123]
	v_mul_f64 v[122:123], v[78:79], v[112:113]
	s_waitcnt vmcnt(4)
	v_fma_f64 v[4:5], v[78:79], v[114:115], -v[4:5]
	v_fmac_f64_e32 v[122:123], v[80:81], v[114:115]
	v_add_f64 v[2:3], v[2:3], v[4:5]
	v_add_f64 v[24:25], v[24:25], v[122:123]
	s_waitcnt vmcnt(2)
	v_add_f64 v[2:3], v[116:117], -v[2:3]
	s_waitcnt vmcnt(0)
	v_add_f64 v[4:5], v[120:121], -v[24:25]
	buffer_store_dword v3, off, s[0:3], 0 offset:308
	buffer_store_dword v2, off, s[0:3], 0 offset:304
	buffer_store_dword v5, off, s[0:3], 0 offset:316
	buffer_store_dword v4, off, s[0:3], 0 offset:312
	s_and_saveexec_b64 s[4:5], vcc
	s_cbranch_execz .LBB32_177
; %bb.176:
	v_accvgpr_read_b32 v5, a75
	buffer_load_dword v2, v5, s[0:3], 0 offen
	buffer_load_dword v3, v5, s[0:3], 0 offen offset:4
	buffer_load_dword v4, v5, s[0:3], 0 offen offset:8
	s_nop 0
	buffer_load_dword v5, v5, s[0:3], 0 offen offset:12
	v_mov_b32_e32 v6, 0
	buffer_store_dword v6, off, s[0:3], 0 offset:288
	buffer_store_dword v6, off, s[0:3], 0 offset:292
	;; [unrolled: 1-line block ×4, first 2 shown]
	s_waitcnt vmcnt(4)
	ds_write_b128 v1, v[2:5]
.LBB32_177:
	s_or_b64 exec, exec, s[4:5]
	s_waitcnt lgkmcnt(0)
	; wave barrier
	s_waitcnt lgkmcnt(0)
	buffer_load_dword v2, off, s[0:3], 0 offset:304
	buffer_load_dword v3, off, s[0:3], 0 offset:308
	;; [unrolled: 1-line block ×64, first 2 shown]
	v_mov_b32_e32 v38, 0
	ds_read_b128 v[30:33], v38 offset:816
	ds_read_b128 v[34:37], v38 offset:832
	;; [unrolled: 1-line block ×7, first 2 shown]
	v_cmp_lt_u32_e32 vcc, 16, v0
	s_waitcnt vmcnt(60) lgkmcnt(6)
	v_mul_f64 v[56:57], v[30:31], v[6:7]
	v_fmac_f64_e32 v[56:57], v[32:33], v[2:3]
	v_add_f64 v[56:57], v[56:57], 0
	v_mul_f64 v[6:7], v[32:33], v[6:7]
	s_waitcnt vmcnt(56) lgkmcnt(5)
	v_mul_f64 v[58:59], v[34:35], v[8:9]
	v_fmac_f64_e32 v[58:59], v[36:37], v[4:5]
	s_waitcnt vmcnt(54) lgkmcnt(4)
	v_mul_f64 v[60:61], v[40:41], v[10:11]
	v_add_f64 v[56:57], v[56:57], v[58:59]
	v_fma_f64 v[2:3], v[30:31], v[2:3], -v[6:7]
	v_mul_f64 v[6:7], v[36:37], v[8:9]
	s_waitcnt vmcnt(50) lgkmcnt(3)
	v_mul_f64 v[62:63], v[44:45], v[16:17]
	s_waitcnt vmcnt(49) lgkmcnt(2)
	v_mul_f64 v[64:65], v[48:49], v[12:13]
	v_add_f64 v[2:3], v[2:3], 0
	s_waitcnt vmcnt(47)
	v_fmac_f64_e32 v[60:61], v[42:43], v[20:21]
	v_add_f64 v[56:57], v[56:57], v[60:61]
	s_waitcnt vmcnt(45)
	v_fmac_f64_e32 v[62:63], v[46:47], v[18:19]
	;; [unrolled: 3-line block ×3, first 2 shown]
	v_add_f64 v[60:61], v[56:57], v[64:65]
	ds_read_b128 v[56:59], v38 offset:912
	s_waitcnt vmcnt(40) lgkmcnt(2)
	v_mul_f64 v[62:63], v[52:53], v[26:27]
	v_fma_f64 v[4:5], v[34:35], v[4:5], -v[6:7]
	s_waitcnt vmcnt(38)
	v_fmac_f64_e32 v[62:63], v[54:55], v[28:29]
	v_add_f64 v[64:65], v[60:61], v[62:63]
	ds_read_b128 v[60:63], v38 offset:928
	s_waitcnt vmcnt(36) lgkmcnt(1)
	v_mul_f64 v[66:67], v[56:57], v[22:23]
	v_fmac_f64_e32 v[66:67], v[58:59], v[24:25]
	v_add_f64 v[2:3], v[2:3], v[4:5]
	v_mul_f64 v[4:5], v[42:43], v[10:11]
	v_add_f64 v[68:69], v[64:65], v[66:67]
	ds_read_b128 v[64:67], v38 offset:944
	s_waitcnt vmcnt(32) lgkmcnt(1)
	v_mul_f64 v[70:71], v[60:61], v[96:97]
	v_fma_f64 v[4:5], v[40:41], v[20:21], -v[4:5]
	s_waitcnt vmcnt(30)
	v_fmac_f64_e32 v[70:71], v[62:63], v[98:99]
	v_add_f64 v[2:3], v[2:3], v[4:5]
	v_mul_f64 v[4:5], v[46:47], v[16:17]
	v_add_f64 v[72:73], v[68:69], v[70:71]
	ds_read_b128 v[68:71], v38 offset:960
	v_fma_f64 v[4:5], v[44:45], v[18:19], -v[4:5]
	v_add_f64 v[2:3], v[2:3], v[4:5]
	v_mul_f64 v[4:5], v[50:51], v[12:13]
	v_fma_f64 v[4:5], v[48:49], v[14:15], -v[4:5]
	s_waitcnt vmcnt(28) lgkmcnt(1)
	v_mul_f64 v[74:75], v[64:65], v[92:93]
	v_add_f64 v[2:3], v[2:3], v[4:5]
	v_mul_f64 v[4:5], v[54:55], v[26:27]
	v_fmac_f64_e32 v[74:75], v[66:67], v[94:95]
	v_fma_f64 v[4:5], v[52:53], v[28:29], -v[4:5]
	v_add_f64 v[76:77], v[72:73], v[74:75]
	ds_read_b128 v[72:75], v38 offset:976
	s_waitcnt vmcnt(24) lgkmcnt(1)
	v_mul_f64 v[78:79], v[68:69], v[104:105]
	v_add_f64 v[2:3], v[2:3], v[4:5]
	v_mul_f64 v[4:5], v[58:59], v[22:23]
	s_waitcnt vmcnt(22)
	v_fmac_f64_e32 v[78:79], v[70:71], v[106:107]
	v_fma_f64 v[4:5], v[56:57], v[24:25], -v[4:5]
	v_add_f64 v[80:81], v[76:77], v[78:79]
	ds_read_b128 v[76:79], v38 offset:992
	v_add_f64 v[2:3], v[2:3], v[4:5]
	v_mul_f64 v[4:5], v[62:63], v[96:97]
	v_fma_f64 v[4:5], v[60:61], v[98:99], -v[4:5]
	v_add_f64 v[2:3], v[2:3], v[4:5]
	v_mul_f64 v[4:5], v[66:67], v[92:93]
	s_waitcnt vmcnt(20) lgkmcnt(1)
	v_mul_f64 v[82:83], v[72:73], v[100:101]
	v_fma_f64 v[4:5], v[64:65], v[94:95], -v[4:5]
	v_fmac_f64_e32 v[82:83], v[74:75], v[102:103]
	v_add_f64 v[2:3], v[2:3], v[4:5]
	v_mul_f64 v[4:5], v[70:71], v[104:105]
	v_add_f64 v[84:85], v[80:81], v[82:83]
	ds_read_b128 v[80:83], v38 offset:1008
	s_waitcnt vmcnt(16) lgkmcnt(1)
	v_mul_f64 v[86:87], v[76:77], v[112:113]
	v_fma_f64 v[4:5], v[68:69], v[106:107], -v[4:5]
	s_waitcnt vmcnt(14)
	v_fmac_f64_e32 v[86:87], v[78:79], v[114:115]
	v_add_f64 v[2:3], v[2:3], v[4:5]
	v_mul_f64 v[4:5], v[74:75], v[100:101]
	v_add_f64 v[130:131], v[84:85], v[86:87]
	ds_read_b128 v[84:87], v38 offset:1024
	v_fma_f64 v[4:5], v[72:73], v[102:103], -v[4:5]
	v_add_f64 v[2:3], v[2:3], v[4:5]
	v_mul_f64 v[4:5], v[78:79], v[112:113]
	v_fma_f64 v[4:5], v[76:77], v[114:115], -v[4:5]
	v_add_f64 v[2:3], v[2:3], v[4:5]
	s_waitcnt vmcnt(12) lgkmcnt(1)
	v_mul_f64 v[4:5], v[82:83], v[108:109]
	v_mul_f64 v[132:133], v[80:81], v[108:109]
	v_fma_f64 v[4:5], v[80:81], v[110:111], -v[4:5]
	v_fmac_f64_e32 v[132:133], v[82:83], v[110:111]
	v_add_f64 v[2:3], v[2:3], v[4:5]
	s_waitcnt vmcnt(8) lgkmcnt(0)
	v_mul_f64 v[4:5], v[86:87], v[122:123]
	v_add_f64 v[130:131], v[130:131], v[132:133]
	v_mul_f64 v[132:133], v[84:85], v[122:123]
	s_waitcnt vmcnt(6)
	v_fma_f64 v[4:5], v[84:85], v[124:125], -v[4:5]
	v_fmac_f64_e32 v[132:133], v[86:87], v[124:125]
	v_add_f64 v[2:3], v[2:3], v[4:5]
	s_waitcnt vmcnt(5)
	v_mul_f64 v[4:5], v[90:91], v[116:117]
	v_add_f64 v[130:131], v[130:131], v[132:133]
	v_mul_f64 v[132:133], v[88:89], v[116:117]
	s_waitcnt vmcnt(4)
	v_fma_f64 v[4:5], v[88:89], v[120:121], -v[4:5]
	v_fmac_f64_e32 v[132:133], v[90:91], v[120:121]
	v_add_f64 v[2:3], v[2:3], v[4:5]
	v_add_f64 v[130:131], v[130:131], v[132:133]
	s_waitcnt vmcnt(2)
	v_add_f64 v[2:3], v[126:127], -v[2:3]
	s_waitcnt vmcnt(0)
	v_add_f64 v[4:5], v[128:129], -v[130:131]
	buffer_store_dword v3, off, s[0:3], 0 offset:292
	buffer_store_dword v2, off, s[0:3], 0 offset:288
	;; [unrolled: 1-line block ×4, first 2 shown]
	s_and_saveexec_b64 s[4:5], vcc
	s_cbranch_execz .LBB32_179
; %bb.178:
	v_accvgpr_read_b32 v5, a76
	buffer_load_dword v2, v5, s[0:3], 0 offen
	buffer_load_dword v3, v5, s[0:3], 0 offen offset:4
	buffer_load_dword v4, v5, s[0:3], 0 offen offset:8
	s_nop 0
	buffer_load_dword v5, v5, s[0:3], 0 offen offset:12
	s_nop 0
	buffer_store_dword v38, off, s[0:3], 0 offset:272
	buffer_store_dword v38, off, s[0:3], 0 offset:276
	;; [unrolled: 1-line block ×4, first 2 shown]
	s_waitcnt vmcnt(4)
	ds_write_b128 v1, v[2:5]
.LBB32_179:
	s_or_b64 exec, exec, s[4:5]
	s_waitcnt lgkmcnt(0)
	; wave barrier
	s_waitcnt lgkmcnt(0)
	buffer_load_dword v2, off, s[0:3], 0 offset:288
	buffer_load_dword v3, off, s[0:3], 0 offset:292
	;; [unrolled: 1-line block ×64, first 2 shown]
	ds_read_b128 v[40:43], v38 offset:800
	ds_read_b128 v[44:47], v38 offset:816
	ds_read_b128 v[48:51], v38 offset:832
	ds_read_b128 v[52:55], v38 offset:848
	buffer_load_dword v134, off, s[0:3], 0 offset:272
	buffer_load_dword v135, off, s[0:3], 0 offset:276
	;; [unrolled: 1-line block ×4, first 2 shown]
	v_cmp_lt_u32_e32 vcc, 15, v0
	ds_read_b128 v[100:103], v38 offset:1040
	s_waitcnt vmcnt(62) lgkmcnt(4)
	v_mul_f64 v[56:57], v[40:41], v[4:5]
	v_fmac_f64_e32 v[56:57], v[42:43], v[2:3]
	s_waitcnt lgkmcnt(3)
	v_mul_f64 v[58:59], v[44:45], v[6:7]
	v_add_f64 v[56:57], v[56:57], 0
	s_waitcnt vmcnt(60) lgkmcnt(2)
	v_mul_f64 v[60:61], v[48:49], v[8:9]
	v_mul_f64 v[4:5], v[42:43], v[4:5]
	v_fma_f64 v[2:3], v[40:41], v[2:3], -v[4:5]
	v_mul_f64 v[4:5], v[46:47], v[6:7]
	s_waitcnt vmcnt(56) lgkmcnt(1)
	v_mul_f64 v[62:63], v[52:53], v[14:15]
	v_add_f64 v[2:3], v[2:3], 0
	s_waitcnt vmcnt(54)
	v_fmac_f64_e32 v[58:59], v[46:47], v[20:21]
	v_add_f64 v[64:65], v[56:57], v[58:59]
	ds_read_b128 v[56:59], v38 offset:864
	s_waitcnt vmcnt(52)
	v_fmac_f64_e32 v[60:61], v[50:51], v[18:19]
	v_add_f64 v[60:61], v[64:65], v[60:61]
	s_waitcnt vmcnt(50)
	v_fmac_f64_e32 v[62:63], v[54:55], v[16:17]
	v_add_f64 v[64:65], v[60:61], v[62:63]
	ds_read_b128 v[60:63], v38 offset:880
	s_waitcnt vmcnt(48) lgkmcnt(1)
	v_mul_f64 v[66:67], v[56:57], v[10:11]
	v_fmac_f64_e32 v[66:67], v[58:59], v[12:13]
	v_add_f64 v[68:69], v[64:65], v[66:67]
	ds_read_b128 v[64:67], v38 offset:896
	s_waitcnt vmcnt(44) lgkmcnt(1)
	v_mul_f64 v[70:71], v[60:61], v[26:27]
	s_waitcnt vmcnt(42)
	v_fmac_f64_e32 v[70:71], v[62:63], v[28:29]
	v_add_f64 v[72:73], v[68:69], v[70:71]
	ds_read_b128 v[68:71], v38 offset:912
	s_waitcnt vmcnt(40) lgkmcnt(1)
	v_mul_f64 v[74:75], v[64:65], v[22:23]
	v_fmac_f64_e32 v[74:75], v[66:67], v[24:25]
	v_add_f64 v[76:77], v[72:73], v[74:75]
	ds_read_b128 v[72:75], v38 offset:928
	v_fma_f64 v[4:5], v[44:45], v[20:21], -v[4:5]
	v_add_f64 v[2:3], v[2:3], v[4:5]
	v_mul_f64 v[4:5], v[50:51], v[8:9]
	s_waitcnt vmcnt(36) lgkmcnt(1)
	v_mul_f64 v[78:79], v[68:69], v[34:35]
	v_fma_f64 v[4:5], v[48:49], v[18:19], -v[4:5]
	s_waitcnt vmcnt(34)
	v_fmac_f64_e32 v[78:79], v[70:71], v[36:37]
	v_add_f64 v[2:3], v[2:3], v[4:5]
	v_mul_f64 v[4:5], v[54:55], v[14:15]
	v_add_f64 v[80:81], v[76:77], v[78:79]
	ds_read_b128 v[76:79], v38 offset:944
	s_waitcnt vmcnt(32) lgkmcnt(1)
	v_mul_f64 v[82:83], v[72:73], v[30:31]
	v_fma_f64 v[4:5], v[52:53], v[16:17], -v[4:5]
	v_fmac_f64_e32 v[82:83], v[74:75], v[32:33]
	v_add_f64 v[2:3], v[2:3], v[4:5]
	v_mul_f64 v[4:5], v[58:59], v[10:11]
	v_add_f64 v[84:85], v[80:81], v[82:83]
	ds_read_b128 v[80:83], v38 offset:960
	v_fma_f64 v[4:5], v[56:57], v[12:13], -v[4:5]
	v_add_f64 v[2:3], v[2:3], v[4:5]
	v_mul_f64 v[4:5], v[62:63], v[26:27]
	v_fma_f64 v[4:5], v[60:61], v[28:29], -v[4:5]
	s_waitcnt vmcnt(28) lgkmcnt(1)
	v_mul_f64 v[86:87], v[76:77], v[108:109]
	v_add_f64 v[2:3], v[2:3], v[4:5]
	v_mul_f64 v[4:5], v[66:67], v[22:23]
	s_waitcnt vmcnt(26)
	v_fmac_f64_e32 v[86:87], v[78:79], v[110:111]
	v_fma_f64 v[4:5], v[64:65], v[24:25], -v[4:5]
	v_add_f64 v[88:89], v[84:85], v[86:87]
	ds_read_b128 v[84:87], v38 offset:976
	s_waitcnt vmcnt(24) lgkmcnt(1)
	v_mul_f64 v[90:91], v[80:81], v[104:105]
	v_add_f64 v[2:3], v[2:3], v[4:5]
	v_mul_f64 v[4:5], v[70:71], v[34:35]
	v_fmac_f64_e32 v[90:91], v[82:83], v[106:107]
	v_fma_f64 v[4:5], v[68:69], v[36:37], -v[4:5]
	v_add_f64 v[92:93], v[88:89], v[90:91]
	ds_read_b128 v[88:91], v38 offset:992
	v_add_f64 v[2:3], v[2:3], v[4:5]
	v_mul_f64 v[4:5], v[74:75], v[30:31]
	v_fma_f64 v[4:5], v[72:73], v[32:33], -v[4:5]
	v_add_f64 v[2:3], v[2:3], v[4:5]
	v_mul_f64 v[4:5], v[78:79], v[108:109]
	s_waitcnt vmcnt(20) lgkmcnt(1)
	v_mul_f64 v[94:95], v[84:85], v[116:117]
	v_fma_f64 v[4:5], v[76:77], v[110:111], -v[4:5]
	s_waitcnt vmcnt(18)
	v_fmac_f64_e32 v[94:95], v[86:87], v[120:121]
	v_add_f64 v[2:3], v[2:3], v[4:5]
	v_mul_f64 v[4:5], v[82:83], v[104:105]
	v_add_f64 v[96:97], v[92:93], v[94:95]
	ds_read_b128 v[92:95], v38 offset:1008
	s_waitcnt vmcnt(16) lgkmcnt(1)
	v_mul_f64 v[98:99], v[88:89], v[112:113]
	v_fma_f64 v[4:5], v[80:81], v[106:107], -v[4:5]
	v_fmac_f64_e32 v[98:99], v[90:91], v[114:115]
	v_add_f64 v[2:3], v[2:3], v[4:5]
	v_mul_f64 v[4:5], v[86:87], v[116:117]
	v_add_f64 v[138:139], v[96:97], v[98:99]
	ds_read_b128 v[96:99], v38 offset:1024
	v_fma_f64 v[4:5], v[84:85], v[120:121], -v[4:5]
	v_add_f64 v[2:3], v[2:3], v[4:5]
	v_mul_f64 v[4:5], v[90:91], v[112:113]
	v_fma_f64 v[4:5], v[88:89], v[114:115], -v[4:5]
	v_add_f64 v[2:3], v[2:3], v[4:5]
	s_waitcnt vmcnt(12) lgkmcnt(1)
	v_mul_f64 v[4:5], v[94:95], v[126:127]
	v_mul_f64 v[140:141], v[92:93], v[126:127]
	s_waitcnt vmcnt(10)
	v_fma_f64 v[4:5], v[92:93], v[128:129], -v[4:5]
	v_fmac_f64_e32 v[140:141], v[94:95], v[128:129]
	v_add_f64 v[2:3], v[2:3], v[4:5]
	s_waitcnt vmcnt(8) lgkmcnt(0)
	v_mul_f64 v[4:5], v[98:99], v[122:123]
	v_add_f64 v[38:39], v[138:139], v[140:141]
	v_mul_f64 v[138:139], v[96:97], v[122:123]
	v_fma_f64 v[4:5], v[96:97], v[124:125], -v[4:5]
	v_fmac_f64_e32 v[138:139], v[98:99], v[124:125]
	v_add_f64 v[2:3], v[2:3], v[4:5]
	s_waitcnt vmcnt(6)
	v_mul_f64 v[4:5], v[102:103], v[130:131]
	v_add_f64 v[38:39], v[38:39], v[138:139]
	v_mul_f64 v[138:139], v[100:101], v[130:131]
	s_waitcnt vmcnt(4)
	v_fma_f64 v[4:5], v[100:101], v[132:133], -v[4:5]
	v_fmac_f64_e32 v[138:139], v[102:103], v[132:133]
	v_add_f64 v[2:3], v[2:3], v[4:5]
	v_add_f64 v[38:39], v[38:39], v[138:139]
	s_waitcnt vmcnt(2)
	v_add_f64 v[2:3], v[134:135], -v[2:3]
	s_waitcnt vmcnt(0)
	v_add_f64 v[4:5], v[136:137], -v[38:39]
	buffer_store_dword v3, off, s[0:3], 0 offset:276
	buffer_store_dword v2, off, s[0:3], 0 offset:272
	;; [unrolled: 1-line block ×4, first 2 shown]
	s_and_saveexec_b64 s[4:5], vcc
	s_cbranch_execz .LBB32_181
; %bb.180:
	v_accvgpr_read_b32 v5, a77
	buffer_load_dword v2, v5, s[0:3], 0 offen
	buffer_load_dword v3, v5, s[0:3], 0 offen offset:4
	buffer_load_dword v4, v5, s[0:3], 0 offen offset:8
	s_nop 0
	buffer_load_dword v5, v5, s[0:3], 0 offen offset:12
	v_mov_b32_e32 v6, 0
	buffer_store_dword v6, off, s[0:3], 0 offset:256
	buffer_store_dword v6, off, s[0:3], 0 offset:260
	;; [unrolled: 1-line block ×4, first 2 shown]
	s_waitcnt vmcnt(4)
	ds_write_b128 v1, v[2:5]
.LBB32_181:
	s_or_b64 exec, exec, s[4:5]
	s_waitcnt lgkmcnt(0)
	; wave barrier
	s_waitcnt lgkmcnt(0)
	buffer_load_dword v2, off, s[0:3], 0 offset:272
	buffer_load_dword v3, off, s[0:3], 0 offset:276
	;; [unrolled: 1-line block ×68, first 2 shown]
	v_mov_b32_e32 v46, 0
	ds_read_b128 v[42:45], v46 offset:784
	ds_read_b128 v[48:51], v46 offset:800
	buffer_load_dword v142, off, s[0:3], 0 offset:256
	buffer_load_dword v143, off, s[0:3], 0 offset:260
	;; [unrolled: 1-line block ×4, first 2 shown]
	ds_read_b128 v[52:55], v46 offset:816
	ds_read_b128 v[56:59], v46 offset:832
	;; [unrolled: 1-line block ×3, first 2 shown]
	v_cmp_lt_u32_e32 vcc, 14, v0
	s_waitcnt vmcnt(62) lgkmcnt(4)
	v_mul_f64 v[60:61], v[42:43], v[8:9]
	v_fmac_f64_e32 v[60:61], v[44:45], v[2:3]
	v_add_f64 v[60:61], v[60:61], 0
	v_mul_f64 v[8:9], v[44:45], v[8:9]
	s_waitcnt lgkmcnt(3)
	v_mul_f64 v[62:63], v[48:49], v[10:11]
	v_fmac_f64_e32 v[62:63], v[50:51], v[4:5]
	v_add_f64 v[60:61], v[60:61], v[62:63]
	v_fma_f64 v[2:3], v[42:43], v[2:3], -v[8:9]
	s_waitcnt vmcnt(60) lgkmcnt(2)
	v_mul_f64 v[62:63], v[52:53], v[12:13]
	v_fmac_f64_e32 v[62:63], v[54:55], v[6:7]
	v_add_f64 v[64:65], v[60:61], v[62:63]
	ds_read_b128 v[60:63], v46 offset:848
	s_waitcnt vmcnt(56) lgkmcnt(2)
	v_mul_f64 v[66:67], v[56:57], v[18:19]
	v_mul_f64 v[8:9], v[50:51], v[10:11]
	s_waitcnt vmcnt(54)
	v_fmac_f64_e32 v[66:67], v[58:59], v[20:21]
	v_add_f64 v[68:69], v[64:65], v[66:67]
	ds_read_b128 v[64:67], v46 offset:864
	s_waitcnt vmcnt(52) lgkmcnt(1)
	v_mul_f64 v[70:71], v[60:61], v[14:15]
	v_fmac_f64_e32 v[70:71], v[62:63], v[16:17]
	v_add_f64 v[72:73], v[68:69], v[70:71]
	ds_read_b128 v[68:71], v46 offset:880
	s_waitcnt vmcnt(48) lgkmcnt(1)
	v_mul_f64 v[74:75], v[64:65], v[26:27]
	s_waitcnt vmcnt(46)
	v_fmac_f64_e32 v[74:75], v[66:67], v[28:29]
	v_add_f64 v[76:77], v[72:73], v[74:75]
	ds_read_b128 v[72:75], v46 offset:896
	s_waitcnt vmcnt(44) lgkmcnt(1)
	v_mul_f64 v[78:79], v[68:69], v[22:23]
	v_fmac_f64_e32 v[78:79], v[70:71], v[24:25]
	v_add_f64 v[80:81], v[76:77], v[78:79]
	ds_read_b128 v[76:79], v46 offset:912
	s_waitcnt vmcnt(40) lgkmcnt(1)
	v_mul_f64 v[82:83], v[72:73], v[34:35]
	s_waitcnt vmcnt(38)
	v_fmac_f64_e32 v[82:83], v[74:75], v[36:37]
	v_add_f64 v[2:3], v[2:3], 0
	v_fma_f64 v[4:5], v[48:49], v[4:5], -v[8:9]
	v_add_f64 v[84:85], v[80:81], v[82:83]
	ds_read_b128 v[80:83], v46 offset:928
	v_add_f64 v[2:3], v[2:3], v[4:5]
	v_mul_f64 v[4:5], v[54:55], v[12:13]
	v_fma_f64 v[4:5], v[52:53], v[6:7], -v[4:5]
	v_add_f64 v[2:3], v[2:3], v[4:5]
	v_mul_f64 v[4:5], v[58:59], v[18:19]
	s_waitcnt vmcnt(36) lgkmcnt(1)
	v_mul_f64 v[86:87], v[76:77], v[30:31]
	v_fma_f64 v[4:5], v[56:57], v[20:21], -v[4:5]
	v_fmac_f64_e32 v[86:87], v[78:79], v[32:33]
	v_add_f64 v[2:3], v[2:3], v[4:5]
	v_mul_f64 v[4:5], v[62:63], v[14:15]
	v_add_f64 v[88:89], v[84:85], v[86:87]
	ds_read_b128 v[84:87], v46 offset:944
	s_waitcnt vmcnt(32) lgkmcnt(1)
	v_mul_f64 v[90:91], v[80:81], v[112:113]
	v_fma_f64 v[4:5], v[60:61], v[16:17], -v[4:5]
	s_waitcnt vmcnt(30)
	v_fmac_f64_e32 v[90:91], v[82:83], v[114:115]
	v_add_f64 v[2:3], v[2:3], v[4:5]
	v_mul_f64 v[4:5], v[66:67], v[26:27]
	v_add_f64 v[92:93], v[88:89], v[90:91]
	ds_read_b128 v[88:91], v46 offset:960
	v_fma_f64 v[4:5], v[64:65], v[28:29], -v[4:5]
	v_add_f64 v[2:3], v[2:3], v[4:5]
	v_mul_f64 v[4:5], v[70:71], v[22:23]
	v_fma_f64 v[4:5], v[68:69], v[24:25], -v[4:5]
	s_waitcnt vmcnt(28) lgkmcnt(1)
	v_mul_f64 v[94:95], v[84:85], v[38:39]
	v_add_f64 v[2:3], v[2:3], v[4:5]
	v_mul_f64 v[4:5], v[74:75], v[34:35]
	v_fmac_f64_e32 v[94:95], v[86:87], v[40:41]
	v_fma_f64 v[4:5], v[72:73], v[36:37], -v[4:5]
	v_add_f64 v[96:97], v[92:93], v[94:95]
	ds_read_b128 v[92:95], v46 offset:976
	s_waitcnt vmcnt(24) lgkmcnt(1)
	v_mul_f64 v[98:99], v[88:89], v[122:123]
	v_add_f64 v[2:3], v[2:3], v[4:5]
	v_mul_f64 v[4:5], v[78:79], v[30:31]
	s_waitcnt vmcnt(22)
	v_fmac_f64_e32 v[98:99], v[90:91], v[124:125]
	v_fma_f64 v[4:5], v[76:77], v[32:33], -v[4:5]
	v_add_f64 v[100:101], v[96:97], v[98:99]
	ds_read_b128 v[96:99], v46 offset:992
	v_add_f64 v[2:3], v[2:3], v[4:5]
	v_mul_f64 v[4:5], v[82:83], v[112:113]
	v_fma_f64 v[4:5], v[80:81], v[114:115], -v[4:5]
	v_add_f64 v[2:3], v[2:3], v[4:5]
	v_mul_f64 v[4:5], v[86:87], v[38:39]
	s_waitcnt vmcnt(20) lgkmcnt(1)
	v_mul_f64 v[102:103], v[92:93], v[116:117]
	v_fma_f64 v[4:5], v[84:85], v[40:41], -v[4:5]
	v_fmac_f64_e32 v[102:103], v[94:95], v[120:121]
	v_add_f64 v[2:3], v[2:3], v[4:5]
	v_mul_f64 v[4:5], v[90:91], v[122:123]
	v_add_f64 v[104:105], v[100:101], v[102:103]
	ds_read_b128 v[100:103], v46 offset:1008
	s_waitcnt vmcnt(16) lgkmcnt(1)
	v_mul_f64 v[106:107], v[96:97], v[130:131]
	v_fma_f64 v[4:5], v[88:89], v[124:125], -v[4:5]
	s_waitcnt vmcnt(14)
	v_fmac_f64_e32 v[106:107], v[98:99], v[132:133]
	v_add_f64 v[2:3], v[2:3], v[4:5]
	v_mul_f64 v[4:5], v[94:95], v[116:117]
	v_add_f64 v[146:147], v[104:105], v[106:107]
	ds_read_b128 v[104:107], v46 offset:1024
	v_fma_f64 v[4:5], v[92:93], v[120:121], -v[4:5]
	v_add_f64 v[2:3], v[2:3], v[4:5]
	v_mul_f64 v[4:5], v[98:99], v[130:131]
	v_fma_f64 v[4:5], v[96:97], v[132:133], -v[4:5]
	v_add_f64 v[2:3], v[2:3], v[4:5]
	s_waitcnt vmcnt(12) lgkmcnt(1)
	v_mul_f64 v[4:5], v[102:103], v[126:127]
	v_mul_f64 v[148:149], v[100:101], v[126:127]
	v_fma_f64 v[4:5], v[100:101], v[128:129], -v[4:5]
	v_fmac_f64_e32 v[148:149], v[102:103], v[128:129]
	v_add_f64 v[2:3], v[2:3], v[4:5]
	s_waitcnt vmcnt(8) lgkmcnt(0)
	v_mul_f64 v[4:5], v[106:107], v[138:139]
	v_add_f64 v[146:147], v[146:147], v[148:149]
	v_mul_f64 v[148:149], v[104:105], v[138:139]
	s_waitcnt vmcnt(6)
	v_fma_f64 v[4:5], v[104:105], v[140:141], -v[4:5]
	v_fmac_f64_e32 v[148:149], v[106:107], v[140:141]
	v_add_f64 v[2:3], v[2:3], v[4:5]
	s_waitcnt vmcnt(5)
	v_mul_f64 v[4:5], v[110:111], v[134:135]
	v_add_f64 v[146:147], v[146:147], v[148:149]
	v_mul_f64 v[148:149], v[108:109], v[134:135]
	s_waitcnt vmcnt(4)
	v_fma_f64 v[4:5], v[108:109], v[136:137], -v[4:5]
	v_fmac_f64_e32 v[148:149], v[110:111], v[136:137]
	v_add_f64 v[2:3], v[2:3], v[4:5]
	v_add_f64 v[146:147], v[146:147], v[148:149]
	s_waitcnt vmcnt(2)
	v_add_f64 v[2:3], v[142:143], -v[2:3]
	s_waitcnt vmcnt(0)
	v_add_f64 v[4:5], v[144:145], -v[146:147]
	buffer_store_dword v3, off, s[0:3], 0 offset:260
	buffer_store_dword v2, off, s[0:3], 0 offset:256
	;; [unrolled: 1-line block ×4, first 2 shown]
	s_and_saveexec_b64 s[4:5], vcc
	s_cbranch_execz .LBB32_183
; %bb.182:
	v_accvgpr_read_b32 v5, a78
	buffer_load_dword v2, v5, s[0:3], 0 offen
	buffer_load_dword v3, v5, s[0:3], 0 offen offset:4
	buffer_load_dword v4, v5, s[0:3], 0 offen offset:8
	s_nop 0
	buffer_load_dword v5, v5, s[0:3], 0 offen offset:12
	s_nop 0
	buffer_store_dword v46, off, s[0:3], 0 offset:240
	buffer_store_dword v46, off, s[0:3], 0 offset:244
	;; [unrolled: 1-line block ×4, first 2 shown]
	s_waitcnt vmcnt(4)
	ds_write_b128 v1, v[2:5]
.LBB32_183:
	s_or_b64 exec, exec, s[4:5]
	s_waitcnt lgkmcnt(0)
	; wave barrier
	s_waitcnt lgkmcnt(0)
	buffer_load_dword v2, off, s[0:3], 0 offset:256
	buffer_load_dword v3, off, s[0:3], 0 offset:260
	;; [unrolled: 1-line block ×72, first 2 shown]
	ds_read_b128 v[48:51], v46 offset:768
	buffer_load_dword v150, off, s[0:3], 0 offset:240
	buffer_load_dword v151, off, s[0:3], 0 offset:244
	;; [unrolled: 1-line block ×4, first 2 shown]
	ds_read_b128 v[52:55], v46 offset:784
	ds_read_b128 v[56:59], v46 offset:800
	;; [unrolled: 1-line block ×3, first 2 shown]
	v_cmp_lt_u32_e32 vcc, 13, v0
	ds_read_b128 v[120:123], v46 offset:1040
	s_waitcnt vmcnt(62) lgkmcnt(4)
	v_mul_f64 v[64:65], v[48:49], v[8:9]
	v_fmac_f64_e32 v[64:65], v[50:51], v[2:3]
	v_add_f64 v[64:65], v[64:65], 0
	v_mul_f64 v[8:9], v[50:51], v[8:9]
	s_waitcnt lgkmcnt(3)
	v_mul_f64 v[66:67], v[52:53], v[10:11]
	v_fmac_f64_e32 v[66:67], v[54:55], v[4:5]
	v_add_f64 v[64:65], v[64:65], v[66:67]
	v_fma_f64 v[2:3], v[48:49], v[2:3], -v[8:9]
	s_waitcnt lgkmcnt(2)
	v_mul_f64 v[66:67], v[56:57], v[12:13]
	v_fmac_f64_e32 v[66:67], v[58:59], v[6:7]
	v_add_f64 v[68:69], v[64:65], v[66:67]
	ds_read_b128 v[64:67], v46 offset:832
	s_waitcnt vmcnt(60) lgkmcnt(2)
	v_mul_f64 v[70:71], v[60:61], v[18:19]
	v_mul_f64 v[8:9], v[54:55], v[10:11]
	s_waitcnt vmcnt(58)
	v_fmac_f64_e32 v[70:71], v[62:63], v[20:21]
	v_add_f64 v[72:73], v[68:69], v[70:71]
	ds_read_b128 v[68:71], v46 offset:848
	s_waitcnt vmcnt(56) lgkmcnt(1)
	v_mul_f64 v[74:75], v[64:65], v[14:15]
	v_fmac_f64_e32 v[74:75], v[66:67], v[16:17]
	v_add_f64 v[76:77], v[72:73], v[74:75]
	ds_read_b128 v[72:75], v46 offset:864
	s_waitcnt vmcnt(52) lgkmcnt(1)
	v_mul_f64 v[78:79], v[68:69], v[26:27]
	s_waitcnt vmcnt(50)
	v_fmac_f64_e32 v[78:79], v[70:71], v[28:29]
	v_add_f64 v[80:81], v[76:77], v[78:79]
	ds_read_b128 v[76:79], v46 offset:880
	s_waitcnt vmcnt(48) lgkmcnt(1)
	v_mul_f64 v[82:83], v[72:73], v[22:23]
	v_fmac_f64_e32 v[82:83], v[74:75], v[24:25]
	v_add_f64 v[84:85], v[80:81], v[82:83]
	ds_read_b128 v[80:83], v46 offset:896
	s_waitcnt vmcnt(44) lgkmcnt(1)
	v_mul_f64 v[86:87], v[76:77], v[34:35]
	s_waitcnt vmcnt(42)
	v_fmac_f64_e32 v[86:87], v[78:79], v[36:37]
	v_add_f64 v[2:3], v[2:3], 0
	v_fma_f64 v[4:5], v[52:53], v[4:5], -v[8:9]
	v_add_f64 v[88:89], v[84:85], v[86:87]
	ds_read_b128 v[84:87], v46 offset:912
	s_waitcnt vmcnt(40) lgkmcnt(1)
	v_mul_f64 v[90:91], v[80:81], v[30:31]
	v_add_f64 v[2:3], v[2:3], v[4:5]
	v_mul_f64 v[4:5], v[58:59], v[12:13]
	v_fmac_f64_e32 v[90:91], v[82:83], v[32:33]
	v_fma_f64 v[4:5], v[56:57], v[6:7], -v[4:5]
	v_add_f64 v[92:93], v[88:89], v[90:91]
	ds_read_b128 v[88:91], v46 offset:928
	v_add_f64 v[2:3], v[2:3], v[4:5]
	v_mul_f64 v[4:5], v[62:63], v[18:19]
	v_fma_f64 v[4:5], v[60:61], v[20:21], -v[4:5]
	v_add_f64 v[2:3], v[2:3], v[4:5]
	v_mul_f64 v[4:5], v[66:67], v[14:15]
	s_waitcnt vmcnt(36) lgkmcnt(1)
	v_mul_f64 v[94:95], v[84:85], v[42:43]
	v_fma_f64 v[4:5], v[64:65], v[16:17], -v[4:5]
	s_waitcnt vmcnt(34)
	v_fmac_f64_e32 v[94:95], v[86:87], v[44:45]
	v_add_f64 v[2:3], v[2:3], v[4:5]
	v_mul_f64 v[4:5], v[70:71], v[26:27]
	v_add_f64 v[96:97], v[92:93], v[94:95]
	ds_read_b128 v[92:95], v46 offset:944
	s_waitcnt vmcnt(32) lgkmcnt(1)
	v_mul_f64 v[98:99], v[88:89], v[38:39]
	v_fma_f64 v[4:5], v[68:69], v[28:29], -v[4:5]
	v_fmac_f64_e32 v[98:99], v[90:91], v[40:41]
	v_add_f64 v[2:3], v[2:3], v[4:5]
	v_mul_f64 v[4:5], v[74:75], v[22:23]
	v_add_f64 v[100:101], v[96:97], v[98:99]
	ds_read_b128 v[96:99], v46 offset:960
	v_fma_f64 v[4:5], v[72:73], v[24:25], -v[4:5]
	v_add_f64 v[2:3], v[2:3], v[4:5]
	v_mul_f64 v[4:5], v[78:79], v[34:35]
	v_fma_f64 v[4:5], v[76:77], v[36:37], -v[4:5]
	s_waitcnt vmcnt(28) lgkmcnt(1)
	v_mul_f64 v[102:103], v[92:93], v[126:127]
	v_add_f64 v[2:3], v[2:3], v[4:5]
	v_mul_f64 v[4:5], v[82:83], v[30:31]
	s_waitcnt vmcnt(26)
	v_fmac_f64_e32 v[102:103], v[94:95], v[128:129]
	v_fma_f64 v[4:5], v[80:81], v[32:33], -v[4:5]
	v_add_f64 v[104:105], v[100:101], v[102:103]
	ds_read_b128 v[100:103], v46 offset:976
	s_waitcnt vmcnt(24) lgkmcnt(1)
	v_mul_f64 v[106:107], v[96:97], v[116:117]
	v_add_f64 v[2:3], v[2:3], v[4:5]
	v_mul_f64 v[4:5], v[86:87], v[42:43]
	v_fmac_f64_e32 v[106:107], v[98:99], v[124:125]
	v_fma_f64 v[4:5], v[84:85], v[44:45], -v[4:5]
	v_add_f64 v[108:109], v[104:105], v[106:107]
	ds_read_b128 v[104:107], v46 offset:992
	v_add_f64 v[2:3], v[2:3], v[4:5]
	v_mul_f64 v[4:5], v[90:91], v[38:39]
	v_fma_f64 v[4:5], v[88:89], v[40:41], -v[4:5]
	v_add_f64 v[2:3], v[2:3], v[4:5]
	v_mul_f64 v[4:5], v[94:95], v[126:127]
	s_waitcnt vmcnt(20) lgkmcnt(1)
	v_mul_f64 v[110:111], v[100:101], v[134:135]
	v_fma_f64 v[4:5], v[92:93], v[128:129], -v[4:5]
	s_waitcnt vmcnt(18)
	v_fmac_f64_e32 v[110:111], v[102:103], v[136:137]
	v_add_f64 v[2:3], v[2:3], v[4:5]
	v_mul_f64 v[4:5], v[98:99], v[116:117]
	v_add_f64 v[112:113], v[108:109], v[110:111]
	ds_read_b128 v[108:111], v46 offset:1008
	s_waitcnt vmcnt(16) lgkmcnt(1)
	v_mul_f64 v[114:115], v[104:105], v[130:131]
	v_fma_f64 v[4:5], v[96:97], v[124:125], -v[4:5]
	v_fmac_f64_e32 v[114:115], v[106:107], v[132:133]
	v_add_f64 v[2:3], v[2:3], v[4:5]
	v_mul_f64 v[4:5], v[102:103], v[134:135]
	v_add_f64 v[154:155], v[112:113], v[114:115]
	ds_read_b128 v[112:115], v46 offset:1024
	v_fma_f64 v[4:5], v[100:101], v[136:137], -v[4:5]
	v_add_f64 v[2:3], v[2:3], v[4:5]
	v_mul_f64 v[4:5], v[106:107], v[130:131]
	v_fma_f64 v[4:5], v[104:105], v[132:133], -v[4:5]
	v_add_f64 v[2:3], v[2:3], v[4:5]
	s_waitcnt vmcnt(12) lgkmcnt(1)
	v_mul_f64 v[4:5], v[110:111], v[142:143]
	v_mul_f64 v[156:157], v[108:109], v[142:143]
	s_waitcnt vmcnt(10)
	v_fma_f64 v[4:5], v[108:109], v[144:145], -v[4:5]
	v_fmac_f64_e32 v[156:157], v[110:111], v[144:145]
	v_add_f64 v[2:3], v[2:3], v[4:5]
	s_waitcnt vmcnt(8) lgkmcnt(0)
	v_mul_f64 v[4:5], v[114:115], v[138:139]
	v_add_f64 v[46:47], v[154:155], v[156:157]
	v_mul_f64 v[154:155], v[112:113], v[138:139]
	v_fma_f64 v[4:5], v[112:113], v[140:141], -v[4:5]
	v_fmac_f64_e32 v[154:155], v[114:115], v[140:141]
	v_add_f64 v[2:3], v[2:3], v[4:5]
	s_waitcnt vmcnt(6)
	v_mul_f64 v[4:5], v[122:123], v[146:147]
	v_add_f64 v[46:47], v[46:47], v[154:155]
	v_mul_f64 v[154:155], v[120:121], v[146:147]
	s_waitcnt vmcnt(4)
	v_fma_f64 v[4:5], v[120:121], v[148:149], -v[4:5]
	v_fmac_f64_e32 v[154:155], v[122:123], v[148:149]
	v_add_f64 v[2:3], v[2:3], v[4:5]
	v_add_f64 v[46:47], v[46:47], v[154:155]
	s_waitcnt vmcnt(2)
	v_add_f64 v[2:3], v[150:151], -v[2:3]
	s_waitcnt vmcnt(0)
	v_add_f64 v[4:5], v[152:153], -v[46:47]
	buffer_store_dword v3, off, s[0:3], 0 offset:244
	buffer_store_dword v2, off, s[0:3], 0 offset:240
	;; [unrolled: 1-line block ×4, first 2 shown]
	s_and_saveexec_b64 s[4:5], vcc
	s_cbranch_execz .LBB32_185
; %bb.184:
	v_accvgpr_read_b32 v5, a79
	buffer_load_dword v2, v5, s[0:3], 0 offen
	buffer_load_dword v3, v5, s[0:3], 0 offen offset:4
	buffer_load_dword v4, v5, s[0:3], 0 offen offset:8
	s_nop 0
	buffer_load_dword v5, v5, s[0:3], 0 offen offset:12
	v_mov_b32_e32 v6, 0
	buffer_store_dword v6, off, s[0:3], 0 offset:224
	buffer_store_dword v6, off, s[0:3], 0 offset:228
	;; [unrolled: 1-line block ×4, first 2 shown]
	s_waitcnt vmcnt(4)
	ds_write_b128 v1, v[2:5]
.LBB32_185:
	s_or_b64 exec, exec, s[4:5]
	s_waitcnt lgkmcnt(0)
	; wave barrier
	s_waitcnt lgkmcnt(0)
	buffer_load_dword v2, off, s[0:3], 0 offset:240
	buffer_load_dword v3, off, s[0:3], 0 offset:244
	;; [unrolled: 1-line block ×76, first 2 shown]
	v_mov_b32_e32 v54, 0
	ds_read_b128 v[56:59], v54 offset:752
	buffer_load_dword v158, off, s[0:3], 0 offset:224
	buffer_load_dword v159, off, s[0:3], 0 offset:228
	;; [unrolled: 1-line block ×4, first 2 shown]
	ds_read_b128 v[60:63], v54 offset:768
	ds_read_b128 v[64:67], v54 offset:784
	;; [unrolled: 1-line block ×4, first 2 shown]
	v_cmp_lt_u32_e32 vcc, 12, v0
	s_waitcnt vmcnt(62) lgkmcnt(4)
	v_mul_f64 v[72:73], v[56:57], v[8:9]
	v_fmac_f64_e32 v[72:73], v[58:59], v[2:3]
	v_add_f64 v[72:73], v[72:73], 0
	v_mul_f64 v[8:9], v[58:59], v[8:9]
	s_waitcnt lgkmcnt(3)
	v_mul_f64 v[74:75], v[60:61], v[10:11]
	v_fmac_f64_e32 v[74:75], v[62:63], v[4:5]
	v_add_f64 v[72:73], v[72:73], v[74:75]
	v_fma_f64 v[2:3], v[56:57], v[2:3], -v[8:9]
	s_waitcnt lgkmcnt(2)
	v_mul_f64 v[74:75], v[64:65], v[12:13]
	v_fmac_f64_e32 v[74:75], v[66:67], v[6:7]
	v_add_f64 v[76:77], v[72:73], v[74:75]
	ds_read_b128 v[72:75], v54 offset:816
	s_waitcnt lgkmcnt(2)
	v_mul_f64 v[78:79], v[68:69], v[18:19]
	v_mul_f64 v[8:9], v[62:63], v[10:11]
	v_fmac_f64_e32 v[78:79], v[70:71], v[20:21]
	v_add_f64 v[80:81], v[76:77], v[78:79]
	ds_read_b128 v[76:79], v54 offset:832
	s_waitcnt vmcnt(61) lgkmcnt(1)
	v_mul_f64 v[82:83], v[72:73], v[14:15]
	s_waitcnt vmcnt(60)
	v_fmac_f64_e32 v[82:83], v[74:75], v[16:17]
	v_add_f64 v[84:85], v[80:81], v[82:83]
	ds_read_b128 v[80:83], v54 offset:848
	s_waitcnt vmcnt(56) lgkmcnt(1)
	v_mul_f64 v[86:87], v[76:77], v[26:27]
	s_waitcnt vmcnt(54)
	;; [unrolled: 6-line block ×4, first 2 shown]
	v_fmac_f64_e32 v[94:95], v[86:87], v[36:37]
	v_add_f64 v[96:97], v[92:93], v[94:95]
	ds_read_b128 v[92:95], v54 offset:896
	v_add_f64 v[2:3], v[2:3], 0
	v_fma_f64 v[4:5], v[60:61], v[4:5], -v[8:9]
	s_waitcnt vmcnt(45) lgkmcnt(1)
	v_mul_f64 v[98:99], v[88:89], v[30:31]
	v_add_f64 v[2:3], v[2:3], v[4:5]
	v_mul_f64 v[4:5], v[66:67], v[12:13]
	s_waitcnt vmcnt(44)
	v_fmac_f64_e32 v[98:99], v[90:91], v[32:33]
	v_fma_f64 v[4:5], v[64:65], v[6:7], -v[4:5]
	v_add_f64 v[100:101], v[96:97], v[98:99]
	ds_read_b128 v[96:99], v54 offset:912
	s_waitcnt vmcnt(40) lgkmcnt(1)
	v_mul_f64 v[102:103], v[92:93], v[42:43]
	v_add_f64 v[2:3], v[2:3], v[4:5]
	v_mul_f64 v[4:5], v[70:71], v[18:19]
	s_waitcnt vmcnt(38)
	v_fmac_f64_e32 v[102:103], v[94:95], v[44:45]
	v_fma_f64 v[4:5], v[68:69], v[20:21], -v[4:5]
	v_add_f64 v[104:105], v[100:101], v[102:103]
	ds_read_b128 v[100:103], v54 offset:928
	v_add_f64 v[2:3], v[2:3], v[4:5]
	v_mul_f64 v[4:5], v[74:75], v[14:15]
	v_fma_f64 v[4:5], v[72:73], v[16:17], -v[4:5]
	v_add_f64 v[2:3], v[2:3], v[4:5]
	v_mul_f64 v[4:5], v[78:79], v[26:27]
	s_waitcnt vmcnt(37) lgkmcnt(1)
	v_mul_f64 v[106:107], v[96:97], v[38:39]
	v_fma_f64 v[4:5], v[76:77], v[28:29], -v[4:5]
	s_waitcnt vmcnt(36)
	v_fmac_f64_e32 v[106:107], v[98:99], v[40:41]
	v_add_f64 v[2:3], v[2:3], v[4:5]
	v_mul_f64 v[4:5], v[82:83], v[22:23]
	v_add_f64 v[108:109], v[104:105], v[106:107]
	ds_read_b128 v[104:107], v54 offset:944
	s_waitcnt vmcnt(32) lgkmcnt(1)
	v_mul_f64 v[110:111], v[100:101], v[50:51]
	v_fma_f64 v[4:5], v[80:81], v[24:25], -v[4:5]
	s_waitcnt vmcnt(30)
	v_fmac_f64_e32 v[110:111], v[102:103], v[52:53]
	v_add_f64 v[2:3], v[2:3], v[4:5]
	v_mul_f64 v[4:5], v[86:87], v[34:35]
	v_add_f64 v[112:113], v[108:109], v[110:111]
	ds_read_b128 v[108:111], v54 offset:960
	v_fma_f64 v[4:5], v[84:85], v[36:37], -v[4:5]
	v_add_f64 v[2:3], v[2:3], v[4:5]
	v_mul_f64 v[4:5], v[90:91], v[30:31]
	v_fma_f64 v[4:5], v[88:89], v[32:33], -v[4:5]
	s_waitcnt vmcnt(29) lgkmcnt(1)
	v_mul_f64 v[114:115], v[104:105], v[46:47]
	v_add_f64 v[2:3], v[2:3], v[4:5]
	v_mul_f64 v[4:5], v[94:95], v[42:43]
	s_waitcnt vmcnt(28)
	v_fmac_f64_e32 v[114:115], v[106:107], v[48:49]
	v_fma_f64 v[4:5], v[92:93], v[44:45], -v[4:5]
	v_add_f64 v[120:121], v[112:113], v[114:115]
	ds_read_b128 v[112:115], v54 offset:976
	s_waitcnt vmcnt(24) lgkmcnt(1)
	v_mul_f64 v[122:123], v[108:109], v[138:139]
	v_add_f64 v[2:3], v[2:3], v[4:5]
	v_mul_f64 v[4:5], v[98:99], v[38:39]
	s_waitcnt vmcnt(22)
	v_fmac_f64_e32 v[122:123], v[110:111], v[140:141]
	v_fma_f64 v[4:5], v[96:97], v[40:41], -v[4:5]
	v_add_f64 v[124:125], v[120:121], v[122:123]
	ds_read_b128 v[120:123], v54 offset:992
	v_add_f64 v[2:3], v[2:3], v[4:5]
	v_mul_f64 v[4:5], v[102:103], v[50:51]
	v_fma_f64 v[4:5], v[100:101], v[52:53], -v[4:5]
	v_add_f64 v[2:3], v[2:3], v[4:5]
	v_mul_f64 v[4:5], v[106:107], v[46:47]
	s_waitcnt vmcnt(21) lgkmcnt(1)
	v_mul_f64 v[126:127], v[112:113], v[116:117]
	v_fma_f64 v[4:5], v[104:105], v[48:49], -v[4:5]
	s_waitcnt vmcnt(20)
	v_fmac_f64_e32 v[126:127], v[114:115], v[136:137]
	v_add_f64 v[2:3], v[2:3], v[4:5]
	v_mul_f64 v[4:5], v[110:111], v[138:139]
	v_add_f64 v[128:129], v[124:125], v[126:127]
	ds_read_b128 v[124:127], v54 offset:1008
	s_waitcnt vmcnt(16) lgkmcnt(1)
	v_mul_f64 v[130:131], v[120:121], v[146:147]
	v_fma_f64 v[4:5], v[108:109], v[140:141], -v[4:5]
	s_waitcnt vmcnt(14)
	v_fmac_f64_e32 v[130:131], v[122:123], v[148:149]
	v_add_f64 v[2:3], v[2:3], v[4:5]
	v_mul_f64 v[4:5], v[114:115], v[116:117]
	v_add_f64 v[162:163], v[128:129], v[130:131]
	ds_read_b128 v[128:131], v54 offset:1024
	v_fma_f64 v[4:5], v[112:113], v[136:137], -v[4:5]
	v_add_f64 v[2:3], v[2:3], v[4:5]
	v_mul_f64 v[4:5], v[122:123], v[146:147]
	v_fma_f64 v[4:5], v[120:121], v[148:149], -v[4:5]
	v_add_f64 v[2:3], v[2:3], v[4:5]
	s_waitcnt vmcnt(13) lgkmcnt(1)
	v_mul_f64 v[4:5], v[126:127], v[142:143]
	v_mul_f64 v[164:165], v[124:125], v[142:143]
	s_waitcnt vmcnt(12)
	v_fma_f64 v[4:5], v[124:125], v[144:145], -v[4:5]
	v_fmac_f64_e32 v[164:165], v[126:127], v[144:145]
	v_add_f64 v[2:3], v[2:3], v[4:5]
	s_waitcnt vmcnt(8) lgkmcnt(0)
	v_mul_f64 v[4:5], v[130:131], v[154:155]
	v_add_f64 v[162:163], v[162:163], v[164:165]
	v_mul_f64 v[164:165], v[128:129], v[154:155]
	s_waitcnt vmcnt(6)
	v_fma_f64 v[4:5], v[128:129], v[156:157], -v[4:5]
	v_fmac_f64_e32 v[164:165], v[130:131], v[156:157]
	v_add_f64 v[2:3], v[2:3], v[4:5]
	s_waitcnt vmcnt(5)
	v_mul_f64 v[4:5], v[134:135], v[150:151]
	v_add_f64 v[162:163], v[162:163], v[164:165]
	v_mul_f64 v[164:165], v[132:133], v[150:151]
	s_waitcnt vmcnt(4)
	v_fma_f64 v[4:5], v[132:133], v[152:153], -v[4:5]
	v_fmac_f64_e32 v[164:165], v[134:135], v[152:153]
	v_add_f64 v[2:3], v[2:3], v[4:5]
	v_add_f64 v[162:163], v[162:163], v[164:165]
	s_waitcnt vmcnt(2)
	v_add_f64 v[2:3], v[158:159], -v[2:3]
	s_waitcnt vmcnt(0)
	v_add_f64 v[4:5], v[160:161], -v[162:163]
	buffer_store_dword v3, off, s[0:3], 0 offset:228
	buffer_store_dword v2, off, s[0:3], 0 offset:224
	;; [unrolled: 1-line block ×4, first 2 shown]
	s_and_saveexec_b64 s[4:5], vcc
	s_cbranch_execz .LBB32_187
; %bb.186:
	v_accvgpr_read_b32 v5, a80
	buffer_load_dword v2, v5, s[0:3], 0 offen
	buffer_load_dword v3, v5, s[0:3], 0 offen offset:4
	buffer_load_dword v4, v5, s[0:3], 0 offen offset:8
	s_nop 0
	buffer_load_dword v5, v5, s[0:3], 0 offen offset:12
	s_nop 0
	buffer_store_dword v54, off, s[0:3], 0 offset:208
	buffer_store_dword v54, off, s[0:3], 0 offset:212
	;; [unrolled: 1-line block ×4, first 2 shown]
	s_waitcnt vmcnt(4)
	ds_write_b128 v1, v[2:5]
.LBB32_187:
	s_or_b64 exec, exec, s[4:5]
	s_waitcnt lgkmcnt(0)
	; wave barrier
	s_waitcnt lgkmcnt(0)
	buffer_load_dword v2, off, s[0:3], 0 offset:224
	buffer_load_dword v3, off, s[0:3], 0 offset:228
	;; [unrolled: 1-line block ×76, first 2 shown]
	ds_read_b128 v[56:59], v54 offset:736
	buffer_load_dword v163, off, s[0:3], 0 offset:540
	buffer_load_dword v162, off, s[0:3], 0 offset:536
	;; [unrolled: 1-line block ×8, first 2 shown]
	ds_read_b128 v[60:63], v54 offset:752
	ds_read_b128 v[64:67], v54 offset:768
	;; [unrolled: 1-line block ×3, first 2 shown]
	v_cmp_lt_u32_e32 vcc, 11, v0
	ds_read_b128 v[136:139], v54 offset:1040
	s_waitcnt vmcnt(62) lgkmcnt(4)
	v_mul_f64 v[72:73], v[56:57], v[8:9]
	v_fmac_f64_e32 v[72:73], v[58:59], v[2:3]
	v_add_f64 v[72:73], v[72:73], 0
	v_mul_f64 v[8:9], v[58:59], v[8:9]
	s_waitcnt lgkmcnt(3)
	v_mul_f64 v[74:75], v[60:61], v[10:11]
	v_fmac_f64_e32 v[74:75], v[62:63], v[4:5]
	v_add_f64 v[72:73], v[72:73], v[74:75]
	v_fma_f64 v[2:3], v[56:57], v[2:3], -v[8:9]
	s_waitcnt lgkmcnt(2)
	v_mul_f64 v[74:75], v[64:65], v[12:13]
	v_fmac_f64_e32 v[74:75], v[66:67], v[6:7]
	v_add_f64 v[76:77], v[72:73], v[74:75]
	ds_read_b128 v[72:75], v54 offset:800
	v_mul_f64 v[8:9], v[62:63], v[10:11]
	v_add_f64 v[2:3], v[2:3], 0
	s_waitcnt lgkmcnt(2)
	v_mul_f64 v[78:79], v[68:69], v[18:19]
	v_fma_f64 v[4:5], v[60:61], v[4:5], -v[8:9]
	v_fmac_f64_e32 v[78:79], v[70:71], v[20:21]
	v_add_f64 v[80:81], v[76:77], v[78:79]
	ds_read_b128 v[76:79], v54 offset:816
	s_waitcnt lgkmcnt(1)
	v_mul_f64 v[82:83], v[72:73], v[14:15]
	v_fmac_f64_e32 v[82:83], v[74:75], v[16:17]
	v_add_f64 v[84:85], v[80:81], v[82:83]
	ds_read_b128 v[80:83], v54 offset:832
	s_waitcnt vmcnt(58) lgkmcnt(1)
	v_mul_f64 v[86:87], v[76:77], v[26:27]
	s_waitcnt vmcnt(56)
	v_fmac_f64_e32 v[86:87], v[78:79], v[28:29]
	v_add_f64 v[88:89], v[84:85], v[86:87]
	ds_read_b128 v[84:87], v54 offset:848
	s_waitcnt lgkmcnt(1)
	v_mul_f64 v[90:91], v[80:81], v[22:23]
	v_fmac_f64_e32 v[90:91], v[82:83], v[24:25]
	v_add_f64 v[92:93], v[88:89], v[90:91]
	ds_read_b128 v[88:91], v54 offset:864
	s_waitcnt vmcnt(50) lgkmcnt(1)
	v_mul_f64 v[94:95], v[84:85], v[34:35]
	s_waitcnt vmcnt(48)
	v_fmac_f64_e32 v[94:95], v[86:87], v[36:37]
	v_add_f64 v[96:97], v[92:93], v[94:95]
	ds_read_b128 v[92:95], v54 offset:880
	s_waitcnt lgkmcnt(1)
	v_mul_f64 v[98:99], v[88:89], v[30:31]
	v_fmac_f64_e32 v[98:99], v[90:91], v[32:33]
	v_add_f64 v[100:101], v[96:97], v[98:99]
	ds_read_b128 v[96:99], v54 offset:896
	v_add_f64 v[2:3], v[2:3], v[4:5]
	v_mul_f64 v[4:5], v[66:67], v[12:13]
	v_fma_f64 v[4:5], v[64:65], v[6:7], -v[4:5]
	s_waitcnt vmcnt(42) lgkmcnt(1)
	v_mul_f64 v[102:103], v[92:93], v[42:43]
	v_add_f64 v[2:3], v[2:3], v[4:5]
	v_mul_f64 v[4:5], v[70:71], v[18:19]
	s_waitcnt vmcnt(40)
	v_fmac_f64_e32 v[102:103], v[94:95], v[44:45]
	v_fma_f64 v[4:5], v[68:69], v[20:21], -v[4:5]
	v_add_f64 v[104:105], v[100:101], v[102:103]
	ds_read_b128 v[100:103], v54 offset:912
	s_waitcnt lgkmcnt(1)
	v_mul_f64 v[106:107], v[96:97], v[38:39]
	v_add_f64 v[2:3], v[2:3], v[4:5]
	v_mul_f64 v[4:5], v[74:75], v[14:15]
	v_fmac_f64_e32 v[106:107], v[98:99], v[40:41]
	v_fma_f64 v[4:5], v[72:73], v[16:17], -v[4:5]
	v_add_f64 v[108:109], v[104:105], v[106:107]
	ds_read_b128 v[104:107], v54 offset:928
	v_add_f64 v[2:3], v[2:3], v[4:5]
	v_mul_f64 v[4:5], v[78:79], v[26:27]
	v_fma_f64 v[4:5], v[76:77], v[28:29], -v[4:5]
	v_add_f64 v[2:3], v[2:3], v[4:5]
	v_mul_f64 v[4:5], v[82:83], v[22:23]
	s_waitcnt vmcnt(34) lgkmcnt(1)
	v_mul_f64 v[110:111], v[100:101], v[50:51]
	v_fma_f64 v[4:5], v[80:81], v[24:25], -v[4:5]
	s_waitcnt vmcnt(32)
	v_fmac_f64_e32 v[110:111], v[102:103], v[52:53]
	v_add_f64 v[2:3], v[2:3], v[4:5]
	v_mul_f64 v[4:5], v[86:87], v[34:35]
	v_add_f64 v[112:113], v[108:109], v[110:111]
	ds_read_b128 v[108:111], v54 offset:944
	s_waitcnt lgkmcnt(1)
	v_mul_f64 v[114:115], v[104:105], v[46:47]
	v_fma_f64 v[4:5], v[84:85], v[36:37], -v[4:5]
	v_fmac_f64_e32 v[114:115], v[106:107], v[48:49]
	v_add_f64 v[2:3], v[2:3], v[4:5]
	v_mul_f64 v[4:5], v[90:91], v[30:31]
	v_add_f64 v[120:121], v[112:113], v[114:115]
	ds_read_b128 v[112:115], v54 offset:960
	v_fma_f64 v[4:5], v[88:89], v[32:33], -v[4:5]
	v_add_f64 v[2:3], v[2:3], v[4:5]
	v_mul_f64 v[4:5], v[94:95], v[42:43]
	v_fma_f64 v[4:5], v[92:93], v[44:45], -v[4:5]
	s_waitcnt vmcnt(26) lgkmcnt(1)
	v_mul_f64 v[122:123], v[108:109], v[142:143]
	v_add_f64 v[2:3], v[2:3], v[4:5]
	v_mul_f64 v[4:5], v[98:99], v[38:39]
	s_waitcnt vmcnt(24)
	v_fmac_f64_e32 v[122:123], v[110:111], v[144:145]
	v_fma_f64 v[4:5], v[96:97], v[40:41], -v[4:5]
	v_add_f64 v[124:125], v[120:121], v[122:123]
	ds_read_b128 v[120:123], v54 offset:976
	s_waitcnt lgkmcnt(1)
	v_mul_f64 v[126:127], v[112:113], v[116:117]
	v_add_f64 v[2:3], v[2:3], v[4:5]
	v_mul_f64 v[4:5], v[102:103], v[50:51]
	v_fmac_f64_e32 v[126:127], v[114:115], v[140:141]
	v_fma_f64 v[4:5], v[100:101], v[52:53], -v[4:5]
	v_add_f64 v[128:129], v[124:125], v[126:127]
	ds_read_b128 v[124:127], v54 offset:992
	v_add_f64 v[2:3], v[2:3], v[4:5]
	v_mul_f64 v[4:5], v[106:107], v[46:47]
	v_fma_f64 v[4:5], v[104:105], v[48:49], -v[4:5]
	v_add_f64 v[2:3], v[2:3], v[4:5]
	v_mul_f64 v[4:5], v[110:111], v[142:143]
	s_waitcnt vmcnt(18) lgkmcnt(1)
	v_mul_f64 v[130:131], v[120:121], v[150:151]
	v_fma_f64 v[4:5], v[108:109], v[144:145], -v[4:5]
	s_waitcnt vmcnt(16)
	v_fmac_f64_e32 v[130:131], v[122:123], v[152:153]
	v_add_f64 v[2:3], v[2:3], v[4:5]
	v_mul_f64 v[4:5], v[114:115], v[116:117]
	v_add_f64 v[132:133], v[128:129], v[130:131]
	ds_read_b128 v[128:131], v54 offset:1008
	s_waitcnt lgkmcnt(1)
	v_mul_f64 v[134:135], v[124:125], v[146:147]
	v_fma_f64 v[4:5], v[112:113], v[140:141], -v[4:5]
	v_fmac_f64_e32 v[134:135], v[126:127], v[148:149]
	v_add_f64 v[2:3], v[2:3], v[4:5]
	v_mul_f64 v[4:5], v[122:123], v[150:151]
	v_add_f64 v[170:171], v[132:133], v[134:135]
	ds_read_b128 v[132:135], v54 offset:1024
	v_fma_f64 v[4:5], v[120:121], v[152:153], -v[4:5]
	v_add_f64 v[2:3], v[2:3], v[4:5]
	v_mul_f64 v[4:5], v[126:127], v[146:147]
	v_fma_f64 v[4:5], v[124:125], v[148:149], -v[4:5]
	v_add_f64 v[2:3], v[2:3], v[4:5]
	s_waitcnt vmcnt(10) lgkmcnt(1)
	v_mul_f64 v[4:5], v[130:131], v[158:159]
	v_mul_f64 v[172:173], v[128:129], v[158:159]
	s_waitcnt vmcnt(8)
	v_fma_f64 v[4:5], v[128:129], v[160:161], -v[4:5]
	v_fmac_f64_e32 v[172:173], v[130:131], v[160:161]
	v_add_f64 v[2:3], v[2:3], v[4:5]
	s_waitcnt lgkmcnt(0)
	v_mul_f64 v[4:5], v[134:135], v[154:155]
	v_add_f64 v[54:55], v[170:171], v[172:173]
	v_mul_f64 v[170:171], v[132:133], v[154:155]
	v_fma_f64 v[4:5], v[132:133], v[156:157], -v[4:5]
	v_fmac_f64_e32 v[170:171], v[134:135], v[156:157]
	v_add_f64 v[2:3], v[2:3], v[4:5]
	s_waitcnt vmcnt(6)
	v_mul_f64 v[4:5], v[138:139], v[162:163]
	v_add_f64 v[54:55], v[54:55], v[170:171]
	v_mul_f64 v[170:171], v[136:137], v[162:163]
	s_waitcnt vmcnt(4)
	v_fma_f64 v[4:5], v[136:137], v[164:165], -v[4:5]
	v_fmac_f64_e32 v[170:171], v[138:139], v[164:165]
	v_add_f64 v[2:3], v[2:3], v[4:5]
	v_add_f64 v[54:55], v[54:55], v[170:171]
	s_waitcnt vmcnt(2)
	v_add_f64 v[2:3], v[166:167], -v[2:3]
	s_waitcnt vmcnt(0)
	v_add_f64 v[4:5], v[168:169], -v[54:55]
	buffer_store_dword v3, off, s[0:3], 0 offset:212
	buffer_store_dword v2, off, s[0:3], 0 offset:208
	;; [unrolled: 1-line block ×4, first 2 shown]
	s_and_saveexec_b64 s[4:5], vcc
	s_cbranch_execz .LBB32_189
; %bb.188:
	v_accvgpr_read_b32 v5, a81
	buffer_load_dword v2, v5, s[0:3], 0 offen
	buffer_load_dword v3, v5, s[0:3], 0 offen offset:4
	buffer_load_dword v4, v5, s[0:3], 0 offen offset:8
	s_nop 0
	buffer_load_dword v5, v5, s[0:3], 0 offen offset:12
	v_mov_b32_e32 v6, 0
	buffer_store_dword v6, off, s[0:3], 0 offset:192
	buffer_store_dword v6, off, s[0:3], 0 offset:196
	;; [unrolled: 1-line block ×4, first 2 shown]
	s_waitcnt vmcnt(4)
	ds_write_b128 v1, v[2:5]
.LBB32_189:
	s_or_b64 exec, exec, s[4:5]
	s_waitcnt lgkmcnt(0)
	; wave barrier
	s_waitcnt lgkmcnt(0)
	buffer_load_dword v4, off, s[0:3], 0 offset:192
	buffer_load_dword v5, off, s[0:3], 0 offset:196
	;; [unrolled: 1-line block ×84, first 2 shown]
	v_mov_b32_e32 v86, 0
	ds_read_b128 v[66:69], v86 offset:720
	buffer_load_dword v175, off, s[0:3], 0 offset:540
	buffer_load_dword v174, off, s[0:3], 0 offset:536
	;; [unrolled: 1-line block ×4, first 2 shown]
	ds_read_b128 v[70:73], v86 offset:736
	ds_read_b128 v[74:77], v86 offset:752
	;; [unrolled: 1-line block ×4, first 2 shown]
	v_cmp_lt_u32_e32 vcc, 10, v0
	s_waitcnt vmcnt(62) lgkmcnt(4)
	v_mul_f64 v[82:83], v[66:67], v[12:13]
	v_fmac_f64_e32 v[82:83], v[68:69], v[6:7]
	s_waitcnt lgkmcnt(3)
	v_mul_f64 v[84:85], v[70:71], v[14:15]
	v_add_f64 v[82:83], v[82:83], 0
	v_fmac_f64_e32 v[84:85], v[72:73], v[8:9]
	v_add_f64 v[82:83], v[82:83], v[84:85]
	s_waitcnt lgkmcnt(2)
	v_mul_f64 v[84:85], v[74:75], v[16:17]
	v_fmac_f64_e32 v[84:85], v[76:77], v[10:11]
	v_add_f64 v[88:89], v[82:83], v[84:85]
	ds_read_b128 v[82:85], v86 offset:784
	v_mul_f64 v[12:13], v[68:69], v[12:13]
	s_waitcnt lgkmcnt(2)
	v_mul_f64 v[90:91], v[78:79], v[22:23]
	v_fma_f64 v[6:7], v[66:67], v[6:7], -v[12:13]
	v_fmac_f64_e32 v[90:91], v[80:81], v[24:25]
	v_add_f64 v[92:93], v[88:89], v[90:91]
	ds_read_b128 v[88:91], v86 offset:800
	s_waitcnt lgkmcnt(1)
	v_mul_f64 v[94:95], v[82:83], v[18:19]
	v_fmac_f64_e32 v[94:95], v[84:85], v[20:21]
	v_add_f64 v[96:97], v[92:93], v[94:95]
	ds_read_b128 v[92:95], v86 offset:816
	s_waitcnt vmcnt(58) lgkmcnt(1)
	v_mul_f64 v[98:99], v[88:89], v[30:31]
	s_waitcnt vmcnt(56)
	v_fmac_f64_e32 v[98:99], v[90:91], v[32:33]
	v_add_f64 v[100:101], v[96:97], v[98:99]
	ds_read_b128 v[96:99], v86 offset:832
	s_waitcnt lgkmcnt(1)
	v_mul_f64 v[102:103], v[92:93], v[26:27]
	v_fmac_f64_e32 v[102:103], v[94:95], v[28:29]
	v_add_f64 v[104:105], v[100:101], v[102:103]
	ds_read_b128 v[100:103], v86 offset:848
	s_waitcnt vmcnt(50) lgkmcnt(1)
	v_mul_f64 v[106:107], v[96:97], v[38:39]
	s_waitcnt vmcnt(48)
	v_fmac_f64_e32 v[106:107], v[98:99], v[40:41]
	v_add_f64 v[108:109], v[104:105], v[106:107]
	ds_read_b128 v[104:107], v86 offset:864
	s_waitcnt lgkmcnt(1)
	v_mul_f64 v[110:111], v[100:101], v[34:35]
	v_fmac_f64_e32 v[110:111], v[102:103], v[36:37]
	v_mul_f64 v[12:13], v[72:73], v[14:15]
	v_add_f64 v[112:113], v[108:109], v[110:111]
	ds_read_b128 v[108:111], v86 offset:880
	s_waitcnt vmcnt(42) lgkmcnt(1)
	v_mul_f64 v[114:115], v[104:105], v[46:47]
	v_add_f64 v[6:7], v[6:7], 0
	v_fma_f64 v[8:9], v[70:71], v[8:9], -v[12:13]
	s_waitcnt vmcnt(40)
	v_fmac_f64_e32 v[114:115], v[106:107], v[48:49]
	v_add_f64 v[6:7], v[6:7], v[8:9]
	v_mul_f64 v[8:9], v[76:77], v[16:17]
	v_add_f64 v[120:121], v[112:113], v[114:115]
	ds_read_b128 v[112:115], v86 offset:896
	v_fma_f64 v[8:9], v[74:75], v[10:11], -v[8:9]
	v_add_f64 v[6:7], v[6:7], v[8:9]
	v_mul_f64 v[8:9], v[80:81], v[22:23]
	v_fma_f64 v[8:9], v[78:79], v[24:25], -v[8:9]
	s_waitcnt lgkmcnt(1)
	v_mul_f64 v[122:123], v[108:109], v[42:43]
	v_add_f64 v[6:7], v[6:7], v[8:9]
	v_mul_f64 v[8:9], v[84:85], v[18:19]
	v_fmac_f64_e32 v[122:123], v[110:111], v[44:45]
	v_fma_f64 v[8:9], v[82:83], v[20:21], -v[8:9]
	v_add_f64 v[124:125], v[120:121], v[122:123]
	ds_read_b128 v[120:123], v86 offset:912
	s_waitcnt vmcnt(34) lgkmcnt(1)
	v_mul_f64 v[126:127], v[112:113], v[54:55]
	v_add_f64 v[6:7], v[6:7], v[8:9]
	v_mul_f64 v[8:9], v[90:91], v[30:31]
	s_waitcnt vmcnt(32)
	v_fmac_f64_e32 v[126:127], v[114:115], v[56:57]
	v_fma_f64 v[8:9], v[88:89], v[32:33], -v[8:9]
	v_add_f64 v[128:129], v[124:125], v[126:127]
	ds_read_b128 v[124:127], v86 offset:928
	v_add_f64 v[6:7], v[6:7], v[8:9]
	v_mul_f64 v[8:9], v[94:95], v[26:27]
	v_fma_f64 v[8:9], v[92:93], v[28:29], -v[8:9]
	v_add_f64 v[6:7], v[6:7], v[8:9]
	v_mul_f64 v[8:9], v[98:99], v[38:39]
	s_waitcnt lgkmcnt(1)
	v_mul_f64 v[130:131], v[120:121], v[50:51]
	v_fma_f64 v[8:9], v[96:97], v[40:41], -v[8:9]
	v_fmac_f64_e32 v[130:131], v[122:123], v[52:53]
	v_add_f64 v[6:7], v[6:7], v[8:9]
	v_mul_f64 v[8:9], v[102:103], v[34:35]
	v_add_f64 v[132:133], v[128:129], v[130:131]
	ds_read_b128 v[128:131], v86 offset:944
	s_waitcnt vmcnt(26) lgkmcnt(1)
	v_mul_f64 v[134:135], v[124:125], v[62:63]
	v_fma_f64 v[8:9], v[100:101], v[36:37], -v[8:9]
	s_waitcnt vmcnt(24)
	v_fmac_f64_e32 v[134:135], v[126:127], v[64:65]
	v_add_f64 v[6:7], v[6:7], v[8:9]
	v_mul_f64 v[8:9], v[106:107], v[46:47]
	v_add_f64 v[136:137], v[132:133], v[134:135]
	ds_read_b128 v[132:135], v86 offset:960
	v_fma_f64 v[8:9], v[104:105], v[48:49], -v[8:9]
	v_add_f64 v[6:7], v[6:7], v[8:9]
	v_mul_f64 v[8:9], v[110:111], v[42:43]
	v_fma_f64 v[8:9], v[108:109], v[44:45], -v[8:9]
	s_waitcnt lgkmcnt(1)
	v_mul_f64 v[138:139], v[128:129], v[58:59]
	v_add_f64 v[6:7], v[6:7], v[8:9]
	v_mul_f64 v[8:9], v[114:115], v[54:55]
	v_fmac_f64_e32 v[138:139], v[130:131], v[60:61]
	v_fma_f64 v[8:9], v[112:113], v[56:57], -v[8:9]
	v_add_f64 v[140:141], v[136:137], v[138:139]
	ds_read_b128 v[136:139], v86 offset:976
	s_waitcnt vmcnt(18) lgkmcnt(1)
	v_mul_f64 v[142:143], v[132:133], v[158:159]
	v_add_f64 v[6:7], v[6:7], v[8:9]
	v_mul_f64 v[8:9], v[122:123], v[50:51]
	s_waitcnt vmcnt(16)
	v_fmac_f64_e32 v[142:143], v[134:135], v[160:161]
	v_fma_f64 v[8:9], v[120:121], v[52:53], -v[8:9]
	v_add_f64 v[144:145], v[140:141], v[142:143]
	ds_read_b128 v[140:143], v86 offset:992
	v_add_f64 v[6:7], v[6:7], v[8:9]
	v_mul_f64 v[8:9], v[126:127], v[62:63]
	v_fma_f64 v[8:9], v[124:125], v[64:65], -v[8:9]
	v_add_f64 v[6:7], v[6:7], v[8:9]
	v_mul_f64 v[8:9], v[130:131], v[58:59]
	s_waitcnt lgkmcnt(1)
	v_mul_f64 v[146:147], v[136:137], v[116:117]
	v_fma_f64 v[8:9], v[128:129], v[60:61], -v[8:9]
	v_fmac_f64_e32 v[146:147], v[138:139], v[156:157]
	v_add_f64 v[6:7], v[6:7], v[8:9]
	v_mul_f64 v[8:9], v[134:135], v[158:159]
	v_add_f64 v[148:149], v[144:145], v[146:147]
	ds_read_b128 v[144:147], v86 offset:1008
	s_waitcnt vmcnt(10) lgkmcnt(1)
	v_mul_f64 v[150:151], v[140:141], v[166:167]
	v_fma_f64 v[8:9], v[132:133], v[160:161], -v[8:9]
	s_waitcnt vmcnt(8)
	v_fmac_f64_e32 v[150:151], v[142:143], v[168:169]
	v_add_f64 v[6:7], v[6:7], v[8:9]
	v_mul_f64 v[8:9], v[138:139], v[116:117]
	v_add_f64 v[178:179], v[148:149], v[150:151]
	ds_read_b128 v[148:151], v86 offset:1024
	v_fma_f64 v[8:9], v[136:137], v[156:157], -v[8:9]
	v_add_f64 v[6:7], v[6:7], v[8:9]
	v_mul_f64 v[8:9], v[142:143], v[166:167]
	v_fma_f64 v[8:9], v[140:141], v[168:169], -v[8:9]
	v_add_f64 v[6:7], v[6:7], v[8:9]
	s_waitcnt lgkmcnt(1)
	v_mul_f64 v[8:9], v[146:147], v[162:163]
	v_mul_f64 v[184:185], v[144:145], v[162:163]
	v_fma_f64 v[8:9], v[144:145], v[164:165], -v[8:9]
	v_fmac_f64_e32 v[184:185], v[146:147], v[164:165]
	v_add_f64 v[6:7], v[6:7], v[8:9]
	s_waitcnt vmcnt(6) lgkmcnt(0)
	v_mul_f64 v[8:9], v[150:151], v[170:171]
	v_add_f64 v[178:179], v[178:179], v[184:185]
	v_mul_f64 v[184:185], v[148:149], v[170:171]
	s_waitcnt vmcnt(4)
	v_fma_f64 v[8:9], v[148:149], v[172:173], -v[8:9]
	v_fmac_f64_e32 v[184:185], v[150:151], v[172:173]
	v_add_f64 v[6:7], v[6:7], v[8:9]
	s_waitcnt vmcnt(2)
	v_mul_f64 v[8:9], v[154:155], v[174:175]
	v_add_f64 v[178:179], v[178:179], v[184:185]
	v_mul_f64 v[184:185], v[152:153], v[174:175]
	s_waitcnt vmcnt(0)
	v_fma_f64 v[8:9], v[152:153], v[176:177], -v[8:9]
	v_fmac_f64_e32 v[184:185], v[154:155], v[176:177]
	v_add_f64 v[6:7], v[6:7], v[8:9]
	v_add_f64 v[178:179], v[178:179], v[184:185]
	v_add_f64 v[4:5], v[4:5], -v[6:7]
	v_add_f64 v[2:3], v[2:3], -v[178:179]
	buffer_store_dword v5, off, s[0:3], 0 offset:196
	buffer_store_dword v4, off, s[0:3], 0 offset:192
	;; [unrolled: 1-line block ×4, first 2 shown]
	s_and_saveexec_b64 s[4:5], vcc
	s_cbranch_execz .LBB32_191
; %bb.190:
	v_accvgpr_read_b32 v5, a82
	buffer_load_dword v2, v5, s[0:3], 0 offen
	buffer_load_dword v3, v5, s[0:3], 0 offen offset:4
	buffer_load_dword v4, v5, s[0:3], 0 offen offset:8
	s_nop 0
	buffer_load_dword v5, v5, s[0:3], 0 offen offset:12
	s_nop 0
	buffer_store_dword v86, off, s[0:3], 0 offset:176
	buffer_store_dword v86, off, s[0:3], 0 offset:180
	buffer_store_dword v86, off, s[0:3], 0 offset:184
	buffer_store_dword v86, off, s[0:3], 0 offset:188
	s_waitcnt vmcnt(4)
	ds_write_b128 v1, v[2:5]
.LBB32_191:
	s_or_b64 exec, exec, s[4:5]
	s_waitcnt lgkmcnt(0)
	; wave barrier
	s_waitcnt lgkmcnt(0)
	ds_read_b128 v[14:17], v86 offset:704
	ds_read_b128 v[10:13], v86 offset:720
	;; [unrolled: 1-line block ×4, first 2 shown]
	buffer_load_dword v20, off, s[0:3], 0 offset:176
	buffer_load_dword v21, off, s[0:3], 0 offset:180
	;; [unrolled: 1-line block ×92, first 2 shown]
	s_waitcnt vmcnt(62) lgkmcnt(3)
	v_mul_f64 v[88:89], v[14:15], v[28:29]
	v_fmac_f64_e32 v[88:89], v[16:17], v[22:23]
	s_waitcnt lgkmcnt(2)
	v_mul_f64 v[90:91], v[10:11], v[30:31]
	v_add_f64 v[88:89], v[88:89], 0
	v_fmac_f64_e32 v[90:91], v[12:13], v[24:25]
	v_add_f64 v[88:89], v[88:89], v[90:91]
	s_waitcnt lgkmcnt(1)
	v_mul_f64 v[90:91], v[6:7], v[32:33]
	v_fmac_f64_e32 v[90:91], v[8:9], v[26:27]
	v_add_f64 v[92:93], v[88:89], v[90:91]
	ds_read_b128 v[88:91], v86 offset:768
	v_mul_f64 v[16:17], v[16:17], v[28:29]
	v_fma_f64 v[14:15], v[14:15], v[22:23], -v[16:17]
	s_waitcnt lgkmcnt(1)
	v_mul_f64 v[94:95], v[2:3], v[38:39]
	v_mul_f64 v[12:13], v[12:13], v[30:31]
	v_fmac_f64_e32 v[94:95], v[4:5], v[40:41]
	v_add_f64 v[96:97], v[92:93], v[94:95]
	ds_read_b128 v[92:95], v86 offset:784
	s_waitcnt lgkmcnt(1)
	v_mul_f64 v[98:99], v[88:89], v[34:35]
	v_fmac_f64_e32 v[98:99], v[90:91], v[36:37]
	v_add_f64 v[100:101], v[96:97], v[98:99]
	ds_read_b128 v[96:99], v86 offset:800
	s_waitcnt lgkmcnt(1)
	v_mul_f64 v[102:103], v[92:93], v[46:47]
	s_waitcnt vmcnt(60)
	v_fmac_f64_e32 v[102:103], v[94:95], v[48:49]
	v_add_f64 v[104:105], v[100:101], v[102:103]
	ds_read_b128 v[100:103], v86 offset:816
	s_waitcnt lgkmcnt(1)
	v_mul_f64 v[106:107], v[96:97], v[42:43]
	v_fmac_f64_e32 v[106:107], v[98:99], v[44:45]
	v_add_f64 v[108:109], v[104:105], v[106:107]
	ds_read_b128 v[104:107], v86 offset:832
	s_waitcnt vmcnt(54) lgkmcnt(1)
	v_mul_f64 v[110:111], v[100:101], v[54:55]
	s_waitcnt vmcnt(52)
	v_fmac_f64_e32 v[110:111], v[102:103], v[56:57]
	v_add_f64 v[112:113], v[108:109], v[110:111]
	ds_read_b128 v[108:111], v86 offset:848
	s_waitcnt lgkmcnt(1)
	v_mul_f64 v[114:115], v[104:105], v[50:51]
	v_fmac_f64_e32 v[114:115], v[106:107], v[52:53]
	v_add_f64 v[120:121], v[112:113], v[114:115]
	ds_read_b128 v[112:115], v86 offset:864
	s_waitcnt vmcnt(46) lgkmcnt(1)
	v_mul_f64 v[122:123], v[108:109], v[62:63]
	s_waitcnt vmcnt(44)
	v_fmac_f64_e32 v[122:123], v[110:111], v[64:65]
	v_add_f64 v[124:125], v[120:121], v[122:123]
	ds_read_b128 v[120:123], v86 offset:880
	s_waitcnt lgkmcnt(1)
	v_mul_f64 v[126:127], v[112:113], v[58:59]
	v_fmac_f64_e32 v[126:127], v[114:115], v[60:61]
	v_add_f64 v[14:15], v[14:15], 0
	v_fma_f64 v[10:11], v[10:11], v[24:25], -v[12:13]
	v_mul_f64 v[8:9], v[8:9], v[32:33]
	v_add_f64 v[128:129], v[124:125], v[126:127]
	ds_read_b128 v[124:127], v86 offset:896
	v_add_f64 v[10:11], v[14:15], v[10:11]
	v_fma_f64 v[6:7], v[6:7], v[26:27], -v[8:9]
	v_mul_f64 v[4:5], v[4:5], v[38:39]
	v_add_f64 v[6:7], v[10:11], v[6:7]
	v_fma_f64 v[2:3], v[2:3], v[40:41], -v[4:5]
	v_mul_f64 v[4:5], v[90:91], v[34:35]
	v_add_f64 v[2:3], v[6:7], v[2:3]
	v_fma_f64 v[4:5], v[88:89], v[36:37], -v[4:5]
	s_waitcnt vmcnt(38) lgkmcnt(1)
	v_mul_f64 v[130:131], v[120:121], v[70:71]
	v_add_f64 v[2:3], v[2:3], v[4:5]
	v_mul_f64 v[4:5], v[94:95], v[46:47]
	s_waitcnt vmcnt(36)
	v_fmac_f64_e32 v[130:131], v[122:123], v[72:73]
	v_fma_f64 v[4:5], v[92:93], v[48:49], -v[4:5]
	v_add_f64 v[132:133], v[128:129], v[130:131]
	ds_read_b128 v[128:131], v86 offset:912
	s_waitcnt lgkmcnt(1)
	v_mul_f64 v[134:135], v[124:125], v[66:67]
	v_add_f64 v[2:3], v[2:3], v[4:5]
	v_mul_f64 v[4:5], v[98:99], v[42:43]
	v_fmac_f64_e32 v[134:135], v[126:127], v[68:69]
	v_fma_f64 v[4:5], v[96:97], v[44:45], -v[4:5]
	v_add_f64 v[136:137], v[132:133], v[134:135]
	ds_read_b128 v[132:135], v86 offset:928
	v_add_f64 v[2:3], v[2:3], v[4:5]
	v_mul_f64 v[4:5], v[102:103], v[54:55]
	v_fma_f64 v[4:5], v[100:101], v[56:57], -v[4:5]
	v_add_f64 v[2:3], v[2:3], v[4:5]
	v_mul_f64 v[4:5], v[106:107], v[50:51]
	s_waitcnt vmcnt(30) lgkmcnt(1)
	v_mul_f64 v[138:139], v[128:129], v[78:79]
	v_fma_f64 v[4:5], v[104:105], v[52:53], -v[4:5]
	s_waitcnt vmcnt(28)
	v_fmac_f64_e32 v[138:139], v[130:131], v[80:81]
	v_add_f64 v[2:3], v[2:3], v[4:5]
	v_mul_f64 v[4:5], v[110:111], v[62:63]
	v_add_f64 v[140:141], v[136:137], v[138:139]
	ds_read_b128 v[136:139], v86 offset:944
	s_waitcnt lgkmcnt(1)
	v_mul_f64 v[142:143], v[132:133], v[74:75]
	v_fma_f64 v[4:5], v[108:109], v[64:65], -v[4:5]
	v_fmac_f64_e32 v[142:143], v[134:135], v[76:77]
	v_add_f64 v[2:3], v[2:3], v[4:5]
	v_mul_f64 v[4:5], v[114:115], v[58:59]
	v_add_f64 v[144:145], v[140:141], v[142:143]
	ds_read_b128 v[140:143], v86 offset:960
	v_fma_f64 v[4:5], v[112:113], v[60:61], -v[4:5]
	v_add_f64 v[2:3], v[2:3], v[4:5]
	v_mul_f64 v[4:5], v[122:123], v[70:71]
	v_fma_f64 v[4:5], v[120:121], v[72:73], -v[4:5]
	s_waitcnt vmcnt(22) lgkmcnt(1)
	v_mul_f64 v[146:147], v[136:137], v[116:117]
	v_add_f64 v[2:3], v[2:3], v[4:5]
	v_mul_f64 v[4:5], v[126:127], v[66:67]
	s_waitcnt vmcnt(20)
	v_fmac_f64_e32 v[146:147], v[138:139], v[164:165]
	v_fma_f64 v[4:5], v[124:125], v[68:69], -v[4:5]
	v_add_f64 v[148:149], v[144:145], v[146:147]
	ds_read_b128 v[144:147], v86 offset:976
	s_waitcnt lgkmcnt(1)
	v_mul_f64 v[150:151], v[140:141], v[82:83]
	v_add_f64 v[2:3], v[2:3], v[4:5]
	v_mul_f64 v[4:5], v[130:131], v[78:79]
	v_fmac_f64_e32 v[150:151], v[142:143], v[84:85]
	v_fma_f64 v[4:5], v[128:129], v[80:81], -v[4:5]
	v_add_f64 v[152:153], v[148:149], v[150:151]
	ds_read_b128 v[148:151], v86 offset:992
	v_add_f64 v[2:3], v[2:3], v[4:5]
	v_mul_f64 v[4:5], v[134:135], v[74:75]
	v_fma_f64 v[4:5], v[132:133], v[76:77], -v[4:5]
	v_add_f64 v[2:3], v[2:3], v[4:5]
	v_mul_f64 v[4:5], v[138:139], v[116:117]
	s_waitcnt vmcnt(14) lgkmcnt(1)
	v_mul_f64 v[154:155], v[144:145], v[170:171]
	v_fma_f64 v[4:5], v[136:137], v[164:165], -v[4:5]
	s_waitcnt vmcnt(12)
	v_fmac_f64_e32 v[154:155], v[146:147], v[172:173]
	v_add_f64 v[2:3], v[2:3], v[4:5]
	v_mul_f64 v[4:5], v[142:143], v[82:83]
	v_add_f64 v[156:157], v[152:153], v[154:155]
	ds_read_b128 v[152:155], v86 offset:1008
	s_waitcnt lgkmcnt(1)
	v_mul_f64 v[158:159], v[148:149], v[166:167]
	v_fma_f64 v[4:5], v[140:141], v[84:85], -v[4:5]
	v_fmac_f64_e32 v[158:159], v[150:151], v[168:169]
	v_add_f64 v[2:3], v[2:3], v[4:5]
	v_mul_f64 v[4:5], v[146:147], v[170:171]
	v_add_f64 v[190:191], v[156:157], v[158:159]
	ds_read_b128 v[156:159], v86 offset:1024
	ds_read_b128 v[160:163], v86 offset:1040
	v_fma_f64 v[4:5], v[144:145], v[172:173], -v[4:5]
	v_add_f64 v[2:3], v[2:3], v[4:5]
	v_mul_f64 v[4:5], v[150:151], v[166:167]
	v_fma_f64 v[4:5], v[148:149], v[168:169], -v[4:5]
	v_add_f64 v[2:3], v[2:3], v[4:5]
	s_waitcnt vmcnt(6) lgkmcnt(2)
	v_mul_f64 v[4:5], v[154:155], v[178:179]
	v_mul_f64 v[192:193], v[152:153], v[178:179]
	s_waitcnt vmcnt(4)
	v_fma_f64 v[4:5], v[152:153], v[184:185], -v[4:5]
	v_fmac_f64_e32 v[192:193], v[154:155], v[184:185]
	v_add_f64 v[2:3], v[2:3], v[4:5]
	s_waitcnt lgkmcnt(1)
	v_mul_f64 v[4:5], v[158:159], v[174:175]
	v_add_f64 v[86:87], v[190:191], v[192:193]
	v_mul_f64 v[190:191], v[156:157], v[174:175]
	v_fma_f64 v[4:5], v[156:157], v[176:177], -v[4:5]
	v_fmac_f64_e32 v[190:191], v[158:159], v[176:177]
	v_add_f64 v[2:3], v[2:3], v[4:5]
	s_waitcnt vmcnt(2) lgkmcnt(0)
	v_mul_f64 v[4:5], v[162:163], v[186:187]
	v_add_f64 v[86:87], v[86:87], v[190:191]
	v_mul_f64 v[190:191], v[160:161], v[186:187]
	s_waitcnt vmcnt(0)
	v_fma_f64 v[4:5], v[160:161], v[188:189], -v[4:5]
	v_fmac_f64_e32 v[190:191], v[162:163], v[188:189]
	v_add_f64 v[2:3], v[2:3], v[4:5]
	v_add_f64 v[86:87], v[86:87], v[190:191]
	v_add_f64 v[2:3], v[20:21], -v[2:3]
	v_cmp_lt_u32_e32 vcc, 9, v0
	v_add_f64 v[4:5], v[18:19], -v[86:87]
	buffer_store_dword v3, off, s[0:3], 0 offset:180
	buffer_store_dword v2, off, s[0:3], 0 offset:176
	;; [unrolled: 1-line block ×4, first 2 shown]
	s_and_saveexec_b64 s[4:5], vcc
	s_cbranch_execz .LBB32_193
; %bb.192:
	v_accvgpr_read_b32 v5, a83
	buffer_load_dword v2, v5, s[0:3], 0 offen
	buffer_load_dword v3, v5, s[0:3], 0 offen offset:4
	buffer_load_dword v4, v5, s[0:3], 0 offen offset:8
	s_nop 0
	buffer_load_dword v5, v5, s[0:3], 0 offen offset:12
	v_mov_b32_e32 v6, 0
	buffer_store_dword v6, off, s[0:3], 0 offset:160
	buffer_store_dword v6, off, s[0:3], 0 offset:164
	;; [unrolled: 1-line block ×4, first 2 shown]
	s_waitcnt vmcnt(4)
	ds_write_b128 v1, v[2:5]
.LBB32_193:
	s_or_b64 exec, exec, s[4:5]
	s_waitcnt lgkmcnt(0)
	; wave barrier
	s_waitcnt lgkmcnt(0)
	buffer_load_dword v9, off, s[0:3], 0 offset:188
	buffer_load_dword v6, off, s[0:3], 0 offset:200
	;; [unrolled: 1-line block ×64, first 2 shown]
	v_mov_b32_e32 v98, 0
	ds_read_b128 v[74:77], v98 offset:688
	ds_read_b128 v[78:81], v98 offset:704
	buffer_load_dword v67, off, s[0:3], 0 offset:444
	buffer_load_dword v66, off, s[0:3], 0 offset:440
	;; [unrolled: 1-line block ×8, first 2 shown]
	ds_read_b128 v[82:85], v98 offset:720
	ds_read_b128 v[86:89], v98 offset:736
	buffer_load_dword v117, off, s[0:3], 0 offset:476
	buffer_load_dword v116, off, s[0:3], 0 offset:472
	;; [unrolled: 1-line block ×24, first 2 shown]
	ds_read_b128 v[168:171], v98 offset:1040
	v_cmp_lt_u32_e32 vcc, 8, v0
	s_waitcnt vmcnt(62) lgkmcnt(1)
	v_mul_f64 v[96:97], v[86:87], v[22:23]
	v_fmac_f64_e32 v[96:97], v[88:89], v[24:25]
	v_mul_f64 v[92:93], v[78:79], v[6:7]
	v_mul_f64 v[90:91], v[74:75], v[8:9]
	;; [unrolled: 1-line block ×3, first 2 shown]
	v_fmac_f64_e32 v[90:91], v[76:77], v[10:11]
	v_add_f64 v[90:91], v[90:91], 0
	v_fma_f64 v[8:9], v[74:75], v[10:11], -v[8:9]
	v_mul_f64 v[6:7], v[80:81], v[6:7]
	v_add_f64 v[8:9], v[8:9], 0
	v_fmac_f64_e32 v[92:93], v[80:81], v[14:15]
	v_add_f64 v[90:91], v[90:91], v[92:93]
	v_mul_f64 v[92:93], v[82:83], v[16:17]
	v_fmac_f64_e32 v[92:93], v[84:85], v[12:13]
	v_add_f64 v[94:95], v[90:91], v[92:93]
	ds_read_b128 v[90:93], v98 offset:752
	v_add_f64 v[100:101], v[94:95], v[96:97]
	ds_read_b128 v[94:97], v98 offset:768
	v_fma_f64 v[6:7], v[78:79], v[14:15], -v[6:7]
	v_add_f64 v[6:7], v[8:9], v[6:7]
	s_waitcnt lgkmcnt(1)
	v_mul_f64 v[102:103], v[90:91], v[18:19]
	v_fmac_f64_e32 v[102:103], v[92:93], v[20:21]
	v_add_f64 v[104:105], v[100:101], v[102:103]
	ds_read_b128 v[100:103], v98 offset:784
	s_waitcnt lgkmcnt(1)
	v_mul_f64 v[106:107], v[94:95], v[30:31]
	v_fmac_f64_e32 v[106:107], v[96:97], v[32:33]
	v_add_f64 v[108:109], v[104:105], v[106:107]
	ds_read_b128 v[104:107], v98 offset:800
	;; [unrolled: 5-line block ×3, first 2 shown]
	s_waitcnt vmcnt(58) lgkmcnt(1)
	v_mul_f64 v[114:115], v[104:105], v[38:39]
	s_waitcnt vmcnt(56)
	v_fmac_f64_e32 v[114:115], v[106:107], v[40:41]
	v_add_f64 v[120:121], v[112:113], v[114:115]
	ds_read_b128 v[112:115], v98 offset:832
	s_waitcnt lgkmcnt(1)
	v_mul_f64 v[122:123], v[108:109], v[34:35]
	v_fmac_f64_e32 v[122:123], v[110:111], v[36:37]
	v_add_f64 v[124:125], v[120:121], v[122:123]
	ds_read_b128 v[120:123], v98 offset:848
	s_waitcnt vmcnt(50) lgkmcnt(1)
	v_mul_f64 v[126:127], v[112:113], v[46:47]
	s_waitcnt vmcnt(48)
	v_fmac_f64_e32 v[126:127], v[114:115], v[48:49]
	v_add_f64 v[128:129], v[124:125], v[126:127]
	ds_read_b128 v[124:127], v98 offset:864
	v_mul_f64 v[8:9], v[84:85], v[16:17]
	s_waitcnt lgkmcnt(1)
	v_mul_f64 v[130:131], v[120:121], v[42:43]
	v_fma_f64 v[8:9], v[82:83], v[12:13], -v[8:9]
	v_fmac_f64_e32 v[130:131], v[122:123], v[44:45]
	v_add_f64 v[6:7], v[6:7], v[8:9]
	v_mul_f64 v[8:9], v[88:89], v[22:23]
	v_add_f64 v[132:133], v[128:129], v[130:131]
	ds_read_b128 v[128:131], v98 offset:880
	s_waitcnt vmcnt(42) lgkmcnt(1)
	v_mul_f64 v[134:135], v[124:125], v[54:55]
	v_fma_f64 v[8:9], v[86:87], v[24:25], -v[8:9]
	s_waitcnt vmcnt(40)
	v_fmac_f64_e32 v[134:135], v[126:127], v[56:57]
	v_add_f64 v[6:7], v[6:7], v[8:9]
	v_mul_f64 v[8:9], v[92:93], v[18:19]
	v_add_f64 v[136:137], v[132:133], v[134:135]
	ds_read_b128 v[132:135], v98 offset:896
	v_fma_f64 v[8:9], v[90:91], v[20:21], -v[8:9]
	v_add_f64 v[6:7], v[6:7], v[8:9]
	v_mul_f64 v[8:9], v[96:97], v[30:31]
	v_fma_f64 v[8:9], v[94:95], v[32:33], -v[8:9]
	s_waitcnt lgkmcnt(1)
	v_mul_f64 v[138:139], v[128:129], v[50:51]
	v_add_f64 v[6:7], v[6:7], v[8:9]
	v_mul_f64 v[8:9], v[102:103], v[26:27]
	v_fmac_f64_e32 v[138:139], v[130:131], v[52:53]
	v_fma_f64 v[8:9], v[100:101], v[28:29], -v[8:9]
	v_add_f64 v[140:141], v[136:137], v[138:139]
	ds_read_b128 v[136:139], v98 offset:912
	s_waitcnt vmcnt(34) lgkmcnt(1)
	v_mul_f64 v[142:143], v[132:133], v[62:63]
	v_add_f64 v[6:7], v[6:7], v[8:9]
	v_mul_f64 v[8:9], v[106:107], v[38:39]
	s_waitcnt vmcnt(32)
	v_fmac_f64_e32 v[142:143], v[134:135], v[64:65]
	v_fma_f64 v[8:9], v[104:105], v[40:41], -v[8:9]
	v_add_f64 v[144:145], v[140:141], v[142:143]
	ds_read_b128 v[140:143], v98 offset:928
	v_add_f64 v[6:7], v[6:7], v[8:9]
	v_mul_f64 v[8:9], v[110:111], v[34:35]
	v_fma_f64 v[8:9], v[108:109], v[36:37], -v[8:9]
	v_add_f64 v[6:7], v[6:7], v[8:9]
	v_mul_f64 v[8:9], v[114:115], v[46:47]
	s_waitcnt lgkmcnt(1)
	v_mul_f64 v[146:147], v[136:137], v[58:59]
	v_fma_f64 v[8:9], v[112:113], v[48:49], -v[8:9]
	v_fmac_f64_e32 v[146:147], v[138:139], v[60:61]
	v_add_f64 v[6:7], v[6:7], v[8:9]
	v_mul_f64 v[8:9], v[122:123], v[42:43]
	v_add_f64 v[148:149], v[144:145], v[146:147]
	ds_read_b128 v[144:147], v98 offset:944
	s_waitcnt vmcnt(26) lgkmcnt(1)
	v_mul_f64 v[150:151], v[140:141], v[70:71]
	v_fma_f64 v[8:9], v[120:121], v[44:45], -v[8:9]
	s_waitcnt vmcnt(24)
	v_fmac_f64_e32 v[150:151], v[142:143], v[72:73]
	v_add_f64 v[6:7], v[6:7], v[8:9]
	v_mul_f64 v[8:9], v[126:127], v[54:55]
	v_add_f64 v[152:153], v[148:149], v[150:151]
	ds_read_b128 v[148:151], v98 offset:960
	v_fma_f64 v[8:9], v[124:125], v[56:57], -v[8:9]
	v_add_f64 v[6:7], v[6:7], v[8:9]
	v_mul_f64 v[8:9], v[130:131], v[50:51]
	v_fma_f64 v[8:9], v[128:129], v[52:53], -v[8:9]
	s_waitcnt lgkmcnt(1)
	v_mul_f64 v[154:155], v[144:145], v[66:67]
	v_add_f64 v[6:7], v[6:7], v[8:9]
	v_mul_f64 v[8:9], v[134:135], v[62:63]
	v_fmac_f64_e32 v[154:155], v[146:147], v[68:69]
	v_fma_f64 v[8:9], v[132:133], v[64:65], -v[8:9]
	v_add_f64 v[156:157], v[152:153], v[154:155]
	ds_read_b128 v[152:155], v98 offset:976
	s_waitcnt vmcnt(18) lgkmcnt(1)
	v_mul_f64 v[158:159], v[148:149], v[174:175]
	v_add_f64 v[6:7], v[6:7], v[8:9]
	v_mul_f64 v[8:9], v[138:139], v[58:59]
	s_waitcnt vmcnt(16)
	v_fmac_f64_e32 v[158:159], v[150:151], v[176:177]
	v_fma_f64 v[8:9], v[136:137], v[60:61], -v[8:9]
	v_add_f64 v[160:161], v[156:157], v[158:159]
	ds_read_b128 v[156:159], v98 offset:992
	v_add_f64 v[6:7], v[6:7], v[8:9]
	v_mul_f64 v[8:9], v[142:143], v[70:71]
	v_fma_f64 v[8:9], v[140:141], v[72:73], -v[8:9]
	v_add_f64 v[6:7], v[6:7], v[8:9]
	v_mul_f64 v[8:9], v[146:147], v[66:67]
	s_waitcnt lgkmcnt(1)
	v_mul_f64 v[162:163], v[152:153], v[116:117]
	v_fma_f64 v[8:9], v[144:145], v[68:69], -v[8:9]
	v_fmac_f64_e32 v[162:163], v[154:155], v[172:173]
	v_add_f64 v[6:7], v[6:7], v[8:9]
	v_mul_f64 v[8:9], v[150:151], v[174:175]
	v_add_f64 v[164:165], v[160:161], v[162:163]
	ds_read_b128 v[160:163], v98 offset:1008
	s_waitcnt vmcnt(10) lgkmcnt(1)
	v_mul_f64 v[166:167], v[156:157], v[186:187]
	v_fma_f64 v[8:9], v[148:149], v[176:177], -v[8:9]
	s_waitcnt vmcnt(8)
	v_fmac_f64_e32 v[166:167], v[158:159], v[188:189]
	v_add_f64 v[6:7], v[6:7], v[8:9]
	v_mul_f64 v[8:9], v[154:155], v[116:117]
	v_add_f64 v[198:199], v[164:165], v[166:167]
	ds_read_b128 v[164:167], v98 offset:1024
	v_fma_f64 v[8:9], v[152:153], v[172:173], -v[8:9]
	v_add_f64 v[6:7], v[6:7], v[8:9]
	v_mul_f64 v[8:9], v[158:159], v[186:187]
	v_fma_f64 v[8:9], v[156:157], v[188:189], -v[8:9]
	v_add_f64 v[6:7], v[6:7], v[8:9]
	s_waitcnt lgkmcnt(1)
	v_mul_f64 v[8:9], v[162:163], v[178:179]
	v_mul_f64 v[200:201], v[160:161], v[178:179]
	v_fma_f64 v[8:9], v[160:161], v[184:185], -v[8:9]
	v_fmac_f64_e32 v[200:201], v[162:163], v[184:185]
	v_add_f64 v[6:7], v[6:7], v[8:9]
	s_waitcnt vmcnt(2) lgkmcnt(0)
	v_mul_f64 v[8:9], v[166:167], v[194:195]
	v_add_f64 v[198:199], v[198:199], v[200:201]
	v_mul_f64 v[200:201], v[164:165], v[194:195]
	s_waitcnt vmcnt(0)
	v_fma_f64 v[8:9], v[164:165], v[196:197], -v[8:9]
	v_fmac_f64_e32 v[200:201], v[166:167], v[196:197]
	v_add_f64 v[6:7], v[6:7], v[8:9]
	v_mul_f64 v[8:9], v[170:171], v[190:191]
	v_add_f64 v[198:199], v[198:199], v[200:201]
	v_mul_f64 v[200:201], v[168:169], v[190:191]
	v_fma_f64 v[8:9], v[168:169], v[192:193], -v[8:9]
	v_fmac_f64_e32 v[200:201], v[170:171], v[192:193]
	v_add_f64 v[6:7], v[6:7], v[8:9]
	v_add_f64 v[198:199], v[198:199], v[200:201]
	v_add_f64 v[4:5], v[4:5], -v[6:7]
	v_add_f64 v[2:3], v[2:3], -v[198:199]
	buffer_store_dword v5, off, s[0:3], 0 offset:164
	buffer_store_dword v4, off, s[0:3], 0 offset:160
	;; [unrolled: 1-line block ×4, first 2 shown]
	s_and_saveexec_b64 s[4:5], vcc
	s_cbranch_execz .LBB32_195
; %bb.194:
	v_accvgpr_read_b32 v5, a84
	buffer_load_dword v2, v5, s[0:3], 0 offen
	buffer_load_dword v3, v5, s[0:3], 0 offen offset:4
	buffer_load_dword v4, v5, s[0:3], 0 offen offset:8
	s_nop 0
	buffer_load_dword v5, v5, s[0:3], 0 offen offset:12
	s_nop 0
	buffer_store_dword v98, off, s[0:3], 0 offset:144
	buffer_store_dword v98, off, s[0:3], 0 offset:148
	;; [unrolled: 1-line block ×4, first 2 shown]
	s_waitcnt vmcnt(4)
	ds_write_b128 v1, v[2:5]
.LBB32_195:
	s_or_b64 exec, exec, s[4:5]
	s_waitcnt lgkmcnt(0)
	; wave barrier
	s_waitcnt lgkmcnt(0)
	buffer_load_dword v22, off, s[0:3], 0 offset:160
	buffer_load_dword v23, off, s[0:3], 0 offset:164
	;; [unrolled: 1-line block ×16, first 2 shown]
	ds_read_b128 v[2:5], v98 offset:672
	ds_read_b128 v[6:9], v98 offset:688
	;; [unrolled: 1-line block ×4, first 2 shown]
	buffer_load_dword v35, off, s[0:3], 0 offset:236
	buffer_load_dword v34, off, s[0:3], 0 offset:232
	;; [unrolled: 1-line block ×48, first 2 shown]
	v_cmp_lt_u32_e32 vcc, 7, v0
	s_waitcnt vmcnt(42) lgkmcnt(0)
	v_mul_f64 v[106:107], v[14:15], v[38:39]
	s_waitcnt vmcnt(40)
	v_fmac_f64_e32 v[106:107], v[16:17], v[40:41]
	v_mul_f64 v[82:83], v[2:3], v[24:25]
	v_fmac_f64_e32 v[82:83], v[4:5], v[22:23]
	v_add_f64 v[82:83], v[82:83], 0
	v_mul_f64 v[4:5], v[4:5], v[24:25]
	v_mul_f64 v[84:85], v[6:7], v[32:33]
	v_fma_f64 v[2:3], v[2:3], v[22:23], -v[4:5]
	v_mul_f64 v[100:101], v[10:11], v[26:27]
	v_fmac_f64_e32 v[100:101], v[12:13], v[30:31]
	v_fmac_f64_e32 v[84:85], v[8:9], v[28:29]
	v_add_f64 v[102:103], v[82:83], v[84:85]
	buffer_load_dword v83, off, s[0:3], 0 offset:428
	buffer_load_dword v82, off, s[0:3], 0 offset:424
	;; [unrolled: 1-line block ×32, first 2 shown]
	v_add_f64 v[104:105], v[102:103], v[100:101]
	ds_read_b128 v[100:103], v98 offset:736
	buffer_load_dword v203, off, s[0:3], 0 offset:540
	buffer_load_dword v202, off, s[0:3], 0 offset:536
	;; [unrolled: 1-line block ×4, first 2 shown]
	v_add_f64 v[108:109], v[104:105], v[106:107]
	ds_read_b128 v[104:107], v98 offset:752
	v_mul_f64 v[4:5], v[8:9], v[32:33]
	s_waitcnt lgkmcnt(1)
	v_mul_f64 v[110:111], v[100:101], v[34:35]
	v_fmac_f64_e32 v[110:111], v[102:103], v[36:37]
	v_add_f64 v[112:113], v[108:109], v[110:111]
	ds_read_b128 v[108:111], v98 offset:768
	s_waitcnt vmcnt(62) lgkmcnt(1)
	v_mul_f64 v[114:115], v[104:105], v[46:47]
	v_fmac_f64_e32 v[114:115], v[106:107], v[48:49]
	v_add_f64 v[120:121], v[112:113], v[114:115]
	ds_read_b128 v[112:115], v98 offset:784
	s_waitcnt lgkmcnt(1)
	v_mul_f64 v[122:123], v[108:109], v[42:43]
	v_fmac_f64_e32 v[122:123], v[110:111], v[44:45]
	v_add_f64 v[124:125], v[120:121], v[122:123]
	ds_read_b128 v[120:123], v98 offset:800
	s_waitcnt lgkmcnt(1)
	v_mul_f64 v[126:127], v[112:113], v[54:55]
	s_waitcnt vmcnt(60)
	v_fmac_f64_e32 v[126:127], v[114:115], v[56:57]
	v_add_f64 v[128:129], v[124:125], v[126:127]
	ds_read_b128 v[124:127], v98 offset:816
	s_waitcnt lgkmcnt(1)
	v_mul_f64 v[130:131], v[120:121], v[50:51]
	v_fmac_f64_e32 v[130:131], v[122:123], v[52:53]
	v_add_f64 v[132:133], v[128:129], v[130:131]
	ds_read_b128 v[128:131], v98 offset:832
	s_waitcnt vmcnt(54) lgkmcnt(1)
	v_mul_f64 v[134:135], v[124:125], v[62:63]
	s_waitcnt vmcnt(52)
	v_fmac_f64_e32 v[134:135], v[126:127], v[64:65]
	v_add_f64 v[136:137], v[132:133], v[134:135]
	ds_read_b128 v[132:135], v98 offset:848
	s_waitcnt lgkmcnt(1)
	v_mul_f64 v[138:139], v[128:129], v[58:59]
	v_fmac_f64_e32 v[138:139], v[130:131], v[60:61]
	v_add_f64 v[2:3], v[2:3], 0
	v_fma_f64 v[4:5], v[6:7], v[28:29], -v[4:5]
	v_add_f64 v[140:141], v[136:137], v[138:139]
	ds_read_b128 v[136:139], v98 offset:864
	v_add_f64 v[2:3], v[2:3], v[4:5]
	v_mul_f64 v[4:5], v[12:13], v[26:27]
	v_fma_f64 v[4:5], v[10:11], v[30:31], -v[4:5]
	v_add_f64 v[2:3], v[2:3], v[4:5]
	v_mul_f64 v[4:5], v[16:17], v[38:39]
	s_waitcnt vmcnt(46) lgkmcnt(1)
	v_mul_f64 v[142:143], v[132:133], v[70:71]
	v_fma_f64 v[4:5], v[14:15], v[40:41], -v[4:5]
	s_waitcnt vmcnt(44)
	v_fmac_f64_e32 v[142:143], v[134:135], v[72:73]
	v_add_f64 v[2:3], v[2:3], v[4:5]
	v_mul_f64 v[4:5], v[102:103], v[34:35]
	v_add_f64 v[144:145], v[140:141], v[142:143]
	ds_read_b128 v[140:143], v98 offset:880
	s_waitcnt lgkmcnt(1)
	v_mul_f64 v[146:147], v[136:137], v[66:67]
	v_fma_f64 v[4:5], v[100:101], v[36:37], -v[4:5]
	v_fmac_f64_e32 v[146:147], v[138:139], v[68:69]
	v_add_f64 v[2:3], v[2:3], v[4:5]
	v_mul_f64 v[4:5], v[106:107], v[46:47]
	v_add_f64 v[148:149], v[144:145], v[146:147]
	ds_read_b128 v[144:147], v98 offset:896
	v_fma_f64 v[4:5], v[104:105], v[48:49], -v[4:5]
	v_add_f64 v[2:3], v[2:3], v[4:5]
	v_mul_f64 v[4:5], v[110:111], v[42:43]
	v_fma_f64 v[4:5], v[108:109], v[44:45], -v[4:5]
	s_waitcnt vmcnt(38) lgkmcnt(1)
	v_mul_f64 v[150:151], v[140:141], v[78:79]
	v_add_f64 v[2:3], v[2:3], v[4:5]
	v_mul_f64 v[4:5], v[114:115], v[54:55]
	s_waitcnt vmcnt(36)
	v_fmac_f64_e32 v[150:151], v[142:143], v[80:81]
	v_fma_f64 v[4:5], v[112:113], v[56:57], -v[4:5]
	v_add_f64 v[152:153], v[148:149], v[150:151]
	ds_read_b128 v[148:151], v98 offset:912
	s_waitcnt lgkmcnt(1)
	v_mul_f64 v[154:155], v[144:145], v[74:75]
	v_add_f64 v[2:3], v[2:3], v[4:5]
	v_mul_f64 v[4:5], v[122:123], v[50:51]
	v_fmac_f64_e32 v[154:155], v[146:147], v[76:77]
	v_fma_f64 v[4:5], v[120:121], v[52:53], -v[4:5]
	v_add_f64 v[156:157], v[152:153], v[154:155]
	ds_read_b128 v[152:155], v98 offset:928
	v_add_f64 v[2:3], v[2:3], v[4:5]
	v_mul_f64 v[4:5], v[126:127], v[62:63]
	v_fma_f64 v[4:5], v[124:125], v[64:65], -v[4:5]
	v_add_f64 v[2:3], v[2:3], v[4:5]
	v_mul_f64 v[4:5], v[130:131], v[58:59]
	s_waitcnt vmcnt(30) lgkmcnt(1)
	v_mul_f64 v[158:159], v[148:149], v[86:87]
	v_fma_f64 v[4:5], v[128:129], v[60:61], -v[4:5]
	s_waitcnt vmcnt(28)
	v_fmac_f64_e32 v[158:159], v[150:151], v[88:89]
	v_add_f64 v[2:3], v[2:3], v[4:5]
	v_mul_f64 v[4:5], v[134:135], v[70:71]
	v_add_f64 v[160:161], v[156:157], v[158:159]
	ds_read_b128 v[156:159], v98 offset:944
	s_waitcnt lgkmcnt(1)
	v_mul_f64 v[162:163], v[152:153], v[82:83]
	v_fma_f64 v[4:5], v[132:133], v[72:73], -v[4:5]
	v_fmac_f64_e32 v[162:163], v[154:155], v[84:85]
	v_add_f64 v[2:3], v[2:3], v[4:5]
	v_mul_f64 v[4:5], v[138:139], v[66:67]
	v_add_f64 v[164:165], v[160:161], v[162:163]
	ds_read_b128 v[160:163], v98 offset:960
	v_fma_f64 v[4:5], v[136:137], v[68:69], -v[4:5]
	v_add_f64 v[2:3], v[2:3], v[4:5]
	v_mul_f64 v[4:5], v[142:143], v[78:79]
	v_fma_f64 v[4:5], v[140:141], v[80:81], -v[4:5]
	s_waitcnt vmcnt(22) lgkmcnt(1)
	v_mul_f64 v[166:167], v[156:157], v[94:95]
	v_add_f64 v[2:3], v[2:3], v[4:5]
	v_mul_f64 v[4:5], v[146:147], v[74:75]
	s_waitcnt vmcnt(20)
	v_fmac_f64_e32 v[166:167], v[158:159], v[96:97]
	v_fma_f64 v[4:5], v[144:145], v[76:77], -v[4:5]
	v_add_f64 v[168:169], v[164:165], v[166:167]
	ds_read_b128 v[164:167], v98 offset:976
	s_waitcnt lgkmcnt(1)
	v_mul_f64 v[170:171], v[160:161], v[90:91]
	v_add_f64 v[2:3], v[2:3], v[4:5]
	v_mul_f64 v[4:5], v[150:151], v[86:87]
	v_fmac_f64_e32 v[170:171], v[162:163], v[92:93]
	v_fma_f64 v[4:5], v[148:149], v[88:89], -v[4:5]
	v_add_f64 v[172:173], v[168:169], v[170:171]
	ds_read_b128 v[168:171], v98 offset:992
	v_add_f64 v[2:3], v[2:3], v[4:5]
	v_mul_f64 v[4:5], v[154:155], v[82:83]
	v_fma_f64 v[4:5], v[152:153], v[84:85], -v[4:5]
	v_add_f64 v[2:3], v[2:3], v[4:5]
	v_mul_f64 v[4:5], v[158:159], v[94:95]
	s_waitcnt vmcnt(14) lgkmcnt(1)
	v_mul_f64 v[174:175], v[164:165], v[178:179]
	v_fma_f64 v[4:5], v[156:157], v[96:97], -v[4:5]
	s_waitcnt vmcnt(12)
	v_fmac_f64_e32 v[174:175], v[166:167], v[192:193]
	v_add_f64 v[2:3], v[2:3], v[4:5]
	v_mul_f64 v[4:5], v[162:163], v[90:91]
	v_add_f64 v[184:185], v[172:173], v[174:175]
	ds_read_b128 v[172:175], v98 offset:1008
	s_waitcnt lgkmcnt(1)
	v_mul_f64 v[186:187], v[168:169], v[116:117]
	v_fma_f64 v[4:5], v[160:161], v[92:93], -v[4:5]
	v_fmac_f64_e32 v[186:187], v[170:171], v[176:177]
	v_add_f64 v[2:3], v[2:3], v[4:5]
	v_mul_f64 v[4:5], v[166:167], v[178:179]
	v_add_f64 v[206:207], v[184:185], v[186:187]
	ds_read_b128 v[184:187], v98 offset:1024
	v_fma_f64 v[4:5], v[164:165], v[192:193], -v[4:5]
	v_add_f64 v[2:3], v[2:3], v[4:5]
	v_mul_f64 v[4:5], v[170:171], v[116:117]
	ds_read_b128 v[188:191], v98 offset:1040
	v_fma_f64 v[4:5], v[168:169], v[176:177], -v[4:5]
	v_add_f64 v[2:3], v[2:3], v[4:5]
	s_waitcnt vmcnt(6) lgkmcnt(2)
	v_mul_f64 v[4:5], v[174:175], v[198:199]
	v_mul_f64 v[208:209], v[172:173], v[198:199]
	s_waitcnt vmcnt(4)
	v_fma_f64 v[4:5], v[172:173], v[200:201], -v[4:5]
	v_fmac_f64_e32 v[208:209], v[174:175], v[200:201]
	v_add_f64 v[2:3], v[2:3], v[4:5]
	s_waitcnt lgkmcnt(1)
	v_mul_f64 v[4:5], v[186:187], v[194:195]
	v_add_f64 v[98:99], v[206:207], v[208:209]
	v_mul_f64 v[206:207], v[184:185], v[194:195]
	v_fma_f64 v[4:5], v[184:185], v[196:197], -v[4:5]
	v_fmac_f64_e32 v[206:207], v[186:187], v[196:197]
	v_add_f64 v[2:3], v[2:3], v[4:5]
	s_waitcnt vmcnt(2) lgkmcnt(0)
	v_mul_f64 v[4:5], v[190:191], v[202:203]
	v_add_f64 v[98:99], v[98:99], v[206:207]
	v_mul_f64 v[206:207], v[188:189], v[202:203]
	s_waitcnt vmcnt(0)
	v_fma_f64 v[4:5], v[188:189], v[204:205], -v[4:5]
	v_fmac_f64_e32 v[206:207], v[190:191], v[204:205]
	v_add_f64 v[2:3], v[2:3], v[4:5]
	v_add_f64 v[98:99], v[98:99], v[206:207]
	v_add_f64 v[2:3], v[20:21], -v[2:3]
	v_add_f64 v[4:5], v[18:19], -v[98:99]
	buffer_store_dword v3, off, s[0:3], 0 offset:148
	buffer_store_dword v2, off, s[0:3], 0 offset:144
	;; [unrolled: 1-line block ×4, first 2 shown]
	s_and_saveexec_b64 s[4:5], vcc
	s_cbranch_execz .LBB32_197
; %bb.196:
	v_accvgpr_read_b32 v5, a86
	buffer_load_dword v2, v5, s[0:3], 0 offen
	buffer_load_dword v3, v5, s[0:3], 0 offen offset:4
	buffer_load_dword v4, v5, s[0:3], 0 offen offset:8
	s_nop 0
	buffer_load_dword v5, v5, s[0:3], 0 offen offset:12
	v_mov_b32_e32 v6, 0
	buffer_store_dword v6, off, s[0:3], 0 offset:128
	buffer_store_dword v6, off, s[0:3], 0 offset:132
	;; [unrolled: 1-line block ×4, first 2 shown]
	s_waitcnt vmcnt(4)
	ds_write_b128 v1, v[2:5]
.LBB32_197:
	s_or_b64 exec, exec, s[4:5]
	s_waitcnt lgkmcnt(0)
	; wave barrier
	s_waitcnt lgkmcnt(0)
	buffer_load_dword v22, off, s[0:3], 0 offset:144
	buffer_load_dword v23, off, s[0:3], 0 offset:148
	;; [unrolled: 1-line block ×64, first 2 shown]
	v_mov_b32_e32 v114, 0
	ds_read_b128 v[18:21], v114 offset:656
	ds_read_b128 v[14:17], v114 offset:672
	;; [unrolled: 1-line block ×5, first 2 shown]
	v_cmp_lt_u32_e32 vcc, 6, v0
	s_waitcnt vmcnt(60) lgkmcnt(4)
	v_mul_f64 v[86:87], v[18:19], v[26:27]
	v_fmac_f64_e32 v[86:87], v[20:21], v[22:23]
	v_add_f64 v[86:87], v[86:87], 0
	v_mul_f64 v[20:21], v[20:21], v[26:27]
	s_waitcnt vmcnt(56) lgkmcnt(3)
	v_mul_f64 v[88:89], v[14:15], v[28:29]
	v_fmac_f64_e32 v[88:89], v[16:17], v[24:25]
	s_waitcnt vmcnt(54) lgkmcnt(2)
	v_mul_f64 v[90:91], v[10:11], v[30:31]
	v_add_f64 v[86:87], v[86:87], v[88:89]
	v_fma_f64 v[18:19], v[18:19], v[22:23], -v[20:21]
	v_mul_f64 v[16:17], v[16:17], v[28:29]
	s_waitcnt vmcnt(50) lgkmcnt(1)
	v_mul_f64 v[102:103], v[6:7], v[40:41]
	v_add_f64 v[18:19], v[18:19], 0
	s_waitcnt vmcnt(48)
	v_fmac_f64_e32 v[90:91], v[12:13], v[44:45]
	v_add_f64 v[104:105], v[86:87], v[90:91]
	buffer_load_dword v87, off, s[0:3], 0 offset:412
	buffer_load_dword v86, off, s[0:3], 0 offset:408
	;; [unrolled: 1-line block ×40, first 2 shown]
	s_waitcnt vmcnt(62)
	v_fmac_f64_e32 v[102:103], v[8:9], v[42:43]
	v_add_f64 v[106:107], v[104:105], v[102:103]
	ds_read_b128 v[102:105], v114 offset:736
	s_waitcnt lgkmcnt(1)
	v_mul_f64 v[108:109], v[2:3], v[36:37]
	v_fmac_f64_e32 v[108:109], v[4:5], v[38:39]
	v_add_f64 v[110:111], v[106:107], v[108:109]
	ds_read_b128 v[106:109], v114 offset:752
	s_waitcnt lgkmcnt(1)
	v_mul_f64 v[112:113], v[102:103], v[50:51]
	;; [unrolled: 5-line block ×5, first 2 shown]
	v_fmac_f64_e32 v[130:131], v[122:123], v[56:57]
	v_add_f64 v[132:133], v[128:129], v[130:131]
	ds_read_b128 v[128:131], v114 offset:816
	s_waitcnt vmcnt(58) lgkmcnt(1)
	v_mul_f64 v[134:135], v[124:125], v[66:67]
	s_waitcnt vmcnt(56)
	v_fmac_f64_e32 v[134:135], v[126:127], v[68:69]
	v_add_f64 v[136:137], v[132:133], v[134:135]
	ds_read_b128 v[132:135], v114 offset:832
	s_waitcnt lgkmcnt(1)
	v_mul_f64 v[138:139], v[128:129], v[62:63]
	v_fmac_f64_e32 v[138:139], v[130:131], v[64:65]
	v_add_f64 v[140:141], v[136:137], v[138:139]
	ds_read_b128 v[136:139], v114 offset:848
	s_waitcnt vmcnt(50) lgkmcnt(1)
	v_mul_f64 v[142:143], v[132:133], v[74:75]
	s_waitcnt vmcnt(48)
	v_fmac_f64_e32 v[142:143], v[134:135], v[76:77]
	v_add_f64 v[144:145], v[140:141], v[142:143]
	ds_read_b128 v[140:143], v114 offset:864
	v_fma_f64 v[14:15], v[14:15], v[24:25], -v[16:17]
	v_mul_f64 v[12:13], v[12:13], v[30:31]
	v_add_f64 v[14:15], v[18:19], v[14:15]
	v_fma_f64 v[10:11], v[10:11], v[44:45], -v[12:13]
	v_mul_f64 v[8:9], v[8:9], v[40:41]
	s_waitcnt lgkmcnt(1)
	v_mul_f64 v[146:147], v[136:137], v[70:71]
	v_add_f64 v[10:11], v[14:15], v[10:11]
	v_fma_f64 v[6:7], v[6:7], v[42:43], -v[8:9]
	v_mul_f64 v[4:5], v[4:5], v[36:37]
	v_fmac_f64_e32 v[146:147], v[138:139], v[72:73]
	v_add_f64 v[6:7], v[10:11], v[6:7]
	v_fma_f64 v[2:3], v[2:3], v[38:39], -v[4:5]
	v_mul_f64 v[4:5], v[104:105], v[50:51]
	v_add_f64 v[148:149], v[144:145], v[146:147]
	ds_read_b128 v[144:147], v114 offset:880
	s_waitcnt vmcnt(42) lgkmcnt(1)
	v_mul_f64 v[150:151], v[140:141], v[82:83]
	v_add_f64 v[2:3], v[6:7], v[2:3]
	v_fma_f64 v[4:5], v[102:103], v[52:53], -v[4:5]
	s_waitcnt vmcnt(40)
	v_fmac_f64_e32 v[150:151], v[142:143], v[84:85]
	v_add_f64 v[2:3], v[2:3], v[4:5]
	v_mul_f64 v[4:5], v[108:109], v[46:47]
	v_add_f64 v[152:153], v[148:149], v[150:151]
	ds_read_b128 v[148:151], v114 offset:896
	v_fma_f64 v[4:5], v[106:107], v[48:49], -v[4:5]
	v_add_f64 v[2:3], v[2:3], v[4:5]
	v_mul_f64 v[4:5], v[112:113], v[58:59]
	v_fma_f64 v[4:5], v[110:111], v[60:61], -v[4:5]
	s_waitcnt lgkmcnt(1)
	v_mul_f64 v[154:155], v[144:145], v[78:79]
	v_add_f64 v[2:3], v[2:3], v[4:5]
	v_mul_f64 v[4:5], v[122:123], v[54:55]
	v_fmac_f64_e32 v[154:155], v[146:147], v[80:81]
	v_fma_f64 v[4:5], v[120:121], v[56:57], -v[4:5]
	v_add_f64 v[156:157], v[152:153], v[154:155]
	ds_read_b128 v[152:155], v114 offset:912
	s_waitcnt vmcnt(34) lgkmcnt(1)
	v_mul_f64 v[158:159], v[148:149], v[90:91]
	v_add_f64 v[2:3], v[2:3], v[4:5]
	v_mul_f64 v[4:5], v[126:127], v[66:67]
	s_waitcnt vmcnt(32)
	v_fmac_f64_e32 v[158:159], v[150:151], v[92:93]
	v_fma_f64 v[4:5], v[124:125], v[68:69], -v[4:5]
	v_add_f64 v[160:161], v[156:157], v[158:159]
	ds_read_b128 v[156:159], v114 offset:928
	v_add_f64 v[2:3], v[2:3], v[4:5]
	v_mul_f64 v[4:5], v[130:131], v[62:63]
	v_fma_f64 v[4:5], v[128:129], v[64:65], -v[4:5]
	v_add_f64 v[2:3], v[2:3], v[4:5]
	v_mul_f64 v[4:5], v[134:135], v[74:75]
	s_waitcnt lgkmcnt(1)
	v_mul_f64 v[162:163], v[152:153], v[86:87]
	v_fma_f64 v[4:5], v[132:133], v[76:77], -v[4:5]
	v_fmac_f64_e32 v[162:163], v[154:155], v[88:89]
	v_add_f64 v[2:3], v[2:3], v[4:5]
	v_mul_f64 v[4:5], v[138:139], v[70:71]
	v_add_f64 v[164:165], v[160:161], v[162:163]
	ds_read_b128 v[160:163], v114 offset:944
	s_waitcnt vmcnt(26) lgkmcnt(1)
	v_mul_f64 v[166:167], v[156:157], v[98:99]
	v_fma_f64 v[4:5], v[136:137], v[72:73], -v[4:5]
	s_waitcnt vmcnt(24)
	v_fmac_f64_e32 v[166:167], v[158:159], v[100:101]
	v_add_f64 v[2:3], v[2:3], v[4:5]
	v_mul_f64 v[4:5], v[142:143], v[82:83]
	v_add_f64 v[168:169], v[164:165], v[166:167]
	ds_read_b128 v[164:167], v114 offset:960
	v_fma_f64 v[4:5], v[140:141], v[84:85], -v[4:5]
	v_add_f64 v[2:3], v[2:3], v[4:5]
	v_mul_f64 v[4:5], v[146:147], v[78:79]
	v_fma_f64 v[4:5], v[144:145], v[80:81], -v[4:5]
	s_waitcnt lgkmcnt(1)
	v_mul_f64 v[170:171], v[160:161], v[94:95]
	v_add_f64 v[2:3], v[2:3], v[4:5]
	v_mul_f64 v[4:5], v[150:151], v[90:91]
	v_fmac_f64_e32 v[170:171], v[162:163], v[96:97]
	v_fma_f64 v[4:5], v[148:149], v[92:93], -v[4:5]
	v_add_f64 v[172:173], v[168:169], v[170:171]
	ds_read_b128 v[168:171], v114 offset:976
	s_waitcnt vmcnt(18) lgkmcnt(1)
	v_mul_f64 v[174:175], v[164:165], v[178:179]
	v_add_f64 v[2:3], v[2:3], v[4:5]
	v_mul_f64 v[4:5], v[154:155], v[86:87]
	s_waitcnt vmcnt(16)
	v_fmac_f64_e32 v[174:175], v[166:167], v[196:197]
	v_fma_f64 v[4:5], v[152:153], v[88:89], -v[4:5]
	v_add_f64 v[184:185], v[172:173], v[174:175]
	ds_read_b128 v[172:175], v114 offset:992
	v_add_f64 v[2:3], v[2:3], v[4:5]
	v_mul_f64 v[4:5], v[158:159], v[98:99]
	v_fma_f64 v[4:5], v[156:157], v[100:101], -v[4:5]
	v_add_f64 v[2:3], v[2:3], v[4:5]
	v_mul_f64 v[4:5], v[162:163], v[94:95]
	s_waitcnt lgkmcnt(1)
	v_mul_f64 v[186:187], v[168:169], v[116:117]
	v_fma_f64 v[4:5], v[160:161], v[96:97], -v[4:5]
	v_fmac_f64_e32 v[186:187], v[170:171], v[176:177]
	v_add_f64 v[2:3], v[2:3], v[4:5]
	v_mul_f64 v[4:5], v[166:167], v[178:179]
	v_add_f64 v[188:189], v[184:185], v[186:187]
	ds_read_b128 v[184:187], v114 offset:1008
	s_waitcnt vmcnt(10) lgkmcnt(1)
	v_mul_f64 v[190:191], v[172:173], v[202:203]
	v_fma_f64 v[4:5], v[164:165], v[196:197], -v[4:5]
	s_waitcnt vmcnt(8)
	v_fmac_f64_e32 v[190:191], v[174:175], v[204:205]
	v_add_f64 v[2:3], v[2:3], v[4:5]
	v_mul_f64 v[4:5], v[170:171], v[116:117]
	v_add_f64 v[214:215], v[188:189], v[190:191]
	ds_read_b128 v[188:191], v114 offset:1024
	ds_read_b128 v[192:195], v114 offset:1040
	v_fma_f64 v[4:5], v[168:169], v[176:177], -v[4:5]
	v_add_f64 v[2:3], v[2:3], v[4:5]
	v_mul_f64 v[4:5], v[174:175], v[202:203]
	v_fma_f64 v[4:5], v[172:173], v[204:205], -v[4:5]
	v_add_f64 v[2:3], v[2:3], v[4:5]
	s_waitcnt lgkmcnt(2)
	v_mul_f64 v[4:5], v[186:187], v[198:199]
	v_mul_f64 v[216:217], v[184:185], v[198:199]
	v_fma_f64 v[4:5], v[184:185], v[200:201], -v[4:5]
	v_fmac_f64_e32 v[216:217], v[186:187], v[200:201]
	v_add_f64 v[2:3], v[2:3], v[4:5]
	s_waitcnt vmcnt(2) lgkmcnt(1)
	v_mul_f64 v[4:5], v[190:191], v[210:211]
	v_add_f64 v[214:215], v[214:215], v[216:217]
	v_mul_f64 v[216:217], v[188:189], v[210:211]
	s_waitcnt vmcnt(0)
	v_fma_f64 v[4:5], v[188:189], v[212:213], -v[4:5]
	v_fmac_f64_e32 v[216:217], v[190:191], v[212:213]
	v_add_f64 v[2:3], v[2:3], v[4:5]
	s_waitcnt lgkmcnt(0)
	v_mul_f64 v[4:5], v[194:195], v[206:207]
	v_add_f64 v[214:215], v[214:215], v[216:217]
	v_mul_f64 v[216:217], v[192:193], v[206:207]
	v_fma_f64 v[4:5], v[192:193], v[208:209], -v[4:5]
	v_fmac_f64_e32 v[216:217], v[194:195], v[208:209]
	v_add_f64 v[2:3], v[2:3], v[4:5]
	v_add_f64 v[214:215], v[214:215], v[216:217]
	v_add_f64 v[2:3], v[34:35], -v[2:3]
	v_add_f64 v[4:5], v[32:33], -v[214:215]
	buffer_store_dword v3, off, s[0:3], 0 offset:132
	buffer_store_dword v2, off, s[0:3], 0 offset:128
	;; [unrolled: 1-line block ×4, first 2 shown]
	s_and_saveexec_b64 s[4:5], vcc
	s_cbranch_execz .LBB32_199
; %bb.198:
	v_accvgpr_read_b32 v5, a88
	buffer_load_dword v2, v5, s[0:3], 0 offen
	buffer_load_dword v3, v5, s[0:3], 0 offen offset:4
	buffer_load_dword v4, v5, s[0:3], 0 offen offset:8
	s_nop 0
	buffer_load_dword v5, v5, s[0:3], 0 offen offset:12
	s_nop 0
	buffer_store_dword v114, off, s[0:3], 0 offset:112
	buffer_store_dword v114, off, s[0:3], 0 offset:116
	;; [unrolled: 1-line block ×4, first 2 shown]
	s_waitcnt vmcnt(4)
	ds_write_b128 v1, v[2:5]
.LBB32_199:
	s_or_b64 exec, exec, s[4:5]
	s_waitcnt lgkmcnt(0)
	; wave barrier
	s_waitcnt lgkmcnt(0)
	buffer_load_dword v26, off, s[0:3], 0 offset:128
	buffer_load_dword v27, off, s[0:3], 0 offset:132
	;; [unrolled: 1-line block ×24, first 2 shown]
	ds_read_b128 v[22:25], v114 offset:640
	ds_read_b128 v[18:21], v114 offset:656
	;; [unrolled: 1-line block ×6, first 2 shown]
	buffer_load_dword v51, off, s[0:3], 0 offset:236
	buffer_load_dword v50, off, s[0:3], 0 offset:232
	;; [unrolled: 1-line block ×40, first 2 shown]
	v_cmp_lt_u32_e32 vcc, 5, v0
	s_waitcnt vmcnt(34) lgkmcnt(0)
	v_mul_f64 v[124:125], v[14:15], v[54:55]
	s_waitcnt vmcnt(32)
	v_fmac_f64_e32 v[124:125], v[16:17], v[56:57]
	v_mul_f64 v[90:91], v[22:23], v[28:29]
	v_fmac_f64_e32 v[90:91], v[24:25], v[26:27]
	v_mul_f64 v[92:93], v[18:19], v[30:31]
	v_add_f64 v[90:91], v[90:91], 0
	v_mul_f64 v[94:95], v[10:11], v[32:33]
	v_mul_f64 v[24:25], v[24:25], v[28:29]
	;; [unrolled: 1-line block ×3, first 2 shown]
	v_fma_f64 v[22:23], v[22:23], v[26:27], -v[24:25]
	v_add_f64 v[22:23], v[22:23], 0
	v_mul_f64 v[96:97], v[6:7], v[42:43]
	v_fmac_f64_e32 v[92:93], v[20:21], v[48:49]
	v_add_f64 v[90:91], v[90:91], v[92:93]
	v_fmac_f64_e32 v[94:95], v[12:13], v[46:47]
	v_add_f64 v[90:91], v[90:91], v[94:95]
	;; [unrolled: 2-line block ×3, first 2 shown]
	buffer_load_dword v91, off, s[0:3], 0 offset:396
	buffer_load_dword v90, off, s[0:3], 0 offset:392
	;; [unrolled: 1-line block ×40, first 2 shown]
	v_fmac_f64_e32 v[116:117], v[4:5], v[40:41]
	v_add_f64 v[116:117], v[120:121], v[116:117]
	ds_read_b128 v[120:123], v114 offset:736
	buffer_load_dword v217, off, s[0:3], 0 offset:540
	buffer_load_dword v216, off, s[0:3], 0 offset:536
	;; [unrolled: 1-line block ×4, first 2 shown]
	v_add_f64 v[116:117], v[116:117], v[124:125]
	ds_read_b128 v[124:127], v114 offset:752
	v_mul_f64 v[20:21], v[20:21], v[30:31]
	s_waitcnt lgkmcnt(1)
	v_mul_f64 v[128:129], v[120:121], v[50:51]
	v_fmac_f64_e32 v[128:129], v[122:123], v[52:53]
	v_add_f64 v[116:117], v[116:117], v[128:129]
	ds_read_b128 v[128:131], v114 offset:768
	s_waitcnt vmcnt(62) lgkmcnt(1)
	v_mul_f64 v[132:133], v[124:125], v[62:63]
	v_fmac_f64_e32 v[132:133], v[126:127], v[64:65]
	v_add_f64 v[116:117], v[116:117], v[132:133]
	ds_read_b128 v[132:135], v114 offset:784
	s_waitcnt lgkmcnt(1)
	v_mul_f64 v[136:137], v[128:129], v[58:59]
	v_fmac_f64_e32 v[136:137], v[130:131], v[60:61]
	v_add_f64 v[116:117], v[116:117], v[136:137]
	ds_read_b128 v[136:139], v114 offset:800
	s_waitcnt lgkmcnt(1)
	v_mul_f64 v[140:141], v[132:133], v[70:71]
	s_waitcnt vmcnt(60)
	v_fmac_f64_e32 v[140:141], v[134:135], v[72:73]
	v_add_f64 v[116:117], v[116:117], v[140:141]
	ds_read_b128 v[140:143], v114 offset:816
	s_waitcnt lgkmcnt(1)
	v_mul_f64 v[144:145], v[136:137], v[66:67]
	v_fmac_f64_e32 v[144:145], v[138:139], v[68:69]
	v_add_f64 v[116:117], v[116:117], v[144:145]
	ds_read_b128 v[144:147], v114 offset:832
	s_waitcnt vmcnt(54) lgkmcnt(1)
	v_mul_f64 v[148:149], v[140:141], v[78:79]
	s_waitcnt vmcnt(52)
	v_fmac_f64_e32 v[148:149], v[142:143], v[80:81]
	v_add_f64 v[116:117], v[116:117], v[148:149]
	ds_read_b128 v[148:151], v114 offset:848
	s_waitcnt lgkmcnt(1)
	v_mul_f64 v[152:153], v[144:145], v[74:75]
	v_fmac_f64_e32 v[152:153], v[146:147], v[76:77]
	v_fma_f64 v[18:19], v[18:19], v[48:49], -v[20:21]
	v_mul_f64 v[12:13], v[12:13], v[32:33]
	v_add_f64 v[116:117], v[116:117], v[152:153]
	ds_read_b128 v[152:155], v114 offset:864
	v_add_f64 v[18:19], v[22:23], v[18:19]
	v_fma_f64 v[10:11], v[10:11], v[46:47], -v[12:13]
	v_mul_f64 v[8:9], v[8:9], v[42:43]
	v_add_f64 v[10:11], v[18:19], v[10:11]
	v_fma_f64 v[6:7], v[6:7], v[44:45], -v[8:9]
	v_mul_f64 v[4:5], v[4:5], v[38:39]
	;; [unrolled: 3-line block ×3, first 2 shown]
	s_waitcnt vmcnt(46) lgkmcnt(1)
	v_mul_f64 v[156:157], v[148:149], v[86:87]
	v_add_f64 v[2:3], v[6:7], v[2:3]
	v_fma_f64 v[4:5], v[14:15], v[56:57], -v[4:5]
	s_waitcnt vmcnt(44)
	v_fmac_f64_e32 v[156:157], v[150:151], v[88:89]
	v_add_f64 v[2:3], v[2:3], v[4:5]
	v_mul_f64 v[4:5], v[122:123], v[50:51]
	v_add_f64 v[116:117], v[116:117], v[156:157]
	ds_read_b128 v[156:159], v114 offset:880
	s_waitcnt lgkmcnt(1)
	v_mul_f64 v[160:161], v[152:153], v[82:83]
	v_fma_f64 v[4:5], v[120:121], v[52:53], -v[4:5]
	v_fmac_f64_e32 v[160:161], v[154:155], v[84:85]
	v_add_f64 v[2:3], v[2:3], v[4:5]
	v_mul_f64 v[4:5], v[126:127], v[62:63]
	v_add_f64 v[116:117], v[116:117], v[160:161]
	ds_read_b128 v[160:163], v114 offset:896
	v_fma_f64 v[4:5], v[124:125], v[64:65], -v[4:5]
	v_add_f64 v[2:3], v[2:3], v[4:5]
	v_mul_f64 v[4:5], v[130:131], v[58:59]
	v_fma_f64 v[4:5], v[128:129], v[60:61], -v[4:5]
	s_waitcnt vmcnt(38) lgkmcnt(1)
	v_mul_f64 v[164:165], v[156:157], v[94:95]
	v_add_f64 v[2:3], v[2:3], v[4:5]
	v_mul_f64 v[4:5], v[134:135], v[70:71]
	s_waitcnt vmcnt(36)
	v_fmac_f64_e32 v[164:165], v[158:159], v[96:97]
	v_fma_f64 v[4:5], v[132:133], v[72:73], -v[4:5]
	v_add_f64 v[116:117], v[116:117], v[164:165]
	ds_read_b128 v[164:167], v114 offset:912
	s_waitcnt lgkmcnt(1)
	v_mul_f64 v[168:169], v[160:161], v[90:91]
	v_add_f64 v[2:3], v[2:3], v[4:5]
	v_mul_f64 v[4:5], v[138:139], v[66:67]
	v_fmac_f64_e32 v[168:169], v[162:163], v[92:93]
	v_fma_f64 v[4:5], v[136:137], v[68:69], -v[4:5]
	v_add_f64 v[116:117], v[116:117], v[168:169]
	ds_read_b128 v[168:171], v114 offset:928
	v_add_f64 v[2:3], v[2:3], v[4:5]
	v_mul_f64 v[4:5], v[142:143], v[78:79]
	v_fma_f64 v[4:5], v[140:141], v[80:81], -v[4:5]
	v_add_f64 v[2:3], v[2:3], v[4:5]
	v_mul_f64 v[4:5], v[146:147], v[74:75]
	s_waitcnt vmcnt(30) lgkmcnt(1)
	v_mul_f64 v[172:173], v[164:165], v[102:103]
	v_fma_f64 v[4:5], v[144:145], v[76:77], -v[4:5]
	s_waitcnt vmcnt(28)
	v_fmac_f64_e32 v[172:173], v[166:167], v[104:105]
	v_add_f64 v[2:3], v[2:3], v[4:5]
	v_mul_f64 v[4:5], v[150:151], v[86:87]
	v_add_f64 v[116:117], v[116:117], v[172:173]
	ds_read_b128 v[172:175], v114 offset:944
	s_waitcnt lgkmcnt(1)
	v_mul_f64 v[184:185], v[168:169], v[98:99]
	v_fma_f64 v[4:5], v[148:149], v[88:89], -v[4:5]
	v_fmac_f64_e32 v[184:185], v[170:171], v[100:101]
	v_add_f64 v[2:3], v[2:3], v[4:5]
	v_mul_f64 v[4:5], v[154:155], v[82:83]
	v_add_f64 v[116:117], v[116:117], v[184:185]
	ds_read_b128 v[184:187], v114 offset:960
	v_fma_f64 v[4:5], v[152:153], v[84:85], -v[4:5]
	v_add_f64 v[2:3], v[2:3], v[4:5]
	v_mul_f64 v[4:5], v[158:159], v[94:95]
	v_fma_f64 v[4:5], v[156:157], v[96:97], -v[4:5]
	s_waitcnt vmcnt(22) lgkmcnt(1)
	v_mul_f64 v[188:189], v[172:173], v[110:111]
	v_add_f64 v[2:3], v[2:3], v[4:5]
	v_mul_f64 v[4:5], v[162:163], v[90:91]
	s_waitcnt vmcnt(20)
	v_fmac_f64_e32 v[188:189], v[174:175], v[112:113]
	v_fma_f64 v[4:5], v[160:161], v[92:93], -v[4:5]
	v_add_f64 v[116:117], v[116:117], v[188:189]
	ds_read_b128 v[188:191], v114 offset:976
	s_waitcnt lgkmcnt(1)
	v_mul_f64 v[192:193], v[184:185], v[106:107]
	v_add_f64 v[2:3], v[2:3], v[4:5]
	v_mul_f64 v[4:5], v[166:167], v[102:103]
	v_fmac_f64_e32 v[192:193], v[186:187], v[108:109]
	v_fma_f64 v[4:5], v[164:165], v[104:105], -v[4:5]
	v_add_f64 v[116:117], v[116:117], v[192:193]
	ds_read_b128 v[192:195], v114 offset:992
	v_add_f64 v[2:3], v[2:3], v[4:5]
	v_mul_f64 v[4:5], v[170:171], v[98:99]
	v_fma_f64 v[4:5], v[168:169], v[100:101], -v[4:5]
	v_add_f64 v[2:3], v[2:3], v[4:5]
	v_mul_f64 v[4:5], v[174:175], v[110:111]
	s_waitcnt vmcnt(14) lgkmcnt(1)
	v_mul_f64 v[196:197], v[188:189], v[204:205]
	v_fma_f64 v[4:5], v[172:173], v[112:113], -v[4:5]
	s_waitcnt vmcnt(12)
	v_fmac_f64_e32 v[196:197], v[190:191], v[206:207]
	v_add_f64 v[2:3], v[2:3], v[4:5]
	v_mul_f64 v[4:5], v[186:187], v[106:107]
	v_add_f64 v[116:117], v[116:117], v[196:197]
	ds_read_b128 v[196:199], v114 offset:1008
	s_waitcnt lgkmcnt(1)
	v_mul_f64 v[200:201], v[192:193], v[176:177]
	v_fma_f64 v[4:5], v[184:185], v[108:109], -v[4:5]
	v_fmac_f64_e32 v[200:201], v[194:195], v[178:179]
	v_add_f64 v[2:3], v[2:3], v[4:5]
	v_mul_f64 v[4:5], v[190:191], v[204:205]
	v_add_f64 v[220:221], v[116:117], v[200:201]
	ds_read_b128 v[200:203], v114 offset:1024
	v_fma_f64 v[4:5], v[188:189], v[206:207], -v[4:5]
	v_add_f64 v[2:3], v[2:3], v[4:5]
	v_mul_f64 v[4:5], v[194:195], v[176:177]
	ds_read_b128 v[114:117], v114 offset:1040
	v_fma_f64 v[4:5], v[192:193], v[178:179], -v[4:5]
	v_add_f64 v[2:3], v[2:3], v[4:5]
	s_waitcnt vmcnt(6) lgkmcnt(2)
	v_mul_f64 v[4:5], v[198:199], v[212:213]
	v_mul_f64 v[222:223], v[196:197], v[212:213]
	s_waitcnt vmcnt(4)
	v_fma_f64 v[4:5], v[196:197], v[214:215], -v[4:5]
	v_fmac_f64_e32 v[222:223], v[198:199], v[214:215]
	v_add_f64 v[2:3], v[2:3], v[4:5]
	s_waitcnt lgkmcnt(1)
	v_mul_f64 v[4:5], v[202:203], v[208:209]
	v_add_f64 v[220:221], v[220:221], v[222:223]
	v_mul_f64 v[222:223], v[200:201], v[208:209]
	v_fma_f64 v[4:5], v[200:201], v[210:211], -v[4:5]
	v_fmac_f64_e32 v[222:223], v[202:203], v[210:211]
	v_add_f64 v[2:3], v[2:3], v[4:5]
	s_waitcnt vmcnt(2) lgkmcnt(0)
	v_mul_f64 v[4:5], v[116:117], v[216:217]
	v_add_f64 v[220:221], v[220:221], v[222:223]
	v_mul_f64 v[222:223], v[114:115], v[216:217]
	s_waitcnt vmcnt(0)
	v_fma_f64 v[4:5], v[114:115], v[218:219], -v[4:5]
	v_fmac_f64_e32 v[222:223], v[116:117], v[218:219]
	v_add_f64 v[2:3], v[2:3], v[4:5]
	v_add_f64 v[220:221], v[220:221], v[222:223]
	v_add_f64 v[2:3], v[36:37], -v[2:3]
	v_add_f64 v[4:5], v[34:35], -v[220:221]
	buffer_store_dword v3, off, s[0:3], 0 offset:116
	buffer_store_dword v2, off, s[0:3], 0 offset:112
	;; [unrolled: 1-line block ×4, first 2 shown]
	s_and_saveexec_b64 s[4:5], vcc
	s_cbranch_execz .LBB32_201
; %bb.200:
	v_accvgpr_read_b32 v5, a85
	buffer_load_dword v2, v5, s[0:3], 0 offen
	buffer_load_dword v3, v5, s[0:3], 0 offen offset:4
	buffer_load_dword v4, v5, s[0:3], 0 offen offset:8
	s_nop 0
	buffer_load_dword v5, v5, s[0:3], 0 offen offset:12
	v_mov_b32_e32 v6, 0
	buffer_store_dword v6, off, s[0:3], 0 offset:96
	buffer_store_dword v6, off, s[0:3], 0 offset:100
	;; [unrolled: 1-line block ×4, first 2 shown]
	s_waitcnt vmcnt(4)
	ds_write_b128 v1, v[2:5]
.LBB32_201:
	s_or_b64 exec, exec, s[4:5]
	s_waitcnt lgkmcnt(0)
	; wave barrier
	s_waitcnt lgkmcnt(0)
	buffer_load_dword v30, off, s[0:3], 0 offset:112
	buffer_load_dword v31, off, s[0:3], 0 offset:116
	;; [unrolled: 1-line block ×56, first 2 shown]
	v_mov_b32_e32 v136, 0
	ds_read_b128 v[26:29], v136 offset:624
	ds_read_b128 v[22:25], v136 offset:640
	;; [unrolled: 1-line block ×7, first 2 shown]
	v_cmp_lt_u32_e32 vcc, 4, v0
	s_waitcnt vmcnt(52) lgkmcnt(6)
	v_mul_f64 v[86:87], v[26:27], v[34:35]
	v_fmac_f64_e32 v[86:87], v[28:29], v[30:31]
	v_add_f64 v[86:87], v[86:87], 0
	v_mul_f64 v[28:29], v[28:29], v[34:35]
	s_waitcnt vmcnt(48) lgkmcnt(5)
	v_mul_f64 v[88:89], v[22:23], v[36:37]
	v_fmac_f64_e32 v[88:89], v[24:25], v[32:33]
	s_waitcnt vmcnt(46) lgkmcnt(4)
	v_mul_f64 v[90:91], v[18:19], v[38:39]
	v_add_f64 v[86:87], v[86:87], v[88:89]
	s_waitcnt vmcnt(44) lgkmcnt(2)
	v_mul_f64 v[94:95], v[10:11], v[40:41]
	v_fma_f64 v[26:27], v[26:27], v[30:31], -v[28:29]
	s_waitcnt vmcnt(42)
	v_fmac_f64_e32 v[94:95], v[12:13], v[42:43]
	v_mul_f64 v[24:25], v[24:25], v[36:37]
	s_waitcnt vmcnt(40)
	v_mul_f64 v[92:93], v[14:15], v[48:49]
	v_add_f64 v[26:27], v[26:27], 0
	v_fma_f64 v[22:23], v[22:23], v[32:33], -v[24:25]
	v_add_f64 v[22:23], v[26:27], v[22:23]
	s_waitcnt vmcnt(36) lgkmcnt(1)
	v_mul_f64 v[110:111], v[6:7], v[54:55]
	v_mul_f64 v[12:13], v[12:13], v[40:41]
	s_waitcnt vmcnt(34)
	v_fmac_f64_e32 v[90:91], v[20:21], v[60:61]
	v_add_f64 v[86:87], v[86:87], v[90:91]
	s_waitcnt vmcnt(32)
	v_fmac_f64_e32 v[92:93], v[16:17], v[58:59]
	v_add_f64 v[86:87], v[86:87], v[92:93]
	v_add_f64 v[116:117], v[86:87], v[94:95]
	buffer_load_dword v87, off, s[0:3], 0 offset:348
	buffer_load_dword v86, off, s[0:3], 0 offset:344
	;; [unrolled: 1-line block ×56, first 2 shown]
	ds_read_b128 v[126:129], v136 offset:736
	ds_read_b128 v[130:133], v136 offset:752
	v_mul_f64 v[20:21], v[20:21], v[38:39]
	v_fma_f64 v[18:19], v[18:19], v[60:61], -v[20:21]
	v_mul_f64 v[16:17], v[16:17], v[48:49]
	s_waitcnt vmcnt(62)
	v_fmac_f64_e32 v[110:111], v[8:9], v[56:57]
	v_add_f64 v[18:19], v[22:23], v[18:19]
	v_fma_f64 v[14:15], v[14:15], v[58:59], -v[16:17]
	v_add_f64 v[110:111], v[116:117], v[110:111]
	s_waitcnt lgkmcnt(2)
	v_mul_f64 v[116:117], v[2:3], v[50:51]
	v_add_f64 v[14:15], v[18:19], v[14:15]
	v_fma_f64 v[10:11], v[10:11], v[42:43], -v[12:13]
	v_mul_f64 v[8:9], v[8:9], v[54:55]
	v_fmac_f64_e32 v[116:117], v[4:5], v[52:53]
	ds_read_b128 v[138:141], v136 offset:768
	ds_read_b128 v[142:145], v136 offset:784
	v_add_f64 v[10:11], v[14:15], v[10:11]
	v_fma_f64 v[6:7], v[6:7], v[56:57], -v[8:9]
	v_mul_f64 v[4:5], v[4:5], v[50:51]
	v_add_f64 v[6:7], v[10:11], v[6:7]
	v_fma_f64 v[2:3], v[2:3], v[52:53], -v[4:5]
	s_waitcnt lgkmcnt(3)
	v_mul_f64 v[4:5], v[128:129], v[66:67]
	v_add_f64 v[110:111], v[110:111], v[116:117]
	v_mul_f64 v[116:117], v[126:127], v[66:67]
	v_add_f64 v[2:3], v[6:7], v[2:3]
	v_fma_f64 v[4:5], v[126:127], v[68:69], -v[4:5]
	v_fmac_f64_e32 v[116:117], v[128:129], v[68:69]
	v_add_f64 v[2:3], v[2:3], v[4:5]
	s_waitcnt lgkmcnt(2)
	v_mul_f64 v[4:5], v[132:133], v[62:63]
	v_add_f64 v[110:111], v[110:111], v[116:117]
	v_mul_f64 v[116:117], v[130:131], v[62:63]
	ds_read_b128 v[146:149], v136 offset:800
	ds_read_b128 v[150:153], v136 offset:816
	v_fma_f64 v[4:5], v[130:131], v[64:65], -v[4:5]
	v_fmac_f64_e32 v[116:117], v[132:133], v[64:65]
	v_add_f64 v[2:3], v[2:3], v[4:5]
	s_waitcnt lgkmcnt(3)
	v_mul_f64 v[4:5], v[140:141], v[74:75]
	v_add_f64 v[110:111], v[110:111], v[116:117]
	v_mul_f64 v[116:117], v[138:139], v[74:75]
	v_fma_f64 v[4:5], v[138:139], v[76:77], -v[4:5]
	v_fmac_f64_e32 v[116:117], v[140:141], v[76:77]
	v_add_f64 v[2:3], v[2:3], v[4:5]
	s_waitcnt lgkmcnt(2)
	v_mul_f64 v[4:5], v[144:145], v[70:71]
	v_add_f64 v[110:111], v[110:111], v[116:117]
	v_mul_f64 v[116:117], v[142:143], v[70:71]
	ds_read_b128 v[154:157], v136 offset:832
	ds_read_b128 v[158:161], v136 offset:848
	v_fma_f64 v[4:5], v[142:143], v[72:73], -v[4:5]
	v_fmac_f64_e32 v[116:117], v[144:145], v[72:73]
	v_add_f64 v[2:3], v[2:3], v[4:5]
	s_waitcnt vmcnt(58) lgkmcnt(3)
	v_mul_f64 v[4:5], v[148:149], v[82:83]
	v_add_f64 v[110:111], v[110:111], v[116:117]
	v_mul_f64 v[116:117], v[146:147], v[82:83]
	s_waitcnt vmcnt(56)
	v_fma_f64 v[4:5], v[146:147], v[84:85], -v[4:5]
	v_fmac_f64_e32 v[116:117], v[148:149], v[84:85]
	v_add_f64 v[2:3], v[2:3], v[4:5]
	s_waitcnt lgkmcnt(2)
	v_mul_f64 v[4:5], v[152:153], v[78:79]
	v_add_f64 v[110:111], v[110:111], v[116:117]
	v_mul_f64 v[116:117], v[150:151], v[78:79]
	ds_read_b128 v[162:165], v136 offset:864
	ds_read_b128 v[166:169], v136 offset:880
	v_fma_f64 v[4:5], v[150:151], v[80:81], -v[4:5]
	v_fmac_f64_e32 v[116:117], v[152:153], v[80:81]
	v_add_f64 v[2:3], v[2:3], v[4:5]
	s_waitcnt vmcnt(50) lgkmcnt(3)
	v_mul_f64 v[4:5], v[156:157], v[90:91]
	v_add_f64 v[110:111], v[110:111], v[116:117]
	v_mul_f64 v[116:117], v[154:155], v[90:91]
	s_waitcnt vmcnt(48)
	;; [unrolled: 17-line block ×7, first 2 shown]
	v_fma_f64 v[4:5], v[204:205], v[224:225], -v[4:5]
	v_fmac_f64_e32 v[116:117], v[206:207], v[224:225]
	v_add_f64 v[2:3], v[2:3], v[4:5]
	s_waitcnt lgkmcnt(2)
	v_mul_f64 v[4:5], v[210:211], v[178:179]
	v_add_f64 v[110:111], v[110:111], v[116:117]
	v_mul_f64 v[116:117], v[208:209], v[178:179]
	v_fma_f64 v[4:5], v[208:209], v[220:221], -v[4:5]
	v_fmac_f64_e32 v[116:117], v[210:211], v[220:221]
	v_add_f64 v[2:3], v[2:3], v[4:5]
	s_waitcnt vmcnt(2) lgkmcnt(1)
	v_mul_f64 v[4:5], v[214:215], v[230:231]
	v_add_f64 v[110:111], v[110:111], v[116:117]
	v_mul_f64 v[116:117], v[212:213], v[230:231]
	s_waitcnt vmcnt(0)
	v_fma_f64 v[4:5], v[212:213], v[232:233], -v[4:5]
	v_fmac_f64_e32 v[116:117], v[214:215], v[232:233]
	v_add_f64 v[2:3], v[2:3], v[4:5]
	s_waitcnt lgkmcnt(0)
	v_mul_f64 v[4:5], v[218:219], v[226:227]
	v_add_f64 v[110:111], v[110:111], v[116:117]
	v_mul_f64 v[116:117], v[216:217], v[226:227]
	v_fma_f64 v[4:5], v[216:217], v[228:229], -v[4:5]
	v_fmac_f64_e32 v[116:117], v[218:219], v[228:229]
	v_add_f64 v[2:3], v[2:3], v[4:5]
	v_add_f64 v[110:111], v[110:111], v[116:117]
	v_add_f64 v[2:3], v[46:47], -v[2:3]
	v_add_f64 v[4:5], v[44:45], -v[110:111]
	buffer_store_dword v3, off, s[0:3], 0 offset:100
	buffer_store_dword v2, off, s[0:3], 0 offset:96
	;; [unrolled: 1-line block ×4, first 2 shown]
	s_and_saveexec_b64 s[4:5], vcc
	s_cbranch_execz .LBB32_203
; %bb.202:
	v_accvgpr_read_b32 v5, a87
	buffer_load_dword v2, v5, s[0:3], 0 offen
	buffer_load_dword v3, v5, s[0:3], 0 offen offset:4
	buffer_load_dword v4, v5, s[0:3], 0 offen offset:8
	s_nop 0
	buffer_load_dword v5, v5, s[0:3], 0 offen offset:12
	s_nop 0
	buffer_store_dword v136, off, s[0:3], 0 offset:80
	buffer_store_dword v136, off, s[0:3], 0 offset:84
	;; [unrolled: 1-line block ×4, first 2 shown]
	s_waitcnt vmcnt(4)
	ds_write_b128 v1, v[2:5]
.LBB32_203:
	s_or_b64 exec, exec, s[4:5]
	s_waitcnt lgkmcnt(0)
	; wave barrier
	s_waitcnt lgkmcnt(0)
	buffer_load_dword v34, off, s[0:3], 0 offset:96
	buffer_load_dword v35, off, s[0:3], 0 offset:100
	;; [unrolled: 1-line block ×32, first 2 shown]
	ds_read_b128 v[30:33], v136 offset:608
	ds_read_b128 v[26:29], v136 offset:624
	;; [unrolled: 1-line block ×8, first 2 shown]
	buffer_load_dword v67, off, s[0:3], 0 offset:236
	buffer_load_dword v66, off, s[0:3], 0 offset:232
	;; [unrolled: 1-line block ×24, first 2 shown]
	v_cmp_lt_u32_e32 vcc, 3, v0
	s_waitcnt vmcnt(52) lgkmcnt(7)
	v_mul_f64 v[90:91], v[30:31], v[38:39]
	v_fmac_f64_e32 v[90:91], v[32:33], v[34:35]
	v_add_f64 v[90:91], v[90:91], 0
	v_mul_f64 v[32:33], v[32:33], v[38:39]
	s_waitcnt vmcnt(48) lgkmcnt(6)
	v_mul_f64 v[92:93], v[26:27], v[40:41]
	v_fmac_f64_e32 v[92:93], v[28:29], v[36:37]
	s_waitcnt vmcnt(46) lgkmcnt(5)
	v_mul_f64 v[94:95], v[22:23], v[42:43]
	v_add_f64 v[90:91], v[90:91], v[92:93]
	s_waitcnt vmcnt(44) lgkmcnt(4)
	v_mul_f64 v[96:97], v[18:19], v[48:49]
	v_fma_f64 v[30:31], v[30:31], v[34:35], -v[32:33]
	s_waitcnt vmcnt(42) lgkmcnt(1)
	v_mul_f64 v[124:125], v[2:3], v[50:51]
	v_mul_f64 v[28:29], v[28:29], v[40:41]
	s_waitcnt vmcnt(18) lgkmcnt(0)
	v_mul_f64 v[140:141], v[14:15], v[70:71]
	v_mul_f64 v[100:101], v[6:7], v[54:55]
	s_waitcnt vmcnt(16)
	v_fmac_f64_e32 v[140:141], v[16:17], v[72:73]
	v_mul_f64 v[98:99], v[10:11], v[56:57]
	v_add_f64 v[30:31], v[30:31], 0
	v_fmac_f64_e32 v[98:99], v[12:13], v[58:59]
	v_fma_f64 v[26:27], v[26:27], v[36:37], -v[28:29]
	v_fmac_f64_e32 v[94:95], v[24:25], v[64:65]
	v_add_f64 v[90:91], v[90:91], v[94:95]
	v_fmac_f64_e32 v[96:97], v[20:21], v[62:63]
	v_add_f64 v[90:91], v[90:91], v[96:97]
	;; [unrolled: 2-line block ×3, first 2 shown]
	v_add_f64 v[126:127], v[90:91], v[100:101]
	buffer_load_dword v91, off, s[0:3], 0 offset:332
	buffer_load_dword v90, off, s[0:3], 0 offset:328
	;; [unrolled: 1-line block ×56, first 2 shown]
	v_fmac_f64_e32 v[124:125], v[4:5], v[52:53]
	v_add_f64 v[138:139], v[126:127], v[124:125]
	ds_read_b128 v[124:127], v136 offset:736
	buffer_load_dword v235, off, s[0:3], 0 offset:540
	buffer_load_dword v234, off, s[0:3], 0 offset:536
	;; [unrolled: 1-line block ×4, first 2 shown]
	v_add_f64 v[142:143], v[138:139], v[140:141]
	ds_read_b128 v[138:141], v136 offset:752
	v_mul_f64 v[24:25], v[24:25], v[42:43]
	s_waitcnt lgkmcnt(1)
	v_mul_f64 v[144:145], v[124:125], v[66:67]
	v_fmac_f64_e32 v[144:145], v[126:127], v[68:69]
	v_add_f64 v[146:147], v[142:143], v[144:145]
	ds_read_b128 v[142:145], v136 offset:768
	s_waitcnt vmcnt(62) lgkmcnt(1)
	v_mul_f64 v[148:149], v[138:139], v[78:79]
	v_fmac_f64_e32 v[148:149], v[140:141], v[80:81]
	v_add_f64 v[150:151], v[146:147], v[148:149]
	ds_read_b128 v[146:149], v136 offset:784
	s_waitcnt lgkmcnt(1)
	v_mul_f64 v[152:153], v[142:143], v[74:75]
	v_fmac_f64_e32 v[152:153], v[144:145], v[76:77]
	v_add_f64 v[154:155], v[150:151], v[152:153]
	ds_read_b128 v[150:153], v136 offset:800
	s_waitcnt lgkmcnt(1)
	v_mul_f64 v[156:157], v[146:147], v[86:87]
	s_waitcnt vmcnt(60)
	v_fmac_f64_e32 v[156:157], v[148:149], v[88:89]
	v_add_f64 v[158:159], v[154:155], v[156:157]
	ds_read_b128 v[154:157], v136 offset:816
	s_waitcnt lgkmcnt(1)
	v_mul_f64 v[160:161], v[150:151], v[82:83]
	v_fmac_f64_e32 v[160:161], v[152:153], v[84:85]
	v_add_f64 v[162:163], v[158:159], v[160:161]
	ds_read_b128 v[158:161], v136 offset:832
	v_add_f64 v[26:27], v[30:31], v[26:27]
	v_fma_f64 v[22:23], v[22:23], v[64:65], -v[24:25]
	s_waitcnt vmcnt(54) lgkmcnt(1)
	v_mul_f64 v[164:165], v[154:155], v[94:95]
	v_mul_f64 v[20:21], v[20:21], v[48:49]
	s_waitcnt vmcnt(52)
	v_fmac_f64_e32 v[164:165], v[156:157], v[96:97]
	v_add_f64 v[166:167], v[162:163], v[164:165]
	ds_read_b128 v[162:165], v136 offset:848
	s_waitcnt lgkmcnt(1)
	v_mul_f64 v[168:169], v[158:159], v[90:91]
	v_fmac_f64_e32 v[168:169], v[160:161], v[92:93]
	v_add_f64 v[22:23], v[26:27], v[22:23]
	v_fma_f64 v[18:19], v[18:19], v[62:63], -v[20:21]
	v_mul_f64 v[12:13], v[12:13], v[56:57]
	v_add_f64 v[170:171], v[166:167], v[168:169]
	ds_read_b128 v[166:169], v136 offset:864
	v_add_f64 v[18:19], v[22:23], v[18:19]
	v_fma_f64 v[10:11], v[10:11], v[58:59], -v[12:13]
	v_mul_f64 v[8:9], v[8:9], v[54:55]
	v_add_f64 v[10:11], v[18:19], v[10:11]
	v_fma_f64 v[6:7], v[6:7], v[60:61], -v[8:9]
	v_mul_f64 v[4:5], v[4:5], v[50:51]
	;; [unrolled: 3-line block ×3, first 2 shown]
	s_waitcnt vmcnt(46) lgkmcnt(1)
	v_mul_f64 v[172:173], v[162:163], v[102:103]
	v_add_f64 v[2:3], v[6:7], v[2:3]
	v_fma_f64 v[4:5], v[14:15], v[72:73], -v[4:5]
	s_waitcnt vmcnt(44)
	v_fmac_f64_e32 v[172:173], v[164:165], v[104:105]
	v_add_f64 v[2:3], v[2:3], v[4:5]
	v_mul_f64 v[4:5], v[126:127], v[66:67]
	v_add_f64 v[184:185], v[170:171], v[172:173]
	ds_read_b128 v[170:173], v136 offset:880
	s_waitcnt lgkmcnt(1)
	v_mul_f64 v[186:187], v[166:167], v[98:99]
	v_fma_f64 v[4:5], v[124:125], v[68:69], -v[4:5]
	v_fmac_f64_e32 v[186:187], v[168:169], v[100:101]
	v_add_f64 v[2:3], v[2:3], v[4:5]
	v_mul_f64 v[4:5], v[140:141], v[78:79]
	v_add_f64 v[188:189], v[184:185], v[186:187]
	ds_read_b128 v[184:187], v136 offset:896
	v_fma_f64 v[4:5], v[138:139], v[80:81], -v[4:5]
	v_add_f64 v[2:3], v[2:3], v[4:5]
	v_mul_f64 v[4:5], v[144:145], v[74:75]
	v_fma_f64 v[4:5], v[142:143], v[76:77], -v[4:5]
	s_waitcnt vmcnt(38) lgkmcnt(1)
	v_mul_f64 v[190:191], v[170:171], v[110:111]
	v_add_f64 v[2:3], v[2:3], v[4:5]
	v_mul_f64 v[4:5], v[148:149], v[86:87]
	s_waitcnt vmcnt(36)
	v_fmac_f64_e32 v[190:191], v[172:173], v[112:113]
	v_fma_f64 v[4:5], v[146:147], v[88:89], -v[4:5]
	v_add_f64 v[192:193], v[188:189], v[190:191]
	ds_read_b128 v[188:191], v136 offset:912
	s_waitcnt lgkmcnt(1)
	v_mul_f64 v[194:195], v[184:185], v[106:107]
	v_add_f64 v[2:3], v[2:3], v[4:5]
	v_mul_f64 v[4:5], v[152:153], v[82:83]
	v_fmac_f64_e32 v[194:195], v[186:187], v[108:109]
	v_fma_f64 v[4:5], v[150:151], v[84:85], -v[4:5]
	v_add_f64 v[196:197], v[192:193], v[194:195]
	ds_read_b128 v[192:195], v136 offset:928
	v_add_f64 v[2:3], v[2:3], v[4:5]
	v_mul_f64 v[4:5], v[156:157], v[94:95]
	v_fma_f64 v[4:5], v[154:155], v[96:97], -v[4:5]
	v_add_f64 v[2:3], v[2:3], v[4:5]
	v_mul_f64 v[4:5], v[160:161], v[90:91]
	s_waitcnt vmcnt(30) lgkmcnt(1)
	v_mul_f64 v[198:199], v[188:189], v[120:121]
	v_fma_f64 v[4:5], v[158:159], v[92:93], -v[4:5]
	s_waitcnt vmcnt(28)
	v_fmac_f64_e32 v[198:199], v[190:191], v[122:123]
	v_add_f64 v[2:3], v[2:3], v[4:5]
	v_mul_f64 v[4:5], v[164:165], v[102:103]
	v_add_f64 v[200:201], v[196:197], v[198:199]
	ds_read_b128 v[196:199], v136 offset:944
	s_waitcnt lgkmcnt(1)
	v_mul_f64 v[202:203], v[192:193], v[114:115]
	v_fma_f64 v[4:5], v[162:163], v[104:105], -v[4:5]
	v_fmac_f64_e32 v[202:203], v[194:195], v[116:117]
	v_add_f64 v[2:3], v[2:3], v[4:5]
	v_mul_f64 v[4:5], v[168:169], v[98:99]
	v_add_f64 v[204:205], v[200:201], v[202:203]
	ds_read_b128 v[200:203], v136 offset:960
	v_fma_f64 v[4:5], v[166:167], v[100:101], -v[4:5]
	v_add_f64 v[2:3], v[2:3], v[4:5]
	v_mul_f64 v[4:5], v[172:173], v[110:111]
	v_fma_f64 v[4:5], v[170:171], v[112:113], -v[4:5]
	s_waitcnt vmcnt(22) lgkmcnt(1)
	v_mul_f64 v[206:207], v[196:197], v[132:133]
	v_add_f64 v[2:3], v[2:3], v[4:5]
	v_mul_f64 v[4:5], v[186:187], v[106:107]
	s_waitcnt vmcnt(20)
	v_fmac_f64_e32 v[206:207], v[198:199], v[134:135]
	v_fma_f64 v[4:5], v[184:185], v[108:109], -v[4:5]
	v_add_f64 v[208:209], v[204:205], v[206:207]
	ds_read_b128 v[204:207], v136 offset:976
	s_waitcnt lgkmcnt(1)
	v_mul_f64 v[210:211], v[200:201], v[128:129]
	v_add_f64 v[2:3], v[2:3], v[4:5]
	v_mul_f64 v[4:5], v[190:191], v[120:121]
	v_fmac_f64_e32 v[210:211], v[202:203], v[130:131]
	v_fma_f64 v[4:5], v[188:189], v[122:123], -v[4:5]
	v_add_f64 v[212:213], v[208:209], v[210:211]
	ds_read_b128 v[208:211], v136 offset:992
	v_add_f64 v[2:3], v[2:3], v[4:5]
	v_mul_f64 v[4:5], v[194:195], v[114:115]
	v_fma_f64 v[4:5], v[192:193], v[116:117], -v[4:5]
	v_add_f64 v[2:3], v[2:3], v[4:5]
	v_mul_f64 v[4:5], v[198:199], v[132:133]
	s_waitcnt vmcnt(14) lgkmcnt(1)
	v_mul_f64 v[214:215], v[204:205], v[178:179]
	v_fma_f64 v[4:5], v[196:197], v[134:135], -v[4:5]
	s_waitcnt vmcnt(12)
	v_fmac_f64_e32 v[214:215], v[206:207], v[224:225]
	v_add_f64 v[2:3], v[2:3], v[4:5]
	v_mul_f64 v[4:5], v[202:203], v[128:129]
	v_add_f64 v[216:217], v[212:213], v[214:215]
	ds_read_b128 v[212:215], v136 offset:1008
	s_waitcnt lgkmcnt(1)
	v_mul_f64 v[218:219], v[208:209], v[174:175]
	v_fma_f64 v[4:5], v[200:201], v[130:131], -v[4:5]
	v_fmac_f64_e32 v[218:219], v[210:211], v[176:177]
	v_add_f64 v[2:3], v[2:3], v[4:5]
	v_mul_f64 v[4:5], v[206:207], v[178:179]
	v_add_f64 v[238:239], v[216:217], v[218:219]
	ds_read_b128 v[216:219], v136 offset:1024
	v_fma_f64 v[4:5], v[204:205], v[224:225], -v[4:5]
	v_add_f64 v[2:3], v[2:3], v[4:5]
	v_mul_f64 v[4:5], v[210:211], v[174:175]
	ds_read_b128 v[220:223], v136 offset:1040
	v_fma_f64 v[4:5], v[208:209], v[176:177], -v[4:5]
	v_add_f64 v[2:3], v[2:3], v[4:5]
	s_waitcnt vmcnt(6) lgkmcnt(2)
	v_mul_f64 v[4:5], v[214:215], v[230:231]
	v_mul_f64 v[240:241], v[212:213], v[230:231]
	s_waitcnt vmcnt(4)
	v_fma_f64 v[4:5], v[212:213], v[232:233], -v[4:5]
	v_fmac_f64_e32 v[240:241], v[214:215], v[232:233]
	v_add_f64 v[2:3], v[2:3], v[4:5]
	s_waitcnt lgkmcnt(1)
	v_mul_f64 v[4:5], v[218:219], v[226:227]
	v_add_f64 v[136:137], v[238:239], v[240:241]
	v_mul_f64 v[238:239], v[216:217], v[226:227]
	v_fma_f64 v[4:5], v[216:217], v[228:229], -v[4:5]
	v_fmac_f64_e32 v[238:239], v[218:219], v[228:229]
	v_add_f64 v[2:3], v[2:3], v[4:5]
	s_waitcnt vmcnt(2) lgkmcnt(0)
	v_mul_f64 v[4:5], v[222:223], v[234:235]
	v_add_f64 v[136:137], v[136:137], v[238:239]
	v_mul_f64 v[238:239], v[220:221], v[234:235]
	s_waitcnt vmcnt(0)
	v_fma_f64 v[4:5], v[220:221], v[236:237], -v[4:5]
	v_fmac_f64_e32 v[238:239], v[222:223], v[236:237]
	v_add_f64 v[2:3], v[2:3], v[4:5]
	v_add_f64 v[136:137], v[136:137], v[238:239]
	v_add_f64 v[2:3], v[46:47], -v[2:3]
	v_add_f64 v[4:5], v[44:45], -v[136:137]
	buffer_store_dword v3, off, s[0:3], 0 offset:84
	buffer_store_dword v2, off, s[0:3], 0 offset:80
	;; [unrolled: 1-line block ×4, first 2 shown]
	s_and_saveexec_b64 s[4:5], vcc
	s_cbranch_execz .LBB32_205
; %bb.204:
	v_accvgpr_read_b32 v5, a91
	buffer_load_dword v2, v5, s[0:3], 0 offen
	buffer_load_dword v3, v5, s[0:3], 0 offen offset:4
	buffer_load_dword v4, v5, s[0:3], 0 offen offset:8
	s_nop 0
	buffer_load_dword v5, v5, s[0:3], 0 offen offset:12
	v_mov_b32_e32 v6, 0
	buffer_store_dword v6, off, s[0:3], 0 offset:64
	buffer_store_dword v6, off, s[0:3], 0 offset:68
	;; [unrolled: 1-line block ×4, first 2 shown]
	s_waitcnt vmcnt(4)
	ds_write_b128 v1, v[2:5]
.LBB32_205:
	s_or_b64 exec, exec, s[4:5]
	s_waitcnt lgkmcnt(0)
	; wave barrier
	s_waitcnt lgkmcnt(0)
	buffer_load_dword v38, off, s[0:3], 0 offset:80
	buffer_load_dword v39, off, s[0:3], 0 offset:84
	;; [unrolled: 1-line block ×48, first 2 shown]
	v_mov_b32_e32 v152, 0
	ds_read_b128 v[34:37], v152 offset:592
	ds_read_b128 v[30:33], v152 offset:608
	;; [unrolled: 1-line block ×9, first 2 shown]
	v_cmp_lt_u32_e32 vcc, 2, v0
	s_waitcnt vmcnt(44) lgkmcnt(8)
	v_mul_f64 v[86:87], v[34:35], v[42:43]
	v_fmac_f64_e32 v[86:87], v[36:37], v[38:39]
	v_add_f64 v[86:87], v[86:87], 0
	v_mul_f64 v[36:37], v[36:37], v[42:43]
	s_waitcnt vmcnt(40) lgkmcnt(7)
	v_mul_f64 v[88:89], v[30:31], v[44:45]
	v_fmac_f64_e32 v[88:89], v[32:33], v[40:41]
	s_waitcnt vmcnt(38) lgkmcnt(6)
	v_mul_f64 v[90:91], v[26:27], v[46:47]
	v_add_f64 v[86:87], v[86:87], v[88:89]
	s_waitcnt vmcnt(36) lgkmcnt(4)
	v_mul_f64 v[94:95], v[18:19], v[48:49]
	v_fma_f64 v[34:35], v[34:35], v[38:39], -v[36:37]
	s_waitcnt vmcnt(34)
	v_fmac_f64_e32 v[94:95], v[20:21], v[50:51]
	v_mul_f64 v[32:33], v[32:33], v[44:45]
	s_waitcnt vmcnt(32)
	v_mul_f64 v[92:93], v[22:23], v[52:53]
	v_add_f64 v[34:35], v[34:35], 0
	s_waitcnt vmcnt(30) lgkmcnt(2)
	v_mul_f64 v[98:99], v[10:11], v[54:55]
	v_fma_f64 v[30:31], v[30:31], v[40:41], -v[32:33]
	s_waitcnt vmcnt(28)
	v_fmac_f64_e32 v[98:99], v[12:13], v[56:57]
	v_add_f64 v[30:31], v[34:35], v[30:31]
	s_waitcnt vmcnt(26)
	v_mul_f64 v[96:97], v[14:15], v[58:59]
	v_mul_f64 v[20:21], v[20:21], v[48:49]
	v_fma_f64 v[18:19], v[18:19], v[50:51], -v[20:21]
	v_mul_f64 v[12:13], v[12:13], v[54:55]
	s_waitcnt vmcnt(22) lgkmcnt(1)
	v_mul_f64 v[110:111], v[6:7], v[68:69]
	v_fma_f64 v[10:11], v[10:11], v[56:57], -v[12:13]
	s_waitcnt vmcnt(20)
	v_fmac_f64_e32 v[90:91], v[28:29], v[76:77]
	v_add_f64 v[86:87], v[86:87], v[90:91]
	s_waitcnt vmcnt(18)
	v_fmac_f64_e32 v[92:93], v[24:25], v[74:75]
	v_add_f64 v[86:87], v[86:87], v[92:93]
	;; [unrolled: 3-line block ×3, first 2 shown]
	v_add_f64 v[86:87], v[86:87], v[96:97]
	v_add_f64 v[112:113], v[86:87], v[98:99]
	buffer_load_dword v87, off, s[0:3], 0 offset:284
	buffer_load_dword v86, off, s[0:3], 0 offset:280
	;; [unrolled: 1-line block ×72, first 2 shown]
	s_waitcnt vmcnt(62)
	v_fmac_f64_e32 v[110:111], v[8:9], v[70:71]
	v_add_f64 v[144:145], v[112:113], v[110:111]
	ds_read_b128 v[110:113], v152 offset:736
	s_waitcnt lgkmcnt(1)
	v_mul_f64 v[146:147], v[2:3], v[64:65]
	v_fmac_f64_e32 v[146:147], v[4:5], v[66:67]
	v_add_f64 v[148:149], v[144:145], v[146:147]
	ds_read_b128 v[144:147], v152 offset:752
	s_waitcnt lgkmcnt(1)
	v_mul_f64 v[150:151], v[110:111], v[82:83]
	;; [unrolled: 5-line block ×5, first 2 shown]
	v_fmac_f64_e32 v[164:165], v[156:157], v[88:89]
	v_add_f64 v[166:167], v[162:163], v[164:165]
	ds_read_b128 v[162:165], v152 offset:816
	s_waitcnt vmcnt(58) lgkmcnt(1)
	v_mul_f64 v[168:169], v[158:159], v[98:99]
	s_waitcnt vmcnt(56)
	v_fmac_f64_e32 v[168:169], v[160:161], v[100:101]
	v_add_f64 v[170:171], v[166:167], v[168:169]
	ds_read_b128 v[166:169], v152 offset:832
	s_waitcnt lgkmcnt(1)
	v_mul_f64 v[172:173], v[162:163], v[94:95]
	v_fmac_f64_e32 v[172:173], v[164:165], v[96:97]
	v_mul_f64 v[28:29], v[28:29], v[46:47]
	v_add_f64 v[184:185], v[170:171], v[172:173]
	ds_read_b128 v[170:173], v152 offset:848
	s_waitcnt vmcnt(50) lgkmcnt(1)
	v_mul_f64 v[186:187], v[166:167], v[106:107]
	v_fma_f64 v[26:27], v[26:27], v[76:77], -v[28:29]
	v_mul_f64 v[24:25], v[24:25], v[52:53]
	s_waitcnt vmcnt(48)
	v_fmac_f64_e32 v[186:187], v[168:169], v[108:109]
	v_add_f64 v[26:27], v[30:31], v[26:27]
	v_fma_f64 v[22:23], v[22:23], v[74:75], -v[24:25]
	v_add_f64 v[188:189], v[184:185], v[186:187]
	ds_read_b128 v[184:187], v152 offset:864
	v_add_f64 v[22:23], v[26:27], v[22:23]
	v_mul_f64 v[16:17], v[16:17], v[58:59]
	v_add_f64 v[18:19], v[22:23], v[18:19]
	v_fma_f64 v[14:15], v[14:15], v[72:73], -v[16:17]
	v_add_f64 v[14:15], v[18:19], v[14:15]
	v_mul_f64 v[8:9], v[8:9], v[68:69]
	s_waitcnt lgkmcnt(1)
	v_mul_f64 v[190:191], v[170:171], v[102:103]
	v_add_f64 v[10:11], v[14:15], v[10:11]
	v_fma_f64 v[6:7], v[6:7], v[70:71], -v[8:9]
	v_mul_f64 v[4:5], v[4:5], v[64:65]
	v_fmac_f64_e32 v[190:191], v[172:173], v[104:105]
	v_add_f64 v[6:7], v[10:11], v[6:7]
	v_fma_f64 v[2:3], v[2:3], v[66:67], -v[4:5]
	v_mul_f64 v[4:5], v[112:113], v[82:83]
	v_add_f64 v[192:193], v[188:189], v[190:191]
	ds_read_b128 v[188:191], v152 offset:880
	s_waitcnt vmcnt(42) lgkmcnt(1)
	v_mul_f64 v[194:195], v[184:185], v[120:121]
	v_add_f64 v[2:3], v[6:7], v[2:3]
	v_fma_f64 v[4:5], v[110:111], v[84:85], -v[4:5]
	s_waitcnt vmcnt(40)
	v_fmac_f64_e32 v[194:195], v[186:187], v[122:123]
	v_add_f64 v[2:3], v[2:3], v[4:5]
	v_mul_f64 v[4:5], v[146:147], v[78:79]
	v_add_f64 v[196:197], v[192:193], v[194:195]
	ds_read_b128 v[192:195], v152 offset:896
	v_fma_f64 v[4:5], v[144:145], v[80:81], -v[4:5]
	v_add_f64 v[2:3], v[2:3], v[4:5]
	v_mul_f64 v[4:5], v[150:151], v[90:91]
	v_fma_f64 v[4:5], v[148:149], v[92:93], -v[4:5]
	s_waitcnt lgkmcnt(1)
	v_mul_f64 v[198:199], v[188:189], v[114:115]
	v_add_f64 v[2:3], v[2:3], v[4:5]
	v_mul_f64 v[4:5], v[156:157], v[86:87]
	v_fmac_f64_e32 v[198:199], v[190:191], v[116:117]
	v_fma_f64 v[4:5], v[154:155], v[88:89], -v[4:5]
	v_add_f64 v[200:201], v[196:197], v[198:199]
	ds_read_b128 v[196:199], v152 offset:912
	s_waitcnt vmcnt(34) lgkmcnt(1)
	v_mul_f64 v[202:203], v[192:193], v[128:129]
	v_add_f64 v[2:3], v[2:3], v[4:5]
	v_mul_f64 v[4:5], v[160:161], v[98:99]
	s_waitcnt vmcnt(32)
	v_fmac_f64_e32 v[202:203], v[194:195], v[130:131]
	v_fma_f64 v[4:5], v[158:159], v[100:101], -v[4:5]
	v_add_f64 v[204:205], v[200:201], v[202:203]
	ds_read_b128 v[200:203], v152 offset:928
	v_add_f64 v[2:3], v[2:3], v[4:5]
	v_mul_f64 v[4:5], v[164:165], v[94:95]
	v_fma_f64 v[4:5], v[162:163], v[96:97], -v[4:5]
	v_add_f64 v[2:3], v[2:3], v[4:5]
	v_mul_f64 v[4:5], v[168:169], v[106:107]
	s_waitcnt lgkmcnt(1)
	v_mul_f64 v[206:207], v[196:197], v[124:125]
	v_fma_f64 v[4:5], v[166:167], v[108:109], -v[4:5]
	v_fmac_f64_e32 v[206:207], v[198:199], v[126:127]
	v_add_f64 v[2:3], v[2:3], v[4:5]
	v_mul_f64 v[4:5], v[172:173], v[102:103]
	v_add_f64 v[208:209], v[204:205], v[206:207]
	ds_read_b128 v[204:207], v152 offset:944
	s_waitcnt vmcnt(26) lgkmcnt(1)
	v_mul_f64 v[210:211], v[200:201], v[136:137]
	v_fma_f64 v[4:5], v[170:171], v[104:105], -v[4:5]
	s_waitcnt vmcnt(24)
	v_fmac_f64_e32 v[210:211], v[202:203], v[138:139]
	v_add_f64 v[2:3], v[2:3], v[4:5]
	v_mul_f64 v[4:5], v[186:187], v[120:121]
	v_add_f64 v[212:213], v[208:209], v[210:211]
	ds_read_b128 v[208:211], v152 offset:960
	v_fma_f64 v[4:5], v[184:185], v[122:123], -v[4:5]
	v_add_f64 v[2:3], v[2:3], v[4:5]
	v_mul_f64 v[4:5], v[190:191], v[114:115]
	v_fma_f64 v[4:5], v[188:189], v[116:117], -v[4:5]
	s_waitcnt lgkmcnt(1)
	v_mul_f64 v[214:215], v[204:205], v[132:133]
	v_add_f64 v[2:3], v[2:3], v[4:5]
	v_mul_f64 v[4:5], v[194:195], v[128:129]
	v_fmac_f64_e32 v[214:215], v[206:207], v[134:135]
	v_fma_f64 v[4:5], v[192:193], v[130:131], -v[4:5]
	v_add_f64 v[216:217], v[212:213], v[214:215]
	ds_read_b128 v[212:215], v152 offset:976
	s_waitcnt vmcnt(18) lgkmcnt(1)
	v_mul_f64 v[218:219], v[208:209], v[174:175]
	v_add_f64 v[2:3], v[2:3], v[4:5]
	v_mul_f64 v[4:5], v[198:199], v[124:125]
	s_waitcnt vmcnt(16)
	v_fmac_f64_e32 v[218:219], v[210:211], v[176:177]
	v_fma_f64 v[4:5], v[196:197], v[126:127], -v[4:5]
	v_add_f64 v[220:221], v[216:217], v[218:219]
	ds_read_b128 v[216:219], v152 offset:992
	v_add_f64 v[2:3], v[2:3], v[4:5]
	v_mul_f64 v[4:5], v[202:203], v[136:137]
	v_fma_f64 v[4:5], v[200:201], v[138:139], -v[4:5]
	v_add_f64 v[2:3], v[2:3], v[4:5]
	v_mul_f64 v[4:5], v[206:207], v[132:133]
	s_waitcnt lgkmcnt(1)
	v_mul_f64 v[222:223], v[212:213], v[140:141]
	v_fma_f64 v[4:5], v[204:205], v[134:135], -v[4:5]
	v_fmac_f64_e32 v[222:223], v[214:215], v[142:143]
	v_add_f64 v[2:3], v[2:3], v[4:5]
	v_mul_f64 v[4:5], v[210:211], v[174:175]
	v_add_f64 v[224:225], v[220:221], v[222:223]
	ds_read_b128 v[220:223], v152 offset:1008
	s_waitcnt vmcnt(10) lgkmcnt(1)
	v_mul_f64 v[226:227], v[216:217], v[234:235]
	v_fma_f64 v[4:5], v[208:209], v[176:177], -v[4:5]
	s_waitcnt vmcnt(8)
	v_fmac_f64_e32 v[226:227], v[218:219], v[236:237]
	v_add_f64 v[2:3], v[2:3], v[4:5]
	v_mul_f64 v[4:5], v[214:215], v[140:141]
	v_add_f64 v[246:247], v[224:225], v[226:227]
	ds_read_b128 v[224:227], v152 offset:1024
	ds_read_b128 v[228:231], v152 offset:1040
	v_fma_f64 v[4:5], v[212:213], v[142:143], -v[4:5]
	v_add_f64 v[2:3], v[2:3], v[4:5]
	v_mul_f64 v[4:5], v[218:219], v[234:235]
	v_fma_f64 v[4:5], v[216:217], v[236:237], -v[4:5]
	v_add_f64 v[2:3], v[2:3], v[4:5]
	s_waitcnt lgkmcnt(2)
	v_mul_f64 v[4:5], v[222:223], v[178:179]
	v_mul_f64 v[248:249], v[220:221], v[178:179]
	v_fma_f64 v[4:5], v[220:221], v[232:233], -v[4:5]
	v_fmac_f64_e32 v[248:249], v[222:223], v[232:233]
	v_add_f64 v[2:3], v[2:3], v[4:5]
	s_waitcnt vmcnt(2) lgkmcnt(1)
	v_mul_f64 v[4:5], v[226:227], v[242:243]
	v_add_f64 v[246:247], v[246:247], v[248:249]
	v_mul_f64 v[248:249], v[224:225], v[242:243]
	s_waitcnt vmcnt(0)
	v_fma_f64 v[4:5], v[224:225], v[244:245], -v[4:5]
	v_fmac_f64_e32 v[248:249], v[226:227], v[244:245]
	v_add_f64 v[2:3], v[2:3], v[4:5]
	s_waitcnt lgkmcnt(0)
	v_mul_f64 v[4:5], v[230:231], v[238:239]
	v_add_f64 v[246:247], v[246:247], v[248:249]
	v_mul_f64 v[248:249], v[228:229], v[238:239]
	v_fma_f64 v[4:5], v[228:229], v[240:241], -v[4:5]
	v_fmac_f64_e32 v[248:249], v[230:231], v[240:241]
	v_add_f64 v[2:3], v[2:3], v[4:5]
	v_add_f64 v[246:247], v[246:247], v[248:249]
	v_add_f64 v[2:3], v[62:63], -v[2:3]
	v_add_f64 v[4:5], v[60:61], -v[246:247]
	buffer_store_dword v3, off, s[0:3], 0 offset:68
	buffer_store_dword v2, off, s[0:3], 0 offset:64
	;; [unrolled: 1-line block ×4, first 2 shown]
	s_and_saveexec_b64 s[4:5], vcc
	s_cbranch_execz .LBB32_207
; %bb.206:
	v_accvgpr_read_b32 v5, a89
	buffer_load_dword v2, v5, s[0:3], 0 offen
	buffer_load_dword v3, v5, s[0:3], 0 offen offset:4
	buffer_load_dword v4, v5, s[0:3], 0 offen offset:8
	s_nop 0
	buffer_load_dword v5, v5, s[0:3], 0 offen offset:12
	s_nop 0
	buffer_store_dword v152, off, s[0:3], 0 offset:48
	buffer_store_dword v152, off, s[0:3], 0 offset:52
	;; [unrolled: 1-line block ×4, first 2 shown]
	s_waitcnt vmcnt(4)
	ds_write_b128 v1, v[2:5]
.LBB32_207:
	s_or_b64 exec, exec, s[4:5]
	s_waitcnt lgkmcnt(0)
	; wave barrier
	s_waitcnt lgkmcnt(0)
	buffer_load_dword v48, off, s[0:3], 0 offset:64
	buffer_load_dword v49, off, s[0:3], 0 offset:68
	buffer_load_dword v50, off, s[0:3], 0 offset:72
	buffer_load_dword v51, off, s[0:3], 0 offset:76
	buffer_load_dword v42, off, s[0:3], 0 offset:80
	buffer_load_dword v43, off, s[0:3], 0 offset:84
	buffer_load_dword v44, off, s[0:3], 0 offset:88
	buffer_load_dword v45, off, s[0:3], 0 offset:92
	buffer_load_dword v46, off, s[0:3], 0 offset:104
	buffer_load_dword v47, off, s[0:3], 0 offset:108
	buffer_load_dword v53, off, s[0:3], 0 offset:140
	buffer_load_dword v52, off, s[0:3], 0 offset:136
	buffer_load_dword v55, off, s[0:3], 0 offset:132
	buffer_load_dword v54, off, s[0:3], 0 offset:128
	buffer_load_dword v57, off, s[0:3], 0 offset:124
	buffer_load_dword v56, off, s[0:3], 0 offset:120
	buffer_load_dword v63, off, s[0:3], 0 offset:156
	buffer_load_dword v62, off, s[0:3], 0 offset:152
	buffer_load_dword v65, off, s[0:3], 0 offset:204
	buffer_load_dword v64, off, s[0:3], 0 offset:200
	buffer_load_dword v67, off, s[0:3], 0 offset:196
	buffer_load_dword v69, off, s[0:3], 0 offset:188
	buffer_load_dword v68, off, s[0:3], 0 offset:184
	buffer_load_dword v71, off, s[0:3], 0 offset:172
	buffer_load_dword v70, off, s[0:3], 0 offset:168
	buffer_load_dword v73, off, s[0:3], 0 offset:164
	buffer_load_dword v72, off, s[0:3], 0 offset:160
	buffer_load_dword v80, off, s[0:3], 0 offset:96
	buffer_load_dword v81, off, s[0:3], 0 offset:100
	buffer_load_dword v79, off, s[0:3], 0 offset:116
	buffer_load_dword v78, off, s[0:3], 0 offset:112
	buffer_load_dword v77, off, s[0:3], 0 offset:148
	buffer_load_dword v76, off, s[0:3], 0 offset:144
	buffer_load_dword v75, off, s[0:3], 0 offset:180
	buffer_load_dword v74, off, s[0:3], 0 offset:176
	buffer_load_dword v66, off, s[0:3], 0 offset:192
	buffer_load_dword v60, off, s[0:3], 0 offset:48
	buffer_load_dword v61, off, s[0:3], 0 offset:52
	buffer_load_dword v58, off, s[0:3], 0 offset:56
	buffer_load_dword v59, off, s[0:3], 0 offset:60
	ds_read_b128 v[38:41], v152 offset:576
	ds_read_b128 v[34:37], v152 offset:592
	;; [unrolled: 1-line block ×10, first 2 shown]
	buffer_load_dword v83, off, s[0:3], 0 offset:236
	buffer_load_dword v82, off, s[0:3], 0 offset:232
	;; [unrolled: 1-line block ×8, first 2 shown]
	v_cmp_lt_u32_e32 vcc, 1, v0
	s_waitcnt vmcnt(44) lgkmcnt(9)
	v_mul_f64 v[90:91], v[38:39], v[50:51]
	v_fmac_f64_e32 v[90:91], v[40:41], v[48:49]
	v_add_f64 v[90:91], v[90:91], 0
	v_mul_f64 v[40:41], v[40:41], v[50:51]
	s_waitcnt vmcnt(40) lgkmcnt(8)
	v_mul_f64 v[92:93], v[34:35], v[44:45]
	v_fmac_f64_e32 v[92:93], v[36:37], v[42:43]
	s_waitcnt vmcnt(38) lgkmcnt(7)
	v_mul_f64 v[94:95], v[30:31], v[46:47]
	v_add_f64 v[90:91], v[90:91], v[92:93]
	s_waitcnt vmcnt(36) lgkmcnt(5)
	v_mul_f64 v[98:99], v[22:23], v[52:53]
	v_mul_f64 v[36:37], v[36:37], v[44:45]
	s_waitcnt vmcnt(34)
	v_fmac_f64_e32 v[98:99], v[24:25], v[54:55]
	v_fma_f64 v[34:35], v[34:35], v[42:43], -v[36:37]
	s_waitcnt vmcnt(32)
	v_mul_f64 v[96:97], v[26:27], v[56:57]
	v_mul_f64 v[24:25], v[24:25], v[52:53]
	s_waitcnt vmcnt(30) lgkmcnt(4)
	v_mul_f64 v[100:101], v[18:19], v[62:63]
	v_fma_f64 v[22:23], v[22:23], v[54:55], -v[24:25]
	s_waitcnt vmcnt(28) lgkmcnt(1)
	v_mul_f64 v[124:125], v[2:3], v[64:65]
	s_waitcnt vmcnt(25)
	v_mul_f64 v[104:105], v[6:7], v[68:69]
	s_waitcnt vmcnt(23)
	;; [unrolled: 2-line block ×3, first 2 shown]
	v_fmac_f64_e32 v[102:103], v[12:13], v[72:73]
	v_mul_f64 v[12:13], v[12:13], v[70:71]
	s_waitcnt vmcnt(19)
	v_fmac_f64_e32 v[94:95], v[32:33], v[80:81]
	v_add_f64 v[90:91], v[90:91], v[94:95]
	s_waitcnt vmcnt(17)
	v_fmac_f64_e32 v[96:97], v[28:29], v[78:79]
	v_add_f64 v[90:91], v[90:91], v[96:97]
	;; [unrolled: 3-line block ×3, first 2 shown]
	v_add_f64 v[90:91], v[90:91], v[100:101]
	s_waitcnt vmcnt(13)
	v_fmac_f64_e32 v[104:105], v[8:9], v[74:75]
	v_add_f64 v[90:91], v[90:91], v[102:103]
	v_add_f64 v[126:127], v[90:91], v[104:105]
	buffer_load_dword v91, off, s[0:3], 0 offset:268
	buffer_load_dword v90, off, s[0:3], 0 offset:264
	;; [unrolled: 1-line block ×72, first 2 shown]
	s_waitcnt vmcnt(62)
	v_fmac_f64_e32 v[124:125], v[4:5], v[66:67]
	v_add_f64 v[154:155], v[126:127], v[124:125]
	ds_read_b128 v[124:127], v152 offset:736
	buffer_load_dword v243, off, s[0:3], 0 offset:540
	buffer_load_dword v242, off, s[0:3], 0 offset:536
	;; [unrolled: 1-line block ×4, first 2 shown]
	s_waitcnt lgkmcnt(1)
	v_mul_f64 v[156:157], v[14:15], v[86:87]
	v_fmac_f64_e32 v[156:157], v[16:17], v[88:89]
	v_add_f64 v[158:159], v[154:155], v[156:157]
	ds_read_b128 v[154:157], v152 offset:752
	s_waitcnt lgkmcnt(1)
	v_mul_f64 v[160:161], v[124:125], v[82:83]
	v_fmac_f64_e32 v[160:161], v[126:127], v[84:85]
	v_add_f64 v[162:163], v[158:159], v[160:161]
	ds_read_b128 v[158:161], v152 offset:768
	v_mul_f64 v[32:33], v[32:33], v[46:47]
	s_waitcnt lgkmcnt(1)
	v_mul_f64 v[164:165], v[154:155], v[94:95]
	v_fma_f64 v[30:31], v[30:31], v[80:81], -v[32:33]
	v_fmac_f64_e32 v[164:165], v[156:157], v[96:97]
	v_add_f64 v[166:167], v[162:163], v[164:165]
	ds_read_b128 v[162:165], v152 offset:784
	s_waitcnt lgkmcnt(1)
	v_mul_f64 v[168:169], v[158:159], v[90:91]
	v_fmac_f64_e32 v[168:169], v[160:161], v[92:93]
	v_add_f64 v[170:171], v[166:167], v[168:169]
	ds_read_b128 v[166:169], v152 offset:800
	s_waitcnt vmcnt(62) lgkmcnt(1)
	v_mul_f64 v[172:173], v[162:163], v[102:103]
	s_waitcnt vmcnt(60)
	v_fmac_f64_e32 v[172:173], v[164:165], v[104:105]
	v_add_f64 v[184:185], v[170:171], v[172:173]
	ds_read_b128 v[170:173], v152 offset:816
	s_waitcnt lgkmcnt(1)
	v_mul_f64 v[186:187], v[166:167], v[98:99]
	v_fmac_f64_e32 v[186:187], v[168:169], v[100:101]
	v_add_f64 v[188:189], v[184:185], v[186:187]
	ds_read_b128 v[184:187], v152 offset:832
	s_waitcnt vmcnt(54) lgkmcnt(1)
	v_mul_f64 v[190:191], v[170:171], v[110:111]
	s_waitcnt vmcnt(52)
	;; [unrolled: 11-line block ×7, first 2 shown]
	v_fmac_f64_e32 v[230:231], v[222:223], v[232:233]
	v_add_f64 v[246:247], v[228:229], v[230:231]
	ds_read_b128 v[228:231], v152 offset:1008
	s_waitcnt lgkmcnt(1)
	v_mul_f64 v[248:249], v[224:225], v[174:175]
	v_fmac_f64_e32 v[248:249], v[226:227], v[176:177]
	v_add_f64 v[246:247], v[246:247], v[248:249]
	v_fma_f64 v[248:249], v[38:39], v[48:49], -v[40:41]
	ds_read_b128 v[38:41], v152 offset:1024
	ds_read_b128 v[48:51], v152 offset:1040
	s_waitcnt vmcnt(6) lgkmcnt(2)
	v_mul_f64 v[250:251], v[228:229], v[238:239]
	s_waitcnt vmcnt(4)
	v_fmac_f64_e32 v[250:251], v[230:231], v[240:241]
	v_add_f64 v[152:153], v[246:247], v[250:251]
	s_waitcnt lgkmcnt(1)
	v_mul_f64 v[246:247], v[38:39], v[234:235]
	v_fmac_f64_e32 v[246:247], v[40:41], v[236:237]
	v_add_f64 v[152:153], v[152:153], v[246:247]
	s_waitcnt vmcnt(2) lgkmcnt(0)
	v_mul_f64 v[246:247], v[48:49], v[242:243]
	s_waitcnt vmcnt(0)
	v_fmac_f64_e32 v[246:247], v[50:51], v[244:245]
	v_add_f64 v[152:153], v[152:153], v[246:247]
	v_add_f64 v[246:247], v[248:249], 0
	;; [unrolled: 1-line block ×3, first 2 shown]
	v_mul_f64 v[28:29], v[28:29], v[56:57]
	v_add_f64 v[30:31], v[34:35], v[30:31]
	v_fma_f64 v[26:27], v[26:27], v[78:79], -v[28:29]
	v_add_f64 v[26:27], v[30:31], v[26:27]
	v_mul_f64 v[20:21], v[20:21], v[62:63]
	v_add_f64 v[22:23], v[26:27], v[22:23]
	v_fma_f64 v[18:19], v[18:19], v[76:77], -v[20:21]
	v_add_f64 v[18:19], v[22:23], v[18:19]
	v_fma_f64 v[10:11], v[10:11], v[72:73], -v[12:13]
	v_mul_f64 v[8:9], v[8:9], v[68:69]
	v_add_f64 v[10:11], v[18:19], v[10:11]
	v_fma_f64 v[6:7], v[6:7], v[74:75], -v[8:9]
	v_mul_f64 v[4:5], v[4:5], v[64:65]
	;; [unrolled: 3-line block ×3, first 2 shown]
	v_add_f64 v[2:3], v[6:7], v[2:3]
	v_fma_f64 v[4:5], v[14:15], v[88:89], -v[4:5]
	v_add_f64 v[2:3], v[2:3], v[4:5]
	v_mul_f64 v[4:5], v[126:127], v[82:83]
	v_fma_f64 v[4:5], v[124:125], v[84:85], -v[4:5]
	v_add_f64 v[2:3], v[2:3], v[4:5]
	v_mul_f64 v[4:5], v[156:157], v[94:95]
	v_fma_f64 v[4:5], v[154:155], v[96:97], -v[4:5]
	v_add_f64 v[2:3], v[2:3], v[4:5]
	v_mul_f64 v[4:5], v[160:161], v[90:91]
	v_fma_f64 v[4:5], v[158:159], v[92:93], -v[4:5]
	v_add_f64 v[2:3], v[2:3], v[4:5]
	v_mul_f64 v[4:5], v[164:165], v[102:103]
	v_fma_f64 v[4:5], v[162:163], v[104:105], -v[4:5]
	v_add_f64 v[2:3], v[2:3], v[4:5]
	v_mul_f64 v[4:5], v[168:169], v[98:99]
	v_fma_f64 v[4:5], v[166:167], v[100:101], -v[4:5]
	v_add_f64 v[2:3], v[2:3], v[4:5]
	v_mul_f64 v[4:5], v[172:173], v[110:111]
	v_fma_f64 v[4:5], v[170:171], v[112:113], -v[4:5]
	v_add_f64 v[2:3], v[2:3], v[4:5]
	v_mul_f64 v[4:5], v[186:187], v[106:107]
	v_fma_f64 v[4:5], v[184:185], v[108:109], -v[4:5]
	v_add_f64 v[2:3], v[2:3], v[4:5]
	v_mul_f64 v[4:5], v[190:191], v[120:121]
	v_fma_f64 v[4:5], v[188:189], v[122:123], -v[4:5]
	v_add_f64 v[2:3], v[2:3], v[4:5]
	v_mul_f64 v[4:5], v[194:195], v[114:115]
	v_fma_f64 v[4:5], v[192:193], v[116:117], -v[4:5]
	v_add_f64 v[2:3], v[2:3], v[4:5]
	v_mul_f64 v[4:5], v[198:199], v[132:133]
	v_fma_f64 v[4:5], v[196:197], v[134:135], -v[4:5]
	v_add_f64 v[2:3], v[2:3], v[4:5]
	v_mul_f64 v[4:5], v[202:203], v[128:129]
	v_fma_f64 v[4:5], v[200:201], v[130:131], -v[4:5]
	v_add_f64 v[2:3], v[2:3], v[4:5]
	v_mul_f64 v[4:5], v[206:207], v[140:141]
	v_fma_f64 v[4:5], v[204:205], v[142:143], -v[4:5]
	v_add_f64 v[2:3], v[2:3], v[4:5]
	v_mul_f64 v[4:5], v[210:211], v[136:137]
	v_fma_f64 v[4:5], v[208:209], v[138:139], -v[4:5]
	v_add_f64 v[2:3], v[2:3], v[4:5]
	v_mul_f64 v[4:5], v[214:215], v[148:149]
	v_fma_f64 v[4:5], v[212:213], v[150:151], -v[4:5]
	v_add_f64 v[2:3], v[2:3], v[4:5]
	v_mul_f64 v[4:5], v[218:219], v[144:145]
	v_fma_f64 v[4:5], v[216:217], v[146:147], -v[4:5]
	v_add_f64 v[2:3], v[2:3], v[4:5]
	v_mul_f64 v[4:5], v[222:223], v[178:179]
	v_fma_f64 v[4:5], v[220:221], v[232:233], -v[4:5]
	v_add_f64 v[2:3], v[2:3], v[4:5]
	v_mul_f64 v[4:5], v[226:227], v[174:175]
	v_fma_f64 v[4:5], v[224:225], v[176:177], -v[4:5]
	v_add_f64 v[2:3], v[2:3], v[4:5]
	v_mul_f64 v[4:5], v[230:231], v[238:239]
	v_fma_f64 v[4:5], v[228:229], v[240:241], -v[4:5]
	v_add_f64 v[2:3], v[2:3], v[4:5]
	v_mul_f64 v[4:5], v[40:41], v[234:235]
	v_fma_f64 v[4:5], v[38:39], v[236:237], -v[4:5]
	v_add_f64 v[2:3], v[2:3], v[4:5]
	v_mul_f64 v[4:5], v[50:51], v[242:243]
	v_fma_f64 v[4:5], v[48:49], v[244:245], -v[4:5]
	v_add_f64 v[2:3], v[2:3], v[4:5]
	v_add_f64 v[2:3], v[60:61], -v[2:3]
	v_add_f64 v[4:5], v[58:59], -v[152:153]
	buffer_store_dword v3, off, s[0:3], 0 offset:52
	buffer_store_dword v2, off, s[0:3], 0 offset:48
	;; [unrolled: 1-line block ×4, first 2 shown]
	s_and_saveexec_b64 s[4:5], vcc
	s_cbranch_execz .LBB32_209
; %bb.208:
	v_accvgpr_read_b32 v5, a90
	buffer_load_dword v2, v5, s[0:3], 0 offen
	buffer_load_dword v3, v5, s[0:3], 0 offen offset:4
	buffer_load_dword v4, v5, s[0:3], 0 offen offset:8
	s_nop 0
	buffer_load_dword v5, v5, s[0:3], 0 offen offset:12
	v_mov_b32_e32 v6, 0
	buffer_store_dword v6, off, s[0:3], 0 offset:32
	buffer_store_dword v6, off, s[0:3], 0 offset:36
	;; [unrolled: 1-line block ×4, first 2 shown]
	s_waitcnt vmcnt(4)
	ds_write_b128 v1, v[2:5]
.LBB32_209:
	s_or_b64 exec, exec, s[4:5]
	s_waitcnt lgkmcnt(0)
	; wave barrier
	s_waitcnt lgkmcnt(0)
	buffer_load_dword v106, off, s[0:3], 0 offset:48
	buffer_load_dword v107, off, s[0:3], 0 offset:52
	;; [unrolled: 1-line block ×49, first 2 shown]
	v_mov_b32_e32 v174, 0
	ds_read_b128 v[110:113], v174 offset:560
	ds_read_b128 v[170:173], v174 offset:576
	;; [unrolled: 1-line block ×10, first 2 shown]
	buffer_load_dword v224, off, s[0:3], 0 offset:240
	buffer_load_dword v239, off, s[0:3], 0 offset:236
	;; [unrolled: 1-line block ×69, first 2 shown]
	v_cmp_ne_u32_e32 vcc, 0, v0
	s_waitcnt vmcnt(62) lgkmcnt(9)
	v_mul_f64 v[34:35], v[110:111], v[108:109]
	v_fmac_f64_e32 v[34:35], v[112:113], v[106:107]
	v_add_f64 v[34:35], v[34:35], 0
	v_mul_f64 v[108:109], v[112:113], v[108:109]
	s_waitcnt lgkmcnt(8)
	v_mul_f64 v[36:37], v[170:171], v[116:117]
	v_fmac_f64_e32 v[36:37], v[172:173], v[114:115]
	s_waitcnt lgkmcnt(7)
	v_mul_f64 v[38:39], v[30:31], v[184:185]
	v_add_f64 v[34:35], v[34:35], v[36:37]
	s_waitcnt lgkmcnt(5)
	v_mul_f64 v[42:43], v[22:23], v[186:187]
	v_mul_f64 v[116:117], v[172:173], v[116:117]
	v_fmac_f64_e32 v[42:43], v[24:25], v[188:189]
	v_fma_f64 v[170:171], v[170:171], v[114:115], -v[116:117]
	v_mul_f64 v[40:41], v[26:27], v[190:191]
	v_mul_f64 v[24:25], v[24:25], v[186:187]
	s_waitcnt lgkmcnt(3)
	v_mul_f64 v[46:47], v[14:15], v[192:193]
	v_fma_f64 v[22:23], v[22:23], v[188:189], -v[24:25]
	v_fmac_f64_e32 v[46:47], v[16:17], v[194:195]
	v_mul_f64 v[16:17], v[16:17], v[192:193]
	v_mul_f64 v[44:45], v[18:19], v[196:197]
	v_fma_f64 v[14:15], v[14:15], v[194:195], -v[16:17]
	s_waitcnt lgkmcnt(1)
	v_mul_f64 v[50:51], v[6:7], v[198:199]
	v_fmac_f64_e32 v[50:51], v[8:9], v[200:201]
	v_mul_f64 v[8:9], v[8:9], v[198:199]
	v_mul_f64 v[48:49], v[10:11], v[206:207]
	v_fma_f64 v[6:7], v[6:7], v[200:201], -v[8:9]
	s_waitcnt lgkmcnt(0)
	v_mul_f64 v[52:53], v[2:3], v[202:203]
	v_fmac_f64_e32 v[38:39], v[32:33], v[218:219]
	v_add_f64 v[34:35], v[34:35], v[38:39]
	v_fmac_f64_e32 v[40:41], v[28:29], v[216:217]
	v_add_f64 v[34:35], v[34:35], v[40:41]
	;; [unrolled: 2-line block ×3, first 2 shown]
	v_add_f64 v[34:35], v[34:35], v[44:45]
	v_fmac_f64_e32 v[48:49], v[12:13], v[212:213]
	v_add_f64 v[34:35], v[34:35], v[46:47]
	v_add_f64 v[34:35], v[34:35], v[48:49]
	v_fmac_f64_e32 v[52:53], v[4:5], v[210:211]
	v_add_f64 v[34:35], v[34:35], v[50:51]
	v_add_f64 v[42:43], v[34:35], v[52:53]
	ds_read_b128 v[38:41], v174 offset:720
	ds_read_b128 v[34:37], v174 offset:736
	buffer_load_dword v151, off, s[0:3], 0 offset:540
	buffer_load_dword v150, off, s[0:3], 0 offset:536
	;; [unrolled: 1-line block ×8, first 2 shown]
	ds_read_b128 v[114:117], v174 offset:1040
	v_mul_f64 v[32:33], v[32:33], v[184:185]
	s_waitcnt lgkmcnt(2)
	v_mul_f64 v[44:45], v[38:39], v[208:209]
	v_fmac_f64_e32 v[44:45], v[40:41], v[220:221]
	v_add_f64 v[46:47], v[42:43], v[44:45]
	ds_read_b128 v[42:45], v174 offset:752
	s_waitcnt lgkmcnt(2)
	v_mul_f64 v[48:49], v[34:35], v[238:239]
	v_fmac_f64_e32 v[48:49], v[36:37], v[242:243]
	v_add_f64 v[50:51], v[46:47], v[48:49]
	ds_read_b128 v[46:49], v174 offset:768
	;; [unrolled: 5-line block ×3, first 2 shown]
	s_waitcnt vmcnt(62) lgkmcnt(1)
	v_mul_f64 v[56:57], v[46:47], v[246:247]
	v_fmac_f64_e32 v[56:57], v[48:49], v[250:251]
	v_add_f64 v[58:59], v[54:55], v[56:57]
	ds_read_b128 v[54:57], v174 offset:800
	s_waitcnt lgkmcnt(1)
	v_mul_f64 v[60:61], v[50:51], v[226:227]
	v_fmac_f64_e32 v[60:61], v[52:53], v[228:229]
	v_add_f64 v[62:63], v[58:59], v[60:61]
	ds_read_b128 v[58:61], v174 offset:816
	s_waitcnt vmcnt(58) lgkmcnt(1)
	v_mul_f64 v[64:65], v[54:55], v[254:255]
	s_waitcnt vmcnt(56)
	v_fmac_f64_e32 v[64:65], v[56:57], v[122:123]
	v_add_f64 v[66:67], v[62:63], v[64:65]
	ds_read_b128 v[62:65], v174 offset:832
	s_waitcnt lgkmcnt(1)
	v_mul_f64 v[68:69], v[58:59], v[230:231]
	v_fmac_f64_e32 v[68:69], v[60:61], v[232:233]
	v_add_f64 v[70:71], v[66:67], v[68:69]
	ds_read_b128 v[66:69], v174 offset:848
	s_waitcnt vmcnt(50) lgkmcnt(1)
	v_mul_f64 v[72:73], v[62:63], v[126:127]
	s_waitcnt vmcnt(48)
	;; [unrolled: 11-line block ×5, first 2 shown]
	v_fmac_f64_e32 v[96:97], v[88:89], v[148:149]
	v_add_f64 v[98:99], v[94:95], v[96:97]
	ds_read_b128 v[94:97], v174 offset:960
	s_waitcnt lgkmcnt(1)
	v_mul_f64 v[100:101], v[90:91], v[120:121]
	v_fmac_f64_e32 v[100:101], v[92:93], v[124:125]
	v_add_f64 v[166:167], v[98:99], v[100:101]
	ds_read_b128 v[98:101], v174 offset:976
	ds_read_b128 v[102:105], v174 offset:992
	s_waitcnt vmcnt(18) lgkmcnt(2)
	v_mul_f64 v[168:169], v[94:95], v[152:153]
	s_waitcnt vmcnt(16)
	v_fmac_f64_e32 v[168:169], v[96:97], v[156:157]
	v_add_f64 v[166:167], v[166:167], v[168:169]
	s_waitcnt lgkmcnt(1)
	v_mul_f64 v[168:169], v[98:99], v[128:129]
	v_fmac_f64_e32 v[168:169], v[100:101], v[132:133]
	v_add_f64 v[166:167], v[166:167], v[168:169]
	v_fma_f64 v[168:169], v[110:111], v[106:107], -v[108:109]
	ds_read_b128 v[110:113], v174 offset:1008
	ds_read_b128 v[106:109], v174 offset:1024
	s_waitcnt vmcnt(10) lgkmcnt(2)
	v_mul_f64 v[176:177], v[102:103], v[158:159]
	s_waitcnt vmcnt(8)
	v_fmac_f64_e32 v[176:177], v[104:105], v[160:161]
	v_add_f64 v[166:167], v[166:167], v[176:177]
	s_waitcnt lgkmcnt(1)
	v_mul_f64 v[172:173], v[110:111], v[136:137]
	v_fmac_f64_e32 v[172:173], v[112:113], v[140:141]
	v_add_f64 v[166:167], v[166:167], v[172:173]
	s_waitcnt vmcnt(2) lgkmcnt(0)
	v_mul_f64 v[172:173], v[106:107], v[162:163]
	s_waitcnt vmcnt(0)
	v_fmac_f64_e32 v[172:173], v[108:109], v[164:165]
	v_add_f64 v[166:167], v[166:167], v[172:173]
	v_mul_f64 v[172:173], v[114:115], v[150:151]
	v_fmac_f64_e32 v[172:173], v[116:117], v[154:155]
	v_add_f64 v[166:167], v[166:167], v[172:173]
	buffer_load_dword v172, off, s[0:3], 0 offset:40
	buffer_load_dword v173, off, s[0:3], 0 offset:44
	v_add_f64 v[168:169], v[168:169], 0
	v_add_f64 v[168:169], v[168:169], v[170:171]
	v_fma_f64 v[30:31], v[30:31], v[218:219], -v[32:33]
	v_mul_f64 v[28:29], v[28:29], v[190:191]
	v_add_f64 v[30:31], v[168:169], v[30:31]
	v_fma_f64 v[26:27], v[26:27], v[216:217], -v[28:29]
	v_add_f64 v[26:27], v[30:31], v[26:27]
	v_mul_f64 v[20:21], v[20:21], v[196:197]
	v_add_f64 v[22:23], v[26:27], v[22:23]
	v_fma_f64 v[18:19], v[18:19], v[214:215], -v[20:21]
	v_add_f64 v[18:19], v[22:23], v[18:19]
	;; [unrolled: 4-line block ×3, first 2 shown]
	v_mul_f64 v[4:5], v[4:5], v[202:203]
	v_add_f64 v[6:7], v[10:11], v[6:7]
	v_fma_f64 v[2:3], v[2:3], v[210:211], -v[4:5]
	v_mul_f64 v[4:5], v[40:41], v[208:209]
	v_add_f64 v[2:3], v[6:7], v[2:3]
	v_fma_f64 v[4:5], v[38:39], v[220:221], -v[4:5]
	v_add_f64 v[2:3], v[2:3], v[4:5]
	v_mul_f64 v[4:5], v[36:37], v[238:239]
	v_fma_f64 v[4:5], v[34:35], v[242:243], -v[4:5]
	v_add_f64 v[2:3], v[2:3], v[4:5]
	v_mul_f64 v[4:5], v[44:45], v[222:223]
	v_fma_f64 v[4:5], v[42:43], v[224:225], -v[4:5]
	v_add_f64 v[2:3], v[2:3], v[4:5]
	v_mul_f64 v[4:5], v[48:49], v[246:247]
	v_fma_f64 v[4:5], v[46:47], v[250:251], -v[4:5]
	v_add_f64 v[2:3], v[2:3], v[4:5]
	v_mul_f64 v[4:5], v[52:53], v[226:227]
	v_fma_f64 v[4:5], v[50:51], v[228:229], -v[4:5]
	v_add_f64 v[2:3], v[2:3], v[4:5]
	v_mul_f64 v[4:5], v[56:57], v[254:255]
	v_fma_f64 v[4:5], v[54:55], v[122:123], -v[4:5]
	v_add_f64 v[2:3], v[2:3], v[4:5]
	v_mul_f64 v[4:5], v[60:61], v[230:231]
	v_fma_f64 v[4:5], v[58:59], v[232:233], -v[4:5]
	v_add_f64 v[2:3], v[2:3], v[4:5]
	v_mul_f64 v[4:5], v[64:65], v[126:127]
	v_fma_f64 v[4:5], v[62:63], v[130:131], -v[4:5]
	v_add_f64 v[2:3], v[2:3], v[4:5]
	v_mul_f64 v[4:5], v[68:69], v[234:235]
	v_fma_f64 v[4:5], v[66:67], v[236:237], -v[4:5]
	v_add_f64 v[2:3], v[2:3], v[4:5]
	v_mul_f64 v[4:5], v[72:73], v[134:135]
	v_fma_f64 v[4:5], v[70:71], v[138:139], -v[4:5]
	v_add_f64 v[2:3], v[2:3], v[4:5]
	v_mul_f64 v[4:5], v[76:77], v[240:241]
	v_fma_f64 v[4:5], v[74:75], v[244:245], -v[4:5]
	v_add_f64 v[2:3], v[2:3], v[4:5]
	v_mul_f64 v[4:5], v[80:81], v[142:143]
	v_fma_f64 v[4:5], v[78:79], v[144:145], -v[4:5]
	v_add_f64 v[2:3], v[2:3], v[4:5]
	v_mul_f64 v[4:5], v[84:85], v[248:249]
	v_fma_f64 v[4:5], v[82:83], v[252:253], -v[4:5]
	v_add_f64 v[2:3], v[2:3], v[4:5]
	v_mul_f64 v[4:5], v[88:89], v[146:147]
	v_fma_f64 v[4:5], v[86:87], v[148:149], -v[4:5]
	v_add_f64 v[2:3], v[2:3], v[4:5]
	v_mul_f64 v[4:5], v[92:93], v[120:121]
	v_fma_f64 v[4:5], v[90:91], v[124:125], -v[4:5]
	v_add_f64 v[2:3], v[2:3], v[4:5]
	v_mul_f64 v[4:5], v[96:97], v[152:153]
	v_fma_f64 v[4:5], v[94:95], v[156:157], -v[4:5]
	v_add_f64 v[2:3], v[2:3], v[4:5]
	v_mul_f64 v[4:5], v[100:101], v[128:129]
	v_fma_f64 v[4:5], v[98:99], v[132:133], -v[4:5]
	v_add_f64 v[2:3], v[2:3], v[4:5]
	v_mul_f64 v[4:5], v[104:105], v[158:159]
	v_fma_f64 v[4:5], v[102:103], v[160:161], -v[4:5]
	v_add_f64 v[2:3], v[2:3], v[4:5]
	v_mul_f64 v[4:5], v[112:113], v[136:137]
	v_fma_f64 v[4:5], v[110:111], v[140:141], -v[4:5]
	v_add_f64 v[2:3], v[2:3], v[4:5]
	v_mul_f64 v[4:5], v[108:109], v[162:163]
	v_fma_f64 v[4:5], v[106:107], v[164:165], -v[4:5]
	v_add_f64 v[2:3], v[2:3], v[4:5]
	v_mul_f64 v[4:5], v[116:117], v[150:151]
	v_fma_f64 v[4:5], v[114:115], v[154:155], -v[4:5]
	v_add_f64 v[2:3], v[2:3], v[4:5]
	v_add_f64 v[2:3], v[204:205], -v[2:3]
	s_waitcnt vmcnt(0)
	v_add_f64 v[4:5], v[172:173], -v[166:167]
	buffer_store_dword v3, off, s[0:3], 0 offset:36
	buffer_store_dword v2, off, s[0:3], 0 offset:32
	;; [unrolled: 1-line block ×4, first 2 shown]
	s_and_saveexec_b64 s[4:5], vcc
	s_cbranch_execz .LBB32_211
; %bb.210:
	buffer_load_dword v2, off, s[0:3], 0 offset:16
	buffer_load_dword v3, off, s[0:3], 0 offset:20
	;; [unrolled: 1-line block ×4, first 2 shown]
	s_nop 0
	buffer_store_dword v174, off, s[0:3], 0 offset:16
	buffer_store_dword v174, off, s[0:3], 0 offset:20
	;; [unrolled: 1-line block ×4, first 2 shown]
	s_waitcnt vmcnt(4)
	ds_write_b128 v1, v[2:5]
.LBB32_211:
	s_or_b64 exec, exec, s[4:5]
	s_waitcnt lgkmcnt(0)
	; wave barrier
	s_waitcnt lgkmcnt(0)
	buffer_load_dword v100, off, s[0:3], 0 offset:32
	buffer_load_dword v101, off, s[0:3], 0 offset:36
	;; [unrolled: 1-line block ×44, first 2 shown]
	ds_read_b128 v[176:179], v174 offset:544
	ds_read_b128 v[108:111], v174 offset:560
	;; [unrolled: 1-line block ×10, first 2 shown]
	buffer_load_dword v121, off, s[0:3], 0 offset:236
	buffer_load_dword v120, off, s[0:3], 0 offset:232
	;; [unrolled: 1-line block ×8, first 2 shown]
	s_and_b64 vcc, exec, s[20:21]
	s_waitcnt vmcnt(48) lgkmcnt(9)
	v_mul_f64 v[28:29], v[176:177], v[102:103]
	v_fmac_f64_e32 v[28:29], v[178:179], v[100:101]
	v_add_f64 v[28:29], v[28:29], 0
	v_mul_f64 v[102:103], v[178:179], v[102:103]
	s_waitcnt vmcnt(44) lgkmcnt(8)
	v_mul_f64 v[30:31], v[108:109], v[114:115]
	v_fmac_f64_e32 v[30:31], v[110:111], v[112:113]
	s_waitcnt vmcnt(42) lgkmcnt(7)
	v_mul_f64 v[32:33], v[104:105], v[214:215]
	v_add_f64 v[28:29], v[28:29], v[30:31]
	s_waitcnt vmcnt(40) lgkmcnt(5)
	v_mul_f64 v[36:37], v[20:21], v[184:185]
	v_mul_f64 v[110:111], v[110:111], v[114:115]
	s_waitcnt vmcnt(38)
	v_fmac_f64_e32 v[36:37], v[22:23], v[188:189]
	v_fma_f64 v[172:173], v[108:109], v[112:113], -v[110:111]
	s_waitcnt vmcnt(36)
	v_mul_f64 v[34:35], v[24:25], v[190:191]
	v_mul_f64 v[22:23], v[22:23], v[184:185]
	s_waitcnt vmcnt(34) lgkmcnt(3)
	v_mul_f64 v[40:41], v[12:13], v[116:117]
	v_fma_f64 v[20:21], v[20:21], v[188:189], -v[22:23]
	s_waitcnt vmcnt(32)
	v_fmac_f64_e32 v[40:41], v[14:15], v[186:187]
	v_mul_f64 v[14:15], v[14:15], v[116:117]
	s_waitcnt vmcnt(30)
	v_mul_f64 v[38:39], v[16:17], v[198:199]
	v_fma_f64 v[12:13], v[12:13], v[186:187], -v[14:15]
	s_waitcnt vmcnt(26) lgkmcnt(2)
	v_mul_f64 v[42:43], v[8:9], v[196:197]
	s_waitcnt vmcnt(25) lgkmcnt(1)
	v_mul_f64 v[44:45], v[4:5], v[192:193]
	s_waitcnt vmcnt(23)
	v_fmac_f64_e32 v[32:33], v[106:107], v[166:167]
	v_add_f64 v[28:29], v[28:29], v[32:33]
	s_waitcnt vmcnt(21)
	v_fmac_f64_e32 v[34:35], v[26:27], v[210:211]
	v_add_f64 v[28:29], v[28:29], v[34:35]
	;; [unrolled: 3-line block ×3, first 2 shown]
	v_add_f64 v[28:29], v[28:29], v[38:39]
	s_waitcnt vmcnt(17)
	v_fmac_f64_e32 v[42:43], v[10:11], v[200:201]
	v_add_f64 v[28:29], v[28:29], v[40:41]
	s_waitcnt vmcnt(16)
	v_fmac_f64_e32 v[44:45], v[6:7], v[194:195]
	v_add_f64 v[28:29], v[28:29], v[42:43]
	v_add_f64 v[32:33], v[28:29], v[44:45]
	ds_read_b128 v[28:31], v174 offset:704
	buffer_load_dword v129, off, s[0:3], 0 offset:268
	buffer_load_dword v128, off, s[0:3], 0 offset:264
	;; [unrolled: 1-line block ×6, first 2 shown]
	s_waitcnt vmcnt(20) lgkmcnt(1)
	v_mul_f64 v[34:35], v[0:1], v[204:205]
	s_waitcnt vmcnt(18)
	v_fmac_f64_e32 v[34:35], v[2:3], v[208:209]
	v_add_f64 v[36:37], v[32:33], v[34:35]
	ds_read_b128 v[32:35], v174 offset:720
	buffer_load_dword v149, off, s[0:3], 0 offset:244
	buffer_load_dword v148, off, s[0:3], 0 offset:240
	;; [unrolled: 1-line block ×58, first 2 shown]
	s_waitcnt vmcnt(62) lgkmcnt(1)
	v_mul_f64 v[38:39], v[28:29], v[206:207]
	v_fmac_f64_e32 v[38:39], v[30:31], v[212:213]
	v_add_f64 v[40:41], v[36:37], v[38:39]
	ds_read_b128 v[36:39], v174 offset:736
	s_waitcnt lgkmcnt(1)
	v_mul_f64 v[42:43], v[32:33], v[124:125]
	v_fmac_f64_e32 v[42:43], v[34:35], v[126:127]
	v_add_f64 v[44:45], v[40:41], v[42:43]
	ds_read_b128 v[40:43], v174 offset:752
	buffer_load_dword v243, off, s[0:3], 0 offset:524
	buffer_load_dword v242, off, s[0:3], 0 offset:520
	;; [unrolled: 1-line block ×8, first 2 shown]
	s_waitcnt lgkmcnt(1)
	v_mul_f64 v[46:47], v[36:37], v[120:121]
	v_fmac_f64_e32 v[46:47], v[38:39], v[122:123]
	v_add_f64 v[48:49], v[44:45], v[46:47]
	ds_read_b128 v[44:47], v174 offset:768
	buffer_load_dword v249, off, s[0:3], 0 offset:540
	buffer_load_dword v248, off, s[0:3], 0 offset:536
	;; [unrolled: 1-line block ×4, first 2 shown]
	ds_read_b128 v[96:99], v174 offset:976
	v_mul_f64 v[106:107], v[106:107], v[214:215]
	v_mul_f64 v[26:27], v[26:27], v[190:191]
	v_fma_f64 v[24:25], v[24:25], v[210:211], -v[26:27]
	v_mul_f64 v[18:19], v[18:19], v[198:199]
	v_fma_f64 v[16:17], v[16:17], v[202:203], -v[18:19]
	;; [unrolled: 2-line block ×6, first 2 shown]
	s_waitcnt lgkmcnt(1)
	v_mul_f64 v[54:55], v[44:45], v[128:129]
	s_waitcnt vmcnt(62)
	v_fmac_f64_e32 v[54:55], v[46:47], v[130:131]
	v_mul_f64 v[50:51], v[40:41], v[138:139]
	v_fmac_f64_e32 v[50:51], v[42:43], v[148:149]
	v_add_f64 v[52:53], v[48:49], v[50:51]
	ds_read_b128 v[48:51], v174 offset:784
	v_add_f64 v[56:57], v[52:53], v[54:55]
	ds_read_b128 v[52:55], v174 offset:800
	s_waitcnt lgkmcnt(1)
	v_mul_f64 v[58:59], v[48:49], v[152:153]
	s_waitcnt vmcnt(60)
	v_fmac_f64_e32 v[58:59], v[50:51], v[156:157]
	v_add_f64 v[60:61], v[56:57], v[58:59]
	ds_read_b128 v[56:59], v174 offset:816
	s_waitcnt lgkmcnt(1)
	v_mul_f64 v[62:63], v[52:53], v[132:133]
	v_fmac_f64_e32 v[62:63], v[54:55], v[134:135]
	v_add_f64 v[64:65], v[60:61], v[62:63]
	ds_read_b128 v[60:63], v174 offset:832
	s_waitcnt vmcnt(54) lgkmcnt(1)
	v_mul_f64 v[66:67], v[56:57], v[160:161]
	s_waitcnt vmcnt(52)
	v_fmac_f64_e32 v[66:67], v[58:59], v[164:165]
	v_add_f64 v[68:69], v[64:65], v[66:67]
	ds_read_b128 v[64:67], v174 offset:848
	s_waitcnt lgkmcnt(1)
	v_mul_f64 v[70:71], v[60:61], v[136:137]
	v_fmac_f64_e32 v[70:71], v[62:63], v[140:141]
	v_add_f64 v[72:73], v[68:69], v[70:71]
	ds_read_b128 v[68:71], v174 offset:864
	s_waitcnt vmcnt(46) lgkmcnt(1)
	;; [unrolled: 11-line block ×5, first 2 shown]
	v_mul_f64 v[170:171], v[88:89], v[234:235]
	s_waitcnt vmcnt(20)
	v_fmac_f64_e32 v[170:171], v[90:91], v[236:237]
	v_add_f64 v[168:169], v[168:169], v[170:171]
	s_waitcnt lgkmcnt(0)
	v_mul_f64 v[170:171], v[92:93], v[162:163]
	v_fmac_f64_e32 v[170:171], v[94:95], v[216:217]
	v_add_f64 v[168:169], v[168:169], v[170:171]
	s_waitcnt vmcnt(14)
	v_mul_f64 v[170:171], v[96:97], v[238:239]
	s_waitcnt vmcnt(12)
	v_fmac_f64_e32 v[170:171], v[98:99], v[240:241]
	v_add_f64 v[170:171], v[168:169], v[170:171]
	v_fma_f64 v[168:169], v[176:177], v[100:101], -v[102:103]
	ds_read_b128 v[100:103], v174 offset:992
	buffer_load_dword v254, off, s[0:3], 0 offset:16
	buffer_load_dword v255, off, s[0:3], 0 offset:20
	ds_read_b128 v[108:111], v174 offset:1008
	v_fma_f64 v[176:177], v[104:105], v[166:167], -v[106:107]
	ds_read_b128 v[104:107], v174 offset:1040
	s_waitcnt lgkmcnt(2)
	v_mul_f64 v[112:113], v[100:101], v[220:221]
	v_fmac_f64_e32 v[112:113], v[102:103], v[224:225]
	v_add_f64 v[170:171], v[170:171], v[112:113]
	ds_read_b128 v[112:115], v174 offset:1024
	s_waitcnt vmcnt(8) lgkmcnt(2)
	v_mul_f64 v[166:167], v[108:109], v[246:247]
	s_waitcnt vmcnt(6)
	v_fmac_f64_e32 v[166:167], v[110:111], v[250:251]
	v_add_f64 v[166:167], v[170:171], v[166:167]
	v_add_f64 v[168:169], v[168:169], 0
	s_waitcnt lgkmcnt(0)
	v_mul_f64 v[170:171], v[112:113], v[242:243]
	v_fmac_f64_e32 v[170:171], v[114:115], v[244:245]
	v_add_f64 v[166:167], v[166:167], v[170:171]
	s_waitcnt vmcnt(4)
	v_mul_f64 v[170:171], v[104:105], v[248:249]
	s_waitcnt vmcnt(2)
	v_fmac_f64_e32 v[170:171], v[106:107], v[252:253]
	v_add_f64 v[166:167], v[166:167], v[170:171]
	buffer_load_dword v170, off, s[0:3], 0 offset:24
	buffer_load_dword v171, off, s[0:3], 0 offset:28
	v_add_f64 v[168:169], v[168:169], v[172:173]
	v_add_f64 v[168:169], v[168:169], v[176:177]
	;; [unrolled: 1-line block ×10, first 2 shown]
	v_mul_f64 v[2:3], v[34:35], v[124:125]
	v_fma_f64 v[2:3], v[32:33], v[126:127], -v[2:3]
	v_add_f64 v[0:1], v[0:1], v[2:3]
	v_mul_f64 v[2:3], v[38:39], v[120:121]
	v_fma_f64 v[2:3], v[36:37], v[122:123], -v[2:3]
	v_add_f64 v[0:1], v[0:1], v[2:3]
	;; [unrolled: 3-line block ×21, first 2 shown]
	s_waitcnt vmcnt(2)
	v_add_f64 v[0:1], v[254:255], -v[0:1]
	s_waitcnt vmcnt(0)
	v_add_f64 v[2:3], v[170:171], -v[166:167]
	buffer_store_dword v1, off, s[0:3], 0 offset:20
	buffer_store_dword v0, off, s[0:3], 0 offset:16
	;; [unrolled: 1-line block ×4, first 2 shown]
	s_cbranch_vccz .LBB32_277
; %bb.212:
	v_pk_mov_b32 v[0:1], s[10:11], s[10:11] op_sel:[0,1]
	flat_load_dword v0, v[0:1] offset:124
	s_waitcnt vmcnt(0) lgkmcnt(0)
	v_add_u32_e32 v0, -1, v0
	v_cmp_ne_u32_e32 vcc, 31, v0
	s_and_saveexec_b64 s[4:5], vcc
	s_cbranch_execz .LBB32_214
; %bb.213:
	v_mov_b32_e32 v1, 16
	v_accvgpr_read_b32 v9, a61
	v_lshl_add_u32 v0, v0, 4, v1
	buffer_load_dword v1, v9, s[0:3], 0 offen offset:4
	buffer_load_dword v2, v9, s[0:3], 0 offen offset:8
	buffer_load_dword v3, v9, s[0:3], 0 offen offset:12
	buffer_load_dword v4, v0, s[0:3], 0 offen
	buffer_load_dword v5, v0, s[0:3], 0 offen offset:4
	buffer_load_dword v6, v0, s[0:3], 0 offen offset:8
	buffer_load_dword v7, v0, s[0:3], 0 offen offset:12
	buffer_load_dword v8, v9, s[0:3], 0 offen
	s_waitcnt vmcnt(4)
	buffer_store_dword v4, v9, s[0:3], 0 offen
	s_waitcnt vmcnt(4)
	buffer_store_dword v5, v9, s[0:3], 0 offen offset:4
	s_waitcnt vmcnt(4)
	buffer_store_dword v6, v9, s[0:3], 0 offen offset:8
	s_waitcnt vmcnt(4)
	buffer_store_dword v7, v9, s[0:3], 0 offen offset:12
	buffer_store_dword v3, v0, s[0:3], 0 offen offset:12
	buffer_store_dword v2, v0, s[0:3], 0 offen offset:8
	buffer_store_dword v1, v0, s[0:3], 0 offen offset:4
	s_waitcnt vmcnt(7)
	buffer_store_dword v8, v0, s[0:3], 0 offen
.LBB32_214:
	s_or_b64 exec, exec, s[4:5]
	v_pk_mov_b32 v[0:1], s[10:11], s[10:11] op_sel:[0,1]
	flat_load_dword v0, v[0:1] offset:120
	s_waitcnt vmcnt(0) lgkmcnt(0)
	v_add_u32_e32 v0, -1, v0
	v_cmp_ne_u32_e32 vcc, 30, v0
	s_and_saveexec_b64 s[4:5], vcc
	s_cbranch_execz .LBB32_216
; %bb.215:
	v_mov_b32_e32 v1, 16
	v_accvgpr_read_b32 v9, a62
	v_lshl_add_u32 v0, v0, 4, v1
	buffer_load_dword v1, v9, s[0:3], 0 offen offset:4
	buffer_load_dword v2, v9, s[0:3], 0 offen offset:8
	buffer_load_dword v3, v9, s[0:3], 0 offen offset:12
	buffer_load_dword v4, v0, s[0:3], 0 offen
	buffer_load_dword v5, v0, s[0:3], 0 offen offset:4
	buffer_load_dword v6, v0, s[0:3], 0 offen offset:8
	buffer_load_dword v7, v0, s[0:3], 0 offen offset:12
	buffer_load_dword v8, v9, s[0:3], 0 offen
	s_waitcnt vmcnt(4)
	buffer_store_dword v4, v9, s[0:3], 0 offen
	s_waitcnt vmcnt(4)
	buffer_store_dword v5, v9, s[0:3], 0 offen offset:4
	s_waitcnt vmcnt(4)
	buffer_store_dword v6, v9, s[0:3], 0 offen offset:8
	s_waitcnt vmcnt(4)
	buffer_store_dword v7, v9, s[0:3], 0 offen offset:12
	buffer_store_dword v3, v0, s[0:3], 0 offen offset:12
	buffer_store_dword v2, v0, s[0:3], 0 offen offset:8
	buffer_store_dword v1, v0, s[0:3], 0 offen offset:4
	s_waitcnt vmcnt(7)
	buffer_store_dword v8, v0, s[0:3], 0 offen
.LBB32_216:
	s_or_b64 exec, exec, s[4:5]
	v_pk_mov_b32 v[0:1], s[10:11], s[10:11] op_sel:[0,1]
	flat_load_dword v0, v[0:1] offset:116
	s_waitcnt vmcnt(0) lgkmcnt(0)
	v_add_u32_e32 v0, -1, v0
	v_cmp_ne_u32_e32 vcc, 29, v0
	s_and_saveexec_b64 s[4:5], vcc
	s_cbranch_execz .LBB32_218
; %bb.217:
	v_mov_b32_e32 v1, 16
	v_accvgpr_read_b32 v9, a63
	v_lshl_add_u32 v0, v0, 4, v1
	buffer_load_dword v1, v9, s[0:3], 0 offen offset:4
	buffer_load_dword v2, v9, s[0:3], 0 offen offset:8
	buffer_load_dword v3, v9, s[0:3], 0 offen offset:12
	buffer_load_dword v4, v0, s[0:3], 0 offen
	buffer_load_dword v5, v0, s[0:3], 0 offen offset:4
	buffer_load_dword v6, v0, s[0:3], 0 offen offset:8
	buffer_load_dword v7, v0, s[0:3], 0 offen offset:12
	buffer_load_dword v8, v9, s[0:3], 0 offen
	s_waitcnt vmcnt(4)
	buffer_store_dword v4, v9, s[0:3], 0 offen
	s_waitcnt vmcnt(4)
	buffer_store_dword v5, v9, s[0:3], 0 offen offset:4
	s_waitcnt vmcnt(4)
	buffer_store_dword v6, v9, s[0:3], 0 offen offset:8
	s_waitcnt vmcnt(4)
	buffer_store_dword v7, v9, s[0:3], 0 offen offset:12
	buffer_store_dword v3, v0, s[0:3], 0 offen offset:12
	buffer_store_dword v2, v0, s[0:3], 0 offen offset:8
	buffer_store_dword v1, v0, s[0:3], 0 offen offset:4
	s_waitcnt vmcnt(7)
	buffer_store_dword v8, v0, s[0:3], 0 offen
.LBB32_218:
	s_or_b64 exec, exec, s[4:5]
	v_pk_mov_b32 v[0:1], s[10:11], s[10:11] op_sel:[0,1]
	flat_load_dword v0, v[0:1] offset:112
	s_waitcnt vmcnt(0) lgkmcnt(0)
	v_add_u32_e32 v0, -1, v0
	v_cmp_ne_u32_e32 vcc, 28, v0
	s_and_saveexec_b64 s[4:5], vcc
	s_cbranch_execz .LBB32_220
; %bb.219:
	v_mov_b32_e32 v1, 16
	v_accvgpr_read_b32 v9, a64
	v_lshl_add_u32 v0, v0, 4, v1
	buffer_load_dword v1, v9, s[0:3], 0 offen offset:4
	buffer_load_dword v2, v9, s[0:3], 0 offen offset:8
	buffer_load_dword v3, v9, s[0:3], 0 offen offset:12
	buffer_load_dword v4, v0, s[0:3], 0 offen
	buffer_load_dword v5, v0, s[0:3], 0 offen offset:4
	buffer_load_dword v6, v0, s[0:3], 0 offen offset:8
	buffer_load_dword v7, v0, s[0:3], 0 offen offset:12
	buffer_load_dword v8, v9, s[0:3], 0 offen
	s_waitcnt vmcnt(4)
	buffer_store_dword v4, v9, s[0:3], 0 offen
	s_waitcnt vmcnt(4)
	buffer_store_dword v5, v9, s[0:3], 0 offen offset:4
	s_waitcnt vmcnt(4)
	buffer_store_dword v6, v9, s[0:3], 0 offen offset:8
	s_waitcnt vmcnt(4)
	buffer_store_dword v7, v9, s[0:3], 0 offen offset:12
	buffer_store_dword v3, v0, s[0:3], 0 offen offset:12
	buffer_store_dword v2, v0, s[0:3], 0 offen offset:8
	buffer_store_dword v1, v0, s[0:3], 0 offen offset:4
	s_waitcnt vmcnt(7)
	buffer_store_dword v8, v0, s[0:3], 0 offen
.LBB32_220:
	s_or_b64 exec, exec, s[4:5]
	v_pk_mov_b32 v[0:1], s[10:11], s[10:11] op_sel:[0,1]
	flat_load_dword v0, v[0:1] offset:108
	s_waitcnt vmcnt(0) lgkmcnt(0)
	v_add_u32_e32 v0, -1, v0
	v_cmp_ne_u32_e32 vcc, 27, v0
	s_and_saveexec_b64 s[4:5], vcc
	s_cbranch_execz .LBB32_222
; %bb.221:
	v_mov_b32_e32 v1, 16
	v_accvgpr_read_b32 v9, a65
	v_lshl_add_u32 v0, v0, 4, v1
	buffer_load_dword v1, v9, s[0:3], 0 offen offset:4
	buffer_load_dword v2, v9, s[0:3], 0 offen offset:8
	buffer_load_dword v3, v9, s[0:3], 0 offen offset:12
	buffer_load_dword v4, v0, s[0:3], 0 offen
	buffer_load_dword v5, v0, s[0:3], 0 offen offset:4
	buffer_load_dword v6, v0, s[0:3], 0 offen offset:8
	buffer_load_dword v7, v0, s[0:3], 0 offen offset:12
	buffer_load_dword v8, v9, s[0:3], 0 offen
	s_waitcnt vmcnt(4)
	buffer_store_dword v4, v9, s[0:3], 0 offen
	s_waitcnt vmcnt(4)
	buffer_store_dword v5, v9, s[0:3], 0 offen offset:4
	s_waitcnt vmcnt(4)
	buffer_store_dword v6, v9, s[0:3], 0 offen offset:8
	s_waitcnt vmcnt(4)
	buffer_store_dword v7, v9, s[0:3], 0 offen offset:12
	buffer_store_dword v3, v0, s[0:3], 0 offen offset:12
	buffer_store_dword v2, v0, s[0:3], 0 offen offset:8
	buffer_store_dword v1, v0, s[0:3], 0 offen offset:4
	s_waitcnt vmcnt(7)
	buffer_store_dword v8, v0, s[0:3], 0 offen
.LBB32_222:
	s_or_b64 exec, exec, s[4:5]
	v_pk_mov_b32 v[0:1], s[10:11], s[10:11] op_sel:[0,1]
	flat_load_dword v0, v[0:1] offset:104
	s_waitcnt vmcnt(0) lgkmcnt(0)
	v_add_u32_e32 v0, -1, v0
	v_cmp_ne_u32_e32 vcc, 26, v0
	s_and_saveexec_b64 s[4:5], vcc
	s_cbranch_execz .LBB32_224
; %bb.223:
	v_mov_b32_e32 v1, 16
	v_accvgpr_read_b32 v9, a66
	v_lshl_add_u32 v0, v0, 4, v1
	buffer_load_dword v1, v9, s[0:3], 0 offen offset:4
	buffer_load_dword v2, v9, s[0:3], 0 offen offset:8
	buffer_load_dword v3, v9, s[0:3], 0 offen offset:12
	buffer_load_dword v4, v0, s[0:3], 0 offen
	buffer_load_dword v5, v0, s[0:3], 0 offen offset:4
	buffer_load_dword v6, v0, s[0:3], 0 offen offset:8
	buffer_load_dword v7, v0, s[0:3], 0 offen offset:12
	buffer_load_dword v8, v9, s[0:3], 0 offen
	s_waitcnt vmcnt(4)
	buffer_store_dword v4, v9, s[0:3], 0 offen
	s_waitcnt vmcnt(4)
	buffer_store_dword v5, v9, s[0:3], 0 offen offset:4
	s_waitcnt vmcnt(4)
	buffer_store_dword v6, v9, s[0:3], 0 offen offset:8
	s_waitcnt vmcnt(4)
	buffer_store_dword v7, v9, s[0:3], 0 offen offset:12
	buffer_store_dword v3, v0, s[0:3], 0 offen offset:12
	buffer_store_dword v2, v0, s[0:3], 0 offen offset:8
	buffer_store_dword v1, v0, s[0:3], 0 offen offset:4
	s_waitcnt vmcnt(7)
	buffer_store_dword v8, v0, s[0:3], 0 offen
.LBB32_224:
	s_or_b64 exec, exec, s[4:5]
	v_pk_mov_b32 v[0:1], s[10:11], s[10:11] op_sel:[0,1]
	flat_load_dword v0, v[0:1] offset:100
	s_waitcnt vmcnt(0) lgkmcnt(0)
	v_add_u32_e32 v0, -1, v0
	v_cmp_ne_u32_e32 vcc, 25, v0
	s_and_saveexec_b64 s[4:5], vcc
	s_cbranch_execz .LBB32_226
; %bb.225:
	v_mov_b32_e32 v1, 16
	v_accvgpr_read_b32 v9, a67
	v_lshl_add_u32 v0, v0, 4, v1
	buffer_load_dword v1, v9, s[0:3], 0 offen offset:4
	buffer_load_dword v2, v9, s[0:3], 0 offen offset:8
	buffer_load_dword v3, v9, s[0:3], 0 offen offset:12
	buffer_load_dword v4, v0, s[0:3], 0 offen
	buffer_load_dword v5, v0, s[0:3], 0 offen offset:4
	buffer_load_dword v6, v0, s[0:3], 0 offen offset:8
	buffer_load_dword v7, v0, s[0:3], 0 offen offset:12
	buffer_load_dword v8, v9, s[0:3], 0 offen
	s_waitcnt vmcnt(4)
	buffer_store_dword v4, v9, s[0:3], 0 offen
	s_waitcnt vmcnt(4)
	buffer_store_dword v5, v9, s[0:3], 0 offen offset:4
	s_waitcnt vmcnt(4)
	buffer_store_dword v6, v9, s[0:3], 0 offen offset:8
	s_waitcnt vmcnt(4)
	buffer_store_dword v7, v9, s[0:3], 0 offen offset:12
	buffer_store_dword v3, v0, s[0:3], 0 offen offset:12
	buffer_store_dword v2, v0, s[0:3], 0 offen offset:8
	buffer_store_dword v1, v0, s[0:3], 0 offen offset:4
	s_waitcnt vmcnt(7)
	buffer_store_dword v8, v0, s[0:3], 0 offen
.LBB32_226:
	s_or_b64 exec, exec, s[4:5]
	v_pk_mov_b32 v[0:1], s[10:11], s[10:11] op_sel:[0,1]
	flat_load_dword v0, v[0:1] offset:96
	s_waitcnt vmcnt(0) lgkmcnt(0)
	v_add_u32_e32 v0, -1, v0
	v_cmp_ne_u32_e32 vcc, 24, v0
	s_and_saveexec_b64 s[4:5], vcc
	s_cbranch_execz .LBB32_228
; %bb.227:
	v_mov_b32_e32 v1, 16
	v_accvgpr_read_b32 v9, a68
	v_lshl_add_u32 v0, v0, 4, v1
	buffer_load_dword v1, v9, s[0:3], 0 offen offset:4
	buffer_load_dword v2, v9, s[0:3], 0 offen offset:8
	buffer_load_dword v3, v9, s[0:3], 0 offen offset:12
	buffer_load_dword v4, v0, s[0:3], 0 offen
	buffer_load_dword v5, v0, s[0:3], 0 offen offset:4
	buffer_load_dword v6, v0, s[0:3], 0 offen offset:8
	buffer_load_dword v7, v0, s[0:3], 0 offen offset:12
	buffer_load_dword v8, v9, s[0:3], 0 offen
	s_waitcnt vmcnt(4)
	buffer_store_dword v4, v9, s[0:3], 0 offen
	s_waitcnt vmcnt(4)
	buffer_store_dword v5, v9, s[0:3], 0 offen offset:4
	s_waitcnt vmcnt(4)
	buffer_store_dword v6, v9, s[0:3], 0 offen offset:8
	s_waitcnt vmcnt(4)
	buffer_store_dword v7, v9, s[0:3], 0 offen offset:12
	buffer_store_dword v3, v0, s[0:3], 0 offen offset:12
	buffer_store_dword v2, v0, s[0:3], 0 offen offset:8
	buffer_store_dword v1, v0, s[0:3], 0 offen offset:4
	s_waitcnt vmcnt(7)
	buffer_store_dword v8, v0, s[0:3], 0 offen
.LBB32_228:
	s_or_b64 exec, exec, s[4:5]
	v_pk_mov_b32 v[0:1], s[10:11], s[10:11] op_sel:[0,1]
	flat_load_dword v0, v[0:1] offset:92
	s_waitcnt vmcnt(0) lgkmcnt(0)
	v_add_u32_e32 v0, -1, v0
	v_cmp_ne_u32_e32 vcc, 23, v0
	s_and_saveexec_b64 s[4:5], vcc
	s_cbranch_execz .LBB32_230
; %bb.229:
	v_mov_b32_e32 v1, 16
	v_accvgpr_read_b32 v9, a69
	v_lshl_add_u32 v0, v0, 4, v1
	buffer_load_dword v1, v9, s[0:3], 0 offen offset:4
	buffer_load_dword v2, v9, s[0:3], 0 offen offset:8
	buffer_load_dword v3, v9, s[0:3], 0 offen offset:12
	buffer_load_dword v4, v0, s[0:3], 0 offen
	buffer_load_dword v5, v0, s[0:3], 0 offen offset:4
	buffer_load_dword v6, v0, s[0:3], 0 offen offset:8
	buffer_load_dword v7, v0, s[0:3], 0 offen offset:12
	buffer_load_dword v8, v9, s[0:3], 0 offen
	s_waitcnt vmcnt(4)
	buffer_store_dword v4, v9, s[0:3], 0 offen
	s_waitcnt vmcnt(4)
	buffer_store_dword v5, v9, s[0:3], 0 offen offset:4
	s_waitcnt vmcnt(4)
	buffer_store_dword v6, v9, s[0:3], 0 offen offset:8
	s_waitcnt vmcnt(4)
	buffer_store_dword v7, v9, s[0:3], 0 offen offset:12
	buffer_store_dword v3, v0, s[0:3], 0 offen offset:12
	buffer_store_dword v2, v0, s[0:3], 0 offen offset:8
	buffer_store_dword v1, v0, s[0:3], 0 offen offset:4
	s_waitcnt vmcnt(7)
	buffer_store_dword v8, v0, s[0:3], 0 offen
.LBB32_230:
	s_or_b64 exec, exec, s[4:5]
	v_pk_mov_b32 v[0:1], s[10:11], s[10:11] op_sel:[0,1]
	flat_load_dword v0, v[0:1] offset:88
	s_waitcnt vmcnt(0) lgkmcnt(0)
	v_add_u32_e32 v0, -1, v0
	v_cmp_ne_u32_e32 vcc, 22, v0
	s_and_saveexec_b64 s[4:5], vcc
	s_cbranch_execz .LBB32_232
; %bb.231:
	v_mov_b32_e32 v1, 16
	v_accvgpr_read_b32 v9, a70
	v_lshl_add_u32 v0, v0, 4, v1
	buffer_load_dword v1, v9, s[0:3], 0 offen offset:4
	buffer_load_dword v2, v9, s[0:3], 0 offen offset:8
	buffer_load_dword v3, v9, s[0:3], 0 offen offset:12
	buffer_load_dword v4, v0, s[0:3], 0 offen
	buffer_load_dword v5, v0, s[0:3], 0 offen offset:4
	buffer_load_dword v6, v0, s[0:3], 0 offen offset:8
	buffer_load_dword v7, v0, s[0:3], 0 offen offset:12
	buffer_load_dword v8, v9, s[0:3], 0 offen
	s_waitcnt vmcnt(4)
	buffer_store_dword v4, v9, s[0:3], 0 offen
	s_waitcnt vmcnt(4)
	buffer_store_dword v5, v9, s[0:3], 0 offen offset:4
	s_waitcnt vmcnt(4)
	buffer_store_dword v6, v9, s[0:3], 0 offen offset:8
	s_waitcnt vmcnt(4)
	buffer_store_dword v7, v9, s[0:3], 0 offen offset:12
	buffer_store_dword v3, v0, s[0:3], 0 offen offset:12
	buffer_store_dword v2, v0, s[0:3], 0 offen offset:8
	buffer_store_dword v1, v0, s[0:3], 0 offen offset:4
	s_waitcnt vmcnt(7)
	buffer_store_dword v8, v0, s[0:3], 0 offen
.LBB32_232:
	s_or_b64 exec, exec, s[4:5]
	v_pk_mov_b32 v[0:1], s[10:11], s[10:11] op_sel:[0,1]
	flat_load_dword v0, v[0:1] offset:84
	s_waitcnt vmcnt(0) lgkmcnt(0)
	v_add_u32_e32 v0, -1, v0
	v_cmp_ne_u32_e32 vcc, 21, v0
	s_and_saveexec_b64 s[4:5], vcc
	s_cbranch_execz .LBB32_234
; %bb.233:
	v_mov_b32_e32 v1, 16
	v_accvgpr_read_b32 v9, a71
	v_lshl_add_u32 v0, v0, 4, v1
	buffer_load_dword v1, v9, s[0:3], 0 offen offset:4
	buffer_load_dword v2, v9, s[0:3], 0 offen offset:8
	buffer_load_dword v3, v9, s[0:3], 0 offen offset:12
	buffer_load_dword v4, v0, s[0:3], 0 offen
	buffer_load_dword v5, v0, s[0:3], 0 offen offset:4
	buffer_load_dword v6, v0, s[0:3], 0 offen offset:8
	buffer_load_dword v7, v0, s[0:3], 0 offen offset:12
	buffer_load_dword v8, v9, s[0:3], 0 offen
	s_waitcnt vmcnt(4)
	buffer_store_dword v4, v9, s[0:3], 0 offen
	s_waitcnt vmcnt(4)
	buffer_store_dword v5, v9, s[0:3], 0 offen offset:4
	s_waitcnt vmcnt(4)
	buffer_store_dword v6, v9, s[0:3], 0 offen offset:8
	s_waitcnt vmcnt(4)
	buffer_store_dword v7, v9, s[0:3], 0 offen offset:12
	buffer_store_dword v3, v0, s[0:3], 0 offen offset:12
	buffer_store_dword v2, v0, s[0:3], 0 offen offset:8
	buffer_store_dword v1, v0, s[0:3], 0 offen offset:4
	s_waitcnt vmcnt(7)
	buffer_store_dword v8, v0, s[0:3], 0 offen
.LBB32_234:
	s_or_b64 exec, exec, s[4:5]
	v_pk_mov_b32 v[0:1], s[10:11], s[10:11] op_sel:[0,1]
	flat_load_dword v0, v[0:1] offset:80
	s_waitcnt vmcnt(0) lgkmcnt(0)
	v_add_u32_e32 v0, -1, v0
	v_cmp_ne_u32_e32 vcc, 20, v0
	s_and_saveexec_b64 s[4:5], vcc
	s_cbranch_execz .LBB32_236
; %bb.235:
	v_mov_b32_e32 v1, 16
	v_accvgpr_read_b32 v9, a72
	v_lshl_add_u32 v0, v0, 4, v1
	buffer_load_dword v1, v9, s[0:3], 0 offen offset:4
	buffer_load_dword v2, v9, s[0:3], 0 offen offset:8
	buffer_load_dword v3, v9, s[0:3], 0 offen offset:12
	buffer_load_dword v4, v0, s[0:3], 0 offen
	buffer_load_dword v5, v0, s[0:3], 0 offen offset:4
	buffer_load_dword v6, v0, s[0:3], 0 offen offset:8
	buffer_load_dword v7, v0, s[0:3], 0 offen offset:12
	buffer_load_dword v8, v9, s[0:3], 0 offen
	s_waitcnt vmcnt(4)
	buffer_store_dword v4, v9, s[0:3], 0 offen
	s_waitcnt vmcnt(4)
	buffer_store_dword v5, v9, s[0:3], 0 offen offset:4
	s_waitcnt vmcnt(4)
	buffer_store_dword v6, v9, s[0:3], 0 offen offset:8
	s_waitcnt vmcnt(4)
	buffer_store_dword v7, v9, s[0:3], 0 offen offset:12
	buffer_store_dword v3, v0, s[0:3], 0 offen offset:12
	buffer_store_dword v2, v0, s[0:3], 0 offen offset:8
	buffer_store_dword v1, v0, s[0:3], 0 offen offset:4
	s_waitcnt vmcnt(7)
	buffer_store_dword v8, v0, s[0:3], 0 offen
.LBB32_236:
	s_or_b64 exec, exec, s[4:5]
	v_pk_mov_b32 v[0:1], s[10:11], s[10:11] op_sel:[0,1]
	flat_load_dword v0, v[0:1] offset:76
	s_waitcnt vmcnt(0) lgkmcnt(0)
	v_add_u32_e32 v0, -1, v0
	v_cmp_ne_u32_e32 vcc, 19, v0
	s_and_saveexec_b64 s[4:5], vcc
	s_cbranch_execz .LBB32_238
; %bb.237:
	v_mov_b32_e32 v1, 16
	v_accvgpr_read_b32 v9, a73
	v_lshl_add_u32 v0, v0, 4, v1
	buffer_load_dword v1, v9, s[0:3], 0 offen offset:4
	buffer_load_dword v2, v9, s[0:3], 0 offen offset:8
	buffer_load_dword v3, v9, s[0:3], 0 offen offset:12
	buffer_load_dword v4, v0, s[0:3], 0 offen
	buffer_load_dword v5, v0, s[0:3], 0 offen offset:4
	buffer_load_dword v6, v0, s[0:3], 0 offen offset:8
	buffer_load_dword v7, v0, s[0:3], 0 offen offset:12
	buffer_load_dword v8, v9, s[0:3], 0 offen
	s_waitcnt vmcnt(4)
	buffer_store_dword v4, v9, s[0:3], 0 offen
	s_waitcnt vmcnt(4)
	buffer_store_dword v5, v9, s[0:3], 0 offen offset:4
	s_waitcnt vmcnt(4)
	buffer_store_dword v6, v9, s[0:3], 0 offen offset:8
	s_waitcnt vmcnt(4)
	buffer_store_dword v7, v9, s[0:3], 0 offen offset:12
	buffer_store_dword v3, v0, s[0:3], 0 offen offset:12
	buffer_store_dword v2, v0, s[0:3], 0 offen offset:8
	buffer_store_dword v1, v0, s[0:3], 0 offen offset:4
	s_waitcnt vmcnt(7)
	buffer_store_dword v8, v0, s[0:3], 0 offen
.LBB32_238:
	s_or_b64 exec, exec, s[4:5]
	v_pk_mov_b32 v[0:1], s[10:11], s[10:11] op_sel:[0,1]
	flat_load_dword v0, v[0:1] offset:72
	s_waitcnt vmcnt(0) lgkmcnt(0)
	v_add_u32_e32 v0, -1, v0
	v_cmp_ne_u32_e32 vcc, 18, v0
	s_and_saveexec_b64 s[4:5], vcc
	s_cbranch_execz .LBB32_240
; %bb.239:
	v_mov_b32_e32 v1, 16
	v_accvgpr_read_b32 v9, a74
	v_lshl_add_u32 v0, v0, 4, v1
	buffer_load_dword v1, v9, s[0:3], 0 offen offset:4
	buffer_load_dword v2, v9, s[0:3], 0 offen offset:8
	buffer_load_dword v3, v9, s[0:3], 0 offen offset:12
	buffer_load_dword v4, v0, s[0:3], 0 offen
	buffer_load_dword v5, v0, s[0:3], 0 offen offset:4
	buffer_load_dword v6, v0, s[0:3], 0 offen offset:8
	buffer_load_dword v7, v0, s[0:3], 0 offen offset:12
	buffer_load_dword v8, v9, s[0:3], 0 offen
	s_waitcnt vmcnt(4)
	buffer_store_dword v4, v9, s[0:3], 0 offen
	s_waitcnt vmcnt(4)
	buffer_store_dword v5, v9, s[0:3], 0 offen offset:4
	s_waitcnt vmcnt(4)
	buffer_store_dword v6, v9, s[0:3], 0 offen offset:8
	s_waitcnt vmcnt(4)
	buffer_store_dword v7, v9, s[0:3], 0 offen offset:12
	buffer_store_dword v3, v0, s[0:3], 0 offen offset:12
	buffer_store_dword v2, v0, s[0:3], 0 offen offset:8
	buffer_store_dword v1, v0, s[0:3], 0 offen offset:4
	s_waitcnt vmcnt(7)
	buffer_store_dword v8, v0, s[0:3], 0 offen
.LBB32_240:
	s_or_b64 exec, exec, s[4:5]
	v_pk_mov_b32 v[0:1], s[10:11], s[10:11] op_sel:[0,1]
	flat_load_dword v0, v[0:1] offset:68
	s_waitcnt vmcnt(0) lgkmcnt(0)
	v_add_u32_e32 v0, -1, v0
	v_cmp_ne_u32_e32 vcc, 17, v0
	s_and_saveexec_b64 s[4:5], vcc
	s_cbranch_execz .LBB32_242
; %bb.241:
	v_mov_b32_e32 v1, 16
	v_accvgpr_read_b32 v9, a75
	v_lshl_add_u32 v0, v0, 4, v1
	buffer_load_dword v1, v9, s[0:3], 0 offen offset:4
	buffer_load_dword v2, v9, s[0:3], 0 offen offset:8
	buffer_load_dword v3, v9, s[0:3], 0 offen offset:12
	buffer_load_dword v4, v0, s[0:3], 0 offen
	buffer_load_dword v5, v0, s[0:3], 0 offen offset:4
	buffer_load_dword v6, v0, s[0:3], 0 offen offset:8
	buffer_load_dword v7, v0, s[0:3], 0 offen offset:12
	buffer_load_dword v8, v9, s[0:3], 0 offen
	s_waitcnt vmcnt(4)
	buffer_store_dword v4, v9, s[0:3], 0 offen
	s_waitcnt vmcnt(4)
	buffer_store_dword v5, v9, s[0:3], 0 offen offset:4
	s_waitcnt vmcnt(4)
	buffer_store_dword v6, v9, s[0:3], 0 offen offset:8
	s_waitcnt vmcnt(4)
	buffer_store_dword v7, v9, s[0:3], 0 offen offset:12
	buffer_store_dword v3, v0, s[0:3], 0 offen offset:12
	buffer_store_dword v2, v0, s[0:3], 0 offen offset:8
	buffer_store_dword v1, v0, s[0:3], 0 offen offset:4
	s_waitcnt vmcnt(7)
	buffer_store_dword v8, v0, s[0:3], 0 offen
.LBB32_242:
	s_or_b64 exec, exec, s[4:5]
	v_pk_mov_b32 v[0:1], s[10:11], s[10:11] op_sel:[0,1]
	flat_load_dword v0, v[0:1] offset:64
	s_waitcnt vmcnt(0) lgkmcnt(0)
	v_add_u32_e32 v0, -1, v0
	v_cmp_ne_u32_e32 vcc, 16, v0
	s_and_saveexec_b64 s[4:5], vcc
	s_cbranch_execz .LBB32_244
; %bb.243:
	v_mov_b32_e32 v1, 16
	v_accvgpr_read_b32 v9, a76
	v_lshl_add_u32 v0, v0, 4, v1
	buffer_load_dword v1, v9, s[0:3], 0 offen offset:4
	buffer_load_dword v2, v9, s[0:3], 0 offen offset:8
	buffer_load_dword v3, v9, s[0:3], 0 offen offset:12
	buffer_load_dword v4, v0, s[0:3], 0 offen
	buffer_load_dword v5, v0, s[0:3], 0 offen offset:4
	buffer_load_dword v6, v0, s[0:3], 0 offen offset:8
	buffer_load_dword v7, v0, s[0:3], 0 offen offset:12
	buffer_load_dword v8, v9, s[0:3], 0 offen
	s_waitcnt vmcnt(4)
	buffer_store_dword v4, v9, s[0:3], 0 offen
	s_waitcnt vmcnt(4)
	buffer_store_dword v5, v9, s[0:3], 0 offen offset:4
	s_waitcnt vmcnt(4)
	buffer_store_dword v6, v9, s[0:3], 0 offen offset:8
	s_waitcnt vmcnt(4)
	buffer_store_dword v7, v9, s[0:3], 0 offen offset:12
	buffer_store_dword v3, v0, s[0:3], 0 offen offset:12
	buffer_store_dword v2, v0, s[0:3], 0 offen offset:8
	buffer_store_dword v1, v0, s[0:3], 0 offen offset:4
	s_waitcnt vmcnt(7)
	buffer_store_dword v8, v0, s[0:3], 0 offen
.LBB32_244:
	s_or_b64 exec, exec, s[4:5]
	v_pk_mov_b32 v[0:1], s[10:11], s[10:11] op_sel:[0,1]
	flat_load_dword v0, v[0:1] offset:60
	s_waitcnt vmcnt(0) lgkmcnt(0)
	v_add_u32_e32 v0, -1, v0
	v_cmp_ne_u32_e32 vcc, 15, v0
	s_and_saveexec_b64 s[4:5], vcc
	s_cbranch_execz .LBB32_246
; %bb.245:
	v_mov_b32_e32 v1, 16
	v_accvgpr_read_b32 v9, a77
	v_lshl_add_u32 v0, v0, 4, v1
	buffer_load_dword v1, v9, s[0:3], 0 offen offset:4
	buffer_load_dword v2, v9, s[0:3], 0 offen offset:8
	buffer_load_dword v3, v9, s[0:3], 0 offen offset:12
	buffer_load_dword v4, v0, s[0:3], 0 offen
	buffer_load_dword v5, v0, s[0:3], 0 offen offset:4
	buffer_load_dword v6, v0, s[0:3], 0 offen offset:8
	buffer_load_dword v7, v0, s[0:3], 0 offen offset:12
	buffer_load_dword v8, v9, s[0:3], 0 offen
	s_waitcnt vmcnt(4)
	buffer_store_dword v4, v9, s[0:3], 0 offen
	s_waitcnt vmcnt(4)
	buffer_store_dword v5, v9, s[0:3], 0 offen offset:4
	s_waitcnt vmcnt(4)
	buffer_store_dword v6, v9, s[0:3], 0 offen offset:8
	s_waitcnt vmcnt(4)
	buffer_store_dword v7, v9, s[0:3], 0 offen offset:12
	buffer_store_dword v3, v0, s[0:3], 0 offen offset:12
	buffer_store_dword v2, v0, s[0:3], 0 offen offset:8
	buffer_store_dword v1, v0, s[0:3], 0 offen offset:4
	s_waitcnt vmcnt(7)
	buffer_store_dword v8, v0, s[0:3], 0 offen
.LBB32_246:
	s_or_b64 exec, exec, s[4:5]
	v_pk_mov_b32 v[0:1], s[10:11], s[10:11] op_sel:[0,1]
	flat_load_dword v0, v[0:1] offset:56
	s_waitcnt vmcnt(0) lgkmcnt(0)
	v_add_u32_e32 v0, -1, v0
	v_cmp_ne_u32_e32 vcc, 14, v0
	s_and_saveexec_b64 s[4:5], vcc
	s_cbranch_execz .LBB32_248
; %bb.247:
	v_mov_b32_e32 v1, 16
	v_accvgpr_read_b32 v9, a78
	v_lshl_add_u32 v0, v0, 4, v1
	buffer_load_dword v1, v9, s[0:3], 0 offen offset:4
	buffer_load_dword v2, v9, s[0:3], 0 offen offset:8
	buffer_load_dword v3, v9, s[0:3], 0 offen offset:12
	buffer_load_dword v4, v0, s[0:3], 0 offen
	buffer_load_dword v5, v0, s[0:3], 0 offen offset:4
	buffer_load_dword v6, v0, s[0:3], 0 offen offset:8
	buffer_load_dword v7, v0, s[0:3], 0 offen offset:12
	buffer_load_dword v8, v9, s[0:3], 0 offen
	s_waitcnt vmcnt(4)
	buffer_store_dword v4, v9, s[0:3], 0 offen
	s_waitcnt vmcnt(4)
	buffer_store_dword v5, v9, s[0:3], 0 offen offset:4
	s_waitcnt vmcnt(4)
	buffer_store_dword v6, v9, s[0:3], 0 offen offset:8
	s_waitcnt vmcnt(4)
	buffer_store_dword v7, v9, s[0:3], 0 offen offset:12
	buffer_store_dword v3, v0, s[0:3], 0 offen offset:12
	buffer_store_dword v2, v0, s[0:3], 0 offen offset:8
	buffer_store_dword v1, v0, s[0:3], 0 offen offset:4
	s_waitcnt vmcnt(7)
	buffer_store_dword v8, v0, s[0:3], 0 offen
.LBB32_248:
	s_or_b64 exec, exec, s[4:5]
	v_pk_mov_b32 v[0:1], s[10:11], s[10:11] op_sel:[0,1]
	flat_load_dword v0, v[0:1] offset:52
	s_waitcnt vmcnt(0) lgkmcnt(0)
	v_add_u32_e32 v0, -1, v0
	v_cmp_ne_u32_e32 vcc, 13, v0
	s_and_saveexec_b64 s[4:5], vcc
	s_cbranch_execz .LBB32_250
; %bb.249:
	v_mov_b32_e32 v1, 16
	v_accvgpr_read_b32 v9, a79
	v_lshl_add_u32 v0, v0, 4, v1
	buffer_load_dword v1, v9, s[0:3], 0 offen offset:4
	buffer_load_dword v2, v9, s[0:3], 0 offen offset:8
	buffer_load_dword v3, v9, s[0:3], 0 offen offset:12
	buffer_load_dword v4, v0, s[0:3], 0 offen
	buffer_load_dword v5, v0, s[0:3], 0 offen offset:4
	buffer_load_dword v6, v0, s[0:3], 0 offen offset:8
	buffer_load_dword v7, v0, s[0:3], 0 offen offset:12
	buffer_load_dword v8, v9, s[0:3], 0 offen
	s_waitcnt vmcnt(4)
	buffer_store_dword v4, v9, s[0:3], 0 offen
	s_waitcnt vmcnt(4)
	buffer_store_dword v5, v9, s[0:3], 0 offen offset:4
	s_waitcnt vmcnt(4)
	buffer_store_dword v6, v9, s[0:3], 0 offen offset:8
	s_waitcnt vmcnt(4)
	buffer_store_dword v7, v9, s[0:3], 0 offen offset:12
	buffer_store_dword v3, v0, s[0:3], 0 offen offset:12
	buffer_store_dword v2, v0, s[0:3], 0 offen offset:8
	buffer_store_dword v1, v0, s[0:3], 0 offen offset:4
	s_waitcnt vmcnt(7)
	buffer_store_dword v8, v0, s[0:3], 0 offen
.LBB32_250:
	s_or_b64 exec, exec, s[4:5]
	v_pk_mov_b32 v[0:1], s[10:11], s[10:11] op_sel:[0,1]
	flat_load_dword v0, v[0:1] offset:48
	s_waitcnt vmcnt(0) lgkmcnt(0)
	v_add_u32_e32 v0, -1, v0
	v_cmp_ne_u32_e32 vcc, 12, v0
	s_and_saveexec_b64 s[4:5], vcc
	s_cbranch_execz .LBB32_252
; %bb.251:
	v_mov_b32_e32 v1, 16
	v_accvgpr_read_b32 v9, a80
	v_lshl_add_u32 v0, v0, 4, v1
	buffer_load_dword v1, v9, s[0:3], 0 offen offset:4
	buffer_load_dword v2, v9, s[0:3], 0 offen offset:8
	buffer_load_dword v3, v9, s[0:3], 0 offen offset:12
	buffer_load_dword v4, v0, s[0:3], 0 offen
	buffer_load_dword v5, v0, s[0:3], 0 offen offset:4
	buffer_load_dword v6, v0, s[0:3], 0 offen offset:8
	buffer_load_dword v7, v0, s[0:3], 0 offen offset:12
	buffer_load_dword v8, v9, s[0:3], 0 offen
	s_waitcnt vmcnt(4)
	buffer_store_dword v4, v9, s[0:3], 0 offen
	s_waitcnt vmcnt(4)
	buffer_store_dword v5, v9, s[0:3], 0 offen offset:4
	s_waitcnt vmcnt(4)
	buffer_store_dword v6, v9, s[0:3], 0 offen offset:8
	s_waitcnt vmcnt(4)
	buffer_store_dword v7, v9, s[0:3], 0 offen offset:12
	buffer_store_dword v3, v0, s[0:3], 0 offen offset:12
	buffer_store_dword v2, v0, s[0:3], 0 offen offset:8
	buffer_store_dword v1, v0, s[0:3], 0 offen offset:4
	s_waitcnt vmcnt(7)
	buffer_store_dword v8, v0, s[0:3], 0 offen
.LBB32_252:
	s_or_b64 exec, exec, s[4:5]
	v_pk_mov_b32 v[0:1], s[10:11], s[10:11] op_sel:[0,1]
	flat_load_dword v0, v[0:1] offset:44
	s_waitcnt vmcnt(0) lgkmcnt(0)
	v_add_u32_e32 v0, -1, v0
	v_cmp_ne_u32_e32 vcc, 11, v0
	s_and_saveexec_b64 s[4:5], vcc
	s_cbranch_execz .LBB32_254
; %bb.253:
	v_mov_b32_e32 v1, 16
	v_accvgpr_read_b32 v9, a81
	v_lshl_add_u32 v0, v0, 4, v1
	buffer_load_dword v1, v9, s[0:3], 0 offen offset:4
	buffer_load_dword v2, v9, s[0:3], 0 offen offset:8
	buffer_load_dword v3, v9, s[0:3], 0 offen offset:12
	buffer_load_dword v4, v0, s[0:3], 0 offen
	buffer_load_dword v5, v0, s[0:3], 0 offen offset:4
	buffer_load_dword v6, v0, s[0:3], 0 offen offset:8
	buffer_load_dword v7, v0, s[0:3], 0 offen offset:12
	buffer_load_dword v8, v9, s[0:3], 0 offen
	s_waitcnt vmcnt(4)
	buffer_store_dword v4, v9, s[0:3], 0 offen
	s_waitcnt vmcnt(4)
	buffer_store_dword v5, v9, s[0:3], 0 offen offset:4
	s_waitcnt vmcnt(4)
	buffer_store_dword v6, v9, s[0:3], 0 offen offset:8
	s_waitcnt vmcnt(4)
	buffer_store_dword v7, v9, s[0:3], 0 offen offset:12
	buffer_store_dword v3, v0, s[0:3], 0 offen offset:12
	buffer_store_dword v2, v0, s[0:3], 0 offen offset:8
	buffer_store_dword v1, v0, s[0:3], 0 offen offset:4
	s_waitcnt vmcnt(7)
	buffer_store_dword v8, v0, s[0:3], 0 offen
.LBB32_254:
	s_or_b64 exec, exec, s[4:5]
	v_pk_mov_b32 v[0:1], s[10:11], s[10:11] op_sel:[0,1]
	flat_load_dword v0, v[0:1] offset:40
	s_waitcnt vmcnt(0) lgkmcnt(0)
	v_add_u32_e32 v0, -1, v0
	v_cmp_ne_u32_e32 vcc, 10, v0
	s_and_saveexec_b64 s[4:5], vcc
	s_cbranch_execz .LBB32_256
; %bb.255:
	v_mov_b32_e32 v1, 16
	v_accvgpr_read_b32 v9, a82
	v_lshl_add_u32 v0, v0, 4, v1
	buffer_load_dword v1, v9, s[0:3], 0 offen offset:4
	buffer_load_dword v2, v9, s[0:3], 0 offen offset:8
	buffer_load_dword v3, v9, s[0:3], 0 offen offset:12
	buffer_load_dword v4, v0, s[0:3], 0 offen
	buffer_load_dword v5, v0, s[0:3], 0 offen offset:4
	buffer_load_dword v6, v0, s[0:3], 0 offen offset:8
	buffer_load_dword v7, v0, s[0:3], 0 offen offset:12
	buffer_load_dword v8, v9, s[0:3], 0 offen
	s_waitcnt vmcnt(4)
	buffer_store_dword v4, v9, s[0:3], 0 offen
	s_waitcnt vmcnt(4)
	buffer_store_dword v5, v9, s[0:3], 0 offen offset:4
	s_waitcnt vmcnt(4)
	buffer_store_dword v6, v9, s[0:3], 0 offen offset:8
	s_waitcnt vmcnt(4)
	buffer_store_dword v7, v9, s[0:3], 0 offen offset:12
	buffer_store_dword v3, v0, s[0:3], 0 offen offset:12
	buffer_store_dword v2, v0, s[0:3], 0 offen offset:8
	buffer_store_dword v1, v0, s[0:3], 0 offen offset:4
	s_waitcnt vmcnt(7)
	buffer_store_dword v8, v0, s[0:3], 0 offen
.LBB32_256:
	s_or_b64 exec, exec, s[4:5]
	v_pk_mov_b32 v[0:1], s[10:11], s[10:11] op_sel:[0,1]
	flat_load_dword v0, v[0:1] offset:36
	s_waitcnt vmcnt(0) lgkmcnt(0)
	v_add_u32_e32 v0, -1, v0
	v_cmp_ne_u32_e32 vcc, 9, v0
	s_and_saveexec_b64 s[4:5], vcc
	s_cbranch_execz .LBB32_258
; %bb.257:
	v_mov_b32_e32 v1, 16
	v_accvgpr_read_b32 v9, a83
	v_lshl_add_u32 v0, v0, 4, v1
	buffer_load_dword v1, v9, s[0:3], 0 offen offset:4
	buffer_load_dword v2, v9, s[0:3], 0 offen offset:8
	buffer_load_dword v3, v9, s[0:3], 0 offen offset:12
	buffer_load_dword v4, v0, s[0:3], 0 offen
	buffer_load_dword v5, v0, s[0:3], 0 offen offset:4
	buffer_load_dword v6, v0, s[0:3], 0 offen offset:8
	buffer_load_dword v7, v0, s[0:3], 0 offen offset:12
	buffer_load_dword v8, v9, s[0:3], 0 offen
	s_waitcnt vmcnt(4)
	buffer_store_dword v4, v9, s[0:3], 0 offen
	s_waitcnt vmcnt(4)
	buffer_store_dword v5, v9, s[0:3], 0 offen offset:4
	s_waitcnt vmcnt(4)
	buffer_store_dword v6, v9, s[0:3], 0 offen offset:8
	s_waitcnt vmcnt(4)
	buffer_store_dword v7, v9, s[0:3], 0 offen offset:12
	buffer_store_dword v3, v0, s[0:3], 0 offen offset:12
	buffer_store_dword v2, v0, s[0:3], 0 offen offset:8
	buffer_store_dword v1, v0, s[0:3], 0 offen offset:4
	s_waitcnt vmcnt(7)
	buffer_store_dword v8, v0, s[0:3], 0 offen
.LBB32_258:
	s_or_b64 exec, exec, s[4:5]
	v_pk_mov_b32 v[0:1], s[10:11], s[10:11] op_sel:[0,1]
	flat_load_dword v0, v[0:1] offset:32
	s_waitcnt vmcnt(0) lgkmcnt(0)
	v_add_u32_e32 v0, -1, v0
	v_cmp_ne_u32_e32 vcc, 8, v0
	s_and_saveexec_b64 s[4:5], vcc
	s_cbranch_execz .LBB32_260
; %bb.259:
	v_mov_b32_e32 v1, 16
	v_accvgpr_read_b32 v9, a84
	v_lshl_add_u32 v0, v0, 4, v1
	buffer_load_dword v1, v9, s[0:3], 0 offen offset:4
	buffer_load_dword v2, v9, s[0:3], 0 offen offset:8
	buffer_load_dword v3, v9, s[0:3], 0 offen offset:12
	buffer_load_dword v4, v0, s[0:3], 0 offen
	buffer_load_dword v5, v0, s[0:3], 0 offen offset:4
	buffer_load_dword v6, v0, s[0:3], 0 offen offset:8
	buffer_load_dword v7, v0, s[0:3], 0 offen offset:12
	buffer_load_dword v8, v9, s[0:3], 0 offen
	s_waitcnt vmcnt(4)
	buffer_store_dword v4, v9, s[0:3], 0 offen
	s_waitcnt vmcnt(4)
	buffer_store_dword v5, v9, s[0:3], 0 offen offset:4
	s_waitcnt vmcnt(4)
	buffer_store_dword v6, v9, s[0:3], 0 offen offset:8
	s_waitcnt vmcnt(4)
	buffer_store_dword v7, v9, s[0:3], 0 offen offset:12
	buffer_store_dword v3, v0, s[0:3], 0 offen offset:12
	buffer_store_dword v2, v0, s[0:3], 0 offen offset:8
	buffer_store_dword v1, v0, s[0:3], 0 offen offset:4
	s_waitcnt vmcnt(7)
	buffer_store_dword v8, v0, s[0:3], 0 offen
.LBB32_260:
	s_or_b64 exec, exec, s[4:5]
	v_pk_mov_b32 v[0:1], s[10:11], s[10:11] op_sel:[0,1]
	flat_load_dword v0, v[0:1] offset:28
	s_waitcnt vmcnt(0) lgkmcnt(0)
	v_add_u32_e32 v0, -1, v0
	v_cmp_ne_u32_e32 vcc, 7, v0
	s_and_saveexec_b64 s[4:5], vcc
	s_cbranch_execz .LBB32_262
; %bb.261:
	v_mov_b32_e32 v1, 16
	v_accvgpr_read_b32 v9, a86
	v_lshl_add_u32 v0, v0, 4, v1
	buffer_load_dword v1, v9, s[0:3], 0 offen offset:4
	buffer_load_dword v2, v9, s[0:3], 0 offen offset:8
	buffer_load_dword v3, v9, s[0:3], 0 offen offset:12
	buffer_load_dword v4, v0, s[0:3], 0 offen
	buffer_load_dword v5, v0, s[0:3], 0 offen offset:4
	buffer_load_dword v6, v0, s[0:3], 0 offen offset:8
	buffer_load_dword v7, v0, s[0:3], 0 offen offset:12
	buffer_load_dword v8, v9, s[0:3], 0 offen
	s_waitcnt vmcnt(4)
	buffer_store_dword v4, v9, s[0:3], 0 offen
	s_waitcnt vmcnt(4)
	buffer_store_dword v5, v9, s[0:3], 0 offen offset:4
	s_waitcnt vmcnt(4)
	buffer_store_dword v6, v9, s[0:3], 0 offen offset:8
	s_waitcnt vmcnt(4)
	buffer_store_dword v7, v9, s[0:3], 0 offen offset:12
	buffer_store_dword v3, v0, s[0:3], 0 offen offset:12
	buffer_store_dword v2, v0, s[0:3], 0 offen offset:8
	buffer_store_dword v1, v0, s[0:3], 0 offen offset:4
	s_waitcnt vmcnt(7)
	buffer_store_dword v8, v0, s[0:3], 0 offen
.LBB32_262:
	s_or_b64 exec, exec, s[4:5]
	v_pk_mov_b32 v[0:1], s[10:11], s[10:11] op_sel:[0,1]
	flat_load_dword v0, v[0:1] offset:24
	s_waitcnt vmcnt(0) lgkmcnt(0)
	v_add_u32_e32 v0, -1, v0
	v_cmp_ne_u32_e32 vcc, 6, v0
	s_and_saveexec_b64 s[4:5], vcc
	s_cbranch_execz .LBB32_264
; %bb.263:
	v_mov_b32_e32 v1, 16
	v_accvgpr_read_b32 v9, a88
	v_lshl_add_u32 v0, v0, 4, v1
	buffer_load_dword v1, v9, s[0:3], 0 offen offset:4
	buffer_load_dword v2, v9, s[0:3], 0 offen offset:8
	buffer_load_dword v3, v9, s[0:3], 0 offen offset:12
	buffer_load_dword v4, v0, s[0:3], 0 offen
	buffer_load_dword v5, v0, s[0:3], 0 offen offset:4
	buffer_load_dword v6, v0, s[0:3], 0 offen offset:8
	buffer_load_dword v7, v0, s[0:3], 0 offen offset:12
	buffer_load_dword v8, v9, s[0:3], 0 offen
	s_waitcnt vmcnt(4)
	buffer_store_dword v4, v9, s[0:3], 0 offen
	s_waitcnt vmcnt(4)
	buffer_store_dword v5, v9, s[0:3], 0 offen offset:4
	s_waitcnt vmcnt(4)
	buffer_store_dword v6, v9, s[0:3], 0 offen offset:8
	s_waitcnt vmcnt(4)
	buffer_store_dword v7, v9, s[0:3], 0 offen offset:12
	buffer_store_dword v3, v0, s[0:3], 0 offen offset:12
	buffer_store_dword v2, v0, s[0:3], 0 offen offset:8
	buffer_store_dword v1, v0, s[0:3], 0 offen offset:4
	s_waitcnt vmcnt(7)
	buffer_store_dword v8, v0, s[0:3], 0 offen
.LBB32_264:
	s_or_b64 exec, exec, s[4:5]
	v_pk_mov_b32 v[0:1], s[10:11], s[10:11] op_sel:[0,1]
	flat_load_dword v0, v[0:1] offset:20
	s_waitcnt vmcnt(0) lgkmcnt(0)
	v_add_u32_e32 v0, -1, v0
	v_cmp_ne_u32_e32 vcc, 5, v0
	s_and_saveexec_b64 s[4:5], vcc
	s_cbranch_execz .LBB32_266
; %bb.265:
	v_mov_b32_e32 v1, 16
	v_accvgpr_read_b32 v9, a85
	v_lshl_add_u32 v0, v0, 4, v1
	buffer_load_dword v1, v9, s[0:3], 0 offen offset:4
	buffer_load_dword v2, v9, s[0:3], 0 offen offset:8
	buffer_load_dword v3, v9, s[0:3], 0 offen offset:12
	buffer_load_dword v4, v0, s[0:3], 0 offen
	buffer_load_dword v5, v0, s[0:3], 0 offen offset:4
	buffer_load_dword v6, v0, s[0:3], 0 offen offset:8
	buffer_load_dword v7, v0, s[0:3], 0 offen offset:12
	buffer_load_dword v8, v9, s[0:3], 0 offen
	s_waitcnt vmcnt(4)
	buffer_store_dword v4, v9, s[0:3], 0 offen
	s_waitcnt vmcnt(4)
	buffer_store_dword v5, v9, s[0:3], 0 offen offset:4
	s_waitcnt vmcnt(4)
	buffer_store_dword v6, v9, s[0:3], 0 offen offset:8
	s_waitcnt vmcnt(4)
	buffer_store_dword v7, v9, s[0:3], 0 offen offset:12
	buffer_store_dword v3, v0, s[0:3], 0 offen offset:12
	buffer_store_dword v2, v0, s[0:3], 0 offen offset:8
	buffer_store_dword v1, v0, s[0:3], 0 offen offset:4
	s_waitcnt vmcnt(7)
	buffer_store_dword v8, v0, s[0:3], 0 offen
.LBB32_266:
	s_or_b64 exec, exec, s[4:5]
	v_pk_mov_b32 v[0:1], s[10:11], s[10:11] op_sel:[0,1]
	flat_load_dword v0, v[0:1] offset:16
	s_waitcnt vmcnt(0) lgkmcnt(0)
	v_add_u32_e32 v0, -1, v0
	v_cmp_ne_u32_e32 vcc, 4, v0
	s_and_saveexec_b64 s[4:5], vcc
	s_cbranch_execz .LBB32_268
; %bb.267:
	v_mov_b32_e32 v1, 16
	v_accvgpr_read_b32 v9, a87
	v_lshl_add_u32 v0, v0, 4, v1
	buffer_load_dword v1, v9, s[0:3], 0 offen offset:4
	buffer_load_dword v2, v9, s[0:3], 0 offen offset:8
	buffer_load_dword v3, v9, s[0:3], 0 offen offset:12
	buffer_load_dword v4, v0, s[0:3], 0 offen
	buffer_load_dword v5, v0, s[0:3], 0 offen offset:4
	buffer_load_dword v6, v0, s[0:3], 0 offen offset:8
	buffer_load_dword v7, v0, s[0:3], 0 offen offset:12
	buffer_load_dword v8, v9, s[0:3], 0 offen
	s_waitcnt vmcnt(4)
	buffer_store_dword v4, v9, s[0:3], 0 offen
	s_waitcnt vmcnt(4)
	buffer_store_dword v5, v9, s[0:3], 0 offen offset:4
	s_waitcnt vmcnt(4)
	buffer_store_dword v6, v9, s[0:3], 0 offen offset:8
	s_waitcnt vmcnt(4)
	buffer_store_dword v7, v9, s[0:3], 0 offen offset:12
	buffer_store_dword v3, v0, s[0:3], 0 offen offset:12
	buffer_store_dword v2, v0, s[0:3], 0 offen offset:8
	buffer_store_dword v1, v0, s[0:3], 0 offen offset:4
	s_waitcnt vmcnt(7)
	buffer_store_dword v8, v0, s[0:3], 0 offen
.LBB32_268:
	s_or_b64 exec, exec, s[4:5]
	v_pk_mov_b32 v[0:1], s[10:11], s[10:11] op_sel:[0,1]
	flat_load_dword v0, v[0:1] offset:12
	s_waitcnt vmcnt(0) lgkmcnt(0)
	v_add_u32_e32 v0, -1, v0
	v_cmp_ne_u32_e32 vcc, 3, v0
	s_and_saveexec_b64 s[4:5], vcc
	s_cbranch_execz .LBB32_270
; %bb.269:
	v_mov_b32_e32 v1, 16
	v_accvgpr_read_b32 v9, a91
	v_lshl_add_u32 v0, v0, 4, v1
	buffer_load_dword v1, v9, s[0:3], 0 offen offset:4
	buffer_load_dword v2, v9, s[0:3], 0 offen offset:8
	buffer_load_dword v3, v9, s[0:3], 0 offen offset:12
	buffer_load_dword v4, v0, s[0:3], 0 offen
	buffer_load_dword v5, v0, s[0:3], 0 offen offset:4
	buffer_load_dword v6, v0, s[0:3], 0 offen offset:8
	buffer_load_dword v7, v0, s[0:3], 0 offen offset:12
	buffer_load_dword v8, v9, s[0:3], 0 offen
	s_waitcnt vmcnt(4)
	buffer_store_dword v4, v9, s[0:3], 0 offen
	s_waitcnt vmcnt(4)
	buffer_store_dword v5, v9, s[0:3], 0 offen offset:4
	s_waitcnt vmcnt(4)
	buffer_store_dword v6, v9, s[0:3], 0 offen offset:8
	s_waitcnt vmcnt(4)
	buffer_store_dword v7, v9, s[0:3], 0 offen offset:12
	buffer_store_dword v3, v0, s[0:3], 0 offen offset:12
	buffer_store_dword v2, v0, s[0:3], 0 offen offset:8
	buffer_store_dword v1, v0, s[0:3], 0 offen offset:4
	s_waitcnt vmcnt(7)
	buffer_store_dword v8, v0, s[0:3], 0 offen
.LBB32_270:
	s_or_b64 exec, exec, s[4:5]
	v_pk_mov_b32 v[0:1], s[10:11], s[10:11] op_sel:[0,1]
	flat_load_dword v0, v[0:1] offset:8
	s_waitcnt vmcnt(0) lgkmcnt(0)
	v_add_u32_e32 v0, -1, v0
	v_cmp_ne_u32_e32 vcc, 2, v0
	s_and_saveexec_b64 s[4:5], vcc
	s_cbranch_execz .LBB32_272
; %bb.271:
	v_mov_b32_e32 v1, 16
	v_accvgpr_read_b32 v9, a89
	v_lshl_add_u32 v0, v0, 4, v1
	buffer_load_dword v1, v9, s[0:3], 0 offen offset:4
	buffer_load_dword v2, v9, s[0:3], 0 offen offset:8
	buffer_load_dword v3, v9, s[0:3], 0 offen offset:12
	buffer_load_dword v4, v0, s[0:3], 0 offen
	buffer_load_dword v5, v0, s[0:3], 0 offen offset:4
	buffer_load_dword v6, v0, s[0:3], 0 offen offset:8
	buffer_load_dword v7, v0, s[0:3], 0 offen offset:12
	buffer_load_dword v8, v9, s[0:3], 0 offen
	s_waitcnt vmcnt(4)
	buffer_store_dword v4, v9, s[0:3], 0 offen
	s_waitcnt vmcnt(4)
	buffer_store_dword v5, v9, s[0:3], 0 offen offset:4
	s_waitcnt vmcnt(4)
	buffer_store_dword v6, v9, s[0:3], 0 offen offset:8
	s_waitcnt vmcnt(4)
	buffer_store_dword v7, v9, s[0:3], 0 offen offset:12
	buffer_store_dword v3, v0, s[0:3], 0 offen offset:12
	buffer_store_dword v2, v0, s[0:3], 0 offen offset:8
	buffer_store_dword v1, v0, s[0:3], 0 offen offset:4
	s_waitcnt vmcnt(7)
	buffer_store_dword v8, v0, s[0:3], 0 offen
.LBB32_272:
	s_or_b64 exec, exec, s[4:5]
	v_pk_mov_b32 v[0:1], s[10:11], s[10:11] op_sel:[0,1]
	flat_load_dword v0, v[0:1] offset:4
	s_waitcnt vmcnt(0) lgkmcnt(0)
	v_add_u32_e32 v0, -1, v0
	v_cmp_ne_u32_e32 vcc, 1, v0
	s_and_saveexec_b64 s[4:5], vcc
	s_cbranch_execz .LBB32_274
; %bb.273:
	v_mov_b32_e32 v1, 16
	v_accvgpr_read_b32 v9, a90
	v_lshl_add_u32 v0, v0, 4, v1
	buffer_load_dword v1, v9, s[0:3], 0 offen offset:4
	buffer_load_dword v2, v9, s[0:3], 0 offen offset:8
	buffer_load_dword v3, v9, s[0:3], 0 offen offset:12
	buffer_load_dword v4, v0, s[0:3], 0 offen
	buffer_load_dword v5, v0, s[0:3], 0 offen offset:4
	buffer_load_dword v6, v0, s[0:3], 0 offen offset:8
	buffer_load_dword v7, v0, s[0:3], 0 offen offset:12
	buffer_load_dword v8, v9, s[0:3], 0 offen
	s_waitcnt vmcnt(4)
	buffer_store_dword v4, v9, s[0:3], 0 offen
	s_waitcnt vmcnt(4)
	buffer_store_dword v5, v9, s[0:3], 0 offen offset:4
	s_waitcnt vmcnt(4)
	buffer_store_dword v6, v9, s[0:3], 0 offen offset:8
	s_waitcnt vmcnt(4)
	buffer_store_dword v7, v9, s[0:3], 0 offen offset:12
	buffer_store_dword v3, v0, s[0:3], 0 offen offset:12
	buffer_store_dword v2, v0, s[0:3], 0 offen offset:8
	buffer_store_dword v1, v0, s[0:3], 0 offen offset:4
	s_waitcnt vmcnt(7)
	buffer_store_dword v8, v0, s[0:3], 0 offen
.LBB32_274:
	s_or_b64 exec, exec, s[4:5]
	v_pk_mov_b32 v[0:1], s[10:11], s[10:11] op_sel:[0,1]
	flat_load_dword v0, v[0:1]
	s_waitcnt vmcnt(0) lgkmcnt(0)
	v_add_u32_e32 v0, -1, v0
	v_cmp_ne_u32_e32 vcc, 0, v0
	s_and_saveexec_b64 s[4:5], vcc
	s_cbranch_execz .LBB32_276
; %bb.275:
	v_mov_b32_e32 v1, 16
	v_lshl_add_u32 v0, v0, 4, v1
	buffer_load_dword v1, v0, s[0:3], 0 offen
	buffer_load_dword v2, v0, s[0:3], 0 offen offset:4
	buffer_load_dword v3, v0, s[0:3], 0 offen offset:8
	;; [unrolled: 1-line block ×3, first 2 shown]
	buffer_load_dword v5, off, s[0:3], 0 offset:28
	buffer_load_dword v6, off, s[0:3], 0 offset:24
	;; [unrolled: 1-line block ×4, first 2 shown]
	s_waitcnt vmcnt(7)
	buffer_store_dword v1, off, s[0:3], 0 offset:16
	s_waitcnt vmcnt(7)
	buffer_store_dword v2, off, s[0:3], 0 offset:20
	s_waitcnt vmcnt(7)
	buffer_store_dword v3, off, s[0:3], 0 offset:24
	s_waitcnt vmcnt(7)
	buffer_store_dword v4, off, s[0:3], 0 offset:28
	s_waitcnt vmcnt(7)
	buffer_store_dword v5, v0, s[0:3], 0 offen offset:12
	s_waitcnt vmcnt(7)
	buffer_store_dword v6, v0, s[0:3], 0 offen offset:8
	;; [unrolled: 2-line block ×3, first 2 shown]
	s_waitcnt vmcnt(7)
	buffer_store_dword v8, v0, s[0:3], 0 offen
.LBB32_276:
	s_or_b64 exec, exec, s[4:5]
.LBB32_277:
	buffer_load_dword v0, off, s[0:3], 0 offset:16
	buffer_load_dword v1, off, s[0:3], 0 offset:20
	;; [unrolled: 1-line block ×4, first 2 shown]
	v_accvgpr_read_b32 v20, a90
	buffer_load_dword v4, v20, s[0:3], 0 offen
	buffer_load_dword v5, v20, s[0:3], 0 offen offset:4
	buffer_load_dword v6, v20, s[0:3], 0 offen offset:8
	;; [unrolled: 1-line block ×3, first 2 shown]
	v_accvgpr_read_b32 v16, a89
	buffer_load_dword v9, v16, s[0:3], 0 offen offset:4
	buffer_load_dword v10, v16, s[0:3], 0 offen offset:8
	;; [unrolled: 1-line block ×3, first 2 shown]
	v_accvgpr_read_b32 v21, a91
	buffer_load_dword v12, v21, s[0:3], 0 offen
	buffer_load_dword v13, v21, s[0:3], 0 offen offset:4
	buffer_load_dword v14, v21, s[0:3], 0 offen offset:8
	buffer_load_dword v8, v16, s[0:3], 0 offen
	buffer_load_dword v15, v21, s[0:3], 0 offen offset:12
	v_accvgpr_read_b32 v36, a87
	buffer_load_dword v17, v36, s[0:3], 0 offen offset:4
	buffer_load_dword v18, v36, s[0:3], 0 offen offset:8
	;; [unrolled: 1-line block ×3, first 2 shown]
	v_accvgpr_read_b32 v34, a85
                                        ; kill: killed $vgpr20
                                        ; kill: killed $vgpr21
                                        ; kill: killed $vgpr16
	buffer_load_dword v20, v34, s[0:3], 0 offen
	buffer_load_dword v21, v34, s[0:3], 0 offen offset:4
	buffer_load_dword v22, v34, s[0:3], 0 offen offset:8
	buffer_load_dword v16, v36, s[0:3], 0 offen
	buffer_load_dword v23, v34, s[0:3], 0 offen offset:12
	v_accvgpr_read_b32 v37, a88
	buffer_load_dword v25, v37, s[0:3], 0 offen offset:4
	buffer_load_dword v26, v37, s[0:3], 0 offen offset:8
	;; [unrolled: 1-line block ×3, first 2 shown]
	v_accvgpr_read_b32 v35, a86
	buffer_load_dword v28, v35, s[0:3], 0 offen
	buffer_load_dword v29, v35, s[0:3], 0 offen offset:4
	buffer_load_dword v30, v35, s[0:3], 0 offen offset:8
	buffer_load_dword v24, v37, s[0:3], 0 offen
	buffer_load_dword v31, v35, s[0:3], 0 offen offset:12
	v_accvgpr_read_b32 v32, a84
	buffer_load_dword v33, v32, s[0:3], 0 offen offset:4
                                        ; kill: killed $vgpr36
                                        ; kill: killed $vgpr37
                                        ; kill: killed $vgpr34
                                        ; kill: killed $vgpr35
	buffer_load_dword v34, v32, s[0:3], 0 offen offset:8
	buffer_load_dword v35, v32, s[0:3], 0 offen offset:12
	v_accvgpr_read_b32 v39, a83
	buffer_load_dword v36, v39, s[0:3], 0 offen
	buffer_load_dword v37, v39, s[0:3], 0 offen offset:4
	buffer_load_dword v38, v39, s[0:3], 0 offen offset:8
	s_nop 0
	buffer_load_dword v32, v32, s[0:3], 0 offen
	s_nop 0
	buffer_load_dword v39, v39, s[0:3], 0 offen offset:12
	v_accvgpr_read_b32 v40, a82
	buffer_load_dword v41, v40, s[0:3], 0 offen offset:4
	buffer_load_dword v42, v40, s[0:3], 0 offen offset:8
	buffer_load_dword v43, v40, s[0:3], 0 offen offset:12
	v_accvgpr_read_b32 v47, a81
	buffer_load_dword v44, v47, s[0:3], 0 offen
	buffer_load_dword v45, v47, s[0:3], 0 offen offset:4
	buffer_load_dword v46, v47, s[0:3], 0 offen offset:8
	s_nop 0
	buffer_load_dword v40, v40, s[0:3], 0 offen
	s_nop 0
	buffer_load_dword v47, v47, s[0:3], 0 offen offset:12
	v_accvgpr_read_b32 v48, a80
	buffer_load_dword v49, v48, s[0:3], 0 offen offset:4
	;; [unrolled: 12-line block ×10, first 2 shown]
	buffer_load_dword v114, v112, s[0:3], 0 offen offset:8
	buffer_load_dword v115, v112, s[0:3], 0 offen offset:12
	v_accvgpr_read_b32 v116, a63
	buffer_load_dword v120, v116, s[0:3], 0 offen
	buffer_load_dword v121, v116, s[0:3], 0 offen offset:4
	buffer_load_dword v122, v116, s[0:3], 0 offen offset:8
	s_nop 0
	buffer_load_dword v112, v112, s[0:3], 0 offen
	s_nop 0
	buffer_load_dword v123, v116, s[0:3], 0 offen offset:12
	v_accvgpr_read_b32 v117, a62
	v_accvgpr_read_b32 v116, a61
	buffer_load_dword v125, v117, s[0:3], 0 offen offset:4
	buffer_load_dword v126, v117, s[0:3], 0 offen offset:8
	;; [unrolled: 1-line block ×3, first 2 shown]
	buffer_load_dword v128, v116, s[0:3], 0 offen
	buffer_load_dword v129, v116, s[0:3], 0 offen offset:4
	buffer_load_dword v130, v116, s[0:3], 0 offen offset:8
	buffer_load_dword v124, v117, s[0:3], 0 offen
	buffer_load_dword v131, v116, s[0:3], 0 offen offset:12
	v_accvgpr_read_b32 v116, a60
	buffer_load_dword v132, v116, s[0:3], 0 offen
	buffer_load_dword v133, v116, s[0:3], 0 offen offset:4
	buffer_load_dword v134, v116, s[0:3], 0 offen offset:8
	;; [unrolled: 1-line block ×3, first 2 shown]
	s_waitcnt vmcnt(62)
	global_store_dwordx4 v[118:119], v[0:3], off
	s_nop 0
	v_accvgpr_read_b32 v0, a0
	v_accvgpr_read_b32 v1, a1
	global_store_dwordx4 v[0:1], v[4:7], off
	v_accvgpr_read_b32 v0, a2
	v_accvgpr_read_b32 v1, a3
	global_store_dwordx4 v[0:1], v[8:11], off
	;; [unrolled: 3-line block ×15, first 2 shown]
	v_accvgpr_read_b32 v0, a30
	v_accvgpr_read_b32 v1, a31
	s_waitcnt vmcnt(62)
	global_store_dwordx4 v[0:1], v[64:67], off
	v_accvgpr_read_b32 v0, a32
	v_accvgpr_read_b32 v1, a33
	global_store_dwordx4 v[0:1], v[68:71], off
	v_accvgpr_read_b32 v0, a34
	v_accvgpr_read_b32 v1, a35
	global_store_dwordx4 v[0:1], v[72:75], off
	v_accvgpr_read_b32 v0, a36
	v_accvgpr_read_b32 v1, a37
	global_store_dwordx4 v[0:1], v[76:79], off
	v_accvgpr_read_b32 v0, a38
	v_accvgpr_read_b32 v1, a39
	s_waitcnt vmcnt(62)
	global_store_dwordx4 v[0:1], v[80:83], off
	v_accvgpr_read_b32 v0, a40
	v_accvgpr_read_b32 v1, a41
	global_store_dwordx4 v[0:1], v[84:87], off
	v_accvgpr_read_b32 v0, a42
	v_accvgpr_read_b32 v1, a43
	s_waitcnt vmcnt(59)
	global_store_dwordx4 v[0:1], v[88:91], off
	v_accvgpr_read_b32 v0, a44
	v_accvgpr_read_b32 v1, a45
	s_waitcnt vmcnt(59)
	;; [unrolled: 4-line block ×9, first 2 shown]
	global_store_dwordx4 v[0:1], v[124:127], off
	s_waitcnt vmcnt(35)
	global_store_dwordx4 v[180:181], v[128:131], off
	s_waitcnt vmcnt(32)
	global_store_dwordx4 v[182:183], v[132:135], off
	s_endpgm
	.section	.rodata,"a",@progbits
	.p2align	6, 0x0
	.amdhsa_kernel _ZN9rocsolver6v33100L18getri_kernel_smallILi33E19rocblas_complex_numIdEPS3_EEvT1_iilPiilS6_bb
		.amdhsa_group_segment_fixed_size 1064
		.amdhsa_private_segment_fixed_size 560
		.amdhsa_kernarg_size 60
		.amdhsa_user_sgpr_count 8
		.amdhsa_user_sgpr_private_segment_buffer 1
		.amdhsa_user_sgpr_dispatch_ptr 0
		.amdhsa_user_sgpr_queue_ptr 0
		.amdhsa_user_sgpr_kernarg_segment_ptr 1
		.amdhsa_user_sgpr_dispatch_id 0
		.amdhsa_user_sgpr_flat_scratch_init 1
		.amdhsa_user_sgpr_kernarg_preload_length 0
		.amdhsa_user_sgpr_kernarg_preload_offset 0
		.amdhsa_user_sgpr_private_segment_size 0
		.amdhsa_uses_dynamic_stack 0
		.amdhsa_system_sgpr_private_segment_wavefront_offset 1
		.amdhsa_system_sgpr_workgroup_id_x 1
		.amdhsa_system_sgpr_workgroup_id_y 0
		.amdhsa_system_sgpr_workgroup_id_z 0
		.amdhsa_system_sgpr_workgroup_info 0
		.amdhsa_system_vgpr_workitem_id 0
		.amdhsa_next_free_vgpr 348
		.amdhsa_next_free_sgpr 23
		.amdhsa_accum_offset 256
		.amdhsa_reserve_vcc 1
		.amdhsa_reserve_flat_scratch 1
		.amdhsa_float_round_mode_32 0
		.amdhsa_float_round_mode_16_64 0
		.amdhsa_float_denorm_mode_32 3
		.amdhsa_float_denorm_mode_16_64 3
		.amdhsa_dx10_clamp 1
		.amdhsa_ieee_mode 1
		.amdhsa_fp16_overflow 0
		.amdhsa_tg_split 0
		.amdhsa_exception_fp_ieee_invalid_op 0
		.amdhsa_exception_fp_denorm_src 0
		.amdhsa_exception_fp_ieee_div_zero 0
		.amdhsa_exception_fp_ieee_overflow 0
		.amdhsa_exception_fp_ieee_underflow 0
		.amdhsa_exception_fp_ieee_inexact 0
		.amdhsa_exception_int_div_zero 0
	.end_amdhsa_kernel
	.section	.text._ZN9rocsolver6v33100L18getri_kernel_smallILi33E19rocblas_complex_numIdEPS3_EEvT1_iilPiilS6_bb,"axG",@progbits,_ZN9rocsolver6v33100L18getri_kernel_smallILi33E19rocblas_complex_numIdEPS3_EEvT1_iilPiilS6_bb,comdat
.Lfunc_end32:
	.size	_ZN9rocsolver6v33100L18getri_kernel_smallILi33E19rocblas_complex_numIdEPS3_EEvT1_iilPiilS6_bb, .Lfunc_end32-_ZN9rocsolver6v33100L18getri_kernel_smallILi33E19rocblas_complex_numIdEPS3_EEvT1_iilPiilS6_bb
                                        ; -- End function
	.section	.AMDGPU.csdata,"",@progbits
; Kernel info:
; codeLenInByte = 77404
; NumSgprs: 29
; NumVgprs: 256
; NumAgprs: 92
; TotalNumVgprs: 348
; ScratchSize: 560
; MemoryBound: 0
; FloatMode: 240
; IeeeMode: 1
; LDSByteSize: 1064 bytes/workgroup (compile time only)
; SGPRBlocks: 3
; VGPRBlocks: 43
; NumSGPRsForWavesPerEU: 29
; NumVGPRsForWavesPerEU: 348
; AccumOffset: 256
; Occupancy: 1
; WaveLimiterHint : 1
; COMPUTE_PGM_RSRC2:SCRATCH_EN: 1
; COMPUTE_PGM_RSRC2:USER_SGPR: 8
; COMPUTE_PGM_RSRC2:TRAP_HANDLER: 0
; COMPUTE_PGM_RSRC2:TGID_X_EN: 1
; COMPUTE_PGM_RSRC2:TGID_Y_EN: 0
; COMPUTE_PGM_RSRC2:TGID_Z_EN: 0
; COMPUTE_PGM_RSRC2:TIDIG_COMP_CNT: 0
; COMPUTE_PGM_RSRC3_GFX90A:ACCUM_OFFSET: 63
; COMPUTE_PGM_RSRC3_GFX90A:TG_SPLIT: 0
	.section	.text._ZN9rocsolver6v33100L18getri_kernel_smallILi34E19rocblas_complex_numIdEPS3_EEvT1_iilPiilS6_bb,"axG",@progbits,_ZN9rocsolver6v33100L18getri_kernel_smallILi34E19rocblas_complex_numIdEPS3_EEvT1_iilPiilS6_bb,comdat
	.globl	_ZN9rocsolver6v33100L18getri_kernel_smallILi34E19rocblas_complex_numIdEPS3_EEvT1_iilPiilS6_bb ; -- Begin function _ZN9rocsolver6v33100L18getri_kernel_smallILi34E19rocblas_complex_numIdEPS3_EEvT1_iilPiilS6_bb
	.p2align	8
	.type	_ZN9rocsolver6v33100L18getri_kernel_smallILi34E19rocblas_complex_numIdEPS3_EEvT1_iilPiilS6_bb,@function
_ZN9rocsolver6v33100L18getri_kernel_smallILi34E19rocblas_complex_numIdEPS3_EEvT1_iilPiilS6_bb: ; @_ZN9rocsolver6v33100L18getri_kernel_smallILi34E19rocblas_complex_numIdEPS3_EEvT1_iilPiilS6_bb
; %bb.0:
	s_add_u32 flat_scratch_lo, s6, s9
	s_addc_u32 flat_scratch_hi, s7, 0
	s_add_u32 s0, s0, s9
	s_addc_u32 s1, s1, 0
	v_cmp_gt_u32_e32 vcc, 34, v0
	s_and_saveexec_b64 s[6:7], vcc
	s_cbranch_execz .LBB33_150
; %bb.1:
	s_load_dword s22, s[4:5], 0x38
	s_load_dwordx4 s[16:19], s[4:5], 0x10
	s_load_dwordx4 s[12:15], s[4:5], 0x28
                                        ; implicit-def: $sgpr10_sgpr11
	s_waitcnt lgkmcnt(0)
	s_bitcmp1_b32 s22, 8
	s_cselect_b64 s[20:21], -1, 0
	s_ashr_i32 s9, s8, 31
	s_bfe_u32 s6, s22, 0x10008
	s_cmp_eq_u32 s6, 0
	s_cbranch_scc1 .LBB33_3
; %bb.2:
	s_load_dword s6, s[4:5], 0x20
	s_mul_i32 s7, s8, s13
	s_mul_hi_u32 s10, s8, s12
	s_mul_i32 s11, s9, s12
	s_add_i32 s10, s10, s7
	s_add_i32 s11, s10, s11
	s_mul_i32 s10, s8, s12
	s_waitcnt lgkmcnt(0)
	s_ashr_i32 s7, s6, 31
	s_lshl_b64 s[10:11], s[10:11], 2
	s_add_u32 s10, s18, s10
	s_addc_u32 s11, s19, s11
	s_lshl_b64 s[6:7], s[6:7], 2
	s_add_u32 s10, s10, s6
	s_addc_u32 s11, s11, s7
.LBB33_3:
	s_load_dwordx4 s[4:7], s[4:5], 0x0
	s_mul_i32 s12, s8, s17
	s_mul_hi_u32 s13, s8, s16
	s_add_i32 s17, s13, s12
	v_lshlrev_b32_e32 v1, 4, v0
	s_waitcnt lgkmcnt(0)
	s_ashr_i32 s13, s6, 31
	s_mov_b32 s12, s6
	s_mul_i32 s6, s9, s16
	s_add_i32 s17, s17, s6
	s_mul_i32 s16, s8, s16
	s_lshl_b64 s[16:17], s[16:17], 4
	s_add_u32 s6, s4, s16
	s_addc_u32 s16, s5, s17
	s_lshl_b64 s[4:5], s[12:13], 4
	s_add_u32 s4, s6, s4
	s_addc_u32 s5, s16, s5
	s_add_i32 s6, s7, s7
	v_add_u32_e32 v4, s6, v0
	v_ashrrev_i32_e32 v5, 31, v4
	v_add_u32_e32 v2, s7, v4
	v_lshlrev_b64 v[4:5], 4, v[4:5]
	v_mov_b32_e32 v3, s5
	v_add_co_u32_e32 v4, vcc, s4, v4
	v_addc_co_u32_e32 v5, vcc, v3, v5, vcc
	global_load_dwordx4 v[24:27], v1, s[4:5]
	v_add_co_u32_e32 v120, vcc, s4, v1
	s_mov_b32 s12, s7
	s_ashr_i32 s13, s7, 31
	v_addc_co_u32_e32 v121, vcc, 0, v3, vcc
	s_lshl_b64 s[12:13], s[12:13], 4
	v_mov_b32_e32 v3, s13
	v_add_co_u32_e32 v28, vcc, s12, v120
	v_addc_co_u32_e32 v29, vcc, v121, v3, vcc
	v_accvgpr_write_b32 a2, v28
	v_accvgpr_write_b32 a3, v29
	global_load_dwordx4 v[28:31], v[28:29], off
	v_ashrrev_i32_e32 v3, 31, v2
	global_load_dwordx4 v[32:35], v[4:5], off
	v_add_u32_e32 v6, s7, v2
	v_accvgpr_write_b32 a0, v4
	v_lshlrev_b64 v[2:3], 4, v[2:3]
	v_accvgpr_write_b32 a1, v5
	v_mov_b32_e32 v4, s5
	v_add_co_u32_e32 v36, vcc, s4, v2
	v_addc_co_u32_e32 v37, vcc, v4, v3, vcc
	v_accvgpr_write_b32 a4, v36
	v_ashrrev_i32_e32 v7, 31, v6
	v_accvgpr_write_b32 a5, v37
	global_load_dwordx4 v[36:39], v[36:37], off
	v_lshlrev_b64 v[2:3], 4, v[6:7]
	v_add_co_u32_e32 v2, vcc, s4, v2
	v_add_u32_e32 v8, s7, v6
	v_addc_co_u32_e32 v3, vcc, v4, v3, vcc
	v_accvgpr_write_b32 a7, v3
	global_load_dwordx4 v[40:43], v[2:3], off
	v_ashrrev_i32_e32 v9, 31, v8
	v_accvgpr_write_b32 a6, v2
	v_lshlrev_b64 v[2:3], 4, v[8:9]
	v_add_co_u32_e32 v6, vcc, s4, v2
	v_add_u32_e32 v10, s7, v8
	v_addc_co_u32_e32 v7, vcc, v4, v3, vcc
	v_ashrrev_i32_e32 v11, 31, v10
	global_load_dwordx4 v[44:47], v[6:7], off
	v_lshlrev_b64 v[2:3], 4, v[10:11]
	v_add_co_u32_e32 v2, vcc, s4, v2
	v_add_u32_e32 v12, s7, v10
	v_addc_co_u32_e32 v3, vcc, v4, v3, vcc
	global_load_dwordx4 v[48:51], v[2:3], off
	v_accvgpr_write_b32 a11, v3
	v_ashrrev_i32_e32 v13, 31, v12
	v_accvgpr_write_b32 a9, v7
	v_accvgpr_write_b32 a10, v2
	v_lshlrev_b64 v[2:3], 4, v[12:13]
	v_accvgpr_write_b32 a8, v6
	v_add_co_u32_e32 v6, vcc, s4, v2
	v_add_u32_e32 v14, s7, v12
	v_addc_co_u32_e32 v7, vcc, v4, v3, vcc
	v_ashrrev_i32_e32 v15, 31, v14
	global_load_dwordx4 v[10:13], v[6:7], off
	v_lshlrev_b64 v[2:3], 4, v[14:15]
	v_add_co_u32_e32 v2, vcc, s4, v2
	v_add_u32_e32 v16, s7, v14
	v_addc_co_u32_e32 v3, vcc, v4, v3, vcc
	global_load_dwordx4 v[52:55], v[2:3], off
	v_accvgpr_write_b32 a15, v3
	v_ashrrev_i32_e32 v17, 31, v16
	v_accvgpr_write_b32 a13, v7
	v_accvgpr_write_b32 a14, v2
	v_lshlrev_b64 v[2:3], 4, v[16:17]
	v_accvgpr_write_b32 a12, v6
	v_add_co_u32_e32 v6, vcc, s4, v2
	v_add_u32_e32 v18, s7, v16
	v_addc_co_u32_e32 v7, vcc, v4, v3, vcc
	v_ashrrev_i32_e32 v19, 31, v18
	global_load_dwordx4 v[14:17], v[6:7], off
	v_lshlrev_b64 v[2:3], 4, v[18:19]
	v_add_co_u32_e32 v2, vcc, s4, v2
	v_add_u32_e32 v20, s7, v18
	v_addc_co_u32_e32 v3, vcc, v4, v3, vcc
	global_load_dwordx4 v[56:59], v[2:3], off
	v_accvgpr_write_b32 a19, v3
	v_ashrrev_i32_e32 v21, 31, v20
	v_accvgpr_write_b32 a17, v7
	v_accvgpr_write_b32 a18, v2
	v_lshlrev_b64 v[2:3], 4, v[20:21]
	v_accvgpr_write_b32 a16, v6
	v_add_co_u32_e32 v6, vcc, s4, v2
	v_add_u32_e32 v22, s7, v20
	v_addc_co_u32_e32 v7, vcc, v4, v3, vcc
	v_ashrrev_i32_e32 v23, 31, v22
	global_load_dwordx4 v[18:21], v[6:7], off
	v_lshlrev_b64 v[2:3], 4, v[22:23]
	v_add_co_u32_e32 v2, vcc, s4, v2
	v_accvgpr_write_b32 a21, v7
	v_addc_co_u32_e32 v3, vcc, v4, v3, vcc
	v_accvgpr_write_b32 a20, v6
	global_load_dwordx4 v[6:9], v[2:3], off
	v_add_u32_e32 v22, s7, v22
	v_add_u32_e32 v60, s7, v22
	;; [unrolled: 1-line block ×19, first 2 shown]
	v_accvgpr_write_b32 a23, v3
	v_add_u32_e32 v96, s7, v94
	v_accvgpr_write_b32 a22, v2
	v_add_u32_e32 v2, s7, v96
	v_ashrrev_i32_e32 v3, 31, v2
	v_lshlrev_b64 v[2:3], 4, v[2:3]
	v_add_co_u32_e32 v2, vcc, s4, v2
	v_addc_co_u32_e32 v3, vcc, v4, v3, vcc
	v_accvgpr_write_b32 a25, v3
	v_ashrrev_i32_e32 v23, 31, v22
	v_accvgpr_write_b32 a24, v2
	global_load_dwordx4 v[2:5], v[2:3], off
	s_waitcnt vmcnt(13)
	buffer_store_dword v27, off, s[0:3], 0 offset:28
	buffer_store_dword v26, off, s[0:3], 0 offset:24
	buffer_store_dword v25, off, s[0:3], 0 offset:20
	buffer_store_dword v24, off, s[0:3], 0 offset:16
	s_waitcnt vmcnt(16)
	buffer_store_dword v31, off, s[0:3], 0 offset:44
	buffer_store_dword v30, off, s[0:3], 0 offset:40
	buffer_store_dword v29, off, s[0:3], 0 offset:36
	buffer_store_dword v28, off, s[0:3], 0 offset:32
	;; [unrolled: 5-line block ×12, first 2 shown]
	s_waitcnt vmcnt(49)
	buffer_store_dword v9, off, s[0:3], 0 offset:220
	v_lshlrev_b64 v[10:11], 4, v[22:23]
	v_mov_b32_e32 v9, s5
	v_add_co_u32_e32 v12, vcc, s4, v10
	v_ashrrev_i32_e32 v61, 31, v60
	v_addc_co_u32_e32 v13, vcc, v9, v11, vcc
	v_lshlrev_b64 v[10:11], 4, v[60:61]
	v_add_co_u32_e32 v14, vcc, s4, v10
	v_accvgpr_write_b32 a27, v13
	v_addc_co_u32_e32 v15, vcc, v9, v11, vcc
	v_accvgpr_write_b32 a26, v12
	global_load_dwordx4 v[10:13], v[12:13], off
	v_accvgpr_write_b32 a29, v15
	v_ashrrev_i32_e32 v63, 31, v62
	v_accvgpr_write_b32 a28, v14
	global_load_dwordx4 v[14:17], v[14:15], off
	v_lshlrev_b64 v[18:19], 4, v[62:63]
	v_add_co_u32_e32 v20, vcc, s4, v18
	v_ashrrev_i32_e32 v65, 31, v64
	v_addc_co_u32_e32 v21, vcc, v9, v19, vcc
	v_lshlrev_b64 v[18:19], 4, v[64:65]
	v_add_co_u32_e32 v22, vcc, s4, v18
	v_accvgpr_write_b32 a31, v21
	v_addc_co_u32_e32 v23, vcc, v9, v19, vcc
	v_accvgpr_write_b32 a30, v20
	global_load_dwordx4 v[18:21], v[20:21], off
	v_accvgpr_write_b32 a33, v23
	v_ashrrev_i32_e32 v67, 31, v66
	v_accvgpr_write_b32 a32, v22
	global_load_dwordx4 v[22:25], v[22:23], off
	v_lshlrev_b64 v[26:27], 4, v[66:67]
	;; [unrolled: 14-line block ×8, first 2 shown]
	v_add_co_u32_e32 v76, vcc, s4, v74
	v_ashrrev_i32_e32 v93, 31, v92
	v_addc_co_u32_e32 v77, vcc, v9, v75, vcc
	v_lshlrev_b64 v[74:75], 4, v[92:93]
	v_add_co_u32_e32 v78, vcc, s4, v74
	v_accvgpr_write_b32 a58, v76
	v_addc_co_u32_e32 v79, vcc, v9, v75, vcc
	v_accvgpr_write_b32 a59, v77
	global_load_dwordx4 v[74:77], v[76:77], off
	v_accvgpr_write_b32 a60, v78
	v_accvgpr_write_b32 a61, v79
	global_load_dwordx4 v[78:81], v[78:79], off
	v_ashrrev_i32_e32 v95, 31, v94
	v_lshlrev_b64 v[82:83], 4, v[94:95]
	v_add_co_u32_e32 v182, vcc, s4, v82
	v_addc_co_u32_e32 v183, vcc, v9, v83, vcc
	v_ashrrev_i32_e32 v97, 31, v96
	global_load_dwordx4 v[82:85], v[182:183], off
	v_lshlrev_b64 v[86:87], 4, v[96:97]
	v_add_co_u32_e32 v184, vcc, s4, v86
	v_addc_co_u32_e32 v185, vcc, v9, v87, vcc
	global_load_dwordx4 v[86:89], v[184:185], off
	s_nop 0
	buffer_store_dword v8, off, s[0:3], 0 offset:216
	buffer_store_dword v7, off, s[0:3], 0 offset:212
	buffer_store_dword v6, off, s[0:3], 0 offset:208
	s_waitcnt vmcnt(22)
	buffer_store_dword v13, off, s[0:3], 0 offset:236
	buffer_store_dword v12, off, s[0:3], 0 offset:232
	buffer_store_dword v11, off, s[0:3], 0 offset:228
	buffer_store_dword v10, off, s[0:3], 0 offset:224
	s_waitcnt vmcnt(25)
	buffer_store_dword v17, off, s[0:3], 0 offset:252
	;; [unrolled: 5-line block ×15, first 2 shown]
	buffer_store_dword v68, off, s[0:3], 0 offset:456
	buffer_store_dword v67, off, s[0:3], 0 offset:452
	;; [unrolled: 1-line block ×11, first 2 shown]
	s_waitcnt vmcnt(62)
	buffer_store_dword v81, off, s[0:3], 0 offset:508
	buffer_store_dword v80, off, s[0:3], 0 offset:504
	;; [unrolled: 1-line block ×16, first 2 shown]
	v_mov_b32_e32 v2, 16
	v_add_u32_e32 v3, 16, v2
	v_accvgpr_write_b32 a91, v3
	v_add_u32_e32 v3, 32, v2
	v_accvgpr_write_b32 a93, v3
	;; [unrolled: 2-line block ×32, first 2 shown]
	v_add_u32_e32 v181, 0x210, v2
	s_bitcmp0_b32 s22, 0
	s_mov_b64 s[6:7], -1
	s_cbranch_scc1 .LBB33_148
; %bb.4:
	v_cmp_eq_u32_e64 s[4:5], 0, v0
	s_and_saveexec_b64 s[6:7], s[4:5]
	s_cbranch_execz .LBB33_6
; %bb.5:
	v_mov_b32_e32 v2, 0
	ds_write_b32 v2, v2 offset:1088
.LBB33_6:
	s_or_b64 exec, exec, s[6:7]
	v_mov_b32_e32 v2, 16
	v_lshl_add_u32 v12, v0, 4, v2
	s_waitcnt lgkmcnt(0)
	; wave barrier
	s_waitcnt lgkmcnt(0)
	buffer_load_dword v2, v12, s[0:3], 0 offen
	buffer_load_dword v3, v12, s[0:3], 0 offen offset:4
	buffer_load_dword v4, v12, s[0:3], 0 offen offset:8
	buffer_load_dword v5, v12, s[0:3], 0 offen offset:12
	s_waitcnt vmcnt(2)
	v_cmp_eq_f64_e32 vcc, 0, v[2:3]
	s_waitcnt vmcnt(0)
	v_cmp_eq_f64_e64 s[6:7], 0, v[4:5]
	s_and_b64 s[6:7], vcc, s[6:7]
	s_and_saveexec_b64 s[12:13], s[6:7]
	s_cbranch_execz .LBB33_10
; %bb.7:
	v_mov_b32_e32 v2, 0
	ds_read_b32 v4, v2 offset:1088
	v_add_u32_e32 v3, 1, v0
	s_waitcnt lgkmcnt(0)
	v_readfirstlane_b32 s6, v4
	s_cmp_eq_u32 s6, 0
	s_cselect_b64 s[16:17], -1, 0
	v_cmp_gt_i32_e32 vcc, s6, v3
	s_or_b64 s[16:17], s[16:17], vcc
	s_and_b64 exec, exec, s[16:17]
	s_cbranch_execz .LBB33_10
; %bb.8:
	s_mov_b64 s[16:17], 0
	v_mov_b32_e32 v4, s6
.LBB33_9:                               ; =>This Inner Loop Header: Depth=1
	ds_cmpst_rtn_b32 v4, v2, v4, v3 offset:1088
	s_waitcnt lgkmcnt(0)
	v_cmp_ne_u32_e32 vcc, 0, v4
	v_cmp_le_i32_e64 s[6:7], v4, v3
	s_and_b64 s[6:7], vcc, s[6:7]
	s_and_b64 s[6:7], exec, s[6:7]
	s_or_b64 s[16:17], s[6:7], s[16:17]
	s_andn2_b64 exec, exec, s[16:17]
	s_cbranch_execnz .LBB33_9
.LBB33_10:
	s_or_b64 exec, exec, s[12:13]
	v_mov_b32_e32 v3, 0
	s_waitcnt lgkmcnt(0)
	; wave barrier
	ds_read_b32 v2, v3 offset:1088
	s_and_saveexec_b64 s[6:7], s[4:5]
	s_cbranch_execz .LBB33_12
; %bb.11:
	s_lshl_b64 s[12:13], s[8:9], 2
	s_add_u32 s12, s14, s12
	s_addc_u32 s13, s15, s13
	s_waitcnt lgkmcnt(0)
	global_store_dword v3, v2, s[12:13]
.LBB33_12:
	s_or_b64 exec, exec, s[6:7]
	s_waitcnt lgkmcnt(0)
	v_cmp_ne_u32_e32 vcc, 0, v2
	s_mov_b64 s[6:7], 0
	s_cbranch_vccnz .LBB33_148
; %bb.13:
	buffer_load_dword v7, v12, s[0:3], 0 offen offset:4
	buffer_load_dword v6, v12, s[0:3], 0 offen
	buffer_load_dword v9, v12, s[0:3], 0 offen offset:12
	buffer_load_dword v8, v12, s[0:3], 0 offen offset:8
                                        ; implicit-def: $vgpr10_vgpr11
	s_waitcnt vmcnt(3)
	v_xor_b32_e32 v3, 0x80000000, v7
	s_waitcnt vmcnt(2)
	v_cmp_gt_f64_e32 vcc, 0, v[6:7]
	s_waitcnt vmcnt(1)
	v_xor_b32_e32 v4, 0x80000000, v9
	v_cndmask_b32_e32 v3, v7, v3, vcc
	s_waitcnt vmcnt(0)
	v_cmp_gt_f64_e32 vcc, 0, v[8:9]
	v_mov_b32_e32 v2, v6
	v_cndmask_b32_e32 v5, v9, v4, vcc
	v_mov_b32_e32 v4, v8
	v_cmp_ngt_f64_e32 vcc, v[2:3], v[4:5]
                                        ; implicit-def: $vgpr4_vgpr5
	s_and_saveexec_b64 s[6:7], vcc
	s_xor_b64 s[6:7], exec, s[6:7]
	s_cbranch_execz .LBB33_15
; %bb.14:
	v_div_scale_f64 v[2:3], s[12:13], v[8:9], v[8:9], v[6:7]
	v_rcp_f64_e32 v[4:5], v[2:3]
	v_div_scale_f64 v[10:11], vcc, v[6:7], v[8:9], v[6:7]
	v_fma_f64 v[14:15], -v[2:3], v[4:5], 1.0
	v_fmac_f64_e32 v[4:5], v[4:5], v[14:15]
	v_fma_f64 v[14:15], -v[2:3], v[4:5], 1.0
	v_fmac_f64_e32 v[4:5], v[4:5], v[14:15]
	v_mul_f64 v[14:15], v[10:11], v[4:5]
	v_fma_f64 v[2:3], -v[2:3], v[14:15], v[10:11]
	v_div_fmas_f64 v[2:3], v[2:3], v[4:5], v[14:15]
	v_div_fixup_f64 v[2:3], v[2:3], v[8:9], v[6:7]
	v_fmac_f64_e32 v[8:9], v[6:7], v[2:3]
	v_div_scale_f64 v[4:5], s[12:13], v[8:9], v[8:9], 1.0
	v_rcp_f64_e32 v[6:7], v[4:5]
	v_fma_f64 v[10:11], -v[4:5], v[6:7], 1.0
	v_fmac_f64_e32 v[6:7], v[6:7], v[10:11]
	v_fma_f64 v[10:11], -v[4:5], v[6:7], 1.0
	v_fmac_f64_e32 v[6:7], v[6:7], v[10:11]
	v_div_scale_f64 v[10:11], vcc, 1.0, v[8:9], 1.0
	v_mul_f64 v[14:15], v[10:11], v[6:7]
	v_fma_f64 v[4:5], -v[4:5], v[14:15], v[10:11]
	s_nop 1
	v_div_fmas_f64 v[4:5], v[4:5], v[6:7], v[14:15]
	v_div_fixup_f64 v[4:5], v[4:5], v[8:9], 1.0
	v_mul_f64 v[10:11], v[2:3], v[4:5]
	v_xor_b32_e32 v5, 0x80000000, v5
	v_xor_b32_e32 v3, 0x80000000, v11
	v_mov_b32_e32 v2, v10
                                        ; implicit-def: $vgpr6_vgpr7
                                        ; implicit-def: $vgpr8_vgpr9
.LBB33_15:
	s_andn2_saveexec_b64 s[6:7], s[6:7]
	s_cbranch_execz .LBB33_17
; %bb.16:
	v_div_scale_f64 v[2:3], s[12:13], v[6:7], v[6:7], v[8:9]
	v_rcp_f64_e32 v[4:5], v[2:3]
	v_div_scale_f64 v[10:11], vcc, v[8:9], v[6:7], v[8:9]
	v_fma_f64 v[14:15], -v[2:3], v[4:5], 1.0
	v_fmac_f64_e32 v[4:5], v[4:5], v[14:15]
	v_fma_f64 v[14:15], -v[2:3], v[4:5], 1.0
	v_fmac_f64_e32 v[4:5], v[4:5], v[14:15]
	v_mul_f64 v[14:15], v[10:11], v[4:5]
	v_fma_f64 v[2:3], -v[2:3], v[14:15], v[10:11]
	v_div_fmas_f64 v[2:3], v[2:3], v[4:5], v[14:15]
	v_div_fixup_f64 v[4:5], v[2:3], v[6:7], v[8:9]
	v_fmac_f64_e32 v[6:7], v[8:9], v[4:5]
	v_div_scale_f64 v[2:3], s[12:13], v[6:7], v[6:7], 1.0
	v_rcp_f64_e32 v[8:9], v[2:3]
	v_fma_f64 v[10:11], -v[2:3], v[8:9], 1.0
	v_fmac_f64_e32 v[8:9], v[8:9], v[10:11]
	v_fma_f64 v[10:11], -v[2:3], v[8:9], 1.0
	v_fmac_f64_e32 v[8:9], v[8:9], v[10:11]
	v_div_scale_f64 v[10:11], vcc, 1.0, v[6:7], 1.0
	v_mul_f64 v[14:15], v[10:11], v[8:9]
	v_fma_f64 v[2:3], -v[2:3], v[14:15], v[10:11]
	s_nop 1
	v_div_fmas_f64 v[2:3], v[2:3], v[8:9], v[14:15]
	v_div_fixup_f64 v[10:11], v[2:3], v[6:7], 1.0
	v_xor_b32_e32 v3, 0x80000000, v11
	v_mov_b32_e32 v2, v10
	v_mul_f64 v[4:5], v[4:5], -v[10:11]
.LBB33_17:
	s_or_b64 exec, exec, s[6:7]
	buffer_store_dword v11, v12, s[0:3], 0 offen offset:4
	buffer_store_dword v10, v12, s[0:3], 0 offen
	buffer_store_dword v5, v12, s[0:3], 0 offen offset:12
	buffer_store_dword v4, v12, s[0:3], 0 offen offset:8
	v_accvgpr_read_b32 v6, a91
	buffer_load_dword v11, v6, s[0:3], 0 offen offset:12
	buffer_load_dword v10, v6, s[0:3], 0 offen offset:8
	;; [unrolled: 1-line block ×3, first 2 shown]
	buffer_load_dword v8, v6, s[0:3], 0 offen
	v_xor_b32_e32 v5, 0x80000000, v5
	v_add_u32_e32 v6, 0x220, v1
	ds_write_b128 v1, v[2:5]
	s_waitcnt vmcnt(0)
	ds_write_b128 v1, v[8:11] offset:544
	s_waitcnt lgkmcnt(0)
	; wave barrier
	s_waitcnt lgkmcnt(0)
	s_and_saveexec_b64 s[6:7], s[4:5]
	s_cbranch_execz .LBB33_19
; %bb.18:
	buffer_load_dword v14, v12, s[0:3], 0 offen offset:8
	buffer_load_dword v15, v12, s[0:3], 0 offen offset:12
	buffer_load_dword v16, v12, s[0:3], 0 offen
	buffer_load_dword v17, v12, s[0:3], 0 offen offset:4
	ds_read_b128 v[2:5], v6
	v_mov_b32_e32 v7, 0
	ds_read_b128 v[8:11], v7 offset:16
	s_waitcnt vmcnt(2) lgkmcnt(1)
	v_mul_f64 v[18:19], v[4:5], v[14:15]
	v_mul_f64 v[14:15], v[2:3], v[14:15]
	s_waitcnt vmcnt(0)
	v_fmac_f64_e32 v[14:15], v[4:5], v[16:17]
	v_fma_f64 v[2:3], v[2:3], v[16:17], -v[18:19]
	v_add_f64 v[4:5], v[14:15], 0
	v_add_f64 v[2:3], v[2:3], 0
	s_waitcnt lgkmcnt(0)
	v_mul_f64 v[14:15], v[4:5], v[10:11]
	v_mul_f64 v[10:11], v[2:3], v[10:11]
	v_fma_f64 v[2:3], v[2:3], v[8:9], -v[14:15]
	v_fmac_f64_e32 v[10:11], v[4:5], v[8:9]
	buffer_store_dword v2, off, s[0:3], 0 offset:32
	buffer_store_dword v3, off, s[0:3], 0 offset:36
	;; [unrolled: 1-line block ×4, first 2 shown]
.LBB33_19:
	s_or_b64 exec, exec, s[6:7]
	v_accvgpr_read_b32 v5, a93
	s_waitcnt lgkmcnt(0)
	; wave barrier
	buffer_load_dword v2, v5, s[0:3], 0 offen
	buffer_load_dword v3, v5, s[0:3], 0 offen offset:4
	buffer_load_dword v4, v5, s[0:3], 0 offen offset:8
	s_nop 0
	buffer_load_dword v5, v5, s[0:3], 0 offen offset:12
	v_cmp_gt_u32_e32 vcc, 2, v0
	s_waitcnt vmcnt(0)
	ds_write_b128 v6, v[2:5]
	s_waitcnt lgkmcnt(0)
	; wave barrier
	s_waitcnt lgkmcnt(0)
	s_and_saveexec_b64 s[6:7], vcc
	s_cbranch_execz .LBB33_23
; %bb.20:
	buffer_load_dword v8, v12, s[0:3], 0 offen offset:8
	buffer_load_dword v9, v12, s[0:3], 0 offen offset:12
	buffer_load_dword v10, v12, s[0:3], 0 offen
	buffer_load_dword v11, v12, s[0:3], 0 offen offset:4
	ds_read_b128 v[2:5], v6
	s_waitcnt vmcnt(2) lgkmcnt(0)
	v_mul_f64 v[12:13], v[4:5], v[8:9]
	v_mul_f64 v[8:9], v[2:3], v[8:9]
	s_waitcnt vmcnt(0)
	v_fma_f64 v[2:3], v[2:3], v[10:11], -v[12:13]
	v_fmac_f64_e32 v[8:9], v[4:5], v[10:11]
	v_add_f64 v[4:5], v[2:3], 0
	v_add_f64 v[2:3], v[8:9], 0
	s_and_saveexec_b64 s[12:13], s[4:5]
	s_cbranch_execz .LBB33_22
; %bb.21:
	buffer_load_dword v12, off, s[0:3], 0 offset:40
	buffer_load_dword v13, off, s[0:3], 0 offset:44
	;; [unrolled: 1-line block ×4, first 2 shown]
	v_mov_b32_e32 v7, 0
	ds_read_b128 v[8:11], v7 offset:560
	s_waitcnt vmcnt(2) lgkmcnt(0)
	v_mul_f64 v[16:17], v[8:9], v[12:13]
	v_mul_f64 v[12:13], v[10:11], v[12:13]
	s_waitcnt vmcnt(0)
	v_fmac_f64_e32 v[16:17], v[10:11], v[14:15]
	v_fma_f64 v[8:9], v[8:9], v[14:15], -v[12:13]
	v_add_f64 v[2:3], v[2:3], v[16:17]
	v_add_f64 v[4:5], v[4:5], v[8:9]
.LBB33_22:
	s_or_b64 exec, exec, s[12:13]
	v_mov_b32_e32 v7, 0
	ds_read_b128 v[8:11], v7 offset:32
	s_waitcnt lgkmcnt(0)
	v_mul_f64 v[12:13], v[2:3], v[10:11]
	v_mul_f64 v[10:11], v[4:5], v[10:11]
	v_fma_f64 v[4:5], v[4:5], v[8:9], -v[12:13]
	v_fmac_f64_e32 v[10:11], v[2:3], v[8:9]
	buffer_store_dword v5, off, s[0:3], 0 offset:52
	buffer_store_dword v4, off, s[0:3], 0 offset:48
	;; [unrolled: 1-line block ×4, first 2 shown]
.LBB33_23:
	s_or_b64 exec, exec, s[6:7]
	v_accvgpr_read_b32 v5, a92
	s_waitcnt lgkmcnt(0)
	; wave barrier
	buffer_load_dword v2, v5, s[0:3], 0 offen
	buffer_load_dword v3, v5, s[0:3], 0 offen offset:4
	buffer_load_dword v4, v5, s[0:3], 0 offen offset:8
	s_nop 0
	buffer_load_dword v5, v5, s[0:3], 0 offen offset:12
	v_cmp_gt_u32_e32 vcc, 3, v0
	v_add_u32_e32 v7, -1, v0
	s_waitcnt vmcnt(0)
	ds_write_b128 v6, v[2:5]
	s_waitcnt lgkmcnt(0)
	; wave barrier
	s_waitcnt lgkmcnt(0)
	s_and_saveexec_b64 s[4:5], vcc
	s_cbranch_execz .LBB33_27
; %bb.24:
	v_pk_mov_b32 v[2:3], 0, 0
	v_add_u32_e32 v8, -1, v0
	v_add_u32_e32 v9, 0x220, v1
	v_add_u32_e32 v10, 16, v1
	s_mov_b64 s[6:7], 0
	v_pk_mov_b32 v[4:5], v[2:3], v[2:3] op_sel:[0,1]
.LBB33_25:                              ; =>This Inner Loop Header: Depth=1
	buffer_load_dword v16, v10, s[0:3], 0 offen offset:8
	buffer_load_dword v17, v10, s[0:3], 0 offen offset:12
	buffer_load_dword v18, v10, s[0:3], 0 offen
	buffer_load_dword v19, v10, s[0:3], 0 offen offset:4
	ds_read_b128 v[12:15], v9
	v_add_u32_e32 v8, 1, v8
	v_cmp_lt_u32_e32 vcc, 1, v8
	v_add_u32_e32 v9, 16, v9
	v_add_u32_e32 v10, 16, v10
	s_or_b64 s[6:7], vcc, s[6:7]
	s_waitcnt vmcnt(2) lgkmcnt(0)
	v_mul_f64 v[20:21], v[14:15], v[16:17]
	v_mul_f64 v[16:17], v[12:13], v[16:17]
	s_waitcnt vmcnt(0)
	v_fma_f64 v[12:13], v[12:13], v[18:19], -v[20:21]
	v_fmac_f64_e32 v[16:17], v[14:15], v[18:19]
	v_add_f64 v[4:5], v[4:5], v[12:13]
	v_add_f64 v[2:3], v[2:3], v[16:17]
	s_andn2_b64 exec, exec, s[6:7]
	s_cbranch_execnz .LBB33_25
; %bb.26:
	s_or_b64 exec, exec, s[6:7]
	v_mov_b32_e32 v8, 0
	ds_read_b128 v[8:11], v8 offset:48
	s_waitcnt lgkmcnt(0)
	v_mul_f64 v[12:13], v[2:3], v[10:11]
	v_mul_f64 v[10:11], v[4:5], v[10:11]
	v_fma_f64 v[4:5], v[4:5], v[8:9], -v[12:13]
	v_fmac_f64_e32 v[10:11], v[2:3], v[8:9]
	buffer_store_dword v5, off, s[0:3], 0 offset:68
	buffer_store_dword v4, off, s[0:3], 0 offset:64
	buffer_store_dword v11, off, s[0:3], 0 offset:76
	buffer_store_dword v10, off, s[0:3], 0 offset:72
.LBB33_27:
	s_or_b64 exec, exec, s[4:5]
	v_accvgpr_read_b32 v5, a88
	s_waitcnt lgkmcnt(0)
	; wave barrier
	buffer_load_dword v2, v5, s[0:3], 0 offen
	buffer_load_dword v3, v5, s[0:3], 0 offen offset:4
	buffer_load_dword v4, v5, s[0:3], 0 offen offset:8
	s_nop 0
	buffer_load_dword v5, v5, s[0:3], 0 offen offset:12
	v_cmp_gt_u32_e32 vcc, 4, v0
	s_waitcnt vmcnt(0)
	ds_write_b128 v6, v[2:5]
	s_waitcnt lgkmcnt(0)
	; wave barrier
	s_waitcnt lgkmcnt(0)
	s_and_saveexec_b64 s[4:5], vcc
	s_cbranch_execz .LBB33_31
; %bb.28:
	v_pk_mov_b32 v[2:3], 0, 0
	v_add_u32_e32 v8, -1, v0
	v_add_u32_e32 v9, 0x220, v1
	v_add_u32_e32 v10, 16, v1
	s_mov_b64 s[6:7], 0
	v_pk_mov_b32 v[4:5], v[2:3], v[2:3] op_sel:[0,1]
.LBB33_29:                              ; =>This Inner Loop Header: Depth=1
	buffer_load_dword v16, v10, s[0:3], 0 offen offset:8
	buffer_load_dword v17, v10, s[0:3], 0 offen offset:12
	buffer_load_dword v18, v10, s[0:3], 0 offen
	buffer_load_dword v19, v10, s[0:3], 0 offen offset:4
	ds_read_b128 v[12:15], v9
	v_add_u32_e32 v8, 1, v8
	v_cmp_lt_u32_e32 vcc, 2, v8
	v_add_u32_e32 v9, 16, v9
	v_add_u32_e32 v10, 16, v10
	s_or_b64 s[6:7], vcc, s[6:7]
	s_waitcnt vmcnt(2) lgkmcnt(0)
	v_mul_f64 v[20:21], v[14:15], v[16:17]
	v_mul_f64 v[16:17], v[12:13], v[16:17]
	s_waitcnt vmcnt(0)
	v_fma_f64 v[12:13], v[12:13], v[18:19], -v[20:21]
	v_fmac_f64_e32 v[16:17], v[14:15], v[18:19]
	v_add_f64 v[4:5], v[4:5], v[12:13]
	v_add_f64 v[2:3], v[2:3], v[16:17]
	s_andn2_b64 exec, exec, s[6:7]
	s_cbranch_execnz .LBB33_29
; %bb.30:
	s_or_b64 exec, exec, s[6:7]
	v_mov_b32_e32 v8, 0
	ds_read_b128 v[8:11], v8 offset:64
	s_waitcnt lgkmcnt(0)
	v_mul_f64 v[12:13], v[2:3], v[10:11]
	v_mul_f64 v[10:11], v[4:5], v[10:11]
	v_fma_f64 v[4:5], v[4:5], v[8:9], -v[12:13]
	v_fmac_f64_e32 v[10:11], v[2:3], v[8:9]
	buffer_store_dword v5, off, s[0:3], 0 offset:84
	buffer_store_dword v4, off, s[0:3], 0 offset:80
	buffer_store_dword v11, off, s[0:3], 0 offset:92
	buffer_store_dword v10, off, s[0:3], 0 offset:88
.LBB33_31:
	s_or_b64 exec, exec, s[4:5]
	v_accvgpr_read_b32 v5, a90
	s_waitcnt lgkmcnt(0)
	; wave barrier
	buffer_load_dword v2, v5, s[0:3], 0 offen
	buffer_load_dword v3, v5, s[0:3], 0 offen offset:4
	buffer_load_dword v4, v5, s[0:3], 0 offen offset:8
	s_nop 0
	buffer_load_dword v5, v5, s[0:3], 0 offen offset:12
	v_cmp_gt_u32_e32 vcc, 5, v0
	;; [unrolled: 59-line block ×19, first 2 shown]
	s_waitcnt vmcnt(0)
	ds_write_b128 v6, v[2:5]
	s_waitcnt lgkmcnt(0)
	; wave barrier
	s_waitcnt lgkmcnt(0)
	s_and_saveexec_b64 s[4:5], vcc
	s_cbranch_execz .LBB33_103
; %bb.100:
	v_pk_mov_b32 v[2:3], 0, 0
	v_add_u32_e32 v8, -1, v0
	v_add_u32_e32 v9, 0x220, v1
	v_add_u32_e32 v10, 16, v1
	s_mov_b64 s[6:7], 0
	v_pk_mov_b32 v[4:5], v[2:3], v[2:3] op_sel:[0,1]
.LBB33_101:                             ; =>This Inner Loop Header: Depth=1
	buffer_load_dword v16, v10, s[0:3], 0 offen offset:8
	buffer_load_dword v17, v10, s[0:3], 0 offen offset:12
	buffer_load_dword v18, v10, s[0:3], 0 offen
	buffer_load_dword v19, v10, s[0:3], 0 offen offset:4
	ds_read_b128 v[12:15], v9
	v_add_u32_e32 v8, 1, v8
	v_cmp_lt_u32_e32 vcc, 20, v8
	v_add_u32_e32 v9, 16, v9
	v_add_u32_e32 v10, 16, v10
	s_or_b64 s[6:7], vcc, s[6:7]
	s_waitcnt vmcnt(2) lgkmcnt(0)
	v_mul_f64 v[20:21], v[14:15], v[16:17]
	v_mul_f64 v[16:17], v[12:13], v[16:17]
	s_waitcnt vmcnt(0)
	v_fma_f64 v[12:13], v[12:13], v[18:19], -v[20:21]
	v_fmac_f64_e32 v[16:17], v[14:15], v[18:19]
	v_add_f64 v[4:5], v[4:5], v[12:13]
	v_add_f64 v[2:3], v[2:3], v[16:17]
	s_andn2_b64 exec, exec, s[6:7]
	s_cbranch_execnz .LBB33_101
; %bb.102:
	s_or_b64 exec, exec, s[6:7]
	v_mov_b32_e32 v8, 0
	ds_read_b128 v[8:11], v8 offset:352
	s_waitcnt lgkmcnt(0)
	v_mul_f64 v[12:13], v[2:3], v[10:11]
	v_mul_f64 v[10:11], v[4:5], v[10:11]
	v_fma_f64 v[4:5], v[4:5], v[8:9], -v[12:13]
	v_fmac_f64_e32 v[10:11], v[2:3], v[8:9]
	buffer_store_dword v5, off, s[0:3], 0 offset:372
	buffer_store_dword v4, off, s[0:3], 0 offset:368
	buffer_store_dword v11, off, s[0:3], 0 offset:380
	buffer_store_dword v10, off, s[0:3], 0 offset:376
.LBB33_103:
	s_or_b64 exec, exec, s[4:5]
	v_accvgpr_read_b32 v5, a71
	s_waitcnt lgkmcnt(0)
	; wave barrier
	buffer_load_dword v2, v5, s[0:3], 0 offen
	buffer_load_dword v3, v5, s[0:3], 0 offen offset:4
	buffer_load_dword v4, v5, s[0:3], 0 offen offset:8
	s_nop 0
	buffer_load_dword v5, v5, s[0:3], 0 offen offset:12
	v_cmp_gt_u32_e32 vcc, 23, v0
	s_waitcnt vmcnt(0)
	ds_write_b128 v6, v[2:5]
	s_waitcnt lgkmcnt(0)
	; wave barrier
	s_waitcnt lgkmcnt(0)
	s_and_saveexec_b64 s[4:5], vcc
	s_cbranch_execz .LBB33_107
; %bb.104:
	v_pk_mov_b32 v[2:3], 0, 0
	v_add_u32_e32 v8, -1, v0
	v_add_u32_e32 v9, 0x220, v1
	v_add_u32_e32 v10, 16, v1
	s_mov_b64 s[6:7], 0
	v_pk_mov_b32 v[4:5], v[2:3], v[2:3] op_sel:[0,1]
.LBB33_105:                             ; =>This Inner Loop Header: Depth=1
	buffer_load_dword v16, v10, s[0:3], 0 offen offset:8
	buffer_load_dword v17, v10, s[0:3], 0 offen offset:12
	buffer_load_dword v18, v10, s[0:3], 0 offen
	buffer_load_dword v19, v10, s[0:3], 0 offen offset:4
	ds_read_b128 v[12:15], v9
	v_add_u32_e32 v8, 1, v8
	v_cmp_lt_u32_e32 vcc, 21, v8
	v_add_u32_e32 v9, 16, v9
	v_add_u32_e32 v10, 16, v10
	s_or_b64 s[6:7], vcc, s[6:7]
	s_waitcnt vmcnt(2) lgkmcnt(0)
	v_mul_f64 v[20:21], v[14:15], v[16:17]
	v_mul_f64 v[16:17], v[12:13], v[16:17]
	s_waitcnt vmcnt(0)
	v_fma_f64 v[12:13], v[12:13], v[18:19], -v[20:21]
	v_fmac_f64_e32 v[16:17], v[14:15], v[18:19]
	v_add_f64 v[4:5], v[4:5], v[12:13]
	v_add_f64 v[2:3], v[2:3], v[16:17]
	s_andn2_b64 exec, exec, s[6:7]
	s_cbranch_execnz .LBB33_105
; %bb.106:
	s_or_b64 exec, exec, s[6:7]
	v_mov_b32_e32 v8, 0
	ds_read_b128 v[8:11], v8 offset:368
	s_waitcnt lgkmcnt(0)
	v_mul_f64 v[12:13], v[2:3], v[10:11]
	v_mul_f64 v[10:11], v[4:5], v[10:11]
	v_fma_f64 v[4:5], v[4:5], v[8:9], -v[12:13]
	v_fmac_f64_e32 v[10:11], v[2:3], v[8:9]
	buffer_store_dword v5, off, s[0:3], 0 offset:388
	buffer_store_dword v4, off, s[0:3], 0 offset:384
	buffer_store_dword v11, off, s[0:3], 0 offset:396
	buffer_store_dword v10, off, s[0:3], 0 offset:392
.LBB33_107:
	s_or_b64 exec, exec, s[4:5]
	v_accvgpr_read_b32 v5, a70
	s_waitcnt lgkmcnt(0)
	; wave barrier
	buffer_load_dword v2, v5, s[0:3], 0 offen
	buffer_load_dword v3, v5, s[0:3], 0 offen offset:4
	buffer_load_dword v4, v5, s[0:3], 0 offen offset:8
	s_nop 0
	buffer_load_dword v5, v5, s[0:3], 0 offen offset:12
	v_cmp_gt_u32_e32 vcc, 24, v0
	;; [unrolled: 59-line block ×10, first 2 shown]
	s_waitcnt vmcnt(0)
	ds_write_b128 v6, v[2:5]
	s_waitcnt lgkmcnt(0)
	; wave barrier
	s_waitcnt lgkmcnt(0)
	s_and_saveexec_b64 s[4:5], vcc
	s_cbranch_execz .LBB33_143
; %bb.140:
	v_pk_mov_b32 v[2:3], 0, 0
	v_add_u32_e32 v8, -1, v0
	v_add_u32_e32 v9, 0x220, v1
	v_add_u32_e32 v10, 16, v1
	s_mov_b64 s[6:7], 0
	v_pk_mov_b32 v[4:5], v[2:3], v[2:3] op_sel:[0,1]
.LBB33_141:                             ; =>This Inner Loop Header: Depth=1
	buffer_load_dword v16, v10, s[0:3], 0 offen offset:8
	buffer_load_dword v17, v10, s[0:3], 0 offen offset:12
	buffer_load_dword v18, v10, s[0:3], 0 offen
	buffer_load_dword v19, v10, s[0:3], 0 offen offset:4
	ds_read_b128 v[12:15], v9
	v_add_u32_e32 v8, 1, v8
	v_cmp_lt_u32_e32 vcc, 30, v8
	v_add_u32_e32 v9, 16, v9
	v_add_u32_e32 v10, 16, v10
	s_or_b64 s[6:7], vcc, s[6:7]
	s_waitcnt vmcnt(2) lgkmcnt(0)
	v_mul_f64 v[20:21], v[14:15], v[16:17]
	v_mul_f64 v[16:17], v[12:13], v[16:17]
	s_waitcnt vmcnt(0)
	v_fma_f64 v[12:13], v[12:13], v[18:19], -v[20:21]
	v_fmac_f64_e32 v[16:17], v[14:15], v[18:19]
	v_add_f64 v[4:5], v[4:5], v[12:13]
	v_add_f64 v[2:3], v[2:3], v[16:17]
	s_andn2_b64 exec, exec, s[6:7]
	s_cbranch_execnz .LBB33_141
; %bb.142:
	s_or_b64 exec, exec, s[6:7]
	v_mov_b32_e32 v8, 0
	ds_read_b128 v[8:11], v8 offset:512
	s_waitcnt lgkmcnt(0)
	v_mul_f64 v[12:13], v[2:3], v[10:11]
	v_mul_f64 v[10:11], v[4:5], v[10:11]
	v_fma_f64 v[4:5], v[4:5], v[8:9], -v[12:13]
	v_fmac_f64_e32 v[10:11], v[2:3], v[8:9]
	buffer_store_dword v5, off, s[0:3], 0 offset:532
	buffer_store_dword v4, off, s[0:3], 0 offset:528
	;; [unrolled: 1-line block ×4, first 2 shown]
.LBB33_143:
	s_or_b64 exec, exec, s[4:5]
	s_waitcnt lgkmcnt(0)
	; wave barrier
	buffer_load_dword v2, v181, s[0:3], 0 offen
	buffer_load_dword v3, v181, s[0:3], 0 offen offset:4
	buffer_load_dword v4, v181, s[0:3], 0 offen offset:8
	buffer_load_dword v5, v181, s[0:3], 0 offen offset:12
	v_cmp_ne_u32_e32 vcc, 33, v0
	s_waitcnt vmcnt(0)
	ds_write_b128 v6, v[2:5]
	s_waitcnt lgkmcnt(0)
	; wave barrier
	s_waitcnt lgkmcnt(0)
	s_and_saveexec_b64 s[4:5], vcc
	s_cbranch_execz .LBB33_147
; %bb.144:
	v_pk_mov_b32 v[2:3], 0, 0
	v_add_u32_e32 v6, 0x220, v1
	v_add_u32_e32 v1, 16, v1
	s_mov_b64 s[6:7], 0
	v_pk_mov_b32 v[4:5], v[2:3], v[2:3] op_sel:[0,1]
.LBB33_145:                             ; =>This Inner Loop Header: Depth=1
	buffer_load_dword v12, v1, s[0:3], 0 offen offset:8
	buffer_load_dword v13, v1, s[0:3], 0 offen offset:12
	buffer_load_dword v14, v1, s[0:3], 0 offen
	buffer_load_dword v15, v1, s[0:3], 0 offen offset:4
	ds_read_b128 v[8:11], v6
	v_add_u32_e32 v7, 1, v7
	v_cmp_lt_u32_e32 vcc, 31, v7
	v_add_u32_e32 v6, 16, v6
	v_add_u32_e32 v1, 16, v1
	s_or_b64 s[6:7], vcc, s[6:7]
	s_waitcnt vmcnt(2) lgkmcnt(0)
	v_mul_f64 v[16:17], v[10:11], v[12:13]
	v_mul_f64 v[12:13], v[8:9], v[12:13]
	s_waitcnt vmcnt(0)
	v_fma_f64 v[8:9], v[8:9], v[14:15], -v[16:17]
	v_fmac_f64_e32 v[12:13], v[10:11], v[14:15]
	v_add_f64 v[4:5], v[4:5], v[8:9]
	v_add_f64 v[2:3], v[2:3], v[12:13]
	s_andn2_b64 exec, exec, s[6:7]
	s_cbranch_execnz .LBB33_145
; %bb.146:
	s_or_b64 exec, exec, s[6:7]
	v_mov_b32_e32 v1, 0
	ds_read_b128 v[6:9], v1 offset:528
	s_waitcnt lgkmcnt(0)
	v_mul_f64 v[10:11], v[2:3], v[8:9]
	v_mul_f64 v[8:9], v[4:5], v[8:9]
	v_fma_f64 v[4:5], v[4:5], v[6:7], -v[10:11]
	v_fmac_f64_e32 v[8:9], v[2:3], v[6:7]
	buffer_store_dword v5, off, s[0:3], 0 offset:548
	buffer_store_dword v4, off, s[0:3], 0 offset:544
	;; [unrolled: 1-line block ×4, first 2 shown]
.LBB33_147:
	s_or_b64 exec, exec, s[4:5]
	s_mov_b64 s[6:7], -1
	s_waitcnt lgkmcnt(0)
	; wave barrier
.LBB33_148:
	s_and_b64 vcc, exec, s[6:7]
	s_cbranch_vccz .LBB33_150
; %bb.149:
	s_lshl_b64 s[4:5], s[8:9], 2
	s_add_u32 s4, s14, s4
	s_addc_u32 s5, s15, s5
	v_mov_b32_e32 v1, 0
	global_load_dword v1, v1, s[4:5]
	s_waitcnt vmcnt(0)
	v_cmp_ne_u32_e32 vcc, 0, v1
	s_cbranch_vccz .LBB33_151
.LBB33_150:
	s_endpgm
.LBB33_151:
	v_mov_b32_e32 v1, 0x220
	v_lshl_add_u32 v1, v0, 4, v1
	v_cmp_eq_u32_e32 vcc, 33, v0
	s_and_saveexec_b64 s[4:5], vcc
	s_cbranch_execz .LBB33_153
; %bb.152:
	v_accvgpr_read_b32 v5, a62
	buffer_load_dword v2, v5, s[0:3], 0 offen
	buffer_load_dword v3, v5, s[0:3], 0 offen offset:4
	buffer_load_dword v4, v5, s[0:3], 0 offen offset:8
	s_nop 0
	buffer_load_dword v5, v5, s[0:3], 0 offen offset:12
	v_mov_b32_e32 v6, 0
	buffer_store_dword v6, off, s[0:3], 0 offset:528
	buffer_store_dword v6, off, s[0:3], 0 offset:532
	;; [unrolled: 1-line block ×4, first 2 shown]
	s_waitcnt vmcnt(4)
	ds_write_b128 v1, v[2:5]
.LBB33_153:
	s_or_b64 exec, exec, s[4:5]
	s_waitcnt lgkmcnt(0)
	; wave barrier
	s_waitcnt lgkmcnt(0)
	buffer_load_dword v8, off, s[0:3], 0 offset:552
	buffer_load_dword v9, off, s[0:3], 0 offset:556
	;; [unrolled: 1-line block ×8, first 2 shown]
	v_mov_b32_e32 v2, 0
	ds_read_b128 v[4:7], v2 offset:1072
	v_cmp_lt_u32_e32 vcc, 31, v0
	s_waitcnt vmcnt(6) lgkmcnt(0)
	v_mul_f64 v[16:17], v[4:5], v[8:9]
	v_mul_f64 v[8:9], v[6:7], v[8:9]
	s_waitcnt vmcnt(4)
	v_fma_f64 v[4:5], v[4:5], v[10:11], -v[8:9]
	v_fmac_f64_e32 v[16:17], v[6:7], v[10:11]
	v_add_f64 v[4:5], v[4:5], 0
	v_add_f64 v[6:7], v[16:17], 0
	s_waitcnt vmcnt(2)
	v_add_f64 v[4:5], v[12:13], -v[4:5]
	s_waitcnt vmcnt(0)
	v_add_f64 v[6:7], v[14:15], -v[6:7]
	buffer_store_dword v4, off, s[0:3], 0 offset:528
	buffer_store_dword v5, off, s[0:3], 0 offset:532
	;; [unrolled: 1-line block ×4, first 2 shown]
	s_and_saveexec_b64 s[4:5], vcc
	s_cbranch_execz .LBB33_155
; %bb.154:
	v_accvgpr_read_b32 v3, a63
	buffer_load_dword v4, v3, s[0:3], 0 offen
	buffer_load_dword v5, v3, s[0:3], 0 offen offset:4
	buffer_load_dword v6, v3, s[0:3], 0 offen offset:8
	;; [unrolled: 1-line block ×3, first 2 shown]
	s_nop 0
	buffer_store_dword v2, off, s[0:3], 0 offset:512
	buffer_store_dword v2, off, s[0:3], 0 offset:516
	;; [unrolled: 1-line block ×4, first 2 shown]
	s_waitcnt vmcnt(4)
	ds_write_b128 v1, v[4:7]
.LBB33_155:
	s_or_b64 exec, exec, s[4:5]
	s_waitcnt lgkmcnt(0)
	; wave barrier
	s_waitcnt lgkmcnt(0)
	buffer_load_dword v12, off, s[0:3], 0 offset:536
	buffer_load_dword v13, off, s[0:3], 0 offset:540
	;; [unrolled: 1-line block ×12, first 2 shown]
	ds_read_b128 v[4:7], v2 offset:1056
	ds_read_b128 v[8:11], v2 offset:1072
	v_cmp_lt_u32_e32 vcc, 30, v0
	s_waitcnt vmcnt(10) lgkmcnt(1)
	v_mul_f64 v[2:3], v[4:5], v[12:13]
	v_mul_f64 v[12:13], v[6:7], v[12:13]
	s_waitcnt vmcnt(8) lgkmcnt(0)
	v_mul_f64 v[24:25], v[8:9], v[14:15]
	v_mul_f64 v[14:15], v[10:11], v[14:15]
	s_waitcnt vmcnt(6)
	v_fma_f64 v[4:5], v[4:5], v[16:17], -v[12:13]
	v_fmac_f64_e32 v[2:3], v[6:7], v[16:17]
	s_waitcnt vmcnt(4)
	v_fma_f64 v[6:7], v[8:9], v[18:19], -v[14:15]
	v_add_f64 v[4:5], v[4:5], 0
	v_fmac_f64_e32 v[24:25], v[10:11], v[18:19]
	v_add_f64 v[2:3], v[2:3], 0
	v_add_f64 v[4:5], v[4:5], v[6:7]
	;; [unrolled: 1-line block ×3, first 2 shown]
	s_waitcnt vmcnt(2)
	v_add_f64 v[4:5], v[20:21], -v[4:5]
	s_waitcnt vmcnt(0)
	v_add_f64 v[2:3], v[22:23], -v[2:3]
	buffer_store_dword v4, off, s[0:3], 0 offset:512
	buffer_store_dword v5, off, s[0:3], 0 offset:516
	;; [unrolled: 1-line block ×4, first 2 shown]
	s_and_saveexec_b64 s[4:5], vcc
	s_cbranch_execz .LBB33_157
; %bb.156:
	v_accvgpr_read_b32 v5, a64
	buffer_load_dword v2, v5, s[0:3], 0 offen
	buffer_load_dword v3, v5, s[0:3], 0 offen offset:4
	buffer_load_dword v4, v5, s[0:3], 0 offen offset:8
	s_nop 0
	buffer_load_dword v5, v5, s[0:3], 0 offen offset:12
	v_mov_b32_e32 v6, 0
	buffer_store_dword v6, off, s[0:3], 0 offset:496
	buffer_store_dword v6, off, s[0:3], 0 offset:500
	;; [unrolled: 1-line block ×4, first 2 shown]
	s_waitcnt vmcnt(4)
	ds_write_b128 v1, v[2:5]
.LBB33_157:
	s_or_b64 exec, exec, s[4:5]
	s_waitcnt lgkmcnt(0)
	; wave barrier
	s_waitcnt lgkmcnt(0)
	buffer_load_dword v16, off, s[0:3], 0 offset:520
	buffer_load_dword v17, off, s[0:3], 0 offset:524
	;; [unrolled: 1-line block ×16, first 2 shown]
	v_mov_b32_e32 v2, 0
	ds_read_b128 v[4:7], v2 offset:1040
	ds_read_b128 v[8:11], v2 offset:1056
	;; [unrolled: 1-line block ×3, first 2 shown]
	v_cmp_lt_u32_e32 vcc, 29, v0
	s_waitcnt vmcnt(14) lgkmcnt(2)
	v_mul_f64 v[32:33], v[4:5], v[16:17]
	v_mul_f64 v[16:17], v[6:7], v[16:17]
	s_waitcnt vmcnt(12) lgkmcnt(1)
	v_mul_f64 v[34:35], v[8:9], v[18:19]
	v_mul_f64 v[18:19], v[10:11], v[18:19]
	;; [unrolled: 3-line block ×3, first 2 shown]
	s_waitcnt vmcnt(8)
	v_fma_f64 v[4:5], v[4:5], v[22:23], -v[16:17]
	v_fmac_f64_e32 v[32:33], v[6:7], v[22:23]
	s_waitcnt vmcnt(6)
	v_fma_f64 v[6:7], v[8:9], v[24:25], -v[18:19]
	v_add_f64 v[4:5], v[4:5], 0
	v_fmac_f64_e32 v[34:35], v[10:11], v[24:25]
	s_waitcnt vmcnt(4)
	v_fma_f64 v[8:9], v[12:13], v[26:27], -v[20:21]
	v_add_f64 v[10:11], v[32:33], 0
	v_add_f64 v[4:5], v[4:5], v[6:7]
	v_fmac_f64_e32 v[36:37], v[14:15], v[26:27]
	v_add_f64 v[10:11], v[10:11], v[34:35]
	v_add_f64 v[4:5], v[4:5], v[8:9]
	;; [unrolled: 1-line block ×3, first 2 shown]
	s_waitcnt vmcnt(2)
	v_add_f64 v[4:5], v[28:29], -v[4:5]
	s_waitcnt vmcnt(0)
	v_add_f64 v[6:7], v[30:31], -v[6:7]
	buffer_store_dword v4, off, s[0:3], 0 offset:496
	buffer_store_dword v5, off, s[0:3], 0 offset:500
	;; [unrolled: 1-line block ×4, first 2 shown]
	s_and_saveexec_b64 s[4:5], vcc
	s_cbranch_execz .LBB33_159
; %bb.158:
	v_accvgpr_read_b32 v3, a65
	buffer_load_dword v4, v3, s[0:3], 0 offen
	buffer_load_dword v5, v3, s[0:3], 0 offen offset:4
	buffer_load_dword v6, v3, s[0:3], 0 offen offset:8
	;; [unrolled: 1-line block ×3, first 2 shown]
	s_nop 0
	buffer_store_dword v2, off, s[0:3], 0 offset:480
	buffer_store_dword v2, off, s[0:3], 0 offset:484
	;; [unrolled: 1-line block ×4, first 2 shown]
	s_waitcnt vmcnt(4)
	ds_write_b128 v1, v[4:7]
.LBB33_159:
	s_or_b64 exec, exec, s[4:5]
	s_waitcnt lgkmcnt(0)
	; wave barrier
	s_waitcnt lgkmcnt(0)
	buffer_load_dword v20, off, s[0:3], 0 offset:504
	buffer_load_dword v21, off, s[0:3], 0 offset:508
	;; [unrolled: 1-line block ×20, first 2 shown]
	ds_read_b128 v[4:7], v2 offset:1024
	ds_read_b128 v[8:11], v2 offset:1040
	;; [unrolled: 1-line block ×4, first 2 shown]
	v_cmp_lt_u32_e32 vcc, 28, v0
	s_waitcnt vmcnt(18) lgkmcnt(3)
	v_mul_f64 v[2:3], v[4:5], v[20:21]
	v_mul_f64 v[20:21], v[6:7], v[20:21]
	s_waitcnt vmcnt(16) lgkmcnt(2)
	v_mul_f64 v[40:41], v[8:9], v[22:23]
	v_mul_f64 v[22:23], v[10:11], v[22:23]
	;; [unrolled: 3-line block ×4, first 2 shown]
	s_waitcnt vmcnt(10)
	v_fma_f64 v[4:5], v[4:5], v[28:29], -v[20:21]
	v_fmac_f64_e32 v[2:3], v[6:7], v[28:29]
	s_waitcnt vmcnt(8)
	v_fma_f64 v[6:7], v[8:9], v[30:31], -v[22:23]
	v_add_f64 v[4:5], v[4:5], 0
	v_fmac_f64_e32 v[40:41], v[10:11], v[30:31]
	s_waitcnt vmcnt(6)
	v_fma_f64 v[8:9], v[12:13], v[32:33], -v[24:25]
	v_add_f64 v[2:3], v[2:3], 0
	v_add_f64 v[4:5], v[4:5], v[6:7]
	v_fmac_f64_e32 v[42:43], v[14:15], v[32:33]
	s_waitcnt vmcnt(4)
	v_fma_f64 v[10:11], v[16:17], v[34:35], -v[26:27]
	v_add_f64 v[2:3], v[2:3], v[40:41]
	v_add_f64 v[4:5], v[4:5], v[8:9]
	v_fmac_f64_e32 v[44:45], v[18:19], v[34:35]
	v_add_f64 v[2:3], v[2:3], v[42:43]
	v_add_f64 v[4:5], v[4:5], v[10:11]
	;; [unrolled: 1-line block ×3, first 2 shown]
	s_waitcnt vmcnt(2)
	v_add_f64 v[4:5], v[36:37], -v[4:5]
	s_waitcnt vmcnt(0)
	v_add_f64 v[2:3], v[38:39], -v[2:3]
	buffer_store_dword v4, off, s[0:3], 0 offset:480
	buffer_store_dword v5, off, s[0:3], 0 offset:484
	;; [unrolled: 1-line block ×4, first 2 shown]
	s_and_saveexec_b64 s[4:5], vcc
	s_cbranch_execz .LBB33_161
; %bb.160:
	v_accvgpr_read_b32 v5, a66
	buffer_load_dword v2, v5, s[0:3], 0 offen
	buffer_load_dword v3, v5, s[0:3], 0 offen offset:4
	buffer_load_dword v4, v5, s[0:3], 0 offen offset:8
	s_nop 0
	buffer_load_dword v5, v5, s[0:3], 0 offen offset:12
	v_mov_b32_e32 v6, 0
	buffer_store_dword v6, off, s[0:3], 0 offset:464
	buffer_store_dword v6, off, s[0:3], 0 offset:468
	;; [unrolled: 1-line block ×4, first 2 shown]
	s_waitcnt vmcnt(4)
	ds_write_b128 v1, v[2:5]
.LBB33_161:
	s_or_b64 exec, exec, s[4:5]
	s_waitcnt lgkmcnt(0)
	; wave barrier
	s_waitcnt lgkmcnt(0)
	buffer_load_dword v24, off, s[0:3], 0 offset:488
	buffer_load_dword v25, off, s[0:3], 0 offset:492
	;; [unrolled: 1-line block ×24, first 2 shown]
	v_mov_b32_e32 v2, 0
	ds_read_b128 v[4:7], v2 offset:1008
	ds_read_b128 v[8:11], v2 offset:1024
	;; [unrolled: 1-line block ×5, first 2 shown]
	v_cmp_lt_u32_e32 vcc, 27, v0
	s_waitcnt vmcnt(22) lgkmcnt(4)
	v_mul_f64 v[48:49], v[4:5], v[24:25]
	v_mul_f64 v[24:25], v[6:7], v[24:25]
	s_waitcnt vmcnt(20) lgkmcnt(3)
	v_mul_f64 v[50:51], v[8:9], v[26:27]
	v_mul_f64 v[26:27], v[10:11], v[26:27]
	;; [unrolled: 3-line block ×4, first 2 shown]
	s_waitcnt vmcnt(13) lgkmcnt(0)
	v_mul_f64 v[56:57], v[20:21], v[30:31]
	s_waitcnt vmcnt(11)
	v_fma_f64 v[4:5], v[4:5], v[36:37], -v[24:25]
	v_fmac_f64_e32 v[48:49], v[6:7], v[36:37]
	s_waitcnt vmcnt(9)
	v_fma_f64 v[6:7], v[8:9], v[38:39], -v[26:27]
	v_add_f64 v[4:5], v[4:5], 0
	v_fmac_f64_e32 v[50:51], v[10:11], v[38:39]
	s_waitcnt vmcnt(7)
	v_fmac_f64_e32 v[52:53], v[14:15], v[40:41]
	v_fma_f64 v[8:9], v[12:13], v[40:41], -v[28:29]
	v_add_f64 v[14:15], v[48:49], 0
	v_add_f64 v[4:5], v[4:5], v[6:7]
	v_mul_f64 v[30:31], v[22:23], v[30:31]
	s_waitcnt vmcnt(5)
	v_fma_f64 v[10:11], v[16:17], v[42:43], -v[34:35]
	v_add_f64 v[14:15], v[14:15], v[50:51]
	v_add_f64 v[4:5], v[4:5], v[8:9]
	v_fmac_f64_e32 v[54:55], v[18:19], v[42:43]
	s_waitcnt vmcnt(4)
	v_fma_f64 v[12:13], v[20:21], v[32:33], -v[30:31]
	v_add_f64 v[6:7], v[14:15], v[52:53]
	v_add_f64 v[4:5], v[4:5], v[10:11]
	v_fmac_f64_e32 v[56:57], v[22:23], v[32:33]
	v_add_f64 v[6:7], v[6:7], v[54:55]
	v_add_f64 v[4:5], v[4:5], v[12:13]
	;; [unrolled: 1-line block ×3, first 2 shown]
	s_waitcnt vmcnt(2)
	v_add_f64 v[4:5], v[44:45], -v[4:5]
	s_waitcnt vmcnt(0)
	v_add_f64 v[6:7], v[46:47], -v[6:7]
	buffer_store_dword v5, off, s[0:3], 0 offset:468
	buffer_store_dword v4, off, s[0:3], 0 offset:464
	;; [unrolled: 1-line block ×4, first 2 shown]
	s_and_saveexec_b64 s[4:5], vcc
	s_cbranch_execz .LBB33_163
; %bb.162:
	v_accvgpr_read_b32 v3, a67
	buffer_load_dword v4, v3, s[0:3], 0 offen
	buffer_load_dword v5, v3, s[0:3], 0 offen offset:4
	buffer_load_dword v6, v3, s[0:3], 0 offen offset:8
	;; [unrolled: 1-line block ×3, first 2 shown]
	s_nop 0
	buffer_store_dword v2, off, s[0:3], 0 offset:448
	buffer_store_dword v2, off, s[0:3], 0 offset:452
	;; [unrolled: 1-line block ×4, first 2 shown]
	s_waitcnt vmcnt(4)
	ds_write_b128 v1, v[4:7]
.LBB33_163:
	s_or_b64 exec, exec, s[4:5]
	s_waitcnt lgkmcnt(0)
	; wave barrier
	s_waitcnt lgkmcnt(0)
	ds_read_b128 v[4:7], v2 offset:992
	ds_read_b128 v[8:11], v2 offset:1008
	;; [unrolled: 1-line block ×4, first 2 shown]
	buffer_load_dword v28, off, s[0:3], 0 offset:448
	buffer_load_dword v29, off, s[0:3], 0 offset:452
	buffer_load_dword v30, off, s[0:3], 0 offset:456
	buffer_load_dword v31, off, s[0:3], 0 offset:460
	buffer_load_dword v32, off, s[0:3], 0 offset:464
	buffer_load_dword v33, off, s[0:3], 0 offset:468
	buffer_load_dword v34, off, s[0:3], 0 offset:472
	buffer_load_dword v35, off, s[0:3], 0 offset:476
	buffer_load_dword v36, off, s[0:3], 0 offset:480
	buffer_load_dword v37, off, s[0:3], 0 offset:484
	buffer_load_dword v38, off, s[0:3], 0 offset:488
	buffer_load_dword v39, off, s[0:3], 0 offset:492
	buffer_load_dword v40, off, s[0:3], 0 offset:496
	buffer_load_dword v41, off, s[0:3], 0 offset:500
	buffer_load_dword v42, off, s[0:3], 0 offset:504
	buffer_load_dword v43, off, s[0:3], 0 offset:508
	buffer_load_dword v45, off, s[0:3], 0 offset:516
	buffer_load_dword v44, off, s[0:3], 0 offset:512
	buffer_load_dword v47, off, s[0:3], 0 offset:524
	buffer_load_dword v46, off, s[0:3], 0 offset:520
	v_cmp_lt_u32_e32 vcc, 26, v0
	s_waitcnt vmcnt(12) lgkmcnt(3)
	v_mul_f64 v[20:21], v[4:5], v[34:35]
	v_fmac_f64_e32 v[20:21], v[6:7], v[32:33]
	v_add_f64 v[20:21], v[20:21], 0
	v_mul_f64 v[6:7], v[6:7], v[34:35]
	s_waitcnt vmcnt(8) lgkmcnt(2)
	v_mul_f64 v[22:23], v[8:9], v[38:39]
	v_fmac_f64_e32 v[22:23], v[10:11], v[36:37]
	v_add_f64 v[20:21], v[20:21], v[22:23]
	v_fma_f64 v[4:5], v[4:5], v[32:33], -v[6:7]
	s_waitcnt vmcnt(4) lgkmcnt(1)
	v_mul_f64 v[22:23], v[12:13], v[42:43]
	v_fmac_f64_e32 v[22:23], v[14:15], v[40:41]
	v_add_f64 v[20:21], v[20:21], v[22:23]
	s_waitcnt vmcnt(0) lgkmcnt(0)
	v_mul_f64 v[22:23], v[16:17], v[46:47]
	v_fmac_f64_e32 v[22:23], v[18:19], v[44:45]
	v_add_f64 v[24:25], v[20:21], v[22:23]
	ds_read_b128 v[20:23], v2 offset:1056
	buffer_load_dword v49, off, s[0:3], 0 offset:532
	buffer_load_dword v48, off, s[0:3], 0 offset:528
	;; [unrolled: 1-line block ×4, first 2 shown]
	v_mul_f64 v[6:7], v[10:11], v[38:39]
	v_add_f64 v[4:5], v[4:5], 0
	v_fma_f64 v[6:7], v[8:9], v[36:37], -v[6:7]
	v_add_f64 v[4:5], v[4:5], v[6:7]
	v_mul_f64 v[6:7], v[14:15], v[42:43]
	v_fma_f64 v[6:7], v[12:13], v[40:41], -v[6:7]
	v_add_f64 v[4:5], v[4:5], v[6:7]
	v_mul_f64 v[6:7], v[18:19], v[46:47]
	v_fma_f64 v[6:7], v[16:17], v[44:45], -v[6:7]
	v_add_f64 v[4:5], v[4:5], v[6:7]
	s_waitcnt vmcnt(0) lgkmcnt(0)
	v_mul_f64 v[26:27], v[20:21], v[50:51]
	v_fmac_f64_e32 v[26:27], v[22:23], v[48:49]
	v_add_f64 v[52:53], v[24:25], v[26:27]
	ds_read_b128 v[24:27], v2 offset:1072
	buffer_load_dword v3, off, s[0:3], 0 offset:548
	buffer_load_dword v2, off, s[0:3], 0 offset:544
	;; [unrolled: 1-line block ×4, first 2 shown]
	v_mul_f64 v[6:7], v[22:23], v[50:51]
	v_fma_f64 v[6:7], v[20:21], v[48:49], -v[6:7]
	v_add_f64 v[4:5], v[4:5], v[6:7]
	s_waitcnt vmcnt(0) lgkmcnt(0)
	v_mul_f64 v[56:57], v[24:25], v[54:55]
	v_mul_f64 v[6:7], v[26:27], v[54:55]
	v_fmac_f64_e32 v[56:57], v[26:27], v[2:3]
	v_fma_f64 v[2:3], v[24:25], v[2:3], -v[6:7]
	v_add_f64 v[2:3], v[4:5], v[2:3]
	v_add_f64 v[52:53], v[52:53], v[56:57]
	v_add_f64 v[2:3], v[28:29], -v[2:3]
	v_add_f64 v[4:5], v[30:31], -v[52:53]
	buffer_store_dword v3, off, s[0:3], 0 offset:452
	buffer_store_dword v2, off, s[0:3], 0 offset:448
	;; [unrolled: 1-line block ×4, first 2 shown]
	s_and_saveexec_b64 s[4:5], vcc
	s_cbranch_execz .LBB33_165
; %bb.164:
	v_accvgpr_read_b32 v5, a68
	buffer_load_dword v2, v5, s[0:3], 0 offen
	buffer_load_dword v3, v5, s[0:3], 0 offen offset:4
	buffer_load_dword v4, v5, s[0:3], 0 offen offset:8
	s_nop 0
	buffer_load_dword v5, v5, s[0:3], 0 offen offset:12
	v_mov_b32_e32 v6, 0
	buffer_store_dword v6, off, s[0:3], 0 offset:432
	buffer_store_dword v6, off, s[0:3], 0 offset:436
	buffer_store_dword v6, off, s[0:3], 0 offset:440
	buffer_store_dword v6, off, s[0:3], 0 offset:444
	s_waitcnt vmcnt(4)
	ds_write_b128 v1, v[2:5]
.LBB33_165:
	s_or_b64 exec, exec, s[4:5]
	s_waitcnt lgkmcnt(0)
	; wave barrier
	s_waitcnt lgkmcnt(0)
	buffer_load_dword v32, off, s[0:3], 0 offset:456
	buffer_load_dword v33, off, s[0:3], 0 offset:460
	;; [unrolled: 1-line block ×32, first 2 shown]
	v_mov_b32_e32 v2, 0
	ds_read_b128 v[4:7], v2 offset:976
	ds_read_b128 v[8:11], v2 offset:992
	;; [unrolled: 1-line block ×7, first 2 shown]
	v_cmp_lt_u32_e32 vcc, 25, v0
	s_waitcnt vmcnt(30) lgkmcnt(6)
	v_mul_f64 v[64:65], v[4:5], v[32:33]
	v_mul_f64 v[32:33], v[6:7], v[32:33]
	s_waitcnt vmcnt(28) lgkmcnt(5)
	v_mul_f64 v[66:67], v[8:9], v[34:35]
	v_mul_f64 v[34:35], v[10:11], v[34:35]
	s_waitcnt vmcnt(26) lgkmcnt(4)
	v_mul_f64 v[68:69], v[12:13], v[36:37]
	v_mul_f64 v[36:37], v[14:15], v[36:37]
	s_waitcnt vmcnt(24) lgkmcnt(2)
	v_mul_f64 v[72:73], v[20:21], v[38:39]
	v_mul_f64 v[38:39], v[22:23], v[38:39]
	s_waitcnt vmcnt(21)
	v_mul_f64 v[70:71], v[16:17], v[42:43]
	v_mul_f64 v[42:43], v[18:19], v[42:43]
	s_waitcnt vmcnt(17) lgkmcnt(1)
	v_mul_f64 v[74:75], v[24:25], v[48:49]
	v_mul_f64 v[48:49], v[26:27], v[48:49]
	s_waitcnt vmcnt(16) lgkmcnt(0)
	v_mul_f64 v[76:77], v[28:29], v[44:45]
	v_mul_f64 v[44:45], v[30:31], v[44:45]
	s_waitcnt vmcnt(13)
	v_fma_f64 v[4:5], v[4:5], v[50:51], -v[32:33]
	v_fmac_f64_e32 v[64:65], v[6:7], v[50:51]
	s_waitcnt vmcnt(11)
	v_fma_f64 v[6:7], v[8:9], v[52:53], -v[34:35]
	v_add_f64 v[4:5], v[4:5], 0
	v_fmac_f64_e32 v[66:67], v[10:11], v[52:53]
	s_waitcnt vmcnt(9)
	v_fma_f64 v[8:9], v[12:13], v[54:55], -v[36:37]
	s_waitcnt vmcnt(7)
	v_fmac_f64_e32 v[70:71], v[18:19], v[56:57]
	v_add_f64 v[18:19], v[64:65], 0
	v_add_f64 v[4:5], v[4:5], v[6:7]
	v_fmac_f64_e32 v[68:69], v[14:15], v[54:55]
	v_fma_f64 v[10:11], v[16:17], v[56:57], -v[42:43]
	v_add_f64 v[18:19], v[18:19], v[66:67]
	v_add_f64 v[4:5], v[4:5], v[8:9]
	v_fma_f64 v[12:13], v[20:21], v[40:41], -v[38:39]
	v_add_f64 v[6:7], v[18:19], v[68:69]
	v_add_f64 v[4:5], v[4:5], v[10:11]
	v_fmac_f64_e32 v[72:73], v[22:23], v[40:41]
	s_waitcnt vmcnt(5)
	v_fma_f64 v[14:15], v[24:25], v[58:59], -v[48:49]
	v_add_f64 v[6:7], v[6:7], v[70:71]
	v_add_f64 v[4:5], v[4:5], v[12:13]
	v_fmac_f64_e32 v[74:75], v[26:27], v[58:59]
	s_waitcnt vmcnt(4)
	v_fma_f64 v[16:17], v[28:29], v[46:47], -v[44:45]
	v_add_f64 v[6:7], v[6:7], v[72:73]
	v_add_f64 v[4:5], v[4:5], v[14:15]
	v_fmac_f64_e32 v[76:77], v[30:31], v[46:47]
	v_add_f64 v[6:7], v[6:7], v[74:75]
	v_add_f64 v[4:5], v[4:5], v[16:17]
	;; [unrolled: 1-line block ×3, first 2 shown]
	s_waitcnt vmcnt(2)
	v_add_f64 v[4:5], v[60:61], -v[4:5]
	s_waitcnt vmcnt(0)
	v_add_f64 v[6:7], v[62:63], -v[6:7]
	buffer_store_dword v5, off, s[0:3], 0 offset:436
	buffer_store_dword v4, off, s[0:3], 0 offset:432
	;; [unrolled: 1-line block ×4, first 2 shown]
	s_and_saveexec_b64 s[4:5], vcc
	s_cbranch_execz .LBB33_167
; %bb.166:
	v_accvgpr_read_b32 v3, a69
	buffer_load_dword v4, v3, s[0:3], 0 offen
	buffer_load_dword v5, v3, s[0:3], 0 offen offset:4
	buffer_load_dword v6, v3, s[0:3], 0 offen offset:8
	;; [unrolled: 1-line block ×3, first 2 shown]
	s_nop 0
	buffer_store_dword v2, off, s[0:3], 0 offset:416
	buffer_store_dword v2, off, s[0:3], 0 offset:420
	;; [unrolled: 1-line block ×4, first 2 shown]
	s_waitcnt vmcnt(4)
	ds_write_b128 v1, v[4:7]
.LBB33_167:
	s_or_b64 exec, exec, s[4:5]
	s_waitcnt lgkmcnt(0)
	; wave barrier
	s_waitcnt lgkmcnt(0)
	buffer_load_dword v36, off, s[0:3], 0 offset:440
	buffer_load_dword v37, off, s[0:3], 0 offset:444
	buffer_load_dword v38, off, s[0:3], 0 offset:456
	buffer_load_dword v39, off, s[0:3], 0 offset:460
	buffer_load_dword v40, off, s[0:3], 0 offset:472
	buffer_load_dword v41, off, s[0:3], 0 offset:476
	buffer_load_dword v43, off, s[0:3], 0 offset:508
	buffer_load_dword v42, off, s[0:3], 0 offset:504
	buffer_load_dword v44, off, s[0:3], 0 offset:496
	buffer_load_dword v47, off, s[0:3], 0 offset:492
	buffer_load_dword v46, off, s[0:3], 0 offset:488
	buffer_load_dword v49, off, s[0:3], 0 offset:540
	buffer_load_dword v48, off, s[0:3], 0 offset:536
	buffer_load_dword v50, off, s[0:3], 0 offset:528
	buffer_load_dword v53, off, s[0:3], 0 offset:524
	buffer_load_dword v52, off, s[0:3], 0 offset:520
	buffer_load_dword v55, off, s[0:3], 0 offset:556
	buffer_load_dword v54, off, s[0:3], 0 offset:552
	buffer_load_dword v45, off, s[0:3], 0 offset:500
	buffer_load_dword v51, off, s[0:3], 0 offset:532
	buffer_load_dword v56, off, s[0:3], 0 offset:432
	buffer_load_dword v57, off, s[0:3], 0 offset:436
	buffer_load_dword v58, off, s[0:3], 0 offset:448
	buffer_load_dword v59, off, s[0:3], 0 offset:452
	buffer_load_dword v60, off, s[0:3], 0 offset:464
	buffer_load_dword v61, off, s[0:3], 0 offset:468
	buffer_load_dword v63, off, s[0:3], 0 offset:484
	buffer_load_dword v62, off, s[0:3], 0 offset:480
	buffer_load_dword v65, off, s[0:3], 0 offset:516
	buffer_load_dword v64, off, s[0:3], 0 offset:512
	buffer_load_dword v67, off, s[0:3], 0 offset:548
	buffer_load_dword v66, off, s[0:3], 0 offset:544
	buffer_load_dword v68, off, s[0:3], 0 offset:416
	buffer_load_dword v69, off, s[0:3], 0 offset:420
	buffer_load_dword v70, off, s[0:3], 0 offset:424
	buffer_load_dword v71, off, s[0:3], 0 offset:428
	ds_read_b128 v[4:7], v2 offset:960
	ds_read_b128 v[8:11], v2 offset:976
	;; [unrolled: 1-line block ×8, first 2 shown]
	v_cmp_lt_u32_e32 vcc, 24, v0
	s_waitcnt vmcnt(34) lgkmcnt(7)
	v_mul_f64 v[2:3], v[4:5], v[36:37]
	v_mul_f64 v[36:37], v[6:7], v[36:37]
	s_waitcnt vmcnt(32) lgkmcnt(6)
	v_mul_f64 v[72:73], v[8:9], v[38:39]
	v_mul_f64 v[38:39], v[10:11], v[38:39]
	;; [unrolled: 3-line block ×4, first 2 shown]
	s_waitcnt vmcnt(25)
	v_mul_f64 v[76:77], v[16:17], v[46:47]
	v_mul_f64 v[46:47], v[18:19], v[46:47]
	s_waitcnt vmcnt(23) lgkmcnt(1)
	v_mul_f64 v[82:83], v[28:29], v[48:49]
	v_mul_f64 v[48:49], v[30:31], v[48:49]
	s_waitcnt vmcnt(20)
	v_mul_f64 v[80:81], v[24:25], v[52:53]
	v_mul_f64 v[52:53], v[26:27], v[52:53]
	s_waitcnt vmcnt(18) lgkmcnt(0)
	v_mul_f64 v[84:85], v[32:33], v[54:55]
	s_waitcnt vmcnt(17)
	v_fmac_f64_e32 v[78:79], v[22:23], v[44:45]
	s_waitcnt vmcnt(16)
	v_fmac_f64_e32 v[82:83], v[30:31], v[50:51]
	s_waitcnt vmcnt(14)
	v_fma_f64 v[4:5], v[4:5], v[56:57], -v[36:37]
	v_fmac_f64_e32 v[2:3], v[6:7], v[56:57]
	s_waitcnt vmcnt(12)
	v_fma_f64 v[6:7], v[8:9], v[58:59], -v[38:39]
	v_add_f64 v[4:5], v[4:5], 0
	v_fmac_f64_e32 v[72:73], v[10:11], v[58:59]
	s_waitcnt vmcnt(10)
	v_fma_f64 v[8:9], v[12:13], v[60:61], -v[40:41]
	v_add_f64 v[2:3], v[2:3], 0
	v_add_f64 v[4:5], v[4:5], v[6:7]
	v_fmac_f64_e32 v[74:75], v[14:15], v[60:61]
	s_waitcnt vmcnt(8)
	v_fma_f64 v[10:11], v[16:17], v[62:63], -v[46:47]
	v_add_f64 v[2:3], v[2:3], v[72:73]
	v_add_f64 v[4:5], v[4:5], v[8:9]
	v_fmac_f64_e32 v[76:77], v[18:19], v[62:63]
	v_fma_f64 v[12:13], v[20:21], v[44:45], -v[42:43]
	v_add_f64 v[2:3], v[2:3], v[74:75]
	v_add_f64 v[4:5], v[4:5], v[10:11]
	s_waitcnt vmcnt(6)
	v_fma_f64 v[14:15], v[24:25], v[64:65], -v[52:53]
	v_add_f64 v[2:3], v[2:3], v[76:77]
	v_add_f64 v[4:5], v[4:5], v[12:13]
	v_fmac_f64_e32 v[80:81], v[26:27], v[64:65]
	v_fma_f64 v[16:17], v[28:29], v[50:51], -v[48:49]
	v_add_f64 v[2:3], v[2:3], v[78:79]
	v_add_f64 v[4:5], v[4:5], v[14:15]
	v_mul_f64 v[6:7], v[34:35], v[54:55]
	v_add_f64 v[2:3], v[2:3], v[80:81]
	v_add_f64 v[4:5], v[4:5], v[16:17]
	s_waitcnt vmcnt(4)
	v_fma_f64 v[6:7], v[32:33], v[66:67], -v[6:7]
	v_fmac_f64_e32 v[84:85], v[34:35], v[66:67]
	v_add_f64 v[2:3], v[2:3], v[82:83]
	v_add_f64 v[4:5], v[4:5], v[6:7]
	;; [unrolled: 1-line block ×3, first 2 shown]
	s_waitcnt vmcnt(2)
	v_add_f64 v[4:5], v[68:69], -v[4:5]
	s_waitcnt vmcnt(0)
	v_add_f64 v[2:3], v[70:71], -v[2:3]
	buffer_store_dword v5, off, s[0:3], 0 offset:420
	buffer_store_dword v4, off, s[0:3], 0 offset:416
	;; [unrolled: 1-line block ×4, first 2 shown]
	s_and_saveexec_b64 s[4:5], vcc
	s_cbranch_execz .LBB33_169
; %bb.168:
	v_accvgpr_read_b32 v5, a70
	buffer_load_dword v2, v5, s[0:3], 0 offen
	buffer_load_dword v3, v5, s[0:3], 0 offen offset:4
	buffer_load_dword v4, v5, s[0:3], 0 offen offset:8
	s_nop 0
	buffer_load_dword v5, v5, s[0:3], 0 offen offset:12
	v_mov_b32_e32 v6, 0
	buffer_store_dword v6, off, s[0:3], 0 offset:400
	buffer_store_dword v6, off, s[0:3], 0 offset:404
	;; [unrolled: 1-line block ×4, first 2 shown]
	s_waitcnt vmcnt(4)
	ds_write_b128 v1, v[2:5]
.LBB33_169:
	s_or_b64 exec, exec, s[4:5]
	s_waitcnt lgkmcnt(0)
	; wave barrier
	s_waitcnt lgkmcnt(0)
	buffer_load_dword v40, off, s[0:3], 0 offset:424
	buffer_load_dword v41, off, s[0:3], 0 offset:428
	;; [unrolled: 1-line block ×40, first 2 shown]
	v_mov_b32_e32 v6, 0
	ds_read_b128 v[2:5], v6 offset:944
	ds_read_b128 v[8:11], v6 offset:960
	;; [unrolled: 1-line block ×9, first 2 shown]
	v_cmp_lt_u32_e32 vcc, 23, v0
	s_waitcnt vmcnt(38) lgkmcnt(8)
	v_mul_f64 v[80:81], v[2:3], v[40:41]
	v_mul_f64 v[40:41], v[4:5], v[40:41]
	s_waitcnt vmcnt(36) lgkmcnt(7)
	v_mul_f64 v[82:83], v[8:9], v[42:43]
	v_mul_f64 v[42:43], v[10:11], v[42:43]
	s_waitcnt vmcnt(34) lgkmcnt(6)
	v_mul_f64 v[84:85], v[12:13], v[44:45]
	v_mul_f64 v[44:45], v[14:15], v[44:45]
	s_waitcnt vmcnt(32) lgkmcnt(4)
	v_mul_f64 v[88:89], v[20:21], v[46:47]
	s_waitcnt vmcnt(30)
	v_fmac_f64_e32 v[88:89], v[22:23], v[48:49]
	s_waitcnt vmcnt(28)
	v_mul_f64 v[86:87], v[16:17], v[50:51]
	v_mul_f64 v[50:51], v[18:19], v[50:51]
	s_waitcnt vmcnt(26) lgkmcnt(2)
	v_mul_f64 v[92:93], v[28:29], v[52:53]
	s_waitcnt vmcnt(24)
	v_fmac_f64_e32 v[92:93], v[30:31], v[54:55]
	s_waitcnt vmcnt(22)
	v_mul_f64 v[90:91], v[24:25], v[56:57]
	s_waitcnt vmcnt(18) lgkmcnt(1)
	v_mul_f64 v[94:95], v[32:33], v[62:63]
	s_waitcnt vmcnt(17) lgkmcnt(0)
	v_mul_f64 v[96:97], v[36:37], v[58:59]
	s_waitcnt vmcnt(15)
	v_fma_f64 v[2:3], v[2:3], v[64:65], -v[40:41]
	v_fmac_f64_e32 v[80:81], v[4:5], v[64:65]
	s_waitcnt vmcnt(13)
	v_fma_f64 v[4:5], v[8:9], v[66:67], -v[42:43]
	v_add_f64 v[2:3], v[2:3], 0
	s_waitcnt vmcnt(11)
	v_fma_f64 v[8:9], v[12:13], v[68:69], -v[44:45]
	v_add_f64 v[2:3], v[2:3], v[4:5]
	v_fmac_f64_e32 v[82:83], v[10:11], v[66:67]
	s_waitcnt vmcnt(9)
	v_fma_f64 v[10:11], v[16:17], v[70:71], -v[50:51]
	v_add_f64 v[2:3], v[2:3], v[8:9]
	v_mul_f64 v[8:9], v[22:23], v[46:47]
	v_add_f64 v[2:3], v[2:3], v[10:11]
	v_fma_f64 v[8:9], v[20:21], v[48:49], -v[8:9]
	v_add_f64 v[2:3], v[2:3], v[8:9]
	v_mul_f64 v[8:9], v[26:27], v[56:57]
	v_add_f64 v[12:13], v[80:81], 0
	s_waitcnt vmcnt(7)
	v_fma_f64 v[8:9], v[24:25], v[72:73], -v[8:9]
	v_fmac_f64_e32 v[84:85], v[14:15], v[68:69]
	v_add_f64 v[12:13], v[12:13], v[82:83]
	v_add_f64 v[2:3], v[2:3], v[8:9]
	v_mul_f64 v[8:9], v[30:31], v[52:53]
	v_fmac_f64_e32 v[86:87], v[18:19], v[70:71]
	v_add_f64 v[4:5], v[12:13], v[84:85]
	v_fma_f64 v[8:9], v[28:29], v[54:55], -v[8:9]
	v_add_f64 v[4:5], v[4:5], v[86:87]
	v_add_f64 v[2:3], v[2:3], v[8:9]
	v_mul_f64 v[8:9], v[34:35], v[62:63]
	v_fmac_f64_e32 v[90:91], v[26:27], v[72:73]
	v_add_f64 v[4:5], v[4:5], v[88:89]
	s_waitcnt vmcnt(5)
	v_fma_f64 v[8:9], v[32:33], v[74:75], -v[8:9]
	v_add_f64 v[4:5], v[4:5], v[90:91]
	v_add_f64 v[2:3], v[2:3], v[8:9]
	v_mul_f64 v[8:9], v[38:39], v[58:59]
	v_fmac_f64_e32 v[94:95], v[34:35], v[74:75]
	v_add_f64 v[4:5], v[4:5], v[92:93]
	s_waitcnt vmcnt(4)
	v_fma_f64 v[8:9], v[36:37], v[60:61], -v[8:9]
	v_fmac_f64_e32 v[96:97], v[38:39], v[60:61]
	v_add_f64 v[4:5], v[4:5], v[94:95]
	v_add_f64 v[2:3], v[2:3], v[8:9]
	;; [unrolled: 1-line block ×3, first 2 shown]
	s_waitcnt vmcnt(2)
	v_add_f64 v[2:3], v[76:77], -v[2:3]
	s_waitcnt vmcnt(0)
	v_add_f64 v[4:5], v[78:79], -v[4:5]
	buffer_store_dword v3, off, s[0:3], 0 offset:404
	buffer_store_dword v2, off, s[0:3], 0 offset:400
	;; [unrolled: 1-line block ×4, first 2 shown]
	s_and_saveexec_b64 s[4:5], vcc
	s_cbranch_execz .LBB33_171
; %bb.170:
	v_accvgpr_read_b32 v5, a71
	buffer_load_dword v2, v5, s[0:3], 0 offen
	buffer_load_dword v3, v5, s[0:3], 0 offen offset:4
	buffer_load_dword v4, v5, s[0:3], 0 offen offset:8
	s_nop 0
	buffer_load_dword v5, v5, s[0:3], 0 offen offset:12
	s_nop 0
	buffer_store_dword v6, off, s[0:3], 0 offset:384
	buffer_store_dword v6, off, s[0:3], 0 offset:388
	;; [unrolled: 1-line block ×4, first 2 shown]
	s_waitcnt vmcnt(4)
	ds_write_b128 v1, v[2:5]
.LBB33_171:
	s_or_b64 exec, exec, s[4:5]
	s_waitcnt lgkmcnt(0)
	; wave barrier
	s_waitcnt lgkmcnt(0)
	buffer_load_dword v4, off, s[0:3], 0 offset:400
	buffer_load_dword v5, off, s[0:3], 0 offset:404
	;; [unrolled: 1-line block ×44, first 2 shown]
	ds_read_b128 v[8:11], v6 offset:928
	ds_read_b128 v[12:15], v6 offset:944
	;; [unrolled: 1-line block ×10, first 2 shown]
	v_cmp_lt_u32_e32 vcc, 22, v0
	s_waitcnt vmcnt(40) lgkmcnt(9)
	v_mul_f64 v[6:7], v[8:9], v[48:49]
	v_mul_f64 v[48:49], v[10:11], v[48:49]
	s_waitcnt vmcnt(38) lgkmcnt(8)
	v_mul_f64 v[88:89], v[12:13], v[50:51]
	v_mul_f64 v[50:51], v[14:15], v[50:51]
	v_fmac_f64_e32 v[6:7], v[10:11], v[4:5]
	v_fma_f64 v[4:5], v[8:9], v[4:5], -v[48:49]
	s_waitcnt vmcnt(36) lgkmcnt(7)
	v_mul_f64 v[90:91], v[16:17], v[2:3]
	v_add_f64 v[4:5], v[4:5], 0
	v_mul_f64 v[2:3], v[18:19], v[2:3]
	v_add_f64 v[6:7], v[6:7], 0
	s_waitcnt vmcnt(30) lgkmcnt(6)
	v_mul_f64 v[92:93], v[20:21], v[56:57]
	s_waitcnt lgkmcnt(5)
	v_mul_f64 v[94:95], v[24:25], v[52:53]
	v_fmac_f64_e32 v[94:95], v[26:27], v[54:55]
	s_waitcnt vmcnt(28) lgkmcnt(3)
	v_mul_f64 v[98:99], v[32:33], v[58:59]
	s_waitcnt vmcnt(26)
	v_fmac_f64_e32 v[98:99], v[34:35], v[60:61]
	s_waitcnt vmcnt(24)
	v_mul_f64 v[96:97], v[28:29], v[62:63]
	s_waitcnt vmcnt(22) lgkmcnt(1)
	v_mul_f64 v[102:103], v[40:41], v[64:65]
	s_waitcnt vmcnt(20)
	v_fmac_f64_e32 v[102:103], v[42:43], v[66:67]
	s_waitcnt vmcnt(18)
	v_mul_f64 v[100:101], v[36:37], v[68:69]
	s_waitcnt vmcnt(16) lgkmcnt(0)
	v_mul_f64 v[104:105], v[44:45], v[70:71]
	s_waitcnt vmcnt(14)
	v_fma_f64 v[8:9], v[12:13], v[72:73], -v[50:51]
	v_add_f64 v[4:5], v[4:5], v[8:9]
	s_waitcnt vmcnt(12)
	v_fma_f64 v[2:3], v[16:17], v[74:75], -v[2:3]
	v_add_f64 v[2:3], v[4:5], v[2:3]
	v_mul_f64 v[4:5], v[22:23], v[56:57]
	s_waitcnt vmcnt(10)
	v_fma_f64 v[4:5], v[20:21], v[76:77], -v[4:5]
	v_add_f64 v[2:3], v[2:3], v[4:5]
	v_mul_f64 v[4:5], v[26:27], v[52:53]
	v_fma_f64 v[4:5], v[24:25], v[54:55], -v[4:5]
	v_add_f64 v[2:3], v[2:3], v[4:5]
	v_mul_f64 v[4:5], v[30:31], v[62:63]
	s_waitcnt vmcnt(8)
	v_fma_f64 v[4:5], v[28:29], v[78:79], -v[4:5]
	v_fmac_f64_e32 v[88:89], v[14:15], v[72:73]
	v_add_f64 v[2:3], v[2:3], v[4:5]
	v_mul_f64 v[4:5], v[34:35], v[58:59]
	v_fmac_f64_e32 v[90:91], v[18:19], v[74:75]
	v_add_f64 v[6:7], v[6:7], v[88:89]
	v_fma_f64 v[4:5], v[32:33], v[60:61], -v[4:5]
	v_fmac_f64_e32 v[92:93], v[22:23], v[76:77]
	v_add_f64 v[6:7], v[6:7], v[90:91]
	v_add_f64 v[2:3], v[2:3], v[4:5]
	v_mul_f64 v[4:5], v[38:39], v[68:69]
	v_add_f64 v[6:7], v[6:7], v[92:93]
	s_waitcnt vmcnt(6)
	v_fma_f64 v[4:5], v[36:37], v[80:81], -v[4:5]
	v_fmac_f64_e32 v[96:97], v[30:31], v[78:79]
	v_add_f64 v[6:7], v[6:7], v[94:95]
	v_add_f64 v[2:3], v[2:3], v[4:5]
	v_mul_f64 v[4:5], v[42:43], v[64:65]
	v_add_f64 v[6:7], v[6:7], v[96:97]
	v_fma_f64 v[4:5], v[40:41], v[66:67], -v[4:5]
	v_fmac_f64_e32 v[100:101], v[38:39], v[80:81]
	v_add_f64 v[6:7], v[6:7], v[98:99]
	v_add_f64 v[2:3], v[2:3], v[4:5]
	v_mul_f64 v[4:5], v[46:47], v[70:71]
	v_add_f64 v[6:7], v[6:7], v[100:101]
	s_waitcnt vmcnt(4)
	v_fma_f64 v[4:5], v[44:45], v[82:83], -v[4:5]
	v_fmac_f64_e32 v[104:105], v[46:47], v[82:83]
	v_add_f64 v[6:7], v[6:7], v[102:103]
	v_add_f64 v[2:3], v[2:3], v[4:5]
	;; [unrolled: 1-line block ×3, first 2 shown]
	s_waitcnt vmcnt(2)
	v_add_f64 v[2:3], v[84:85], -v[2:3]
	s_waitcnt vmcnt(0)
	v_add_f64 v[4:5], v[86:87], -v[6:7]
	buffer_store_dword v3, off, s[0:3], 0 offset:388
	buffer_store_dword v2, off, s[0:3], 0 offset:384
	;; [unrolled: 1-line block ×4, first 2 shown]
	s_and_saveexec_b64 s[4:5], vcc
	s_cbranch_execz .LBB33_173
; %bb.172:
	v_accvgpr_read_b32 v5, a72
	buffer_load_dword v2, v5, s[0:3], 0 offen
	buffer_load_dword v3, v5, s[0:3], 0 offen offset:4
	buffer_load_dword v4, v5, s[0:3], 0 offen offset:8
	s_nop 0
	buffer_load_dword v5, v5, s[0:3], 0 offen offset:12
	v_mov_b32_e32 v6, 0
	buffer_store_dword v6, off, s[0:3], 0 offset:368
	buffer_store_dword v6, off, s[0:3], 0 offset:372
	;; [unrolled: 1-line block ×4, first 2 shown]
	s_waitcnt vmcnt(4)
	ds_write_b128 v1, v[2:5]
.LBB33_173:
	s_or_b64 exec, exec, s[4:5]
	s_waitcnt lgkmcnt(0)
	; wave barrier
	s_waitcnt lgkmcnt(0)
	buffer_load_dword v2, off, s[0:3], 0 offset:384
	buffer_load_dword v3, off, s[0:3], 0 offset:388
	;; [unrolled: 1-line block ×48, first 2 shown]
	v_mov_b32_e32 v12, 0
	ds_read_b128 v[14:17], v12 offset:912
	ds_read_b128 v[18:21], v12 offset:928
	;; [unrolled: 1-line block ×11, first 2 shown]
	v_cmp_lt_u32_e32 vcc, 21, v0
	s_waitcnt vmcnt(44) lgkmcnt(10)
	v_mul_f64 v[96:97], v[14:15], v[6:7]
	v_mul_f64 v[6:7], v[16:17], v[6:7]
	v_fmac_f64_e32 v[96:97], v[16:17], v[2:3]
	v_fma_f64 v[2:3], v[14:15], v[2:3], -v[6:7]
	s_waitcnt vmcnt(40) lgkmcnt(9)
	v_mul_f64 v[98:99], v[18:19], v[8:9]
	v_mul_f64 v[6:7], v[20:21], v[8:9]
	v_fmac_f64_e32 v[98:99], v[20:21], v[4:5]
	v_add_f64 v[2:3], v[2:3], 0
	v_fma_f64 v[4:5], v[18:19], v[4:5], -v[6:7]
	v_add_f64 v[2:3], v[2:3], v[4:5]
	s_waitcnt vmcnt(38) lgkmcnt(8)
	v_mul_f64 v[4:5], v[24:25], v[10:11]
	v_mul_f64 v[100:101], v[22:23], v[10:11]
	v_add_f64 v[96:97], v[96:97], 0
	s_waitcnt vmcnt(32) lgkmcnt(7)
	v_mul_f64 v[102:103], v[26:27], v[62:63]
	v_add_f64 v[96:97], v[96:97], v[98:99]
	s_waitcnt lgkmcnt(6)
	v_mul_f64 v[104:105], v[30:31], v[58:59]
	v_fmac_f64_e32 v[104:105], v[32:33], v[60:61]
	s_waitcnt vmcnt(30) lgkmcnt(4)
	v_mul_f64 v[108:109], v[38:39], v[64:65]
	s_waitcnt vmcnt(26)
	v_mul_f64 v[106:107], v[34:35], v[68:69]
	v_fmac_f64_e32 v[108:109], v[40:41], v[66:67]
	s_waitcnt vmcnt(24) lgkmcnt(2)
	v_mul_f64 v[112:113], v[46:47], v[70:71]
	s_waitcnt vmcnt(22)
	v_fmac_f64_e32 v[112:113], v[48:49], v[72:73]
	s_waitcnt vmcnt(20)
	v_mul_f64 v[110:111], v[42:43], v[74:75]
	s_waitcnt vmcnt(16) lgkmcnt(1)
	v_mul_f64 v[114:115], v[50:51], v[80:81]
	s_waitcnt vmcnt(14)
	v_fma_f64 v[4:5], v[22:23], v[82:83], -v[4:5]
	v_add_f64 v[2:3], v[2:3], v[4:5]
	v_mul_f64 v[4:5], v[28:29], v[62:63]
	s_waitcnt vmcnt(12)
	v_fma_f64 v[4:5], v[26:27], v[84:85], -v[4:5]
	v_add_f64 v[2:3], v[2:3], v[4:5]
	v_mul_f64 v[4:5], v[32:33], v[58:59]
	v_fma_f64 v[4:5], v[30:31], v[60:61], -v[4:5]
	v_add_f64 v[2:3], v[2:3], v[4:5]
	v_mul_f64 v[4:5], v[36:37], v[68:69]
	s_waitcnt vmcnt(10)
	v_fma_f64 v[4:5], v[34:35], v[86:87], -v[4:5]
	v_add_f64 v[2:3], v[2:3], v[4:5]
	v_mul_f64 v[4:5], v[40:41], v[64:65]
	v_fma_f64 v[4:5], v[38:39], v[66:67], -v[4:5]
	v_fmac_f64_e32 v[100:101], v[24:25], v[82:83]
	v_add_f64 v[2:3], v[2:3], v[4:5]
	v_mul_f64 v[4:5], v[44:45], v[74:75]
	v_fmac_f64_e32 v[102:103], v[28:29], v[84:85]
	v_add_f64 v[96:97], v[96:97], v[100:101]
	s_waitcnt vmcnt(8)
	v_fma_f64 v[4:5], v[42:43], v[88:89], -v[4:5]
	v_add_f64 v[96:97], v[96:97], v[102:103]
	v_add_f64 v[2:3], v[2:3], v[4:5]
	v_mul_f64 v[4:5], v[48:49], v[70:71]
	v_fmac_f64_e32 v[106:107], v[36:37], v[86:87]
	v_add_f64 v[96:97], v[96:97], v[104:105]
	v_fma_f64 v[4:5], v[46:47], v[72:73], -v[4:5]
	v_add_f64 v[96:97], v[96:97], v[106:107]
	v_add_f64 v[2:3], v[2:3], v[4:5]
	v_mul_f64 v[4:5], v[52:53], v[80:81]
	v_fmac_f64_e32 v[110:111], v[44:45], v[88:89]
	v_add_f64 v[96:97], v[96:97], v[108:109]
	s_waitcnt vmcnt(6)
	v_fma_f64 v[4:5], v[50:51], v[90:91], -v[4:5]
	v_add_f64 v[96:97], v[96:97], v[110:111]
	v_add_f64 v[2:3], v[2:3], v[4:5]
	s_waitcnt vmcnt(5) lgkmcnt(0)
	v_mul_f64 v[4:5], v[56:57], v[76:77]
	v_fmac_f64_e32 v[114:115], v[52:53], v[90:91]
	v_add_f64 v[96:97], v[96:97], v[112:113]
	v_mul_f64 v[98:99], v[54:55], v[76:77]
	s_waitcnt vmcnt(4)
	v_fma_f64 v[4:5], v[54:55], v[78:79], -v[4:5]
	v_add_f64 v[96:97], v[96:97], v[114:115]
	v_fmac_f64_e32 v[98:99], v[56:57], v[78:79]
	v_add_f64 v[2:3], v[2:3], v[4:5]
	v_add_f64 v[96:97], v[96:97], v[98:99]
	s_waitcnt vmcnt(2)
	v_add_f64 v[2:3], v[92:93], -v[2:3]
	s_waitcnt vmcnt(0)
	v_add_f64 v[4:5], v[94:95], -v[96:97]
	buffer_store_dword v3, off, s[0:3], 0 offset:372
	buffer_store_dword v2, off, s[0:3], 0 offset:368
	;; [unrolled: 1-line block ×4, first 2 shown]
	s_and_saveexec_b64 s[4:5], vcc
	s_cbranch_execz .LBB33_175
; %bb.174:
	v_accvgpr_read_b32 v5, a73
	buffer_load_dword v2, v5, s[0:3], 0 offen
	buffer_load_dword v3, v5, s[0:3], 0 offen offset:4
	buffer_load_dword v4, v5, s[0:3], 0 offen offset:8
	s_nop 0
	buffer_load_dword v5, v5, s[0:3], 0 offen offset:12
	s_nop 0
	buffer_store_dword v12, off, s[0:3], 0 offset:352
	buffer_store_dword v12, off, s[0:3], 0 offset:356
	;; [unrolled: 1-line block ×4, first 2 shown]
	s_waitcnt vmcnt(4)
	ds_write_b128 v1, v[2:5]
.LBB33_175:
	s_or_b64 exec, exec, s[4:5]
	s_waitcnt lgkmcnt(0)
	; wave barrier
	s_waitcnt lgkmcnt(0)
	buffer_load_dword v2, off, s[0:3], 0 offset:368
	buffer_load_dword v3, off, s[0:3], 0 offset:372
	;; [unrolled: 1-line block ×52, first 2 shown]
	ds_read_b128 v[14:17], v12 offset:896
	ds_read_b128 v[18:21], v12 offset:912
	;; [unrolled: 1-line block ×10, first 2 shown]
	v_cmp_lt_u32_e32 vcc, 20, v0
	s_waitcnt vmcnt(48) lgkmcnt(9)
	v_mul_f64 v[54:55], v[14:15], v[6:7]
	v_mul_f64 v[6:7], v[16:17], v[6:7]
	v_fmac_f64_e32 v[54:55], v[16:17], v[2:3]
	v_fma_f64 v[2:3], v[14:15], v[2:3], -v[6:7]
	s_waitcnt vmcnt(44) lgkmcnt(8)
	v_mul_f64 v[56:57], v[18:19], v[8:9]
	v_mul_f64 v[6:7], v[20:21], v[8:9]
	v_fmac_f64_e32 v[56:57], v[20:21], v[4:5]
	v_add_f64 v[2:3], v[2:3], 0
	v_fma_f64 v[4:5], v[18:19], v[4:5], -v[6:7]
	v_add_f64 v[2:3], v[2:3], v[4:5]
	s_waitcnt vmcnt(42) lgkmcnt(7)
	v_mul_f64 v[4:5], v[24:25], v[10:11]
	v_mul_f64 v[58:59], v[22:23], v[10:11]
	v_add_f64 v[54:55], v[54:55], 0
	s_waitcnt vmcnt(36) lgkmcnt(6)
	v_mul_f64 v[60:61], v[26:27], v[66:67]
	v_add_f64 v[54:55], v[54:55], v[56:57]
	s_waitcnt lgkmcnt(5)
	v_mul_f64 v[104:105], v[30:31], v[62:63]
	v_fmac_f64_e32 v[104:105], v[32:33], v[64:65]
	s_waitcnt vmcnt(34) lgkmcnt(3)
	v_mul_f64 v[108:109], v[38:39], v[68:69]
	s_waitcnt vmcnt(30)
	v_mul_f64 v[106:107], v[34:35], v[72:73]
	v_fmac_f64_e32 v[108:109], v[40:41], v[70:71]
	s_waitcnt vmcnt(26) lgkmcnt(2)
	v_mul_f64 v[110:111], v[42:43], v[78:79]
	s_waitcnt vmcnt(25) lgkmcnt(1)
	v_mul_f64 v[112:113], v[46:47], v[74:75]
	s_waitcnt vmcnt(23)
	v_fma_f64 v[4:5], v[22:23], v[80:81], -v[4:5]
	v_add_f64 v[2:3], v[2:3], v[4:5]
	v_mul_f64 v[4:5], v[28:29], v[66:67]
	s_waitcnt vmcnt(21)
	v_fma_f64 v[4:5], v[26:27], v[82:83], -v[4:5]
	v_fmac_f64_e32 v[58:59], v[24:25], v[80:81]
	v_add_f64 v[2:3], v[2:3], v[4:5]
	v_mul_f64 v[4:5], v[32:33], v[62:63]
	v_fmac_f64_e32 v[60:61], v[28:29], v[82:83]
	v_add_f64 v[54:55], v[54:55], v[58:59]
	v_fma_f64 v[4:5], v[30:31], v[64:65], -v[4:5]
	v_add_f64 v[54:55], v[54:55], v[60:61]
	v_add_f64 v[2:3], v[2:3], v[4:5]
	v_mul_f64 v[4:5], v[36:37], v[72:73]
	s_waitcnt vmcnt(19)
	v_fmac_f64_e32 v[106:107], v[36:37], v[84:85]
	v_add_f64 v[54:55], v[54:55], v[104:105]
	v_fma_f64 v[4:5], v[34:35], v[84:85], -v[4:5]
	v_add_f64 v[54:55], v[54:55], v[106:107]
	v_add_f64 v[2:3], v[2:3], v[4:5]
	v_mul_f64 v[4:5], v[40:41], v[68:69]
	s_waitcnt vmcnt(17)
	v_fmac_f64_e32 v[110:111], v[44:45], v[86:87]
	v_add_f64 v[54:55], v[54:55], v[108:109]
	v_fma_f64 v[4:5], v[38:39], v[70:71], -v[4:5]
	s_waitcnt vmcnt(16)
	v_fmac_f64_e32 v[112:113], v[48:49], v[76:77]
	v_add_f64 v[54:55], v[54:55], v[110:111]
	v_add_f64 v[2:3], v[2:3], v[4:5]
	v_mul_f64 v[4:5], v[44:45], v[78:79]
	v_add_f64 v[104:105], v[54:55], v[112:113]
	ds_read_b128 v[54:57], v12 offset:1056
	ds_read_b128 v[58:61], v12 offset:1072
	v_fma_f64 v[4:5], v[42:43], v[86:87], -v[4:5]
	v_add_f64 v[2:3], v[2:3], v[4:5]
	v_mul_f64 v[4:5], v[48:49], v[74:75]
	v_fma_f64 v[4:5], v[46:47], v[76:77], -v[4:5]
	v_add_f64 v[2:3], v[2:3], v[4:5]
	s_waitcnt vmcnt(12) lgkmcnt(2)
	v_mul_f64 v[4:5], v[52:53], v[92:93]
	v_mul_f64 v[106:107], v[50:51], v[92:93]
	s_waitcnt vmcnt(10)
	v_fma_f64 v[4:5], v[50:51], v[94:95], -v[4:5]
	v_fmac_f64_e32 v[106:107], v[52:53], v[94:95]
	v_add_f64 v[2:3], v[2:3], v[4:5]
	s_waitcnt vmcnt(8) lgkmcnt(1)
	v_mul_f64 v[4:5], v[56:57], v[88:89]
	v_add_f64 v[12:13], v[104:105], v[106:107]
	v_mul_f64 v[104:105], v[54:55], v[88:89]
	v_fma_f64 v[4:5], v[54:55], v[90:91], -v[4:5]
	v_fmac_f64_e32 v[104:105], v[56:57], v[90:91]
	v_add_f64 v[2:3], v[2:3], v[4:5]
	s_waitcnt vmcnt(6) lgkmcnt(0)
	v_mul_f64 v[4:5], v[60:61], v[96:97]
	v_add_f64 v[12:13], v[12:13], v[104:105]
	v_mul_f64 v[104:105], v[58:59], v[96:97]
	s_waitcnt vmcnt(4)
	v_fma_f64 v[4:5], v[58:59], v[98:99], -v[4:5]
	v_fmac_f64_e32 v[104:105], v[60:61], v[98:99]
	v_add_f64 v[2:3], v[2:3], v[4:5]
	v_add_f64 v[12:13], v[12:13], v[104:105]
	s_waitcnt vmcnt(2)
	v_add_f64 v[2:3], v[100:101], -v[2:3]
	s_waitcnt vmcnt(0)
	v_add_f64 v[4:5], v[102:103], -v[12:13]
	buffer_store_dword v3, off, s[0:3], 0 offset:356
	buffer_store_dword v2, off, s[0:3], 0 offset:352
	;; [unrolled: 1-line block ×4, first 2 shown]
	s_and_saveexec_b64 s[4:5], vcc
	s_cbranch_execz .LBB33_177
; %bb.176:
	v_accvgpr_read_b32 v5, a74
	buffer_load_dword v2, v5, s[0:3], 0 offen
	buffer_load_dword v3, v5, s[0:3], 0 offen offset:4
	buffer_load_dword v4, v5, s[0:3], 0 offen offset:8
	s_nop 0
	buffer_load_dword v5, v5, s[0:3], 0 offen offset:12
	v_mov_b32_e32 v6, 0
	buffer_store_dword v6, off, s[0:3], 0 offset:336
	buffer_store_dword v6, off, s[0:3], 0 offset:340
	buffer_store_dword v6, off, s[0:3], 0 offset:344
	buffer_store_dword v6, off, s[0:3], 0 offset:348
	s_waitcnt vmcnt(4)
	ds_write_b128 v1, v[2:5]
.LBB33_177:
	s_or_b64 exec, exec, s[4:5]
	s_waitcnt lgkmcnt(0)
	; wave barrier
	s_waitcnt lgkmcnt(0)
	buffer_load_dword v2, off, s[0:3], 0 offset:352
	buffer_load_dword v3, off, s[0:3], 0 offset:356
	buffer_load_dword v6, off, s[0:3], 0 offset:360
	buffer_load_dword v7, off, s[0:3], 0 offset:364
	buffer_load_dword v4, off, s[0:3], 0 offset:368
	buffer_load_dword v5, off, s[0:3], 0 offset:372
	buffer_load_dword v8, off, s[0:3], 0 offset:376
	buffer_load_dword v9, off, s[0:3], 0 offset:380
	buffer_load_dword v10, off, s[0:3], 0 offset:392
	buffer_load_dword v11, off, s[0:3], 0 offset:396
	buffer_load_dword v13, off, s[0:3], 0 offset:428
	buffer_load_dword v12, off, s[0:3], 0 offset:424
	buffer_load_dword v15, off, s[0:3], 0 offset:420
	buffer_load_dword v14, off, s[0:3], 0 offset:416
	buffer_load_dword v17, off, s[0:3], 0 offset:412
	buffer_load_dword v16, off, s[0:3], 0 offset:408
	buffer_load_dword v22, off, s[0:3], 0 offset:456
	buffer_load_dword v74, off, s[0:3], 0 offset:448
	buffer_load_dword v77, off, s[0:3], 0 offset:444
	buffer_load_dword v76, off, s[0:3], 0 offset:440
	buffer_load_dword v23, off, s[0:3], 0 offset:460
	buffer_load_dword v78, off, s[0:3], 0 offset:384
	buffer_load_dword v79, off, s[0:3], 0 offset:388
	buffer_load_dword v81, off, s[0:3], 0 offset:404
	buffer_load_dword v80, off, s[0:3], 0 offset:400
	buffer_load_dword v83, off, s[0:3], 0 offset:436
	buffer_load_dword v82, off, s[0:3], 0 offset:432
	buffer_load_dword v75, off, s[0:3], 0 offset:452
	buffer_load_dword v84, off, s[0:3], 0 offset:488
	buffer_load_dword v86, off, s[0:3], 0 offset:480
	buffer_load_dword v89, off, s[0:3], 0 offset:476
	buffer_load_dword v88, off, s[0:3], 0 offset:472
	buffer_load_dword v91, off, s[0:3], 0 offset:468
	buffer_load_dword v90, off, s[0:3], 0 offset:464
	buffer_load_dword v87, off, s[0:3], 0 offset:484
	buffer_load_dword v85, off, s[0:3], 0 offset:492
	buffer_load_dword v92, off, s[0:3], 0 offset:520
	buffer_load_dword v94, off, s[0:3], 0 offset:512
	buffer_load_dword v97, off, s[0:3], 0 offset:508
	buffer_load_dword v96, off, s[0:3], 0 offset:504
	buffer_load_dword v99, off, s[0:3], 0 offset:500
	buffer_load_dword v98, off, s[0:3], 0 offset:496
	buffer_load_dword v95, off, s[0:3], 0 offset:516
	buffer_load_dword v93, off, s[0:3], 0 offset:524
	buffer_load_dword v100, off, s[0:3], 0 offset:552
	buffer_load_dword v102, off, s[0:3], 0 offset:544
	buffer_load_dword v105, off, s[0:3], 0 offset:540
	buffer_load_dword v104, off, s[0:3], 0 offset:536
	buffer_load_dword v107, off, s[0:3], 0 offset:532
	buffer_load_dword v106, off, s[0:3], 0 offset:528
	buffer_load_dword v101, off, s[0:3], 0 offset:556
	buffer_load_dword v103, off, s[0:3], 0 offset:548
	buffer_load_dword v108, off, s[0:3], 0 offset:336
	buffer_load_dword v109, off, s[0:3], 0 offset:340
	buffer_load_dword v110, off, s[0:3], 0 offset:344
	buffer_load_dword v111, off, s[0:3], 0 offset:348
	v_mov_b32_e32 v24, 0
	ds_read_b128 v[18:21], v24 offset:880
	ds_read_b128 v[26:29], v24 offset:896
	;; [unrolled: 1-line block ×9, first 2 shown]
	v_cmp_lt_u32_e32 vcc, 19, v0
	s_waitcnt vmcnt(52) lgkmcnt(8)
	v_mul_f64 v[54:55], v[18:19], v[6:7]
	v_fmac_f64_e32 v[54:55], v[20:21], v[2:3]
	v_mul_f64 v[6:7], v[20:21], v[6:7]
	v_add_f64 v[54:55], v[54:55], 0
	s_waitcnt vmcnt(48) lgkmcnt(7)
	v_mul_f64 v[56:57], v[26:27], v[8:9]
	v_fmac_f64_e32 v[56:57], v[28:29], v[4:5]
	s_waitcnt vmcnt(46) lgkmcnt(6)
	v_mul_f64 v[58:59], v[30:31], v[10:11]
	v_fma_f64 v[2:3], v[18:19], v[2:3], -v[6:7]
	v_mul_f64 v[6:7], v[28:29], v[8:9]
	v_add_f64 v[54:55], v[54:55], v[56:57]
	v_add_f64 v[2:3], v[2:3], 0
	v_fma_f64 v[4:5], v[26:27], v[4:5], -v[6:7]
	s_waitcnt vmcnt(40) lgkmcnt(5)
	v_mul_f64 v[60:61], v[34:35], v[16:17]
	s_waitcnt lgkmcnt(4)
	v_mul_f64 v[62:63], v[38:39], v[12:13]
	v_add_f64 v[2:3], v[2:3], v[4:5]
	v_mul_f64 v[4:5], v[32:33], v[10:11]
	s_waitcnt vmcnt(36) lgkmcnt(3)
	v_mul_f64 v[64:65], v[42:43], v[76:77]
	v_fmac_f64_e32 v[62:63], v[40:41], v[14:15]
	s_waitcnt vmcnt(35) lgkmcnt(2)
	v_mul_f64 v[66:67], v[46:47], v[22:23]
	s_waitcnt vmcnt(33)
	v_fmac_f64_e32 v[58:59], v[32:33], v[78:79]
	v_add_f64 v[54:55], v[54:55], v[58:59]
	s_waitcnt vmcnt(31)
	v_fmac_f64_e32 v[60:61], v[36:37], v[80:81]
	v_add_f64 v[54:55], v[54:55], v[60:61]
	v_fma_f64 v[4:5], v[30:31], v[78:79], -v[4:5]
	s_waitcnt vmcnt(29)
	v_fmac_f64_e32 v[64:65], v[44:45], v[82:83]
	v_add_f64 v[54:55], v[54:55], v[62:63]
	v_add_f64 v[2:3], v[2:3], v[4:5]
	v_mul_f64 v[4:5], v[36:37], v[16:17]
	s_waitcnt vmcnt(28)
	v_fmac_f64_e32 v[66:67], v[48:49], v[74:75]
	v_add_f64 v[54:55], v[54:55], v[64:65]
	v_fma_f64 v[4:5], v[34:35], v[80:81], -v[4:5]
	v_add_f64 v[58:59], v[54:55], v[66:67]
	ds_read_b128 v[54:57], v24 offset:1008
	s_waitcnt vmcnt(24) lgkmcnt(2)
	v_mul_f64 v[60:61], v[50:51], v[88:89]
	v_add_f64 v[2:3], v[2:3], v[4:5]
	v_mul_f64 v[4:5], v[40:41], v[12:13]
	s_waitcnt vmcnt(22)
	v_fmac_f64_e32 v[60:61], v[52:53], v[90:91]
	v_fma_f64 v[4:5], v[38:39], v[14:15], -v[4:5]
	v_add_f64 v[62:63], v[58:59], v[60:61]
	ds_read_b128 v[58:61], v24 offset:1024
	v_add_f64 v[2:3], v[2:3], v[4:5]
	v_mul_f64 v[4:5], v[44:45], v[76:77]
	v_fma_f64 v[4:5], v[42:43], v[82:83], -v[4:5]
	v_add_f64 v[2:3], v[2:3], v[4:5]
	v_mul_f64 v[4:5], v[48:49], v[22:23]
	s_waitcnt vmcnt(20) lgkmcnt(1)
	v_mul_f64 v[64:65], v[54:55], v[84:85]
	v_fma_f64 v[4:5], v[46:47], v[74:75], -v[4:5]
	v_fmac_f64_e32 v[64:65], v[56:57], v[86:87]
	v_add_f64 v[2:3], v[2:3], v[4:5]
	v_mul_f64 v[4:5], v[52:53], v[88:89]
	v_add_f64 v[66:67], v[62:63], v[64:65]
	ds_read_b128 v[62:65], v24 offset:1040
	s_waitcnt vmcnt(16) lgkmcnt(1)
	v_mul_f64 v[68:69], v[58:59], v[96:97]
	v_fma_f64 v[4:5], v[50:51], v[90:91], -v[4:5]
	s_waitcnt vmcnt(14)
	v_fmac_f64_e32 v[68:69], v[60:61], v[98:99]
	v_add_f64 v[2:3], v[2:3], v[4:5]
	v_mul_f64 v[4:5], v[56:57], v[84:85]
	v_add_f64 v[112:113], v[66:67], v[68:69]
	ds_read_b128 v[66:69], v24 offset:1056
	v_fma_f64 v[4:5], v[54:55], v[86:87], -v[4:5]
	v_add_f64 v[2:3], v[2:3], v[4:5]
	v_mul_f64 v[4:5], v[60:61], v[96:97]
	v_fma_f64 v[4:5], v[58:59], v[98:99], -v[4:5]
	v_add_f64 v[2:3], v[2:3], v[4:5]
	s_waitcnt vmcnt(12) lgkmcnt(1)
	v_mul_f64 v[4:5], v[64:65], v[92:93]
	v_mul_f64 v[114:115], v[62:63], v[92:93]
	v_fma_f64 v[4:5], v[62:63], v[94:95], -v[4:5]
	v_fmac_f64_e32 v[114:115], v[64:65], v[94:95]
	v_add_f64 v[2:3], v[2:3], v[4:5]
	s_waitcnt vmcnt(8) lgkmcnt(0)
	v_mul_f64 v[4:5], v[68:69], v[104:105]
	v_add_f64 v[112:113], v[112:113], v[114:115]
	v_mul_f64 v[114:115], v[66:67], v[104:105]
	s_waitcnt vmcnt(6)
	v_fma_f64 v[4:5], v[66:67], v[106:107], -v[4:5]
	v_fmac_f64_e32 v[114:115], v[68:69], v[106:107]
	v_add_f64 v[2:3], v[2:3], v[4:5]
	s_waitcnt vmcnt(5)
	v_mul_f64 v[4:5], v[72:73], v[100:101]
	v_add_f64 v[112:113], v[112:113], v[114:115]
	v_mul_f64 v[114:115], v[70:71], v[100:101]
	s_waitcnt vmcnt(4)
	v_fma_f64 v[4:5], v[70:71], v[102:103], -v[4:5]
	v_fmac_f64_e32 v[114:115], v[72:73], v[102:103]
	v_add_f64 v[2:3], v[2:3], v[4:5]
	v_add_f64 v[112:113], v[112:113], v[114:115]
	s_waitcnt vmcnt(2)
	v_add_f64 v[2:3], v[108:109], -v[2:3]
	s_waitcnt vmcnt(0)
	v_add_f64 v[4:5], v[110:111], -v[112:113]
	buffer_store_dword v3, off, s[0:3], 0 offset:340
	buffer_store_dword v2, off, s[0:3], 0 offset:336
	;; [unrolled: 1-line block ×4, first 2 shown]
	s_and_saveexec_b64 s[4:5], vcc
	s_cbranch_execz .LBB33_179
; %bb.178:
	v_accvgpr_read_b32 v5, a75
	buffer_load_dword v2, v5, s[0:3], 0 offen
	buffer_load_dword v3, v5, s[0:3], 0 offen offset:4
	buffer_load_dword v4, v5, s[0:3], 0 offen offset:8
	s_nop 0
	buffer_load_dword v5, v5, s[0:3], 0 offen offset:12
	s_nop 0
	buffer_store_dword v24, off, s[0:3], 0 offset:320
	buffer_store_dword v24, off, s[0:3], 0 offset:324
	;; [unrolled: 1-line block ×4, first 2 shown]
	s_waitcnt vmcnt(4)
	ds_write_b128 v1, v[2:5]
.LBB33_179:
	s_or_b64 exec, exec, s[4:5]
	s_waitcnt lgkmcnt(0)
	; wave barrier
	s_waitcnt lgkmcnt(0)
	buffer_load_dword v2, off, s[0:3], 0 offset:336
	buffer_load_dword v3, off, s[0:3], 0 offset:340
	;; [unrolled: 1-line block ×60, first 2 shown]
	ds_read_b128 v[26:29], v24 offset:864
	ds_read_b128 v[30:33], v24 offset:880
	ds_read_b128 v[34:37], v24 offset:896
	ds_read_b128 v[38:41], v24 offset:912
	ds_read_b128 v[42:45], v24 offset:928
	ds_read_b128 v[46:49], v24 offset:944
	ds_read_b128 v[50:53], v24 offset:960
	ds_read_b128 v[54:57], v24 offset:976
	v_cmp_lt_u32_e32 vcc, 18, v0
	ds_read_b128 v[78:81], v24 offset:1072
	s_waitcnt vmcnt(56) lgkmcnt(8)
	v_mul_f64 v[58:59], v[26:27], v[6:7]
	v_fmac_f64_e32 v[58:59], v[28:29], v[2:3]
	v_add_f64 v[58:59], v[58:59], 0
	v_mul_f64 v[6:7], v[28:29], v[6:7]
	s_waitcnt vmcnt(52) lgkmcnt(7)
	v_mul_f64 v[60:61], v[30:31], v[8:9]
	v_fmac_f64_e32 v[60:61], v[32:33], v[4:5]
	s_waitcnt vmcnt(50) lgkmcnt(6)
	v_mul_f64 v[62:63], v[34:35], v[10:11]
	v_add_f64 v[58:59], v[58:59], v[60:61]
	s_waitcnt vmcnt(48) lgkmcnt(4)
	v_mul_f64 v[66:67], v[42:43], v[12:13]
	v_fma_f64 v[2:3], v[26:27], v[2:3], -v[6:7]
	s_waitcnt vmcnt(46)
	v_fmac_f64_e32 v[66:67], v[44:45], v[14:15]
	v_mul_f64 v[6:7], v[32:33], v[8:9]
	s_waitcnt vmcnt(44)
	v_mul_f64 v[64:65], v[38:39], v[16:17]
	v_add_f64 v[2:3], v[2:3], 0
	v_fma_f64 v[4:5], v[30:31], v[4:5], -v[6:7]
	v_add_f64 v[2:3], v[2:3], v[4:5]
	s_waitcnt vmcnt(40) lgkmcnt(3)
	v_mul_f64 v[68:69], v[46:47], v[22:23]
	v_mul_f64 v[4:5], v[36:37], v[10:11]
	s_waitcnt vmcnt(38)
	v_fmac_f64_e32 v[62:63], v[36:37], v[82:83]
	v_add_f64 v[58:59], v[58:59], v[62:63]
	s_waitcnt vmcnt(36)
	v_fmac_f64_e32 v[64:65], v[40:41], v[84:85]
	v_add_f64 v[58:59], v[58:59], v[64:65]
	;; [unrolled: 3-line block ×3, first 2 shown]
	s_waitcnt vmcnt(32) lgkmcnt(2)
	v_mul_f64 v[60:61], v[50:51], v[18:19]
	v_add_f64 v[58:59], v[58:59], v[68:69]
	v_fmac_f64_e32 v[60:61], v[52:53], v[20:21]
	v_add_f64 v[62:63], v[58:59], v[60:61]
	ds_read_b128 v[58:61], v24 offset:992
	v_fma_f64 v[4:5], v[34:35], v[82:83], -v[4:5]
	v_add_f64 v[2:3], v[2:3], v[4:5]
	v_mul_f64 v[4:5], v[40:41], v[16:17]
	v_fma_f64 v[4:5], v[38:39], v[84:85], -v[4:5]
	s_waitcnt vmcnt(28) lgkmcnt(2)
	v_mul_f64 v[64:65], v[54:55], v[92:93]
	v_add_f64 v[2:3], v[2:3], v[4:5]
	v_mul_f64 v[4:5], v[44:45], v[12:13]
	s_waitcnt vmcnt(26)
	v_fmac_f64_e32 v[64:65], v[56:57], v[94:95]
	v_fma_f64 v[4:5], v[42:43], v[14:15], -v[4:5]
	v_add_f64 v[66:67], v[62:63], v[64:65]
	ds_read_b128 v[62:65], v24 offset:1008
	s_waitcnt vmcnt(24) lgkmcnt(1)
	v_mul_f64 v[68:69], v[58:59], v[88:89]
	v_add_f64 v[2:3], v[2:3], v[4:5]
	v_mul_f64 v[4:5], v[48:49], v[22:23]
	v_fmac_f64_e32 v[68:69], v[60:61], v[90:91]
	v_fma_f64 v[4:5], v[46:47], v[86:87], -v[4:5]
	v_add_f64 v[70:71], v[66:67], v[68:69]
	ds_read_b128 v[66:69], v24 offset:1024
	v_add_f64 v[2:3], v[2:3], v[4:5]
	v_mul_f64 v[4:5], v[52:53], v[18:19]
	v_fma_f64 v[4:5], v[50:51], v[20:21], -v[4:5]
	v_add_f64 v[2:3], v[2:3], v[4:5]
	v_mul_f64 v[4:5], v[56:57], v[92:93]
	s_waitcnt vmcnt(20) lgkmcnt(1)
	v_mul_f64 v[72:73], v[62:63], v[100:101]
	v_fma_f64 v[4:5], v[54:55], v[94:95], -v[4:5]
	s_waitcnt vmcnt(18)
	v_fmac_f64_e32 v[72:73], v[64:65], v[102:103]
	v_add_f64 v[2:3], v[2:3], v[4:5]
	v_mul_f64 v[4:5], v[60:61], v[88:89]
	v_add_f64 v[74:75], v[70:71], v[72:73]
	ds_read_b128 v[70:73], v24 offset:1040
	s_waitcnt vmcnt(16) lgkmcnt(1)
	v_mul_f64 v[76:77], v[66:67], v[96:97]
	v_fma_f64 v[4:5], v[58:59], v[90:91], -v[4:5]
	v_fmac_f64_e32 v[76:77], v[68:69], v[98:99]
	v_add_f64 v[2:3], v[2:3], v[4:5]
	v_mul_f64 v[4:5], v[64:65], v[100:101]
	v_add_f64 v[122:123], v[74:75], v[76:77]
	ds_read_b128 v[74:77], v24 offset:1056
	v_fma_f64 v[4:5], v[62:63], v[102:103], -v[4:5]
	v_add_f64 v[2:3], v[2:3], v[4:5]
	v_mul_f64 v[4:5], v[68:69], v[96:97]
	v_fma_f64 v[4:5], v[66:67], v[98:99], -v[4:5]
	v_add_f64 v[2:3], v[2:3], v[4:5]
	s_waitcnt vmcnt(12) lgkmcnt(1)
	v_mul_f64 v[4:5], v[72:73], v[108:109]
	v_mul_f64 v[124:125], v[70:71], v[108:109]
	s_waitcnt vmcnt(10)
	v_fma_f64 v[4:5], v[70:71], v[110:111], -v[4:5]
	v_fmac_f64_e32 v[124:125], v[72:73], v[110:111]
	v_add_f64 v[2:3], v[2:3], v[4:5]
	s_waitcnt vmcnt(8) lgkmcnt(0)
	v_mul_f64 v[4:5], v[76:77], v[104:105]
	v_add_f64 v[24:25], v[122:123], v[124:125]
	v_mul_f64 v[122:123], v[74:75], v[104:105]
	v_fma_f64 v[4:5], v[74:75], v[106:107], -v[4:5]
	v_fmac_f64_e32 v[122:123], v[76:77], v[106:107]
	v_add_f64 v[2:3], v[2:3], v[4:5]
	s_waitcnt vmcnt(6)
	v_mul_f64 v[4:5], v[80:81], v[112:113]
	v_add_f64 v[24:25], v[24:25], v[122:123]
	v_mul_f64 v[122:123], v[78:79], v[112:113]
	s_waitcnt vmcnt(4)
	v_fma_f64 v[4:5], v[78:79], v[114:115], -v[4:5]
	v_fmac_f64_e32 v[122:123], v[80:81], v[114:115]
	v_add_f64 v[2:3], v[2:3], v[4:5]
	v_add_f64 v[24:25], v[24:25], v[122:123]
	s_waitcnt vmcnt(2)
	v_add_f64 v[2:3], v[116:117], -v[2:3]
	s_waitcnt vmcnt(0)
	v_add_f64 v[4:5], v[118:119], -v[24:25]
	buffer_store_dword v3, off, s[0:3], 0 offset:324
	buffer_store_dword v2, off, s[0:3], 0 offset:320
	;; [unrolled: 1-line block ×4, first 2 shown]
	s_and_saveexec_b64 s[4:5], vcc
	s_cbranch_execz .LBB33_181
; %bb.180:
	v_accvgpr_read_b32 v5, a76
	buffer_load_dword v2, v5, s[0:3], 0 offen
	buffer_load_dword v3, v5, s[0:3], 0 offen offset:4
	buffer_load_dword v4, v5, s[0:3], 0 offen offset:8
	s_nop 0
	buffer_load_dword v5, v5, s[0:3], 0 offen offset:12
	v_mov_b32_e32 v6, 0
	buffer_store_dword v6, off, s[0:3], 0 offset:304
	buffer_store_dword v6, off, s[0:3], 0 offset:308
	;; [unrolled: 1-line block ×4, first 2 shown]
	s_waitcnt vmcnt(4)
	ds_write_b128 v1, v[2:5]
.LBB33_181:
	s_or_b64 exec, exec, s[4:5]
	s_waitcnt lgkmcnt(0)
	; wave barrier
	s_waitcnt lgkmcnt(0)
	buffer_load_dword v2, off, s[0:3], 0 offset:320
	buffer_load_dword v3, off, s[0:3], 0 offset:324
	;; [unrolled: 1-line block ×64, first 2 shown]
	v_mov_b32_e32 v38, 0
	ds_read_b128 v[30:33], v38 offset:848
	ds_read_b128 v[34:37], v38 offset:864
	;; [unrolled: 1-line block ×7, first 2 shown]
	v_cmp_lt_u32_e32 vcc, 17, v0
	s_waitcnt vmcnt(60) lgkmcnt(6)
	v_mul_f64 v[56:57], v[30:31], v[6:7]
	v_fmac_f64_e32 v[56:57], v[32:33], v[2:3]
	v_add_f64 v[56:57], v[56:57], 0
	v_mul_f64 v[6:7], v[32:33], v[6:7]
	s_waitcnt vmcnt(56) lgkmcnt(5)
	v_mul_f64 v[58:59], v[34:35], v[8:9]
	v_fmac_f64_e32 v[58:59], v[36:37], v[4:5]
	s_waitcnt vmcnt(54) lgkmcnt(4)
	v_mul_f64 v[60:61], v[40:41], v[10:11]
	v_add_f64 v[56:57], v[56:57], v[58:59]
	v_fma_f64 v[2:3], v[30:31], v[2:3], -v[6:7]
	v_mul_f64 v[6:7], v[36:37], v[8:9]
	s_waitcnt vmcnt(50) lgkmcnt(3)
	v_mul_f64 v[62:63], v[44:45], v[16:17]
	s_waitcnt vmcnt(49) lgkmcnt(2)
	v_mul_f64 v[64:65], v[48:49], v[12:13]
	v_add_f64 v[2:3], v[2:3], 0
	s_waitcnt vmcnt(47)
	v_fmac_f64_e32 v[60:61], v[42:43], v[20:21]
	v_add_f64 v[56:57], v[56:57], v[60:61]
	s_waitcnt vmcnt(45)
	v_fmac_f64_e32 v[62:63], v[46:47], v[18:19]
	;; [unrolled: 3-line block ×3, first 2 shown]
	v_add_f64 v[60:61], v[56:57], v[64:65]
	ds_read_b128 v[56:59], v38 offset:944
	s_waitcnt vmcnt(40) lgkmcnt(2)
	v_mul_f64 v[62:63], v[52:53], v[26:27]
	v_fma_f64 v[4:5], v[34:35], v[4:5], -v[6:7]
	s_waitcnt vmcnt(38)
	v_fmac_f64_e32 v[62:63], v[54:55], v[28:29]
	v_add_f64 v[64:65], v[60:61], v[62:63]
	ds_read_b128 v[60:63], v38 offset:960
	s_waitcnt vmcnt(36) lgkmcnt(1)
	v_mul_f64 v[66:67], v[56:57], v[22:23]
	v_fmac_f64_e32 v[66:67], v[58:59], v[24:25]
	v_add_f64 v[2:3], v[2:3], v[4:5]
	v_mul_f64 v[4:5], v[42:43], v[10:11]
	v_add_f64 v[68:69], v[64:65], v[66:67]
	ds_read_b128 v[64:67], v38 offset:976
	s_waitcnt vmcnt(32) lgkmcnt(1)
	v_mul_f64 v[70:71], v[60:61], v[96:97]
	v_fma_f64 v[4:5], v[40:41], v[20:21], -v[4:5]
	s_waitcnt vmcnt(30)
	v_fmac_f64_e32 v[70:71], v[62:63], v[98:99]
	v_add_f64 v[2:3], v[2:3], v[4:5]
	v_mul_f64 v[4:5], v[46:47], v[16:17]
	v_add_f64 v[72:73], v[68:69], v[70:71]
	ds_read_b128 v[68:71], v38 offset:992
	v_fma_f64 v[4:5], v[44:45], v[18:19], -v[4:5]
	v_add_f64 v[2:3], v[2:3], v[4:5]
	v_mul_f64 v[4:5], v[50:51], v[12:13]
	v_fma_f64 v[4:5], v[48:49], v[14:15], -v[4:5]
	s_waitcnt vmcnt(28) lgkmcnt(1)
	v_mul_f64 v[74:75], v[64:65], v[92:93]
	v_add_f64 v[2:3], v[2:3], v[4:5]
	v_mul_f64 v[4:5], v[54:55], v[26:27]
	v_fmac_f64_e32 v[74:75], v[66:67], v[94:95]
	v_fma_f64 v[4:5], v[52:53], v[28:29], -v[4:5]
	v_add_f64 v[76:77], v[72:73], v[74:75]
	ds_read_b128 v[72:75], v38 offset:1008
	s_waitcnt vmcnt(24) lgkmcnt(1)
	v_mul_f64 v[78:79], v[68:69], v[104:105]
	v_add_f64 v[2:3], v[2:3], v[4:5]
	v_mul_f64 v[4:5], v[58:59], v[22:23]
	s_waitcnt vmcnt(22)
	v_fmac_f64_e32 v[78:79], v[70:71], v[106:107]
	v_fma_f64 v[4:5], v[56:57], v[24:25], -v[4:5]
	v_add_f64 v[80:81], v[76:77], v[78:79]
	ds_read_b128 v[76:79], v38 offset:1024
	v_add_f64 v[2:3], v[2:3], v[4:5]
	v_mul_f64 v[4:5], v[62:63], v[96:97]
	v_fma_f64 v[4:5], v[60:61], v[98:99], -v[4:5]
	v_add_f64 v[2:3], v[2:3], v[4:5]
	v_mul_f64 v[4:5], v[66:67], v[92:93]
	s_waitcnt vmcnt(20) lgkmcnt(1)
	v_mul_f64 v[82:83], v[72:73], v[100:101]
	v_fma_f64 v[4:5], v[64:65], v[94:95], -v[4:5]
	v_fmac_f64_e32 v[82:83], v[74:75], v[102:103]
	v_add_f64 v[2:3], v[2:3], v[4:5]
	v_mul_f64 v[4:5], v[70:71], v[104:105]
	v_add_f64 v[84:85], v[80:81], v[82:83]
	ds_read_b128 v[80:83], v38 offset:1040
	s_waitcnt vmcnt(16) lgkmcnt(1)
	v_mul_f64 v[86:87], v[76:77], v[112:113]
	v_fma_f64 v[4:5], v[68:69], v[106:107], -v[4:5]
	s_waitcnt vmcnt(14)
	v_fmac_f64_e32 v[86:87], v[78:79], v[114:115]
	v_add_f64 v[2:3], v[2:3], v[4:5]
	v_mul_f64 v[4:5], v[74:75], v[100:101]
	v_add_f64 v[130:131], v[84:85], v[86:87]
	ds_read_b128 v[84:87], v38 offset:1056
	v_fma_f64 v[4:5], v[72:73], v[102:103], -v[4:5]
	v_add_f64 v[2:3], v[2:3], v[4:5]
	v_mul_f64 v[4:5], v[78:79], v[112:113]
	v_fma_f64 v[4:5], v[76:77], v[114:115], -v[4:5]
	v_add_f64 v[2:3], v[2:3], v[4:5]
	s_waitcnt vmcnt(12) lgkmcnt(1)
	v_mul_f64 v[4:5], v[82:83], v[108:109]
	v_mul_f64 v[132:133], v[80:81], v[108:109]
	v_fma_f64 v[4:5], v[80:81], v[110:111], -v[4:5]
	v_fmac_f64_e32 v[132:133], v[82:83], v[110:111]
	v_add_f64 v[2:3], v[2:3], v[4:5]
	s_waitcnt vmcnt(8) lgkmcnt(0)
	v_mul_f64 v[4:5], v[86:87], v[122:123]
	v_add_f64 v[130:131], v[130:131], v[132:133]
	v_mul_f64 v[132:133], v[84:85], v[122:123]
	s_waitcnt vmcnt(6)
	v_fma_f64 v[4:5], v[84:85], v[124:125], -v[4:5]
	v_fmac_f64_e32 v[132:133], v[86:87], v[124:125]
	v_add_f64 v[2:3], v[2:3], v[4:5]
	s_waitcnt vmcnt(5)
	v_mul_f64 v[4:5], v[90:91], v[116:117]
	v_add_f64 v[130:131], v[130:131], v[132:133]
	v_mul_f64 v[132:133], v[88:89], v[116:117]
	s_waitcnt vmcnt(4)
	v_fma_f64 v[4:5], v[88:89], v[118:119], -v[4:5]
	v_fmac_f64_e32 v[132:133], v[90:91], v[118:119]
	v_add_f64 v[2:3], v[2:3], v[4:5]
	v_add_f64 v[130:131], v[130:131], v[132:133]
	s_waitcnt vmcnt(2)
	v_add_f64 v[2:3], v[126:127], -v[2:3]
	s_waitcnt vmcnt(0)
	v_add_f64 v[4:5], v[128:129], -v[130:131]
	buffer_store_dword v3, off, s[0:3], 0 offset:308
	buffer_store_dword v2, off, s[0:3], 0 offset:304
	;; [unrolled: 1-line block ×4, first 2 shown]
	s_and_saveexec_b64 s[4:5], vcc
	s_cbranch_execz .LBB33_183
; %bb.182:
	v_accvgpr_read_b32 v5, a77
	buffer_load_dword v2, v5, s[0:3], 0 offen
	buffer_load_dword v3, v5, s[0:3], 0 offen offset:4
	buffer_load_dword v4, v5, s[0:3], 0 offen offset:8
	s_nop 0
	buffer_load_dword v5, v5, s[0:3], 0 offen offset:12
	s_nop 0
	buffer_store_dword v38, off, s[0:3], 0 offset:288
	buffer_store_dword v38, off, s[0:3], 0 offset:292
	buffer_store_dword v38, off, s[0:3], 0 offset:296
	buffer_store_dword v38, off, s[0:3], 0 offset:300
	s_waitcnt vmcnt(4)
	ds_write_b128 v1, v[2:5]
.LBB33_183:
	s_or_b64 exec, exec, s[4:5]
	s_waitcnt lgkmcnt(0)
	; wave barrier
	s_waitcnt lgkmcnt(0)
	buffer_load_dword v2, off, s[0:3], 0 offset:304
	buffer_load_dword v3, off, s[0:3], 0 offset:308
	;; [unrolled: 1-line block ×64, first 2 shown]
	ds_read_b128 v[40:43], v38 offset:832
	ds_read_b128 v[44:47], v38 offset:848
	;; [unrolled: 1-line block ×4, first 2 shown]
	buffer_load_dword v134, off, s[0:3], 0 offset:288
	buffer_load_dword v135, off, s[0:3], 0 offset:292
	buffer_load_dword v136, off, s[0:3], 0 offset:296
	buffer_load_dword v137, off, s[0:3], 0 offset:300
	v_cmp_lt_u32_e32 vcc, 16, v0
	ds_read_b128 v[100:103], v38 offset:1072
	s_waitcnt vmcnt(62) lgkmcnt(4)
	v_mul_f64 v[56:57], v[40:41], v[4:5]
	v_fmac_f64_e32 v[56:57], v[42:43], v[2:3]
	s_waitcnt lgkmcnt(3)
	v_mul_f64 v[58:59], v[44:45], v[6:7]
	v_add_f64 v[56:57], v[56:57], 0
	s_waitcnt vmcnt(60) lgkmcnt(2)
	v_mul_f64 v[60:61], v[48:49], v[8:9]
	v_mul_f64 v[4:5], v[42:43], v[4:5]
	v_fma_f64 v[2:3], v[40:41], v[2:3], -v[4:5]
	v_mul_f64 v[4:5], v[46:47], v[6:7]
	s_waitcnt vmcnt(56) lgkmcnt(1)
	v_mul_f64 v[62:63], v[52:53], v[14:15]
	v_add_f64 v[2:3], v[2:3], 0
	s_waitcnt vmcnt(54)
	v_fmac_f64_e32 v[58:59], v[46:47], v[20:21]
	v_add_f64 v[64:65], v[56:57], v[58:59]
	ds_read_b128 v[56:59], v38 offset:896
	s_waitcnt vmcnt(52)
	v_fmac_f64_e32 v[60:61], v[50:51], v[18:19]
	v_add_f64 v[60:61], v[64:65], v[60:61]
	s_waitcnt vmcnt(50)
	v_fmac_f64_e32 v[62:63], v[54:55], v[16:17]
	v_add_f64 v[64:65], v[60:61], v[62:63]
	ds_read_b128 v[60:63], v38 offset:912
	s_waitcnt vmcnt(48) lgkmcnt(1)
	v_mul_f64 v[66:67], v[56:57], v[10:11]
	v_fmac_f64_e32 v[66:67], v[58:59], v[12:13]
	v_add_f64 v[68:69], v[64:65], v[66:67]
	ds_read_b128 v[64:67], v38 offset:928
	s_waitcnt vmcnt(44) lgkmcnt(1)
	v_mul_f64 v[70:71], v[60:61], v[26:27]
	s_waitcnt vmcnt(42)
	v_fmac_f64_e32 v[70:71], v[62:63], v[28:29]
	v_add_f64 v[72:73], v[68:69], v[70:71]
	ds_read_b128 v[68:71], v38 offset:944
	s_waitcnt vmcnt(40) lgkmcnt(1)
	v_mul_f64 v[74:75], v[64:65], v[22:23]
	v_fmac_f64_e32 v[74:75], v[66:67], v[24:25]
	v_add_f64 v[76:77], v[72:73], v[74:75]
	ds_read_b128 v[72:75], v38 offset:960
	v_fma_f64 v[4:5], v[44:45], v[20:21], -v[4:5]
	v_add_f64 v[2:3], v[2:3], v[4:5]
	v_mul_f64 v[4:5], v[50:51], v[8:9]
	s_waitcnt vmcnt(36) lgkmcnt(1)
	v_mul_f64 v[78:79], v[68:69], v[34:35]
	v_fma_f64 v[4:5], v[48:49], v[18:19], -v[4:5]
	s_waitcnt vmcnt(34)
	v_fmac_f64_e32 v[78:79], v[70:71], v[36:37]
	v_add_f64 v[2:3], v[2:3], v[4:5]
	v_mul_f64 v[4:5], v[54:55], v[14:15]
	v_add_f64 v[80:81], v[76:77], v[78:79]
	ds_read_b128 v[76:79], v38 offset:976
	s_waitcnt vmcnt(32) lgkmcnt(1)
	v_mul_f64 v[82:83], v[72:73], v[30:31]
	v_fma_f64 v[4:5], v[52:53], v[16:17], -v[4:5]
	v_fmac_f64_e32 v[82:83], v[74:75], v[32:33]
	v_add_f64 v[2:3], v[2:3], v[4:5]
	v_mul_f64 v[4:5], v[58:59], v[10:11]
	v_add_f64 v[84:85], v[80:81], v[82:83]
	ds_read_b128 v[80:83], v38 offset:992
	v_fma_f64 v[4:5], v[56:57], v[12:13], -v[4:5]
	v_add_f64 v[2:3], v[2:3], v[4:5]
	v_mul_f64 v[4:5], v[62:63], v[26:27]
	v_fma_f64 v[4:5], v[60:61], v[28:29], -v[4:5]
	s_waitcnt vmcnt(28) lgkmcnt(1)
	v_mul_f64 v[86:87], v[76:77], v[108:109]
	v_add_f64 v[2:3], v[2:3], v[4:5]
	v_mul_f64 v[4:5], v[66:67], v[22:23]
	s_waitcnt vmcnt(26)
	v_fmac_f64_e32 v[86:87], v[78:79], v[110:111]
	v_fma_f64 v[4:5], v[64:65], v[24:25], -v[4:5]
	v_add_f64 v[88:89], v[84:85], v[86:87]
	ds_read_b128 v[84:87], v38 offset:1008
	s_waitcnt vmcnt(24) lgkmcnt(1)
	v_mul_f64 v[90:91], v[80:81], v[104:105]
	v_add_f64 v[2:3], v[2:3], v[4:5]
	v_mul_f64 v[4:5], v[70:71], v[34:35]
	v_fmac_f64_e32 v[90:91], v[82:83], v[106:107]
	v_fma_f64 v[4:5], v[68:69], v[36:37], -v[4:5]
	v_add_f64 v[92:93], v[88:89], v[90:91]
	ds_read_b128 v[88:91], v38 offset:1024
	v_add_f64 v[2:3], v[2:3], v[4:5]
	v_mul_f64 v[4:5], v[74:75], v[30:31]
	v_fma_f64 v[4:5], v[72:73], v[32:33], -v[4:5]
	v_add_f64 v[2:3], v[2:3], v[4:5]
	v_mul_f64 v[4:5], v[78:79], v[108:109]
	s_waitcnt vmcnt(20) lgkmcnt(1)
	v_mul_f64 v[94:95], v[84:85], v[116:117]
	v_fma_f64 v[4:5], v[76:77], v[110:111], -v[4:5]
	s_waitcnt vmcnt(18)
	v_fmac_f64_e32 v[94:95], v[86:87], v[118:119]
	v_add_f64 v[2:3], v[2:3], v[4:5]
	v_mul_f64 v[4:5], v[82:83], v[104:105]
	v_add_f64 v[96:97], v[92:93], v[94:95]
	ds_read_b128 v[92:95], v38 offset:1040
	s_waitcnt vmcnt(16) lgkmcnt(1)
	v_mul_f64 v[98:99], v[88:89], v[112:113]
	v_fma_f64 v[4:5], v[80:81], v[106:107], -v[4:5]
	v_fmac_f64_e32 v[98:99], v[90:91], v[114:115]
	v_add_f64 v[2:3], v[2:3], v[4:5]
	v_mul_f64 v[4:5], v[86:87], v[116:117]
	v_add_f64 v[138:139], v[96:97], v[98:99]
	ds_read_b128 v[96:99], v38 offset:1056
	v_fma_f64 v[4:5], v[84:85], v[118:119], -v[4:5]
	v_add_f64 v[2:3], v[2:3], v[4:5]
	v_mul_f64 v[4:5], v[90:91], v[112:113]
	v_fma_f64 v[4:5], v[88:89], v[114:115], -v[4:5]
	v_add_f64 v[2:3], v[2:3], v[4:5]
	s_waitcnt vmcnt(12) lgkmcnt(1)
	v_mul_f64 v[4:5], v[94:95], v[126:127]
	v_mul_f64 v[140:141], v[92:93], v[126:127]
	s_waitcnt vmcnt(10)
	v_fma_f64 v[4:5], v[92:93], v[128:129], -v[4:5]
	v_fmac_f64_e32 v[140:141], v[94:95], v[128:129]
	v_add_f64 v[2:3], v[2:3], v[4:5]
	s_waitcnt vmcnt(8) lgkmcnt(0)
	v_mul_f64 v[4:5], v[98:99], v[122:123]
	v_add_f64 v[38:39], v[138:139], v[140:141]
	v_mul_f64 v[138:139], v[96:97], v[122:123]
	v_fma_f64 v[4:5], v[96:97], v[124:125], -v[4:5]
	v_fmac_f64_e32 v[138:139], v[98:99], v[124:125]
	v_add_f64 v[2:3], v[2:3], v[4:5]
	s_waitcnt vmcnt(6)
	v_mul_f64 v[4:5], v[102:103], v[130:131]
	v_add_f64 v[38:39], v[38:39], v[138:139]
	v_mul_f64 v[138:139], v[100:101], v[130:131]
	s_waitcnt vmcnt(4)
	v_fma_f64 v[4:5], v[100:101], v[132:133], -v[4:5]
	v_fmac_f64_e32 v[138:139], v[102:103], v[132:133]
	v_add_f64 v[2:3], v[2:3], v[4:5]
	v_add_f64 v[38:39], v[38:39], v[138:139]
	s_waitcnt vmcnt(2)
	v_add_f64 v[2:3], v[134:135], -v[2:3]
	s_waitcnt vmcnt(0)
	v_add_f64 v[4:5], v[136:137], -v[38:39]
	buffer_store_dword v3, off, s[0:3], 0 offset:292
	buffer_store_dword v2, off, s[0:3], 0 offset:288
	;; [unrolled: 1-line block ×4, first 2 shown]
	s_and_saveexec_b64 s[4:5], vcc
	s_cbranch_execz .LBB33_185
; %bb.184:
	v_accvgpr_read_b32 v5, a78
	buffer_load_dword v2, v5, s[0:3], 0 offen
	buffer_load_dword v3, v5, s[0:3], 0 offen offset:4
	buffer_load_dword v4, v5, s[0:3], 0 offen offset:8
	s_nop 0
	buffer_load_dword v5, v5, s[0:3], 0 offen offset:12
	v_mov_b32_e32 v6, 0
	buffer_store_dword v6, off, s[0:3], 0 offset:272
	buffer_store_dword v6, off, s[0:3], 0 offset:276
	;; [unrolled: 1-line block ×4, first 2 shown]
	s_waitcnt vmcnt(4)
	ds_write_b128 v1, v[2:5]
.LBB33_185:
	s_or_b64 exec, exec, s[4:5]
	s_waitcnt lgkmcnt(0)
	; wave barrier
	s_waitcnt lgkmcnt(0)
	buffer_load_dword v2, off, s[0:3], 0 offset:288
	buffer_load_dword v3, off, s[0:3], 0 offset:292
	buffer_load_dword v8, off, s[0:3], 0 offset:296
	buffer_load_dword v9, off, s[0:3], 0 offset:300
	buffer_load_dword v4, off, s[0:3], 0 offset:304
	buffer_load_dword v5, off, s[0:3], 0 offset:308
	buffer_load_dword v10, off, s[0:3], 0 offset:312
	buffer_load_dword v11, off, s[0:3], 0 offset:316
	buffer_load_dword v6, off, s[0:3], 0 offset:320
	buffer_load_dword v7, off, s[0:3], 0 offset:324
	buffer_load_dword v12, off, s[0:3], 0 offset:328
	buffer_load_dword v13, off, s[0:3], 0 offset:332
	buffer_load_dword v14, off, s[0:3], 0 offset:360
	buffer_load_dword v16, off, s[0:3], 0 offset:352
	buffer_load_dword v19, off, s[0:3], 0 offset:348
	buffer_load_dword v18, off, s[0:3], 0 offset:344
	buffer_load_dword v21, off, s[0:3], 0 offset:340
	buffer_load_dword v20, off, s[0:3], 0 offset:336
	buffer_load_dword v17, off, s[0:3], 0 offset:356
	buffer_load_dword v15, off, s[0:3], 0 offset:364
	buffer_load_dword v22, off, s[0:3], 0 offset:392
	buffer_load_dword v24, off, s[0:3], 0 offset:384
	buffer_load_dword v27, off, s[0:3], 0 offset:380
	buffer_load_dword v26, off, s[0:3], 0 offset:376
	buffer_load_dword v29, off, s[0:3], 0 offset:372
	buffer_load_dword v28, off, s[0:3], 0 offset:368
	buffer_load_dword v25, off, s[0:3], 0 offset:388
	buffer_load_dword v23, off, s[0:3], 0 offset:396
	buffer_load_dword v30, off, s[0:3], 0 offset:424
	buffer_load_dword v32, off, s[0:3], 0 offset:416
	buffer_load_dword v35, off, s[0:3], 0 offset:412
	buffer_load_dword v34, off, s[0:3], 0 offset:408
	buffer_load_dword v37, off, s[0:3], 0 offset:404
	buffer_load_dword v36, off, s[0:3], 0 offset:400
	buffer_load_dword v33, off, s[0:3], 0 offset:420
	buffer_load_dword v31, off, s[0:3], 0 offset:428
	buffer_load_dword v38, off, s[0:3], 0 offset:456
	buffer_load_dword v40, off, s[0:3], 0 offset:448
	buffer_load_dword v51, off, s[0:3], 0 offset:444
	buffer_load_dword v50, off, s[0:3], 0 offset:440
	buffer_load_dword v115, off, s[0:3], 0 offset:436
	buffer_load_dword v114, off, s[0:3], 0 offset:432
	buffer_load_dword v41, off, s[0:3], 0 offset:452
	buffer_load_dword v39, off, s[0:3], 0 offset:460
	buffer_load_dword v116, off, s[0:3], 0 offset:488
	buffer_load_dword v118, off, s[0:3], 0 offset:480
	buffer_load_dword v123, off, s[0:3], 0 offset:476
	buffer_load_dword v122, off, s[0:3], 0 offset:472
	buffer_load_dword v125, off, s[0:3], 0 offset:468
	buffer_load_dword v124, off, s[0:3], 0 offset:464
	buffer_load_dword v119, off, s[0:3], 0 offset:484
	buffer_load_dword v117, off, s[0:3], 0 offset:492
	buffer_load_dword v126, off, s[0:3], 0 offset:520
	buffer_load_dword v128, off, s[0:3], 0 offset:512
	buffer_load_dword v131, off, s[0:3], 0 offset:508
	buffer_load_dword v130, off, s[0:3], 0 offset:504
	buffer_load_dword v133, off, s[0:3], 0 offset:500
	buffer_load_dword v132, off, s[0:3], 0 offset:496
	buffer_load_dword v129, off, s[0:3], 0 offset:516
	buffer_load_dword v127, off, s[0:3], 0 offset:524
	buffer_load_dword v134, off, s[0:3], 0 offset:552
	buffer_load_dword v136, off, s[0:3], 0 offset:544
	buffer_load_dword v139, off, s[0:3], 0 offset:540
	buffer_load_dword v138, off, s[0:3], 0 offset:536
	buffer_load_dword v141, off, s[0:3], 0 offset:532
	buffer_load_dword v140, off, s[0:3], 0 offset:528
	buffer_load_dword v135, off, s[0:3], 0 offset:556
	buffer_load_dword v137, off, s[0:3], 0 offset:548
	v_mov_b32_e32 v52, 0
	ds_read_b128 v[42:45], v52 offset:816
	ds_read_b128 v[46:49], v52 offset:832
	buffer_load_dword v142, off, s[0:3], 0 offset:272
	buffer_load_dword v143, off, s[0:3], 0 offset:276
	;; [unrolled: 1-line block ×4, first 2 shown]
	ds_read_b128 v[54:57], v52 offset:848
	ds_read_b128 v[58:61], v52 offset:864
	;; [unrolled: 1-line block ×3, first 2 shown]
	v_cmp_lt_u32_e32 vcc, 15, v0
	s_waitcnt vmcnt(62) lgkmcnt(4)
	v_mul_f64 v[62:63], v[42:43], v[8:9]
	v_fmac_f64_e32 v[62:63], v[44:45], v[2:3]
	v_add_f64 v[62:63], v[62:63], 0
	v_mul_f64 v[8:9], v[44:45], v[8:9]
	s_waitcnt lgkmcnt(3)
	v_mul_f64 v[64:65], v[46:47], v[10:11]
	v_fmac_f64_e32 v[64:65], v[48:49], v[4:5]
	v_add_f64 v[62:63], v[62:63], v[64:65]
	v_fma_f64 v[2:3], v[42:43], v[2:3], -v[8:9]
	s_waitcnt vmcnt(60) lgkmcnt(2)
	v_mul_f64 v[64:65], v[54:55], v[12:13]
	v_fmac_f64_e32 v[64:65], v[56:57], v[6:7]
	v_add_f64 v[66:67], v[62:63], v[64:65]
	ds_read_b128 v[62:65], v52 offset:880
	s_waitcnt vmcnt(56) lgkmcnt(2)
	v_mul_f64 v[68:69], v[58:59], v[18:19]
	v_mul_f64 v[8:9], v[48:49], v[10:11]
	s_waitcnt vmcnt(54)
	v_fmac_f64_e32 v[68:69], v[60:61], v[20:21]
	v_add_f64 v[70:71], v[66:67], v[68:69]
	ds_read_b128 v[66:69], v52 offset:896
	s_waitcnt vmcnt(52) lgkmcnt(1)
	v_mul_f64 v[72:73], v[62:63], v[14:15]
	v_fmac_f64_e32 v[72:73], v[64:65], v[16:17]
	v_add_f64 v[74:75], v[70:71], v[72:73]
	ds_read_b128 v[70:73], v52 offset:912
	s_waitcnt vmcnt(48) lgkmcnt(1)
	v_mul_f64 v[76:77], v[66:67], v[26:27]
	s_waitcnt vmcnt(46)
	v_fmac_f64_e32 v[76:77], v[68:69], v[28:29]
	v_add_f64 v[78:79], v[74:75], v[76:77]
	ds_read_b128 v[74:77], v52 offset:928
	s_waitcnt vmcnt(44) lgkmcnt(1)
	v_mul_f64 v[80:81], v[70:71], v[22:23]
	v_fmac_f64_e32 v[80:81], v[72:73], v[24:25]
	v_add_f64 v[82:83], v[78:79], v[80:81]
	ds_read_b128 v[78:81], v52 offset:944
	s_waitcnt vmcnt(40) lgkmcnt(1)
	v_mul_f64 v[84:85], v[74:75], v[34:35]
	s_waitcnt vmcnt(38)
	v_fmac_f64_e32 v[84:85], v[76:77], v[36:37]
	v_add_f64 v[2:3], v[2:3], 0
	v_fma_f64 v[4:5], v[46:47], v[4:5], -v[8:9]
	v_add_f64 v[86:87], v[82:83], v[84:85]
	ds_read_b128 v[82:85], v52 offset:960
	v_add_f64 v[2:3], v[2:3], v[4:5]
	v_mul_f64 v[4:5], v[56:57], v[12:13]
	v_fma_f64 v[4:5], v[54:55], v[6:7], -v[4:5]
	v_add_f64 v[2:3], v[2:3], v[4:5]
	v_mul_f64 v[4:5], v[60:61], v[18:19]
	s_waitcnt vmcnt(36) lgkmcnt(1)
	v_mul_f64 v[88:89], v[78:79], v[30:31]
	v_fma_f64 v[4:5], v[58:59], v[20:21], -v[4:5]
	v_fmac_f64_e32 v[88:89], v[80:81], v[32:33]
	v_add_f64 v[2:3], v[2:3], v[4:5]
	v_mul_f64 v[4:5], v[64:65], v[14:15]
	v_add_f64 v[90:91], v[86:87], v[88:89]
	ds_read_b128 v[86:89], v52 offset:976
	s_waitcnt vmcnt(32) lgkmcnt(1)
	v_mul_f64 v[92:93], v[82:83], v[50:51]
	v_fma_f64 v[4:5], v[62:63], v[16:17], -v[4:5]
	s_waitcnt vmcnt(30)
	v_fmac_f64_e32 v[92:93], v[84:85], v[114:115]
	v_add_f64 v[2:3], v[2:3], v[4:5]
	v_mul_f64 v[4:5], v[68:69], v[26:27]
	v_add_f64 v[94:95], v[90:91], v[92:93]
	ds_read_b128 v[90:93], v52 offset:992
	v_fma_f64 v[4:5], v[66:67], v[28:29], -v[4:5]
	v_add_f64 v[2:3], v[2:3], v[4:5]
	v_mul_f64 v[4:5], v[72:73], v[22:23]
	v_fma_f64 v[4:5], v[70:71], v[24:25], -v[4:5]
	s_waitcnt vmcnt(28) lgkmcnt(1)
	v_mul_f64 v[96:97], v[86:87], v[38:39]
	v_add_f64 v[2:3], v[2:3], v[4:5]
	v_mul_f64 v[4:5], v[76:77], v[34:35]
	v_fmac_f64_e32 v[96:97], v[88:89], v[40:41]
	v_fma_f64 v[4:5], v[74:75], v[36:37], -v[4:5]
	v_add_f64 v[98:99], v[94:95], v[96:97]
	ds_read_b128 v[94:97], v52 offset:1008
	s_waitcnt vmcnt(24) lgkmcnt(1)
	v_mul_f64 v[100:101], v[90:91], v[122:123]
	v_add_f64 v[2:3], v[2:3], v[4:5]
	v_mul_f64 v[4:5], v[80:81], v[30:31]
	s_waitcnt vmcnt(22)
	v_fmac_f64_e32 v[100:101], v[92:93], v[124:125]
	v_fma_f64 v[4:5], v[78:79], v[32:33], -v[4:5]
	v_add_f64 v[102:103], v[98:99], v[100:101]
	ds_read_b128 v[98:101], v52 offset:1024
	v_add_f64 v[2:3], v[2:3], v[4:5]
	v_mul_f64 v[4:5], v[84:85], v[50:51]
	v_fma_f64 v[4:5], v[82:83], v[114:115], -v[4:5]
	v_add_f64 v[2:3], v[2:3], v[4:5]
	v_mul_f64 v[4:5], v[88:89], v[38:39]
	s_waitcnt vmcnt(20) lgkmcnt(1)
	v_mul_f64 v[104:105], v[94:95], v[116:117]
	v_fma_f64 v[4:5], v[86:87], v[40:41], -v[4:5]
	v_fmac_f64_e32 v[104:105], v[96:97], v[118:119]
	v_add_f64 v[2:3], v[2:3], v[4:5]
	v_mul_f64 v[4:5], v[92:93], v[122:123]
	v_add_f64 v[106:107], v[102:103], v[104:105]
	ds_read_b128 v[102:105], v52 offset:1040
	s_waitcnt vmcnt(16) lgkmcnt(1)
	v_mul_f64 v[108:109], v[98:99], v[130:131]
	v_fma_f64 v[4:5], v[90:91], v[124:125], -v[4:5]
	s_waitcnt vmcnt(14)
	v_fmac_f64_e32 v[108:109], v[100:101], v[132:133]
	v_add_f64 v[2:3], v[2:3], v[4:5]
	v_mul_f64 v[4:5], v[96:97], v[116:117]
	v_add_f64 v[146:147], v[106:107], v[108:109]
	ds_read_b128 v[106:109], v52 offset:1056
	v_fma_f64 v[4:5], v[94:95], v[118:119], -v[4:5]
	v_add_f64 v[2:3], v[2:3], v[4:5]
	v_mul_f64 v[4:5], v[100:101], v[130:131]
	v_fma_f64 v[4:5], v[98:99], v[132:133], -v[4:5]
	v_add_f64 v[2:3], v[2:3], v[4:5]
	s_waitcnt vmcnt(12) lgkmcnt(1)
	v_mul_f64 v[4:5], v[104:105], v[126:127]
	v_mul_f64 v[148:149], v[102:103], v[126:127]
	v_fma_f64 v[4:5], v[102:103], v[128:129], -v[4:5]
	v_fmac_f64_e32 v[148:149], v[104:105], v[128:129]
	v_add_f64 v[2:3], v[2:3], v[4:5]
	s_waitcnt vmcnt(8) lgkmcnt(0)
	v_mul_f64 v[4:5], v[108:109], v[138:139]
	v_add_f64 v[146:147], v[146:147], v[148:149]
	v_mul_f64 v[148:149], v[106:107], v[138:139]
	s_waitcnt vmcnt(6)
	v_fma_f64 v[4:5], v[106:107], v[140:141], -v[4:5]
	v_fmac_f64_e32 v[148:149], v[108:109], v[140:141]
	v_add_f64 v[2:3], v[2:3], v[4:5]
	s_waitcnt vmcnt(5)
	v_mul_f64 v[4:5], v[112:113], v[134:135]
	v_add_f64 v[146:147], v[146:147], v[148:149]
	v_mul_f64 v[148:149], v[110:111], v[134:135]
	s_waitcnt vmcnt(4)
	v_fma_f64 v[4:5], v[110:111], v[136:137], -v[4:5]
	v_fmac_f64_e32 v[148:149], v[112:113], v[136:137]
	v_add_f64 v[2:3], v[2:3], v[4:5]
	v_add_f64 v[146:147], v[146:147], v[148:149]
	s_waitcnt vmcnt(2)
	v_add_f64 v[2:3], v[142:143], -v[2:3]
	s_waitcnt vmcnt(0)
	v_add_f64 v[4:5], v[144:145], -v[146:147]
	buffer_store_dword v3, off, s[0:3], 0 offset:276
	buffer_store_dword v2, off, s[0:3], 0 offset:272
	;; [unrolled: 1-line block ×4, first 2 shown]
	s_and_saveexec_b64 s[4:5], vcc
	s_cbranch_execz .LBB33_187
; %bb.186:
	v_accvgpr_read_b32 v5, a79
	buffer_load_dword v2, v5, s[0:3], 0 offen
	buffer_load_dword v3, v5, s[0:3], 0 offen offset:4
	buffer_load_dword v4, v5, s[0:3], 0 offen offset:8
	s_nop 0
	buffer_load_dword v5, v5, s[0:3], 0 offen offset:12
	s_nop 0
	buffer_store_dword v52, off, s[0:3], 0 offset:256
	buffer_store_dword v52, off, s[0:3], 0 offset:260
	;; [unrolled: 1-line block ×4, first 2 shown]
	s_waitcnt vmcnt(4)
	ds_write_b128 v1, v[2:5]
.LBB33_187:
	s_or_b64 exec, exec, s[4:5]
	s_waitcnt lgkmcnt(0)
	; wave barrier
	s_waitcnt lgkmcnt(0)
	buffer_load_dword v2, off, s[0:3], 0 offset:272
	buffer_load_dword v3, off, s[0:3], 0 offset:276
	;; [unrolled: 1-line block ×72, first 2 shown]
	ds_read_b128 v[54:57], v52 offset:800
	buffer_load_dword v150, off, s[0:3], 0 offset:256
	buffer_load_dword v151, off, s[0:3], 0 offset:260
	;; [unrolled: 1-line block ×4, first 2 shown]
	ds_read_b128 v[58:61], v52 offset:816
	ds_read_b128 v[62:65], v52 offset:832
	;; [unrolled: 1-line block ×3, first 2 shown]
	v_cmp_lt_u32_e32 vcc, 14, v0
	ds_read_b128 v[126:129], v52 offset:1072
	s_waitcnt vmcnt(62) lgkmcnt(4)
	v_mul_f64 v[70:71], v[54:55], v[8:9]
	v_fmac_f64_e32 v[70:71], v[56:57], v[2:3]
	v_add_f64 v[70:71], v[70:71], 0
	v_mul_f64 v[8:9], v[56:57], v[8:9]
	s_waitcnt lgkmcnt(3)
	v_mul_f64 v[72:73], v[58:59], v[10:11]
	v_fmac_f64_e32 v[72:73], v[60:61], v[4:5]
	v_add_f64 v[70:71], v[70:71], v[72:73]
	v_fma_f64 v[2:3], v[54:55], v[2:3], -v[8:9]
	s_waitcnt lgkmcnt(2)
	v_mul_f64 v[72:73], v[62:63], v[12:13]
	v_fmac_f64_e32 v[72:73], v[64:65], v[6:7]
	v_add_f64 v[74:75], v[70:71], v[72:73]
	ds_read_b128 v[70:73], v52 offset:864
	s_waitcnt vmcnt(60) lgkmcnt(2)
	v_mul_f64 v[76:77], v[66:67], v[18:19]
	v_mul_f64 v[8:9], v[60:61], v[10:11]
	s_waitcnt vmcnt(58)
	v_fmac_f64_e32 v[76:77], v[68:69], v[20:21]
	v_add_f64 v[78:79], v[74:75], v[76:77]
	ds_read_b128 v[74:77], v52 offset:880
	s_waitcnt vmcnt(57) lgkmcnt(1)
	v_mul_f64 v[80:81], v[70:71], v[14:15]
	s_waitcnt vmcnt(56)
	v_fmac_f64_e32 v[80:81], v[72:73], v[16:17]
	v_add_f64 v[82:83], v[78:79], v[80:81]
	ds_read_b128 v[78:81], v52 offset:896
	s_waitcnt vmcnt(52) lgkmcnt(1)
	;; [unrolled: 6-line block ×4, first 2 shown]
	v_mul_f64 v[92:93], v[82:83], v[34:35]
	s_waitcnt vmcnt(42)
	v_fmac_f64_e32 v[92:93], v[84:85], v[36:37]
	v_add_f64 v[2:3], v[2:3], 0
	v_fma_f64 v[4:5], v[58:59], v[4:5], -v[8:9]
	v_add_f64 v[94:95], v[90:91], v[92:93]
	ds_read_b128 v[90:93], v52 offset:944
	s_waitcnt vmcnt(41) lgkmcnt(1)
	v_mul_f64 v[96:97], v[86:87], v[30:31]
	v_add_f64 v[2:3], v[2:3], v[4:5]
	v_mul_f64 v[4:5], v[64:65], v[12:13]
	s_waitcnt vmcnt(40)
	v_fmac_f64_e32 v[96:97], v[88:89], v[32:33]
	v_fma_f64 v[4:5], v[62:63], v[6:7], -v[4:5]
	v_add_f64 v[98:99], v[94:95], v[96:97]
	ds_read_b128 v[94:97], v52 offset:960
	v_add_f64 v[2:3], v[2:3], v[4:5]
	v_mul_f64 v[4:5], v[68:69], v[18:19]
	v_fma_f64 v[4:5], v[66:67], v[20:21], -v[4:5]
	v_add_f64 v[2:3], v[2:3], v[4:5]
	v_mul_f64 v[4:5], v[72:73], v[14:15]
	s_waitcnt vmcnt(36) lgkmcnt(1)
	v_mul_f64 v[100:101], v[90:91], v[42:43]
	v_fma_f64 v[4:5], v[70:71], v[16:17], -v[4:5]
	s_waitcnt vmcnt(34)
	v_fmac_f64_e32 v[100:101], v[92:93], v[44:45]
	v_add_f64 v[2:3], v[2:3], v[4:5]
	v_mul_f64 v[4:5], v[76:77], v[26:27]
	v_add_f64 v[102:103], v[98:99], v[100:101]
	ds_read_b128 v[98:101], v52 offset:976
	s_waitcnt vmcnt(33) lgkmcnt(1)
	v_mul_f64 v[104:105], v[94:95], v[38:39]
	v_fma_f64 v[4:5], v[74:75], v[28:29], -v[4:5]
	s_waitcnt vmcnt(32)
	v_fmac_f64_e32 v[104:105], v[96:97], v[40:41]
	v_add_f64 v[2:3], v[2:3], v[4:5]
	v_mul_f64 v[4:5], v[80:81], v[22:23]
	v_add_f64 v[106:107], v[102:103], v[104:105]
	ds_read_b128 v[102:105], v52 offset:992
	v_fma_f64 v[4:5], v[78:79], v[24:25], -v[4:5]
	v_add_f64 v[2:3], v[2:3], v[4:5]
	v_mul_f64 v[4:5], v[84:85], v[34:35]
	v_fma_f64 v[4:5], v[82:83], v[36:37], -v[4:5]
	s_waitcnt vmcnt(28) lgkmcnt(1)
	v_mul_f64 v[108:109], v[98:99], v[50:51]
	v_add_f64 v[2:3], v[2:3], v[4:5]
	v_mul_f64 v[4:5], v[88:89], v[30:31]
	s_waitcnt vmcnt(26)
	v_fmac_f64_e32 v[108:109], v[100:101], v[118:119]
	v_fma_f64 v[4:5], v[86:87], v[32:33], -v[4:5]
	v_add_f64 v[110:111], v[106:107], v[108:109]
	ds_read_b128 v[106:109], v52 offset:1008
	s_waitcnt vmcnt(25) lgkmcnt(1)
	v_mul_f64 v[112:113], v[102:103], v[46:47]
	v_add_f64 v[2:3], v[2:3], v[4:5]
	v_mul_f64 v[4:5], v[92:93], v[42:43]
	s_waitcnt vmcnt(24)
	v_fmac_f64_e32 v[112:113], v[104:105], v[48:49]
	v_fma_f64 v[4:5], v[90:91], v[44:45], -v[4:5]
	v_add_f64 v[114:115], v[110:111], v[112:113]
	ds_read_b128 v[110:113], v52 offset:1024
	v_add_f64 v[2:3], v[2:3], v[4:5]
	v_mul_f64 v[4:5], v[96:97], v[38:39]
	v_fma_f64 v[4:5], v[94:95], v[40:41], -v[4:5]
	v_add_f64 v[2:3], v[2:3], v[4:5]
	v_mul_f64 v[4:5], v[100:101], v[50:51]
	s_waitcnt vmcnt(20) lgkmcnt(1)
	v_mul_f64 v[116:117], v[106:107], v[134:135]
	v_fma_f64 v[4:5], v[98:99], v[118:119], -v[4:5]
	s_waitcnt vmcnt(18)
	v_fmac_f64_e32 v[116:117], v[108:109], v[136:137]
	v_add_f64 v[2:3], v[2:3], v[4:5]
	v_mul_f64 v[4:5], v[104:105], v[46:47]
	v_add_f64 v[122:123], v[114:115], v[116:117]
	ds_read_b128 v[114:117], v52 offset:1040
	s_waitcnt vmcnt(17) lgkmcnt(1)
	v_mul_f64 v[124:125], v[110:111], v[130:131]
	v_fma_f64 v[4:5], v[102:103], v[48:49], -v[4:5]
	s_waitcnt vmcnt(16)
	v_fmac_f64_e32 v[124:125], v[112:113], v[132:133]
	v_add_f64 v[2:3], v[2:3], v[4:5]
	v_mul_f64 v[4:5], v[108:109], v[134:135]
	v_add_f64 v[154:155], v[122:123], v[124:125]
	ds_read_b128 v[122:125], v52 offset:1056
	v_fma_f64 v[4:5], v[106:107], v[136:137], -v[4:5]
	v_add_f64 v[2:3], v[2:3], v[4:5]
	v_mul_f64 v[4:5], v[112:113], v[130:131]
	v_fma_f64 v[4:5], v[110:111], v[132:133], -v[4:5]
	v_add_f64 v[2:3], v[2:3], v[4:5]
	s_waitcnt vmcnt(12) lgkmcnt(1)
	v_mul_f64 v[4:5], v[116:117], v[142:143]
	v_mul_f64 v[156:157], v[114:115], v[142:143]
	s_waitcnt vmcnt(10)
	v_fma_f64 v[4:5], v[114:115], v[144:145], -v[4:5]
	v_fmac_f64_e32 v[156:157], v[116:117], v[144:145]
	v_add_f64 v[2:3], v[2:3], v[4:5]
	s_waitcnt vmcnt(9) lgkmcnt(0)
	v_mul_f64 v[4:5], v[124:125], v[138:139]
	v_add_f64 v[52:53], v[154:155], v[156:157]
	v_mul_f64 v[154:155], v[122:123], v[138:139]
	s_waitcnt vmcnt(8)
	v_fma_f64 v[4:5], v[122:123], v[140:141], -v[4:5]
	v_fmac_f64_e32 v[154:155], v[124:125], v[140:141]
	v_add_f64 v[2:3], v[2:3], v[4:5]
	s_waitcnt vmcnt(6)
	v_mul_f64 v[4:5], v[128:129], v[146:147]
	v_add_f64 v[52:53], v[52:53], v[154:155]
	v_mul_f64 v[154:155], v[126:127], v[146:147]
	s_waitcnt vmcnt(4)
	v_fma_f64 v[4:5], v[126:127], v[148:149], -v[4:5]
	v_fmac_f64_e32 v[154:155], v[128:129], v[148:149]
	v_add_f64 v[2:3], v[2:3], v[4:5]
	v_add_f64 v[52:53], v[52:53], v[154:155]
	s_waitcnt vmcnt(2)
	v_add_f64 v[2:3], v[150:151], -v[2:3]
	s_waitcnt vmcnt(0)
	v_add_f64 v[4:5], v[152:153], -v[52:53]
	buffer_store_dword v3, off, s[0:3], 0 offset:260
	buffer_store_dword v2, off, s[0:3], 0 offset:256
	;; [unrolled: 1-line block ×4, first 2 shown]
	s_and_saveexec_b64 s[4:5], vcc
	s_cbranch_execz .LBB33_189
; %bb.188:
	v_accvgpr_read_b32 v5, a80
	buffer_load_dword v2, v5, s[0:3], 0 offen
	buffer_load_dword v3, v5, s[0:3], 0 offen offset:4
	buffer_load_dword v4, v5, s[0:3], 0 offen offset:8
	s_nop 0
	buffer_load_dword v5, v5, s[0:3], 0 offen offset:12
	v_mov_b32_e32 v6, 0
	buffer_store_dword v6, off, s[0:3], 0 offset:240
	buffer_store_dword v6, off, s[0:3], 0 offset:244
	;; [unrolled: 1-line block ×4, first 2 shown]
	s_waitcnt vmcnt(4)
	ds_write_b128 v1, v[2:5]
.LBB33_189:
	s_or_b64 exec, exec, s[4:5]
	s_waitcnt lgkmcnt(0)
	; wave barrier
	s_waitcnt lgkmcnt(0)
	buffer_load_dword v2, off, s[0:3], 0 offset:256
	buffer_load_dword v3, off, s[0:3], 0 offset:260
	;; [unrolled: 1-line block ×76, first 2 shown]
	v_mov_b32_e32 v54, 0
	ds_read_b128 v[56:59], v54 offset:784
	buffer_load_dword v158, off, s[0:3], 0 offset:240
	buffer_load_dword v159, off, s[0:3], 0 offset:244
	buffer_load_dword v160, off, s[0:3], 0 offset:248
	buffer_load_dword v161, off, s[0:3], 0 offset:252
	ds_read_b128 v[60:63], v54 offset:800
	ds_read_b128 v[64:67], v54 offset:816
	;; [unrolled: 1-line block ×4, first 2 shown]
	v_cmp_lt_u32_e32 vcc, 13, v0
	s_waitcnt vmcnt(62) lgkmcnt(4)
	v_mul_f64 v[72:73], v[56:57], v[8:9]
	v_fmac_f64_e32 v[72:73], v[58:59], v[2:3]
	v_add_f64 v[72:73], v[72:73], 0
	v_mul_f64 v[8:9], v[58:59], v[8:9]
	s_waitcnt lgkmcnt(3)
	v_mul_f64 v[74:75], v[60:61], v[10:11]
	v_fmac_f64_e32 v[74:75], v[62:63], v[4:5]
	v_add_f64 v[72:73], v[72:73], v[74:75]
	v_fma_f64 v[2:3], v[56:57], v[2:3], -v[8:9]
	s_waitcnt lgkmcnt(2)
	v_mul_f64 v[74:75], v[64:65], v[12:13]
	v_fmac_f64_e32 v[74:75], v[66:67], v[6:7]
	v_add_f64 v[76:77], v[72:73], v[74:75]
	ds_read_b128 v[72:75], v54 offset:848
	s_waitcnt lgkmcnt(2)
	v_mul_f64 v[78:79], v[68:69], v[18:19]
	v_mul_f64 v[8:9], v[62:63], v[10:11]
	v_fmac_f64_e32 v[78:79], v[70:71], v[20:21]
	v_add_f64 v[80:81], v[76:77], v[78:79]
	ds_read_b128 v[76:79], v54 offset:864
	s_waitcnt vmcnt(61) lgkmcnt(1)
	v_mul_f64 v[82:83], v[72:73], v[14:15]
	s_waitcnt vmcnt(60)
	v_fmac_f64_e32 v[82:83], v[74:75], v[16:17]
	v_add_f64 v[84:85], v[80:81], v[82:83]
	ds_read_b128 v[80:83], v54 offset:880
	s_waitcnt vmcnt(56) lgkmcnt(1)
	v_mul_f64 v[86:87], v[76:77], v[26:27]
	s_waitcnt vmcnt(54)
	;; [unrolled: 6-line block ×4, first 2 shown]
	v_fmac_f64_e32 v[94:95], v[86:87], v[36:37]
	v_add_f64 v[96:97], v[92:93], v[94:95]
	ds_read_b128 v[92:95], v54 offset:928
	v_add_f64 v[2:3], v[2:3], 0
	v_fma_f64 v[4:5], v[60:61], v[4:5], -v[8:9]
	s_waitcnt vmcnt(45) lgkmcnt(1)
	v_mul_f64 v[98:99], v[88:89], v[30:31]
	v_add_f64 v[2:3], v[2:3], v[4:5]
	v_mul_f64 v[4:5], v[66:67], v[12:13]
	s_waitcnt vmcnt(44)
	v_fmac_f64_e32 v[98:99], v[90:91], v[32:33]
	v_fma_f64 v[4:5], v[64:65], v[6:7], -v[4:5]
	v_add_f64 v[100:101], v[96:97], v[98:99]
	ds_read_b128 v[96:99], v54 offset:944
	s_waitcnt vmcnt(40) lgkmcnt(1)
	v_mul_f64 v[102:103], v[92:93], v[42:43]
	v_add_f64 v[2:3], v[2:3], v[4:5]
	v_mul_f64 v[4:5], v[70:71], v[18:19]
	s_waitcnt vmcnt(38)
	v_fmac_f64_e32 v[102:103], v[94:95], v[44:45]
	v_fma_f64 v[4:5], v[68:69], v[20:21], -v[4:5]
	v_add_f64 v[104:105], v[100:101], v[102:103]
	ds_read_b128 v[100:103], v54 offset:960
	v_add_f64 v[2:3], v[2:3], v[4:5]
	v_mul_f64 v[4:5], v[74:75], v[14:15]
	v_fma_f64 v[4:5], v[72:73], v[16:17], -v[4:5]
	v_add_f64 v[2:3], v[2:3], v[4:5]
	v_mul_f64 v[4:5], v[78:79], v[26:27]
	s_waitcnt vmcnt(37) lgkmcnt(1)
	v_mul_f64 v[106:107], v[96:97], v[38:39]
	v_fma_f64 v[4:5], v[76:77], v[28:29], -v[4:5]
	s_waitcnt vmcnt(36)
	v_fmac_f64_e32 v[106:107], v[98:99], v[40:41]
	v_add_f64 v[2:3], v[2:3], v[4:5]
	v_mul_f64 v[4:5], v[82:83], v[22:23]
	v_add_f64 v[108:109], v[104:105], v[106:107]
	ds_read_b128 v[104:107], v54 offset:976
	s_waitcnt vmcnt(32) lgkmcnt(1)
	v_mul_f64 v[110:111], v[100:101], v[50:51]
	v_fma_f64 v[4:5], v[80:81], v[24:25], -v[4:5]
	s_waitcnt vmcnt(30)
	v_fmac_f64_e32 v[110:111], v[102:103], v[52:53]
	v_add_f64 v[2:3], v[2:3], v[4:5]
	v_mul_f64 v[4:5], v[86:87], v[34:35]
	v_add_f64 v[112:113], v[108:109], v[110:111]
	ds_read_b128 v[108:111], v54 offset:992
	v_fma_f64 v[4:5], v[84:85], v[36:37], -v[4:5]
	v_add_f64 v[2:3], v[2:3], v[4:5]
	v_mul_f64 v[4:5], v[90:91], v[30:31]
	v_fma_f64 v[4:5], v[88:89], v[32:33], -v[4:5]
	s_waitcnt vmcnt(29) lgkmcnt(1)
	v_mul_f64 v[114:115], v[104:105], v[46:47]
	v_add_f64 v[2:3], v[2:3], v[4:5]
	v_mul_f64 v[4:5], v[94:95], v[42:43]
	s_waitcnt vmcnt(28)
	v_fmac_f64_e32 v[114:115], v[106:107], v[48:49]
	v_fma_f64 v[4:5], v[92:93], v[44:45], -v[4:5]
	v_add_f64 v[116:117], v[112:113], v[114:115]
	ds_read_b128 v[112:115], v54 offset:1008
	s_waitcnt vmcnt(24) lgkmcnt(1)
	v_mul_f64 v[118:119], v[108:109], v[138:139]
	v_add_f64 v[2:3], v[2:3], v[4:5]
	v_mul_f64 v[4:5], v[98:99], v[38:39]
	s_waitcnt vmcnt(22)
	v_fmac_f64_e32 v[118:119], v[110:111], v[140:141]
	v_fma_f64 v[4:5], v[96:97], v[40:41], -v[4:5]
	v_add_f64 v[122:123], v[116:117], v[118:119]
	ds_read_b128 v[116:119], v54 offset:1024
	v_add_f64 v[2:3], v[2:3], v[4:5]
	v_mul_f64 v[4:5], v[102:103], v[50:51]
	v_fma_f64 v[4:5], v[100:101], v[52:53], -v[4:5]
	v_add_f64 v[2:3], v[2:3], v[4:5]
	v_mul_f64 v[4:5], v[106:107], v[46:47]
	s_waitcnt vmcnt(21) lgkmcnt(1)
	v_mul_f64 v[124:125], v[112:113], v[134:135]
	v_fma_f64 v[4:5], v[104:105], v[48:49], -v[4:5]
	s_waitcnt vmcnt(20)
	v_fmac_f64_e32 v[124:125], v[114:115], v[136:137]
	v_add_f64 v[2:3], v[2:3], v[4:5]
	v_mul_f64 v[4:5], v[110:111], v[138:139]
	v_add_f64 v[126:127], v[122:123], v[124:125]
	ds_read_b128 v[122:125], v54 offset:1040
	s_waitcnt vmcnt(16) lgkmcnt(1)
	v_mul_f64 v[128:129], v[116:117], v[146:147]
	v_fma_f64 v[4:5], v[108:109], v[140:141], -v[4:5]
	s_waitcnt vmcnt(14)
	v_fmac_f64_e32 v[128:129], v[118:119], v[148:149]
	v_add_f64 v[2:3], v[2:3], v[4:5]
	v_mul_f64 v[4:5], v[114:115], v[134:135]
	v_add_f64 v[162:163], v[126:127], v[128:129]
	ds_read_b128 v[126:129], v54 offset:1056
	v_fma_f64 v[4:5], v[112:113], v[136:137], -v[4:5]
	v_add_f64 v[2:3], v[2:3], v[4:5]
	v_mul_f64 v[4:5], v[118:119], v[146:147]
	v_fma_f64 v[4:5], v[116:117], v[148:149], -v[4:5]
	v_add_f64 v[2:3], v[2:3], v[4:5]
	s_waitcnt vmcnt(13) lgkmcnt(1)
	v_mul_f64 v[4:5], v[124:125], v[142:143]
	v_mul_f64 v[164:165], v[122:123], v[142:143]
	s_waitcnt vmcnt(12)
	v_fma_f64 v[4:5], v[122:123], v[144:145], -v[4:5]
	v_fmac_f64_e32 v[164:165], v[124:125], v[144:145]
	v_add_f64 v[2:3], v[2:3], v[4:5]
	s_waitcnt vmcnt(8) lgkmcnt(0)
	v_mul_f64 v[4:5], v[128:129], v[154:155]
	v_add_f64 v[162:163], v[162:163], v[164:165]
	v_mul_f64 v[164:165], v[126:127], v[154:155]
	s_waitcnt vmcnt(6)
	v_fma_f64 v[4:5], v[126:127], v[156:157], -v[4:5]
	v_fmac_f64_e32 v[164:165], v[128:129], v[156:157]
	v_add_f64 v[2:3], v[2:3], v[4:5]
	s_waitcnt vmcnt(5)
	v_mul_f64 v[4:5], v[132:133], v[150:151]
	v_add_f64 v[162:163], v[162:163], v[164:165]
	v_mul_f64 v[164:165], v[130:131], v[150:151]
	s_waitcnt vmcnt(4)
	v_fma_f64 v[4:5], v[130:131], v[152:153], -v[4:5]
	v_fmac_f64_e32 v[164:165], v[132:133], v[152:153]
	v_add_f64 v[2:3], v[2:3], v[4:5]
	v_add_f64 v[162:163], v[162:163], v[164:165]
	s_waitcnt vmcnt(2)
	v_add_f64 v[2:3], v[158:159], -v[2:3]
	s_waitcnt vmcnt(0)
	v_add_f64 v[4:5], v[160:161], -v[162:163]
	buffer_store_dword v3, off, s[0:3], 0 offset:244
	buffer_store_dword v2, off, s[0:3], 0 offset:240
	buffer_store_dword v5, off, s[0:3], 0 offset:252
	buffer_store_dword v4, off, s[0:3], 0 offset:248
	s_and_saveexec_b64 s[4:5], vcc
	s_cbranch_execz .LBB33_191
; %bb.190:
	v_accvgpr_read_b32 v5, a81
	buffer_load_dword v2, v5, s[0:3], 0 offen
	buffer_load_dword v3, v5, s[0:3], 0 offen offset:4
	buffer_load_dword v4, v5, s[0:3], 0 offen offset:8
	s_nop 0
	buffer_load_dword v5, v5, s[0:3], 0 offen offset:12
	s_nop 0
	buffer_store_dword v54, off, s[0:3], 0 offset:224
	buffer_store_dword v54, off, s[0:3], 0 offset:228
	;; [unrolled: 1-line block ×4, first 2 shown]
	s_waitcnt vmcnt(4)
	ds_write_b128 v1, v[2:5]
.LBB33_191:
	s_or_b64 exec, exec, s[4:5]
	s_waitcnt lgkmcnt(0)
	; wave barrier
	s_waitcnt lgkmcnt(0)
	buffer_load_dword v2, off, s[0:3], 0 offset:240
	buffer_load_dword v3, off, s[0:3], 0 offset:244
	;; [unrolled: 1-line block ×76, first 2 shown]
	ds_read_b128 v[56:59], v54 offset:768
	buffer_load_dword v163, off, s[0:3], 0 offset:556
	buffer_load_dword v162, off, s[0:3], 0 offset:552
	buffer_load_dword v165, off, s[0:3], 0 offset:548
	buffer_load_dword v164, off, s[0:3], 0 offset:544
	buffer_load_dword v166, off, s[0:3], 0 offset:224
	buffer_load_dword v167, off, s[0:3], 0 offset:228
	buffer_load_dword v168, off, s[0:3], 0 offset:232
	buffer_load_dword v169, off, s[0:3], 0 offset:236
	ds_read_b128 v[60:63], v54 offset:784
	ds_read_b128 v[64:67], v54 offset:800
	;; [unrolled: 1-line block ×3, first 2 shown]
	v_cmp_lt_u32_e32 vcc, 12, v0
	ds_read_b128 v[134:137], v54 offset:1072
	s_waitcnt vmcnt(62) lgkmcnt(4)
	v_mul_f64 v[72:73], v[56:57], v[8:9]
	v_fmac_f64_e32 v[72:73], v[58:59], v[2:3]
	v_add_f64 v[72:73], v[72:73], 0
	v_mul_f64 v[8:9], v[58:59], v[8:9]
	s_waitcnt lgkmcnt(3)
	v_mul_f64 v[74:75], v[60:61], v[10:11]
	v_fmac_f64_e32 v[74:75], v[62:63], v[4:5]
	v_add_f64 v[72:73], v[72:73], v[74:75]
	v_fma_f64 v[2:3], v[56:57], v[2:3], -v[8:9]
	s_waitcnt lgkmcnt(2)
	v_mul_f64 v[74:75], v[64:65], v[12:13]
	v_fmac_f64_e32 v[74:75], v[66:67], v[6:7]
	v_add_f64 v[76:77], v[72:73], v[74:75]
	ds_read_b128 v[72:75], v54 offset:832
	v_mul_f64 v[8:9], v[62:63], v[10:11]
	v_add_f64 v[2:3], v[2:3], 0
	s_waitcnt lgkmcnt(2)
	v_mul_f64 v[78:79], v[68:69], v[18:19]
	v_fma_f64 v[4:5], v[60:61], v[4:5], -v[8:9]
	v_fmac_f64_e32 v[78:79], v[70:71], v[20:21]
	v_add_f64 v[80:81], v[76:77], v[78:79]
	ds_read_b128 v[76:79], v54 offset:848
	s_waitcnt lgkmcnt(1)
	v_mul_f64 v[82:83], v[72:73], v[14:15]
	v_fmac_f64_e32 v[82:83], v[74:75], v[16:17]
	v_add_f64 v[84:85], v[80:81], v[82:83]
	ds_read_b128 v[80:83], v54 offset:864
	s_waitcnt vmcnt(58) lgkmcnt(1)
	v_mul_f64 v[86:87], v[76:77], v[26:27]
	s_waitcnt vmcnt(56)
	v_fmac_f64_e32 v[86:87], v[78:79], v[28:29]
	v_add_f64 v[88:89], v[84:85], v[86:87]
	ds_read_b128 v[84:87], v54 offset:880
	s_waitcnt lgkmcnt(1)
	v_mul_f64 v[90:91], v[80:81], v[22:23]
	v_fmac_f64_e32 v[90:91], v[82:83], v[24:25]
	v_add_f64 v[92:93], v[88:89], v[90:91]
	ds_read_b128 v[88:91], v54 offset:896
	s_waitcnt vmcnt(50) lgkmcnt(1)
	v_mul_f64 v[94:95], v[84:85], v[34:35]
	s_waitcnt vmcnt(48)
	v_fmac_f64_e32 v[94:95], v[86:87], v[36:37]
	v_add_f64 v[96:97], v[92:93], v[94:95]
	ds_read_b128 v[92:95], v54 offset:912
	s_waitcnt lgkmcnt(1)
	v_mul_f64 v[98:99], v[88:89], v[30:31]
	v_fmac_f64_e32 v[98:99], v[90:91], v[32:33]
	v_add_f64 v[100:101], v[96:97], v[98:99]
	ds_read_b128 v[96:99], v54 offset:928
	v_add_f64 v[2:3], v[2:3], v[4:5]
	v_mul_f64 v[4:5], v[66:67], v[12:13]
	v_fma_f64 v[4:5], v[64:65], v[6:7], -v[4:5]
	s_waitcnt vmcnt(42) lgkmcnt(1)
	v_mul_f64 v[102:103], v[92:93], v[42:43]
	v_add_f64 v[2:3], v[2:3], v[4:5]
	v_mul_f64 v[4:5], v[70:71], v[18:19]
	s_waitcnt vmcnt(40)
	v_fmac_f64_e32 v[102:103], v[94:95], v[44:45]
	v_fma_f64 v[4:5], v[68:69], v[20:21], -v[4:5]
	v_add_f64 v[104:105], v[100:101], v[102:103]
	ds_read_b128 v[100:103], v54 offset:944
	s_waitcnt lgkmcnt(1)
	v_mul_f64 v[106:107], v[96:97], v[38:39]
	v_add_f64 v[2:3], v[2:3], v[4:5]
	v_mul_f64 v[4:5], v[74:75], v[14:15]
	v_fmac_f64_e32 v[106:107], v[98:99], v[40:41]
	v_fma_f64 v[4:5], v[72:73], v[16:17], -v[4:5]
	v_add_f64 v[108:109], v[104:105], v[106:107]
	ds_read_b128 v[104:107], v54 offset:960
	v_add_f64 v[2:3], v[2:3], v[4:5]
	v_mul_f64 v[4:5], v[78:79], v[26:27]
	v_fma_f64 v[4:5], v[76:77], v[28:29], -v[4:5]
	v_add_f64 v[2:3], v[2:3], v[4:5]
	v_mul_f64 v[4:5], v[82:83], v[22:23]
	s_waitcnt vmcnt(34) lgkmcnt(1)
	v_mul_f64 v[110:111], v[100:101], v[50:51]
	v_fma_f64 v[4:5], v[80:81], v[24:25], -v[4:5]
	s_waitcnt vmcnt(32)
	v_fmac_f64_e32 v[110:111], v[102:103], v[52:53]
	v_add_f64 v[2:3], v[2:3], v[4:5]
	v_mul_f64 v[4:5], v[86:87], v[34:35]
	v_add_f64 v[112:113], v[108:109], v[110:111]
	ds_read_b128 v[108:111], v54 offset:976
	s_waitcnt lgkmcnt(1)
	v_mul_f64 v[114:115], v[104:105], v[46:47]
	v_fma_f64 v[4:5], v[84:85], v[36:37], -v[4:5]
	v_fmac_f64_e32 v[114:115], v[106:107], v[48:49]
	v_add_f64 v[2:3], v[2:3], v[4:5]
	v_mul_f64 v[4:5], v[90:91], v[30:31]
	v_add_f64 v[116:117], v[112:113], v[114:115]
	ds_read_b128 v[112:115], v54 offset:992
	v_fma_f64 v[4:5], v[88:89], v[32:33], -v[4:5]
	v_add_f64 v[2:3], v[2:3], v[4:5]
	v_mul_f64 v[4:5], v[94:95], v[42:43]
	v_fma_f64 v[4:5], v[92:93], v[44:45], -v[4:5]
	s_waitcnt vmcnt(26) lgkmcnt(1)
	v_mul_f64 v[118:119], v[108:109], v[142:143]
	v_add_f64 v[2:3], v[2:3], v[4:5]
	v_mul_f64 v[4:5], v[98:99], v[38:39]
	s_waitcnt vmcnt(24)
	v_fmac_f64_e32 v[118:119], v[110:111], v[144:145]
	v_fma_f64 v[4:5], v[96:97], v[40:41], -v[4:5]
	v_add_f64 v[122:123], v[116:117], v[118:119]
	ds_read_b128 v[116:119], v54 offset:1008
	s_waitcnt lgkmcnt(1)
	v_mul_f64 v[124:125], v[112:113], v[138:139]
	v_add_f64 v[2:3], v[2:3], v[4:5]
	v_mul_f64 v[4:5], v[102:103], v[50:51]
	v_fmac_f64_e32 v[124:125], v[114:115], v[140:141]
	v_fma_f64 v[4:5], v[100:101], v[52:53], -v[4:5]
	v_add_f64 v[126:127], v[122:123], v[124:125]
	ds_read_b128 v[122:125], v54 offset:1024
	v_add_f64 v[2:3], v[2:3], v[4:5]
	v_mul_f64 v[4:5], v[106:107], v[46:47]
	v_fma_f64 v[4:5], v[104:105], v[48:49], -v[4:5]
	v_add_f64 v[2:3], v[2:3], v[4:5]
	v_mul_f64 v[4:5], v[110:111], v[142:143]
	s_waitcnt vmcnt(18) lgkmcnt(1)
	v_mul_f64 v[128:129], v[116:117], v[150:151]
	v_fma_f64 v[4:5], v[108:109], v[144:145], -v[4:5]
	s_waitcnt vmcnt(16)
	v_fmac_f64_e32 v[128:129], v[118:119], v[152:153]
	v_add_f64 v[2:3], v[2:3], v[4:5]
	v_mul_f64 v[4:5], v[114:115], v[138:139]
	v_add_f64 v[130:131], v[126:127], v[128:129]
	ds_read_b128 v[126:129], v54 offset:1040
	s_waitcnt lgkmcnt(1)
	v_mul_f64 v[132:133], v[122:123], v[146:147]
	v_fma_f64 v[4:5], v[112:113], v[140:141], -v[4:5]
	v_fmac_f64_e32 v[132:133], v[124:125], v[148:149]
	v_add_f64 v[2:3], v[2:3], v[4:5]
	v_mul_f64 v[4:5], v[118:119], v[150:151]
	v_add_f64 v[170:171], v[130:131], v[132:133]
	ds_read_b128 v[130:133], v54 offset:1056
	v_fma_f64 v[4:5], v[116:117], v[152:153], -v[4:5]
	v_add_f64 v[2:3], v[2:3], v[4:5]
	v_mul_f64 v[4:5], v[124:125], v[146:147]
	v_fma_f64 v[4:5], v[122:123], v[148:149], -v[4:5]
	v_add_f64 v[2:3], v[2:3], v[4:5]
	s_waitcnt vmcnt(10) lgkmcnt(1)
	v_mul_f64 v[4:5], v[128:129], v[158:159]
	v_mul_f64 v[172:173], v[126:127], v[158:159]
	s_waitcnt vmcnt(8)
	v_fma_f64 v[4:5], v[126:127], v[160:161], -v[4:5]
	v_fmac_f64_e32 v[172:173], v[128:129], v[160:161]
	v_add_f64 v[2:3], v[2:3], v[4:5]
	s_waitcnt lgkmcnt(0)
	v_mul_f64 v[4:5], v[132:133], v[154:155]
	v_add_f64 v[54:55], v[170:171], v[172:173]
	v_mul_f64 v[170:171], v[130:131], v[154:155]
	v_fma_f64 v[4:5], v[130:131], v[156:157], -v[4:5]
	v_fmac_f64_e32 v[170:171], v[132:133], v[156:157]
	v_add_f64 v[2:3], v[2:3], v[4:5]
	s_waitcnt vmcnt(6)
	v_mul_f64 v[4:5], v[136:137], v[162:163]
	v_add_f64 v[54:55], v[54:55], v[170:171]
	v_mul_f64 v[170:171], v[134:135], v[162:163]
	s_waitcnt vmcnt(4)
	v_fma_f64 v[4:5], v[134:135], v[164:165], -v[4:5]
	v_fmac_f64_e32 v[170:171], v[136:137], v[164:165]
	v_add_f64 v[2:3], v[2:3], v[4:5]
	v_add_f64 v[54:55], v[54:55], v[170:171]
	s_waitcnt vmcnt(2)
	v_add_f64 v[2:3], v[166:167], -v[2:3]
	s_waitcnt vmcnt(0)
	v_add_f64 v[4:5], v[168:169], -v[54:55]
	buffer_store_dword v3, off, s[0:3], 0 offset:228
	buffer_store_dword v2, off, s[0:3], 0 offset:224
	;; [unrolled: 1-line block ×4, first 2 shown]
	s_and_saveexec_b64 s[4:5], vcc
	s_cbranch_execz .LBB33_193
; %bb.192:
	v_accvgpr_read_b32 v5, a82
	buffer_load_dword v2, v5, s[0:3], 0 offen
	buffer_load_dword v3, v5, s[0:3], 0 offen offset:4
	buffer_load_dword v4, v5, s[0:3], 0 offen offset:8
	s_nop 0
	buffer_load_dword v5, v5, s[0:3], 0 offen offset:12
	v_mov_b32_e32 v6, 0
	buffer_store_dword v6, off, s[0:3], 0 offset:208
	buffer_store_dword v6, off, s[0:3], 0 offset:212
	;; [unrolled: 1-line block ×4, first 2 shown]
	s_waitcnt vmcnt(4)
	ds_write_b128 v1, v[2:5]
.LBB33_193:
	s_or_b64 exec, exec, s[4:5]
	s_waitcnt lgkmcnt(0)
	; wave barrier
	s_waitcnt lgkmcnt(0)
	buffer_load_dword v4, off, s[0:3], 0 offset:208
	buffer_load_dword v5, off, s[0:3], 0 offset:212
	;; [unrolled: 1-line block ×84, first 2 shown]
	v_mov_b32_e32 v86, 0
	ds_read_b128 v[66:69], v86 offset:752
	buffer_load_dword v175, off, s[0:3], 0 offset:556
	buffer_load_dword v174, off, s[0:3], 0 offset:552
	;; [unrolled: 1-line block ×4, first 2 shown]
	ds_read_b128 v[70:73], v86 offset:768
	ds_read_b128 v[74:77], v86 offset:784
	;; [unrolled: 1-line block ×4, first 2 shown]
	v_cmp_lt_u32_e32 vcc, 11, v0
	s_waitcnt vmcnt(62) lgkmcnt(4)
	v_mul_f64 v[82:83], v[66:67], v[12:13]
	v_fmac_f64_e32 v[82:83], v[68:69], v[6:7]
	s_waitcnt lgkmcnt(3)
	v_mul_f64 v[84:85], v[70:71], v[14:15]
	v_add_f64 v[82:83], v[82:83], 0
	v_fmac_f64_e32 v[84:85], v[72:73], v[8:9]
	v_add_f64 v[82:83], v[82:83], v[84:85]
	s_waitcnt lgkmcnt(2)
	v_mul_f64 v[84:85], v[74:75], v[16:17]
	v_fmac_f64_e32 v[84:85], v[76:77], v[10:11]
	v_add_f64 v[88:89], v[82:83], v[84:85]
	ds_read_b128 v[82:85], v86 offset:816
	v_mul_f64 v[12:13], v[68:69], v[12:13]
	s_waitcnt lgkmcnt(2)
	v_mul_f64 v[90:91], v[78:79], v[22:23]
	v_fma_f64 v[6:7], v[66:67], v[6:7], -v[12:13]
	v_fmac_f64_e32 v[90:91], v[80:81], v[24:25]
	v_add_f64 v[92:93], v[88:89], v[90:91]
	ds_read_b128 v[88:91], v86 offset:832
	s_waitcnt lgkmcnt(1)
	v_mul_f64 v[94:95], v[82:83], v[18:19]
	v_fmac_f64_e32 v[94:95], v[84:85], v[20:21]
	v_add_f64 v[96:97], v[92:93], v[94:95]
	ds_read_b128 v[92:95], v86 offset:848
	s_waitcnt vmcnt(58) lgkmcnt(1)
	v_mul_f64 v[98:99], v[88:89], v[30:31]
	s_waitcnt vmcnt(56)
	v_fmac_f64_e32 v[98:99], v[90:91], v[32:33]
	v_add_f64 v[100:101], v[96:97], v[98:99]
	ds_read_b128 v[96:99], v86 offset:864
	s_waitcnt lgkmcnt(1)
	v_mul_f64 v[102:103], v[92:93], v[26:27]
	v_fmac_f64_e32 v[102:103], v[94:95], v[28:29]
	v_add_f64 v[104:105], v[100:101], v[102:103]
	ds_read_b128 v[100:103], v86 offset:880
	s_waitcnt vmcnt(50) lgkmcnt(1)
	v_mul_f64 v[106:107], v[96:97], v[38:39]
	s_waitcnt vmcnt(48)
	v_fmac_f64_e32 v[106:107], v[98:99], v[40:41]
	v_add_f64 v[108:109], v[104:105], v[106:107]
	ds_read_b128 v[104:107], v86 offset:896
	s_waitcnt lgkmcnt(1)
	v_mul_f64 v[110:111], v[100:101], v[34:35]
	v_fmac_f64_e32 v[110:111], v[102:103], v[36:37]
	v_mul_f64 v[12:13], v[72:73], v[14:15]
	v_add_f64 v[112:113], v[108:109], v[110:111]
	ds_read_b128 v[108:111], v86 offset:912
	s_waitcnt vmcnt(42) lgkmcnt(1)
	v_mul_f64 v[114:115], v[104:105], v[46:47]
	v_add_f64 v[6:7], v[6:7], 0
	v_fma_f64 v[8:9], v[70:71], v[8:9], -v[12:13]
	s_waitcnt vmcnt(40)
	v_fmac_f64_e32 v[114:115], v[106:107], v[48:49]
	v_add_f64 v[6:7], v[6:7], v[8:9]
	v_mul_f64 v[8:9], v[76:77], v[16:17]
	v_add_f64 v[116:117], v[112:113], v[114:115]
	ds_read_b128 v[112:115], v86 offset:928
	v_fma_f64 v[8:9], v[74:75], v[10:11], -v[8:9]
	v_add_f64 v[6:7], v[6:7], v[8:9]
	v_mul_f64 v[8:9], v[80:81], v[22:23]
	v_fma_f64 v[8:9], v[78:79], v[24:25], -v[8:9]
	s_waitcnt lgkmcnt(1)
	v_mul_f64 v[118:119], v[108:109], v[42:43]
	v_add_f64 v[6:7], v[6:7], v[8:9]
	v_mul_f64 v[8:9], v[84:85], v[18:19]
	v_fmac_f64_e32 v[118:119], v[110:111], v[44:45]
	v_fma_f64 v[8:9], v[82:83], v[20:21], -v[8:9]
	v_add_f64 v[122:123], v[116:117], v[118:119]
	ds_read_b128 v[116:119], v86 offset:944
	s_waitcnt vmcnt(34) lgkmcnt(1)
	v_mul_f64 v[124:125], v[112:113], v[54:55]
	v_add_f64 v[6:7], v[6:7], v[8:9]
	v_mul_f64 v[8:9], v[90:91], v[30:31]
	s_waitcnt vmcnt(32)
	v_fmac_f64_e32 v[124:125], v[114:115], v[56:57]
	v_fma_f64 v[8:9], v[88:89], v[32:33], -v[8:9]
	v_add_f64 v[126:127], v[122:123], v[124:125]
	ds_read_b128 v[122:125], v86 offset:960
	v_add_f64 v[6:7], v[6:7], v[8:9]
	v_mul_f64 v[8:9], v[94:95], v[26:27]
	v_fma_f64 v[8:9], v[92:93], v[28:29], -v[8:9]
	v_add_f64 v[6:7], v[6:7], v[8:9]
	v_mul_f64 v[8:9], v[98:99], v[38:39]
	s_waitcnt lgkmcnt(1)
	v_mul_f64 v[128:129], v[116:117], v[50:51]
	v_fma_f64 v[8:9], v[96:97], v[40:41], -v[8:9]
	v_fmac_f64_e32 v[128:129], v[118:119], v[52:53]
	v_add_f64 v[6:7], v[6:7], v[8:9]
	v_mul_f64 v[8:9], v[102:103], v[34:35]
	v_add_f64 v[130:131], v[126:127], v[128:129]
	ds_read_b128 v[126:129], v86 offset:976
	s_waitcnt vmcnt(26) lgkmcnt(1)
	v_mul_f64 v[132:133], v[122:123], v[62:63]
	v_fma_f64 v[8:9], v[100:101], v[36:37], -v[8:9]
	s_waitcnt vmcnt(24)
	v_fmac_f64_e32 v[132:133], v[124:125], v[64:65]
	v_add_f64 v[6:7], v[6:7], v[8:9]
	v_mul_f64 v[8:9], v[106:107], v[46:47]
	v_add_f64 v[134:135], v[130:131], v[132:133]
	ds_read_b128 v[130:133], v86 offset:992
	v_fma_f64 v[8:9], v[104:105], v[48:49], -v[8:9]
	v_add_f64 v[6:7], v[6:7], v[8:9]
	v_mul_f64 v[8:9], v[110:111], v[42:43]
	v_fma_f64 v[8:9], v[108:109], v[44:45], -v[8:9]
	s_waitcnt lgkmcnt(1)
	v_mul_f64 v[136:137], v[126:127], v[58:59]
	v_add_f64 v[6:7], v[6:7], v[8:9]
	v_mul_f64 v[8:9], v[114:115], v[54:55]
	v_fmac_f64_e32 v[136:137], v[128:129], v[60:61]
	v_fma_f64 v[8:9], v[112:113], v[56:57], -v[8:9]
	v_add_f64 v[138:139], v[134:135], v[136:137]
	ds_read_b128 v[134:137], v86 offset:1008
	s_waitcnt vmcnt(18) lgkmcnt(1)
	v_mul_f64 v[140:141], v[130:131], v[158:159]
	v_add_f64 v[6:7], v[6:7], v[8:9]
	v_mul_f64 v[8:9], v[118:119], v[50:51]
	s_waitcnt vmcnt(16)
	v_fmac_f64_e32 v[140:141], v[132:133], v[160:161]
	v_fma_f64 v[8:9], v[116:117], v[52:53], -v[8:9]
	v_add_f64 v[142:143], v[138:139], v[140:141]
	ds_read_b128 v[138:141], v86 offset:1024
	v_add_f64 v[6:7], v[6:7], v[8:9]
	v_mul_f64 v[8:9], v[124:125], v[62:63]
	v_fma_f64 v[8:9], v[122:123], v[64:65], -v[8:9]
	v_add_f64 v[6:7], v[6:7], v[8:9]
	v_mul_f64 v[8:9], v[128:129], v[58:59]
	s_waitcnt lgkmcnt(1)
	v_mul_f64 v[144:145], v[134:135], v[154:155]
	v_fma_f64 v[8:9], v[126:127], v[60:61], -v[8:9]
	v_fmac_f64_e32 v[144:145], v[136:137], v[156:157]
	v_add_f64 v[6:7], v[6:7], v[8:9]
	v_mul_f64 v[8:9], v[132:133], v[158:159]
	v_add_f64 v[146:147], v[142:143], v[144:145]
	ds_read_b128 v[142:145], v86 offset:1040
	s_waitcnt vmcnt(10) lgkmcnt(1)
	v_mul_f64 v[148:149], v[138:139], v[166:167]
	v_fma_f64 v[8:9], v[130:131], v[160:161], -v[8:9]
	s_waitcnt vmcnt(8)
	v_fmac_f64_e32 v[148:149], v[140:141], v[168:169]
	v_add_f64 v[6:7], v[6:7], v[8:9]
	v_mul_f64 v[8:9], v[136:137], v[154:155]
	v_add_f64 v[186:187], v[146:147], v[148:149]
	ds_read_b128 v[146:149], v86 offset:1056
	v_fma_f64 v[8:9], v[134:135], v[156:157], -v[8:9]
	v_add_f64 v[6:7], v[6:7], v[8:9]
	v_mul_f64 v[8:9], v[140:141], v[166:167]
	v_fma_f64 v[8:9], v[138:139], v[168:169], -v[8:9]
	v_add_f64 v[6:7], v[6:7], v[8:9]
	s_waitcnt lgkmcnt(1)
	v_mul_f64 v[8:9], v[144:145], v[162:163]
	v_mul_f64 v[188:189], v[142:143], v[162:163]
	v_fma_f64 v[8:9], v[142:143], v[164:165], -v[8:9]
	v_fmac_f64_e32 v[188:189], v[144:145], v[164:165]
	v_add_f64 v[6:7], v[6:7], v[8:9]
	s_waitcnt vmcnt(6) lgkmcnt(0)
	v_mul_f64 v[8:9], v[148:149], v[170:171]
	v_add_f64 v[186:187], v[186:187], v[188:189]
	v_mul_f64 v[188:189], v[146:147], v[170:171]
	s_waitcnt vmcnt(4)
	v_fma_f64 v[8:9], v[146:147], v[172:173], -v[8:9]
	v_fmac_f64_e32 v[188:189], v[148:149], v[172:173]
	v_add_f64 v[6:7], v[6:7], v[8:9]
	s_waitcnt vmcnt(2)
	v_mul_f64 v[8:9], v[152:153], v[174:175]
	v_add_f64 v[186:187], v[186:187], v[188:189]
	v_mul_f64 v[188:189], v[150:151], v[174:175]
	s_waitcnt vmcnt(0)
	v_fma_f64 v[8:9], v[150:151], v[176:177], -v[8:9]
	v_fmac_f64_e32 v[188:189], v[152:153], v[176:177]
	v_add_f64 v[6:7], v[6:7], v[8:9]
	v_add_f64 v[186:187], v[186:187], v[188:189]
	v_add_f64 v[4:5], v[4:5], -v[6:7]
	v_add_f64 v[2:3], v[2:3], -v[186:187]
	buffer_store_dword v5, off, s[0:3], 0 offset:212
	buffer_store_dword v4, off, s[0:3], 0 offset:208
	;; [unrolled: 1-line block ×4, first 2 shown]
	s_and_saveexec_b64 s[4:5], vcc
	s_cbranch_execz .LBB33_195
; %bb.194:
	v_accvgpr_read_b32 v5, a83
	buffer_load_dword v2, v5, s[0:3], 0 offen
	buffer_load_dword v3, v5, s[0:3], 0 offen offset:4
	buffer_load_dword v4, v5, s[0:3], 0 offen offset:8
	s_nop 0
	buffer_load_dword v5, v5, s[0:3], 0 offen offset:12
	s_nop 0
	buffer_store_dword v86, off, s[0:3], 0 offset:192
	buffer_store_dword v86, off, s[0:3], 0 offset:196
	;; [unrolled: 1-line block ×4, first 2 shown]
	s_waitcnt vmcnt(4)
	ds_write_b128 v1, v[2:5]
.LBB33_195:
	s_or_b64 exec, exec, s[4:5]
	s_waitcnt lgkmcnt(0)
	; wave barrier
	s_waitcnt lgkmcnt(0)
	ds_read_b128 v[14:17], v86 offset:736
	ds_read_b128 v[10:13], v86 offset:752
	;; [unrolled: 1-line block ×4, first 2 shown]
	buffer_load_dword v20, off, s[0:3], 0 offset:192
	buffer_load_dword v21, off, s[0:3], 0 offset:196
	;; [unrolled: 1-line block ×92, first 2 shown]
	s_waitcnt vmcnt(62) lgkmcnt(3)
	v_mul_f64 v[88:89], v[14:15], v[28:29]
	v_fmac_f64_e32 v[88:89], v[16:17], v[22:23]
	s_waitcnt lgkmcnt(2)
	v_mul_f64 v[90:91], v[10:11], v[30:31]
	v_add_f64 v[88:89], v[88:89], 0
	v_fmac_f64_e32 v[90:91], v[12:13], v[24:25]
	v_add_f64 v[88:89], v[88:89], v[90:91]
	s_waitcnt lgkmcnt(1)
	v_mul_f64 v[90:91], v[6:7], v[32:33]
	v_fmac_f64_e32 v[90:91], v[8:9], v[26:27]
	v_add_f64 v[92:93], v[88:89], v[90:91]
	ds_read_b128 v[88:91], v86 offset:800
	v_mul_f64 v[16:17], v[16:17], v[28:29]
	v_fma_f64 v[14:15], v[14:15], v[22:23], -v[16:17]
	s_waitcnt lgkmcnt(1)
	v_mul_f64 v[94:95], v[2:3], v[38:39]
	v_mul_f64 v[12:13], v[12:13], v[30:31]
	v_fmac_f64_e32 v[94:95], v[4:5], v[40:41]
	v_add_f64 v[96:97], v[92:93], v[94:95]
	ds_read_b128 v[92:95], v86 offset:816
	s_waitcnt lgkmcnt(1)
	v_mul_f64 v[98:99], v[88:89], v[34:35]
	v_fmac_f64_e32 v[98:99], v[90:91], v[36:37]
	v_add_f64 v[100:101], v[96:97], v[98:99]
	ds_read_b128 v[96:99], v86 offset:832
	s_waitcnt lgkmcnt(1)
	v_mul_f64 v[102:103], v[92:93], v[46:47]
	s_waitcnt vmcnt(60)
	v_fmac_f64_e32 v[102:103], v[94:95], v[48:49]
	v_add_f64 v[104:105], v[100:101], v[102:103]
	ds_read_b128 v[100:103], v86 offset:848
	s_waitcnt lgkmcnt(1)
	v_mul_f64 v[106:107], v[96:97], v[42:43]
	v_fmac_f64_e32 v[106:107], v[98:99], v[44:45]
	v_add_f64 v[108:109], v[104:105], v[106:107]
	ds_read_b128 v[104:107], v86 offset:864
	s_waitcnt vmcnt(54) lgkmcnt(1)
	v_mul_f64 v[110:111], v[100:101], v[54:55]
	s_waitcnt vmcnt(52)
	v_fmac_f64_e32 v[110:111], v[102:103], v[56:57]
	v_add_f64 v[112:113], v[108:109], v[110:111]
	ds_read_b128 v[108:111], v86 offset:880
	s_waitcnt lgkmcnt(1)
	v_mul_f64 v[114:115], v[104:105], v[50:51]
	v_fmac_f64_e32 v[114:115], v[106:107], v[52:53]
	v_add_f64 v[116:117], v[112:113], v[114:115]
	ds_read_b128 v[112:115], v86 offset:896
	s_waitcnt vmcnt(46) lgkmcnt(1)
	v_mul_f64 v[118:119], v[108:109], v[62:63]
	s_waitcnt vmcnt(44)
	v_fmac_f64_e32 v[118:119], v[110:111], v[64:65]
	v_add_f64 v[122:123], v[116:117], v[118:119]
	ds_read_b128 v[116:119], v86 offset:912
	s_waitcnt lgkmcnt(1)
	v_mul_f64 v[124:125], v[112:113], v[58:59]
	v_fmac_f64_e32 v[124:125], v[114:115], v[60:61]
	v_add_f64 v[14:15], v[14:15], 0
	v_fma_f64 v[10:11], v[10:11], v[24:25], -v[12:13]
	v_mul_f64 v[8:9], v[8:9], v[32:33]
	v_add_f64 v[126:127], v[122:123], v[124:125]
	ds_read_b128 v[122:125], v86 offset:928
	v_add_f64 v[10:11], v[14:15], v[10:11]
	v_fma_f64 v[6:7], v[6:7], v[26:27], -v[8:9]
	v_mul_f64 v[4:5], v[4:5], v[38:39]
	v_add_f64 v[6:7], v[10:11], v[6:7]
	v_fma_f64 v[2:3], v[2:3], v[40:41], -v[4:5]
	v_mul_f64 v[4:5], v[90:91], v[34:35]
	v_add_f64 v[2:3], v[6:7], v[2:3]
	v_fma_f64 v[4:5], v[88:89], v[36:37], -v[4:5]
	s_waitcnt vmcnt(38) lgkmcnt(1)
	v_mul_f64 v[128:129], v[116:117], v[70:71]
	v_add_f64 v[2:3], v[2:3], v[4:5]
	v_mul_f64 v[4:5], v[94:95], v[46:47]
	s_waitcnt vmcnt(36)
	v_fmac_f64_e32 v[128:129], v[118:119], v[72:73]
	v_fma_f64 v[4:5], v[92:93], v[48:49], -v[4:5]
	v_add_f64 v[130:131], v[126:127], v[128:129]
	ds_read_b128 v[126:129], v86 offset:944
	s_waitcnt lgkmcnt(1)
	v_mul_f64 v[132:133], v[122:123], v[66:67]
	v_add_f64 v[2:3], v[2:3], v[4:5]
	v_mul_f64 v[4:5], v[98:99], v[42:43]
	v_fmac_f64_e32 v[132:133], v[124:125], v[68:69]
	v_fma_f64 v[4:5], v[96:97], v[44:45], -v[4:5]
	v_add_f64 v[134:135], v[130:131], v[132:133]
	ds_read_b128 v[130:133], v86 offset:960
	v_add_f64 v[2:3], v[2:3], v[4:5]
	v_mul_f64 v[4:5], v[102:103], v[54:55]
	v_fma_f64 v[4:5], v[100:101], v[56:57], -v[4:5]
	v_add_f64 v[2:3], v[2:3], v[4:5]
	v_mul_f64 v[4:5], v[106:107], v[50:51]
	s_waitcnt vmcnt(30) lgkmcnt(1)
	v_mul_f64 v[136:137], v[126:127], v[78:79]
	v_fma_f64 v[4:5], v[104:105], v[52:53], -v[4:5]
	s_waitcnt vmcnt(28)
	v_fmac_f64_e32 v[136:137], v[128:129], v[80:81]
	v_add_f64 v[2:3], v[2:3], v[4:5]
	v_mul_f64 v[4:5], v[110:111], v[62:63]
	v_add_f64 v[138:139], v[134:135], v[136:137]
	ds_read_b128 v[134:137], v86 offset:976
	s_waitcnt lgkmcnt(1)
	v_mul_f64 v[140:141], v[130:131], v[74:75]
	v_fma_f64 v[4:5], v[108:109], v[64:65], -v[4:5]
	v_fmac_f64_e32 v[140:141], v[132:133], v[76:77]
	v_add_f64 v[2:3], v[2:3], v[4:5]
	v_mul_f64 v[4:5], v[114:115], v[58:59]
	v_add_f64 v[142:143], v[138:139], v[140:141]
	ds_read_b128 v[138:141], v86 offset:992
	v_fma_f64 v[4:5], v[112:113], v[60:61], -v[4:5]
	v_add_f64 v[2:3], v[2:3], v[4:5]
	v_mul_f64 v[4:5], v[118:119], v[70:71]
	v_fma_f64 v[4:5], v[116:117], v[72:73], -v[4:5]
	s_waitcnt vmcnt(22) lgkmcnt(1)
	v_mul_f64 v[144:145], v[134:135], v[162:163]
	v_add_f64 v[2:3], v[2:3], v[4:5]
	v_mul_f64 v[4:5], v[124:125], v[66:67]
	s_waitcnt vmcnt(20)
	v_fmac_f64_e32 v[144:145], v[136:137], v[164:165]
	v_fma_f64 v[4:5], v[122:123], v[68:69], -v[4:5]
	v_add_f64 v[146:147], v[142:143], v[144:145]
	ds_read_b128 v[142:145], v86 offset:1008
	s_waitcnt lgkmcnt(1)
	v_mul_f64 v[148:149], v[138:139], v[82:83]
	v_add_f64 v[2:3], v[2:3], v[4:5]
	v_mul_f64 v[4:5], v[128:129], v[78:79]
	v_fmac_f64_e32 v[148:149], v[140:141], v[84:85]
	v_fma_f64 v[4:5], v[126:127], v[80:81], -v[4:5]
	v_add_f64 v[150:151], v[146:147], v[148:149]
	ds_read_b128 v[146:149], v86 offset:1024
	v_add_f64 v[2:3], v[2:3], v[4:5]
	v_mul_f64 v[4:5], v[132:133], v[74:75]
	v_fma_f64 v[4:5], v[130:131], v[76:77], -v[4:5]
	v_add_f64 v[2:3], v[2:3], v[4:5]
	v_mul_f64 v[4:5], v[136:137], v[162:163]
	s_waitcnt vmcnt(14) lgkmcnt(1)
	v_mul_f64 v[152:153], v[142:143], v[170:171]
	v_fma_f64 v[4:5], v[134:135], v[164:165], -v[4:5]
	s_waitcnt vmcnt(12)
	v_fmac_f64_e32 v[152:153], v[144:145], v[172:173]
	v_add_f64 v[2:3], v[2:3], v[4:5]
	v_mul_f64 v[4:5], v[140:141], v[82:83]
	v_add_f64 v[154:155], v[150:151], v[152:153]
	ds_read_b128 v[150:153], v86 offset:1040
	s_waitcnt lgkmcnt(1)
	v_mul_f64 v[156:157], v[146:147], v[166:167]
	v_fma_f64 v[4:5], v[138:139], v[84:85], -v[4:5]
	v_fmac_f64_e32 v[156:157], v[148:149], v[168:169]
	v_add_f64 v[2:3], v[2:3], v[4:5]
	v_mul_f64 v[4:5], v[144:145], v[170:171]
	v_add_f64 v[194:195], v[154:155], v[156:157]
	ds_read_b128 v[154:157], v86 offset:1056
	ds_read_b128 v[158:161], v86 offset:1072
	v_fma_f64 v[4:5], v[142:143], v[172:173], -v[4:5]
	v_add_f64 v[2:3], v[2:3], v[4:5]
	v_mul_f64 v[4:5], v[148:149], v[166:167]
	v_fma_f64 v[4:5], v[146:147], v[168:169], -v[4:5]
	v_add_f64 v[2:3], v[2:3], v[4:5]
	s_waitcnt vmcnt(6) lgkmcnt(2)
	v_mul_f64 v[4:5], v[152:153], v[186:187]
	v_mul_f64 v[196:197], v[150:151], v[186:187]
	s_waitcnt vmcnt(4)
	v_fma_f64 v[4:5], v[150:151], v[188:189], -v[4:5]
	v_fmac_f64_e32 v[196:197], v[152:153], v[188:189]
	v_add_f64 v[2:3], v[2:3], v[4:5]
	s_waitcnt lgkmcnt(1)
	v_mul_f64 v[4:5], v[156:157], v[174:175]
	v_add_f64 v[86:87], v[194:195], v[196:197]
	v_mul_f64 v[194:195], v[154:155], v[174:175]
	v_fma_f64 v[4:5], v[154:155], v[176:177], -v[4:5]
	v_fmac_f64_e32 v[194:195], v[156:157], v[176:177]
	v_add_f64 v[2:3], v[2:3], v[4:5]
	s_waitcnt vmcnt(2) lgkmcnt(0)
	v_mul_f64 v[4:5], v[160:161], v[190:191]
	v_add_f64 v[86:87], v[86:87], v[194:195]
	v_mul_f64 v[194:195], v[158:159], v[190:191]
	s_waitcnt vmcnt(0)
	v_fma_f64 v[4:5], v[158:159], v[192:193], -v[4:5]
	v_fmac_f64_e32 v[194:195], v[160:161], v[192:193]
	v_add_f64 v[2:3], v[2:3], v[4:5]
	v_add_f64 v[86:87], v[86:87], v[194:195]
	v_add_f64 v[2:3], v[20:21], -v[2:3]
	v_cmp_lt_u32_e32 vcc, 10, v0
	v_add_f64 v[4:5], v[18:19], -v[86:87]
	buffer_store_dword v3, off, s[0:3], 0 offset:196
	buffer_store_dword v2, off, s[0:3], 0 offset:192
	;; [unrolled: 1-line block ×4, first 2 shown]
	s_and_saveexec_b64 s[4:5], vcc
	s_cbranch_execz .LBB33_197
; %bb.196:
	v_accvgpr_read_b32 v5, a84
	buffer_load_dword v2, v5, s[0:3], 0 offen
	buffer_load_dword v3, v5, s[0:3], 0 offen offset:4
	buffer_load_dword v4, v5, s[0:3], 0 offen offset:8
	s_nop 0
	buffer_load_dword v5, v5, s[0:3], 0 offen offset:12
	v_mov_b32_e32 v6, 0
	buffer_store_dword v6, off, s[0:3], 0 offset:176
	buffer_store_dword v6, off, s[0:3], 0 offset:180
	;; [unrolled: 1-line block ×4, first 2 shown]
	s_waitcnt vmcnt(4)
	ds_write_b128 v1, v[2:5]
.LBB33_197:
	s_or_b64 exec, exec, s[4:5]
	s_waitcnt lgkmcnt(0)
	; wave barrier
	s_waitcnt lgkmcnt(0)
	buffer_load_dword v9, off, s[0:3], 0 offset:204
	buffer_load_dword v6, off, s[0:3], 0 offset:216
	;; [unrolled: 1-line block ×64, first 2 shown]
	v_mov_b32_e32 v98, 0
	ds_read_b128 v[74:77], v98 offset:720
	ds_read_b128 v[78:81], v98 offset:736
	buffer_load_dword v67, off, s[0:3], 0 offset:460
	buffer_load_dword v66, off, s[0:3], 0 offset:456
	;; [unrolled: 1-line block ×8, first 2 shown]
	ds_read_b128 v[82:85], v98 offset:752
	ds_read_b128 v[86:89], v98 offset:768
	buffer_load_dword v171, off, s[0:3], 0 offset:492
	buffer_load_dword v170, off, s[0:3], 0 offset:488
	;; [unrolled: 1-line block ×24, first 2 shown]
	ds_read_b128 v[166:169], v98 offset:1072
	v_cmp_lt_u32_e32 vcc, 9, v0
	s_waitcnt vmcnt(62) lgkmcnt(1)
	v_mul_f64 v[96:97], v[86:87], v[22:23]
	v_fmac_f64_e32 v[96:97], v[88:89], v[24:25]
	v_mul_f64 v[92:93], v[78:79], v[6:7]
	v_mul_f64 v[90:91], v[74:75], v[8:9]
	;; [unrolled: 1-line block ×3, first 2 shown]
	v_fmac_f64_e32 v[90:91], v[76:77], v[10:11]
	v_add_f64 v[90:91], v[90:91], 0
	v_fma_f64 v[8:9], v[74:75], v[10:11], -v[8:9]
	v_mul_f64 v[6:7], v[80:81], v[6:7]
	v_add_f64 v[8:9], v[8:9], 0
	v_fmac_f64_e32 v[92:93], v[80:81], v[14:15]
	v_add_f64 v[90:91], v[90:91], v[92:93]
	v_mul_f64 v[92:93], v[82:83], v[16:17]
	v_fmac_f64_e32 v[92:93], v[84:85], v[12:13]
	v_add_f64 v[94:95], v[90:91], v[92:93]
	ds_read_b128 v[90:93], v98 offset:784
	v_add_f64 v[100:101], v[94:95], v[96:97]
	ds_read_b128 v[94:97], v98 offset:800
	v_fma_f64 v[6:7], v[78:79], v[14:15], -v[6:7]
	v_add_f64 v[6:7], v[8:9], v[6:7]
	s_waitcnt lgkmcnt(1)
	v_mul_f64 v[102:103], v[90:91], v[18:19]
	v_fmac_f64_e32 v[102:103], v[92:93], v[20:21]
	v_add_f64 v[104:105], v[100:101], v[102:103]
	ds_read_b128 v[100:103], v98 offset:816
	s_waitcnt lgkmcnt(1)
	v_mul_f64 v[106:107], v[94:95], v[30:31]
	v_fmac_f64_e32 v[106:107], v[96:97], v[32:33]
	v_add_f64 v[108:109], v[104:105], v[106:107]
	ds_read_b128 v[104:107], v98 offset:832
	;; [unrolled: 5-line block ×3, first 2 shown]
	s_waitcnt vmcnt(58) lgkmcnt(1)
	v_mul_f64 v[114:115], v[104:105], v[38:39]
	s_waitcnt vmcnt(56)
	v_fmac_f64_e32 v[114:115], v[106:107], v[40:41]
	v_add_f64 v[116:117], v[112:113], v[114:115]
	ds_read_b128 v[112:115], v98 offset:864
	s_waitcnt lgkmcnt(1)
	v_mul_f64 v[118:119], v[108:109], v[34:35]
	v_fmac_f64_e32 v[118:119], v[110:111], v[36:37]
	v_add_f64 v[122:123], v[116:117], v[118:119]
	ds_read_b128 v[116:119], v98 offset:880
	s_waitcnt vmcnt(50) lgkmcnt(1)
	v_mul_f64 v[124:125], v[112:113], v[46:47]
	s_waitcnt vmcnt(48)
	v_fmac_f64_e32 v[124:125], v[114:115], v[48:49]
	v_add_f64 v[126:127], v[122:123], v[124:125]
	ds_read_b128 v[122:125], v98 offset:896
	v_mul_f64 v[8:9], v[84:85], v[16:17]
	s_waitcnt lgkmcnt(1)
	v_mul_f64 v[128:129], v[116:117], v[42:43]
	v_fma_f64 v[8:9], v[82:83], v[12:13], -v[8:9]
	v_fmac_f64_e32 v[128:129], v[118:119], v[44:45]
	v_add_f64 v[6:7], v[6:7], v[8:9]
	v_mul_f64 v[8:9], v[88:89], v[22:23]
	v_add_f64 v[130:131], v[126:127], v[128:129]
	ds_read_b128 v[126:129], v98 offset:912
	s_waitcnt vmcnt(42) lgkmcnt(1)
	v_mul_f64 v[132:133], v[122:123], v[54:55]
	v_fma_f64 v[8:9], v[86:87], v[24:25], -v[8:9]
	s_waitcnt vmcnt(40)
	v_fmac_f64_e32 v[132:133], v[124:125], v[56:57]
	v_add_f64 v[6:7], v[6:7], v[8:9]
	v_mul_f64 v[8:9], v[92:93], v[18:19]
	v_add_f64 v[134:135], v[130:131], v[132:133]
	ds_read_b128 v[130:133], v98 offset:928
	v_fma_f64 v[8:9], v[90:91], v[20:21], -v[8:9]
	v_add_f64 v[6:7], v[6:7], v[8:9]
	v_mul_f64 v[8:9], v[96:97], v[30:31]
	v_fma_f64 v[8:9], v[94:95], v[32:33], -v[8:9]
	s_waitcnt lgkmcnt(1)
	v_mul_f64 v[136:137], v[126:127], v[50:51]
	v_add_f64 v[6:7], v[6:7], v[8:9]
	v_mul_f64 v[8:9], v[102:103], v[26:27]
	v_fmac_f64_e32 v[136:137], v[128:129], v[52:53]
	v_fma_f64 v[8:9], v[100:101], v[28:29], -v[8:9]
	v_add_f64 v[138:139], v[134:135], v[136:137]
	ds_read_b128 v[134:137], v98 offset:944
	s_waitcnt vmcnt(34) lgkmcnt(1)
	v_mul_f64 v[140:141], v[130:131], v[62:63]
	v_add_f64 v[6:7], v[6:7], v[8:9]
	v_mul_f64 v[8:9], v[106:107], v[38:39]
	s_waitcnt vmcnt(32)
	v_fmac_f64_e32 v[140:141], v[132:133], v[64:65]
	v_fma_f64 v[8:9], v[104:105], v[40:41], -v[8:9]
	v_add_f64 v[142:143], v[138:139], v[140:141]
	ds_read_b128 v[138:141], v98 offset:960
	v_add_f64 v[6:7], v[6:7], v[8:9]
	v_mul_f64 v[8:9], v[110:111], v[34:35]
	v_fma_f64 v[8:9], v[108:109], v[36:37], -v[8:9]
	v_add_f64 v[6:7], v[6:7], v[8:9]
	v_mul_f64 v[8:9], v[114:115], v[46:47]
	s_waitcnt lgkmcnt(1)
	v_mul_f64 v[144:145], v[134:135], v[58:59]
	v_fma_f64 v[8:9], v[112:113], v[48:49], -v[8:9]
	v_fmac_f64_e32 v[144:145], v[136:137], v[60:61]
	v_add_f64 v[6:7], v[6:7], v[8:9]
	v_mul_f64 v[8:9], v[118:119], v[42:43]
	v_add_f64 v[146:147], v[142:143], v[144:145]
	ds_read_b128 v[142:145], v98 offset:976
	s_waitcnt vmcnt(26) lgkmcnt(1)
	v_mul_f64 v[148:149], v[138:139], v[70:71]
	v_fma_f64 v[8:9], v[116:117], v[44:45], -v[8:9]
	s_waitcnt vmcnt(24)
	v_fmac_f64_e32 v[148:149], v[140:141], v[72:73]
	v_add_f64 v[6:7], v[6:7], v[8:9]
	v_mul_f64 v[8:9], v[124:125], v[54:55]
	v_add_f64 v[150:151], v[146:147], v[148:149]
	ds_read_b128 v[146:149], v98 offset:992
	v_fma_f64 v[8:9], v[122:123], v[56:57], -v[8:9]
	v_add_f64 v[6:7], v[6:7], v[8:9]
	v_mul_f64 v[8:9], v[128:129], v[50:51]
	v_fma_f64 v[8:9], v[126:127], v[52:53], -v[8:9]
	s_waitcnt lgkmcnt(1)
	v_mul_f64 v[152:153], v[142:143], v[66:67]
	v_add_f64 v[6:7], v[6:7], v[8:9]
	v_mul_f64 v[8:9], v[132:133], v[62:63]
	v_fmac_f64_e32 v[152:153], v[144:145], v[68:69]
	v_fma_f64 v[8:9], v[130:131], v[64:65], -v[8:9]
	v_add_f64 v[154:155], v[150:151], v[152:153]
	ds_read_b128 v[150:153], v98 offset:1008
	s_waitcnt vmcnt(18) lgkmcnt(1)
	v_mul_f64 v[156:157], v[146:147], v[174:175]
	v_add_f64 v[6:7], v[6:7], v[8:9]
	v_mul_f64 v[8:9], v[136:137], v[58:59]
	s_waitcnt vmcnt(16)
	v_fmac_f64_e32 v[156:157], v[148:149], v[176:177]
	v_fma_f64 v[8:9], v[134:135], v[60:61], -v[8:9]
	v_add_f64 v[158:159], v[154:155], v[156:157]
	ds_read_b128 v[154:157], v98 offset:1024
	v_add_f64 v[6:7], v[6:7], v[8:9]
	v_mul_f64 v[8:9], v[140:141], v[70:71]
	v_fma_f64 v[8:9], v[138:139], v[72:73], -v[8:9]
	v_add_f64 v[6:7], v[6:7], v[8:9]
	v_mul_f64 v[8:9], v[144:145], v[66:67]
	s_waitcnt lgkmcnt(1)
	v_mul_f64 v[160:161], v[150:151], v[170:171]
	v_fma_f64 v[8:9], v[142:143], v[68:69], -v[8:9]
	v_fmac_f64_e32 v[160:161], v[152:153], v[172:173]
	v_add_f64 v[6:7], v[6:7], v[8:9]
	v_mul_f64 v[8:9], v[148:149], v[174:175]
	v_add_f64 v[162:163], v[158:159], v[160:161]
	ds_read_b128 v[158:161], v98 offset:1040
	s_waitcnt vmcnt(10) lgkmcnt(1)
	v_mul_f64 v[164:165], v[154:155], v[190:191]
	v_fma_f64 v[8:9], v[146:147], v[176:177], -v[8:9]
	s_waitcnt vmcnt(8)
	v_fmac_f64_e32 v[164:165], v[156:157], v[192:193]
	v_add_f64 v[6:7], v[6:7], v[8:9]
	v_mul_f64 v[8:9], v[152:153], v[170:171]
	v_add_f64 v[202:203], v[162:163], v[164:165]
	ds_read_b128 v[162:165], v98 offset:1056
	v_fma_f64 v[8:9], v[150:151], v[172:173], -v[8:9]
	v_add_f64 v[6:7], v[6:7], v[8:9]
	v_mul_f64 v[8:9], v[156:157], v[190:191]
	v_fma_f64 v[8:9], v[154:155], v[192:193], -v[8:9]
	v_add_f64 v[6:7], v[6:7], v[8:9]
	s_waitcnt lgkmcnt(1)
	v_mul_f64 v[8:9], v[160:161], v[186:187]
	v_mul_f64 v[204:205], v[158:159], v[186:187]
	v_fma_f64 v[8:9], v[158:159], v[188:189], -v[8:9]
	v_fmac_f64_e32 v[204:205], v[160:161], v[188:189]
	v_add_f64 v[6:7], v[6:7], v[8:9]
	s_waitcnt vmcnt(2) lgkmcnt(0)
	v_mul_f64 v[8:9], v[164:165], v[198:199]
	v_add_f64 v[202:203], v[202:203], v[204:205]
	v_mul_f64 v[204:205], v[162:163], v[198:199]
	s_waitcnt vmcnt(0)
	v_fma_f64 v[8:9], v[162:163], v[200:201], -v[8:9]
	v_fmac_f64_e32 v[204:205], v[164:165], v[200:201]
	v_add_f64 v[6:7], v[6:7], v[8:9]
	v_mul_f64 v[8:9], v[168:169], v[194:195]
	v_add_f64 v[202:203], v[202:203], v[204:205]
	v_mul_f64 v[204:205], v[166:167], v[194:195]
	v_fma_f64 v[8:9], v[166:167], v[196:197], -v[8:9]
	v_fmac_f64_e32 v[204:205], v[168:169], v[196:197]
	v_add_f64 v[6:7], v[6:7], v[8:9]
	v_add_f64 v[202:203], v[202:203], v[204:205]
	v_add_f64 v[4:5], v[4:5], -v[6:7]
	v_add_f64 v[2:3], v[2:3], -v[202:203]
	buffer_store_dword v5, off, s[0:3], 0 offset:180
	buffer_store_dword v4, off, s[0:3], 0 offset:176
	;; [unrolled: 1-line block ×4, first 2 shown]
	s_and_saveexec_b64 s[4:5], vcc
	s_cbranch_execz .LBB33_199
; %bb.198:
	v_accvgpr_read_b32 v5, a85
	buffer_load_dword v2, v5, s[0:3], 0 offen
	buffer_load_dword v3, v5, s[0:3], 0 offen offset:4
	buffer_load_dword v4, v5, s[0:3], 0 offen offset:8
	s_nop 0
	buffer_load_dword v5, v5, s[0:3], 0 offen offset:12
	s_nop 0
	buffer_store_dword v98, off, s[0:3], 0 offset:160
	buffer_store_dword v98, off, s[0:3], 0 offset:164
	;; [unrolled: 1-line block ×4, first 2 shown]
	s_waitcnt vmcnt(4)
	ds_write_b128 v1, v[2:5]
.LBB33_199:
	s_or_b64 exec, exec, s[4:5]
	s_waitcnt lgkmcnt(0)
	; wave barrier
	s_waitcnt lgkmcnt(0)
	buffer_load_dword v22, off, s[0:3], 0 offset:176
	buffer_load_dword v23, off, s[0:3], 0 offset:180
	buffer_load_dword v24, off, s[0:3], 0 offset:184
	buffer_load_dword v25, off, s[0:3], 0 offset:188
	buffer_load_dword v27, off, s[0:3], 0 offset:220
	buffer_load_dword v28, off, s[0:3], 0 offset:192
	buffer_load_dword v32, off, s[0:3], 0 offset:200
	buffer_load_dword v33, off, s[0:3], 0 offset:204
	buffer_load_dword v30, off, s[0:3], 0 offset:208
	buffer_load_dword v26, off, s[0:3], 0 offset:216
	buffer_load_dword v31, off, s[0:3], 0 offset:212
	buffer_load_dword v29, off, s[0:3], 0 offset:196
	buffer_load_dword v20, off, s[0:3], 0 offset:160
	buffer_load_dword v21, off, s[0:3], 0 offset:164
	buffer_load_dword v18, off, s[0:3], 0 offset:168
	buffer_load_dword v19, off, s[0:3], 0 offset:172
	ds_read_b128 v[2:5], v98 offset:704
	ds_read_b128 v[6:9], v98 offset:720
	;; [unrolled: 1-line block ×4, first 2 shown]
	buffer_load_dword v35, off, s[0:3], 0 offset:252
	buffer_load_dword v34, off, s[0:3], 0 offset:248
	;; [unrolled: 1-line block ×48, first 2 shown]
	v_cmp_lt_u32_e32 vcc, 8, v0
	s_waitcnt vmcnt(42) lgkmcnt(0)
	v_mul_f64 v[106:107], v[14:15], v[38:39]
	s_waitcnt vmcnt(40)
	v_fmac_f64_e32 v[106:107], v[16:17], v[40:41]
	v_mul_f64 v[82:83], v[2:3], v[24:25]
	v_fmac_f64_e32 v[82:83], v[4:5], v[22:23]
	v_add_f64 v[82:83], v[82:83], 0
	v_mul_f64 v[4:5], v[4:5], v[24:25]
	v_mul_f64 v[84:85], v[6:7], v[32:33]
	v_fma_f64 v[2:3], v[2:3], v[22:23], -v[4:5]
	v_mul_f64 v[100:101], v[10:11], v[26:27]
	v_fmac_f64_e32 v[100:101], v[12:13], v[30:31]
	v_fmac_f64_e32 v[84:85], v[8:9], v[28:29]
	v_add_f64 v[102:103], v[82:83], v[84:85]
	buffer_load_dword v83, off, s[0:3], 0 offset:444
	buffer_load_dword v82, off, s[0:3], 0 offset:440
	;; [unrolled: 1-line block ×32, first 2 shown]
	v_add_f64 v[104:105], v[102:103], v[100:101]
	ds_read_b128 v[100:103], v98 offset:768
	buffer_load_dword v207, off, s[0:3], 0 offset:556
	buffer_load_dword v206, off, s[0:3], 0 offset:552
	;; [unrolled: 1-line block ×4, first 2 shown]
	v_add_f64 v[108:109], v[104:105], v[106:107]
	ds_read_b128 v[104:107], v98 offset:784
	v_mul_f64 v[4:5], v[8:9], v[32:33]
	s_waitcnt lgkmcnt(1)
	v_mul_f64 v[110:111], v[100:101], v[34:35]
	v_fmac_f64_e32 v[110:111], v[102:103], v[36:37]
	v_add_f64 v[112:113], v[108:109], v[110:111]
	ds_read_b128 v[108:111], v98 offset:800
	s_waitcnt vmcnt(62) lgkmcnt(1)
	v_mul_f64 v[114:115], v[104:105], v[46:47]
	v_fmac_f64_e32 v[114:115], v[106:107], v[48:49]
	v_add_f64 v[116:117], v[112:113], v[114:115]
	ds_read_b128 v[112:115], v98 offset:816
	s_waitcnt lgkmcnt(1)
	v_mul_f64 v[118:119], v[108:109], v[42:43]
	v_fmac_f64_e32 v[118:119], v[110:111], v[44:45]
	v_add_f64 v[122:123], v[116:117], v[118:119]
	ds_read_b128 v[116:119], v98 offset:832
	s_waitcnt lgkmcnt(1)
	v_mul_f64 v[124:125], v[112:113], v[54:55]
	s_waitcnt vmcnt(60)
	v_fmac_f64_e32 v[124:125], v[114:115], v[56:57]
	v_add_f64 v[126:127], v[122:123], v[124:125]
	ds_read_b128 v[122:125], v98 offset:848
	s_waitcnt lgkmcnt(1)
	v_mul_f64 v[128:129], v[116:117], v[50:51]
	v_fmac_f64_e32 v[128:129], v[118:119], v[52:53]
	v_add_f64 v[130:131], v[126:127], v[128:129]
	ds_read_b128 v[126:129], v98 offset:864
	s_waitcnt vmcnt(54) lgkmcnt(1)
	v_mul_f64 v[132:133], v[122:123], v[62:63]
	s_waitcnt vmcnt(52)
	v_fmac_f64_e32 v[132:133], v[124:125], v[64:65]
	v_add_f64 v[134:135], v[130:131], v[132:133]
	ds_read_b128 v[130:133], v98 offset:880
	s_waitcnt lgkmcnt(1)
	v_mul_f64 v[136:137], v[126:127], v[58:59]
	v_fmac_f64_e32 v[136:137], v[128:129], v[60:61]
	v_add_f64 v[2:3], v[2:3], 0
	v_fma_f64 v[4:5], v[6:7], v[28:29], -v[4:5]
	v_add_f64 v[138:139], v[134:135], v[136:137]
	ds_read_b128 v[134:137], v98 offset:896
	v_add_f64 v[2:3], v[2:3], v[4:5]
	v_mul_f64 v[4:5], v[12:13], v[26:27]
	v_fma_f64 v[4:5], v[10:11], v[30:31], -v[4:5]
	v_add_f64 v[2:3], v[2:3], v[4:5]
	v_mul_f64 v[4:5], v[16:17], v[38:39]
	s_waitcnt vmcnt(46) lgkmcnt(1)
	v_mul_f64 v[140:141], v[130:131], v[70:71]
	v_fma_f64 v[4:5], v[14:15], v[40:41], -v[4:5]
	s_waitcnt vmcnt(44)
	v_fmac_f64_e32 v[140:141], v[132:133], v[72:73]
	v_add_f64 v[2:3], v[2:3], v[4:5]
	v_mul_f64 v[4:5], v[102:103], v[34:35]
	v_add_f64 v[142:143], v[138:139], v[140:141]
	ds_read_b128 v[138:141], v98 offset:912
	s_waitcnt lgkmcnt(1)
	v_mul_f64 v[144:145], v[134:135], v[66:67]
	v_fma_f64 v[4:5], v[100:101], v[36:37], -v[4:5]
	v_fmac_f64_e32 v[144:145], v[136:137], v[68:69]
	v_add_f64 v[2:3], v[2:3], v[4:5]
	v_mul_f64 v[4:5], v[106:107], v[46:47]
	v_add_f64 v[146:147], v[142:143], v[144:145]
	ds_read_b128 v[142:145], v98 offset:928
	v_fma_f64 v[4:5], v[104:105], v[48:49], -v[4:5]
	v_add_f64 v[2:3], v[2:3], v[4:5]
	v_mul_f64 v[4:5], v[110:111], v[42:43]
	v_fma_f64 v[4:5], v[108:109], v[44:45], -v[4:5]
	s_waitcnt vmcnt(38) lgkmcnt(1)
	v_mul_f64 v[148:149], v[138:139], v[78:79]
	v_add_f64 v[2:3], v[2:3], v[4:5]
	v_mul_f64 v[4:5], v[114:115], v[54:55]
	s_waitcnt vmcnt(36)
	v_fmac_f64_e32 v[148:149], v[140:141], v[80:81]
	v_fma_f64 v[4:5], v[112:113], v[56:57], -v[4:5]
	v_add_f64 v[150:151], v[146:147], v[148:149]
	ds_read_b128 v[146:149], v98 offset:944
	s_waitcnt lgkmcnt(1)
	v_mul_f64 v[152:153], v[142:143], v[74:75]
	v_add_f64 v[2:3], v[2:3], v[4:5]
	v_mul_f64 v[4:5], v[118:119], v[50:51]
	v_fmac_f64_e32 v[152:153], v[144:145], v[76:77]
	v_fma_f64 v[4:5], v[116:117], v[52:53], -v[4:5]
	v_add_f64 v[154:155], v[150:151], v[152:153]
	ds_read_b128 v[150:153], v98 offset:960
	v_add_f64 v[2:3], v[2:3], v[4:5]
	v_mul_f64 v[4:5], v[124:125], v[62:63]
	v_fma_f64 v[4:5], v[122:123], v[64:65], -v[4:5]
	v_add_f64 v[2:3], v[2:3], v[4:5]
	v_mul_f64 v[4:5], v[128:129], v[58:59]
	s_waitcnt vmcnt(30) lgkmcnt(1)
	v_mul_f64 v[156:157], v[146:147], v[86:87]
	v_fma_f64 v[4:5], v[126:127], v[60:61], -v[4:5]
	s_waitcnt vmcnt(28)
	v_fmac_f64_e32 v[156:157], v[148:149], v[88:89]
	v_add_f64 v[2:3], v[2:3], v[4:5]
	v_mul_f64 v[4:5], v[132:133], v[70:71]
	v_add_f64 v[158:159], v[154:155], v[156:157]
	ds_read_b128 v[154:157], v98 offset:976
	s_waitcnt lgkmcnt(1)
	v_mul_f64 v[160:161], v[150:151], v[82:83]
	v_fma_f64 v[4:5], v[130:131], v[72:73], -v[4:5]
	v_fmac_f64_e32 v[160:161], v[152:153], v[84:85]
	v_add_f64 v[2:3], v[2:3], v[4:5]
	v_mul_f64 v[4:5], v[136:137], v[66:67]
	v_add_f64 v[162:163], v[158:159], v[160:161]
	ds_read_b128 v[158:161], v98 offset:992
	v_fma_f64 v[4:5], v[134:135], v[68:69], -v[4:5]
	v_add_f64 v[2:3], v[2:3], v[4:5]
	v_mul_f64 v[4:5], v[140:141], v[78:79]
	v_fma_f64 v[4:5], v[138:139], v[80:81], -v[4:5]
	s_waitcnt vmcnt(22) lgkmcnt(1)
	v_mul_f64 v[164:165], v[154:155], v[94:95]
	v_add_f64 v[2:3], v[2:3], v[4:5]
	v_mul_f64 v[4:5], v[144:145], v[74:75]
	s_waitcnt vmcnt(20)
	v_fmac_f64_e32 v[164:165], v[156:157], v[96:97]
	v_fma_f64 v[4:5], v[142:143], v[76:77], -v[4:5]
	v_add_f64 v[166:167], v[162:163], v[164:165]
	ds_read_b128 v[162:165], v98 offset:1008
	s_waitcnt lgkmcnt(1)
	v_mul_f64 v[168:169], v[158:159], v[90:91]
	v_add_f64 v[2:3], v[2:3], v[4:5]
	v_mul_f64 v[4:5], v[148:149], v[86:87]
	v_fmac_f64_e32 v[168:169], v[160:161], v[92:93]
	v_fma_f64 v[4:5], v[146:147], v[88:89], -v[4:5]
	v_add_f64 v[170:171], v[166:167], v[168:169]
	ds_read_b128 v[166:169], v98 offset:1024
	v_add_f64 v[2:3], v[2:3], v[4:5]
	v_mul_f64 v[4:5], v[152:153], v[82:83]
	v_fma_f64 v[4:5], v[150:151], v[84:85], -v[4:5]
	v_add_f64 v[2:3], v[2:3], v[4:5]
	v_mul_f64 v[4:5], v[156:157], v[94:95]
	s_waitcnt vmcnt(14) lgkmcnt(1)
	v_mul_f64 v[172:173], v[162:163], v[194:195]
	v_fma_f64 v[4:5], v[154:155], v[96:97], -v[4:5]
	s_waitcnt vmcnt(12)
	v_fmac_f64_e32 v[172:173], v[164:165], v[196:197]
	v_add_f64 v[2:3], v[2:3], v[4:5]
	v_mul_f64 v[4:5], v[160:161], v[90:91]
	v_add_f64 v[174:175], v[170:171], v[172:173]
	ds_read_b128 v[170:173], v98 offset:1040
	s_waitcnt lgkmcnt(1)
	v_mul_f64 v[176:177], v[166:167], v[190:191]
	v_fma_f64 v[4:5], v[158:159], v[92:93], -v[4:5]
	v_fmac_f64_e32 v[176:177], v[168:169], v[192:193]
	v_add_f64 v[2:3], v[2:3], v[4:5]
	v_mul_f64 v[4:5], v[164:165], v[194:195]
	v_add_f64 v[210:211], v[174:175], v[176:177]
	ds_read_b128 v[174:177], v98 offset:1056
	v_fma_f64 v[4:5], v[162:163], v[196:197], -v[4:5]
	v_add_f64 v[2:3], v[2:3], v[4:5]
	v_mul_f64 v[4:5], v[168:169], v[190:191]
	ds_read_b128 v[186:189], v98 offset:1072
	v_fma_f64 v[4:5], v[166:167], v[192:193], -v[4:5]
	v_add_f64 v[2:3], v[2:3], v[4:5]
	s_waitcnt vmcnt(6) lgkmcnt(2)
	v_mul_f64 v[4:5], v[172:173], v[202:203]
	v_mul_f64 v[212:213], v[170:171], v[202:203]
	s_waitcnt vmcnt(4)
	v_fma_f64 v[4:5], v[170:171], v[204:205], -v[4:5]
	v_fmac_f64_e32 v[212:213], v[172:173], v[204:205]
	v_add_f64 v[2:3], v[2:3], v[4:5]
	s_waitcnt lgkmcnt(1)
	v_mul_f64 v[4:5], v[176:177], v[198:199]
	v_add_f64 v[98:99], v[210:211], v[212:213]
	v_mul_f64 v[210:211], v[174:175], v[198:199]
	v_fma_f64 v[4:5], v[174:175], v[200:201], -v[4:5]
	v_fmac_f64_e32 v[210:211], v[176:177], v[200:201]
	v_add_f64 v[2:3], v[2:3], v[4:5]
	s_waitcnt vmcnt(2) lgkmcnt(0)
	v_mul_f64 v[4:5], v[188:189], v[206:207]
	v_add_f64 v[98:99], v[98:99], v[210:211]
	v_mul_f64 v[210:211], v[186:187], v[206:207]
	s_waitcnt vmcnt(0)
	v_fma_f64 v[4:5], v[186:187], v[208:209], -v[4:5]
	v_fmac_f64_e32 v[210:211], v[188:189], v[208:209]
	v_add_f64 v[2:3], v[2:3], v[4:5]
	v_add_f64 v[98:99], v[98:99], v[210:211]
	v_add_f64 v[2:3], v[20:21], -v[2:3]
	v_add_f64 v[4:5], v[18:19], -v[98:99]
	buffer_store_dword v3, off, s[0:3], 0 offset:164
	buffer_store_dword v2, off, s[0:3], 0 offset:160
	;; [unrolled: 1-line block ×4, first 2 shown]
	s_and_saveexec_b64 s[4:5], vcc
	s_cbranch_execz .LBB33_201
; %bb.200:
	v_accvgpr_read_b32 v5, a86
	buffer_load_dword v2, v5, s[0:3], 0 offen
	buffer_load_dword v3, v5, s[0:3], 0 offen offset:4
	buffer_load_dword v4, v5, s[0:3], 0 offen offset:8
	s_nop 0
	buffer_load_dword v5, v5, s[0:3], 0 offen offset:12
	v_mov_b32_e32 v6, 0
	buffer_store_dword v6, off, s[0:3], 0 offset:144
	buffer_store_dword v6, off, s[0:3], 0 offset:148
	;; [unrolled: 1-line block ×4, first 2 shown]
	s_waitcnt vmcnt(4)
	ds_write_b128 v1, v[2:5]
.LBB33_201:
	s_or_b64 exec, exec, s[4:5]
	s_waitcnt lgkmcnt(0)
	; wave barrier
	s_waitcnt lgkmcnt(0)
	buffer_load_dword v22, off, s[0:3], 0 offset:160
	buffer_load_dword v23, off, s[0:3], 0 offset:164
	;; [unrolled: 1-line block ×64, first 2 shown]
	v_mov_b32_e32 v114, 0
	ds_read_b128 v[18:21], v114 offset:688
	ds_read_b128 v[14:17], v114 offset:704
	;; [unrolled: 1-line block ×5, first 2 shown]
	v_cmp_lt_u32_e32 vcc, 7, v0
	s_waitcnt vmcnt(60) lgkmcnt(4)
	v_mul_f64 v[86:87], v[18:19], v[26:27]
	v_fmac_f64_e32 v[86:87], v[20:21], v[22:23]
	v_add_f64 v[86:87], v[86:87], 0
	v_mul_f64 v[20:21], v[20:21], v[26:27]
	s_waitcnt vmcnt(56) lgkmcnt(3)
	v_mul_f64 v[88:89], v[14:15], v[28:29]
	v_fmac_f64_e32 v[88:89], v[16:17], v[24:25]
	s_waitcnt vmcnt(54) lgkmcnt(2)
	v_mul_f64 v[90:91], v[10:11], v[30:31]
	v_add_f64 v[86:87], v[86:87], v[88:89]
	v_fma_f64 v[18:19], v[18:19], v[22:23], -v[20:21]
	v_mul_f64 v[16:17], v[16:17], v[28:29]
	s_waitcnt vmcnt(50) lgkmcnt(1)
	v_mul_f64 v[102:103], v[6:7], v[40:41]
	v_add_f64 v[18:19], v[18:19], 0
	s_waitcnt vmcnt(48)
	v_fmac_f64_e32 v[90:91], v[12:13], v[44:45]
	v_add_f64 v[104:105], v[86:87], v[90:91]
	buffer_load_dword v87, off, s[0:3], 0 offset:428
	buffer_load_dword v86, off, s[0:3], 0 offset:424
	;; [unrolled: 1-line block ×40, first 2 shown]
	s_waitcnt vmcnt(62)
	v_fmac_f64_e32 v[102:103], v[8:9], v[42:43]
	v_add_f64 v[106:107], v[104:105], v[102:103]
	ds_read_b128 v[102:105], v114 offset:768
	s_waitcnt lgkmcnt(1)
	v_mul_f64 v[108:109], v[2:3], v[36:37]
	v_fmac_f64_e32 v[108:109], v[4:5], v[38:39]
	v_add_f64 v[110:111], v[106:107], v[108:109]
	ds_read_b128 v[106:109], v114 offset:784
	s_waitcnt lgkmcnt(1)
	v_mul_f64 v[112:113], v[102:103], v[50:51]
	;; [unrolled: 5-line block ×5, first 2 shown]
	v_fmac_f64_e32 v[128:129], v[118:119], v[56:57]
	v_add_f64 v[130:131], v[126:127], v[128:129]
	ds_read_b128 v[126:129], v114 offset:848
	s_waitcnt vmcnt(58) lgkmcnt(1)
	v_mul_f64 v[132:133], v[122:123], v[66:67]
	s_waitcnt vmcnt(56)
	v_fmac_f64_e32 v[132:133], v[124:125], v[68:69]
	v_add_f64 v[134:135], v[130:131], v[132:133]
	ds_read_b128 v[130:133], v114 offset:864
	s_waitcnt lgkmcnt(1)
	v_mul_f64 v[136:137], v[126:127], v[62:63]
	v_fmac_f64_e32 v[136:137], v[128:129], v[64:65]
	v_add_f64 v[138:139], v[134:135], v[136:137]
	ds_read_b128 v[134:137], v114 offset:880
	s_waitcnt vmcnt(50) lgkmcnt(1)
	v_mul_f64 v[140:141], v[130:131], v[74:75]
	s_waitcnt vmcnt(48)
	v_fmac_f64_e32 v[140:141], v[132:133], v[76:77]
	v_add_f64 v[142:143], v[138:139], v[140:141]
	ds_read_b128 v[138:141], v114 offset:896
	v_fma_f64 v[14:15], v[14:15], v[24:25], -v[16:17]
	v_mul_f64 v[12:13], v[12:13], v[30:31]
	v_add_f64 v[14:15], v[18:19], v[14:15]
	v_fma_f64 v[10:11], v[10:11], v[44:45], -v[12:13]
	v_mul_f64 v[8:9], v[8:9], v[40:41]
	s_waitcnt lgkmcnt(1)
	v_mul_f64 v[144:145], v[134:135], v[70:71]
	v_add_f64 v[10:11], v[14:15], v[10:11]
	v_fma_f64 v[6:7], v[6:7], v[42:43], -v[8:9]
	v_mul_f64 v[4:5], v[4:5], v[36:37]
	v_fmac_f64_e32 v[144:145], v[136:137], v[72:73]
	v_add_f64 v[6:7], v[10:11], v[6:7]
	v_fma_f64 v[2:3], v[2:3], v[38:39], -v[4:5]
	v_mul_f64 v[4:5], v[104:105], v[50:51]
	v_add_f64 v[146:147], v[142:143], v[144:145]
	ds_read_b128 v[142:145], v114 offset:912
	s_waitcnt vmcnt(42) lgkmcnt(1)
	v_mul_f64 v[148:149], v[138:139], v[82:83]
	v_add_f64 v[2:3], v[6:7], v[2:3]
	v_fma_f64 v[4:5], v[102:103], v[52:53], -v[4:5]
	s_waitcnt vmcnt(40)
	v_fmac_f64_e32 v[148:149], v[140:141], v[84:85]
	v_add_f64 v[2:3], v[2:3], v[4:5]
	v_mul_f64 v[4:5], v[108:109], v[46:47]
	v_add_f64 v[150:151], v[146:147], v[148:149]
	ds_read_b128 v[146:149], v114 offset:928
	v_fma_f64 v[4:5], v[106:107], v[48:49], -v[4:5]
	v_add_f64 v[2:3], v[2:3], v[4:5]
	v_mul_f64 v[4:5], v[112:113], v[58:59]
	v_fma_f64 v[4:5], v[110:111], v[60:61], -v[4:5]
	s_waitcnt lgkmcnt(1)
	v_mul_f64 v[152:153], v[142:143], v[78:79]
	v_add_f64 v[2:3], v[2:3], v[4:5]
	v_mul_f64 v[4:5], v[118:119], v[54:55]
	v_fmac_f64_e32 v[152:153], v[144:145], v[80:81]
	v_fma_f64 v[4:5], v[116:117], v[56:57], -v[4:5]
	v_add_f64 v[154:155], v[150:151], v[152:153]
	ds_read_b128 v[150:153], v114 offset:944
	s_waitcnt vmcnt(34) lgkmcnt(1)
	v_mul_f64 v[156:157], v[146:147], v[90:91]
	v_add_f64 v[2:3], v[2:3], v[4:5]
	v_mul_f64 v[4:5], v[124:125], v[66:67]
	s_waitcnt vmcnt(32)
	v_fmac_f64_e32 v[156:157], v[148:149], v[92:93]
	v_fma_f64 v[4:5], v[122:123], v[68:69], -v[4:5]
	v_add_f64 v[158:159], v[154:155], v[156:157]
	ds_read_b128 v[154:157], v114 offset:960
	v_add_f64 v[2:3], v[2:3], v[4:5]
	v_mul_f64 v[4:5], v[128:129], v[62:63]
	v_fma_f64 v[4:5], v[126:127], v[64:65], -v[4:5]
	v_add_f64 v[2:3], v[2:3], v[4:5]
	v_mul_f64 v[4:5], v[132:133], v[74:75]
	s_waitcnt lgkmcnt(1)
	v_mul_f64 v[160:161], v[150:151], v[86:87]
	v_fma_f64 v[4:5], v[130:131], v[76:77], -v[4:5]
	v_fmac_f64_e32 v[160:161], v[152:153], v[88:89]
	v_add_f64 v[2:3], v[2:3], v[4:5]
	v_mul_f64 v[4:5], v[136:137], v[70:71]
	v_add_f64 v[162:163], v[158:159], v[160:161]
	ds_read_b128 v[158:161], v114 offset:976
	s_waitcnt vmcnt(26) lgkmcnt(1)
	v_mul_f64 v[164:165], v[154:155], v[98:99]
	v_fma_f64 v[4:5], v[134:135], v[72:73], -v[4:5]
	s_waitcnt vmcnt(24)
	v_fmac_f64_e32 v[164:165], v[156:157], v[100:101]
	v_add_f64 v[2:3], v[2:3], v[4:5]
	v_mul_f64 v[4:5], v[140:141], v[82:83]
	v_add_f64 v[166:167], v[162:163], v[164:165]
	ds_read_b128 v[162:165], v114 offset:992
	v_fma_f64 v[4:5], v[138:139], v[84:85], -v[4:5]
	v_add_f64 v[2:3], v[2:3], v[4:5]
	v_mul_f64 v[4:5], v[144:145], v[78:79]
	v_fma_f64 v[4:5], v[142:143], v[80:81], -v[4:5]
	s_waitcnt lgkmcnt(1)
	v_mul_f64 v[168:169], v[158:159], v[94:95]
	v_add_f64 v[2:3], v[2:3], v[4:5]
	v_mul_f64 v[4:5], v[148:149], v[90:91]
	v_fmac_f64_e32 v[168:169], v[160:161], v[96:97]
	v_fma_f64 v[4:5], v[146:147], v[92:93], -v[4:5]
	v_add_f64 v[170:171], v[166:167], v[168:169]
	ds_read_b128 v[166:169], v114 offset:1008
	s_waitcnt vmcnt(18) lgkmcnt(1)
	v_mul_f64 v[172:173], v[162:163], v[198:199]
	v_add_f64 v[2:3], v[2:3], v[4:5]
	v_mul_f64 v[4:5], v[152:153], v[86:87]
	s_waitcnt vmcnt(16)
	v_fmac_f64_e32 v[172:173], v[164:165], v[200:201]
	v_fma_f64 v[4:5], v[150:151], v[88:89], -v[4:5]
	v_add_f64 v[174:175], v[170:171], v[172:173]
	ds_read_b128 v[170:173], v114 offset:1024
	v_add_f64 v[2:3], v[2:3], v[4:5]
	v_mul_f64 v[4:5], v[156:157], v[98:99]
	v_fma_f64 v[4:5], v[154:155], v[100:101], -v[4:5]
	v_add_f64 v[2:3], v[2:3], v[4:5]
	v_mul_f64 v[4:5], v[160:161], v[94:95]
	s_waitcnt lgkmcnt(1)
	v_mul_f64 v[176:177], v[166:167], v[194:195]
	v_fma_f64 v[4:5], v[158:159], v[96:97], -v[4:5]
	v_fmac_f64_e32 v[176:177], v[168:169], v[196:197]
	v_add_f64 v[2:3], v[2:3], v[4:5]
	v_mul_f64 v[4:5], v[164:165], v[198:199]
	v_add_f64 v[186:187], v[174:175], v[176:177]
	ds_read_b128 v[174:177], v114 offset:1040
	s_waitcnt vmcnt(10) lgkmcnt(1)
	v_mul_f64 v[188:189], v[170:171], v[206:207]
	v_fma_f64 v[4:5], v[162:163], v[200:201], -v[4:5]
	s_waitcnt vmcnt(8)
	v_fmac_f64_e32 v[188:189], v[172:173], v[208:209]
	v_add_f64 v[2:3], v[2:3], v[4:5]
	v_mul_f64 v[4:5], v[168:169], v[194:195]
	v_add_f64 v[218:219], v[186:187], v[188:189]
	ds_read_b128 v[186:189], v114 offset:1056
	ds_read_b128 v[190:193], v114 offset:1072
	v_fma_f64 v[4:5], v[166:167], v[196:197], -v[4:5]
	v_add_f64 v[2:3], v[2:3], v[4:5]
	v_mul_f64 v[4:5], v[172:173], v[206:207]
	v_fma_f64 v[4:5], v[170:171], v[208:209], -v[4:5]
	v_add_f64 v[2:3], v[2:3], v[4:5]
	s_waitcnt lgkmcnt(2)
	v_mul_f64 v[4:5], v[176:177], v[202:203]
	v_mul_f64 v[220:221], v[174:175], v[202:203]
	v_fma_f64 v[4:5], v[174:175], v[204:205], -v[4:5]
	v_fmac_f64_e32 v[220:221], v[176:177], v[204:205]
	v_add_f64 v[2:3], v[2:3], v[4:5]
	s_waitcnt vmcnt(2) lgkmcnt(1)
	v_mul_f64 v[4:5], v[188:189], v[214:215]
	v_add_f64 v[218:219], v[218:219], v[220:221]
	v_mul_f64 v[220:221], v[186:187], v[214:215]
	s_waitcnt vmcnt(0)
	v_fma_f64 v[4:5], v[186:187], v[216:217], -v[4:5]
	v_fmac_f64_e32 v[220:221], v[188:189], v[216:217]
	v_add_f64 v[2:3], v[2:3], v[4:5]
	s_waitcnt lgkmcnt(0)
	v_mul_f64 v[4:5], v[192:193], v[210:211]
	v_add_f64 v[218:219], v[218:219], v[220:221]
	v_mul_f64 v[220:221], v[190:191], v[210:211]
	v_fma_f64 v[4:5], v[190:191], v[212:213], -v[4:5]
	v_fmac_f64_e32 v[220:221], v[192:193], v[212:213]
	v_add_f64 v[2:3], v[2:3], v[4:5]
	v_add_f64 v[218:219], v[218:219], v[220:221]
	v_add_f64 v[2:3], v[34:35], -v[2:3]
	v_add_f64 v[4:5], v[32:33], -v[218:219]
	buffer_store_dword v3, off, s[0:3], 0 offset:148
	buffer_store_dword v2, off, s[0:3], 0 offset:144
	buffer_store_dword v5, off, s[0:3], 0 offset:156
	buffer_store_dword v4, off, s[0:3], 0 offset:152
	s_and_saveexec_b64 s[4:5], vcc
	s_cbranch_execz .LBB33_203
; %bb.202:
	v_accvgpr_read_b32 v5, a87
	buffer_load_dword v2, v5, s[0:3], 0 offen
	buffer_load_dword v3, v5, s[0:3], 0 offen offset:4
	buffer_load_dword v4, v5, s[0:3], 0 offen offset:8
	s_nop 0
	buffer_load_dword v5, v5, s[0:3], 0 offen offset:12
	s_nop 0
	buffer_store_dword v114, off, s[0:3], 0 offset:128
	buffer_store_dword v114, off, s[0:3], 0 offset:132
	;; [unrolled: 1-line block ×4, first 2 shown]
	s_waitcnt vmcnt(4)
	ds_write_b128 v1, v[2:5]
.LBB33_203:
	s_or_b64 exec, exec, s[4:5]
	s_waitcnt lgkmcnt(0)
	; wave barrier
	s_waitcnt lgkmcnt(0)
	buffer_load_dword v26, off, s[0:3], 0 offset:144
	buffer_load_dword v27, off, s[0:3], 0 offset:148
	;; [unrolled: 1-line block ×24, first 2 shown]
	ds_read_b128 v[22:25], v114 offset:672
	ds_read_b128 v[18:21], v114 offset:688
	;; [unrolled: 1-line block ×6, first 2 shown]
	buffer_load_dword v51, off, s[0:3], 0 offset:252
	buffer_load_dword v50, off, s[0:3], 0 offset:248
	;; [unrolled: 1-line block ×40, first 2 shown]
	v_cmp_lt_u32_e32 vcc, 6, v0
	s_waitcnt vmcnt(34) lgkmcnt(0)
	v_mul_f64 v[124:125], v[14:15], v[54:55]
	s_waitcnt vmcnt(32)
	v_fmac_f64_e32 v[124:125], v[16:17], v[56:57]
	v_mul_f64 v[90:91], v[22:23], v[28:29]
	v_fmac_f64_e32 v[90:91], v[24:25], v[26:27]
	v_mul_f64 v[92:93], v[18:19], v[30:31]
	v_add_f64 v[90:91], v[90:91], 0
	v_mul_f64 v[94:95], v[10:11], v[32:33]
	v_mul_f64 v[24:25], v[24:25], v[28:29]
	;; [unrolled: 1-line block ×3, first 2 shown]
	v_fma_f64 v[22:23], v[22:23], v[26:27], -v[24:25]
	v_add_f64 v[22:23], v[22:23], 0
	v_mul_f64 v[96:97], v[6:7], v[42:43]
	v_fmac_f64_e32 v[92:93], v[20:21], v[48:49]
	v_add_f64 v[90:91], v[90:91], v[92:93]
	v_fmac_f64_e32 v[94:95], v[12:13], v[46:47]
	v_add_f64 v[90:91], v[90:91], v[94:95]
	;; [unrolled: 2-line block ×3, first 2 shown]
	buffer_load_dword v91, off, s[0:3], 0 offset:412
	buffer_load_dword v90, off, s[0:3], 0 offset:408
	;; [unrolled: 1-line block ×40, first 2 shown]
	v_fmac_f64_e32 v[116:117], v[4:5], v[40:41]
	v_add_f64 v[122:123], v[118:119], v[116:117]
	ds_read_b128 v[116:119], v114 offset:768
	buffer_load_dword v223, off, s[0:3], 0 offset:556
	buffer_load_dword v222, off, s[0:3], 0 offset:552
	;; [unrolled: 1-line block ×4, first 2 shown]
	v_add_f64 v[126:127], v[122:123], v[124:125]
	ds_read_b128 v[122:125], v114 offset:784
	v_mul_f64 v[20:21], v[20:21], v[30:31]
	s_waitcnt lgkmcnt(1)
	v_mul_f64 v[128:129], v[116:117], v[50:51]
	v_fmac_f64_e32 v[128:129], v[118:119], v[52:53]
	v_add_f64 v[130:131], v[126:127], v[128:129]
	ds_read_b128 v[126:129], v114 offset:800
	s_waitcnt vmcnt(62) lgkmcnt(1)
	v_mul_f64 v[132:133], v[122:123], v[62:63]
	v_fmac_f64_e32 v[132:133], v[124:125], v[64:65]
	v_add_f64 v[134:135], v[130:131], v[132:133]
	ds_read_b128 v[130:133], v114 offset:816
	s_waitcnt lgkmcnt(1)
	v_mul_f64 v[136:137], v[126:127], v[58:59]
	v_fmac_f64_e32 v[136:137], v[128:129], v[60:61]
	v_add_f64 v[138:139], v[134:135], v[136:137]
	ds_read_b128 v[134:137], v114 offset:832
	s_waitcnt lgkmcnt(1)
	v_mul_f64 v[140:141], v[130:131], v[70:71]
	s_waitcnt vmcnt(60)
	v_fmac_f64_e32 v[140:141], v[132:133], v[72:73]
	v_add_f64 v[142:143], v[138:139], v[140:141]
	ds_read_b128 v[138:141], v114 offset:848
	s_waitcnt lgkmcnt(1)
	v_mul_f64 v[144:145], v[134:135], v[66:67]
	v_fmac_f64_e32 v[144:145], v[136:137], v[68:69]
	v_add_f64 v[146:147], v[142:143], v[144:145]
	ds_read_b128 v[142:145], v114 offset:864
	s_waitcnt vmcnt(54) lgkmcnt(1)
	v_mul_f64 v[148:149], v[138:139], v[78:79]
	s_waitcnt vmcnt(52)
	v_fmac_f64_e32 v[148:149], v[140:141], v[80:81]
	v_add_f64 v[150:151], v[146:147], v[148:149]
	ds_read_b128 v[146:149], v114 offset:880
	s_waitcnt lgkmcnt(1)
	v_mul_f64 v[152:153], v[142:143], v[74:75]
	v_fmac_f64_e32 v[152:153], v[144:145], v[76:77]
	v_fma_f64 v[18:19], v[18:19], v[48:49], -v[20:21]
	v_mul_f64 v[12:13], v[12:13], v[32:33]
	v_add_f64 v[154:155], v[150:151], v[152:153]
	ds_read_b128 v[150:153], v114 offset:896
	v_add_f64 v[18:19], v[22:23], v[18:19]
	v_fma_f64 v[10:11], v[10:11], v[46:47], -v[12:13]
	v_mul_f64 v[8:9], v[8:9], v[42:43]
	v_add_f64 v[10:11], v[18:19], v[10:11]
	v_fma_f64 v[6:7], v[6:7], v[44:45], -v[8:9]
	v_mul_f64 v[4:5], v[4:5], v[38:39]
	;; [unrolled: 3-line block ×3, first 2 shown]
	s_waitcnt vmcnt(46) lgkmcnt(1)
	v_mul_f64 v[156:157], v[146:147], v[86:87]
	v_add_f64 v[2:3], v[6:7], v[2:3]
	v_fma_f64 v[4:5], v[14:15], v[56:57], -v[4:5]
	s_waitcnt vmcnt(44)
	v_fmac_f64_e32 v[156:157], v[148:149], v[88:89]
	v_add_f64 v[2:3], v[2:3], v[4:5]
	v_mul_f64 v[4:5], v[118:119], v[50:51]
	v_add_f64 v[158:159], v[154:155], v[156:157]
	ds_read_b128 v[154:157], v114 offset:912
	s_waitcnt lgkmcnt(1)
	v_mul_f64 v[160:161], v[150:151], v[82:83]
	v_fma_f64 v[4:5], v[116:117], v[52:53], -v[4:5]
	v_fmac_f64_e32 v[160:161], v[152:153], v[84:85]
	v_add_f64 v[2:3], v[2:3], v[4:5]
	v_mul_f64 v[4:5], v[124:125], v[62:63]
	v_add_f64 v[162:163], v[158:159], v[160:161]
	ds_read_b128 v[158:161], v114 offset:928
	v_fma_f64 v[4:5], v[122:123], v[64:65], -v[4:5]
	v_add_f64 v[2:3], v[2:3], v[4:5]
	v_mul_f64 v[4:5], v[128:129], v[58:59]
	v_fma_f64 v[4:5], v[126:127], v[60:61], -v[4:5]
	s_waitcnt vmcnt(38) lgkmcnt(1)
	v_mul_f64 v[164:165], v[154:155], v[94:95]
	v_add_f64 v[2:3], v[2:3], v[4:5]
	v_mul_f64 v[4:5], v[132:133], v[70:71]
	s_waitcnt vmcnt(36)
	v_fmac_f64_e32 v[164:165], v[156:157], v[96:97]
	v_fma_f64 v[4:5], v[130:131], v[72:73], -v[4:5]
	v_add_f64 v[166:167], v[162:163], v[164:165]
	ds_read_b128 v[162:165], v114 offset:944
	s_waitcnt lgkmcnt(1)
	v_mul_f64 v[168:169], v[158:159], v[90:91]
	v_add_f64 v[2:3], v[2:3], v[4:5]
	v_mul_f64 v[4:5], v[136:137], v[66:67]
	v_fmac_f64_e32 v[168:169], v[160:161], v[92:93]
	v_fma_f64 v[4:5], v[134:135], v[68:69], -v[4:5]
	v_add_f64 v[170:171], v[166:167], v[168:169]
	ds_read_b128 v[166:169], v114 offset:960
	v_add_f64 v[2:3], v[2:3], v[4:5]
	v_mul_f64 v[4:5], v[140:141], v[78:79]
	v_fma_f64 v[4:5], v[138:139], v[80:81], -v[4:5]
	v_add_f64 v[2:3], v[2:3], v[4:5]
	v_mul_f64 v[4:5], v[144:145], v[74:75]
	s_waitcnt vmcnt(30) lgkmcnt(1)
	v_mul_f64 v[172:173], v[162:163], v[102:103]
	v_fma_f64 v[4:5], v[142:143], v[76:77], -v[4:5]
	s_waitcnt vmcnt(28)
	v_fmac_f64_e32 v[172:173], v[164:165], v[104:105]
	v_add_f64 v[2:3], v[2:3], v[4:5]
	v_mul_f64 v[4:5], v[148:149], v[86:87]
	v_add_f64 v[174:175], v[170:171], v[172:173]
	ds_read_b128 v[170:173], v114 offset:976
	s_waitcnt lgkmcnt(1)
	v_mul_f64 v[176:177], v[166:167], v[98:99]
	v_fma_f64 v[4:5], v[146:147], v[88:89], -v[4:5]
	v_fmac_f64_e32 v[176:177], v[168:169], v[100:101]
	v_add_f64 v[2:3], v[2:3], v[4:5]
	v_mul_f64 v[4:5], v[152:153], v[82:83]
	v_add_f64 v[186:187], v[174:175], v[176:177]
	ds_read_b128 v[174:177], v114 offset:992
	v_fma_f64 v[4:5], v[150:151], v[84:85], -v[4:5]
	v_add_f64 v[2:3], v[2:3], v[4:5]
	v_mul_f64 v[4:5], v[156:157], v[94:95]
	v_fma_f64 v[4:5], v[154:155], v[96:97], -v[4:5]
	s_waitcnt vmcnt(22) lgkmcnt(1)
	v_mul_f64 v[188:189], v[170:171], v[110:111]
	v_add_f64 v[2:3], v[2:3], v[4:5]
	v_mul_f64 v[4:5], v[160:161], v[90:91]
	s_waitcnt vmcnt(20)
	v_fmac_f64_e32 v[188:189], v[172:173], v[112:113]
	v_fma_f64 v[4:5], v[158:159], v[92:93], -v[4:5]
	v_add_f64 v[190:191], v[186:187], v[188:189]
	ds_read_b128 v[186:189], v114 offset:1008
	s_waitcnt lgkmcnt(1)
	v_mul_f64 v[192:193], v[174:175], v[106:107]
	v_add_f64 v[2:3], v[2:3], v[4:5]
	v_mul_f64 v[4:5], v[164:165], v[102:103]
	v_fmac_f64_e32 v[192:193], v[176:177], v[108:109]
	v_fma_f64 v[4:5], v[162:163], v[104:105], -v[4:5]
	v_add_f64 v[194:195], v[190:191], v[192:193]
	ds_read_b128 v[190:193], v114 offset:1024
	v_add_f64 v[2:3], v[2:3], v[4:5]
	v_mul_f64 v[4:5], v[168:169], v[98:99]
	v_fma_f64 v[4:5], v[166:167], v[100:101], -v[4:5]
	v_add_f64 v[2:3], v[2:3], v[4:5]
	v_mul_f64 v[4:5], v[172:173], v[110:111]
	s_waitcnt vmcnt(14) lgkmcnt(1)
	v_mul_f64 v[196:197], v[186:187], v[210:211]
	v_fma_f64 v[4:5], v[170:171], v[112:113], -v[4:5]
	s_waitcnt vmcnt(12)
	v_fmac_f64_e32 v[196:197], v[188:189], v[212:213]
	v_add_f64 v[2:3], v[2:3], v[4:5]
	v_mul_f64 v[4:5], v[176:177], v[106:107]
	v_add_f64 v[198:199], v[194:195], v[196:197]
	ds_read_b128 v[194:197], v114 offset:1040
	s_waitcnt lgkmcnt(1)
	v_mul_f64 v[200:201], v[190:191], v[206:207]
	v_fma_f64 v[4:5], v[174:175], v[108:109], -v[4:5]
	v_fmac_f64_e32 v[200:201], v[192:193], v[208:209]
	v_add_f64 v[2:3], v[2:3], v[4:5]
	v_mul_f64 v[4:5], v[188:189], v[210:211]
	v_add_f64 v[226:227], v[198:199], v[200:201]
	ds_read_b128 v[198:201], v114 offset:1056
	v_fma_f64 v[4:5], v[186:187], v[212:213], -v[4:5]
	v_add_f64 v[2:3], v[2:3], v[4:5]
	v_mul_f64 v[4:5], v[192:193], v[206:207]
	ds_read_b128 v[202:205], v114 offset:1072
	v_fma_f64 v[4:5], v[190:191], v[208:209], -v[4:5]
	v_add_f64 v[2:3], v[2:3], v[4:5]
	s_waitcnt vmcnt(6) lgkmcnt(2)
	v_mul_f64 v[4:5], v[196:197], v[218:219]
	v_mul_f64 v[228:229], v[194:195], v[218:219]
	s_waitcnt vmcnt(4)
	v_fma_f64 v[4:5], v[194:195], v[220:221], -v[4:5]
	v_fmac_f64_e32 v[228:229], v[196:197], v[220:221]
	v_add_f64 v[2:3], v[2:3], v[4:5]
	s_waitcnt lgkmcnt(1)
	v_mul_f64 v[4:5], v[200:201], v[214:215]
	v_add_f64 v[114:115], v[226:227], v[228:229]
	v_mul_f64 v[226:227], v[198:199], v[214:215]
	v_fma_f64 v[4:5], v[198:199], v[216:217], -v[4:5]
	v_fmac_f64_e32 v[226:227], v[200:201], v[216:217]
	v_add_f64 v[2:3], v[2:3], v[4:5]
	s_waitcnt vmcnt(2) lgkmcnt(0)
	v_mul_f64 v[4:5], v[204:205], v[222:223]
	v_add_f64 v[114:115], v[114:115], v[226:227]
	v_mul_f64 v[226:227], v[202:203], v[222:223]
	s_waitcnt vmcnt(0)
	v_fma_f64 v[4:5], v[202:203], v[224:225], -v[4:5]
	v_fmac_f64_e32 v[226:227], v[204:205], v[224:225]
	v_add_f64 v[2:3], v[2:3], v[4:5]
	v_add_f64 v[114:115], v[114:115], v[226:227]
	v_add_f64 v[2:3], v[36:37], -v[2:3]
	v_add_f64 v[4:5], v[34:35], -v[114:115]
	buffer_store_dword v3, off, s[0:3], 0 offset:132
	buffer_store_dword v2, off, s[0:3], 0 offset:128
	buffer_store_dword v5, off, s[0:3], 0 offset:140
	buffer_store_dword v4, off, s[0:3], 0 offset:136
	s_and_saveexec_b64 s[4:5], vcc
	s_cbranch_execz .LBB33_205
; %bb.204:
	v_accvgpr_read_b32 v5, a89
	buffer_load_dword v2, v5, s[0:3], 0 offen
	buffer_load_dword v3, v5, s[0:3], 0 offen offset:4
	buffer_load_dword v4, v5, s[0:3], 0 offen offset:8
	s_nop 0
	buffer_load_dword v5, v5, s[0:3], 0 offen offset:12
	v_mov_b32_e32 v6, 0
	buffer_store_dword v6, off, s[0:3], 0 offset:112
	buffer_store_dword v6, off, s[0:3], 0 offset:116
	;; [unrolled: 1-line block ×4, first 2 shown]
	s_waitcnt vmcnt(4)
	ds_write_b128 v1, v[2:5]
.LBB33_205:
	s_or_b64 exec, exec, s[4:5]
	s_waitcnt lgkmcnt(0)
	; wave barrier
	s_waitcnt lgkmcnt(0)
	buffer_load_dword v30, off, s[0:3], 0 offset:128
	buffer_load_dword v31, off, s[0:3], 0 offset:132
	;; [unrolled: 1-line block ×56, first 2 shown]
	v_mov_b32_e32 v136, 0
	ds_read_b128 v[26:29], v136 offset:656
	ds_read_b128 v[22:25], v136 offset:672
	;; [unrolled: 1-line block ×7, first 2 shown]
	v_cmp_lt_u32_e32 vcc, 5, v0
	s_waitcnt vmcnt(52) lgkmcnt(6)
	v_mul_f64 v[86:87], v[26:27], v[34:35]
	v_fmac_f64_e32 v[86:87], v[28:29], v[30:31]
	v_add_f64 v[86:87], v[86:87], 0
	v_mul_f64 v[28:29], v[28:29], v[34:35]
	s_waitcnt vmcnt(48) lgkmcnt(5)
	v_mul_f64 v[88:89], v[22:23], v[36:37]
	v_fmac_f64_e32 v[88:89], v[24:25], v[32:33]
	s_waitcnt vmcnt(46) lgkmcnt(4)
	v_mul_f64 v[90:91], v[18:19], v[38:39]
	v_add_f64 v[86:87], v[86:87], v[88:89]
	s_waitcnt vmcnt(44) lgkmcnt(2)
	v_mul_f64 v[94:95], v[10:11], v[40:41]
	v_fma_f64 v[26:27], v[26:27], v[30:31], -v[28:29]
	s_waitcnt vmcnt(42)
	v_fmac_f64_e32 v[94:95], v[12:13], v[42:43]
	v_mul_f64 v[24:25], v[24:25], v[36:37]
	s_waitcnt vmcnt(40)
	v_mul_f64 v[92:93], v[14:15], v[48:49]
	v_add_f64 v[26:27], v[26:27], 0
	v_fma_f64 v[22:23], v[22:23], v[32:33], -v[24:25]
	v_add_f64 v[22:23], v[26:27], v[22:23]
	s_waitcnt vmcnt(36) lgkmcnt(1)
	v_mul_f64 v[110:111], v[6:7], v[54:55]
	v_mul_f64 v[12:13], v[12:13], v[40:41]
	s_waitcnt vmcnt(34)
	v_fmac_f64_e32 v[90:91], v[20:21], v[60:61]
	v_add_f64 v[86:87], v[86:87], v[90:91]
	s_waitcnt vmcnt(32)
	v_fmac_f64_e32 v[92:93], v[16:17], v[58:59]
	v_add_f64 v[86:87], v[86:87], v[92:93]
	v_add_f64 v[116:117], v[86:87], v[94:95]
	buffer_load_dword v87, off, s[0:3], 0 offset:364
	buffer_load_dword v86, off, s[0:3], 0 offset:360
	;; [unrolled: 1-line block ×56, first 2 shown]
	ds_read_b128 v[126:129], v136 offset:768
	ds_read_b128 v[130:133], v136 offset:784
	v_mul_f64 v[20:21], v[20:21], v[38:39]
	v_fma_f64 v[18:19], v[18:19], v[60:61], -v[20:21]
	v_mul_f64 v[16:17], v[16:17], v[48:49]
	s_waitcnt vmcnt(62)
	v_fmac_f64_e32 v[110:111], v[8:9], v[56:57]
	v_add_f64 v[18:19], v[22:23], v[18:19]
	v_fma_f64 v[14:15], v[14:15], v[58:59], -v[16:17]
	v_add_f64 v[110:111], v[116:117], v[110:111]
	s_waitcnt lgkmcnt(2)
	v_mul_f64 v[116:117], v[2:3], v[50:51]
	v_add_f64 v[14:15], v[18:19], v[14:15]
	v_fma_f64 v[10:11], v[10:11], v[42:43], -v[12:13]
	v_mul_f64 v[8:9], v[8:9], v[54:55]
	v_fmac_f64_e32 v[116:117], v[4:5], v[52:53]
	ds_read_b128 v[138:141], v136 offset:800
	ds_read_b128 v[142:145], v136 offset:816
	v_add_f64 v[10:11], v[14:15], v[10:11]
	v_fma_f64 v[6:7], v[6:7], v[56:57], -v[8:9]
	v_mul_f64 v[4:5], v[4:5], v[50:51]
	v_add_f64 v[6:7], v[10:11], v[6:7]
	v_fma_f64 v[2:3], v[2:3], v[52:53], -v[4:5]
	s_waitcnt lgkmcnt(3)
	v_mul_f64 v[4:5], v[128:129], v[66:67]
	v_add_f64 v[110:111], v[110:111], v[116:117]
	v_mul_f64 v[116:117], v[126:127], v[66:67]
	v_add_f64 v[2:3], v[6:7], v[2:3]
	v_fma_f64 v[4:5], v[126:127], v[68:69], -v[4:5]
	v_fmac_f64_e32 v[116:117], v[128:129], v[68:69]
	v_add_f64 v[2:3], v[2:3], v[4:5]
	s_waitcnt lgkmcnt(2)
	v_mul_f64 v[4:5], v[132:133], v[62:63]
	v_add_f64 v[110:111], v[110:111], v[116:117]
	v_mul_f64 v[116:117], v[130:131], v[62:63]
	ds_read_b128 v[146:149], v136 offset:832
	ds_read_b128 v[150:153], v136 offset:848
	v_fma_f64 v[4:5], v[130:131], v[64:65], -v[4:5]
	v_fmac_f64_e32 v[116:117], v[132:133], v[64:65]
	v_add_f64 v[2:3], v[2:3], v[4:5]
	s_waitcnt lgkmcnt(3)
	v_mul_f64 v[4:5], v[140:141], v[74:75]
	v_add_f64 v[110:111], v[110:111], v[116:117]
	v_mul_f64 v[116:117], v[138:139], v[74:75]
	v_fma_f64 v[4:5], v[138:139], v[76:77], -v[4:5]
	v_fmac_f64_e32 v[116:117], v[140:141], v[76:77]
	v_add_f64 v[2:3], v[2:3], v[4:5]
	s_waitcnt lgkmcnt(2)
	v_mul_f64 v[4:5], v[144:145], v[70:71]
	v_add_f64 v[110:111], v[110:111], v[116:117]
	v_mul_f64 v[116:117], v[142:143], v[70:71]
	ds_read_b128 v[154:157], v136 offset:864
	ds_read_b128 v[158:161], v136 offset:880
	v_fma_f64 v[4:5], v[142:143], v[72:73], -v[4:5]
	v_fmac_f64_e32 v[116:117], v[144:145], v[72:73]
	v_add_f64 v[2:3], v[2:3], v[4:5]
	s_waitcnt vmcnt(58) lgkmcnt(3)
	v_mul_f64 v[4:5], v[148:149], v[82:83]
	v_add_f64 v[110:111], v[110:111], v[116:117]
	v_mul_f64 v[116:117], v[146:147], v[82:83]
	s_waitcnt vmcnt(56)
	v_fma_f64 v[4:5], v[146:147], v[84:85], -v[4:5]
	v_fmac_f64_e32 v[116:117], v[148:149], v[84:85]
	v_add_f64 v[2:3], v[2:3], v[4:5]
	s_waitcnt lgkmcnt(2)
	v_mul_f64 v[4:5], v[152:153], v[78:79]
	v_add_f64 v[110:111], v[110:111], v[116:117]
	v_mul_f64 v[116:117], v[150:151], v[78:79]
	ds_read_b128 v[162:165], v136 offset:896
	ds_read_b128 v[166:169], v136 offset:912
	v_fma_f64 v[4:5], v[150:151], v[80:81], -v[4:5]
	v_fmac_f64_e32 v[116:117], v[152:153], v[80:81]
	v_add_f64 v[2:3], v[2:3], v[4:5]
	s_waitcnt vmcnt(50) lgkmcnt(3)
	v_mul_f64 v[4:5], v[156:157], v[90:91]
	v_add_f64 v[110:111], v[110:111], v[116:117]
	v_mul_f64 v[116:117], v[154:155], v[90:91]
	s_waitcnt vmcnt(48)
	;; [unrolled: 17-line block ×7, first 2 shown]
	v_fma_f64 v[4:5], v[202:203], v[228:229], -v[4:5]
	v_fmac_f64_e32 v[116:117], v[204:205], v[228:229]
	v_add_f64 v[2:3], v[2:3], v[4:5]
	s_waitcnt lgkmcnt(2)
	v_mul_f64 v[4:5], v[208:209], v[222:223]
	v_add_f64 v[110:111], v[110:111], v[116:117]
	v_mul_f64 v[116:117], v[206:207], v[222:223]
	v_fma_f64 v[4:5], v[206:207], v[224:225], -v[4:5]
	v_fmac_f64_e32 v[116:117], v[208:209], v[224:225]
	v_add_f64 v[2:3], v[2:3], v[4:5]
	s_waitcnt vmcnt(2) lgkmcnt(1)
	v_mul_f64 v[4:5], v[212:213], v[234:235]
	v_add_f64 v[110:111], v[110:111], v[116:117]
	v_mul_f64 v[116:117], v[210:211], v[234:235]
	s_waitcnt vmcnt(0)
	v_fma_f64 v[4:5], v[210:211], v[236:237], -v[4:5]
	v_fmac_f64_e32 v[116:117], v[212:213], v[236:237]
	v_add_f64 v[2:3], v[2:3], v[4:5]
	s_waitcnt lgkmcnt(0)
	v_mul_f64 v[4:5], v[216:217], v[230:231]
	v_add_f64 v[110:111], v[110:111], v[116:117]
	v_mul_f64 v[116:117], v[214:215], v[230:231]
	v_fma_f64 v[4:5], v[214:215], v[232:233], -v[4:5]
	v_fmac_f64_e32 v[116:117], v[216:217], v[232:233]
	v_add_f64 v[2:3], v[2:3], v[4:5]
	v_add_f64 v[110:111], v[110:111], v[116:117]
	v_add_f64 v[2:3], v[46:47], -v[2:3]
	v_add_f64 v[4:5], v[44:45], -v[110:111]
	buffer_store_dword v3, off, s[0:3], 0 offset:116
	buffer_store_dword v2, off, s[0:3], 0 offset:112
	;; [unrolled: 1-line block ×4, first 2 shown]
	s_and_saveexec_b64 s[4:5], vcc
	s_cbranch_execz .LBB33_207
; %bb.206:
	v_accvgpr_read_b32 v5, a90
	buffer_load_dword v2, v5, s[0:3], 0 offen
	buffer_load_dword v3, v5, s[0:3], 0 offen offset:4
	buffer_load_dword v4, v5, s[0:3], 0 offen offset:8
	s_nop 0
	buffer_load_dword v5, v5, s[0:3], 0 offen offset:12
	s_nop 0
	buffer_store_dword v136, off, s[0:3], 0 offset:96
	buffer_store_dword v136, off, s[0:3], 0 offset:100
	;; [unrolled: 1-line block ×4, first 2 shown]
	s_waitcnt vmcnt(4)
	ds_write_b128 v1, v[2:5]
.LBB33_207:
	s_or_b64 exec, exec, s[4:5]
	s_waitcnt lgkmcnt(0)
	; wave barrier
	s_waitcnt lgkmcnt(0)
	buffer_load_dword v34, off, s[0:3], 0 offset:112
	buffer_load_dword v35, off, s[0:3], 0 offset:116
	;; [unrolled: 1-line block ×32, first 2 shown]
	ds_read_b128 v[30:33], v136 offset:640
	ds_read_b128 v[26:29], v136 offset:656
	;; [unrolled: 1-line block ×8, first 2 shown]
	buffer_load_dword v67, off, s[0:3], 0 offset:252
	buffer_load_dword v66, off, s[0:3], 0 offset:248
	;; [unrolled: 1-line block ×24, first 2 shown]
	v_cmp_lt_u32_e32 vcc, 4, v0
	s_waitcnt vmcnt(52) lgkmcnt(7)
	v_mul_f64 v[90:91], v[30:31], v[38:39]
	v_fmac_f64_e32 v[90:91], v[32:33], v[34:35]
	v_add_f64 v[90:91], v[90:91], 0
	v_mul_f64 v[32:33], v[32:33], v[38:39]
	s_waitcnt vmcnt(48) lgkmcnt(6)
	v_mul_f64 v[92:93], v[26:27], v[40:41]
	v_fmac_f64_e32 v[92:93], v[28:29], v[36:37]
	s_waitcnt vmcnt(46) lgkmcnt(5)
	v_mul_f64 v[94:95], v[22:23], v[42:43]
	v_add_f64 v[90:91], v[90:91], v[92:93]
	s_waitcnt vmcnt(44) lgkmcnt(4)
	v_mul_f64 v[96:97], v[18:19], v[48:49]
	v_fma_f64 v[30:31], v[30:31], v[34:35], -v[32:33]
	s_waitcnt vmcnt(42) lgkmcnt(1)
	v_mul_f64 v[124:125], v[2:3], v[50:51]
	v_mul_f64 v[28:29], v[28:29], v[40:41]
	s_waitcnt vmcnt(18) lgkmcnt(0)
	v_mul_f64 v[140:141], v[14:15], v[70:71]
	v_mul_f64 v[100:101], v[6:7], v[54:55]
	s_waitcnt vmcnt(16)
	v_fmac_f64_e32 v[140:141], v[16:17], v[72:73]
	v_mul_f64 v[98:99], v[10:11], v[56:57]
	v_add_f64 v[30:31], v[30:31], 0
	v_fmac_f64_e32 v[98:99], v[12:13], v[58:59]
	v_fma_f64 v[26:27], v[26:27], v[36:37], -v[28:29]
	v_fmac_f64_e32 v[94:95], v[24:25], v[64:65]
	v_add_f64 v[90:91], v[90:91], v[94:95]
	v_fmac_f64_e32 v[96:97], v[20:21], v[62:63]
	v_add_f64 v[90:91], v[90:91], v[96:97]
	;; [unrolled: 2-line block ×3, first 2 shown]
	v_add_f64 v[126:127], v[90:91], v[100:101]
	buffer_load_dword v91, off, s[0:3], 0 offset:348
	buffer_load_dword v90, off, s[0:3], 0 offset:344
	;; [unrolled: 1-line block ×56, first 2 shown]
	v_fmac_f64_e32 v[124:125], v[4:5], v[52:53]
	v_add_f64 v[138:139], v[126:127], v[124:125]
	ds_read_b128 v[124:127], v136 offset:768
	buffer_load_dword v239, off, s[0:3], 0 offset:556
	buffer_load_dword v238, off, s[0:3], 0 offset:552
	;; [unrolled: 1-line block ×4, first 2 shown]
	v_add_f64 v[142:143], v[138:139], v[140:141]
	ds_read_b128 v[138:141], v136 offset:784
	v_mul_f64 v[24:25], v[24:25], v[42:43]
	s_waitcnt lgkmcnt(1)
	v_mul_f64 v[144:145], v[124:125], v[66:67]
	v_fmac_f64_e32 v[144:145], v[126:127], v[68:69]
	v_add_f64 v[146:147], v[142:143], v[144:145]
	ds_read_b128 v[142:145], v136 offset:800
	s_waitcnt vmcnt(62) lgkmcnt(1)
	v_mul_f64 v[148:149], v[138:139], v[78:79]
	v_fmac_f64_e32 v[148:149], v[140:141], v[80:81]
	v_add_f64 v[150:151], v[146:147], v[148:149]
	ds_read_b128 v[146:149], v136 offset:816
	s_waitcnt lgkmcnt(1)
	v_mul_f64 v[152:153], v[142:143], v[74:75]
	v_fmac_f64_e32 v[152:153], v[144:145], v[76:77]
	v_add_f64 v[154:155], v[150:151], v[152:153]
	ds_read_b128 v[150:153], v136 offset:832
	s_waitcnt lgkmcnt(1)
	v_mul_f64 v[156:157], v[146:147], v[86:87]
	s_waitcnt vmcnt(60)
	v_fmac_f64_e32 v[156:157], v[148:149], v[88:89]
	v_add_f64 v[158:159], v[154:155], v[156:157]
	ds_read_b128 v[154:157], v136 offset:848
	s_waitcnt lgkmcnt(1)
	v_mul_f64 v[160:161], v[150:151], v[82:83]
	v_fmac_f64_e32 v[160:161], v[152:153], v[84:85]
	v_add_f64 v[162:163], v[158:159], v[160:161]
	ds_read_b128 v[158:161], v136 offset:864
	v_add_f64 v[26:27], v[30:31], v[26:27]
	v_fma_f64 v[22:23], v[22:23], v[64:65], -v[24:25]
	s_waitcnt vmcnt(54) lgkmcnt(1)
	v_mul_f64 v[164:165], v[154:155], v[94:95]
	v_mul_f64 v[20:21], v[20:21], v[48:49]
	s_waitcnt vmcnt(52)
	v_fmac_f64_e32 v[164:165], v[156:157], v[96:97]
	v_add_f64 v[166:167], v[162:163], v[164:165]
	ds_read_b128 v[162:165], v136 offset:880
	s_waitcnt lgkmcnt(1)
	v_mul_f64 v[168:169], v[158:159], v[90:91]
	v_fmac_f64_e32 v[168:169], v[160:161], v[92:93]
	v_add_f64 v[22:23], v[26:27], v[22:23]
	v_fma_f64 v[18:19], v[18:19], v[62:63], -v[20:21]
	v_mul_f64 v[12:13], v[12:13], v[56:57]
	v_add_f64 v[170:171], v[166:167], v[168:169]
	ds_read_b128 v[166:169], v136 offset:896
	v_add_f64 v[18:19], v[22:23], v[18:19]
	v_fma_f64 v[10:11], v[10:11], v[58:59], -v[12:13]
	v_mul_f64 v[8:9], v[8:9], v[54:55]
	v_add_f64 v[10:11], v[18:19], v[10:11]
	v_fma_f64 v[6:7], v[6:7], v[60:61], -v[8:9]
	v_mul_f64 v[4:5], v[4:5], v[50:51]
	v_add_f64 v[6:7], v[10:11], v[6:7]
	v_fma_f64 v[2:3], v[2:3], v[52:53], -v[4:5]
	v_mul_f64 v[4:5], v[16:17], v[70:71]
	s_waitcnt vmcnt(46) lgkmcnt(1)
	v_mul_f64 v[172:173], v[162:163], v[102:103]
	v_add_f64 v[2:3], v[6:7], v[2:3]
	v_fma_f64 v[4:5], v[14:15], v[72:73], -v[4:5]
	s_waitcnt vmcnt(44)
	v_fmac_f64_e32 v[172:173], v[164:165], v[104:105]
	v_add_f64 v[2:3], v[2:3], v[4:5]
	v_mul_f64 v[4:5], v[126:127], v[66:67]
	v_add_f64 v[174:175], v[170:171], v[172:173]
	ds_read_b128 v[170:173], v136 offset:912
	s_waitcnt lgkmcnt(1)
	v_mul_f64 v[176:177], v[166:167], v[98:99]
	v_fma_f64 v[4:5], v[124:125], v[68:69], -v[4:5]
	v_fmac_f64_e32 v[176:177], v[168:169], v[100:101]
	v_add_f64 v[2:3], v[2:3], v[4:5]
	v_mul_f64 v[4:5], v[140:141], v[78:79]
	v_add_f64 v[186:187], v[174:175], v[176:177]
	ds_read_b128 v[174:177], v136 offset:928
	v_fma_f64 v[4:5], v[138:139], v[80:81], -v[4:5]
	v_add_f64 v[2:3], v[2:3], v[4:5]
	v_mul_f64 v[4:5], v[144:145], v[74:75]
	v_fma_f64 v[4:5], v[142:143], v[76:77], -v[4:5]
	s_waitcnt vmcnt(38) lgkmcnt(1)
	v_mul_f64 v[188:189], v[170:171], v[110:111]
	v_add_f64 v[2:3], v[2:3], v[4:5]
	v_mul_f64 v[4:5], v[148:149], v[86:87]
	s_waitcnt vmcnt(36)
	v_fmac_f64_e32 v[188:189], v[172:173], v[112:113]
	v_fma_f64 v[4:5], v[146:147], v[88:89], -v[4:5]
	v_add_f64 v[190:191], v[186:187], v[188:189]
	ds_read_b128 v[186:189], v136 offset:944
	s_waitcnt lgkmcnt(1)
	v_mul_f64 v[192:193], v[174:175], v[106:107]
	v_add_f64 v[2:3], v[2:3], v[4:5]
	v_mul_f64 v[4:5], v[152:153], v[82:83]
	v_fmac_f64_e32 v[192:193], v[176:177], v[108:109]
	v_fma_f64 v[4:5], v[150:151], v[84:85], -v[4:5]
	v_add_f64 v[194:195], v[190:191], v[192:193]
	ds_read_b128 v[190:193], v136 offset:960
	v_add_f64 v[2:3], v[2:3], v[4:5]
	v_mul_f64 v[4:5], v[156:157], v[94:95]
	v_fma_f64 v[4:5], v[154:155], v[96:97], -v[4:5]
	v_add_f64 v[2:3], v[2:3], v[4:5]
	v_mul_f64 v[4:5], v[160:161], v[90:91]
	s_waitcnt vmcnt(30) lgkmcnt(1)
	v_mul_f64 v[196:197], v[186:187], v[118:119]
	v_fma_f64 v[4:5], v[158:159], v[92:93], -v[4:5]
	s_waitcnt vmcnt(28)
	v_fmac_f64_e32 v[196:197], v[188:189], v[122:123]
	v_add_f64 v[2:3], v[2:3], v[4:5]
	v_mul_f64 v[4:5], v[164:165], v[102:103]
	v_add_f64 v[198:199], v[194:195], v[196:197]
	ds_read_b128 v[194:197], v136 offset:976
	s_waitcnt lgkmcnt(1)
	v_mul_f64 v[200:201], v[190:191], v[114:115]
	v_fma_f64 v[4:5], v[162:163], v[104:105], -v[4:5]
	v_fmac_f64_e32 v[200:201], v[192:193], v[116:117]
	v_add_f64 v[2:3], v[2:3], v[4:5]
	v_mul_f64 v[4:5], v[168:169], v[98:99]
	v_add_f64 v[202:203], v[198:199], v[200:201]
	ds_read_b128 v[198:201], v136 offset:992
	v_fma_f64 v[4:5], v[166:167], v[100:101], -v[4:5]
	v_add_f64 v[2:3], v[2:3], v[4:5]
	v_mul_f64 v[4:5], v[172:173], v[110:111]
	v_fma_f64 v[4:5], v[170:171], v[112:113], -v[4:5]
	s_waitcnt vmcnt(22) lgkmcnt(1)
	v_mul_f64 v[204:205], v[194:195], v[132:133]
	v_add_f64 v[2:3], v[2:3], v[4:5]
	v_mul_f64 v[4:5], v[176:177], v[106:107]
	s_waitcnt vmcnt(20)
	v_fmac_f64_e32 v[204:205], v[196:197], v[134:135]
	v_fma_f64 v[4:5], v[174:175], v[108:109], -v[4:5]
	v_add_f64 v[206:207], v[202:203], v[204:205]
	ds_read_b128 v[202:205], v136 offset:1008
	s_waitcnt lgkmcnt(1)
	v_mul_f64 v[208:209], v[198:199], v[128:129]
	v_add_f64 v[2:3], v[2:3], v[4:5]
	v_mul_f64 v[4:5], v[188:189], v[118:119]
	v_fmac_f64_e32 v[208:209], v[200:201], v[130:131]
	v_fma_f64 v[4:5], v[186:187], v[122:123], -v[4:5]
	v_add_f64 v[210:211], v[206:207], v[208:209]
	ds_read_b128 v[206:209], v136 offset:1024
	v_add_f64 v[2:3], v[2:3], v[4:5]
	v_mul_f64 v[4:5], v[192:193], v[114:115]
	v_fma_f64 v[4:5], v[190:191], v[116:117], -v[4:5]
	v_add_f64 v[2:3], v[2:3], v[4:5]
	v_mul_f64 v[4:5], v[196:197], v[132:133]
	s_waitcnt vmcnt(14) lgkmcnt(1)
	v_mul_f64 v[212:213], v[202:203], v[226:227]
	v_fma_f64 v[4:5], v[194:195], v[134:135], -v[4:5]
	s_waitcnt vmcnt(12)
	v_fmac_f64_e32 v[212:213], v[204:205], v[228:229]
	v_add_f64 v[2:3], v[2:3], v[4:5]
	v_mul_f64 v[4:5], v[200:201], v[128:129]
	v_add_f64 v[214:215], v[210:211], v[212:213]
	ds_read_b128 v[210:213], v136 offset:1040
	s_waitcnt lgkmcnt(1)
	v_mul_f64 v[216:217], v[206:207], v[222:223]
	v_fma_f64 v[4:5], v[198:199], v[130:131], -v[4:5]
	v_fmac_f64_e32 v[216:217], v[208:209], v[224:225]
	v_add_f64 v[2:3], v[2:3], v[4:5]
	v_mul_f64 v[4:5], v[204:205], v[226:227]
	v_add_f64 v[242:243], v[214:215], v[216:217]
	ds_read_b128 v[214:217], v136 offset:1056
	v_fma_f64 v[4:5], v[202:203], v[228:229], -v[4:5]
	v_add_f64 v[2:3], v[2:3], v[4:5]
	v_mul_f64 v[4:5], v[208:209], v[222:223]
	ds_read_b128 v[218:221], v136 offset:1072
	v_fma_f64 v[4:5], v[206:207], v[224:225], -v[4:5]
	v_add_f64 v[2:3], v[2:3], v[4:5]
	s_waitcnt vmcnt(6) lgkmcnt(2)
	v_mul_f64 v[4:5], v[212:213], v[234:235]
	v_mul_f64 v[244:245], v[210:211], v[234:235]
	s_waitcnt vmcnt(4)
	v_fma_f64 v[4:5], v[210:211], v[236:237], -v[4:5]
	v_fmac_f64_e32 v[244:245], v[212:213], v[236:237]
	v_add_f64 v[2:3], v[2:3], v[4:5]
	s_waitcnt lgkmcnt(1)
	v_mul_f64 v[4:5], v[216:217], v[230:231]
	v_add_f64 v[136:137], v[242:243], v[244:245]
	v_mul_f64 v[242:243], v[214:215], v[230:231]
	v_fma_f64 v[4:5], v[214:215], v[232:233], -v[4:5]
	v_fmac_f64_e32 v[242:243], v[216:217], v[232:233]
	v_add_f64 v[2:3], v[2:3], v[4:5]
	s_waitcnt vmcnt(2) lgkmcnt(0)
	v_mul_f64 v[4:5], v[220:221], v[238:239]
	v_add_f64 v[136:137], v[136:137], v[242:243]
	v_mul_f64 v[242:243], v[218:219], v[238:239]
	s_waitcnt vmcnt(0)
	v_fma_f64 v[4:5], v[218:219], v[240:241], -v[4:5]
	v_fmac_f64_e32 v[242:243], v[220:221], v[240:241]
	v_add_f64 v[2:3], v[2:3], v[4:5]
	v_add_f64 v[136:137], v[136:137], v[242:243]
	v_add_f64 v[2:3], v[46:47], -v[2:3]
	v_add_f64 v[4:5], v[44:45], -v[136:137]
	buffer_store_dword v3, off, s[0:3], 0 offset:100
	buffer_store_dword v2, off, s[0:3], 0 offset:96
	;; [unrolled: 1-line block ×4, first 2 shown]
	s_and_saveexec_b64 s[4:5], vcc
	s_cbranch_execz .LBB33_209
; %bb.208:
	v_accvgpr_read_b32 v5, a88
	buffer_load_dword v2, v5, s[0:3], 0 offen
	buffer_load_dword v3, v5, s[0:3], 0 offen offset:4
	buffer_load_dword v4, v5, s[0:3], 0 offen offset:8
	s_nop 0
	buffer_load_dword v5, v5, s[0:3], 0 offen offset:12
	v_mov_b32_e32 v6, 0
	buffer_store_dword v6, off, s[0:3], 0 offset:80
	buffer_store_dword v6, off, s[0:3], 0 offset:84
	;; [unrolled: 1-line block ×4, first 2 shown]
	s_waitcnt vmcnt(4)
	ds_write_b128 v1, v[2:5]
.LBB33_209:
	s_or_b64 exec, exec, s[4:5]
	s_waitcnt lgkmcnt(0)
	; wave barrier
	s_waitcnt lgkmcnt(0)
	buffer_load_dword v38, off, s[0:3], 0 offset:96
	buffer_load_dword v39, off, s[0:3], 0 offset:100
	;; [unrolled: 1-line block ×48, first 2 shown]
	v_mov_b32_e32 v152, 0
	ds_read_b128 v[34:37], v152 offset:624
	ds_read_b128 v[30:33], v152 offset:640
	ds_read_b128 v[26:29], v152 offset:656
	ds_read_b128 v[22:25], v152 offset:672
	ds_read_b128 v[18:21], v152 offset:688
	ds_read_b128 v[14:17], v152 offset:704
	ds_read_b128 v[10:13], v152 offset:720
	ds_read_b128 v[6:9], v152 offset:736
	ds_read_b128 v[2:5], v152 offset:752
	v_cmp_lt_u32_e32 vcc, 3, v0
	s_waitcnt vmcnt(44) lgkmcnt(8)
	v_mul_f64 v[86:87], v[34:35], v[42:43]
	v_fmac_f64_e32 v[86:87], v[36:37], v[38:39]
	v_add_f64 v[86:87], v[86:87], 0
	v_mul_f64 v[36:37], v[36:37], v[42:43]
	s_waitcnt vmcnt(40) lgkmcnt(7)
	v_mul_f64 v[88:89], v[30:31], v[44:45]
	v_fmac_f64_e32 v[88:89], v[32:33], v[40:41]
	s_waitcnt vmcnt(38) lgkmcnt(6)
	v_mul_f64 v[90:91], v[26:27], v[46:47]
	v_add_f64 v[86:87], v[86:87], v[88:89]
	s_waitcnt vmcnt(36) lgkmcnt(4)
	v_mul_f64 v[94:95], v[18:19], v[48:49]
	v_fma_f64 v[34:35], v[34:35], v[38:39], -v[36:37]
	s_waitcnt vmcnt(34)
	v_fmac_f64_e32 v[94:95], v[20:21], v[50:51]
	v_mul_f64 v[32:33], v[32:33], v[44:45]
	s_waitcnt vmcnt(32)
	v_mul_f64 v[92:93], v[22:23], v[52:53]
	v_add_f64 v[34:35], v[34:35], 0
	s_waitcnt vmcnt(30) lgkmcnt(2)
	v_mul_f64 v[98:99], v[10:11], v[54:55]
	v_fma_f64 v[30:31], v[30:31], v[40:41], -v[32:33]
	s_waitcnt vmcnt(28)
	v_fmac_f64_e32 v[98:99], v[12:13], v[56:57]
	v_add_f64 v[30:31], v[34:35], v[30:31]
	s_waitcnt vmcnt(26)
	v_mul_f64 v[96:97], v[14:15], v[58:59]
	v_mul_f64 v[20:21], v[20:21], v[48:49]
	v_fma_f64 v[18:19], v[18:19], v[50:51], -v[20:21]
	v_mul_f64 v[12:13], v[12:13], v[54:55]
	s_waitcnt vmcnt(22) lgkmcnt(1)
	v_mul_f64 v[110:111], v[6:7], v[68:69]
	v_fma_f64 v[10:11], v[10:11], v[56:57], -v[12:13]
	s_waitcnt vmcnt(20)
	v_fmac_f64_e32 v[90:91], v[28:29], v[76:77]
	v_add_f64 v[86:87], v[86:87], v[90:91]
	s_waitcnt vmcnt(18)
	v_fmac_f64_e32 v[92:93], v[24:25], v[74:75]
	v_add_f64 v[86:87], v[86:87], v[92:93]
	;; [unrolled: 3-line block ×3, first 2 shown]
	v_add_f64 v[86:87], v[86:87], v[96:97]
	v_add_f64 v[112:113], v[86:87], v[98:99]
	buffer_load_dword v87, off, s[0:3], 0 offset:300
	buffer_load_dword v86, off, s[0:3], 0 offset:296
	;; [unrolled: 1-line block ×72, first 2 shown]
	s_waitcnt vmcnt(62)
	v_fmac_f64_e32 v[110:111], v[8:9], v[70:71]
	v_add_f64 v[144:145], v[112:113], v[110:111]
	ds_read_b128 v[110:113], v152 offset:768
	s_waitcnt lgkmcnt(1)
	v_mul_f64 v[146:147], v[2:3], v[64:65]
	v_fmac_f64_e32 v[146:147], v[4:5], v[66:67]
	v_add_f64 v[148:149], v[144:145], v[146:147]
	ds_read_b128 v[144:147], v152 offset:784
	s_waitcnt lgkmcnt(1)
	v_mul_f64 v[150:151], v[110:111], v[82:83]
	;; [unrolled: 5-line block ×5, first 2 shown]
	v_fmac_f64_e32 v[164:165], v[156:157], v[88:89]
	v_add_f64 v[166:167], v[162:163], v[164:165]
	ds_read_b128 v[162:165], v152 offset:848
	s_waitcnt vmcnt(58) lgkmcnt(1)
	v_mul_f64 v[168:169], v[158:159], v[98:99]
	s_waitcnt vmcnt(56)
	v_fmac_f64_e32 v[168:169], v[160:161], v[100:101]
	v_add_f64 v[170:171], v[166:167], v[168:169]
	ds_read_b128 v[166:169], v152 offset:864
	s_waitcnt lgkmcnt(1)
	v_mul_f64 v[172:173], v[162:163], v[94:95]
	v_fmac_f64_e32 v[172:173], v[164:165], v[96:97]
	v_mul_f64 v[28:29], v[28:29], v[46:47]
	v_add_f64 v[174:175], v[170:171], v[172:173]
	ds_read_b128 v[170:173], v152 offset:880
	s_waitcnt vmcnt(50) lgkmcnt(1)
	v_mul_f64 v[176:177], v[166:167], v[106:107]
	v_fma_f64 v[26:27], v[26:27], v[76:77], -v[28:29]
	v_mul_f64 v[24:25], v[24:25], v[52:53]
	s_waitcnt vmcnt(48)
	v_fmac_f64_e32 v[176:177], v[168:169], v[108:109]
	v_add_f64 v[26:27], v[30:31], v[26:27]
	v_fma_f64 v[22:23], v[22:23], v[74:75], -v[24:25]
	v_add_f64 v[186:187], v[174:175], v[176:177]
	ds_read_b128 v[174:177], v152 offset:896
	v_add_f64 v[22:23], v[26:27], v[22:23]
	v_mul_f64 v[16:17], v[16:17], v[58:59]
	v_add_f64 v[18:19], v[22:23], v[18:19]
	v_fma_f64 v[14:15], v[14:15], v[72:73], -v[16:17]
	v_add_f64 v[14:15], v[18:19], v[14:15]
	v_mul_f64 v[8:9], v[8:9], v[68:69]
	s_waitcnt lgkmcnt(1)
	v_mul_f64 v[188:189], v[170:171], v[102:103]
	v_add_f64 v[10:11], v[14:15], v[10:11]
	v_fma_f64 v[6:7], v[6:7], v[70:71], -v[8:9]
	v_mul_f64 v[4:5], v[4:5], v[64:65]
	v_fmac_f64_e32 v[188:189], v[172:173], v[104:105]
	v_add_f64 v[6:7], v[10:11], v[6:7]
	v_fma_f64 v[2:3], v[2:3], v[66:67], -v[4:5]
	v_mul_f64 v[4:5], v[112:113], v[82:83]
	v_add_f64 v[190:191], v[186:187], v[188:189]
	ds_read_b128 v[186:189], v152 offset:912
	s_waitcnt vmcnt(42) lgkmcnt(1)
	v_mul_f64 v[192:193], v[174:175], v[118:119]
	v_add_f64 v[2:3], v[6:7], v[2:3]
	v_fma_f64 v[4:5], v[110:111], v[84:85], -v[4:5]
	s_waitcnt vmcnt(40)
	v_fmac_f64_e32 v[192:193], v[176:177], v[122:123]
	v_add_f64 v[2:3], v[2:3], v[4:5]
	v_mul_f64 v[4:5], v[146:147], v[78:79]
	v_add_f64 v[194:195], v[190:191], v[192:193]
	ds_read_b128 v[190:193], v152 offset:928
	v_fma_f64 v[4:5], v[144:145], v[80:81], -v[4:5]
	v_add_f64 v[2:3], v[2:3], v[4:5]
	v_mul_f64 v[4:5], v[150:151], v[90:91]
	v_fma_f64 v[4:5], v[148:149], v[92:93], -v[4:5]
	s_waitcnt lgkmcnt(1)
	v_mul_f64 v[196:197], v[186:187], v[114:115]
	v_add_f64 v[2:3], v[2:3], v[4:5]
	v_mul_f64 v[4:5], v[156:157], v[86:87]
	v_fmac_f64_e32 v[196:197], v[188:189], v[116:117]
	v_fma_f64 v[4:5], v[154:155], v[88:89], -v[4:5]
	v_add_f64 v[198:199], v[194:195], v[196:197]
	ds_read_b128 v[194:197], v152 offset:944
	s_waitcnt vmcnt(34) lgkmcnt(1)
	v_mul_f64 v[200:201], v[190:191], v[128:129]
	v_add_f64 v[2:3], v[2:3], v[4:5]
	v_mul_f64 v[4:5], v[160:161], v[98:99]
	s_waitcnt vmcnt(32)
	v_fmac_f64_e32 v[200:201], v[192:193], v[130:131]
	v_fma_f64 v[4:5], v[158:159], v[100:101], -v[4:5]
	v_add_f64 v[202:203], v[198:199], v[200:201]
	ds_read_b128 v[198:201], v152 offset:960
	v_add_f64 v[2:3], v[2:3], v[4:5]
	v_mul_f64 v[4:5], v[164:165], v[94:95]
	v_fma_f64 v[4:5], v[162:163], v[96:97], -v[4:5]
	v_add_f64 v[2:3], v[2:3], v[4:5]
	v_mul_f64 v[4:5], v[168:169], v[106:107]
	s_waitcnt lgkmcnt(1)
	v_mul_f64 v[204:205], v[194:195], v[124:125]
	v_fma_f64 v[4:5], v[166:167], v[108:109], -v[4:5]
	v_fmac_f64_e32 v[204:205], v[196:197], v[126:127]
	v_add_f64 v[2:3], v[2:3], v[4:5]
	v_mul_f64 v[4:5], v[172:173], v[102:103]
	v_add_f64 v[206:207], v[202:203], v[204:205]
	ds_read_b128 v[202:205], v152 offset:976
	s_waitcnt vmcnt(26) lgkmcnt(1)
	v_mul_f64 v[208:209], v[198:199], v[136:137]
	v_fma_f64 v[4:5], v[170:171], v[104:105], -v[4:5]
	s_waitcnt vmcnt(24)
	v_fmac_f64_e32 v[208:209], v[200:201], v[138:139]
	v_add_f64 v[2:3], v[2:3], v[4:5]
	v_mul_f64 v[4:5], v[176:177], v[118:119]
	v_add_f64 v[210:211], v[206:207], v[208:209]
	ds_read_b128 v[206:209], v152 offset:992
	v_fma_f64 v[4:5], v[174:175], v[122:123], -v[4:5]
	v_add_f64 v[2:3], v[2:3], v[4:5]
	v_mul_f64 v[4:5], v[188:189], v[114:115]
	v_fma_f64 v[4:5], v[186:187], v[116:117], -v[4:5]
	s_waitcnt lgkmcnt(1)
	v_mul_f64 v[212:213], v[202:203], v[132:133]
	v_add_f64 v[2:3], v[2:3], v[4:5]
	v_mul_f64 v[4:5], v[192:193], v[128:129]
	v_fmac_f64_e32 v[212:213], v[204:205], v[134:135]
	v_fma_f64 v[4:5], v[190:191], v[130:131], -v[4:5]
	v_add_f64 v[214:215], v[210:211], v[212:213]
	ds_read_b128 v[210:213], v152 offset:1008
	s_waitcnt vmcnt(18) lgkmcnt(1)
	v_mul_f64 v[216:217], v[206:207], v[230:231]
	v_add_f64 v[2:3], v[2:3], v[4:5]
	v_mul_f64 v[4:5], v[196:197], v[124:125]
	s_waitcnt vmcnt(16)
	v_fmac_f64_e32 v[216:217], v[208:209], v[232:233]
	v_fma_f64 v[4:5], v[194:195], v[126:127], -v[4:5]
	v_add_f64 v[218:219], v[214:215], v[216:217]
	ds_read_b128 v[214:217], v152 offset:1024
	v_add_f64 v[2:3], v[2:3], v[4:5]
	v_mul_f64 v[4:5], v[200:201], v[136:137]
	v_fma_f64 v[4:5], v[198:199], v[138:139], -v[4:5]
	v_add_f64 v[2:3], v[2:3], v[4:5]
	v_mul_f64 v[4:5], v[204:205], v[132:133]
	s_waitcnt lgkmcnt(1)
	v_mul_f64 v[220:221], v[210:211], v[140:141]
	v_fma_f64 v[4:5], v[202:203], v[134:135], -v[4:5]
	v_fmac_f64_e32 v[220:221], v[212:213], v[142:143]
	v_add_f64 v[2:3], v[2:3], v[4:5]
	v_mul_f64 v[4:5], v[208:209], v[230:231]
	v_add_f64 v[222:223], v[218:219], v[220:221]
	ds_read_b128 v[218:221], v152 offset:1040
	s_waitcnt vmcnt(10) lgkmcnt(1)
	v_mul_f64 v[224:225], v[214:215], v[238:239]
	v_fma_f64 v[4:5], v[206:207], v[232:233], -v[4:5]
	s_waitcnt vmcnt(8)
	v_fmac_f64_e32 v[224:225], v[216:217], v[240:241]
	v_add_f64 v[2:3], v[2:3], v[4:5]
	v_mul_f64 v[4:5], v[212:213], v[140:141]
	v_add_f64 v[250:251], v[222:223], v[224:225]
	ds_read_b128 v[222:225], v152 offset:1056
	ds_read_b128 v[226:229], v152 offset:1072
	v_fma_f64 v[4:5], v[210:211], v[142:143], -v[4:5]
	v_add_f64 v[2:3], v[2:3], v[4:5]
	v_mul_f64 v[4:5], v[216:217], v[238:239]
	v_fma_f64 v[4:5], v[214:215], v[240:241], -v[4:5]
	v_add_f64 v[2:3], v[2:3], v[4:5]
	s_waitcnt lgkmcnt(2)
	v_mul_f64 v[4:5], v[220:221], v[234:235]
	v_mul_f64 v[252:253], v[218:219], v[234:235]
	v_fma_f64 v[4:5], v[218:219], v[236:237], -v[4:5]
	v_fmac_f64_e32 v[252:253], v[220:221], v[236:237]
	v_add_f64 v[2:3], v[2:3], v[4:5]
	s_waitcnt vmcnt(2) lgkmcnt(1)
	v_mul_f64 v[4:5], v[224:225], v[246:247]
	v_add_f64 v[250:251], v[250:251], v[252:253]
	v_mul_f64 v[252:253], v[222:223], v[246:247]
	s_waitcnt vmcnt(0)
	v_fma_f64 v[4:5], v[222:223], v[248:249], -v[4:5]
	v_fmac_f64_e32 v[252:253], v[224:225], v[248:249]
	v_add_f64 v[2:3], v[2:3], v[4:5]
	s_waitcnt lgkmcnt(0)
	v_mul_f64 v[4:5], v[228:229], v[242:243]
	v_add_f64 v[250:251], v[250:251], v[252:253]
	v_mul_f64 v[252:253], v[226:227], v[242:243]
	v_fma_f64 v[4:5], v[226:227], v[244:245], -v[4:5]
	v_fmac_f64_e32 v[252:253], v[228:229], v[244:245]
	v_add_f64 v[2:3], v[2:3], v[4:5]
	v_add_f64 v[250:251], v[250:251], v[252:253]
	v_add_f64 v[2:3], v[62:63], -v[2:3]
	v_add_f64 v[4:5], v[60:61], -v[250:251]
	buffer_store_dword v3, off, s[0:3], 0 offset:84
	buffer_store_dword v2, off, s[0:3], 0 offset:80
	;; [unrolled: 1-line block ×4, first 2 shown]
	s_and_saveexec_b64 s[4:5], vcc
	s_cbranch_execz .LBB33_211
; %bb.210:
	v_accvgpr_read_b32 v5, a92
	buffer_load_dword v2, v5, s[0:3], 0 offen
	buffer_load_dword v3, v5, s[0:3], 0 offen offset:4
	buffer_load_dword v4, v5, s[0:3], 0 offen offset:8
	s_nop 0
	buffer_load_dword v5, v5, s[0:3], 0 offen offset:12
	s_nop 0
	buffer_store_dword v152, off, s[0:3], 0 offset:64
	buffer_store_dword v152, off, s[0:3], 0 offset:68
	;; [unrolled: 1-line block ×4, first 2 shown]
	s_waitcnt vmcnt(4)
	ds_write_b128 v1, v[2:5]
.LBB33_211:
	s_or_b64 exec, exec, s[4:5]
	s_waitcnt lgkmcnt(0)
	; wave barrier
	s_waitcnt lgkmcnt(0)
	buffer_load_dword v48, off, s[0:3], 0 offset:80
	buffer_load_dword v49, off, s[0:3], 0 offset:84
	;; [unrolled: 1-line block ×40, first 2 shown]
	ds_read_b128 v[38:41], v152 offset:608
	ds_read_b128 v[34:37], v152 offset:624
	ds_read_b128 v[30:33], v152 offset:640
	ds_read_b128 v[26:29], v152 offset:656
	ds_read_b128 v[22:25], v152 offset:672
	ds_read_b128 v[18:21], v152 offset:688
	ds_read_b128 v[10:13], v152 offset:704
	ds_read_b128 v[6:9], v152 offset:720
	ds_read_b128 v[2:5], v152 offset:736
	ds_read_b128 v[14:17], v152 offset:752
	buffer_load_dword v83, off, s[0:3], 0 offset:252
	buffer_load_dword v82, off, s[0:3], 0 offset:248
	;; [unrolled: 1-line block ×8, first 2 shown]
	v_cmp_lt_u32_e32 vcc, 2, v0
	s_waitcnt vmcnt(44) lgkmcnt(9)
	v_mul_f64 v[90:91], v[38:39], v[50:51]
	v_fmac_f64_e32 v[90:91], v[40:41], v[48:49]
	v_add_f64 v[90:91], v[90:91], 0
	v_mul_f64 v[40:41], v[40:41], v[50:51]
	s_waitcnt vmcnt(40) lgkmcnt(8)
	v_mul_f64 v[92:93], v[34:35], v[44:45]
	v_fmac_f64_e32 v[92:93], v[36:37], v[42:43]
	s_waitcnt vmcnt(38) lgkmcnt(7)
	v_mul_f64 v[94:95], v[30:31], v[46:47]
	v_add_f64 v[90:91], v[90:91], v[92:93]
	s_waitcnt vmcnt(36) lgkmcnt(5)
	v_mul_f64 v[98:99], v[22:23], v[52:53]
	v_mul_f64 v[36:37], v[36:37], v[44:45]
	s_waitcnt vmcnt(34)
	v_fmac_f64_e32 v[98:99], v[24:25], v[54:55]
	v_fma_f64 v[34:35], v[34:35], v[42:43], -v[36:37]
	s_waitcnt vmcnt(32)
	v_mul_f64 v[96:97], v[26:27], v[56:57]
	v_mul_f64 v[24:25], v[24:25], v[52:53]
	s_waitcnt vmcnt(30) lgkmcnt(4)
	v_mul_f64 v[100:101], v[18:19], v[62:63]
	v_fma_f64 v[22:23], v[22:23], v[54:55], -v[24:25]
	s_waitcnt vmcnt(28) lgkmcnt(1)
	v_mul_f64 v[124:125], v[2:3], v[64:65]
	s_waitcnt vmcnt(25)
	v_mul_f64 v[104:105], v[6:7], v[68:69]
	s_waitcnt vmcnt(23)
	;; [unrolled: 2-line block ×3, first 2 shown]
	v_fmac_f64_e32 v[102:103], v[12:13], v[72:73]
	v_mul_f64 v[12:13], v[12:13], v[70:71]
	s_waitcnt vmcnt(19)
	v_fmac_f64_e32 v[94:95], v[32:33], v[80:81]
	v_add_f64 v[90:91], v[90:91], v[94:95]
	s_waitcnt vmcnt(17)
	v_fmac_f64_e32 v[96:97], v[28:29], v[78:79]
	v_add_f64 v[90:91], v[90:91], v[96:97]
	;; [unrolled: 3-line block ×3, first 2 shown]
	v_add_f64 v[90:91], v[90:91], v[100:101]
	s_waitcnt vmcnt(13)
	v_fmac_f64_e32 v[104:105], v[8:9], v[74:75]
	v_add_f64 v[90:91], v[90:91], v[102:103]
	v_add_f64 v[126:127], v[90:91], v[104:105]
	buffer_load_dword v91, off, s[0:3], 0 offset:284
	buffer_load_dword v90, off, s[0:3], 0 offset:280
	;; [unrolled: 1-line block ×72, first 2 shown]
	s_waitcnt vmcnt(62)
	v_fmac_f64_e32 v[124:125], v[4:5], v[66:67]
	v_add_f64 v[154:155], v[126:127], v[124:125]
	ds_read_b128 v[124:127], v152 offset:768
	buffer_load_dword v247, off, s[0:3], 0 offset:556
	buffer_load_dword v246, off, s[0:3], 0 offset:552
	;; [unrolled: 1-line block ×4, first 2 shown]
	s_waitcnt lgkmcnt(1)
	v_mul_f64 v[156:157], v[14:15], v[86:87]
	v_fmac_f64_e32 v[156:157], v[16:17], v[88:89]
	v_add_f64 v[158:159], v[154:155], v[156:157]
	ds_read_b128 v[154:157], v152 offset:784
	s_waitcnt lgkmcnt(1)
	v_mul_f64 v[160:161], v[124:125], v[82:83]
	v_fmac_f64_e32 v[160:161], v[126:127], v[84:85]
	v_add_f64 v[162:163], v[158:159], v[160:161]
	ds_read_b128 v[158:161], v152 offset:800
	v_mul_f64 v[32:33], v[32:33], v[46:47]
	s_waitcnt lgkmcnt(1)
	v_mul_f64 v[164:165], v[154:155], v[94:95]
	v_fma_f64 v[30:31], v[30:31], v[80:81], -v[32:33]
	v_fmac_f64_e32 v[164:165], v[156:157], v[96:97]
	v_add_f64 v[166:167], v[162:163], v[164:165]
	ds_read_b128 v[162:165], v152 offset:816
	s_waitcnt lgkmcnt(1)
	v_mul_f64 v[168:169], v[158:159], v[90:91]
	v_fmac_f64_e32 v[168:169], v[160:161], v[92:93]
	v_add_f64 v[170:171], v[166:167], v[168:169]
	ds_read_b128 v[166:169], v152 offset:832
	s_waitcnt vmcnt(62) lgkmcnt(1)
	v_mul_f64 v[172:173], v[162:163], v[102:103]
	s_waitcnt vmcnt(60)
	v_fmac_f64_e32 v[172:173], v[164:165], v[104:105]
	v_add_f64 v[174:175], v[170:171], v[172:173]
	ds_read_b128 v[170:173], v152 offset:848
	s_waitcnt lgkmcnt(1)
	v_mul_f64 v[176:177], v[166:167], v[98:99]
	v_fmac_f64_e32 v[176:177], v[168:169], v[100:101]
	v_add_f64 v[186:187], v[174:175], v[176:177]
	ds_read_b128 v[174:177], v152 offset:864
	s_waitcnt vmcnt(54) lgkmcnt(1)
	v_mul_f64 v[188:189], v[170:171], v[110:111]
	s_waitcnt vmcnt(52)
	;; [unrolled: 11-line block ×7, first 2 shown]
	v_fmac_f64_e32 v[228:229], v[220:221], v[236:237]
	v_add_f64 v[250:251], v[226:227], v[228:229]
	ds_read_b128 v[226:229], v152 offset:1040
	s_waitcnt lgkmcnt(1)
	v_mul_f64 v[252:253], v[222:223], v[230:231]
	v_fmac_f64_e32 v[252:253], v[224:225], v[232:233]
	v_add_f64 v[250:251], v[250:251], v[252:253]
	v_fma_f64 v[252:253], v[38:39], v[48:49], -v[40:41]
	ds_read_b128 v[38:41], v152 offset:1056
	ds_read_b128 v[48:51], v152 offset:1072
	s_waitcnt vmcnt(6) lgkmcnt(2)
	v_mul_f64 v[254:255], v[226:227], v[242:243]
	s_waitcnt vmcnt(4)
	v_fmac_f64_e32 v[254:255], v[228:229], v[244:245]
	v_add_f64 v[152:153], v[250:251], v[254:255]
	s_waitcnt lgkmcnt(1)
	v_mul_f64 v[250:251], v[38:39], v[238:239]
	v_fmac_f64_e32 v[250:251], v[40:41], v[240:241]
	v_add_f64 v[152:153], v[152:153], v[250:251]
	s_waitcnt vmcnt(2) lgkmcnt(0)
	v_mul_f64 v[250:251], v[48:49], v[246:247]
	s_waitcnt vmcnt(0)
	v_fmac_f64_e32 v[250:251], v[50:51], v[248:249]
	v_add_f64 v[152:153], v[152:153], v[250:251]
	v_add_f64 v[250:251], v[252:253], 0
	;; [unrolled: 1-line block ×3, first 2 shown]
	v_mul_f64 v[28:29], v[28:29], v[56:57]
	v_add_f64 v[30:31], v[34:35], v[30:31]
	v_fma_f64 v[26:27], v[26:27], v[78:79], -v[28:29]
	v_add_f64 v[26:27], v[30:31], v[26:27]
	v_mul_f64 v[20:21], v[20:21], v[62:63]
	v_add_f64 v[22:23], v[26:27], v[22:23]
	v_fma_f64 v[18:19], v[18:19], v[76:77], -v[20:21]
	v_add_f64 v[18:19], v[22:23], v[18:19]
	v_fma_f64 v[10:11], v[10:11], v[72:73], -v[12:13]
	v_mul_f64 v[8:9], v[8:9], v[68:69]
	v_add_f64 v[10:11], v[18:19], v[10:11]
	v_fma_f64 v[6:7], v[6:7], v[74:75], -v[8:9]
	v_mul_f64 v[4:5], v[4:5], v[64:65]
	;; [unrolled: 3-line block ×3, first 2 shown]
	v_add_f64 v[2:3], v[6:7], v[2:3]
	v_fma_f64 v[4:5], v[14:15], v[88:89], -v[4:5]
	v_add_f64 v[2:3], v[2:3], v[4:5]
	v_mul_f64 v[4:5], v[126:127], v[82:83]
	v_fma_f64 v[4:5], v[124:125], v[84:85], -v[4:5]
	v_add_f64 v[2:3], v[2:3], v[4:5]
	v_mul_f64 v[4:5], v[156:157], v[94:95]
	;; [unrolled: 3-line block ×20, first 2 shown]
	v_fma_f64 v[4:5], v[48:49], v[248:249], -v[4:5]
	v_add_f64 v[2:3], v[2:3], v[4:5]
	v_add_f64 v[2:3], v[60:61], -v[2:3]
	v_add_f64 v[4:5], v[58:59], -v[152:153]
	buffer_store_dword v3, off, s[0:3], 0 offset:68
	buffer_store_dword v2, off, s[0:3], 0 offset:64
	;; [unrolled: 1-line block ×4, first 2 shown]
	s_and_saveexec_b64 s[4:5], vcc
	s_cbranch_execz .LBB33_213
; %bb.212:
	v_accvgpr_read_b32 v5, a93
	buffer_load_dword v2, v5, s[0:3], 0 offen
	buffer_load_dword v3, v5, s[0:3], 0 offen offset:4
	buffer_load_dword v4, v5, s[0:3], 0 offen offset:8
	s_nop 0
	buffer_load_dword v5, v5, s[0:3], 0 offen offset:12
	v_mov_b32_e32 v6, 0
	buffer_store_dword v6, off, s[0:3], 0 offset:48
	buffer_store_dword v6, off, s[0:3], 0 offset:52
	buffer_store_dword v6, off, s[0:3], 0 offset:56
	buffer_store_dword v6, off, s[0:3], 0 offset:60
	s_waitcnt vmcnt(4)
	ds_write_b128 v1, v[2:5]
.LBB33_213:
	s_or_b64 exec, exec, s[4:5]
	s_waitcnt lgkmcnt(0)
	; wave barrier
	s_waitcnt lgkmcnt(0)
	buffer_load_dword v106, off, s[0:3], 0 offset:64
	buffer_load_dword v107, off, s[0:3], 0 offset:68
	;; [unrolled: 1-line block ×49, first 2 shown]
	v_mov_b32_e32 v176, 0
	ds_read_b128 v[110:113], v176 offset:592
	ds_read_b128 v[172:175], v176 offset:608
	ds_read_b128 v[30:33], v176 offset:624
	ds_read_b128 v[26:29], v176 offset:640
	ds_read_b128 v[22:25], v176 offset:656
	ds_read_b128 v[18:21], v176 offset:672
	ds_read_b128 v[14:17], v176 offset:688
	ds_read_b128 v[10:13], v176 offset:704
	ds_read_b128 v[6:9], v176 offset:720
	ds_read_b128 v[2:5], v176 offset:736
	buffer_load_dword v226, off, s[0:3], 0 offset:256
	buffer_load_dword v133, off, s[0:3], 0 offset:252
	;; [unrolled: 1-line block ×69, first 2 shown]
	v_cmp_lt_u32_e32 vcc, 1, v0
	s_waitcnt vmcnt(62) lgkmcnt(9)
	v_mul_f64 v[34:35], v[110:111], v[108:109]
	v_fmac_f64_e32 v[34:35], v[112:113], v[106:107]
	v_add_f64 v[34:35], v[34:35], 0
	v_mul_f64 v[108:109], v[112:113], v[108:109]
	s_waitcnt lgkmcnt(8)
	v_mul_f64 v[36:37], v[172:173], v[116:117]
	v_fmac_f64_e32 v[36:37], v[174:175], v[114:115]
	s_waitcnt lgkmcnt(7)
	v_mul_f64 v[38:39], v[30:31], v[186:187]
	v_add_f64 v[34:35], v[34:35], v[36:37]
	s_waitcnt lgkmcnt(5)
	v_mul_f64 v[42:43], v[22:23], v[188:189]
	v_mul_f64 v[116:117], v[174:175], v[116:117]
	v_fmac_f64_e32 v[42:43], v[24:25], v[190:191]
	v_fma_f64 v[172:173], v[172:173], v[114:115], -v[116:117]
	v_mul_f64 v[40:41], v[26:27], v[192:193]
	v_mul_f64 v[24:25], v[24:25], v[188:189]
	s_waitcnt lgkmcnt(3)
	v_mul_f64 v[46:47], v[14:15], v[194:195]
	v_fma_f64 v[22:23], v[22:23], v[190:191], -v[24:25]
	v_fmac_f64_e32 v[46:47], v[16:17], v[196:197]
	v_mul_f64 v[16:17], v[16:17], v[194:195]
	v_mul_f64 v[44:45], v[18:19], v[198:199]
	v_fma_f64 v[14:15], v[14:15], v[196:197], -v[16:17]
	s_waitcnt lgkmcnt(1)
	v_mul_f64 v[50:51], v[6:7], v[200:201]
	v_fmac_f64_e32 v[50:51], v[8:9], v[202:203]
	v_mul_f64 v[8:9], v[8:9], v[200:201]
	v_mul_f64 v[48:49], v[10:11], v[208:209]
	v_fma_f64 v[6:7], v[6:7], v[202:203], -v[8:9]
	s_waitcnt lgkmcnt(0)
	v_mul_f64 v[52:53], v[2:3], v[204:205]
	v_fmac_f64_e32 v[38:39], v[32:33], v[220:221]
	v_add_f64 v[34:35], v[34:35], v[38:39]
	v_fmac_f64_e32 v[40:41], v[28:29], v[218:219]
	v_add_f64 v[34:35], v[34:35], v[40:41]
	;; [unrolled: 2-line block ×3, first 2 shown]
	v_add_f64 v[34:35], v[34:35], v[44:45]
	v_fmac_f64_e32 v[48:49], v[12:13], v[214:215]
	v_add_f64 v[34:35], v[34:35], v[46:47]
	v_add_f64 v[34:35], v[34:35], v[48:49]
	v_fmac_f64_e32 v[52:53], v[4:5], v[212:213]
	v_add_f64 v[34:35], v[34:35], v[50:51]
	v_add_f64 v[42:43], v[34:35], v[52:53]
	ds_read_b128 v[38:41], v176 offset:752
	ds_read_b128 v[34:37], v176 offset:768
	buffer_load_dword v243, off, s[0:3], 0 offset:556
	buffer_load_dword v242, off, s[0:3], 0 offset:552
	;; [unrolled: 1-line block ×8, first 2 shown]
	ds_read_b128 v[114:117], v176 offset:1072
	v_mul_f64 v[32:33], v[32:33], v[186:187]
	s_waitcnt lgkmcnt(2)
	v_mul_f64 v[44:45], v[38:39], v[210:211]
	v_fmac_f64_e32 v[44:45], v[40:41], v[222:223]
	v_add_f64 v[46:47], v[42:43], v[44:45]
	ds_read_b128 v[42:45], v176 offset:784
	s_waitcnt lgkmcnt(2)
	v_mul_f64 v[48:49], v[34:35], v[132:133]
	v_fmac_f64_e32 v[48:49], v[36:37], v[136:137]
	v_add_f64 v[50:51], v[46:47], v[48:49]
	ds_read_b128 v[46:49], v176 offset:800
	;; [unrolled: 5-line block ×3, first 2 shown]
	s_waitcnt vmcnt(62) lgkmcnt(1)
	v_mul_f64 v[56:57], v[46:47], v[140:141]
	v_fmac_f64_e32 v[56:57], v[48:49], v[144:145]
	v_add_f64 v[58:59], v[54:55], v[56:57]
	ds_read_b128 v[54:57], v176 offset:832
	s_waitcnt lgkmcnt(1)
	v_mul_f64 v[60:61], v[50:51], v[118:119]
	v_fmac_f64_e32 v[60:61], v[52:53], v[122:123]
	v_add_f64 v[62:63], v[58:59], v[60:61]
	ds_read_b128 v[58:61], v176 offset:848
	s_waitcnt vmcnt(58) lgkmcnt(1)
	v_mul_f64 v[64:65], v[54:55], v[148:149]
	s_waitcnt vmcnt(56)
	v_fmac_f64_e32 v[64:65], v[56:57], v[152:153]
	v_add_f64 v[66:67], v[62:63], v[64:65]
	ds_read_b128 v[62:65], v176 offset:864
	s_waitcnt lgkmcnt(1)
	v_mul_f64 v[68:69], v[58:59], v[124:125]
	v_fmac_f64_e32 v[68:69], v[60:61], v[126:127]
	v_add_f64 v[70:71], v[66:67], v[68:69]
	ds_read_b128 v[66:69], v176 offset:880
	s_waitcnt vmcnt(50) lgkmcnt(1)
	v_mul_f64 v[72:73], v[62:63], v[156:157]
	s_waitcnt vmcnt(48)
	;; [unrolled: 11-line block ×5, first 2 shown]
	v_fmac_f64_e32 v[96:97], v[88:89], v[240:241]
	v_add_f64 v[98:99], v[94:95], v[96:97]
	ds_read_b128 v[94:97], v176 offset:992
	s_waitcnt lgkmcnt(1)
	v_mul_f64 v[100:101], v[90:91], v[150:151]
	v_fmac_f64_e32 v[100:101], v[92:93], v[154:155]
	v_add_f64 v[168:169], v[98:99], v[100:101]
	ds_read_b128 v[98:101], v176 offset:1008
	ds_read_b128 v[102:105], v176 offset:1024
	s_waitcnt vmcnt(18) lgkmcnt(2)
	v_mul_f64 v[170:171], v[94:95], v[244:245]
	s_waitcnt vmcnt(16)
	v_fmac_f64_e32 v[170:171], v[96:97], v[248:249]
	v_add_f64 v[168:169], v[168:169], v[170:171]
	s_waitcnt lgkmcnt(1)
	v_mul_f64 v[170:171], v[98:99], v[158:159]
	v_fmac_f64_e32 v[170:171], v[100:101], v[162:163]
	v_add_f64 v[168:169], v[168:169], v[170:171]
	v_fma_f64 v[170:171], v[110:111], v[106:107], -v[108:109]
	ds_read_b128 v[110:113], v176 offset:1040
	ds_read_b128 v[106:109], v176 offset:1056
	s_waitcnt vmcnt(10) lgkmcnt(2)
	v_mul_f64 v[178:179], v[102:103], v[250:251]
	s_waitcnt vmcnt(8)
	v_fmac_f64_e32 v[178:179], v[104:105], v[252:253]
	v_add_f64 v[168:169], v[168:169], v[178:179]
	s_waitcnt lgkmcnt(1)
	v_mul_f64 v[174:175], v[110:111], v[228:229]
	v_fmac_f64_e32 v[174:175], v[112:113], v[232:233]
	v_add_f64 v[168:169], v[168:169], v[174:175]
	s_waitcnt vmcnt(2) lgkmcnt(0)
	v_mul_f64 v[174:175], v[106:107], v[254:255]
	s_waitcnt vmcnt(0)
	v_fmac_f64_e32 v[174:175], v[108:109], v[166:167]
	v_add_f64 v[168:169], v[168:169], v[174:175]
	v_mul_f64 v[174:175], v[114:115], v[242:243]
	v_fmac_f64_e32 v[174:175], v[116:117], v[246:247]
	v_add_f64 v[168:169], v[168:169], v[174:175]
	buffer_load_dword v174, off, s[0:3], 0 offset:56
	buffer_load_dword v175, off, s[0:3], 0 offset:60
	v_add_f64 v[170:171], v[170:171], 0
	v_add_f64 v[170:171], v[170:171], v[172:173]
	v_fma_f64 v[30:31], v[30:31], v[220:221], -v[32:33]
	v_mul_f64 v[28:29], v[28:29], v[192:193]
	v_add_f64 v[30:31], v[170:171], v[30:31]
	v_fma_f64 v[26:27], v[26:27], v[218:219], -v[28:29]
	v_add_f64 v[26:27], v[30:31], v[26:27]
	v_mul_f64 v[20:21], v[20:21], v[198:199]
	v_add_f64 v[22:23], v[26:27], v[22:23]
	v_fma_f64 v[18:19], v[18:19], v[216:217], -v[20:21]
	v_add_f64 v[18:19], v[22:23], v[18:19]
	;; [unrolled: 4-line block ×3, first 2 shown]
	v_mul_f64 v[4:5], v[4:5], v[204:205]
	v_add_f64 v[6:7], v[10:11], v[6:7]
	v_fma_f64 v[2:3], v[2:3], v[212:213], -v[4:5]
	v_mul_f64 v[4:5], v[40:41], v[210:211]
	v_add_f64 v[2:3], v[6:7], v[2:3]
	v_fma_f64 v[4:5], v[38:39], v[222:223], -v[4:5]
	v_add_f64 v[2:3], v[2:3], v[4:5]
	v_mul_f64 v[4:5], v[36:37], v[132:133]
	v_fma_f64 v[4:5], v[34:35], v[136:137], -v[4:5]
	v_add_f64 v[2:3], v[2:3], v[4:5]
	v_mul_f64 v[4:5], v[44:45], v[224:225]
	;; [unrolled: 3-line block ×20, first 2 shown]
	v_fma_f64 v[4:5], v[114:115], v[246:247], -v[4:5]
	v_add_f64 v[2:3], v[2:3], v[4:5]
	v_add_f64 v[2:3], v[206:207], -v[2:3]
	s_waitcnt vmcnt(0)
	v_add_f64 v[4:5], v[174:175], -v[168:169]
	buffer_store_dword v3, off, s[0:3], 0 offset:52
	buffer_store_dword v2, off, s[0:3], 0 offset:48
	;; [unrolled: 1-line block ×4, first 2 shown]
	s_and_saveexec_b64 s[4:5], vcc
	s_cbranch_execz .LBB33_215
; %bb.214:
	v_accvgpr_read_b32 v5, a91
	buffer_load_dword v2, v5, s[0:3], 0 offen
	buffer_load_dword v3, v5, s[0:3], 0 offen offset:4
	buffer_load_dword v4, v5, s[0:3], 0 offen offset:8
	s_nop 0
	buffer_load_dword v5, v5, s[0:3], 0 offen offset:12
	s_nop 0
	buffer_store_dword v176, off, s[0:3], 0 offset:32
	buffer_store_dword v176, off, s[0:3], 0 offset:36
	;; [unrolled: 1-line block ×4, first 2 shown]
	s_waitcnt vmcnt(4)
	ds_write_b128 v1, v[2:5]
.LBB33_215:
	s_or_b64 exec, exec, s[4:5]
	s_waitcnt lgkmcnt(0)
	; wave barrier
	s_waitcnt lgkmcnt(0)
	buffer_load_dword v112, off, s[0:3], 0 offset:48
	buffer_load_dword v113, off, s[0:3], 0 offset:52
	;; [unrolled: 1-line block ×36, first 2 shown]
	ds_read_b128 v[102:105], v176 offset:576
	ds_read_b128 v[106:109], v176 offset:592
	ds_read_b128 v[114:117], v176 offset:608
	ds_read_b128 v[22:25], v176 offset:624
	ds_read_b128 v[18:21], v176 offset:640
	ds_read_b128 v[14:17], v176 offset:656
	ds_read_b128 v[10:13], v176 offset:672
	ds_read_b128 v[6:9], v176 offset:688
	ds_read_b128 v[2:5], v176 offset:704
	buffer_load_dword v211, off, s[0:3], 0 offset:220
	buffer_load_dword v210, off, s[0:3], 0 offset:216
	;; [unrolled: 1-line block ×78, first 2 shown]
	v_cmp_ne_u32_e32 vcc, 0, v0
	s_waitcnt vmcnt(62) lgkmcnt(8)
	v_mul_f64 v[26:27], v[102:103], v[168:169]
	v_fmac_f64_e32 v[26:27], v[104:105], v[112:113]
	v_add_f64 v[26:27], v[26:27], 0
	v_mul_f64 v[104:105], v[104:105], v[168:169]
	s_waitcnt lgkmcnt(7)
	v_mul_f64 v[28:29], v[106:107], v[170:171]
	v_fmac_f64_e32 v[28:29], v[108:109], v[110:111]
	s_waitcnt lgkmcnt(6)
	v_mul_f64 v[30:31], v[114:115], v[166:167]
	v_add_f64 v[26:27], v[26:27], v[28:29]
	s_waitcnt lgkmcnt(4)
	v_mul_f64 v[34:35], v[18:19], v[186:187]
	v_fma_f64 v[168:169], v[102:103], v[112:113], -v[104:105]
	v_fmac_f64_e32 v[34:35], v[20:21], v[188:189]
	v_mul_f64 v[108:109], v[108:109], v[170:171]
	v_mul_f64 v[32:33], v[22:23], v[190:191]
	v_fma_f64 v[170:171], v[106:107], v[110:111], -v[108:109]
	s_waitcnt lgkmcnt(2)
	v_mul_f64 v[38:39], v[10:11], v[192:193]
	v_add_f64 v[168:169], v[168:169], 0
	v_fmac_f64_e32 v[38:39], v[12:13], v[194:195]
	v_add_f64 v[168:169], v[168:169], v[170:171]
	v_mul_f64 v[36:37], v[14:15], v[198:199]
	v_mul_f64 v[20:21], v[20:21], v[186:187]
	s_waitcnt lgkmcnt(1)
	v_mul_f64 v[40:41], v[6:7], v[196:197]
	v_fma_f64 v[18:19], v[18:19], v[188:189], -v[20:21]
	v_fmac_f64_e32 v[30:31], v[116:117], v[172:173]
	v_add_f64 v[26:27], v[26:27], v[30:31]
	v_fmac_f64_e32 v[32:33], v[24:25], v[206:207]
	v_add_f64 v[26:27], v[26:27], v[32:33]
	;; [unrolled: 2-line block ×3, first 2 shown]
	v_add_f64 v[26:27], v[26:27], v[36:37]
	v_fmac_f64_e32 v[40:41], v[8:9], v[202:203]
	v_add_f64 v[30:31], v[26:27], v[38:39]
	ds_read_b128 v[26:29], v176 offset:720
	s_waitcnt lgkmcnt(1)
	v_mul_f64 v[32:33], v[2:3], v[200:201]
	v_add_f64 v[30:31], v[30:31], v[40:41]
	v_fmac_f64_e32 v[32:33], v[4:5], v[208:209]
	v_add_f64 v[34:35], v[30:31], v[32:33]
	ds_read_b128 v[30:33], v176 offset:736
	s_waitcnt lgkmcnt(1)
	v_mul_f64 v[36:37], v[26:27], v[214:215]
	buffer_load_dword v153, off, s[0:3], 0 offset:484
	buffer_load_dword v152, off, s[0:3], 0 offset:480
	v_fmac_f64_e32 v[36:37], v[28:29], v[216:217]
	v_add_f64 v[38:39], v[34:35], v[36:37]
	s_waitcnt lgkmcnt(0)
	v_mul_f64 v[40:41], v[30:31], v[210:211]
	ds_read_b128 v[34:37], v176 offset:752
	v_fmac_f64_e32 v[40:41], v[32:33], v[212:213]
	v_add_f64 v[42:43], v[38:39], v[40:41]
	ds_read_b128 v[38:41], v176 offset:768
	v_mul_f64 v[116:117], v[116:117], v[166:167]
	s_waitcnt lgkmcnt(1)
	v_mul_f64 v[44:45], v[34:35], v[226:227]
	v_fmac_f64_e32 v[44:45], v[36:37], v[228:229]
	v_add_f64 v[46:47], v[42:43], v[44:45]
	s_waitcnt lgkmcnt(0)
	v_mul_f64 v[48:49], v[38:39], v[218:219]
	v_fmac_f64_e32 v[48:49], v[40:41], v[220:221]
	ds_read_b128 v[42:45], v176 offset:784
	v_add_f64 v[50:51], v[46:47], v[48:49]
	ds_read_b128 v[46:49], v176 offset:800
	buffer_load_dword v155, off, s[0:3], 0 offset:540
	buffer_load_dword v157, off, s[0:3], 0 offset:524
	;; [unrolled: 1-line block ×12, first 2 shown]
	ds_read_b128 v[106:109], v176 offset:1040
	s_waitcnt vmcnt(62) lgkmcnt(2)
	v_mul_f64 v[52:53], v[42:43], v[242:243]
	v_fmac_f64_e32 v[52:53], v[44:45], v[246:247]
	v_add_f64 v[54:55], v[50:51], v[52:53]
	ds_read_b128 v[50:53], v176 offset:816
	s_waitcnt lgkmcnt(2)
	v_mul_f64 v[56:57], v[46:47], v[222:223]
	v_fmac_f64_e32 v[56:57], v[48:49], v[224:225]
	v_add_f64 v[58:59], v[54:55], v[56:57]
	ds_read_b128 v[54:57], v176 offset:832
	s_waitcnt lgkmcnt(1)
	v_mul_f64 v[60:61], v[50:51], v[250:251]
	s_waitcnt vmcnt(60)
	v_fmac_f64_e32 v[60:61], v[52:53], v[254:255]
	v_add_f64 v[62:63], v[58:59], v[60:61]
	ds_read_b128 v[58:61], v176 offset:848
	s_waitcnt lgkmcnt(1)
	v_mul_f64 v[64:65], v[54:55], v[230:231]
	v_fmac_f64_e32 v[64:65], v[56:57], v[232:233]
	v_add_f64 v[66:67], v[62:63], v[64:65]
	ds_read_b128 v[62:65], v176 offset:864
	s_waitcnt vmcnt(54) lgkmcnt(1)
	v_mul_f64 v[68:69], v[58:59], v[122:123]
	s_waitcnt vmcnt(52)
	v_fmac_f64_e32 v[68:69], v[60:61], v[126:127]
	v_add_f64 v[70:71], v[66:67], v[68:69]
	ds_read_b128 v[66:69], v176 offset:880
	s_waitcnt lgkmcnt(1)
	v_mul_f64 v[72:73], v[62:63], v[234:235]
	v_fmac_f64_e32 v[72:73], v[64:65], v[236:237]
	v_add_f64 v[74:75], v[70:71], v[72:73]
	ds_read_b128 v[70:73], v176 offset:896
	s_waitcnt vmcnt(46) lgkmcnt(1)
	;; [unrolled: 11-line block ×4, first 2 shown]
	v_mul_f64 v[92:93], v[82:83], v[142:143]
	s_waitcnt vmcnt(28)
	v_fmac_f64_e32 v[92:93], v[84:85], v[144:145]
	v_add_f64 v[98:99], v[90:91], v[92:93]
	ds_read_b128 v[90:93], v176 offset:976
	ds_read_b128 v[94:97], v176 offset:992
	s_waitcnt lgkmcnt(2)
	v_mul_f64 v[100:101], v[86:87], v[252:253]
	v_fmac_f64_e32 v[100:101], v[88:89], v[118:119]
	v_add_f64 v[98:99], v[98:99], v[100:101]
	s_waitcnt vmcnt(22) lgkmcnt(1)
	v_mul_f64 v[100:101], v[90:91], v[146:147]
	s_waitcnt vmcnt(20)
	v_fmac_f64_e32 v[100:101], v[92:93], v[148:149]
	v_add_f64 v[98:99], v[98:99], v[100:101]
	s_waitcnt lgkmcnt(0)
	v_mul_f64 v[100:101], v[94:95], v[124:125]
	v_fmac_f64_e32 v[100:101], v[96:97], v[128:129]
	v_add_f64 v[174:175], v[98:99], v[100:101]
	ds_read_b128 v[98:101], v176 offset:1008
	ds_read_b128 v[102:105], v176 offset:1024
	v_fma_f64 v[172:173], v[114:115], v[172:173], -v[116:117]
	ds_read_b128 v[114:117], v176 offset:1072
	v_mul_f64 v[24:25], v[24:25], v[190:191]
	s_waitcnt vmcnt(14) lgkmcnt(2)
	v_mul_f64 v[112:113], v[98:99], v[150:151]
	s_waitcnt lgkmcnt(1)
	v_mul_f64 v[110:111], v[102:103], v[132:133]
	s_waitcnt vmcnt(12)
	v_fmac_f64_e32 v[112:113], v[100:101], v[152:153]
	v_add_f64 v[112:113], v[174:175], v[112:113]
	v_fmac_f64_e32 v[110:111], v[104:105], v[136:137]
	v_add_f64 v[174:175], v[112:113], v[110:111]
	ds_read_b128 v[110:113], v176 offset:1056
	v_add_f64 v[168:169], v[168:169], v[172:173]
	v_fma_f64 v[22:23], v[22:23], v[206:207], -v[24:25]
	v_add_f64 v[22:23], v[168:169], v[22:23]
	s_waitcnt vmcnt(9)
	v_mul_f64 v[166:167], v[106:107], v[156:157]
	v_mul_f64 v[16:17], v[16:17], v[198:199]
	s_waitcnt vmcnt(7)
	v_fmac_f64_e32 v[166:167], v[108:109], v[162:163]
	v_add_f64 v[166:167], v[174:175], v[166:167]
	s_waitcnt vmcnt(6) lgkmcnt(0)
	v_mul_f64 v[174:175], v[110:111], v[154:155]
	s_waitcnt vmcnt(4)
	v_fmac_f64_e32 v[174:175], v[112:113], v[160:161]
	v_add_f64 v[166:167], v[166:167], v[174:175]
	s_waitcnt vmcnt(2)
	v_mul_f64 v[174:175], v[114:115], v[158:159]
	v_add_f64 v[18:19], v[22:23], v[18:19]
	s_waitcnt vmcnt(0)
	v_fmac_f64_e32 v[174:175], v[116:117], v[164:165]
	v_add_f64 v[166:167], v[166:167], v[174:175]
	buffer_load_dword v176, off, s[0:3], 0 offset:32
	buffer_load_dword v177, off, s[0:3], 0 offset:36
	;; [unrolled: 1-line block ×4, first 2 shown]
	v_fma_f64 v[14:15], v[14:15], v[204:205], -v[16:17]
	v_mul_f64 v[12:13], v[12:13], v[192:193]
	v_add_f64 v[14:15], v[18:19], v[14:15]
	v_fma_f64 v[10:11], v[10:11], v[194:195], -v[12:13]
	v_mul_f64 v[8:9], v[8:9], v[196:197]
	v_add_f64 v[10:11], v[14:15], v[10:11]
	v_fma_f64 v[6:7], v[6:7], v[202:203], -v[8:9]
	v_mul_f64 v[4:5], v[4:5], v[200:201]
	v_add_f64 v[6:7], v[10:11], v[6:7]
	v_fma_f64 v[2:3], v[2:3], v[208:209], -v[4:5]
	v_mul_f64 v[4:5], v[28:29], v[214:215]
	v_add_f64 v[2:3], v[6:7], v[2:3]
	v_fma_f64 v[4:5], v[26:27], v[216:217], -v[4:5]
	v_add_f64 v[2:3], v[2:3], v[4:5]
	v_mul_f64 v[4:5], v[32:33], v[210:211]
	v_fma_f64 v[4:5], v[30:31], v[212:213], -v[4:5]
	v_add_f64 v[2:3], v[2:3], v[4:5]
	v_mul_f64 v[4:5], v[36:37], v[226:227]
	;; [unrolled: 3-line block ×22, first 2 shown]
	v_fma_f64 v[4:5], v[114:115], v[164:165], -v[4:5]
	v_add_f64 v[2:3], v[2:3], v[4:5]
	s_waitcnt vmcnt(2)
	v_add_f64 v[2:3], v[176:177], -v[2:3]
	s_waitcnt vmcnt(0)
	v_add_f64 v[4:5], v[174:175], -v[166:167]
	buffer_store_dword v3, off, s[0:3], 0 offset:36
	buffer_store_dword v2, off, s[0:3], 0 offset:32
	;; [unrolled: 1-line block ×4, first 2 shown]
	s_and_saveexec_b64 s[4:5], vcc
	s_cbranch_execz .LBB33_217
; %bb.216:
	buffer_load_dword v2, off, s[0:3], 0 offset:16
	buffer_load_dword v3, off, s[0:3], 0 offset:20
	;; [unrolled: 1-line block ×4, first 2 shown]
	v_mov_b32_e32 v0, 0
	buffer_store_dword v0, off, s[0:3], 0 offset:16
	buffer_store_dword v0, off, s[0:3], 0 offset:20
	;; [unrolled: 1-line block ×4, first 2 shown]
	s_waitcnt vmcnt(4)
	ds_write_b128 v1, v[2:5]
.LBB33_217:
	s_or_b64 exec, exec, s[4:5]
	s_waitcnt lgkmcnt(0)
	; wave barrier
	s_waitcnt lgkmcnt(0)
	buffer_load_dword v92, off, s[0:3], 0 offset:32
	buffer_load_dword v93, off, s[0:3], 0 offset:36
	;; [unrolled: 1-line block ×52, first 2 shown]
	v_mov_b32_e32 v180, 0
	ds_read_b128 v[96:99], v180 offset:560
	ds_read_b128 v[108:111], v180 offset:576
	;; [unrolled: 1-line block ×10, first 2 shown]
	s_and_b64 vcc, exec, s[20:21]
	s_waitcnt vmcnt(48) lgkmcnt(9)
	v_mul_f64 v[24:25], v[96:97], v[94:95]
	v_fmac_f64_e32 v[24:25], v[98:99], v[92:93]
	v_add_f64 v[24:25], v[24:25], 0
	v_mul_f64 v[94:95], v[98:99], v[94:95]
	s_waitcnt vmcnt(44) lgkmcnt(8)
	v_mul_f64 v[26:27], v[108:109], v[102:103]
	v_fmac_f64_e32 v[26:27], v[110:111], v[100:101]
	s_waitcnt vmcnt(42) lgkmcnt(7)
	v_mul_f64 v[28:29], v[164:165], v[104:105]
	v_add_f64 v[24:25], v[24:25], v[26:27]
	s_waitcnt vmcnt(40) lgkmcnt(5)
	v_mul_f64 v[32:33], v[20:21], v[186:187]
	v_mul_f64 v[102:103], v[110:111], v[102:103]
	s_waitcnt vmcnt(38)
	v_fmac_f64_e32 v[32:33], v[22:23], v[190:191]
	v_fma_f64 v[172:173], v[108:109], v[100:101], -v[102:103]
	s_waitcnt vmcnt(36)
	v_mul_f64 v[30:31], v[174:175], v[112:113]
	v_mul_f64 v[104:105], v[166:167], v[104:105]
	s_waitcnt vmcnt(34) lgkmcnt(3)
	v_mul_f64 v[36:37], v[12:13], v[116:117]
	v_mul_f64 v[112:113], v[176:177], v[112:113]
	s_waitcnt vmcnt(32)
	v_fmac_f64_e32 v[36:37], v[14:15], v[188:189]
	v_mul_f64 v[22:23], v[22:23], v[186:187]
	s_waitcnt vmcnt(30)
	v_mul_f64 v[34:35], v[16:17], v[196:197]
	v_fma_f64 v[20:21], v[20:21], v[190:191], -v[22:23]
	v_mul_f64 v[14:15], v[14:15], v[116:117]
	s_waitcnt vmcnt(27) lgkmcnt(2)
	v_mul_f64 v[38:39], v[8:9], v[194:195]
	s_waitcnt vmcnt(26) lgkmcnt(1)
	v_mul_f64 v[40:41], v[4:5], v[192:193]
	v_fma_f64 v[12:13], v[12:13], v[188:189], -v[14:15]
	s_waitcnt vmcnt(24)
	v_fmac_f64_e32 v[28:29], v[166:167], v[106:107]
	v_add_f64 v[24:25], v[24:25], v[28:29]
	s_waitcnt vmcnt(22)
	v_fmac_f64_e32 v[30:31], v[176:177], v[114:115]
	v_add_f64 v[24:25], v[24:25], v[30:31]
	;; [unrolled: 3-line block ×3, first 2 shown]
	v_add_f64 v[24:25], v[24:25], v[34:35]
	s_waitcnt vmcnt(18)
	v_fmac_f64_e32 v[38:39], v[10:11], v[198:199]
	v_add_f64 v[24:25], v[24:25], v[36:37]
	v_add_f64 v[24:25], v[24:25], v[38:39]
	s_waitcnt vmcnt(16)
	v_fmac_f64_e32 v[40:41], v[6:7], v[204:205]
	v_add_f64 v[32:33], v[24:25], v[40:41]
	ds_read_b128 v[24:27], v180 offset:720
	ds_read_b128 v[28:31], v180 offset:736
	buffer_load_dword v119, off, s[0:3], 0 offset:268
	buffer_load_dword v118, off, s[0:3], 0 offset:264
	;; [unrolled: 1-line block ×56, first 2 shown]
	s_waitcnt vmcnt(62) lgkmcnt(2)
	v_mul_f64 v[34:35], v[0:1], v[208:209]
	v_fmac_f64_e32 v[34:35], v[2:3], v[210:211]
	v_add_f64 v[32:33], v[32:33], v[34:35]
	s_waitcnt lgkmcnt(1)
	v_mul_f64 v[34:35], v[24:25], v[202:203]
	v_fmac_f64_e32 v[34:35], v[26:27], v[206:207]
	v_add_f64 v[32:33], v[32:33], v[34:35]
	s_waitcnt lgkmcnt(0)
	v_mul_f64 v[34:35], v[28:29], v[212:213]
	s_waitcnt vmcnt(60)
	v_fmac_f64_e32 v[34:35], v[30:31], v[216:217]
	v_add_f64 v[40:41], v[32:33], v[34:35]
	ds_read_b128 v[32:35], v180 offset:752
	buffer_load_dword v153, off, s[0:3], 0 offset:492
	buffer_load_dword v152, off, s[0:3], 0 offset:488
	buffer_load_dword v235, off, s[0:3], 0 offset:484
	buffer_load_dword v234, off, s[0:3], 0 offset:480
	buffer_load_dword v251, off, s[0:3], 0 offset:476
	buffer_load_dword v250, off, s[0:3], 0 offset:472
	buffer_load_dword v255, off, s[0:3], 0 offset:468
	buffer_load_dword v254, off, s[0:3], 0 offset:464
	buffer_load_dword v239, off, s[0:3], 0 offset:524
	buffer_load_dword v238, off, s[0:3], 0 offset:520
	buffer_load_dword v243, off, s[0:3], 0 offset:516
	buffer_load_dword v242, off, s[0:3], 0 offset:512
	buffer_load_dword v157, off, s[0:3], 0 offset:508
	buffer_load_dword v156, off, s[0:3], 0 offset:504
	buffer_load_dword v159, off, s[0:3], 0 offset:500
	buffer_load_dword v158, off, s[0:3], 0 offset:496
	ds_read_b128 v[36:39], v180 offset:768
	buffer_load_dword v253, off, s[0:3], 0 offset:556
	buffer_load_dword v252, off, s[0:3], 0 offset:552
	;; [unrolled: 1-line block ×8, first 2 shown]
	v_fma_f64 v[166:167], v[164:165], v[106:107], -v[104:105]
	s_waitcnt vmcnt(62) lgkmcnt(1)
	v_mul_f64 v[42:43], v[32:33], v[214:215]
	v_fmac_f64_e32 v[42:43], v[34:35], v[218:219]
	v_add_f64 v[44:45], v[40:41], v[42:43]
	ds_read_b128 v[40:43], v180 offset:784
	v_mul_f64 v[18:19], v[18:19], v[196:197]
	v_fma_f64 v[16:17], v[16:17], v[200:201], -v[18:19]
	v_mul_f64 v[10:11], v[10:11], v[194:195]
	v_fma_f64 v[8:9], v[8:9], v[198:199], -v[10:11]
	;; [unrolled: 2-line block ×5, first 2 shown]
	ds_read_b128 v[100:103], v180 offset:1024
	s_waitcnt lgkmcnt(2)
	v_mul_f64 v[46:47], v[36:37], v[136:137]
	ds_read_b128 v[104:107], v180 offset:1056
	v_fmac_f64_e32 v[46:47], v[38:39], v[140:141]
	v_add_f64 v[48:49], v[44:45], v[46:47]
	ds_read_b128 v[44:47], v180 offset:800
	s_waitcnt lgkmcnt(3)
	v_mul_f64 v[50:51], v[40:41], v[118:119]
	v_fmac_f64_e32 v[50:51], v[42:43], v[122:123]
	v_add_f64 v[52:53], v[48:49], v[50:51]
	ds_read_b128 v[48:51], v180 offset:816
	s_waitcnt lgkmcnt(1)
	v_mul_f64 v[54:55], v[44:45], v[144:145]
	;; [unrolled: 5-line block ×3, first 2 shown]
	v_fmac_f64_e32 v[58:59], v[50:51], v[126:127]
	v_add_f64 v[60:61], v[56:57], v[58:59]
	ds_read_b128 v[56:59], v180 offset:848
	s_waitcnt vmcnt(58) lgkmcnt(1)
	v_mul_f64 v[62:63], v[52:53], v[220:221]
	s_waitcnt vmcnt(56)
	v_fmac_f64_e32 v[62:63], v[54:55], v[224:225]
	v_add_f64 v[64:65], v[60:61], v[62:63]
	ds_read_b128 v[60:63], v180 offset:864
	s_waitcnt lgkmcnt(1)
	v_mul_f64 v[66:67], v[56:57], v[128:129]
	v_fmac_f64_e32 v[66:67], v[58:59], v[130:131]
	v_add_f64 v[68:69], v[64:65], v[66:67]
	ds_read_b128 v[64:67], v180 offset:880
	s_waitcnt vmcnt(50) lgkmcnt(1)
	v_mul_f64 v[70:71], v[60:61], v[228:229]
	s_waitcnt vmcnt(48)
	v_fmac_f64_e32 v[70:71], v[62:63], v[230:231]
	v_add_f64 v[72:73], v[68:69], v[70:71]
	ds_read_b128 v[68:71], v180 offset:896
	s_waitcnt lgkmcnt(1)
	v_mul_f64 v[74:75], v[64:65], v[132:133]
	;; [unrolled: 11-line block ×4, first 2 shown]
	v_fmac_f64_e32 v[90:91], v[82:83], v[150:151]
	v_add_f64 v[168:169], v[88:89], v[90:91]
	ds_read_b128 v[88:91], v180 offset:976
	s_waitcnt vmcnt(26) lgkmcnt(1)
	v_mul_f64 v[170:171], v[84:85], v[246:247]
	s_waitcnt vmcnt(24)
	v_fmac_f64_e32 v[170:171], v[86:87], v[248:249]
	v_add_f64 v[168:169], v[168:169], v[170:171]
	v_fma_f64 v[170:171], v[96:97], v[92:93], -v[94:95]
	ds_read_b128 v[92:95], v180 offset:992
	s_waitcnt lgkmcnt(1)
	v_mul_f64 v[96:97], v[88:89], v[222:223]
	v_fmac_f64_e32 v[96:97], v[90:91], v[226:227]
	v_add_f64 v[168:169], v[168:169], v[96:97]
	ds_read_b128 v[96:99], v180 offset:1008
	s_waitcnt vmcnt(18) lgkmcnt(1)
	v_mul_f64 v[108:109], v[92:93], v[250:251]
	s_waitcnt vmcnt(16)
	v_fmac_f64_e32 v[108:109], v[94:95], v[254:255]
	v_add_f64 v[108:109], v[168:169], v[108:109]
	s_waitcnt vmcnt(10)
	v_mul_f64 v[178:179], v[100:101], v[156:157]
	s_waitcnt lgkmcnt(0)
	v_mul_f64 v[110:111], v[96:97], v[152:153]
	v_fmac_f64_e32 v[110:111], v[98:99], v[234:235]
	v_add_f64 v[168:169], v[108:109], v[110:111]
	ds_read_b128 v[108:111], v180 offset:1040
	s_waitcnt vmcnt(8)
	v_fmac_f64_e32 v[178:179], v[102:103], v[158:159]
	v_add_f64 v[164:165], v[168:169], v[178:179]
	v_fma_f64 v[168:169], v[174:175], v[114:115], -v[112:113]
	ds_read_b128 v[112:115], v180 offset:1072
	s_waitcnt lgkmcnt(1)
	v_mul_f64 v[174:175], v[108:109], v[238:239]
	v_fmac_f64_e32 v[174:175], v[110:111], v[242:243]
	v_add_f64 v[164:165], v[164:165], v[174:175]
	s_waitcnt vmcnt(2)
	v_mul_f64 v[174:175], v[104:105], v[160:161]
	s_waitcnt vmcnt(0)
	v_fmac_f64_e32 v[174:175], v[106:107], v[162:163]
	v_add_f64 v[164:165], v[164:165], v[174:175]
	s_waitcnt lgkmcnt(0)
	v_mul_f64 v[174:175], v[112:113], v[252:253]
	v_fmac_f64_e32 v[174:175], v[114:115], v[154:155]
	v_add_f64 v[164:165], v[164:165], v[174:175]
	buffer_load_dword v174, off, s[0:3], 0 offset:16
	buffer_load_dword v175, off, s[0:3], 0 offset:20
	v_add_f64 v[170:171], v[170:171], 0
	v_add_f64 v[172:173], v[170:171], v[172:173]
	buffer_load_dword v170, off, s[0:3], 0 offset:24
	buffer_load_dword v171, off, s[0:3], 0 offset:28
	v_add_f64 v[166:167], v[172:173], v[166:167]
	v_add_f64 v[166:167], v[166:167], v[168:169]
	;; [unrolled: 1-line block ×9, first 2 shown]
	v_mul_f64 v[2:3], v[30:31], v[212:213]
	v_fma_f64 v[2:3], v[28:29], v[216:217], -v[2:3]
	v_add_f64 v[0:1], v[0:1], v[2:3]
	v_mul_f64 v[2:3], v[34:35], v[214:215]
	v_fma_f64 v[2:3], v[32:33], v[218:219], -v[2:3]
	v_add_f64 v[0:1], v[0:1], v[2:3]
	;; [unrolled: 3-line block ×22, first 2 shown]
	s_waitcnt vmcnt(2)
	v_add_f64 v[0:1], v[174:175], -v[0:1]
	s_waitcnt vmcnt(0)
	v_add_f64 v[2:3], v[170:171], -v[164:165]
	buffer_store_dword v1, off, s[0:3], 0 offset:20
	buffer_store_dword v0, off, s[0:3], 0 offset:16
	;; [unrolled: 1-line block ×4, first 2 shown]
	s_cbranch_vccz .LBB33_285
; %bb.218:
	v_pk_mov_b32 v[0:1], s[10:11], s[10:11] op_sel:[0,1]
	flat_load_dword v0, v[0:1] offset:128
	s_waitcnt vmcnt(0) lgkmcnt(0)
	v_add_u32_e32 v0, -1, v0
	v_cmp_ne_u32_e32 vcc, 32, v0
	s_and_saveexec_b64 s[4:5], vcc
	s_cbranch_execz .LBB33_220
; %bb.219:
	v_mov_b32_e32 v1, 16
	v_accvgpr_read_b32 v9, a62
	v_lshl_add_u32 v0, v0, 4, v1
	buffer_load_dword v1, v9, s[0:3], 0 offen offset:4
	buffer_load_dword v2, v9, s[0:3], 0 offen offset:8
	buffer_load_dword v3, v9, s[0:3], 0 offen offset:12
	buffer_load_dword v4, v0, s[0:3], 0 offen
	buffer_load_dword v5, v0, s[0:3], 0 offen offset:4
	buffer_load_dword v6, v0, s[0:3], 0 offen offset:8
	buffer_load_dword v7, v0, s[0:3], 0 offen offset:12
	buffer_load_dword v8, v9, s[0:3], 0 offen
	s_waitcnt vmcnt(4)
	buffer_store_dword v4, v9, s[0:3], 0 offen
	s_waitcnt vmcnt(4)
	buffer_store_dword v5, v9, s[0:3], 0 offen offset:4
	s_waitcnt vmcnt(4)
	buffer_store_dword v6, v9, s[0:3], 0 offen offset:8
	s_waitcnt vmcnt(4)
	buffer_store_dword v7, v9, s[0:3], 0 offen offset:12
	buffer_store_dword v3, v0, s[0:3], 0 offen offset:12
	buffer_store_dword v2, v0, s[0:3], 0 offen offset:8
	buffer_store_dword v1, v0, s[0:3], 0 offen offset:4
	s_waitcnt vmcnt(7)
	buffer_store_dword v8, v0, s[0:3], 0 offen
.LBB33_220:
	s_or_b64 exec, exec, s[4:5]
	v_pk_mov_b32 v[0:1], s[10:11], s[10:11] op_sel:[0,1]
	flat_load_dword v0, v[0:1] offset:124
	s_waitcnt vmcnt(0) lgkmcnt(0)
	v_add_u32_e32 v0, -1, v0
	v_cmp_ne_u32_e32 vcc, 31, v0
	s_and_saveexec_b64 s[4:5], vcc
	s_cbranch_execz .LBB33_222
; %bb.221:
	v_mov_b32_e32 v1, 16
	v_accvgpr_read_b32 v9, a63
	v_lshl_add_u32 v0, v0, 4, v1
	buffer_load_dword v1, v9, s[0:3], 0 offen offset:4
	buffer_load_dword v2, v9, s[0:3], 0 offen offset:8
	buffer_load_dword v3, v9, s[0:3], 0 offen offset:12
	buffer_load_dword v4, v0, s[0:3], 0 offen
	buffer_load_dword v5, v0, s[0:3], 0 offen offset:4
	buffer_load_dword v6, v0, s[0:3], 0 offen offset:8
	buffer_load_dword v7, v0, s[0:3], 0 offen offset:12
	buffer_load_dword v8, v9, s[0:3], 0 offen
	s_waitcnt vmcnt(4)
	buffer_store_dword v4, v9, s[0:3], 0 offen
	s_waitcnt vmcnt(4)
	buffer_store_dword v5, v9, s[0:3], 0 offen offset:4
	s_waitcnt vmcnt(4)
	buffer_store_dword v6, v9, s[0:3], 0 offen offset:8
	s_waitcnt vmcnt(4)
	buffer_store_dword v7, v9, s[0:3], 0 offen offset:12
	buffer_store_dword v3, v0, s[0:3], 0 offen offset:12
	buffer_store_dword v2, v0, s[0:3], 0 offen offset:8
	buffer_store_dword v1, v0, s[0:3], 0 offen offset:4
	s_waitcnt vmcnt(7)
	buffer_store_dword v8, v0, s[0:3], 0 offen
.LBB33_222:
	s_or_b64 exec, exec, s[4:5]
	;; [unrolled: 34-line block ×32, first 2 shown]
	v_pk_mov_b32 v[0:1], s[10:11], s[10:11] op_sel:[0,1]
	flat_load_dword v0, v[0:1]
	s_waitcnt vmcnt(0) lgkmcnt(0)
	v_add_u32_e32 v0, -1, v0
	v_cmp_ne_u32_e32 vcc, 0, v0
	s_and_saveexec_b64 s[4:5], vcc
	s_cbranch_execz .LBB33_284
; %bb.283:
	v_mov_b32_e32 v1, 16
	v_lshl_add_u32 v0, v0, 4, v1
	buffer_load_dword v1, v0, s[0:3], 0 offen
	buffer_load_dword v2, v0, s[0:3], 0 offen offset:4
	buffer_load_dword v3, v0, s[0:3], 0 offen offset:8
	;; [unrolled: 1-line block ×3, first 2 shown]
	buffer_load_dword v5, off, s[0:3], 0 offset:28
	buffer_load_dword v6, off, s[0:3], 0 offset:24
	;; [unrolled: 1-line block ×4, first 2 shown]
	s_waitcnt vmcnt(7)
	buffer_store_dword v1, off, s[0:3], 0 offset:16
	s_waitcnt vmcnt(7)
	buffer_store_dword v2, off, s[0:3], 0 offset:20
	;; [unrolled: 2-line block ×4, first 2 shown]
	s_waitcnt vmcnt(7)
	buffer_store_dword v5, v0, s[0:3], 0 offen offset:12
	s_waitcnt vmcnt(7)
	buffer_store_dword v6, v0, s[0:3], 0 offen offset:8
	;; [unrolled: 2-line block ×3, first 2 shown]
	s_waitcnt vmcnt(7)
	buffer_store_dword v8, v0, s[0:3], 0 offen
.LBB33_284:
	s_or_b64 exec, exec, s[4:5]
.LBB33_285:
	buffer_load_dword v0, off, s[0:3], 0 offset:16
	buffer_load_dword v1, off, s[0:3], 0 offset:20
	;; [unrolled: 1-line block ×4, first 2 shown]
	v_accvgpr_read_b32 v19, a91
	buffer_load_dword v5, v19, s[0:3], 0 offen offset:4
	buffer_load_dword v6, v19, s[0:3], 0 offen offset:8
	;; [unrolled: 1-line block ×3, first 2 shown]
	v_accvgpr_read_b32 v21, a93
	buffer_load_dword v8, v21, s[0:3], 0 offen
	buffer_load_dword v9, v21, s[0:3], 0 offen offset:4
	buffer_load_dword v10, v21, s[0:3], 0 offen offset:8
	buffer_load_dword v4, v19, s[0:3], 0 offen
	buffer_load_dword v11, v21, s[0:3], 0 offen offset:12
	v_accvgpr_read_b32 v20, a92
	buffer_load_dword v13, v20, s[0:3], 0 offen offset:4
	buffer_load_dword v14, v20, s[0:3], 0 offen offset:8
	;; [unrolled: 1-line block ×3, first 2 shown]
	v_accvgpr_read_b32 v31, a88
	buffer_load_dword v16, v31, s[0:3], 0 offen
	buffer_load_dword v17, v31, s[0:3], 0 offen offset:4
	buffer_load_dword v18, v31, s[0:3], 0 offen offset:8
	buffer_load_dword v12, v20, s[0:3], 0 offen
                                        ; kill: killed $vgpr21
                                        ; kill: killed $vgpr19
                                        ; kill: killed $vgpr20
	buffer_load_dword v19, v31, s[0:3], 0 offen offset:12
	v_accvgpr_read_b32 v33, a90
	buffer_load_dword v21, v33, s[0:3], 0 offen offset:4
	buffer_load_dword v22, v33, s[0:3], 0 offen offset:8
	;; [unrolled: 1-line block ×3, first 2 shown]
	v_accvgpr_read_b32 v32, a89
	buffer_load_dword v24, v32, s[0:3], 0 offen
	buffer_load_dword v25, v32, s[0:3], 0 offen offset:4
	buffer_load_dword v26, v32, s[0:3], 0 offen offset:8
	buffer_load_dword v20, v33, s[0:3], 0 offen
	buffer_load_dword v27, v32, s[0:3], 0 offen offset:12
	v_accvgpr_read_b32 v28, a87
	buffer_load_dword v29, v28, s[0:3], 0 offen offset:4
	buffer_load_dword v30, v28, s[0:3], 0 offen offset:8
                                        ; kill: killed $vgpr33
                                        ; kill: killed $vgpr31
                                        ; kill: killed $vgpr32
	buffer_load_dword v31, v28, s[0:3], 0 offen offset:12
	v_accvgpr_read_b32 v35, a86
	buffer_load_dword v32, v35, s[0:3], 0 offen
	buffer_load_dword v33, v35, s[0:3], 0 offen offset:4
	buffer_load_dword v34, v35, s[0:3], 0 offen offset:8
	s_nop 0
	buffer_load_dword v28, v28, s[0:3], 0 offen
	s_nop 0
	buffer_load_dword v35, v35, s[0:3], 0 offen offset:12
	v_accvgpr_read_b32 v36, a85
	buffer_load_dword v37, v36, s[0:3], 0 offen offset:4
	buffer_load_dword v38, v36, s[0:3], 0 offen offset:8
	buffer_load_dword v39, v36, s[0:3], 0 offen offset:12
	v_accvgpr_read_b32 v43, a84
	buffer_load_dword v40, v43, s[0:3], 0 offen
	buffer_load_dword v41, v43, s[0:3], 0 offen offset:4
	buffer_load_dword v42, v43, s[0:3], 0 offen offset:8
	s_nop 0
	buffer_load_dword v36, v36, s[0:3], 0 offen
	s_nop 0
	buffer_load_dword v43, v43, s[0:3], 0 offen offset:12
	v_accvgpr_read_b32 v44, a83
	buffer_load_dword v45, v44, s[0:3], 0 offen offset:4
	buffer_load_dword v46, v44, s[0:3], 0 offen offset:8
	;; [unrolled: 12-line block ×12, first 2 shown]
	buffer_load_dword v129, v126, s[0:3], 0 offen offset:12
	v_accvgpr_read_b32 v133, a62
	buffer_load_dword v130, v133, s[0:3], 0 offen
	buffer_load_dword v131, v133, s[0:3], 0 offen offset:4
	buffer_load_dword v132, v133, s[0:3], 0 offen offset:8
	s_nop 0
	buffer_load_dword v126, v126, s[0:3], 0 offen
	s_nop 0
	buffer_load_dword v133, v133, s[0:3], 0 offen offset:12
	s_nop 0
	buffer_load_dword v134, v181, s[0:3], 0 offen
	buffer_load_dword v135, v181, s[0:3], 0 offen offset:4
	buffer_load_dword v136, v181, s[0:3], 0 offen offset:8
	;; [unrolled: 1-line block ×3, first 2 shown]
	s_waitcnt vmcnt(62)
	global_store_dwordx4 v[120:121], v[0:3], off
	s_nop 0
	v_accvgpr_read_b32 v0, a2
	v_accvgpr_read_b32 v1, a3
	global_store_dwordx4 v[0:1], v[4:7], off
	v_accvgpr_read_b32 v0, a0
	v_accvgpr_read_b32 v1, a1
	global_store_dwordx4 v[0:1], v[8:11], off
	;; [unrolled: 3-line block ×16, first 2 shown]
	v_accvgpr_read_b32 v0, a34
	v_accvgpr_read_b32 v1, a35
	s_waitcnt vmcnt(62)
	global_store_dwordx4 v[0:1], v[68:71], off
	v_accvgpr_read_b32 v0, a36
	v_accvgpr_read_b32 v1, a37
	global_store_dwordx4 v[0:1], v[72:75], off
	v_accvgpr_read_b32 v0, a38
	v_accvgpr_read_b32 v1, a39
	;; [unrolled: 3-line block ×5, first 2 shown]
	s_waitcnt vmcnt(62)
	global_store_dwordx4 v[0:1], v[88:91], off
	v_accvgpr_read_b32 v0, a46
	v_accvgpr_read_b32 v1, a47
	s_waitcnt vmcnt(60)
	global_store_dwordx4 v[0:1], v[92:95], off
	v_accvgpr_read_b32 v0, a48
	v_accvgpr_read_b32 v1, a49
	;; [unrolled: 4-line block ×8, first 2 shown]
	s_waitcnt vmcnt(42)
	global_store_dwordx4 v[0:1], v[122:125], off
	s_waitcnt vmcnt(36)
	global_store_dwordx4 v[182:183], v[126:129], off
	;; [unrolled: 2-line block ×3, first 2 shown]
	v_accvgpr_read_b32 v0, a24
	v_accvgpr_read_b32 v1, a25
	s_waitcnt vmcnt(33)
	global_store_dwordx4 v[0:1], v[134:137], off
	s_endpgm
	.section	.rodata,"a",@progbits
	.p2align	6, 0x0
	.amdhsa_kernel _ZN9rocsolver6v33100L18getri_kernel_smallILi34E19rocblas_complex_numIdEPS3_EEvT1_iilPiilS6_bb
		.amdhsa_group_segment_fixed_size 1096
		.amdhsa_private_segment_fixed_size 576
		.amdhsa_kernarg_size 60
		.amdhsa_user_sgpr_count 8
		.amdhsa_user_sgpr_private_segment_buffer 1
		.amdhsa_user_sgpr_dispatch_ptr 0
		.amdhsa_user_sgpr_queue_ptr 0
		.amdhsa_user_sgpr_kernarg_segment_ptr 1
		.amdhsa_user_sgpr_dispatch_id 0
		.amdhsa_user_sgpr_flat_scratch_init 1
		.amdhsa_user_sgpr_kernarg_preload_length 0
		.amdhsa_user_sgpr_kernarg_preload_offset 0
		.amdhsa_user_sgpr_private_segment_size 0
		.amdhsa_uses_dynamic_stack 0
		.amdhsa_system_sgpr_private_segment_wavefront_offset 1
		.amdhsa_system_sgpr_workgroup_id_x 1
		.amdhsa_system_sgpr_workgroup_id_y 0
		.amdhsa_system_sgpr_workgroup_id_z 0
		.amdhsa_system_sgpr_workgroup_info 0
		.amdhsa_system_vgpr_workitem_id 0
		.amdhsa_next_free_vgpr 350
		.amdhsa_next_free_sgpr 23
		.amdhsa_accum_offset 256
		.amdhsa_reserve_vcc 1
		.amdhsa_reserve_flat_scratch 1
		.amdhsa_float_round_mode_32 0
		.amdhsa_float_round_mode_16_64 0
		.amdhsa_float_denorm_mode_32 3
		.amdhsa_float_denorm_mode_16_64 3
		.amdhsa_dx10_clamp 1
		.amdhsa_ieee_mode 1
		.amdhsa_fp16_overflow 0
		.amdhsa_tg_split 0
		.amdhsa_exception_fp_ieee_invalid_op 0
		.amdhsa_exception_fp_denorm_src 0
		.amdhsa_exception_fp_ieee_div_zero 0
		.amdhsa_exception_fp_ieee_overflow 0
		.amdhsa_exception_fp_ieee_underflow 0
		.amdhsa_exception_fp_ieee_inexact 0
		.amdhsa_exception_int_div_zero 0
	.end_amdhsa_kernel
	.section	.text._ZN9rocsolver6v33100L18getri_kernel_smallILi34E19rocblas_complex_numIdEPS3_EEvT1_iilPiilS6_bb,"axG",@progbits,_ZN9rocsolver6v33100L18getri_kernel_smallILi34E19rocblas_complex_numIdEPS3_EEvT1_iilPiilS6_bb,comdat
.Lfunc_end33:
	.size	_ZN9rocsolver6v33100L18getri_kernel_smallILi34E19rocblas_complex_numIdEPS3_EEvT1_iilPiilS6_bb, .Lfunc_end33-_ZN9rocsolver6v33100L18getri_kernel_smallILi34E19rocblas_complex_numIdEPS3_EEvT1_iilPiilS6_bb
                                        ; -- End function
	.section	.AMDGPU.csdata,"",@progbits
; Kernel info:
; codeLenInByte = 81196
; NumSgprs: 29
; NumVgprs: 256
; NumAgprs: 94
; TotalNumVgprs: 350
; ScratchSize: 576
; MemoryBound: 0
; FloatMode: 240
; IeeeMode: 1
; LDSByteSize: 1096 bytes/workgroup (compile time only)
; SGPRBlocks: 3
; VGPRBlocks: 43
; NumSGPRsForWavesPerEU: 29
; NumVGPRsForWavesPerEU: 350
; AccumOffset: 256
; Occupancy: 1
; WaveLimiterHint : 1
; COMPUTE_PGM_RSRC2:SCRATCH_EN: 1
; COMPUTE_PGM_RSRC2:USER_SGPR: 8
; COMPUTE_PGM_RSRC2:TRAP_HANDLER: 0
; COMPUTE_PGM_RSRC2:TGID_X_EN: 1
; COMPUTE_PGM_RSRC2:TGID_Y_EN: 0
; COMPUTE_PGM_RSRC2:TGID_Z_EN: 0
; COMPUTE_PGM_RSRC2:TIDIG_COMP_CNT: 0
; COMPUTE_PGM_RSRC3_GFX90A:ACCUM_OFFSET: 63
; COMPUTE_PGM_RSRC3_GFX90A:TG_SPLIT: 0
	.section	.text._ZN9rocsolver6v33100L18getri_kernel_smallILi35E19rocblas_complex_numIdEPS3_EEvT1_iilPiilS6_bb,"axG",@progbits,_ZN9rocsolver6v33100L18getri_kernel_smallILi35E19rocblas_complex_numIdEPS3_EEvT1_iilPiilS6_bb,comdat
	.globl	_ZN9rocsolver6v33100L18getri_kernel_smallILi35E19rocblas_complex_numIdEPS3_EEvT1_iilPiilS6_bb ; -- Begin function _ZN9rocsolver6v33100L18getri_kernel_smallILi35E19rocblas_complex_numIdEPS3_EEvT1_iilPiilS6_bb
	.p2align	8
	.type	_ZN9rocsolver6v33100L18getri_kernel_smallILi35E19rocblas_complex_numIdEPS3_EEvT1_iilPiilS6_bb,@function
_ZN9rocsolver6v33100L18getri_kernel_smallILi35E19rocblas_complex_numIdEPS3_EEvT1_iilPiilS6_bb: ; @_ZN9rocsolver6v33100L18getri_kernel_smallILi35E19rocblas_complex_numIdEPS3_EEvT1_iilPiilS6_bb
; %bb.0:
	s_add_u32 flat_scratch_lo, s6, s9
	s_addc_u32 flat_scratch_hi, s7, 0
	s_add_u32 s0, s0, s9
	s_addc_u32 s1, s1, 0
	v_cmp_gt_u32_e32 vcc, 35, v0
	s_and_saveexec_b64 s[6:7], vcc
	s_cbranch_execz .LBB34_154
; %bb.1:
	s_load_dword s22, s[4:5], 0x38
	s_load_dwordx4 s[16:19], s[4:5], 0x10
	s_load_dwordx4 s[12:15], s[4:5], 0x28
                                        ; implicit-def: $sgpr10_sgpr11
	s_waitcnt lgkmcnt(0)
	s_bitcmp1_b32 s22, 8
	s_cselect_b64 s[20:21], -1, 0
	s_ashr_i32 s9, s8, 31
	s_bfe_u32 s6, s22, 0x10008
	s_cmp_eq_u32 s6, 0
	s_cbranch_scc1 .LBB34_3
; %bb.2:
	s_load_dword s6, s[4:5], 0x20
	s_mul_i32 s7, s8, s13
	s_mul_hi_u32 s10, s8, s12
	s_mul_i32 s11, s9, s12
	s_add_i32 s10, s10, s7
	s_add_i32 s11, s10, s11
	s_mul_i32 s10, s8, s12
	s_waitcnt lgkmcnt(0)
	s_ashr_i32 s7, s6, 31
	s_lshl_b64 s[10:11], s[10:11], 2
	s_add_u32 s10, s18, s10
	s_addc_u32 s11, s19, s11
	s_lshl_b64 s[6:7], s[6:7], 2
	s_add_u32 s10, s10, s6
	s_addc_u32 s11, s11, s7
.LBB34_3:
	s_load_dwordx4 s[4:7], s[4:5], 0x0
	s_mul_i32 s12, s8, s17
	s_mul_hi_u32 s13, s8, s16
	s_add_i32 s17, s13, s12
	v_lshlrev_b32_e32 v1, 4, v0
	s_waitcnt lgkmcnt(0)
	s_ashr_i32 s13, s6, 31
	s_mov_b32 s12, s6
	s_mul_i32 s6, s9, s16
	s_add_i32 s17, s17, s6
	s_mul_i32 s16, s8, s16
	s_lshl_b64 s[16:17], s[16:17], 4
	s_add_u32 s6, s4, s16
	s_addc_u32 s16, s5, s17
	s_lshl_b64 s[4:5], s[12:13], 4
	s_add_u32 s4, s6, s4
	s_addc_u32 s5, s16, s5
	global_load_dwordx4 v[6:9], v1, s[4:5]
	v_mov_b32_e32 v2, s5
	v_add_co_u32_e32 v118, vcc, s4, v1
	s_ashr_i32 s13, s7, 31
	s_mov_b32 s12, s7
	v_addc_co_u32_e32 v119, vcc, 0, v2, vcc
	s_lshl_b64 s[12:13], s[12:13], 4
	v_mov_b32_e32 v2, s13
	v_add_co_u32_e32 v10, vcc, s12, v118
	s_add_i32 s6, s7, s7
	v_addc_co_u32_e32 v11, vcc, v119, v2, vcc
	v_add_u32_e32 v2, s6, v0
	v_ashrrev_i32_e32 v3, 31, v2
	v_lshlrev_b64 v[4:5], 4, v[2:3]
	v_mov_b32_e32 v3, s5
	v_add_co_u32_e32 v4, vcc, s4, v4
	v_add_u32_e32 v2, s7, v2
	v_addc_co_u32_e32 v5, vcc, v3, v5, vcc
	global_load_dwordx4 v[14:17], v[4:5], off
	v_accvgpr_write_b32 a2, v4
	v_ashrrev_i32_e32 v3, 31, v2
	v_accvgpr_write_b32 a3, v5
	v_lshlrev_b64 v[4:5], 4, v[2:3]
	v_mov_b32_e32 v3, s5
	v_add_co_u32_e32 v20, vcc, s4, v4
	v_add_u32_e32 v2, s7, v2
	v_addc_co_u32_e32 v21, vcc, v3, v5, vcc
	v_ashrrev_i32_e32 v3, 31, v2
	v_add_u32_e32 v4, s7, v2
	v_lshlrev_b64 v[2:3], 4, v[2:3]
	v_mov_b32_e32 v18, s5
	v_ashrrev_i32_e32 v5, 31, v4
	v_add_co_u32_e32 v22, vcc, s4, v2
	v_add_u32_e32 v26, s7, v4
	v_addc_co_u32_e32 v23, vcc, v18, v3, vcc
	v_lshlrev_b64 v[2:3], 4, v[4:5]
	v_mov_b32_e32 v28, s5
	v_ashrrev_i32_e32 v27, 31, v26
	v_add_co_u32_e32 v30, vcc, s4, v2
	v_add_u32_e32 v4, s7, v26
	v_addc_co_u32_e32 v31, vcc, v28, v3, vcc
	v_lshlrev_b64 v[2:3], 4, v[26:27]
	v_mov_b32_e32 v29, s5
	v_ashrrev_i32_e32 v5, 31, v4
	v_add_co_u32_e32 v32, vcc, s4, v2
	v_addc_co_u32_e32 v33, vcc, v29, v3, vcc
	v_lshlrev_b64 v[2:3], 4, v[4:5]
	v_mov_b32_e32 v5, s5
	v_add_co_u32_e32 v34, vcc, s4, v2
	v_add_u32_e32 v2, s7, v4
	v_addc_co_u32_e32 v35, vcc, v5, v3, vcc
	v_ashrrev_i32_e32 v3, 31, v2
	v_lshlrev_b64 v[4:5], 4, v[2:3]
	v_mov_b32_e32 v3, s5
	v_add_co_u32_e32 v4, vcc, s4, v4
	v_addc_co_u32_e32 v5, vcc, v3, v5, vcc
	v_add_u32_e32 v2, s7, v2
	v_accvgpr_write_b32 a0, v10
	v_accvgpr_write_b32 a15, v5
	v_ashrrev_i32_e32 v3, 31, v2
	v_accvgpr_write_b32 a1, v11
	global_load_dwordx4 v[10:13], v[10:11], off
	v_accvgpr_write_b32 a14, v4
	global_load_dwordx4 v[38:41], v[4:5], off
	v_lshlrev_b64 v[4:5], 4, v[2:3]
	v_mov_b32_e32 v3, s5
	v_add_co_u32_e32 v42, vcc, s4, v4
	v_add_u32_e32 v2, s7, v2
	v_addc_co_u32_e32 v43, vcc, v3, v5, vcc
	v_ashrrev_i32_e32 v3, 31, v2
	v_lshlrev_b64 v[4:5], 4, v[2:3]
	v_mov_b32_e32 v3, s5
	v_add_co_u32_e32 v4, vcc, s4, v4
	v_addc_co_u32_e32 v5, vcc, v3, v5, vcc
	v_add_u32_e32 v2, s7, v2
	v_accvgpr_write_b32 a4, v20
	v_accvgpr_write_b32 a19, v5
	v_ashrrev_i32_e32 v3, 31, v2
	v_accvgpr_write_b32 a5, v21
	global_load_dwordx4 v[18:21], v[20:21], off
	v_accvgpr_write_b32 a18, v4
	global_load_dwordx4 v[46:49], v[4:5], off
	v_lshlrev_b64 v[4:5], 4, v[2:3]
	v_mov_b32_e32 v3, s5
	v_add_co_u32_e32 v4, vcc, s4, v4
	v_addc_co_u32_e32 v5, vcc, v3, v5, vcc
	v_add_u32_e32 v2, s7, v2
	v_accvgpr_write_b32 a6, v22
	v_accvgpr_write_b32 a21, v5
	v_ashrrev_i32_e32 v3, 31, v2
	v_accvgpr_write_b32 a7, v23
	global_load_dwordx4 v[22:25], v[22:23], off
	v_accvgpr_write_b32 a20, v4
	global_load_dwordx4 v[50:53], v[4:5], off
	v_lshlrev_b64 v[4:5], 4, v[2:3]
	v_mov_b32_e32 v3, s5
	v_add_co_u32_e32 v4, vcc, s4, v4
	v_accvgpr_write_b32 a8, v30
	v_accvgpr_write_b32 a10, v32
	;; [unrolled: 1-line block ×4, first 2 shown]
	v_addc_co_u32_e32 v5, vcc, v3, v5, vcc
	v_add_u32_e32 v2, s7, v2
	v_accvgpr_write_b32 a9, v31
	global_load_dwordx4 v[26:29], v[30:31], off
	v_accvgpr_write_b32 a11, v33
	v_accvgpr_write_b32 a13, v35
	global_load_dwordx4 v[34:37], v[34:35], off
	v_accvgpr_write_b32 a17, v43
	global_load_dwordx4 v[30:33], v[32:33], off
	;; [unrolled: 2-line block ×3, first 2 shown]
	s_waitcnt vmcnt(11)
	buffer_store_dword v9, off, s[0:3], 0 offset:28
	buffer_store_dword v8, off, s[0:3], 0 offset:24
	;; [unrolled: 1-line block ×3, first 2 shown]
	v_ashrrev_i32_e32 v3, 31, v2
	v_accvgpr_write_b32 a22, v4
	global_load_dwordx4 v[54:57], v[4:5], off
	v_lshlrev_b64 v[4:5], 4, v[2:3]
	v_mov_b32_e32 v3, s5
	v_add_co_u32_e32 v58, vcc, s4, v4
	v_add_u32_e32 v8, s7, v2
	v_addc_co_u32_e32 v59, vcc, v3, v5, vcc
	v_ashrrev_i32_e32 v9, 31, v8
	v_accvgpr_write_b32 a24, v58
	v_lshlrev_b64 v[2:3], 4, v[8:9]
	v_accvgpr_write_b32 a25, v59
	global_load_dwordx4 v[58:61], v[58:59], off
	v_mov_b32_e32 v4, s5
	v_add_co_u32_e32 v2, vcc, s4, v2
	v_addc_co_u32_e32 v3, vcc, v4, v3, vcc
	v_accvgpr_write_b32 a27, v3
	v_accvgpr_write_b32 a26, v2
	global_load_dwordx4 v[2:5], v[2:3], off
	s_nop 0
	buffer_store_dword v6, off, s[0:3], 0 offset:16
	s_waitcnt vmcnt(16)
	buffer_store_dword v13, off, s[0:3], 0 offset:44
	buffer_store_dword v12, off, s[0:3], 0 offset:40
	;; [unrolled: 1-line block ×8, first 2 shown]
	s_waitcnt vmcnt(22)
	buffer_store_dword v21, off, s[0:3], 0 offset:76
	buffer_store_dword v20, off, s[0:3], 0 offset:72
	buffer_store_dword v19, off, s[0:3], 0 offset:68
	buffer_store_dword v18, off, s[0:3], 0 offset:64
	s_waitcnt vmcnt(24)
	buffer_store_dword v25, off, s[0:3], 0 offset:92
	buffer_store_dword v24, off, s[0:3], 0 offset:88
	buffer_store_dword v23, off, s[0:3], 0 offset:84
	buffer_store_dword v22, off, s[0:3], 0 offset:80
	;; [unrolled: 5-line block ×4, first 2 shown]
	buffer_store_dword v37, off, s[0:3], 0 offset:140
	buffer_store_dword v36, off, s[0:3], 0 offset:136
	;; [unrolled: 1-line block ×8, first 2 shown]
	s_waitcnt vmcnt(39)
	buffer_store_dword v42, off, s[0:3], 0 offset:160
	buffer_store_dword v43, off, s[0:3], 0 offset:164
	;; [unrolled: 1-line block ×12, first 2 shown]
	v_add_u32_e32 v6, s7, v8
	v_ashrrev_i32_e32 v7, 31, v6
	v_lshlrev_b64 v[8:9], 4, v[6:7]
	v_add_u32_e32 v14, s7, v6
	v_mov_b32_e32 v7, s5
	v_add_co_u32_e32 v10, vcc, s4, v8
	v_ashrrev_i32_e32 v15, 31, v14
	v_addc_co_u32_e32 v11, vcc, v7, v9, vcc
	v_lshlrev_b64 v[6:7], 4, v[14:15]
	v_mov_b32_e32 v8, s5
	v_add_co_u32_e32 v12, vcc, s4, v6
	v_addc_co_u32_e32 v13, vcc, v8, v7, vcc
	global_load_dwordx4 v[6:9], v[10:11], off
	v_add_u32_e32 v14, s7, v14
	v_accvgpr_write_b32 a29, v11
	v_accvgpr_write_b32 a31, v13
	v_ashrrev_i32_e32 v15, 31, v14
	v_accvgpr_write_b32 a28, v10
	v_accvgpr_write_b32 a30, v12
	global_load_dwordx4 v[10:13], v[12:13], off
	v_lshlrev_b64 v[16:17], 4, v[14:15]
	v_add_u32_e32 v22, s7, v14
	v_mov_b32_e32 v15, s5
	v_add_co_u32_e32 v16, vcc, s4, v16
	v_ashrrev_i32_e32 v23, 31, v22
	v_addc_co_u32_e32 v17, vcc, v15, v17, vcc
	v_lshlrev_b64 v[14:15], 4, v[22:23]
	s_waitcnt vmcnt(49)
	buffer_store_dword v57, off, s[0:3], 0 offset:220
	buffer_store_dword v56, off, s[0:3], 0 offset:216
	;; [unrolled: 1-line block ×4, first 2 shown]
	s_waitcnt vmcnt(52)
	buffer_store_dword v61, off, s[0:3], 0 offset:236
	buffer_store_dword v60, off, s[0:3], 0 offset:232
	;; [unrolled: 1-line block ×4, first 2 shown]
	s_waitcnt vmcnt(55)
	buffer_store_dword v5, off, s[0:3], 0 offset:252
	v_mov_b32_e32 v5, s5
	v_add_co_u32_e32 v18, vcc, s4, v14
	v_accvgpr_write_b32 a33, v17
	v_addc_co_u32_e32 v19, vcc, v5, v15, vcc
	v_accvgpr_write_b32 a32, v16
	global_load_dwordx4 v[14:17], v[16:17], off
	v_add_u32_e32 v22, s7, v22
	v_accvgpr_write_b32 a35, v19
	v_ashrrev_i32_e32 v23, 31, v22
	v_accvgpr_write_b32 a34, v18
	global_load_dwordx4 v[18:21], v[18:19], off
	v_lshlrev_b64 v[24:25], 4, v[22:23]
	v_add_u32_e32 v30, s7, v22
	v_add_co_u32_e32 v24, vcc, s4, v24
	v_ashrrev_i32_e32 v31, 31, v30
	v_addc_co_u32_e32 v25, vcc, v5, v25, vcc
	v_lshlrev_b64 v[22:23], 4, v[30:31]
	v_add_co_u32_e32 v26, vcc, s4, v22
	v_accvgpr_write_b32 a37, v25
	v_addc_co_u32_e32 v27, vcc, v5, v23, vcc
	v_accvgpr_write_b32 a36, v24
	global_load_dwordx4 v[22:25], v[24:25], off
	v_add_u32_e32 v30, s7, v30
	v_accvgpr_write_b32 a39, v27
	v_ashrrev_i32_e32 v31, 31, v30
	v_accvgpr_write_b32 a38, v26
	global_load_dwordx4 v[26:29], v[26:27], off
	v_lshlrev_b64 v[32:33], 4, v[30:31]
	v_add_u32_e32 v38, s7, v30
	v_add_co_u32_e32 v32, vcc, s4, v32
	v_ashrrev_i32_e32 v39, 31, v38
	v_addc_co_u32_e32 v33, vcc, v5, v33, vcc
	v_lshlrev_b64 v[30:31], 4, v[38:39]
	;; [unrolled: 16-line block ×7, first 2 shown]
	v_add_co_u32_e32 v74, vcc, s4, v70
	v_accvgpr_write_b32 a60, v72
	v_addc_co_u32_e32 v75, vcc, v5, v71, vcc
	v_accvgpr_write_b32 a61, v73
	global_load_dwordx4 v[70:73], v[72:73], off
	v_accvgpr_write_b32 a62, v74
	v_add_u32_e32 v78, s7, v78
	v_accvgpr_write_b32 a63, v75
	global_load_dwordx4 v[74:77], v[74:75], off
	v_ashrrev_i32_e32 v79, 31, v78
	v_lshlrev_b64 v[80:81], 4, v[78:79]
	v_add_co_u32_e32 v184, vcc, s4, v80
	v_add_u32_e32 v78, s7, v78
	v_addc_co_u32_e32 v185, vcc, v5, v81, vcc
	v_ashrrev_i32_e32 v79, 31, v78
	v_lshlrev_b64 v[82:83], 4, v[78:79]
	global_load_dwordx4 v[78:81], v[184:185], off
	v_add_co_u32_e32 v186, vcc, s4, v82
	v_addc_co_u32_e32 v187, vcc, v5, v83, vcc
	global_load_dwordx4 v[82:85], v[186:187], off
	s_nop 0
	buffer_store_dword v4, off, s[0:3], 0 offset:248
	buffer_store_dword v3, off, s[0:3], 0 offset:244
	buffer_store_dword v2, off, s[0:3], 0 offset:240
	s_waitcnt vmcnt(31)
	buffer_store_dword v9, off, s[0:3], 0 offset:268
	buffer_store_dword v8, off, s[0:3], 0 offset:264
	buffer_store_dword v7, off, s[0:3], 0 offset:260
	buffer_store_dword v6, off, s[0:3], 0 offset:256
	s_waitcnt vmcnt(34)
	buffer_store_dword v13, off, s[0:3], 0 offset:284
	;; [unrolled: 5-line block ×15, first 2 shown]
	buffer_store_dword v64, off, s[0:3], 0 offset:488
	buffer_store_dword v63, off, s[0:3], 0 offset:484
	;; [unrolled: 1-line block ×11, first 2 shown]
	s_waitcnt vmcnt(62)
	buffer_store_dword v77, off, s[0:3], 0 offset:540
	buffer_store_dword v76, off, s[0:3], 0 offset:536
	;; [unrolled: 1-line block ×12, first 2 shown]
	v_mov_b32_e32 v2, 16
	v_add_u32_e32 v3, 16, v2
	v_accvgpr_write_b32 a95, v3
	v_add_u32_e32 v3, 32, v2
	v_accvgpr_write_b32 a96, v3
	v_add_u32_e32 v3, 48, v2
	v_accvgpr_write_b32 a97, v3
	v_add_u32_e32 v3, 64, v2
	v_accvgpr_write_b32 a93, v3
	v_add_u32_e32 v3, 0x50, v2
	v_accvgpr_write_b32 a94, v3
	v_add_u32_e32 v3, 0x60, v2
	v_accvgpr_write_b32 a92, v3
	v_add_u32_e32 v3, 0x70, v2
	v_accvgpr_write_b32 a91, v3
	v_add_u32_e32 v3, 0x80, v2
	v_accvgpr_write_b32 a90, v3
	v_add_u32_e32 v3, 0x90, v2
	v_accvgpr_write_b32 a89, v3
	v_add_u32_e32 v3, 0xa0, v2
	v_accvgpr_write_b32 a88, v3
	v_add_u32_e32 v3, 0xb0, v2
	v_accvgpr_write_b32 a87, v3
	v_add_u32_e32 v3, 0xc0, v2
	v_accvgpr_write_b32 a86, v3
	v_add_u32_e32 v3, 0xd0, v2
	v_accvgpr_write_b32 a85, v3
	v_add_u32_e32 v3, 0xe0, v2
	v_accvgpr_write_b32 a84, v3
	v_add_u32_e32 v3, 0xf0, v2
	v_accvgpr_write_b32 a83, v3
	v_add_u32_e32 v3, 0x100, v2
	v_accvgpr_write_b32 a82, v3
	v_add_u32_e32 v3, 0x110, v2
	v_accvgpr_write_b32 a81, v3
	v_add_u32_e32 v3, 0x120, v2
	v_accvgpr_write_b32 a80, v3
	v_add_u32_e32 v3, 0x130, v2
	v_accvgpr_write_b32 a79, v3
	v_add_u32_e32 v3, 0x140, v2
	v_accvgpr_write_b32 a78, v3
	v_add_u32_e32 v3, 0x150, v2
	v_accvgpr_write_b32 a77, v3
	v_add_u32_e32 v3, 0x160, v2
	v_accvgpr_write_b32 a76, v3
	v_add_u32_e32 v3, 0x170, v2
	v_accvgpr_write_b32 a75, v3
	v_add_u32_e32 v3, 0x180, v2
	v_accvgpr_write_b32 a74, v3
	v_add_u32_e32 v3, 0x190, v2
	v_accvgpr_write_b32 a73, v3
	v_add_u32_e32 v3, 0x1a0, v2
	v_accvgpr_write_b32 a72, v3
	v_add_u32_e32 v3, 0x1b0, v2
	v_accvgpr_write_b32 a71, v3
	v_add_u32_e32 v3, 0x1c0, v2
	v_accvgpr_write_b32 a70, v3
	v_add_u32_e32 v3, 0x1d0, v2
	v_accvgpr_write_b32 a69, v3
	v_add_u32_e32 v3, 0x1e0, v2
	v_accvgpr_write_b32 a68, v3
	v_add_u32_e32 v3, 0x1f0, v2
	v_accvgpr_write_b32 a67, v3
	v_add_u32_e32 v3, 0x200, v2
	v_accvgpr_write_b32 a66, v3
	v_add_u32_e32 v3, 0x210, v2
	v_add_u32_e32 v2, 0x220, v2
	v_accvgpr_write_b32 a65, v3
	v_accvgpr_write_b32 a64, v2
	s_bitcmp0_b32 s22, 0
	s_mov_b64 s[6:7], -1
	s_cbranch_scc1 .LBB34_152
; %bb.4:
	v_cmp_eq_u32_e64 s[4:5], 0, v0
	s_and_saveexec_b64 s[6:7], s[4:5]
	s_cbranch_execz .LBB34_6
; %bb.5:
	v_mov_b32_e32 v2, 0
	ds_write_b32 v2, v2 offset:1120
.LBB34_6:
	s_or_b64 exec, exec, s[6:7]
	v_mov_b32_e32 v2, 16
	v_lshl_add_u32 v12, v0, 4, v2
	s_waitcnt lgkmcnt(0)
	; wave barrier
	s_waitcnt lgkmcnt(0)
	buffer_load_dword v2, v12, s[0:3], 0 offen
	buffer_load_dword v3, v12, s[0:3], 0 offen offset:4
	buffer_load_dword v4, v12, s[0:3], 0 offen offset:8
	;; [unrolled: 1-line block ×3, first 2 shown]
	s_waitcnt vmcnt(2)
	v_cmp_eq_f64_e32 vcc, 0, v[2:3]
	s_waitcnt vmcnt(0)
	v_cmp_eq_f64_e64 s[6:7], 0, v[4:5]
	s_and_b64 s[6:7], vcc, s[6:7]
	s_and_saveexec_b64 s[12:13], s[6:7]
	s_cbranch_execz .LBB34_10
; %bb.7:
	v_mov_b32_e32 v2, 0
	ds_read_b32 v4, v2 offset:1120
	v_add_u32_e32 v3, 1, v0
	s_waitcnt lgkmcnt(0)
	v_readfirstlane_b32 s6, v4
	s_cmp_eq_u32 s6, 0
	s_cselect_b64 s[16:17], -1, 0
	v_cmp_gt_i32_e32 vcc, s6, v3
	s_or_b64 s[16:17], s[16:17], vcc
	s_and_b64 exec, exec, s[16:17]
	s_cbranch_execz .LBB34_10
; %bb.8:
	s_mov_b64 s[16:17], 0
	v_mov_b32_e32 v4, s6
.LBB34_9:                               ; =>This Inner Loop Header: Depth=1
	ds_cmpst_rtn_b32 v4, v2, v4, v3 offset:1120
	s_waitcnt lgkmcnt(0)
	v_cmp_ne_u32_e32 vcc, 0, v4
	v_cmp_le_i32_e64 s[6:7], v4, v3
	s_and_b64 s[6:7], vcc, s[6:7]
	s_and_b64 s[6:7], exec, s[6:7]
	s_or_b64 s[16:17], s[6:7], s[16:17]
	s_andn2_b64 exec, exec, s[16:17]
	s_cbranch_execnz .LBB34_9
.LBB34_10:
	s_or_b64 exec, exec, s[12:13]
	v_mov_b32_e32 v3, 0
	s_waitcnt lgkmcnt(0)
	; wave barrier
	ds_read_b32 v2, v3 offset:1120
	s_and_saveexec_b64 s[6:7], s[4:5]
	s_cbranch_execz .LBB34_12
; %bb.11:
	s_lshl_b64 s[12:13], s[8:9], 2
	s_add_u32 s12, s14, s12
	s_addc_u32 s13, s15, s13
	s_waitcnt lgkmcnt(0)
	global_store_dword v3, v2, s[12:13]
.LBB34_12:
	s_or_b64 exec, exec, s[6:7]
	s_waitcnt lgkmcnt(0)
	v_cmp_ne_u32_e32 vcc, 0, v2
	s_mov_b64 s[6:7], 0
	s_cbranch_vccnz .LBB34_152
; %bb.13:
	buffer_load_dword v7, v12, s[0:3], 0 offen offset:4
	buffer_load_dword v6, v12, s[0:3], 0 offen
	buffer_load_dword v9, v12, s[0:3], 0 offen offset:12
	buffer_load_dword v8, v12, s[0:3], 0 offen offset:8
                                        ; implicit-def: $vgpr10_vgpr11
	s_waitcnt vmcnt(3)
	v_xor_b32_e32 v3, 0x80000000, v7
	s_waitcnt vmcnt(2)
	v_cmp_gt_f64_e32 vcc, 0, v[6:7]
	s_waitcnt vmcnt(1)
	v_xor_b32_e32 v4, 0x80000000, v9
	v_cndmask_b32_e32 v3, v7, v3, vcc
	s_waitcnt vmcnt(0)
	v_cmp_gt_f64_e32 vcc, 0, v[8:9]
	v_mov_b32_e32 v2, v6
	v_cndmask_b32_e32 v5, v9, v4, vcc
	v_mov_b32_e32 v4, v8
	v_cmp_ngt_f64_e32 vcc, v[2:3], v[4:5]
                                        ; implicit-def: $vgpr4_vgpr5
	s_and_saveexec_b64 s[6:7], vcc
	s_xor_b64 s[6:7], exec, s[6:7]
	s_cbranch_execz .LBB34_15
; %bb.14:
	v_div_scale_f64 v[2:3], s[12:13], v[8:9], v[8:9], v[6:7]
	v_rcp_f64_e32 v[4:5], v[2:3]
	v_div_scale_f64 v[10:11], vcc, v[6:7], v[8:9], v[6:7]
	v_fma_f64 v[14:15], -v[2:3], v[4:5], 1.0
	v_fmac_f64_e32 v[4:5], v[4:5], v[14:15]
	v_fma_f64 v[14:15], -v[2:3], v[4:5], 1.0
	v_fmac_f64_e32 v[4:5], v[4:5], v[14:15]
	v_mul_f64 v[14:15], v[10:11], v[4:5]
	v_fma_f64 v[2:3], -v[2:3], v[14:15], v[10:11]
	v_div_fmas_f64 v[2:3], v[2:3], v[4:5], v[14:15]
	v_div_fixup_f64 v[2:3], v[2:3], v[8:9], v[6:7]
	v_fmac_f64_e32 v[8:9], v[6:7], v[2:3]
	v_div_scale_f64 v[4:5], s[12:13], v[8:9], v[8:9], 1.0
	v_rcp_f64_e32 v[6:7], v[4:5]
	v_fma_f64 v[10:11], -v[4:5], v[6:7], 1.0
	v_fmac_f64_e32 v[6:7], v[6:7], v[10:11]
	v_fma_f64 v[10:11], -v[4:5], v[6:7], 1.0
	v_fmac_f64_e32 v[6:7], v[6:7], v[10:11]
	v_div_scale_f64 v[10:11], vcc, 1.0, v[8:9], 1.0
	v_mul_f64 v[14:15], v[10:11], v[6:7]
	v_fma_f64 v[4:5], -v[4:5], v[14:15], v[10:11]
	s_nop 1
	v_div_fmas_f64 v[4:5], v[4:5], v[6:7], v[14:15]
	v_div_fixup_f64 v[4:5], v[4:5], v[8:9], 1.0
	v_mul_f64 v[10:11], v[2:3], v[4:5]
	v_xor_b32_e32 v5, 0x80000000, v5
	v_xor_b32_e32 v3, 0x80000000, v11
	v_mov_b32_e32 v2, v10
                                        ; implicit-def: $vgpr6_vgpr7
                                        ; implicit-def: $vgpr8_vgpr9
.LBB34_15:
	s_andn2_saveexec_b64 s[6:7], s[6:7]
	s_cbranch_execz .LBB34_17
; %bb.16:
	v_div_scale_f64 v[2:3], s[12:13], v[6:7], v[6:7], v[8:9]
	v_rcp_f64_e32 v[4:5], v[2:3]
	v_div_scale_f64 v[10:11], vcc, v[8:9], v[6:7], v[8:9]
	v_fma_f64 v[14:15], -v[2:3], v[4:5], 1.0
	v_fmac_f64_e32 v[4:5], v[4:5], v[14:15]
	v_fma_f64 v[14:15], -v[2:3], v[4:5], 1.0
	v_fmac_f64_e32 v[4:5], v[4:5], v[14:15]
	v_mul_f64 v[14:15], v[10:11], v[4:5]
	v_fma_f64 v[2:3], -v[2:3], v[14:15], v[10:11]
	v_div_fmas_f64 v[2:3], v[2:3], v[4:5], v[14:15]
	v_div_fixup_f64 v[4:5], v[2:3], v[6:7], v[8:9]
	v_fmac_f64_e32 v[6:7], v[8:9], v[4:5]
	v_div_scale_f64 v[2:3], s[12:13], v[6:7], v[6:7], 1.0
	v_rcp_f64_e32 v[8:9], v[2:3]
	v_fma_f64 v[10:11], -v[2:3], v[8:9], 1.0
	v_fmac_f64_e32 v[8:9], v[8:9], v[10:11]
	v_fma_f64 v[10:11], -v[2:3], v[8:9], 1.0
	v_fmac_f64_e32 v[8:9], v[8:9], v[10:11]
	v_div_scale_f64 v[10:11], vcc, 1.0, v[6:7], 1.0
	v_mul_f64 v[14:15], v[10:11], v[8:9]
	v_fma_f64 v[2:3], -v[2:3], v[14:15], v[10:11]
	s_nop 1
	v_div_fmas_f64 v[2:3], v[2:3], v[8:9], v[14:15]
	v_div_fixup_f64 v[10:11], v[2:3], v[6:7], 1.0
	v_xor_b32_e32 v3, 0x80000000, v11
	v_mov_b32_e32 v2, v10
	v_mul_f64 v[4:5], v[4:5], -v[10:11]
.LBB34_17:
	s_or_b64 exec, exec, s[6:7]
	buffer_store_dword v11, v12, s[0:3], 0 offen offset:4
	buffer_store_dword v10, v12, s[0:3], 0 offen
	buffer_store_dword v5, v12, s[0:3], 0 offen offset:12
	buffer_store_dword v4, v12, s[0:3], 0 offen offset:8
	v_accvgpr_read_b32 v6, a95
	buffer_load_dword v11, v6, s[0:3], 0 offen offset:12
	buffer_load_dword v10, v6, s[0:3], 0 offen offset:8
	;; [unrolled: 1-line block ×3, first 2 shown]
	buffer_load_dword v8, v6, s[0:3], 0 offen
	v_xor_b32_e32 v5, 0x80000000, v5
	v_add_u32_e32 v6, 0x230, v1
	ds_write_b128 v1, v[2:5]
	s_waitcnt vmcnt(0)
	ds_write_b128 v1, v[8:11] offset:560
	s_waitcnt lgkmcnt(0)
	; wave barrier
	s_waitcnt lgkmcnt(0)
	s_and_saveexec_b64 s[6:7], s[4:5]
	s_cbranch_execz .LBB34_19
; %bb.18:
	buffer_load_dword v14, v12, s[0:3], 0 offen offset:8
	buffer_load_dword v15, v12, s[0:3], 0 offen offset:12
	buffer_load_dword v16, v12, s[0:3], 0 offen
	buffer_load_dword v17, v12, s[0:3], 0 offen offset:4
	ds_read_b128 v[2:5], v6
	v_mov_b32_e32 v7, 0
	ds_read_b128 v[8:11], v7 offset:16
	s_waitcnt vmcnt(2) lgkmcnt(1)
	v_mul_f64 v[18:19], v[4:5], v[14:15]
	v_mul_f64 v[14:15], v[2:3], v[14:15]
	s_waitcnt vmcnt(0)
	v_fmac_f64_e32 v[14:15], v[4:5], v[16:17]
	v_fma_f64 v[2:3], v[2:3], v[16:17], -v[18:19]
	v_add_f64 v[4:5], v[14:15], 0
	v_add_f64 v[2:3], v[2:3], 0
	s_waitcnt lgkmcnt(0)
	v_mul_f64 v[14:15], v[4:5], v[10:11]
	v_mul_f64 v[10:11], v[2:3], v[10:11]
	v_fma_f64 v[2:3], v[2:3], v[8:9], -v[14:15]
	v_fmac_f64_e32 v[10:11], v[4:5], v[8:9]
	buffer_store_dword v2, off, s[0:3], 0 offset:32
	buffer_store_dword v3, off, s[0:3], 0 offset:36
	;; [unrolled: 1-line block ×4, first 2 shown]
.LBB34_19:
	s_or_b64 exec, exec, s[6:7]
	v_accvgpr_read_b32 v5, a96
	s_waitcnt lgkmcnt(0)
	; wave barrier
	buffer_load_dword v2, v5, s[0:3], 0 offen
	buffer_load_dword v3, v5, s[0:3], 0 offen offset:4
	buffer_load_dword v4, v5, s[0:3], 0 offen offset:8
	s_nop 0
	buffer_load_dword v5, v5, s[0:3], 0 offen offset:12
	v_cmp_gt_u32_e32 vcc, 2, v0
	s_waitcnt vmcnt(0)
	ds_write_b128 v6, v[2:5]
	s_waitcnt lgkmcnt(0)
	; wave barrier
	s_waitcnt lgkmcnt(0)
	s_and_saveexec_b64 s[6:7], vcc
	s_cbranch_execz .LBB34_23
; %bb.20:
	buffer_load_dword v8, v12, s[0:3], 0 offen offset:8
	buffer_load_dword v9, v12, s[0:3], 0 offen offset:12
	buffer_load_dword v10, v12, s[0:3], 0 offen
	buffer_load_dword v11, v12, s[0:3], 0 offen offset:4
	ds_read_b128 v[2:5], v6
	s_waitcnt vmcnt(2) lgkmcnt(0)
	v_mul_f64 v[12:13], v[4:5], v[8:9]
	v_mul_f64 v[8:9], v[2:3], v[8:9]
	s_waitcnt vmcnt(0)
	v_fma_f64 v[2:3], v[2:3], v[10:11], -v[12:13]
	v_fmac_f64_e32 v[8:9], v[4:5], v[10:11]
	v_add_f64 v[4:5], v[2:3], 0
	v_add_f64 v[2:3], v[8:9], 0
	s_and_saveexec_b64 s[12:13], s[4:5]
	s_cbranch_execz .LBB34_22
; %bb.21:
	buffer_load_dword v12, off, s[0:3], 0 offset:40
	buffer_load_dword v13, off, s[0:3], 0 offset:44
	;; [unrolled: 1-line block ×4, first 2 shown]
	v_mov_b32_e32 v7, 0
	ds_read_b128 v[8:11], v7 offset:576
	s_waitcnt vmcnt(2) lgkmcnt(0)
	v_mul_f64 v[16:17], v[8:9], v[12:13]
	v_mul_f64 v[12:13], v[10:11], v[12:13]
	s_waitcnt vmcnt(0)
	v_fmac_f64_e32 v[16:17], v[10:11], v[14:15]
	v_fma_f64 v[8:9], v[8:9], v[14:15], -v[12:13]
	v_add_f64 v[2:3], v[2:3], v[16:17]
	v_add_f64 v[4:5], v[4:5], v[8:9]
.LBB34_22:
	s_or_b64 exec, exec, s[12:13]
	v_mov_b32_e32 v7, 0
	ds_read_b128 v[8:11], v7 offset:32
	s_waitcnt lgkmcnt(0)
	v_mul_f64 v[12:13], v[2:3], v[10:11]
	v_mul_f64 v[10:11], v[4:5], v[10:11]
	v_fma_f64 v[4:5], v[4:5], v[8:9], -v[12:13]
	v_fmac_f64_e32 v[10:11], v[2:3], v[8:9]
	buffer_store_dword v5, off, s[0:3], 0 offset:52
	buffer_store_dword v4, off, s[0:3], 0 offset:48
	;; [unrolled: 1-line block ×4, first 2 shown]
.LBB34_23:
	s_or_b64 exec, exec, s[6:7]
	v_accvgpr_read_b32 v5, a97
	s_waitcnt lgkmcnt(0)
	; wave barrier
	buffer_load_dword v2, v5, s[0:3], 0 offen
	buffer_load_dword v3, v5, s[0:3], 0 offen offset:4
	buffer_load_dword v4, v5, s[0:3], 0 offen offset:8
	s_nop 0
	buffer_load_dword v5, v5, s[0:3], 0 offen offset:12
	v_cmp_gt_u32_e32 vcc, 3, v0
	v_add_u32_e32 v7, -1, v0
	s_waitcnt vmcnt(0)
	ds_write_b128 v6, v[2:5]
	s_waitcnt lgkmcnt(0)
	; wave barrier
	s_waitcnt lgkmcnt(0)
	s_and_saveexec_b64 s[4:5], vcc
	s_cbranch_execz .LBB34_27
; %bb.24:
	v_pk_mov_b32 v[2:3], 0, 0
	v_add_u32_e32 v8, -1, v0
	v_add_u32_e32 v9, 0x230, v1
	v_add_u32_e32 v10, 16, v1
	s_mov_b64 s[6:7], 0
	v_pk_mov_b32 v[4:5], v[2:3], v[2:3] op_sel:[0,1]
.LBB34_25:                              ; =>This Inner Loop Header: Depth=1
	buffer_load_dword v16, v10, s[0:3], 0 offen offset:8
	buffer_load_dword v17, v10, s[0:3], 0 offen offset:12
	buffer_load_dword v18, v10, s[0:3], 0 offen
	buffer_load_dword v19, v10, s[0:3], 0 offen offset:4
	ds_read_b128 v[12:15], v9
	v_add_u32_e32 v8, 1, v8
	v_cmp_lt_u32_e32 vcc, 1, v8
	v_add_u32_e32 v9, 16, v9
	v_add_u32_e32 v10, 16, v10
	s_or_b64 s[6:7], vcc, s[6:7]
	s_waitcnt vmcnt(2) lgkmcnt(0)
	v_mul_f64 v[20:21], v[14:15], v[16:17]
	v_mul_f64 v[16:17], v[12:13], v[16:17]
	s_waitcnt vmcnt(0)
	v_fma_f64 v[12:13], v[12:13], v[18:19], -v[20:21]
	v_fmac_f64_e32 v[16:17], v[14:15], v[18:19]
	v_add_f64 v[4:5], v[4:5], v[12:13]
	v_add_f64 v[2:3], v[2:3], v[16:17]
	s_andn2_b64 exec, exec, s[6:7]
	s_cbranch_execnz .LBB34_25
; %bb.26:
	s_or_b64 exec, exec, s[6:7]
	v_mov_b32_e32 v8, 0
	ds_read_b128 v[8:11], v8 offset:48
	s_waitcnt lgkmcnt(0)
	v_mul_f64 v[12:13], v[2:3], v[10:11]
	v_mul_f64 v[10:11], v[4:5], v[10:11]
	v_fma_f64 v[4:5], v[4:5], v[8:9], -v[12:13]
	v_fmac_f64_e32 v[10:11], v[2:3], v[8:9]
	buffer_store_dword v5, off, s[0:3], 0 offset:68
	buffer_store_dword v4, off, s[0:3], 0 offset:64
	buffer_store_dword v11, off, s[0:3], 0 offset:76
	buffer_store_dword v10, off, s[0:3], 0 offset:72
.LBB34_27:
	s_or_b64 exec, exec, s[4:5]
	v_accvgpr_read_b32 v5, a93
	s_waitcnt lgkmcnt(0)
	; wave barrier
	buffer_load_dword v2, v5, s[0:3], 0 offen
	buffer_load_dword v3, v5, s[0:3], 0 offen offset:4
	buffer_load_dword v4, v5, s[0:3], 0 offen offset:8
	s_nop 0
	buffer_load_dword v5, v5, s[0:3], 0 offen offset:12
	v_cmp_gt_u32_e32 vcc, 4, v0
	s_waitcnt vmcnt(0)
	ds_write_b128 v6, v[2:5]
	s_waitcnt lgkmcnt(0)
	; wave barrier
	s_waitcnt lgkmcnt(0)
	s_and_saveexec_b64 s[4:5], vcc
	s_cbranch_execz .LBB34_31
; %bb.28:
	v_pk_mov_b32 v[2:3], 0, 0
	v_add_u32_e32 v8, -1, v0
	v_add_u32_e32 v9, 0x230, v1
	v_add_u32_e32 v10, 16, v1
	s_mov_b64 s[6:7], 0
	v_pk_mov_b32 v[4:5], v[2:3], v[2:3] op_sel:[0,1]
.LBB34_29:                              ; =>This Inner Loop Header: Depth=1
	buffer_load_dword v16, v10, s[0:3], 0 offen offset:8
	buffer_load_dword v17, v10, s[0:3], 0 offen offset:12
	buffer_load_dword v18, v10, s[0:3], 0 offen
	buffer_load_dword v19, v10, s[0:3], 0 offen offset:4
	ds_read_b128 v[12:15], v9
	v_add_u32_e32 v8, 1, v8
	v_cmp_lt_u32_e32 vcc, 2, v8
	v_add_u32_e32 v9, 16, v9
	v_add_u32_e32 v10, 16, v10
	s_or_b64 s[6:7], vcc, s[6:7]
	s_waitcnt vmcnt(2) lgkmcnt(0)
	v_mul_f64 v[20:21], v[14:15], v[16:17]
	v_mul_f64 v[16:17], v[12:13], v[16:17]
	s_waitcnt vmcnt(0)
	v_fma_f64 v[12:13], v[12:13], v[18:19], -v[20:21]
	v_fmac_f64_e32 v[16:17], v[14:15], v[18:19]
	v_add_f64 v[4:5], v[4:5], v[12:13]
	v_add_f64 v[2:3], v[2:3], v[16:17]
	s_andn2_b64 exec, exec, s[6:7]
	s_cbranch_execnz .LBB34_29
; %bb.30:
	s_or_b64 exec, exec, s[6:7]
	v_mov_b32_e32 v8, 0
	ds_read_b128 v[8:11], v8 offset:64
	s_waitcnt lgkmcnt(0)
	v_mul_f64 v[12:13], v[2:3], v[10:11]
	v_mul_f64 v[10:11], v[4:5], v[10:11]
	v_fma_f64 v[4:5], v[4:5], v[8:9], -v[12:13]
	v_fmac_f64_e32 v[10:11], v[2:3], v[8:9]
	buffer_store_dword v5, off, s[0:3], 0 offset:84
	buffer_store_dword v4, off, s[0:3], 0 offset:80
	buffer_store_dword v11, off, s[0:3], 0 offset:92
	buffer_store_dword v10, off, s[0:3], 0 offset:88
.LBB34_31:
	s_or_b64 exec, exec, s[4:5]
	v_accvgpr_read_b32 v5, a94
	s_waitcnt lgkmcnt(0)
	; wave barrier
	buffer_load_dword v2, v5, s[0:3], 0 offen
	buffer_load_dword v3, v5, s[0:3], 0 offen offset:4
	buffer_load_dword v4, v5, s[0:3], 0 offen offset:8
	s_nop 0
	buffer_load_dword v5, v5, s[0:3], 0 offen offset:12
	v_cmp_gt_u32_e32 vcc, 5, v0
	;; [unrolled: 59-line block ×19, first 2 shown]
	s_waitcnt vmcnt(0)
	ds_write_b128 v6, v[2:5]
	s_waitcnt lgkmcnt(0)
	; wave barrier
	s_waitcnt lgkmcnt(0)
	s_and_saveexec_b64 s[4:5], vcc
	s_cbranch_execz .LBB34_103
; %bb.100:
	v_pk_mov_b32 v[2:3], 0, 0
	v_add_u32_e32 v8, -1, v0
	v_add_u32_e32 v9, 0x230, v1
	v_add_u32_e32 v10, 16, v1
	s_mov_b64 s[6:7], 0
	v_pk_mov_b32 v[4:5], v[2:3], v[2:3] op_sel:[0,1]
.LBB34_101:                             ; =>This Inner Loop Header: Depth=1
	buffer_load_dword v16, v10, s[0:3], 0 offen offset:8
	buffer_load_dword v17, v10, s[0:3], 0 offen offset:12
	buffer_load_dword v18, v10, s[0:3], 0 offen
	buffer_load_dword v19, v10, s[0:3], 0 offen offset:4
	ds_read_b128 v[12:15], v9
	v_add_u32_e32 v8, 1, v8
	v_cmp_lt_u32_e32 vcc, 20, v8
	v_add_u32_e32 v9, 16, v9
	v_add_u32_e32 v10, 16, v10
	s_or_b64 s[6:7], vcc, s[6:7]
	s_waitcnt vmcnt(2) lgkmcnt(0)
	v_mul_f64 v[20:21], v[14:15], v[16:17]
	v_mul_f64 v[16:17], v[12:13], v[16:17]
	s_waitcnt vmcnt(0)
	v_fma_f64 v[12:13], v[12:13], v[18:19], -v[20:21]
	v_fmac_f64_e32 v[16:17], v[14:15], v[18:19]
	v_add_f64 v[4:5], v[4:5], v[12:13]
	v_add_f64 v[2:3], v[2:3], v[16:17]
	s_andn2_b64 exec, exec, s[6:7]
	s_cbranch_execnz .LBB34_101
; %bb.102:
	s_or_b64 exec, exec, s[6:7]
	v_mov_b32_e32 v8, 0
	ds_read_b128 v[8:11], v8 offset:352
	s_waitcnt lgkmcnt(0)
	v_mul_f64 v[12:13], v[2:3], v[10:11]
	v_mul_f64 v[10:11], v[4:5], v[10:11]
	v_fma_f64 v[4:5], v[4:5], v[8:9], -v[12:13]
	v_fmac_f64_e32 v[10:11], v[2:3], v[8:9]
	buffer_store_dword v5, off, s[0:3], 0 offset:372
	buffer_store_dword v4, off, s[0:3], 0 offset:368
	buffer_store_dword v11, off, s[0:3], 0 offset:380
	buffer_store_dword v10, off, s[0:3], 0 offset:376
.LBB34_103:
	s_or_b64 exec, exec, s[4:5]
	v_accvgpr_read_b32 v5, a75
	s_waitcnt lgkmcnt(0)
	; wave barrier
	buffer_load_dword v2, v5, s[0:3], 0 offen
	buffer_load_dword v3, v5, s[0:3], 0 offen offset:4
	buffer_load_dword v4, v5, s[0:3], 0 offen offset:8
	s_nop 0
	buffer_load_dword v5, v5, s[0:3], 0 offen offset:12
	v_cmp_gt_u32_e32 vcc, 23, v0
	s_waitcnt vmcnt(0)
	ds_write_b128 v6, v[2:5]
	s_waitcnt lgkmcnt(0)
	; wave barrier
	s_waitcnt lgkmcnt(0)
	s_and_saveexec_b64 s[4:5], vcc
	s_cbranch_execz .LBB34_107
; %bb.104:
	v_pk_mov_b32 v[2:3], 0, 0
	v_add_u32_e32 v8, -1, v0
	v_add_u32_e32 v9, 0x230, v1
	v_add_u32_e32 v10, 16, v1
	s_mov_b64 s[6:7], 0
	v_pk_mov_b32 v[4:5], v[2:3], v[2:3] op_sel:[0,1]
.LBB34_105:                             ; =>This Inner Loop Header: Depth=1
	buffer_load_dword v16, v10, s[0:3], 0 offen offset:8
	buffer_load_dword v17, v10, s[0:3], 0 offen offset:12
	buffer_load_dword v18, v10, s[0:3], 0 offen
	buffer_load_dword v19, v10, s[0:3], 0 offen offset:4
	ds_read_b128 v[12:15], v9
	v_add_u32_e32 v8, 1, v8
	v_cmp_lt_u32_e32 vcc, 21, v8
	v_add_u32_e32 v9, 16, v9
	v_add_u32_e32 v10, 16, v10
	s_or_b64 s[6:7], vcc, s[6:7]
	s_waitcnt vmcnt(2) lgkmcnt(0)
	v_mul_f64 v[20:21], v[14:15], v[16:17]
	v_mul_f64 v[16:17], v[12:13], v[16:17]
	s_waitcnt vmcnt(0)
	v_fma_f64 v[12:13], v[12:13], v[18:19], -v[20:21]
	v_fmac_f64_e32 v[16:17], v[14:15], v[18:19]
	v_add_f64 v[4:5], v[4:5], v[12:13]
	v_add_f64 v[2:3], v[2:3], v[16:17]
	s_andn2_b64 exec, exec, s[6:7]
	s_cbranch_execnz .LBB34_105
; %bb.106:
	s_or_b64 exec, exec, s[6:7]
	v_mov_b32_e32 v8, 0
	ds_read_b128 v[8:11], v8 offset:368
	s_waitcnt lgkmcnt(0)
	v_mul_f64 v[12:13], v[2:3], v[10:11]
	v_mul_f64 v[10:11], v[4:5], v[10:11]
	v_fma_f64 v[4:5], v[4:5], v[8:9], -v[12:13]
	v_fmac_f64_e32 v[10:11], v[2:3], v[8:9]
	buffer_store_dword v5, off, s[0:3], 0 offset:388
	buffer_store_dword v4, off, s[0:3], 0 offset:384
	buffer_store_dword v11, off, s[0:3], 0 offset:396
	buffer_store_dword v10, off, s[0:3], 0 offset:392
.LBB34_107:
	s_or_b64 exec, exec, s[4:5]
	v_accvgpr_read_b32 v5, a74
	s_waitcnt lgkmcnt(0)
	; wave barrier
	buffer_load_dword v2, v5, s[0:3], 0 offen
	buffer_load_dword v3, v5, s[0:3], 0 offen offset:4
	buffer_load_dword v4, v5, s[0:3], 0 offen offset:8
	s_nop 0
	buffer_load_dword v5, v5, s[0:3], 0 offen offset:12
	v_cmp_gt_u32_e32 vcc, 24, v0
	;; [unrolled: 59-line block ×11, first 2 shown]
	s_waitcnt vmcnt(0)
	ds_write_b128 v6, v[2:5]
	s_waitcnt lgkmcnt(0)
	; wave barrier
	s_waitcnt lgkmcnt(0)
	s_and_saveexec_b64 s[4:5], vcc
	s_cbranch_execz .LBB34_147
; %bb.144:
	v_pk_mov_b32 v[2:3], 0, 0
	v_add_u32_e32 v8, -1, v0
	v_add_u32_e32 v9, 0x230, v1
	v_add_u32_e32 v10, 16, v1
	s_mov_b64 s[6:7], 0
	v_pk_mov_b32 v[4:5], v[2:3], v[2:3] op_sel:[0,1]
.LBB34_145:                             ; =>This Inner Loop Header: Depth=1
	buffer_load_dword v16, v10, s[0:3], 0 offen offset:8
	buffer_load_dword v17, v10, s[0:3], 0 offen offset:12
	buffer_load_dword v18, v10, s[0:3], 0 offen
	buffer_load_dword v19, v10, s[0:3], 0 offen offset:4
	ds_read_b128 v[12:15], v9
	v_add_u32_e32 v8, 1, v8
	v_cmp_lt_u32_e32 vcc, 31, v8
	v_add_u32_e32 v9, 16, v9
	v_add_u32_e32 v10, 16, v10
	s_or_b64 s[6:7], vcc, s[6:7]
	s_waitcnt vmcnt(2) lgkmcnt(0)
	v_mul_f64 v[20:21], v[14:15], v[16:17]
	v_mul_f64 v[16:17], v[12:13], v[16:17]
	s_waitcnt vmcnt(0)
	v_fma_f64 v[12:13], v[12:13], v[18:19], -v[20:21]
	v_fmac_f64_e32 v[16:17], v[14:15], v[18:19]
	v_add_f64 v[4:5], v[4:5], v[12:13]
	v_add_f64 v[2:3], v[2:3], v[16:17]
	s_andn2_b64 exec, exec, s[6:7]
	s_cbranch_execnz .LBB34_145
; %bb.146:
	s_or_b64 exec, exec, s[6:7]
	v_mov_b32_e32 v8, 0
	ds_read_b128 v[8:11], v8 offset:528
	s_waitcnt lgkmcnt(0)
	v_mul_f64 v[12:13], v[2:3], v[10:11]
	v_mul_f64 v[10:11], v[4:5], v[10:11]
	v_fma_f64 v[4:5], v[4:5], v[8:9], -v[12:13]
	v_fmac_f64_e32 v[10:11], v[2:3], v[8:9]
	buffer_store_dword v5, off, s[0:3], 0 offset:548
	buffer_store_dword v4, off, s[0:3], 0 offset:544
	;; [unrolled: 1-line block ×4, first 2 shown]
.LBB34_147:
	s_or_b64 exec, exec, s[4:5]
	v_accvgpr_read_b32 v5, a64
	s_waitcnt lgkmcnt(0)
	; wave barrier
	buffer_load_dword v2, v5, s[0:3], 0 offen
	buffer_load_dword v3, v5, s[0:3], 0 offen offset:4
	buffer_load_dword v4, v5, s[0:3], 0 offen offset:8
	s_nop 0
	buffer_load_dword v5, v5, s[0:3], 0 offen offset:12
	v_cmp_ne_u32_e32 vcc, 34, v0
	s_waitcnt vmcnt(0)
	ds_write_b128 v6, v[2:5]
	s_waitcnt lgkmcnt(0)
	; wave barrier
	s_waitcnt lgkmcnt(0)
	s_and_saveexec_b64 s[4:5], vcc
	s_cbranch_execz .LBB34_151
; %bb.148:
	v_pk_mov_b32 v[2:3], 0, 0
	v_add_u32_e32 v6, 0x230, v1
	v_add_u32_e32 v1, 16, v1
	s_mov_b64 s[6:7], 0
	v_pk_mov_b32 v[4:5], v[2:3], v[2:3] op_sel:[0,1]
.LBB34_149:                             ; =>This Inner Loop Header: Depth=1
	buffer_load_dword v12, v1, s[0:3], 0 offen offset:8
	buffer_load_dword v13, v1, s[0:3], 0 offen offset:12
	buffer_load_dword v14, v1, s[0:3], 0 offen
	buffer_load_dword v15, v1, s[0:3], 0 offen offset:4
	ds_read_b128 v[8:11], v6
	v_add_u32_e32 v7, 1, v7
	v_cmp_lt_u32_e32 vcc, 32, v7
	v_add_u32_e32 v6, 16, v6
	v_add_u32_e32 v1, 16, v1
	s_or_b64 s[6:7], vcc, s[6:7]
	s_waitcnt vmcnt(2) lgkmcnt(0)
	v_mul_f64 v[16:17], v[10:11], v[12:13]
	v_mul_f64 v[12:13], v[8:9], v[12:13]
	s_waitcnt vmcnt(0)
	v_fma_f64 v[8:9], v[8:9], v[14:15], -v[16:17]
	v_fmac_f64_e32 v[12:13], v[10:11], v[14:15]
	v_add_f64 v[4:5], v[4:5], v[8:9]
	v_add_f64 v[2:3], v[2:3], v[12:13]
	s_andn2_b64 exec, exec, s[6:7]
	s_cbranch_execnz .LBB34_149
; %bb.150:
	s_or_b64 exec, exec, s[6:7]
	v_mov_b32_e32 v1, 0
	ds_read_b128 v[6:9], v1 offset:544
	s_waitcnt lgkmcnt(0)
	v_mul_f64 v[10:11], v[2:3], v[8:9]
	v_mul_f64 v[8:9], v[4:5], v[8:9]
	v_fma_f64 v[4:5], v[4:5], v[6:7], -v[10:11]
	v_fmac_f64_e32 v[8:9], v[2:3], v[6:7]
	buffer_store_dword v5, off, s[0:3], 0 offset:564
	buffer_store_dword v4, off, s[0:3], 0 offset:560
	buffer_store_dword v9, off, s[0:3], 0 offset:572
	buffer_store_dword v8, off, s[0:3], 0 offset:568
.LBB34_151:
	s_or_b64 exec, exec, s[4:5]
	s_mov_b64 s[6:7], -1
	s_waitcnt lgkmcnt(0)
	; wave barrier
.LBB34_152:
	s_and_b64 vcc, exec, s[6:7]
	s_cbranch_vccz .LBB34_154
; %bb.153:
	s_lshl_b64 s[4:5], s[8:9], 2
	s_add_u32 s4, s14, s4
	s_addc_u32 s5, s15, s5
	v_mov_b32_e32 v1, 0
	global_load_dword v1, v1, s[4:5]
	s_waitcnt vmcnt(0)
	v_cmp_ne_u32_e32 vcc, 0, v1
	s_cbranch_vccz .LBB34_155
.LBB34_154:
	s_endpgm
.LBB34_155:
	v_mov_b32_e32 v1, 0x230
	v_lshl_add_u32 v1, v0, 4, v1
	v_cmp_eq_u32_e32 vcc, 34, v0
	s_and_saveexec_b64 s[4:5], vcc
	s_cbranch_execz .LBB34_157
; %bb.156:
	v_accvgpr_read_b32 v5, a65
	buffer_load_dword v2, v5, s[0:3], 0 offen
	buffer_load_dword v3, v5, s[0:3], 0 offen offset:4
	buffer_load_dword v4, v5, s[0:3], 0 offen offset:8
	s_nop 0
	buffer_load_dword v5, v5, s[0:3], 0 offen offset:12
	v_mov_b32_e32 v6, 0
	buffer_store_dword v6, off, s[0:3], 0 offset:544
	buffer_store_dword v6, off, s[0:3], 0 offset:548
	;; [unrolled: 1-line block ×4, first 2 shown]
	s_waitcnt vmcnt(4)
	ds_write_b128 v1, v[2:5]
.LBB34_157:
	s_or_b64 exec, exec, s[4:5]
	s_waitcnt lgkmcnt(0)
	; wave barrier
	s_waitcnt lgkmcnt(0)
	buffer_load_dword v8, off, s[0:3], 0 offset:568
	buffer_load_dword v9, off, s[0:3], 0 offset:572
	;; [unrolled: 1-line block ×8, first 2 shown]
	v_mov_b32_e32 v2, 0
	ds_read_b128 v[4:7], v2 offset:1104
	v_cmp_lt_u32_e32 vcc, 32, v0
	s_waitcnt vmcnt(6) lgkmcnt(0)
	v_mul_f64 v[16:17], v[4:5], v[8:9]
	v_mul_f64 v[8:9], v[6:7], v[8:9]
	s_waitcnt vmcnt(4)
	v_fma_f64 v[4:5], v[4:5], v[10:11], -v[8:9]
	v_fmac_f64_e32 v[16:17], v[6:7], v[10:11]
	v_add_f64 v[4:5], v[4:5], 0
	v_add_f64 v[6:7], v[16:17], 0
	s_waitcnt vmcnt(2)
	v_add_f64 v[4:5], v[12:13], -v[4:5]
	s_waitcnt vmcnt(0)
	v_add_f64 v[6:7], v[14:15], -v[6:7]
	buffer_store_dword v4, off, s[0:3], 0 offset:544
	buffer_store_dword v5, off, s[0:3], 0 offset:548
	buffer_store_dword v6, off, s[0:3], 0 offset:552
	buffer_store_dword v7, off, s[0:3], 0 offset:556
	s_and_saveexec_b64 s[4:5], vcc
	s_cbranch_execz .LBB34_159
; %bb.158:
	v_accvgpr_read_b32 v3, a66
	buffer_load_dword v4, v3, s[0:3], 0 offen
	buffer_load_dword v5, v3, s[0:3], 0 offen offset:4
	buffer_load_dword v6, v3, s[0:3], 0 offen offset:8
	;; [unrolled: 1-line block ×3, first 2 shown]
	s_nop 0
	buffer_store_dword v2, off, s[0:3], 0 offset:528
	buffer_store_dword v2, off, s[0:3], 0 offset:532
	;; [unrolled: 1-line block ×4, first 2 shown]
	s_waitcnt vmcnt(4)
	ds_write_b128 v1, v[4:7]
.LBB34_159:
	s_or_b64 exec, exec, s[4:5]
	s_waitcnt lgkmcnt(0)
	; wave barrier
	s_waitcnt lgkmcnt(0)
	buffer_load_dword v12, off, s[0:3], 0 offset:552
	buffer_load_dword v13, off, s[0:3], 0 offset:556
	;; [unrolled: 1-line block ×12, first 2 shown]
	ds_read_b128 v[4:7], v2 offset:1088
	ds_read_b128 v[8:11], v2 offset:1104
	v_cmp_lt_u32_e32 vcc, 31, v0
	s_waitcnt vmcnt(10) lgkmcnt(1)
	v_mul_f64 v[2:3], v[4:5], v[12:13]
	v_mul_f64 v[12:13], v[6:7], v[12:13]
	s_waitcnt vmcnt(8) lgkmcnt(0)
	v_mul_f64 v[24:25], v[8:9], v[14:15]
	v_mul_f64 v[14:15], v[10:11], v[14:15]
	s_waitcnt vmcnt(6)
	v_fma_f64 v[4:5], v[4:5], v[16:17], -v[12:13]
	v_fmac_f64_e32 v[2:3], v[6:7], v[16:17]
	s_waitcnt vmcnt(4)
	v_fma_f64 v[6:7], v[8:9], v[18:19], -v[14:15]
	v_add_f64 v[4:5], v[4:5], 0
	v_fmac_f64_e32 v[24:25], v[10:11], v[18:19]
	v_add_f64 v[2:3], v[2:3], 0
	v_add_f64 v[4:5], v[4:5], v[6:7]
	;; [unrolled: 1-line block ×3, first 2 shown]
	s_waitcnt vmcnt(2)
	v_add_f64 v[4:5], v[20:21], -v[4:5]
	s_waitcnt vmcnt(0)
	v_add_f64 v[2:3], v[22:23], -v[2:3]
	buffer_store_dword v4, off, s[0:3], 0 offset:528
	buffer_store_dword v5, off, s[0:3], 0 offset:532
	;; [unrolled: 1-line block ×4, first 2 shown]
	s_and_saveexec_b64 s[4:5], vcc
	s_cbranch_execz .LBB34_161
; %bb.160:
	v_accvgpr_read_b32 v5, a67
	buffer_load_dword v2, v5, s[0:3], 0 offen
	buffer_load_dword v3, v5, s[0:3], 0 offen offset:4
	buffer_load_dword v4, v5, s[0:3], 0 offen offset:8
	s_nop 0
	buffer_load_dword v5, v5, s[0:3], 0 offen offset:12
	v_mov_b32_e32 v6, 0
	buffer_store_dword v6, off, s[0:3], 0 offset:512
	buffer_store_dword v6, off, s[0:3], 0 offset:516
	;; [unrolled: 1-line block ×4, first 2 shown]
	s_waitcnt vmcnt(4)
	ds_write_b128 v1, v[2:5]
.LBB34_161:
	s_or_b64 exec, exec, s[4:5]
	s_waitcnt lgkmcnt(0)
	; wave barrier
	s_waitcnt lgkmcnt(0)
	buffer_load_dword v16, off, s[0:3], 0 offset:536
	buffer_load_dword v17, off, s[0:3], 0 offset:540
	;; [unrolled: 1-line block ×16, first 2 shown]
	v_mov_b32_e32 v2, 0
	ds_read_b128 v[4:7], v2 offset:1072
	ds_read_b128 v[8:11], v2 offset:1088
	;; [unrolled: 1-line block ×3, first 2 shown]
	v_cmp_lt_u32_e32 vcc, 30, v0
	s_waitcnt vmcnt(14) lgkmcnt(2)
	v_mul_f64 v[32:33], v[4:5], v[16:17]
	v_mul_f64 v[16:17], v[6:7], v[16:17]
	s_waitcnt vmcnt(12) lgkmcnt(1)
	v_mul_f64 v[34:35], v[8:9], v[18:19]
	v_mul_f64 v[18:19], v[10:11], v[18:19]
	;; [unrolled: 3-line block ×3, first 2 shown]
	s_waitcnt vmcnt(8)
	v_fma_f64 v[4:5], v[4:5], v[22:23], -v[16:17]
	v_fmac_f64_e32 v[32:33], v[6:7], v[22:23]
	s_waitcnt vmcnt(6)
	v_fma_f64 v[6:7], v[8:9], v[24:25], -v[18:19]
	v_add_f64 v[4:5], v[4:5], 0
	v_fmac_f64_e32 v[34:35], v[10:11], v[24:25]
	s_waitcnt vmcnt(4)
	v_fma_f64 v[8:9], v[12:13], v[26:27], -v[20:21]
	v_add_f64 v[10:11], v[32:33], 0
	v_add_f64 v[4:5], v[4:5], v[6:7]
	v_fmac_f64_e32 v[36:37], v[14:15], v[26:27]
	v_add_f64 v[10:11], v[10:11], v[34:35]
	v_add_f64 v[4:5], v[4:5], v[8:9]
	;; [unrolled: 1-line block ×3, first 2 shown]
	s_waitcnt vmcnt(2)
	v_add_f64 v[4:5], v[28:29], -v[4:5]
	s_waitcnt vmcnt(0)
	v_add_f64 v[6:7], v[30:31], -v[6:7]
	buffer_store_dword v4, off, s[0:3], 0 offset:512
	buffer_store_dword v5, off, s[0:3], 0 offset:516
	;; [unrolled: 1-line block ×4, first 2 shown]
	s_and_saveexec_b64 s[4:5], vcc
	s_cbranch_execz .LBB34_163
; %bb.162:
	v_accvgpr_read_b32 v3, a68
	buffer_load_dword v4, v3, s[0:3], 0 offen
	buffer_load_dword v5, v3, s[0:3], 0 offen offset:4
	buffer_load_dword v6, v3, s[0:3], 0 offen offset:8
	;; [unrolled: 1-line block ×3, first 2 shown]
	s_nop 0
	buffer_store_dword v2, off, s[0:3], 0 offset:496
	buffer_store_dword v2, off, s[0:3], 0 offset:500
	;; [unrolled: 1-line block ×4, first 2 shown]
	s_waitcnt vmcnt(4)
	ds_write_b128 v1, v[4:7]
.LBB34_163:
	s_or_b64 exec, exec, s[4:5]
	s_waitcnt lgkmcnt(0)
	; wave barrier
	s_waitcnt lgkmcnt(0)
	buffer_load_dword v20, off, s[0:3], 0 offset:520
	buffer_load_dword v21, off, s[0:3], 0 offset:524
	;; [unrolled: 1-line block ×20, first 2 shown]
	ds_read_b128 v[4:7], v2 offset:1056
	ds_read_b128 v[8:11], v2 offset:1072
	;; [unrolled: 1-line block ×4, first 2 shown]
	v_cmp_lt_u32_e32 vcc, 29, v0
	s_waitcnt vmcnt(18) lgkmcnt(3)
	v_mul_f64 v[2:3], v[4:5], v[20:21]
	v_mul_f64 v[20:21], v[6:7], v[20:21]
	s_waitcnt vmcnt(16) lgkmcnt(2)
	v_mul_f64 v[40:41], v[8:9], v[22:23]
	v_mul_f64 v[22:23], v[10:11], v[22:23]
	;; [unrolled: 3-line block ×4, first 2 shown]
	s_waitcnt vmcnt(10)
	v_fma_f64 v[4:5], v[4:5], v[28:29], -v[20:21]
	v_fmac_f64_e32 v[2:3], v[6:7], v[28:29]
	s_waitcnt vmcnt(8)
	v_fma_f64 v[6:7], v[8:9], v[30:31], -v[22:23]
	v_add_f64 v[4:5], v[4:5], 0
	v_fmac_f64_e32 v[40:41], v[10:11], v[30:31]
	s_waitcnt vmcnt(6)
	v_fma_f64 v[8:9], v[12:13], v[32:33], -v[24:25]
	v_add_f64 v[2:3], v[2:3], 0
	v_add_f64 v[4:5], v[4:5], v[6:7]
	v_fmac_f64_e32 v[42:43], v[14:15], v[32:33]
	s_waitcnt vmcnt(4)
	v_fma_f64 v[10:11], v[16:17], v[34:35], -v[26:27]
	v_add_f64 v[2:3], v[2:3], v[40:41]
	v_add_f64 v[4:5], v[4:5], v[8:9]
	v_fmac_f64_e32 v[44:45], v[18:19], v[34:35]
	v_add_f64 v[2:3], v[2:3], v[42:43]
	v_add_f64 v[4:5], v[4:5], v[10:11]
	;; [unrolled: 1-line block ×3, first 2 shown]
	s_waitcnt vmcnt(2)
	v_add_f64 v[4:5], v[36:37], -v[4:5]
	s_waitcnt vmcnt(0)
	v_add_f64 v[2:3], v[38:39], -v[2:3]
	buffer_store_dword v4, off, s[0:3], 0 offset:496
	buffer_store_dword v5, off, s[0:3], 0 offset:500
	;; [unrolled: 1-line block ×4, first 2 shown]
	s_and_saveexec_b64 s[4:5], vcc
	s_cbranch_execz .LBB34_165
; %bb.164:
	v_accvgpr_read_b32 v5, a69
	buffer_load_dword v2, v5, s[0:3], 0 offen
	buffer_load_dword v3, v5, s[0:3], 0 offen offset:4
	buffer_load_dword v4, v5, s[0:3], 0 offen offset:8
	s_nop 0
	buffer_load_dword v5, v5, s[0:3], 0 offen offset:12
	v_mov_b32_e32 v6, 0
	buffer_store_dword v6, off, s[0:3], 0 offset:480
	buffer_store_dword v6, off, s[0:3], 0 offset:484
	;; [unrolled: 1-line block ×4, first 2 shown]
	s_waitcnt vmcnt(4)
	ds_write_b128 v1, v[2:5]
.LBB34_165:
	s_or_b64 exec, exec, s[4:5]
	s_waitcnt lgkmcnt(0)
	; wave barrier
	s_waitcnt lgkmcnt(0)
	buffer_load_dword v24, off, s[0:3], 0 offset:504
	buffer_load_dword v25, off, s[0:3], 0 offset:508
	;; [unrolled: 1-line block ×24, first 2 shown]
	v_mov_b32_e32 v2, 0
	ds_read_b128 v[4:7], v2 offset:1040
	ds_read_b128 v[8:11], v2 offset:1056
	ds_read_b128 v[12:15], v2 offset:1072
	ds_read_b128 v[16:19], v2 offset:1088
	ds_read_b128 v[20:23], v2 offset:1104
	v_cmp_lt_u32_e32 vcc, 28, v0
	s_waitcnt vmcnt(22) lgkmcnt(4)
	v_mul_f64 v[48:49], v[4:5], v[24:25]
	v_mul_f64 v[24:25], v[6:7], v[24:25]
	s_waitcnt vmcnt(20) lgkmcnt(3)
	v_mul_f64 v[50:51], v[8:9], v[26:27]
	v_mul_f64 v[26:27], v[10:11], v[26:27]
	;; [unrolled: 3-line block ×4, first 2 shown]
	s_waitcnt vmcnt(13) lgkmcnt(0)
	v_mul_f64 v[56:57], v[20:21], v[30:31]
	s_waitcnt vmcnt(11)
	v_fma_f64 v[4:5], v[4:5], v[36:37], -v[24:25]
	v_fmac_f64_e32 v[48:49], v[6:7], v[36:37]
	s_waitcnt vmcnt(9)
	v_fma_f64 v[6:7], v[8:9], v[38:39], -v[26:27]
	v_add_f64 v[4:5], v[4:5], 0
	v_fmac_f64_e32 v[50:51], v[10:11], v[38:39]
	s_waitcnt vmcnt(7)
	v_fmac_f64_e32 v[52:53], v[14:15], v[40:41]
	v_fma_f64 v[8:9], v[12:13], v[40:41], -v[28:29]
	v_add_f64 v[14:15], v[48:49], 0
	v_add_f64 v[4:5], v[4:5], v[6:7]
	v_mul_f64 v[30:31], v[22:23], v[30:31]
	s_waitcnt vmcnt(5)
	v_fma_f64 v[10:11], v[16:17], v[42:43], -v[34:35]
	v_add_f64 v[14:15], v[14:15], v[50:51]
	v_add_f64 v[4:5], v[4:5], v[8:9]
	v_fmac_f64_e32 v[54:55], v[18:19], v[42:43]
	s_waitcnt vmcnt(4)
	v_fma_f64 v[12:13], v[20:21], v[32:33], -v[30:31]
	v_add_f64 v[6:7], v[14:15], v[52:53]
	v_add_f64 v[4:5], v[4:5], v[10:11]
	v_fmac_f64_e32 v[56:57], v[22:23], v[32:33]
	v_add_f64 v[6:7], v[6:7], v[54:55]
	v_add_f64 v[4:5], v[4:5], v[12:13]
	;; [unrolled: 1-line block ×3, first 2 shown]
	s_waitcnt vmcnt(2)
	v_add_f64 v[4:5], v[44:45], -v[4:5]
	s_waitcnt vmcnt(0)
	v_add_f64 v[6:7], v[46:47], -v[6:7]
	buffer_store_dword v5, off, s[0:3], 0 offset:484
	buffer_store_dword v4, off, s[0:3], 0 offset:480
	;; [unrolled: 1-line block ×4, first 2 shown]
	s_and_saveexec_b64 s[4:5], vcc
	s_cbranch_execz .LBB34_167
; %bb.166:
	v_accvgpr_read_b32 v3, a70
	buffer_load_dword v4, v3, s[0:3], 0 offen
	buffer_load_dword v5, v3, s[0:3], 0 offen offset:4
	buffer_load_dword v6, v3, s[0:3], 0 offen offset:8
	;; [unrolled: 1-line block ×3, first 2 shown]
	s_nop 0
	buffer_store_dword v2, off, s[0:3], 0 offset:464
	buffer_store_dword v2, off, s[0:3], 0 offset:468
	buffer_store_dword v2, off, s[0:3], 0 offset:472
	buffer_store_dword v2, off, s[0:3], 0 offset:476
	s_waitcnt vmcnt(4)
	ds_write_b128 v1, v[4:7]
.LBB34_167:
	s_or_b64 exec, exec, s[4:5]
	s_waitcnt lgkmcnt(0)
	; wave barrier
	s_waitcnt lgkmcnt(0)
	ds_read_b128 v[4:7], v2 offset:1024
	ds_read_b128 v[8:11], v2 offset:1040
	;; [unrolled: 1-line block ×4, first 2 shown]
	buffer_load_dword v28, off, s[0:3], 0 offset:464
	buffer_load_dword v29, off, s[0:3], 0 offset:468
	;; [unrolled: 1-line block ×20, first 2 shown]
	v_cmp_lt_u32_e32 vcc, 27, v0
	s_waitcnt vmcnt(12) lgkmcnt(3)
	v_mul_f64 v[20:21], v[4:5], v[34:35]
	v_fmac_f64_e32 v[20:21], v[6:7], v[32:33]
	v_add_f64 v[20:21], v[20:21], 0
	v_mul_f64 v[6:7], v[6:7], v[34:35]
	s_waitcnt vmcnt(8) lgkmcnt(2)
	v_mul_f64 v[22:23], v[8:9], v[38:39]
	v_fmac_f64_e32 v[22:23], v[10:11], v[36:37]
	v_add_f64 v[20:21], v[20:21], v[22:23]
	v_fma_f64 v[4:5], v[4:5], v[32:33], -v[6:7]
	s_waitcnt vmcnt(4) lgkmcnt(1)
	v_mul_f64 v[22:23], v[12:13], v[42:43]
	v_fmac_f64_e32 v[22:23], v[14:15], v[40:41]
	v_add_f64 v[20:21], v[20:21], v[22:23]
	s_waitcnt vmcnt(0) lgkmcnt(0)
	v_mul_f64 v[22:23], v[16:17], v[46:47]
	v_fmac_f64_e32 v[22:23], v[18:19], v[44:45]
	v_add_f64 v[24:25], v[20:21], v[22:23]
	ds_read_b128 v[20:23], v2 offset:1088
	buffer_load_dword v49, off, s[0:3], 0 offset:548
	buffer_load_dword v48, off, s[0:3], 0 offset:544
	;; [unrolled: 1-line block ×4, first 2 shown]
	v_mul_f64 v[6:7], v[10:11], v[38:39]
	v_add_f64 v[4:5], v[4:5], 0
	v_fma_f64 v[6:7], v[8:9], v[36:37], -v[6:7]
	v_add_f64 v[4:5], v[4:5], v[6:7]
	v_mul_f64 v[6:7], v[14:15], v[42:43]
	v_fma_f64 v[6:7], v[12:13], v[40:41], -v[6:7]
	v_add_f64 v[4:5], v[4:5], v[6:7]
	v_mul_f64 v[6:7], v[18:19], v[46:47]
	v_fma_f64 v[6:7], v[16:17], v[44:45], -v[6:7]
	v_add_f64 v[4:5], v[4:5], v[6:7]
	s_waitcnt vmcnt(0) lgkmcnt(0)
	v_mul_f64 v[26:27], v[20:21], v[50:51]
	v_fmac_f64_e32 v[26:27], v[22:23], v[48:49]
	v_add_f64 v[52:53], v[24:25], v[26:27]
	ds_read_b128 v[24:27], v2 offset:1104
	buffer_load_dword v3, off, s[0:3], 0 offset:564
	buffer_load_dword v2, off, s[0:3], 0 offset:560
	;; [unrolled: 1-line block ×4, first 2 shown]
	v_mul_f64 v[6:7], v[22:23], v[50:51]
	v_fma_f64 v[6:7], v[20:21], v[48:49], -v[6:7]
	v_add_f64 v[4:5], v[4:5], v[6:7]
	s_waitcnt vmcnt(0) lgkmcnt(0)
	v_mul_f64 v[56:57], v[24:25], v[54:55]
	v_mul_f64 v[6:7], v[26:27], v[54:55]
	v_fmac_f64_e32 v[56:57], v[26:27], v[2:3]
	v_fma_f64 v[2:3], v[24:25], v[2:3], -v[6:7]
	v_add_f64 v[2:3], v[4:5], v[2:3]
	v_add_f64 v[52:53], v[52:53], v[56:57]
	v_add_f64 v[2:3], v[28:29], -v[2:3]
	v_add_f64 v[4:5], v[30:31], -v[52:53]
	buffer_store_dword v3, off, s[0:3], 0 offset:468
	buffer_store_dword v2, off, s[0:3], 0 offset:464
	;; [unrolled: 1-line block ×4, first 2 shown]
	s_and_saveexec_b64 s[4:5], vcc
	s_cbranch_execz .LBB34_169
; %bb.168:
	v_accvgpr_read_b32 v5, a71
	buffer_load_dword v2, v5, s[0:3], 0 offen
	buffer_load_dword v3, v5, s[0:3], 0 offen offset:4
	buffer_load_dword v4, v5, s[0:3], 0 offen offset:8
	s_nop 0
	buffer_load_dword v5, v5, s[0:3], 0 offen offset:12
	v_mov_b32_e32 v6, 0
	buffer_store_dword v6, off, s[0:3], 0 offset:448
	buffer_store_dword v6, off, s[0:3], 0 offset:452
	;; [unrolled: 1-line block ×4, first 2 shown]
	s_waitcnt vmcnt(4)
	ds_write_b128 v1, v[2:5]
.LBB34_169:
	s_or_b64 exec, exec, s[4:5]
	s_waitcnt lgkmcnt(0)
	; wave barrier
	s_waitcnt lgkmcnt(0)
	buffer_load_dword v32, off, s[0:3], 0 offset:472
	buffer_load_dword v33, off, s[0:3], 0 offset:476
	;; [unrolled: 1-line block ×32, first 2 shown]
	v_mov_b32_e32 v2, 0
	ds_read_b128 v[4:7], v2 offset:1008
	ds_read_b128 v[8:11], v2 offset:1024
	;; [unrolled: 1-line block ×7, first 2 shown]
	v_cmp_lt_u32_e32 vcc, 26, v0
	s_waitcnt vmcnt(30) lgkmcnt(6)
	v_mul_f64 v[64:65], v[4:5], v[32:33]
	v_mul_f64 v[32:33], v[6:7], v[32:33]
	s_waitcnt vmcnt(28) lgkmcnt(5)
	v_mul_f64 v[66:67], v[8:9], v[34:35]
	v_mul_f64 v[34:35], v[10:11], v[34:35]
	;; [unrolled: 3-line block ×4, first 2 shown]
	s_waitcnt vmcnt(21)
	v_mul_f64 v[70:71], v[16:17], v[42:43]
	v_mul_f64 v[42:43], v[18:19], v[42:43]
	s_waitcnt vmcnt(17) lgkmcnt(1)
	v_mul_f64 v[74:75], v[24:25], v[48:49]
	v_mul_f64 v[48:49], v[26:27], v[48:49]
	s_waitcnt vmcnt(16) lgkmcnt(0)
	v_mul_f64 v[76:77], v[28:29], v[44:45]
	v_mul_f64 v[44:45], v[30:31], v[44:45]
	s_waitcnt vmcnt(13)
	v_fma_f64 v[4:5], v[4:5], v[50:51], -v[32:33]
	v_fmac_f64_e32 v[64:65], v[6:7], v[50:51]
	s_waitcnt vmcnt(11)
	v_fma_f64 v[6:7], v[8:9], v[52:53], -v[34:35]
	v_add_f64 v[4:5], v[4:5], 0
	v_fmac_f64_e32 v[66:67], v[10:11], v[52:53]
	s_waitcnt vmcnt(9)
	v_fma_f64 v[8:9], v[12:13], v[54:55], -v[36:37]
	s_waitcnt vmcnt(7)
	v_fmac_f64_e32 v[70:71], v[18:19], v[56:57]
	v_add_f64 v[18:19], v[64:65], 0
	v_add_f64 v[4:5], v[4:5], v[6:7]
	v_fmac_f64_e32 v[68:69], v[14:15], v[54:55]
	v_fma_f64 v[10:11], v[16:17], v[56:57], -v[42:43]
	v_add_f64 v[18:19], v[18:19], v[66:67]
	v_add_f64 v[4:5], v[4:5], v[8:9]
	v_fma_f64 v[12:13], v[20:21], v[40:41], -v[38:39]
	v_add_f64 v[6:7], v[18:19], v[68:69]
	v_add_f64 v[4:5], v[4:5], v[10:11]
	v_fmac_f64_e32 v[72:73], v[22:23], v[40:41]
	s_waitcnt vmcnt(5)
	v_fma_f64 v[14:15], v[24:25], v[58:59], -v[48:49]
	v_add_f64 v[6:7], v[6:7], v[70:71]
	v_add_f64 v[4:5], v[4:5], v[12:13]
	v_fmac_f64_e32 v[74:75], v[26:27], v[58:59]
	s_waitcnt vmcnt(4)
	v_fma_f64 v[16:17], v[28:29], v[46:47], -v[44:45]
	v_add_f64 v[6:7], v[6:7], v[72:73]
	v_add_f64 v[4:5], v[4:5], v[14:15]
	v_fmac_f64_e32 v[76:77], v[30:31], v[46:47]
	v_add_f64 v[6:7], v[6:7], v[74:75]
	v_add_f64 v[4:5], v[4:5], v[16:17]
	v_add_f64 v[6:7], v[6:7], v[76:77]
	s_waitcnt vmcnt(2)
	v_add_f64 v[4:5], v[60:61], -v[4:5]
	s_waitcnt vmcnt(0)
	v_add_f64 v[6:7], v[62:63], -v[6:7]
	buffer_store_dword v5, off, s[0:3], 0 offset:452
	buffer_store_dword v4, off, s[0:3], 0 offset:448
	;; [unrolled: 1-line block ×4, first 2 shown]
	s_and_saveexec_b64 s[4:5], vcc
	s_cbranch_execz .LBB34_171
; %bb.170:
	v_accvgpr_read_b32 v3, a72
	buffer_load_dword v4, v3, s[0:3], 0 offen
	buffer_load_dword v5, v3, s[0:3], 0 offen offset:4
	buffer_load_dword v6, v3, s[0:3], 0 offen offset:8
	;; [unrolled: 1-line block ×3, first 2 shown]
	s_nop 0
	buffer_store_dword v2, off, s[0:3], 0 offset:432
	buffer_store_dword v2, off, s[0:3], 0 offset:436
	;; [unrolled: 1-line block ×4, first 2 shown]
	s_waitcnt vmcnt(4)
	ds_write_b128 v1, v[4:7]
.LBB34_171:
	s_or_b64 exec, exec, s[4:5]
	s_waitcnt lgkmcnt(0)
	; wave barrier
	s_waitcnt lgkmcnt(0)
	buffer_load_dword v36, off, s[0:3], 0 offset:456
	buffer_load_dword v37, off, s[0:3], 0 offset:460
	;; [unrolled: 1-line block ×36, first 2 shown]
	ds_read_b128 v[4:7], v2 offset:992
	ds_read_b128 v[8:11], v2 offset:1008
	;; [unrolled: 1-line block ×8, first 2 shown]
	v_cmp_lt_u32_e32 vcc, 25, v0
	s_waitcnt vmcnt(34) lgkmcnt(7)
	v_mul_f64 v[2:3], v[4:5], v[36:37]
	v_mul_f64 v[36:37], v[6:7], v[36:37]
	s_waitcnt vmcnt(32) lgkmcnt(6)
	v_mul_f64 v[72:73], v[8:9], v[38:39]
	v_mul_f64 v[38:39], v[10:11], v[38:39]
	;; [unrolled: 3-line block ×4, first 2 shown]
	s_waitcnt vmcnt(25)
	v_mul_f64 v[76:77], v[16:17], v[46:47]
	v_mul_f64 v[46:47], v[18:19], v[46:47]
	s_waitcnt vmcnt(23) lgkmcnt(1)
	v_mul_f64 v[82:83], v[28:29], v[48:49]
	v_mul_f64 v[48:49], v[30:31], v[48:49]
	s_waitcnt vmcnt(20)
	v_mul_f64 v[80:81], v[24:25], v[52:53]
	v_mul_f64 v[52:53], v[26:27], v[52:53]
	s_waitcnt vmcnt(18) lgkmcnt(0)
	v_mul_f64 v[84:85], v[32:33], v[54:55]
	s_waitcnt vmcnt(17)
	v_fmac_f64_e32 v[78:79], v[22:23], v[44:45]
	s_waitcnt vmcnt(16)
	v_fmac_f64_e32 v[82:83], v[30:31], v[50:51]
	s_waitcnt vmcnt(14)
	v_fma_f64 v[4:5], v[4:5], v[56:57], -v[36:37]
	v_fmac_f64_e32 v[2:3], v[6:7], v[56:57]
	s_waitcnt vmcnt(12)
	v_fma_f64 v[6:7], v[8:9], v[58:59], -v[38:39]
	v_add_f64 v[4:5], v[4:5], 0
	v_fmac_f64_e32 v[72:73], v[10:11], v[58:59]
	s_waitcnt vmcnt(10)
	v_fma_f64 v[8:9], v[12:13], v[60:61], -v[40:41]
	v_add_f64 v[2:3], v[2:3], 0
	v_add_f64 v[4:5], v[4:5], v[6:7]
	v_fmac_f64_e32 v[74:75], v[14:15], v[60:61]
	s_waitcnt vmcnt(8)
	v_fma_f64 v[10:11], v[16:17], v[62:63], -v[46:47]
	v_add_f64 v[2:3], v[2:3], v[72:73]
	v_add_f64 v[4:5], v[4:5], v[8:9]
	v_fmac_f64_e32 v[76:77], v[18:19], v[62:63]
	v_fma_f64 v[12:13], v[20:21], v[44:45], -v[42:43]
	v_add_f64 v[2:3], v[2:3], v[74:75]
	v_add_f64 v[4:5], v[4:5], v[10:11]
	s_waitcnt vmcnt(6)
	v_fma_f64 v[14:15], v[24:25], v[64:65], -v[52:53]
	v_add_f64 v[2:3], v[2:3], v[76:77]
	v_add_f64 v[4:5], v[4:5], v[12:13]
	v_fmac_f64_e32 v[80:81], v[26:27], v[64:65]
	v_fma_f64 v[16:17], v[28:29], v[50:51], -v[48:49]
	v_add_f64 v[2:3], v[2:3], v[78:79]
	v_add_f64 v[4:5], v[4:5], v[14:15]
	v_mul_f64 v[6:7], v[34:35], v[54:55]
	v_add_f64 v[2:3], v[2:3], v[80:81]
	v_add_f64 v[4:5], v[4:5], v[16:17]
	s_waitcnt vmcnt(4)
	v_fma_f64 v[6:7], v[32:33], v[66:67], -v[6:7]
	v_fmac_f64_e32 v[84:85], v[34:35], v[66:67]
	v_add_f64 v[2:3], v[2:3], v[82:83]
	v_add_f64 v[4:5], v[4:5], v[6:7]
	;; [unrolled: 1-line block ×3, first 2 shown]
	s_waitcnt vmcnt(2)
	v_add_f64 v[4:5], v[68:69], -v[4:5]
	s_waitcnt vmcnt(0)
	v_add_f64 v[2:3], v[70:71], -v[2:3]
	buffer_store_dword v5, off, s[0:3], 0 offset:436
	buffer_store_dword v4, off, s[0:3], 0 offset:432
	;; [unrolled: 1-line block ×4, first 2 shown]
	s_and_saveexec_b64 s[4:5], vcc
	s_cbranch_execz .LBB34_173
; %bb.172:
	v_accvgpr_read_b32 v5, a73
	buffer_load_dword v2, v5, s[0:3], 0 offen
	buffer_load_dword v3, v5, s[0:3], 0 offen offset:4
	buffer_load_dword v4, v5, s[0:3], 0 offen offset:8
	s_nop 0
	buffer_load_dword v5, v5, s[0:3], 0 offen offset:12
	v_mov_b32_e32 v6, 0
	buffer_store_dword v6, off, s[0:3], 0 offset:416
	buffer_store_dword v6, off, s[0:3], 0 offset:420
	;; [unrolled: 1-line block ×4, first 2 shown]
	s_waitcnt vmcnt(4)
	ds_write_b128 v1, v[2:5]
.LBB34_173:
	s_or_b64 exec, exec, s[4:5]
	s_waitcnt lgkmcnt(0)
	; wave barrier
	s_waitcnt lgkmcnt(0)
	buffer_load_dword v40, off, s[0:3], 0 offset:440
	buffer_load_dword v41, off, s[0:3], 0 offset:444
	;; [unrolled: 1-line block ×40, first 2 shown]
	v_mov_b32_e32 v6, 0
	ds_read_b128 v[2:5], v6 offset:976
	ds_read_b128 v[8:11], v6 offset:992
	;; [unrolled: 1-line block ×9, first 2 shown]
	v_cmp_lt_u32_e32 vcc, 24, v0
	s_waitcnt vmcnt(38) lgkmcnt(8)
	v_mul_f64 v[80:81], v[2:3], v[40:41]
	v_mul_f64 v[40:41], v[4:5], v[40:41]
	s_waitcnt vmcnt(36) lgkmcnt(7)
	v_mul_f64 v[82:83], v[8:9], v[42:43]
	v_mul_f64 v[42:43], v[10:11], v[42:43]
	;; [unrolled: 3-line block ×3, first 2 shown]
	s_waitcnt vmcnt(32) lgkmcnt(4)
	v_mul_f64 v[88:89], v[20:21], v[46:47]
	s_waitcnt vmcnt(30)
	v_fmac_f64_e32 v[88:89], v[22:23], v[48:49]
	s_waitcnt vmcnt(28)
	v_mul_f64 v[86:87], v[16:17], v[50:51]
	v_mul_f64 v[50:51], v[18:19], v[50:51]
	s_waitcnt vmcnt(26) lgkmcnt(2)
	v_mul_f64 v[92:93], v[28:29], v[52:53]
	s_waitcnt vmcnt(24)
	v_fmac_f64_e32 v[92:93], v[30:31], v[54:55]
	s_waitcnt vmcnt(22)
	v_mul_f64 v[90:91], v[24:25], v[56:57]
	s_waitcnt vmcnt(18) lgkmcnt(1)
	v_mul_f64 v[94:95], v[32:33], v[62:63]
	s_waitcnt vmcnt(17) lgkmcnt(0)
	v_mul_f64 v[96:97], v[36:37], v[58:59]
	s_waitcnt vmcnt(15)
	v_fma_f64 v[2:3], v[2:3], v[64:65], -v[40:41]
	v_fmac_f64_e32 v[80:81], v[4:5], v[64:65]
	s_waitcnt vmcnt(13)
	v_fma_f64 v[4:5], v[8:9], v[66:67], -v[42:43]
	v_add_f64 v[2:3], v[2:3], 0
	s_waitcnt vmcnt(11)
	v_fma_f64 v[8:9], v[12:13], v[68:69], -v[44:45]
	v_add_f64 v[2:3], v[2:3], v[4:5]
	v_fmac_f64_e32 v[82:83], v[10:11], v[66:67]
	s_waitcnt vmcnt(9)
	v_fma_f64 v[10:11], v[16:17], v[70:71], -v[50:51]
	v_add_f64 v[2:3], v[2:3], v[8:9]
	v_mul_f64 v[8:9], v[22:23], v[46:47]
	v_add_f64 v[2:3], v[2:3], v[10:11]
	v_fma_f64 v[8:9], v[20:21], v[48:49], -v[8:9]
	v_add_f64 v[2:3], v[2:3], v[8:9]
	v_mul_f64 v[8:9], v[26:27], v[56:57]
	v_add_f64 v[12:13], v[80:81], 0
	s_waitcnt vmcnt(7)
	v_fma_f64 v[8:9], v[24:25], v[72:73], -v[8:9]
	v_fmac_f64_e32 v[84:85], v[14:15], v[68:69]
	v_add_f64 v[12:13], v[12:13], v[82:83]
	v_add_f64 v[2:3], v[2:3], v[8:9]
	v_mul_f64 v[8:9], v[30:31], v[52:53]
	v_fmac_f64_e32 v[86:87], v[18:19], v[70:71]
	v_add_f64 v[4:5], v[12:13], v[84:85]
	v_fma_f64 v[8:9], v[28:29], v[54:55], -v[8:9]
	v_add_f64 v[4:5], v[4:5], v[86:87]
	v_add_f64 v[2:3], v[2:3], v[8:9]
	v_mul_f64 v[8:9], v[34:35], v[62:63]
	v_fmac_f64_e32 v[90:91], v[26:27], v[72:73]
	v_add_f64 v[4:5], v[4:5], v[88:89]
	s_waitcnt vmcnt(5)
	v_fma_f64 v[8:9], v[32:33], v[74:75], -v[8:9]
	v_add_f64 v[4:5], v[4:5], v[90:91]
	v_add_f64 v[2:3], v[2:3], v[8:9]
	v_mul_f64 v[8:9], v[38:39], v[58:59]
	v_fmac_f64_e32 v[94:95], v[34:35], v[74:75]
	v_add_f64 v[4:5], v[4:5], v[92:93]
	s_waitcnt vmcnt(4)
	v_fma_f64 v[8:9], v[36:37], v[60:61], -v[8:9]
	v_fmac_f64_e32 v[96:97], v[38:39], v[60:61]
	v_add_f64 v[4:5], v[4:5], v[94:95]
	v_add_f64 v[2:3], v[2:3], v[8:9]
	;; [unrolled: 1-line block ×3, first 2 shown]
	s_waitcnt vmcnt(2)
	v_add_f64 v[2:3], v[76:77], -v[2:3]
	s_waitcnt vmcnt(0)
	v_add_f64 v[4:5], v[78:79], -v[4:5]
	buffer_store_dword v3, off, s[0:3], 0 offset:420
	buffer_store_dword v2, off, s[0:3], 0 offset:416
	;; [unrolled: 1-line block ×4, first 2 shown]
	s_and_saveexec_b64 s[4:5], vcc
	s_cbranch_execz .LBB34_175
; %bb.174:
	v_accvgpr_read_b32 v5, a74
	buffer_load_dword v2, v5, s[0:3], 0 offen
	buffer_load_dword v3, v5, s[0:3], 0 offen offset:4
	buffer_load_dword v4, v5, s[0:3], 0 offen offset:8
	s_nop 0
	buffer_load_dword v5, v5, s[0:3], 0 offen offset:12
	s_nop 0
	buffer_store_dword v6, off, s[0:3], 0 offset:400
	buffer_store_dword v6, off, s[0:3], 0 offset:404
	;; [unrolled: 1-line block ×4, first 2 shown]
	s_waitcnt vmcnt(4)
	ds_write_b128 v1, v[2:5]
.LBB34_175:
	s_or_b64 exec, exec, s[4:5]
	s_waitcnt lgkmcnt(0)
	; wave barrier
	s_waitcnt lgkmcnt(0)
	buffer_load_dword v4, off, s[0:3], 0 offset:416
	buffer_load_dword v5, off, s[0:3], 0 offset:420
	;; [unrolled: 1-line block ×44, first 2 shown]
	ds_read_b128 v[8:11], v6 offset:960
	ds_read_b128 v[12:15], v6 offset:976
	;; [unrolled: 1-line block ×10, first 2 shown]
	v_cmp_lt_u32_e32 vcc, 23, v0
	s_waitcnt vmcnt(40) lgkmcnt(9)
	v_mul_f64 v[6:7], v[8:9], v[48:49]
	v_mul_f64 v[48:49], v[10:11], v[48:49]
	s_waitcnt vmcnt(38) lgkmcnt(8)
	v_mul_f64 v[88:89], v[12:13], v[50:51]
	v_mul_f64 v[50:51], v[14:15], v[50:51]
	v_fmac_f64_e32 v[6:7], v[10:11], v[4:5]
	v_fma_f64 v[4:5], v[8:9], v[4:5], -v[48:49]
	s_waitcnt vmcnt(36) lgkmcnt(7)
	v_mul_f64 v[90:91], v[16:17], v[2:3]
	v_add_f64 v[4:5], v[4:5], 0
	v_mul_f64 v[2:3], v[18:19], v[2:3]
	v_add_f64 v[6:7], v[6:7], 0
	s_waitcnt vmcnt(30) lgkmcnt(6)
	v_mul_f64 v[92:93], v[20:21], v[56:57]
	s_waitcnt lgkmcnt(5)
	v_mul_f64 v[94:95], v[24:25], v[52:53]
	v_fmac_f64_e32 v[94:95], v[26:27], v[54:55]
	s_waitcnt vmcnt(28) lgkmcnt(3)
	v_mul_f64 v[98:99], v[32:33], v[58:59]
	s_waitcnt vmcnt(26)
	v_fmac_f64_e32 v[98:99], v[34:35], v[60:61]
	s_waitcnt vmcnt(24)
	v_mul_f64 v[96:97], v[28:29], v[62:63]
	s_waitcnt vmcnt(22) lgkmcnt(1)
	v_mul_f64 v[102:103], v[40:41], v[64:65]
	s_waitcnt vmcnt(20)
	v_fmac_f64_e32 v[102:103], v[42:43], v[66:67]
	s_waitcnt vmcnt(18)
	v_mul_f64 v[100:101], v[36:37], v[68:69]
	s_waitcnt vmcnt(16) lgkmcnt(0)
	v_mul_f64 v[104:105], v[44:45], v[70:71]
	s_waitcnt vmcnt(14)
	v_fma_f64 v[8:9], v[12:13], v[72:73], -v[50:51]
	v_add_f64 v[4:5], v[4:5], v[8:9]
	s_waitcnt vmcnt(12)
	v_fma_f64 v[2:3], v[16:17], v[74:75], -v[2:3]
	v_add_f64 v[2:3], v[4:5], v[2:3]
	v_mul_f64 v[4:5], v[22:23], v[56:57]
	s_waitcnt vmcnt(10)
	v_fma_f64 v[4:5], v[20:21], v[76:77], -v[4:5]
	v_add_f64 v[2:3], v[2:3], v[4:5]
	v_mul_f64 v[4:5], v[26:27], v[52:53]
	v_fma_f64 v[4:5], v[24:25], v[54:55], -v[4:5]
	v_add_f64 v[2:3], v[2:3], v[4:5]
	v_mul_f64 v[4:5], v[30:31], v[62:63]
	s_waitcnt vmcnt(8)
	v_fma_f64 v[4:5], v[28:29], v[78:79], -v[4:5]
	v_fmac_f64_e32 v[88:89], v[14:15], v[72:73]
	v_add_f64 v[2:3], v[2:3], v[4:5]
	v_mul_f64 v[4:5], v[34:35], v[58:59]
	v_fmac_f64_e32 v[90:91], v[18:19], v[74:75]
	v_add_f64 v[6:7], v[6:7], v[88:89]
	v_fma_f64 v[4:5], v[32:33], v[60:61], -v[4:5]
	v_fmac_f64_e32 v[92:93], v[22:23], v[76:77]
	v_add_f64 v[6:7], v[6:7], v[90:91]
	v_add_f64 v[2:3], v[2:3], v[4:5]
	v_mul_f64 v[4:5], v[38:39], v[68:69]
	v_add_f64 v[6:7], v[6:7], v[92:93]
	s_waitcnt vmcnt(6)
	v_fma_f64 v[4:5], v[36:37], v[80:81], -v[4:5]
	v_fmac_f64_e32 v[96:97], v[30:31], v[78:79]
	v_add_f64 v[6:7], v[6:7], v[94:95]
	v_add_f64 v[2:3], v[2:3], v[4:5]
	v_mul_f64 v[4:5], v[42:43], v[64:65]
	v_add_f64 v[6:7], v[6:7], v[96:97]
	v_fma_f64 v[4:5], v[40:41], v[66:67], -v[4:5]
	v_fmac_f64_e32 v[100:101], v[38:39], v[80:81]
	v_add_f64 v[6:7], v[6:7], v[98:99]
	v_add_f64 v[2:3], v[2:3], v[4:5]
	v_mul_f64 v[4:5], v[46:47], v[70:71]
	v_add_f64 v[6:7], v[6:7], v[100:101]
	s_waitcnt vmcnt(4)
	v_fma_f64 v[4:5], v[44:45], v[82:83], -v[4:5]
	v_fmac_f64_e32 v[104:105], v[46:47], v[82:83]
	v_add_f64 v[6:7], v[6:7], v[102:103]
	v_add_f64 v[2:3], v[2:3], v[4:5]
	;; [unrolled: 1-line block ×3, first 2 shown]
	s_waitcnt vmcnt(2)
	v_add_f64 v[2:3], v[84:85], -v[2:3]
	s_waitcnt vmcnt(0)
	v_add_f64 v[4:5], v[86:87], -v[6:7]
	buffer_store_dword v3, off, s[0:3], 0 offset:404
	buffer_store_dword v2, off, s[0:3], 0 offset:400
	;; [unrolled: 1-line block ×4, first 2 shown]
	s_and_saveexec_b64 s[4:5], vcc
	s_cbranch_execz .LBB34_177
; %bb.176:
	v_accvgpr_read_b32 v5, a75
	buffer_load_dword v2, v5, s[0:3], 0 offen
	buffer_load_dword v3, v5, s[0:3], 0 offen offset:4
	buffer_load_dword v4, v5, s[0:3], 0 offen offset:8
	s_nop 0
	buffer_load_dword v5, v5, s[0:3], 0 offen offset:12
	v_mov_b32_e32 v6, 0
	buffer_store_dword v6, off, s[0:3], 0 offset:384
	buffer_store_dword v6, off, s[0:3], 0 offset:388
	;; [unrolled: 1-line block ×4, first 2 shown]
	s_waitcnt vmcnt(4)
	ds_write_b128 v1, v[2:5]
.LBB34_177:
	s_or_b64 exec, exec, s[4:5]
	s_waitcnt lgkmcnt(0)
	; wave barrier
	s_waitcnt lgkmcnt(0)
	buffer_load_dword v2, off, s[0:3], 0 offset:400
	buffer_load_dword v3, off, s[0:3], 0 offset:404
	;; [unrolled: 1-line block ×48, first 2 shown]
	v_mov_b32_e32 v12, 0
	ds_read_b128 v[14:17], v12 offset:944
	ds_read_b128 v[18:21], v12 offset:960
	;; [unrolled: 1-line block ×11, first 2 shown]
	v_cmp_lt_u32_e32 vcc, 22, v0
	s_waitcnt vmcnt(44) lgkmcnt(10)
	v_mul_f64 v[96:97], v[14:15], v[6:7]
	v_mul_f64 v[6:7], v[16:17], v[6:7]
	v_fmac_f64_e32 v[96:97], v[16:17], v[2:3]
	v_fma_f64 v[2:3], v[14:15], v[2:3], -v[6:7]
	s_waitcnt vmcnt(40) lgkmcnt(9)
	v_mul_f64 v[98:99], v[18:19], v[8:9]
	v_mul_f64 v[6:7], v[20:21], v[8:9]
	v_fmac_f64_e32 v[98:99], v[20:21], v[4:5]
	v_add_f64 v[2:3], v[2:3], 0
	v_fma_f64 v[4:5], v[18:19], v[4:5], -v[6:7]
	v_add_f64 v[2:3], v[2:3], v[4:5]
	s_waitcnt vmcnt(38) lgkmcnt(8)
	v_mul_f64 v[4:5], v[24:25], v[10:11]
	v_mul_f64 v[100:101], v[22:23], v[10:11]
	v_add_f64 v[96:97], v[96:97], 0
	s_waitcnt vmcnt(32) lgkmcnt(7)
	v_mul_f64 v[102:103], v[26:27], v[62:63]
	v_add_f64 v[96:97], v[96:97], v[98:99]
	s_waitcnt lgkmcnt(6)
	v_mul_f64 v[104:105], v[30:31], v[58:59]
	v_fmac_f64_e32 v[104:105], v[32:33], v[60:61]
	s_waitcnt vmcnt(30) lgkmcnt(4)
	v_mul_f64 v[108:109], v[38:39], v[64:65]
	s_waitcnt vmcnt(26)
	v_mul_f64 v[106:107], v[34:35], v[68:69]
	v_fmac_f64_e32 v[108:109], v[40:41], v[66:67]
	s_waitcnt vmcnt(24) lgkmcnt(2)
	v_mul_f64 v[112:113], v[46:47], v[70:71]
	s_waitcnt vmcnt(22)
	v_fmac_f64_e32 v[112:113], v[48:49], v[72:73]
	s_waitcnt vmcnt(20)
	v_mul_f64 v[110:111], v[42:43], v[74:75]
	s_waitcnt vmcnt(16) lgkmcnt(1)
	v_mul_f64 v[114:115], v[50:51], v[80:81]
	s_waitcnt vmcnt(14)
	v_fma_f64 v[4:5], v[22:23], v[82:83], -v[4:5]
	v_add_f64 v[2:3], v[2:3], v[4:5]
	v_mul_f64 v[4:5], v[28:29], v[62:63]
	s_waitcnt vmcnt(12)
	v_fma_f64 v[4:5], v[26:27], v[84:85], -v[4:5]
	v_add_f64 v[2:3], v[2:3], v[4:5]
	v_mul_f64 v[4:5], v[32:33], v[58:59]
	v_fma_f64 v[4:5], v[30:31], v[60:61], -v[4:5]
	v_add_f64 v[2:3], v[2:3], v[4:5]
	v_mul_f64 v[4:5], v[36:37], v[68:69]
	s_waitcnt vmcnt(10)
	v_fma_f64 v[4:5], v[34:35], v[86:87], -v[4:5]
	v_add_f64 v[2:3], v[2:3], v[4:5]
	v_mul_f64 v[4:5], v[40:41], v[64:65]
	v_fma_f64 v[4:5], v[38:39], v[66:67], -v[4:5]
	v_fmac_f64_e32 v[100:101], v[24:25], v[82:83]
	v_add_f64 v[2:3], v[2:3], v[4:5]
	v_mul_f64 v[4:5], v[44:45], v[74:75]
	v_fmac_f64_e32 v[102:103], v[28:29], v[84:85]
	v_add_f64 v[96:97], v[96:97], v[100:101]
	s_waitcnt vmcnt(8)
	v_fma_f64 v[4:5], v[42:43], v[88:89], -v[4:5]
	v_add_f64 v[96:97], v[96:97], v[102:103]
	v_add_f64 v[2:3], v[2:3], v[4:5]
	v_mul_f64 v[4:5], v[48:49], v[70:71]
	v_fmac_f64_e32 v[106:107], v[36:37], v[86:87]
	v_add_f64 v[96:97], v[96:97], v[104:105]
	v_fma_f64 v[4:5], v[46:47], v[72:73], -v[4:5]
	v_add_f64 v[96:97], v[96:97], v[106:107]
	v_add_f64 v[2:3], v[2:3], v[4:5]
	v_mul_f64 v[4:5], v[52:53], v[80:81]
	v_fmac_f64_e32 v[110:111], v[44:45], v[88:89]
	v_add_f64 v[96:97], v[96:97], v[108:109]
	s_waitcnt vmcnt(6)
	v_fma_f64 v[4:5], v[50:51], v[90:91], -v[4:5]
	v_add_f64 v[96:97], v[96:97], v[110:111]
	v_add_f64 v[2:3], v[2:3], v[4:5]
	s_waitcnt vmcnt(5) lgkmcnt(0)
	v_mul_f64 v[4:5], v[56:57], v[76:77]
	v_fmac_f64_e32 v[114:115], v[52:53], v[90:91]
	v_add_f64 v[96:97], v[96:97], v[112:113]
	v_mul_f64 v[98:99], v[54:55], v[76:77]
	s_waitcnt vmcnt(4)
	v_fma_f64 v[4:5], v[54:55], v[78:79], -v[4:5]
	v_add_f64 v[96:97], v[96:97], v[114:115]
	v_fmac_f64_e32 v[98:99], v[56:57], v[78:79]
	v_add_f64 v[2:3], v[2:3], v[4:5]
	v_add_f64 v[96:97], v[96:97], v[98:99]
	s_waitcnt vmcnt(2)
	v_add_f64 v[2:3], v[92:93], -v[2:3]
	s_waitcnt vmcnt(0)
	v_add_f64 v[4:5], v[94:95], -v[96:97]
	buffer_store_dword v3, off, s[0:3], 0 offset:388
	buffer_store_dword v2, off, s[0:3], 0 offset:384
	buffer_store_dword v5, off, s[0:3], 0 offset:396
	buffer_store_dword v4, off, s[0:3], 0 offset:392
	s_and_saveexec_b64 s[4:5], vcc
	s_cbranch_execz .LBB34_179
; %bb.178:
	v_accvgpr_read_b32 v5, a76
	buffer_load_dword v2, v5, s[0:3], 0 offen
	buffer_load_dword v3, v5, s[0:3], 0 offen offset:4
	buffer_load_dword v4, v5, s[0:3], 0 offen offset:8
	s_nop 0
	buffer_load_dword v5, v5, s[0:3], 0 offen offset:12
	s_nop 0
	buffer_store_dword v12, off, s[0:3], 0 offset:368
	buffer_store_dword v12, off, s[0:3], 0 offset:372
	;; [unrolled: 1-line block ×4, first 2 shown]
	s_waitcnt vmcnt(4)
	ds_write_b128 v1, v[2:5]
.LBB34_179:
	s_or_b64 exec, exec, s[4:5]
	s_waitcnt lgkmcnt(0)
	; wave barrier
	s_waitcnt lgkmcnt(0)
	buffer_load_dword v2, off, s[0:3], 0 offset:384
	buffer_load_dword v3, off, s[0:3], 0 offset:388
	;; [unrolled: 1-line block ×52, first 2 shown]
	ds_read_b128 v[14:17], v12 offset:928
	ds_read_b128 v[18:21], v12 offset:944
	;; [unrolled: 1-line block ×10, first 2 shown]
	v_cmp_lt_u32_e32 vcc, 21, v0
	s_waitcnt vmcnt(48) lgkmcnt(9)
	v_mul_f64 v[54:55], v[14:15], v[6:7]
	v_mul_f64 v[6:7], v[16:17], v[6:7]
	v_fmac_f64_e32 v[54:55], v[16:17], v[2:3]
	v_fma_f64 v[2:3], v[14:15], v[2:3], -v[6:7]
	s_waitcnt vmcnt(44) lgkmcnt(8)
	v_mul_f64 v[56:57], v[18:19], v[8:9]
	v_mul_f64 v[6:7], v[20:21], v[8:9]
	v_fmac_f64_e32 v[56:57], v[20:21], v[4:5]
	v_add_f64 v[2:3], v[2:3], 0
	v_fma_f64 v[4:5], v[18:19], v[4:5], -v[6:7]
	v_add_f64 v[2:3], v[2:3], v[4:5]
	s_waitcnt vmcnt(42) lgkmcnt(7)
	v_mul_f64 v[4:5], v[24:25], v[10:11]
	v_mul_f64 v[58:59], v[22:23], v[10:11]
	v_add_f64 v[54:55], v[54:55], 0
	s_waitcnt vmcnt(36) lgkmcnt(6)
	v_mul_f64 v[60:61], v[26:27], v[66:67]
	v_add_f64 v[54:55], v[54:55], v[56:57]
	s_waitcnt lgkmcnt(5)
	v_mul_f64 v[104:105], v[30:31], v[62:63]
	v_fmac_f64_e32 v[104:105], v[32:33], v[64:65]
	s_waitcnt vmcnt(34) lgkmcnt(3)
	v_mul_f64 v[108:109], v[38:39], v[68:69]
	s_waitcnt vmcnt(30)
	v_mul_f64 v[106:107], v[34:35], v[72:73]
	v_fmac_f64_e32 v[108:109], v[40:41], v[70:71]
	s_waitcnt vmcnt(26) lgkmcnt(2)
	v_mul_f64 v[110:111], v[42:43], v[78:79]
	s_waitcnt vmcnt(25) lgkmcnt(1)
	v_mul_f64 v[112:113], v[46:47], v[74:75]
	s_waitcnt vmcnt(23)
	v_fma_f64 v[4:5], v[22:23], v[80:81], -v[4:5]
	v_add_f64 v[2:3], v[2:3], v[4:5]
	v_mul_f64 v[4:5], v[28:29], v[66:67]
	s_waitcnt vmcnt(21)
	v_fma_f64 v[4:5], v[26:27], v[82:83], -v[4:5]
	v_fmac_f64_e32 v[58:59], v[24:25], v[80:81]
	v_add_f64 v[2:3], v[2:3], v[4:5]
	v_mul_f64 v[4:5], v[32:33], v[62:63]
	v_fmac_f64_e32 v[60:61], v[28:29], v[82:83]
	v_add_f64 v[54:55], v[54:55], v[58:59]
	v_fma_f64 v[4:5], v[30:31], v[64:65], -v[4:5]
	v_add_f64 v[54:55], v[54:55], v[60:61]
	v_add_f64 v[2:3], v[2:3], v[4:5]
	v_mul_f64 v[4:5], v[36:37], v[72:73]
	s_waitcnt vmcnt(19)
	v_fmac_f64_e32 v[106:107], v[36:37], v[84:85]
	v_add_f64 v[54:55], v[54:55], v[104:105]
	v_fma_f64 v[4:5], v[34:35], v[84:85], -v[4:5]
	v_add_f64 v[54:55], v[54:55], v[106:107]
	v_add_f64 v[2:3], v[2:3], v[4:5]
	v_mul_f64 v[4:5], v[40:41], v[68:69]
	s_waitcnt vmcnt(17)
	v_fmac_f64_e32 v[110:111], v[44:45], v[86:87]
	v_add_f64 v[54:55], v[54:55], v[108:109]
	v_fma_f64 v[4:5], v[38:39], v[70:71], -v[4:5]
	s_waitcnt vmcnt(16)
	v_fmac_f64_e32 v[112:113], v[48:49], v[76:77]
	v_add_f64 v[54:55], v[54:55], v[110:111]
	v_add_f64 v[2:3], v[2:3], v[4:5]
	v_mul_f64 v[4:5], v[44:45], v[78:79]
	v_add_f64 v[104:105], v[54:55], v[112:113]
	ds_read_b128 v[54:57], v12 offset:1088
	ds_read_b128 v[58:61], v12 offset:1104
	v_fma_f64 v[4:5], v[42:43], v[86:87], -v[4:5]
	v_add_f64 v[2:3], v[2:3], v[4:5]
	v_mul_f64 v[4:5], v[48:49], v[74:75]
	v_fma_f64 v[4:5], v[46:47], v[76:77], -v[4:5]
	v_add_f64 v[2:3], v[2:3], v[4:5]
	s_waitcnt vmcnt(12) lgkmcnt(2)
	v_mul_f64 v[4:5], v[52:53], v[92:93]
	v_mul_f64 v[106:107], v[50:51], v[92:93]
	s_waitcnt vmcnt(10)
	v_fma_f64 v[4:5], v[50:51], v[94:95], -v[4:5]
	v_fmac_f64_e32 v[106:107], v[52:53], v[94:95]
	v_add_f64 v[2:3], v[2:3], v[4:5]
	s_waitcnt vmcnt(8) lgkmcnt(1)
	v_mul_f64 v[4:5], v[56:57], v[88:89]
	v_add_f64 v[12:13], v[104:105], v[106:107]
	v_mul_f64 v[104:105], v[54:55], v[88:89]
	v_fma_f64 v[4:5], v[54:55], v[90:91], -v[4:5]
	v_fmac_f64_e32 v[104:105], v[56:57], v[90:91]
	v_add_f64 v[2:3], v[2:3], v[4:5]
	s_waitcnt vmcnt(6) lgkmcnt(0)
	v_mul_f64 v[4:5], v[60:61], v[96:97]
	v_add_f64 v[12:13], v[12:13], v[104:105]
	v_mul_f64 v[104:105], v[58:59], v[96:97]
	s_waitcnt vmcnt(4)
	v_fma_f64 v[4:5], v[58:59], v[98:99], -v[4:5]
	v_fmac_f64_e32 v[104:105], v[60:61], v[98:99]
	v_add_f64 v[2:3], v[2:3], v[4:5]
	v_add_f64 v[12:13], v[12:13], v[104:105]
	s_waitcnt vmcnt(2)
	v_add_f64 v[2:3], v[100:101], -v[2:3]
	s_waitcnt vmcnt(0)
	v_add_f64 v[4:5], v[102:103], -v[12:13]
	buffer_store_dword v3, off, s[0:3], 0 offset:372
	buffer_store_dword v2, off, s[0:3], 0 offset:368
	;; [unrolled: 1-line block ×4, first 2 shown]
	s_and_saveexec_b64 s[4:5], vcc
	s_cbranch_execz .LBB34_181
; %bb.180:
	v_accvgpr_read_b32 v5, a77
	buffer_load_dword v2, v5, s[0:3], 0 offen
	buffer_load_dword v3, v5, s[0:3], 0 offen offset:4
	buffer_load_dword v4, v5, s[0:3], 0 offen offset:8
	s_nop 0
	buffer_load_dword v5, v5, s[0:3], 0 offen offset:12
	v_mov_b32_e32 v6, 0
	buffer_store_dword v6, off, s[0:3], 0 offset:352
	buffer_store_dword v6, off, s[0:3], 0 offset:356
	;; [unrolled: 1-line block ×4, first 2 shown]
	s_waitcnt vmcnt(4)
	ds_write_b128 v1, v[2:5]
.LBB34_181:
	s_or_b64 exec, exec, s[4:5]
	s_waitcnt lgkmcnt(0)
	; wave barrier
	s_waitcnt lgkmcnt(0)
	buffer_load_dword v2, off, s[0:3], 0 offset:368
	buffer_load_dword v3, off, s[0:3], 0 offset:372
	;; [unrolled: 1-line block ×56, first 2 shown]
	v_mov_b32_e32 v24, 0
	ds_read_b128 v[18:21], v24 offset:912
	ds_read_b128 v[26:29], v24 offset:928
	ds_read_b128 v[30:33], v24 offset:944
	ds_read_b128 v[34:37], v24 offset:960
	ds_read_b128 v[38:41], v24 offset:976
	ds_read_b128 v[42:45], v24 offset:992
	ds_read_b128 v[46:49], v24 offset:1008
	ds_read_b128 v[50:53], v24 offset:1024
	ds_read_b128 v[70:73], v24 offset:1104
	v_cmp_lt_u32_e32 vcc, 20, v0
	s_waitcnt vmcnt(52) lgkmcnt(8)
	v_mul_f64 v[54:55], v[18:19], v[6:7]
	v_fmac_f64_e32 v[54:55], v[20:21], v[2:3]
	v_mul_f64 v[6:7], v[20:21], v[6:7]
	v_add_f64 v[54:55], v[54:55], 0
	s_waitcnt vmcnt(48) lgkmcnt(7)
	v_mul_f64 v[56:57], v[26:27], v[8:9]
	v_fmac_f64_e32 v[56:57], v[28:29], v[4:5]
	s_waitcnt vmcnt(46) lgkmcnt(6)
	v_mul_f64 v[58:59], v[30:31], v[10:11]
	v_fma_f64 v[2:3], v[18:19], v[2:3], -v[6:7]
	v_mul_f64 v[6:7], v[28:29], v[8:9]
	v_add_f64 v[54:55], v[54:55], v[56:57]
	v_add_f64 v[2:3], v[2:3], 0
	v_fma_f64 v[4:5], v[26:27], v[4:5], -v[6:7]
	s_waitcnt vmcnt(40) lgkmcnt(5)
	v_mul_f64 v[60:61], v[34:35], v[16:17]
	s_waitcnt lgkmcnt(4)
	v_mul_f64 v[62:63], v[38:39], v[12:13]
	v_add_f64 v[2:3], v[2:3], v[4:5]
	v_mul_f64 v[4:5], v[32:33], v[10:11]
	s_waitcnt vmcnt(36) lgkmcnt(3)
	v_mul_f64 v[64:65], v[42:43], v[76:77]
	v_fmac_f64_e32 v[62:63], v[40:41], v[14:15]
	s_waitcnt vmcnt(35) lgkmcnt(2)
	v_mul_f64 v[66:67], v[46:47], v[22:23]
	s_waitcnt vmcnt(33)
	v_fmac_f64_e32 v[58:59], v[32:33], v[78:79]
	v_add_f64 v[54:55], v[54:55], v[58:59]
	s_waitcnt vmcnt(31)
	v_fmac_f64_e32 v[60:61], v[36:37], v[80:81]
	v_add_f64 v[54:55], v[54:55], v[60:61]
	v_fma_f64 v[4:5], v[30:31], v[78:79], -v[4:5]
	s_waitcnt vmcnt(29)
	v_fmac_f64_e32 v[64:65], v[44:45], v[82:83]
	v_add_f64 v[54:55], v[54:55], v[62:63]
	v_add_f64 v[2:3], v[2:3], v[4:5]
	v_mul_f64 v[4:5], v[36:37], v[16:17]
	s_waitcnt vmcnt(28)
	v_fmac_f64_e32 v[66:67], v[48:49], v[74:75]
	v_add_f64 v[54:55], v[54:55], v[64:65]
	v_fma_f64 v[4:5], v[34:35], v[80:81], -v[4:5]
	v_add_f64 v[58:59], v[54:55], v[66:67]
	ds_read_b128 v[54:57], v24 offset:1040
	s_waitcnt vmcnt(24) lgkmcnt(2)
	v_mul_f64 v[60:61], v[50:51], v[88:89]
	v_add_f64 v[2:3], v[2:3], v[4:5]
	v_mul_f64 v[4:5], v[40:41], v[12:13]
	s_waitcnt vmcnt(22)
	v_fmac_f64_e32 v[60:61], v[52:53], v[90:91]
	v_fma_f64 v[4:5], v[38:39], v[14:15], -v[4:5]
	v_add_f64 v[62:63], v[58:59], v[60:61]
	ds_read_b128 v[58:61], v24 offset:1056
	v_add_f64 v[2:3], v[2:3], v[4:5]
	v_mul_f64 v[4:5], v[44:45], v[76:77]
	v_fma_f64 v[4:5], v[42:43], v[82:83], -v[4:5]
	v_add_f64 v[2:3], v[2:3], v[4:5]
	v_mul_f64 v[4:5], v[48:49], v[22:23]
	s_waitcnt vmcnt(20) lgkmcnt(1)
	v_mul_f64 v[64:65], v[54:55], v[84:85]
	v_fma_f64 v[4:5], v[46:47], v[74:75], -v[4:5]
	v_fmac_f64_e32 v[64:65], v[56:57], v[86:87]
	v_add_f64 v[2:3], v[2:3], v[4:5]
	v_mul_f64 v[4:5], v[52:53], v[88:89]
	v_add_f64 v[66:67], v[62:63], v[64:65]
	ds_read_b128 v[62:65], v24 offset:1072
	s_waitcnt vmcnt(16) lgkmcnt(1)
	v_mul_f64 v[68:69], v[58:59], v[96:97]
	v_fma_f64 v[4:5], v[50:51], v[90:91], -v[4:5]
	s_waitcnt vmcnt(14)
	v_fmac_f64_e32 v[68:69], v[60:61], v[98:99]
	v_add_f64 v[2:3], v[2:3], v[4:5]
	v_mul_f64 v[4:5], v[56:57], v[84:85]
	v_add_f64 v[112:113], v[66:67], v[68:69]
	ds_read_b128 v[66:69], v24 offset:1088
	v_fma_f64 v[4:5], v[54:55], v[86:87], -v[4:5]
	v_add_f64 v[2:3], v[2:3], v[4:5]
	v_mul_f64 v[4:5], v[60:61], v[96:97]
	v_fma_f64 v[4:5], v[58:59], v[98:99], -v[4:5]
	v_add_f64 v[2:3], v[2:3], v[4:5]
	s_waitcnt vmcnt(12) lgkmcnt(1)
	v_mul_f64 v[4:5], v[64:65], v[92:93]
	v_mul_f64 v[114:115], v[62:63], v[92:93]
	v_fma_f64 v[4:5], v[62:63], v[94:95], -v[4:5]
	v_fmac_f64_e32 v[114:115], v[64:65], v[94:95]
	v_add_f64 v[2:3], v[2:3], v[4:5]
	s_waitcnt vmcnt(8) lgkmcnt(0)
	v_mul_f64 v[4:5], v[68:69], v[104:105]
	v_add_f64 v[112:113], v[112:113], v[114:115]
	v_mul_f64 v[114:115], v[66:67], v[104:105]
	s_waitcnt vmcnt(6)
	v_fma_f64 v[4:5], v[66:67], v[106:107], -v[4:5]
	v_fmac_f64_e32 v[114:115], v[68:69], v[106:107]
	v_add_f64 v[2:3], v[2:3], v[4:5]
	s_waitcnt vmcnt(5)
	v_mul_f64 v[4:5], v[72:73], v[100:101]
	v_add_f64 v[112:113], v[112:113], v[114:115]
	v_mul_f64 v[114:115], v[70:71], v[100:101]
	s_waitcnt vmcnt(4)
	v_fma_f64 v[4:5], v[70:71], v[102:103], -v[4:5]
	v_fmac_f64_e32 v[114:115], v[72:73], v[102:103]
	v_add_f64 v[2:3], v[2:3], v[4:5]
	v_add_f64 v[112:113], v[112:113], v[114:115]
	s_waitcnt vmcnt(2)
	v_add_f64 v[2:3], v[108:109], -v[2:3]
	s_waitcnt vmcnt(0)
	v_add_f64 v[4:5], v[110:111], -v[112:113]
	buffer_store_dword v3, off, s[0:3], 0 offset:356
	buffer_store_dword v2, off, s[0:3], 0 offset:352
	;; [unrolled: 1-line block ×4, first 2 shown]
	s_and_saveexec_b64 s[4:5], vcc
	s_cbranch_execz .LBB34_183
; %bb.182:
	v_accvgpr_read_b32 v5, a78
	buffer_load_dword v2, v5, s[0:3], 0 offen
	buffer_load_dword v3, v5, s[0:3], 0 offen offset:4
	buffer_load_dword v4, v5, s[0:3], 0 offen offset:8
	s_nop 0
	buffer_load_dword v5, v5, s[0:3], 0 offen offset:12
	s_nop 0
	buffer_store_dword v24, off, s[0:3], 0 offset:336
	buffer_store_dword v24, off, s[0:3], 0 offset:340
	;; [unrolled: 1-line block ×4, first 2 shown]
	s_waitcnt vmcnt(4)
	ds_write_b128 v1, v[2:5]
.LBB34_183:
	s_or_b64 exec, exec, s[4:5]
	s_waitcnt lgkmcnt(0)
	; wave barrier
	s_waitcnt lgkmcnt(0)
	buffer_load_dword v2, off, s[0:3], 0 offset:352
	buffer_load_dword v3, off, s[0:3], 0 offset:356
	;; [unrolled: 1-line block ×60, first 2 shown]
	ds_read_b128 v[26:29], v24 offset:896
	ds_read_b128 v[30:33], v24 offset:912
	;; [unrolled: 1-line block ×8, first 2 shown]
	v_cmp_lt_u32_e32 vcc, 19, v0
	ds_read_b128 v[78:81], v24 offset:1104
	s_waitcnt vmcnt(56) lgkmcnt(8)
	v_mul_f64 v[58:59], v[26:27], v[6:7]
	v_fmac_f64_e32 v[58:59], v[28:29], v[2:3]
	v_add_f64 v[58:59], v[58:59], 0
	v_mul_f64 v[6:7], v[28:29], v[6:7]
	s_waitcnt vmcnt(52) lgkmcnt(7)
	v_mul_f64 v[60:61], v[30:31], v[8:9]
	v_fmac_f64_e32 v[60:61], v[32:33], v[4:5]
	s_waitcnt vmcnt(50) lgkmcnt(6)
	v_mul_f64 v[62:63], v[34:35], v[10:11]
	v_add_f64 v[58:59], v[58:59], v[60:61]
	s_waitcnt vmcnt(48) lgkmcnt(4)
	v_mul_f64 v[66:67], v[42:43], v[12:13]
	v_fma_f64 v[2:3], v[26:27], v[2:3], -v[6:7]
	s_waitcnt vmcnt(46)
	v_fmac_f64_e32 v[66:67], v[44:45], v[14:15]
	v_mul_f64 v[6:7], v[32:33], v[8:9]
	s_waitcnt vmcnt(44)
	v_mul_f64 v[64:65], v[38:39], v[16:17]
	v_add_f64 v[2:3], v[2:3], 0
	v_fma_f64 v[4:5], v[30:31], v[4:5], -v[6:7]
	v_add_f64 v[2:3], v[2:3], v[4:5]
	s_waitcnt vmcnt(40) lgkmcnt(3)
	v_mul_f64 v[68:69], v[46:47], v[22:23]
	v_mul_f64 v[4:5], v[36:37], v[10:11]
	s_waitcnt vmcnt(38)
	v_fmac_f64_e32 v[62:63], v[36:37], v[82:83]
	v_add_f64 v[58:59], v[58:59], v[62:63]
	s_waitcnt vmcnt(36)
	v_fmac_f64_e32 v[64:65], v[40:41], v[84:85]
	v_add_f64 v[58:59], v[58:59], v[64:65]
	;; [unrolled: 3-line block ×3, first 2 shown]
	s_waitcnt vmcnt(32) lgkmcnt(2)
	v_mul_f64 v[60:61], v[50:51], v[18:19]
	v_add_f64 v[58:59], v[58:59], v[68:69]
	v_fmac_f64_e32 v[60:61], v[52:53], v[20:21]
	v_add_f64 v[62:63], v[58:59], v[60:61]
	ds_read_b128 v[58:61], v24 offset:1024
	v_fma_f64 v[4:5], v[34:35], v[82:83], -v[4:5]
	v_add_f64 v[2:3], v[2:3], v[4:5]
	v_mul_f64 v[4:5], v[40:41], v[16:17]
	v_fma_f64 v[4:5], v[38:39], v[84:85], -v[4:5]
	s_waitcnt vmcnt(28) lgkmcnt(2)
	v_mul_f64 v[64:65], v[54:55], v[92:93]
	v_add_f64 v[2:3], v[2:3], v[4:5]
	v_mul_f64 v[4:5], v[44:45], v[12:13]
	s_waitcnt vmcnt(26)
	v_fmac_f64_e32 v[64:65], v[56:57], v[94:95]
	v_fma_f64 v[4:5], v[42:43], v[14:15], -v[4:5]
	v_add_f64 v[66:67], v[62:63], v[64:65]
	ds_read_b128 v[62:65], v24 offset:1040
	s_waitcnt vmcnt(24) lgkmcnt(1)
	v_mul_f64 v[68:69], v[58:59], v[88:89]
	v_add_f64 v[2:3], v[2:3], v[4:5]
	v_mul_f64 v[4:5], v[48:49], v[22:23]
	v_fmac_f64_e32 v[68:69], v[60:61], v[90:91]
	v_fma_f64 v[4:5], v[46:47], v[86:87], -v[4:5]
	v_add_f64 v[70:71], v[66:67], v[68:69]
	ds_read_b128 v[66:69], v24 offset:1056
	v_add_f64 v[2:3], v[2:3], v[4:5]
	v_mul_f64 v[4:5], v[52:53], v[18:19]
	v_fma_f64 v[4:5], v[50:51], v[20:21], -v[4:5]
	v_add_f64 v[2:3], v[2:3], v[4:5]
	v_mul_f64 v[4:5], v[56:57], v[92:93]
	s_waitcnt vmcnt(20) lgkmcnt(1)
	v_mul_f64 v[72:73], v[62:63], v[100:101]
	v_fma_f64 v[4:5], v[54:55], v[94:95], -v[4:5]
	s_waitcnt vmcnt(18)
	v_fmac_f64_e32 v[72:73], v[64:65], v[102:103]
	v_add_f64 v[2:3], v[2:3], v[4:5]
	v_mul_f64 v[4:5], v[60:61], v[88:89]
	v_add_f64 v[74:75], v[70:71], v[72:73]
	ds_read_b128 v[70:73], v24 offset:1072
	s_waitcnt vmcnt(16) lgkmcnt(1)
	v_mul_f64 v[76:77], v[66:67], v[96:97]
	v_fma_f64 v[4:5], v[58:59], v[90:91], -v[4:5]
	v_fmac_f64_e32 v[76:77], v[68:69], v[98:99]
	v_add_f64 v[2:3], v[2:3], v[4:5]
	v_mul_f64 v[4:5], v[64:65], v[100:101]
	v_add_f64 v[122:123], v[74:75], v[76:77]
	ds_read_b128 v[74:77], v24 offset:1088
	v_fma_f64 v[4:5], v[62:63], v[102:103], -v[4:5]
	v_add_f64 v[2:3], v[2:3], v[4:5]
	v_mul_f64 v[4:5], v[68:69], v[96:97]
	v_fma_f64 v[4:5], v[66:67], v[98:99], -v[4:5]
	v_add_f64 v[2:3], v[2:3], v[4:5]
	s_waitcnt vmcnt(12) lgkmcnt(1)
	v_mul_f64 v[4:5], v[72:73], v[108:109]
	v_mul_f64 v[124:125], v[70:71], v[108:109]
	s_waitcnt vmcnt(10)
	v_fma_f64 v[4:5], v[70:71], v[110:111], -v[4:5]
	v_fmac_f64_e32 v[124:125], v[72:73], v[110:111]
	v_add_f64 v[2:3], v[2:3], v[4:5]
	s_waitcnt vmcnt(8) lgkmcnt(0)
	v_mul_f64 v[4:5], v[76:77], v[104:105]
	v_add_f64 v[24:25], v[122:123], v[124:125]
	v_mul_f64 v[122:123], v[74:75], v[104:105]
	v_fma_f64 v[4:5], v[74:75], v[106:107], -v[4:5]
	v_fmac_f64_e32 v[122:123], v[76:77], v[106:107]
	v_add_f64 v[2:3], v[2:3], v[4:5]
	s_waitcnt vmcnt(6)
	v_mul_f64 v[4:5], v[80:81], v[112:113]
	v_add_f64 v[24:25], v[24:25], v[122:123]
	v_mul_f64 v[122:123], v[78:79], v[112:113]
	s_waitcnt vmcnt(4)
	v_fma_f64 v[4:5], v[78:79], v[114:115], -v[4:5]
	v_fmac_f64_e32 v[122:123], v[80:81], v[114:115]
	v_add_f64 v[2:3], v[2:3], v[4:5]
	v_add_f64 v[24:25], v[24:25], v[122:123]
	s_waitcnt vmcnt(2)
	v_add_f64 v[2:3], v[116:117], -v[2:3]
	s_waitcnt vmcnt(0)
	v_add_f64 v[4:5], v[120:121], -v[24:25]
	buffer_store_dword v3, off, s[0:3], 0 offset:340
	buffer_store_dword v2, off, s[0:3], 0 offset:336
	;; [unrolled: 1-line block ×4, first 2 shown]
	s_and_saveexec_b64 s[4:5], vcc
	s_cbranch_execz .LBB34_185
; %bb.184:
	v_accvgpr_read_b32 v5, a79
	buffer_load_dword v2, v5, s[0:3], 0 offen
	buffer_load_dword v3, v5, s[0:3], 0 offen offset:4
	buffer_load_dword v4, v5, s[0:3], 0 offen offset:8
	s_nop 0
	buffer_load_dword v5, v5, s[0:3], 0 offen offset:12
	v_mov_b32_e32 v6, 0
	buffer_store_dword v6, off, s[0:3], 0 offset:320
	buffer_store_dword v6, off, s[0:3], 0 offset:324
	;; [unrolled: 1-line block ×4, first 2 shown]
	s_waitcnt vmcnt(4)
	ds_write_b128 v1, v[2:5]
.LBB34_185:
	s_or_b64 exec, exec, s[4:5]
	s_waitcnt lgkmcnt(0)
	; wave barrier
	s_waitcnt lgkmcnt(0)
	buffer_load_dword v2, off, s[0:3], 0 offset:336
	buffer_load_dword v3, off, s[0:3], 0 offset:340
	;; [unrolled: 1-line block ×64, first 2 shown]
	v_mov_b32_e32 v38, 0
	ds_read_b128 v[30:33], v38 offset:880
	ds_read_b128 v[34:37], v38 offset:896
	;; [unrolled: 1-line block ×7, first 2 shown]
	v_cmp_lt_u32_e32 vcc, 18, v0
	s_waitcnt vmcnt(60) lgkmcnt(6)
	v_mul_f64 v[56:57], v[30:31], v[6:7]
	v_fmac_f64_e32 v[56:57], v[32:33], v[2:3]
	v_add_f64 v[56:57], v[56:57], 0
	v_mul_f64 v[6:7], v[32:33], v[6:7]
	s_waitcnt vmcnt(56) lgkmcnt(5)
	v_mul_f64 v[58:59], v[34:35], v[8:9]
	v_fmac_f64_e32 v[58:59], v[36:37], v[4:5]
	s_waitcnt vmcnt(54) lgkmcnt(4)
	v_mul_f64 v[60:61], v[40:41], v[10:11]
	v_add_f64 v[56:57], v[56:57], v[58:59]
	v_fma_f64 v[2:3], v[30:31], v[2:3], -v[6:7]
	v_mul_f64 v[6:7], v[36:37], v[8:9]
	s_waitcnt vmcnt(50) lgkmcnt(3)
	v_mul_f64 v[62:63], v[44:45], v[16:17]
	s_waitcnt vmcnt(49) lgkmcnt(2)
	v_mul_f64 v[64:65], v[48:49], v[12:13]
	v_add_f64 v[2:3], v[2:3], 0
	s_waitcnt vmcnt(47)
	v_fmac_f64_e32 v[60:61], v[42:43], v[20:21]
	v_add_f64 v[56:57], v[56:57], v[60:61]
	s_waitcnt vmcnt(45)
	v_fmac_f64_e32 v[62:63], v[46:47], v[18:19]
	;; [unrolled: 3-line block ×3, first 2 shown]
	v_add_f64 v[60:61], v[56:57], v[64:65]
	ds_read_b128 v[56:59], v38 offset:976
	s_waitcnt vmcnt(40) lgkmcnt(2)
	v_mul_f64 v[62:63], v[52:53], v[26:27]
	v_fma_f64 v[4:5], v[34:35], v[4:5], -v[6:7]
	s_waitcnt vmcnt(38)
	v_fmac_f64_e32 v[62:63], v[54:55], v[28:29]
	v_add_f64 v[64:65], v[60:61], v[62:63]
	ds_read_b128 v[60:63], v38 offset:992
	s_waitcnt vmcnt(36) lgkmcnt(1)
	v_mul_f64 v[66:67], v[56:57], v[22:23]
	v_fmac_f64_e32 v[66:67], v[58:59], v[24:25]
	v_add_f64 v[2:3], v[2:3], v[4:5]
	v_mul_f64 v[4:5], v[42:43], v[10:11]
	v_add_f64 v[68:69], v[64:65], v[66:67]
	ds_read_b128 v[64:67], v38 offset:1008
	s_waitcnt vmcnt(32) lgkmcnt(1)
	v_mul_f64 v[70:71], v[60:61], v[96:97]
	v_fma_f64 v[4:5], v[40:41], v[20:21], -v[4:5]
	s_waitcnt vmcnt(30)
	v_fmac_f64_e32 v[70:71], v[62:63], v[98:99]
	v_add_f64 v[2:3], v[2:3], v[4:5]
	v_mul_f64 v[4:5], v[46:47], v[16:17]
	v_add_f64 v[72:73], v[68:69], v[70:71]
	ds_read_b128 v[68:71], v38 offset:1024
	v_fma_f64 v[4:5], v[44:45], v[18:19], -v[4:5]
	v_add_f64 v[2:3], v[2:3], v[4:5]
	v_mul_f64 v[4:5], v[50:51], v[12:13]
	v_fma_f64 v[4:5], v[48:49], v[14:15], -v[4:5]
	s_waitcnt vmcnt(28) lgkmcnt(1)
	v_mul_f64 v[74:75], v[64:65], v[92:93]
	v_add_f64 v[2:3], v[2:3], v[4:5]
	v_mul_f64 v[4:5], v[54:55], v[26:27]
	v_fmac_f64_e32 v[74:75], v[66:67], v[94:95]
	v_fma_f64 v[4:5], v[52:53], v[28:29], -v[4:5]
	v_add_f64 v[76:77], v[72:73], v[74:75]
	ds_read_b128 v[72:75], v38 offset:1040
	s_waitcnt vmcnt(24) lgkmcnt(1)
	v_mul_f64 v[78:79], v[68:69], v[104:105]
	v_add_f64 v[2:3], v[2:3], v[4:5]
	v_mul_f64 v[4:5], v[58:59], v[22:23]
	s_waitcnt vmcnt(22)
	v_fmac_f64_e32 v[78:79], v[70:71], v[106:107]
	v_fma_f64 v[4:5], v[56:57], v[24:25], -v[4:5]
	v_add_f64 v[80:81], v[76:77], v[78:79]
	ds_read_b128 v[76:79], v38 offset:1056
	v_add_f64 v[2:3], v[2:3], v[4:5]
	v_mul_f64 v[4:5], v[62:63], v[96:97]
	v_fma_f64 v[4:5], v[60:61], v[98:99], -v[4:5]
	v_add_f64 v[2:3], v[2:3], v[4:5]
	v_mul_f64 v[4:5], v[66:67], v[92:93]
	s_waitcnt vmcnt(20) lgkmcnt(1)
	v_mul_f64 v[82:83], v[72:73], v[100:101]
	v_fma_f64 v[4:5], v[64:65], v[94:95], -v[4:5]
	v_fmac_f64_e32 v[82:83], v[74:75], v[102:103]
	v_add_f64 v[2:3], v[2:3], v[4:5]
	v_mul_f64 v[4:5], v[70:71], v[104:105]
	v_add_f64 v[84:85], v[80:81], v[82:83]
	ds_read_b128 v[80:83], v38 offset:1072
	s_waitcnt vmcnt(16) lgkmcnt(1)
	v_mul_f64 v[86:87], v[76:77], v[112:113]
	v_fma_f64 v[4:5], v[68:69], v[106:107], -v[4:5]
	s_waitcnt vmcnt(14)
	v_fmac_f64_e32 v[86:87], v[78:79], v[114:115]
	v_add_f64 v[2:3], v[2:3], v[4:5]
	v_mul_f64 v[4:5], v[74:75], v[100:101]
	v_add_f64 v[130:131], v[84:85], v[86:87]
	ds_read_b128 v[84:87], v38 offset:1088
	v_fma_f64 v[4:5], v[72:73], v[102:103], -v[4:5]
	v_add_f64 v[2:3], v[2:3], v[4:5]
	v_mul_f64 v[4:5], v[78:79], v[112:113]
	v_fma_f64 v[4:5], v[76:77], v[114:115], -v[4:5]
	v_add_f64 v[2:3], v[2:3], v[4:5]
	s_waitcnt vmcnt(12) lgkmcnt(1)
	v_mul_f64 v[4:5], v[82:83], v[108:109]
	v_mul_f64 v[132:133], v[80:81], v[108:109]
	v_fma_f64 v[4:5], v[80:81], v[110:111], -v[4:5]
	v_fmac_f64_e32 v[132:133], v[82:83], v[110:111]
	v_add_f64 v[2:3], v[2:3], v[4:5]
	s_waitcnt vmcnt(8) lgkmcnt(0)
	v_mul_f64 v[4:5], v[86:87], v[122:123]
	v_add_f64 v[130:131], v[130:131], v[132:133]
	v_mul_f64 v[132:133], v[84:85], v[122:123]
	s_waitcnt vmcnt(6)
	v_fma_f64 v[4:5], v[84:85], v[124:125], -v[4:5]
	v_fmac_f64_e32 v[132:133], v[86:87], v[124:125]
	v_add_f64 v[2:3], v[2:3], v[4:5]
	s_waitcnt vmcnt(5)
	v_mul_f64 v[4:5], v[90:91], v[116:117]
	v_add_f64 v[130:131], v[130:131], v[132:133]
	v_mul_f64 v[132:133], v[88:89], v[116:117]
	s_waitcnt vmcnt(4)
	v_fma_f64 v[4:5], v[88:89], v[120:121], -v[4:5]
	v_fmac_f64_e32 v[132:133], v[90:91], v[120:121]
	v_add_f64 v[2:3], v[2:3], v[4:5]
	v_add_f64 v[130:131], v[130:131], v[132:133]
	s_waitcnt vmcnt(2)
	v_add_f64 v[2:3], v[126:127], -v[2:3]
	s_waitcnt vmcnt(0)
	v_add_f64 v[4:5], v[128:129], -v[130:131]
	buffer_store_dword v3, off, s[0:3], 0 offset:324
	buffer_store_dword v2, off, s[0:3], 0 offset:320
	;; [unrolled: 1-line block ×4, first 2 shown]
	s_and_saveexec_b64 s[4:5], vcc
	s_cbranch_execz .LBB34_187
; %bb.186:
	v_accvgpr_read_b32 v5, a80
	buffer_load_dword v2, v5, s[0:3], 0 offen
	buffer_load_dword v3, v5, s[0:3], 0 offen offset:4
	buffer_load_dword v4, v5, s[0:3], 0 offen offset:8
	s_nop 0
	buffer_load_dword v5, v5, s[0:3], 0 offen offset:12
	s_nop 0
	buffer_store_dword v38, off, s[0:3], 0 offset:304
	buffer_store_dword v38, off, s[0:3], 0 offset:308
	;; [unrolled: 1-line block ×4, first 2 shown]
	s_waitcnt vmcnt(4)
	ds_write_b128 v1, v[2:5]
.LBB34_187:
	s_or_b64 exec, exec, s[4:5]
	s_waitcnt lgkmcnt(0)
	; wave barrier
	s_waitcnt lgkmcnt(0)
	buffer_load_dword v2, off, s[0:3], 0 offset:320
	buffer_load_dword v3, off, s[0:3], 0 offset:324
	;; [unrolled: 1-line block ×64, first 2 shown]
	ds_read_b128 v[40:43], v38 offset:864
	ds_read_b128 v[44:47], v38 offset:880
	;; [unrolled: 1-line block ×4, first 2 shown]
	buffer_load_dword v134, off, s[0:3], 0 offset:304
	buffer_load_dword v135, off, s[0:3], 0 offset:308
	;; [unrolled: 1-line block ×4, first 2 shown]
	v_cmp_lt_u32_e32 vcc, 17, v0
	ds_read_b128 v[100:103], v38 offset:1104
	s_waitcnt vmcnt(62) lgkmcnt(4)
	v_mul_f64 v[56:57], v[40:41], v[4:5]
	v_fmac_f64_e32 v[56:57], v[42:43], v[2:3]
	s_waitcnt lgkmcnt(3)
	v_mul_f64 v[58:59], v[44:45], v[6:7]
	v_add_f64 v[56:57], v[56:57], 0
	s_waitcnt vmcnt(60) lgkmcnt(2)
	v_mul_f64 v[60:61], v[48:49], v[8:9]
	v_mul_f64 v[4:5], v[42:43], v[4:5]
	v_fma_f64 v[2:3], v[40:41], v[2:3], -v[4:5]
	v_mul_f64 v[4:5], v[46:47], v[6:7]
	s_waitcnt vmcnt(56) lgkmcnt(1)
	v_mul_f64 v[62:63], v[52:53], v[14:15]
	v_add_f64 v[2:3], v[2:3], 0
	s_waitcnt vmcnt(54)
	v_fmac_f64_e32 v[58:59], v[46:47], v[20:21]
	v_add_f64 v[64:65], v[56:57], v[58:59]
	ds_read_b128 v[56:59], v38 offset:928
	s_waitcnt vmcnt(52)
	v_fmac_f64_e32 v[60:61], v[50:51], v[18:19]
	v_add_f64 v[60:61], v[64:65], v[60:61]
	s_waitcnt vmcnt(50)
	v_fmac_f64_e32 v[62:63], v[54:55], v[16:17]
	v_add_f64 v[64:65], v[60:61], v[62:63]
	ds_read_b128 v[60:63], v38 offset:944
	s_waitcnt vmcnt(48) lgkmcnt(1)
	v_mul_f64 v[66:67], v[56:57], v[10:11]
	v_fmac_f64_e32 v[66:67], v[58:59], v[12:13]
	v_add_f64 v[68:69], v[64:65], v[66:67]
	ds_read_b128 v[64:67], v38 offset:960
	s_waitcnt vmcnt(44) lgkmcnt(1)
	v_mul_f64 v[70:71], v[60:61], v[26:27]
	s_waitcnt vmcnt(42)
	v_fmac_f64_e32 v[70:71], v[62:63], v[28:29]
	v_add_f64 v[72:73], v[68:69], v[70:71]
	ds_read_b128 v[68:71], v38 offset:976
	s_waitcnt vmcnt(40) lgkmcnt(1)
	v_mul_f64 v[74:75], v[64:65], v[22:23]
	v_fmac_f64_e32 v[74:75], v[66:67], v[24:25]
	v_add_f64 v[76:77], v[72:73], v[74:75]
	ds_read_b128 v[72:75], v38 offset:992
	v_fma_f64 v[4:5], v[44:45], v[20:21], -v[4:5]
	v_add_f64 v[2:3], v[2:3], v[4:5]
	v_mul_f64 v[4:5], v[50:51], v[8:9]
	s_waitcnt vmcnt(36) lgkmcnt(1)
	v_mul_f64 v[78:79], v[68:69], v[34:35]
	v_fma_f64 v[4:5], v[48:49], v[18:19], -v[4:5]
	s_waitcnt vmcnt(34)
	v_fmac_f64_e32 v[78:79], v[70:71], v[36:37]
	v_add_f64 v[2:3], v[2:3], v[4:5]
	v_mul_f64 v[4:5], v[54:55], v[14:15]
	v_add_f64 v[80:81], v[76:77], v[78:79]
	ds_read_b128 v[76:79], v38 offset:1008
	s_waitcnt vmcnt(32) lgkmcnt(1)
	v_mul_f64 v[82:83], v[72:73], v[30:31]
	v_fma_f64 v[4:5], v[52:53], v[16:17], -v[4:5]
	v_fmac_f64_e32 v[82:83], v[74:75], v[32:33]
	v_add_f64 v[2:3], v[2:3], v[4:5]
	v_mul_f64 v[4:5], v[58:59], v[10:11]
	v_add_f64 v[84:85], v[80:81], v[82:83]
	ds_read_b128 v[80:83], v38 offset:1024
	v_fma_f64 v[4:5], v[56:57], v[12:13], -v[4:5]
	v_add_f64 v[2:3], v[2:3], v[4:5]
	v_mul_f64 v[4:5], v[62:63], v[26:27]
	v_fma_f64 v[4:5], v[60:61], v[28:29], -v[4:5]
	s_waitcnt vmcnt(28) lgkmcnt(1)
	v_mul_f64 v[86:87], v[76:77], v[108:109]
	v_add_f64 v[2:3], v[2:3], v[4:5]
	v_mul_f64 v[4:5], v[66:67], v[22:23]
	s_waitcnt vmcnt(26)
	v_fmac_f64_e32 v[86:87], v[78:79], v[110:111]
	v_fma_f64 v[4:5], v[64:65], v[24:25], -v[4:5]
	v_add_f64 v[88:89], v[84:85], v[86:87]
	ds_read_b128 v[84:87], v38 offset:1040
	s_waitcnt vmcnt(24) lgkmcnt(1)
	v_mul_f64 v[90:91], v[80:81], v[104:105]
	v_add_f64 v[2:3], v[2:3], v[4:5]
	v_mul_f64 v[4:5], v[70:71], v[34:35]
	v_fmac_f64_e32 v[90:91], v[82:83], v[106:107]
	v_fma_f64 v[4:5], v[68:69], v[36:37], -v[4:5]
	v_add_f64 v[92:93], v[88:89], v[90:91]
	ds_read_b128 v[88:91], v38 offset:1056
	v_add_f64 v[2:3], v[2:3], v[4:5]
	v_mul_f64 v[4:5], v[74:75], v[30:31]
	v_fma_f64 v[4:5], v[72:73], v[32:33], -v[4:5]
	v_add_f64 v[2:3], v[2:3], v[4:5]
	v_mul_f64 v[4:5], v[78:79], v[108:109]
	s_waitcnt vmcnt(20) lgkmcnt(1)
	v_mul_f64 v[94:95], v[84:85], v[116:117]
	v_fma_f64 v[4:5], v[76:77], v[110:111], -v[4:5]
	s_waitcnt vmcnt(18)
	v_fmac_f64_e32 v[94:95], v[86:87], v[120:121]
	v_add_f64 v[2:3], v[2:3], v[4:5]
	v_mul_f64 v[4:5], v[82:83], v[104:105]
	v_add_f64 v[96:97], v[92:93], v[94:95]
	ds_read_b128 v[92:95], v38 offset:1072
	s_waitcnt vmcnt(16) lgkmcnt(1)
	v_mul_f64 v[98:99], v[88:89], v[112:113]
	v_fma_f64 v[4:5], v[80:81], v[106:107], -v[4:5]
	v_fmac_f64_e32 v[98:99], v[90:91], v[114:115]
	v_add_f64 v[2:3], v[2:3], v[4:5]
	v_mul_f64 v[4:5], v[86:87], v[116:117]
	v_add_f64 v[138:139], v[96:97], v[98:99]
	ds_read_b128 v[96:99], v38 offset:1088
	v_fma_f64 v[4:5], v[84:85], v[120:121], -v[4:5]
	v_add_f64 v[2:3], v[2:3], v[4:5]
	v_mul_f64 v[4:5], v[90:91], v[112:113]
	v_fma_f64 v[4:5], v[88:89], v[114:115], -v[4:5]
	v_add_f64 v[2:3], v[2:3], v[4:5]
	s_waitcnt vmcnt(12) lgkmcnt(1)
	v_mul_f64 v[4:5], v[94:95], v[126:127]
	v_mul_f64 v[140:141], v[92:93], v[126:127]
	s_waitcnt vmcnt(10)
	v_fma_f64 v[4:5], v[92:93], v[128:129], -v[4:5]
	v_fmac_f64_e32 v[140:141], v[94:95], v[128:129]
	v_add_f64 v[2:3], v[2:3], v[4:5]
	s_waitcnt vmcnt(8) lgkmcnt(0)
	v_mul_f64 v[4:5], v[98:99], v[122:123]
	v_add_f64 v[38:39], v[138:139], v[140:141]
	v_mul_f64 v[138:139], v[96:97], v[122:123]
	v_fma_f64 v[4:5], v[96:97], v[124:125], -v[4:5]
	v_fmac_f64_e32 v[138:139], v[98:99], v[124:125]
	v_add_f64 v[2:3], v[2:3], v[4:5]
	s_waitcnt vmcnt(6)
	v_mul_f64 v[4:5], v[102:103], v[130:131]
	v_add_f64 v[38:39], v[38:39], v[138:139]
	v_mul_f64 v[138:139], v[100:101], v[130:131]
	s_waitcnt vmcnt(4)
	v_fma_f64 v[4:5], v[100:101], v[132:133], -v[4:5]
	v_fmac_f64_e32 v[138:139], v[102:103], v[132:133]
	v_add_f64 v[2:3], v[2:3], v[4:5]
	v_add_f64 v[38:39], v[38:39], v[138:139]
	s_waitcnt vmcnt(2)
	v_add_f64 v[2:3], v[134:135], -v[2:3]
	s_waitcnt vmcnt(0)
	v_add_f64 v[4:5], v[136:137], -v[38:39]
	buffer_store_dword v3, off, s[0:3], 0 offset:308
	buffer_store_dword v2, off, s[0:3], 0 offset:304
	buffer_store_dword v5, off, s[0:3], 0 offset:316
	buffer_store_dword v4, off, s[0:3], 0 offset:312
	s_and_saveexec_b64 s[4:5], vcc
	s_cbranch_execz .LBB34_189
; %bb.188:
	v_accvgpr_read_b32 v5, a81
	buffer_load_dword v2, v5, s[0:3], 0 offen
	buffer_load_dword v3, v5, s[0:3], 0 offen offset:4
	buffer_load_dword v4, v5, s[0:3], 0 offen offset:8
	s_nop 0
	buffer_load_dword v5, v5, s[0:3], 0 offen offset:12
	v_mov_b32_e32 v6, 0
	buffer_store_dword v6, off, s[0:3], 0 offset:288
	buffer_store_dword v6, off, s[0:3], 0 offset:292
	;; [unrolled: 1-line block ×4, first 2 shown]
	s_waitcnt vmcnt(4)
	ds_write_b128 v1, v[2:5]
.LBB34_189:
	s_or_b64 exec, exec, s[4:5]
	s_waitcnt lgkmcnt(0)
	; wave barrier
	s_waitcnt lgkmcnt(0)
	buffer_load_dword v2, off, s[0:3], 0 offset:304
	buffer_load_dword v3, off, s[0:3], 0 offset:308
	;; [unrolled: 1-line block ×68, first 2 shown]
	v_mov_b32_e32 v52, 0
	ds_read_b128 v[42:45], v52 offset:848
	ds_read_b128 v[46:49], v52 offset:864
	buffer_load_dword v142, off, s[0:3], 0 offset:288
	buffer_load_dword v143, off, s[0:3], 0 offset:292
	;; [unrolled: 1-line block ×4, first 2 shown]
	ds_read_b128 v[54:57], v52 offset:880
	ds_read_b128 v[58:61], v52 offset:896
	;; [unrolled: 1-line block ×3, first 2 shown]
	v_cmp_lt_u32_e32 vcc, 16, v0
	s_waitcnt vmcnt(62) lgkmcnt(4)
	v_mul_f64 v[62:63], v[42:43], v[8:9]
	v_fmac_f64_e32 v[62:63], v[44:45], v[2:3]
	v_add_f64 v[62:63], v[62:63], 0
	v_mul_f64 v[8:9], v[44:45], v[8:9]
	s_waitcnt lgkmcnt(3)
	v_mul_f64 v[64:65], v[46:47], v[10:11]
	v_fmac_f64_e32 v[64:65], v[48:49], v[4:5]
	v_add_f64 v[62:63], v[62:63], v[64:65]
	v_fma_f64 v[2:3], v[42:43], v[2:3], -v[8:9]
	s_waitcnt vmcnt(60) lgkmcnt(2)
	v_mul_f64 v[64:65], v[54:55], v[12:13]
	v_fmac_f64_e32 v[64:65], v[56:57], v[6:7]
	v_add_f64 v[66:67], v[62:63], v[64:65]
	ds_read_b128 v[62:65], v52 offset:912
	s_waitcnt vmcnt(56) lgkmcnt(2)
	v_mul_f64 v[68:69], v[58:59], v[18:19]
	v_mul_f64 v[8:9], v[48:49], v[10:11]
	s_waitcnt vmcnt(54)
	v_fmac_f64_e32 v[68:69], v[60:61], v[20:21]
	v_add_f64 v[70:71], v[66:67], v[68:69]
	ds_read_b128 v[66:69], v52 offset:928
	s_waitcnt vmcnt(52) lgkmcnt(1)
	v_mul_f64 v[72:73], v[62:63], v[14:15]
	v_fmac_f64_e32 v[72:73], v[64:65], v[16:17]
	v_add_f64 v[74:75], v[70:71], v[72:73]
	ds_read_b128 v[70:73], v52 offset:944
	s_waitcnt vmcnt(48) lgkmcnt(1)
	v_mul_f64 v[76:77], v[66:67], v[26:27]
	s_waitcnt vmcnt(46)
	v_fmac_f64_e32 v[76:77], v[68:69], v[28:29]
	v_add_f64 v[78:79], v[74:75], v[76:77]
	ds_read_b128 v[74:77], v52 offset:960
	s_waitcnt vmcnt(44) lgkmcnt(1)
	v_mul_f64 v[80:81], v[70:71], v[22:23]
	v_fmac_f64_e32 v[80:81], v[72:73], v[24:25]
	v_add_f64 v[82:83], v[78:79], v[80:81]
	ds_read_b128 v[78:81], v52 offset:976
	s_waitcnt vmcnt(40) lgkmcnt(1)
	v_mul_f64 v[84:85], v[74:75], v[34:35]
	s_waitcnt vmcnt(38)
	v_fmac_f64_e32 v[84:85], v[76:77], v[36:37]
	v_add_f64 v[2:3], v[2:3], 0
	v_fma_f64 v[4:5], v[46:47], v[4:5], -v[8:9]
	v_add_f64 v[86:87], v[82:83], v[84:85]
	ds_read_b128 v[82:85], v52 offset:992
	v_add_f64 v[2:3], v[2:3], v[4:5]
	v_mul_f64 v[4:5], v[56:57], v[12:13]
	v_fma_f64 v[4:5], v[54:55], v[6:7], -v[4:5]
	v_add_f64 v[2:3], v[2:3], v[4:5]
	v_mul_f64 v[4:5], v[60:61], v[18:19]
	s_waitcnt vmcnt(36) lgkmcnt(1)
	v_mul_f64 v[88:89], v[78:79], v[30:31]
	v_fma_f64 v[4:5], v[58:59], v[20:21], -v[4:5]
	v_fmac_f64_e32 v[88:89], v[80:81], v[32:33]
	v_add_f64 v[2:3], v[2:3], v[4:5]
	v_mul_f64 v[4:5], v[64:65], v[14:15]
	v_add_f64 v[90:91], v[86:87], v[88:89]
	ds_read_b128 v[86:89], v52 offset:1008
	s_waitcnt vmcnt(32) lgkmcnt(1)
	v_mul_f64 v[92:93], v[82:83], v[50:51]
	v_fma_f64 v[4:5], v[62:63], v[16:17], -v[4:5]
	s_waitcnt vmcnt(30)
	v_fmac_f64_e32 v[92:93], v[84:85], v[114:115]
	v_add_f64 v[2:3], v[2:3], v[4:5]
	v_mul_f64 v[4:5], v[68:69], v[26:27]
	v_add_f64 v[94:95], v[90:91], v[92:93]
	ds_read_b128 v[90:93], v52 offset:1024
	v_fma_f64 v[4:5], v[66:67], v[28:29], -v[4:5]
	v_add_f64 v[2:3], v[2:3], v[4:5]
	v_mul_f64 v[4:5], v[72:73], v[22:23]
	v_fma_f64 v[4:5], v[70:71], v[24:25], -v[4:5]
	s_waitcnt vmcnt(28) lgkmcnt(1)
	v_mul_f64 v[96:97], v[86:87], v[38:39]
	v_add_f64 v[2:3], v[2:3], v[4:5]
	v_mul_f64 v[4:5], v[76:77], v[34:35]
	v_fmac_f64_e32 v[96:97], v[88:89], v[40:41]
	v_fma_f64 v[4:5], v[74:75], v[36:37], -v[4:5]
	v_add_f64 v[98:99], v[94:95], v[96:97]
	ds_read_b128 v[94:97], v52 offset:1040
	s_waitcnt vmcnt(24) lgkmcnt(1)
	v_mul_f64 v[100:101], v[90:91], v[122:123]
	v_add_f64 v[2:3], v[2:3], v[4:5]
	v_mul_f64 v[4:5], v[80:81], v[30:31]
	s_waitcnt vmcnt(22)
	v_fmac_f64_e32 v[100:101], v[92:93], v[124:125]
	v_fma_f64 v[4:5], v[78:79], v[32:33], -v[4:5]
	v_add_f64 v[102:103], v[98:99], v[100:101]
	ds_read_b128 v[98:101], v52 offset:1056
	v_add_f64 v[2:3], v[2:3], v[4:5]
	v_mul_f64 v[4:5], v[84:85], v[50:51]
	v_fma_f64 v[4:5], v[82:83], v[114:115], -v[4:5]
	v_add_f64 v[2:3], v[2:3], v[4:5]
	v_mul_f64 v[4:5], v[88:89], v[38:39]
	s_waitcnt vmcnt(20) lgkmcnt(1)
	v_mul_f64 v[104:105], v[94:95], v[116:117]
	v_fma_f64 v[4:5], v[86:87], v[40:41], -v[4:5]
	v_fmac_f64_e32 v[104:105], v[96:97], v[120:121]
	v_add_f64 v[2:3], v[2:3], v[4:5]
	v_mul_f64 v[4:5], v[92:93], v[122:123]
	v_add_f64 v[106:107], v[102:103], v[104:105]
	ds_read_b128 v[102:105], v52 offset:1072
	s_waitcnt vmcnt(16) lgkmcnt(1)
	v_mul_f64 v[108:109], v[98:99], v[130:131]
	v_fma_f64 v[4:5], v[90:91], v[124:125], -v[4:5]
	s_waitcnt vmcnt(14)
	v_fmac_f64_e32 v[108:109], v[100:101], v[132:133]
	v_add_f64 v[2:3], v[2:3], v[4:5]
	v_mul_f64 v[4:5], v[96:97], v[116:117]
	v_add_f64 v[146:147], v[106:107], v[108:109]
	ds_read_b128 v[106:109], v52 offset:1088
	v_fma_f64 v[4:5], v[94:95], v[120:121], -v[4:5]
	v_add_f64 v[2:3], v[2:3], v[4:5]
	v_mul_f64 v[4:5], v[100:101], v[130:131]
	v_fma_f64 v[4:5], v[98:99], v[132:133], -v[4:5]
	v_add_f64 v[2:3], v[2:3], v[4:5]
	s_waitcnt vmcnt(12) lgkmcnt(1)
	v_mul_f64 v[4:5], v[104:105], v[126:127]
	v_mul_f64 v[148:149], v[102:103], v[126:127]
	v_fma_f64 v[4:5], v[102:103], v[128:129], -v[4:5]
	v_fmac_f64_e32 v[148:149], v[104:105], v[128:129]
	v_add_f64 v[2:3], v[2:3], v[4:5]
	s_waitcnt vmcnt(8) lgkmcnt(0)
	v_mul_f64 v[4:5], v[108:109], v[138:139]
	v_add_f64 v[146:147], v[146:147], v[148:149]
	v_mul_f64 v[148:149], v[106:107], v[138:139]
	s_waitcnt vmcnt(6)
	v_fma_f64 v[4:5], v[106:107], v[140:141], -v[4:5]
	v_fmac_f64_e32 v[148:149], v[108:109], v[140:141]
	v_add_f64 v[2:3], v[2:3], v[4:5]
	s_waitcnt vmcnt(5)
	v_mul_f64 v[4:5], v[112:113], v[134:135]
	v_add_f64 v[146:147], v[146:147], v[148:149]
	v_mul_f64 v[148:149], v[110:111], v[134:135]
	s_waitcnt vmcnt(4)
	v_fma_f64 v[4:5], v[110:111], v[136:137], -v[4:5]
	v_fmac_f64_e32 v[148:149], v[112:113], v[136:137]
	v_add_f64 v[2:3], v[2:3], v[4:5]
	v_add_f64 v[146:147], v[146:147], v[148:149]
	s_waitcnt vmcnt(2)
	v_add_f64 v[2:3], v[142:143], -v[2:3]
	s_waitcnt vmcnt(0)
	v_add_f64 v[4:5], v[144:145], -v[146:147]
	buffer_store_dword v3, off, s[0:3], 0 offset:292
	buffer_store_dword v2, off, s[0:3], 0 offset:288
	;; [unrolled: 1-line block ×4, first 2 shown]
	s_and_saveexec_b64 s[4:5], vcc
	s_cbranch_execz .LBB34_191
; %bb.190:
	v_accvgpr_read_b32 v5, a82
	buffer_load_dword v2, v5, s[0:3], 0 offen
	buffer_load_dword v3, v5, s[0:3], 0 offen offset:4
	buffer_load_dword v4, v5, s[0:3], 0 offen offset:8
	s_nop 0
	buffer_load_dword v5, v5, s[0:3], 0 offen offset:12
	s_nop 0
	buffer_store_dword v52, off, s[0:3], 0 offset:272
	buffer_store_dword v52, off, s[0:3], 0 offset:276
	;; [unrolled: 1-line block ×4, first 2 shown]
	s_waitcnt vmcnt(4)
	ds_write_b128 v1, v[2:5]
.LBB34_191:
	s_or_b64 exec, exec, s[4:5]
	s_waitcnt lgkmcnt(0)
	; wave barrier
	s_waitcnt lgkmcnt(0)
	buffer_load_dword v2, off, s[0:3], 0 offset:288
	buffer_load_dword v3, off, s[0:3], 0 offset:292
	;; [unrolled: 1-line block ×72, first 2 shown]
	ds_read_b128 v[54:57], v52 offset:832
	buffer_load_dword v150, off, s[0:3], 0 offset:272
	buffer_load_dword v151, off, s[0:3], 0 offset:276
	;; [unrolled: 1-line block ×4, first 2 shown]
	ds_read_b128 v[58:61], v52 offset:848
	ds_read_b128 v[62:65], v52 offset:864
	ds_read_b128 v[66:69], v52 offset:880
	v_cmp_lt_u32_e32 vcc, 15, v0
	ds_read_b128 v[124:127], v52 offset:1104
	s_waitcnt vmcnt(62) lgkmcnt(4)
	v_mul_f64 v[70:71], v[54:55], v[8:9]
	v_fmac_f64_e32 v[70:71], v[56:57], v[2:3]
	v_add_f64 v[70:71], v[70:71], 0
	v_mul_f64 v[8:9], v[56:57], v[8:9]
	s_waitcnt lgkmcnt(3)
	v_mul_f64 v[72:73], v[58:59], v[10:11]
	v_fmac_f64_e32 v[72:73], v[60:61], v[4:5]
	v_add_f64 v[70:71], v[70:71], v[72:73]
	v_fma_f64 v[2:3], v[54:55], v[2:3], -v[8:9]
	s_waitcnt lgkmcnt(2)
	v_mul_f64 v[72:73], v[62:63], v[12:13]
	v_fmac_f64_e32 v[72:73], v[64:65], v[6:7]
	v_add_f64 v[74:75], v[70:71], v[72:73]
	ds_read_b128 v[70:73], v52 offset:896
	s_waitcnt vmcnt(60) lgkmcnt(2)
	v_mul_f64 v[76:77], v[66:67], v[18:19]
	v_mul_f64 v[8:9], v[60:61], v[10:11]
	s_waitcnt vmcnt(58)
	v_fmac_f64_e32 v[76:77], v[68:69], v[20:21]
	v_add_f64 v[78:79], v[74:75], v[76:77]
	ds_read_b128 v[74:77], v52 offset:912
	s_waitcnt vmcnt(57) lgkmcnt(1)
	v_mul_f64 v[80:81], v[70:71], v[14:15]
	s_waitcnt vmcnt(56)
	v_fmac_f64_e32 v[80:81], v[72:73], v[16:17]
	v_add_f64 v[82:83], v[78:79], v[80:81]
	ds_read_b128 v[78:81], v52 offset:928
	s_waitcnt vmcnt(52) lgkmcnt(1)
	;; [unrolled: 6-line block ×4, first 2 shown]
	v_mul_f64 v[92:93], v[82:83], v[34:35]
	s_waitcnt vmcnt(42)
	v_fmac_f64_e32 v[92:93], v[84:85], v[36:37]
	v_add_f64 v[2:3], v[2:3], 0
	v_fma_f64 v[4:5], v[58:59], v[4:5], -v[8:9]
	v_add_f64 v[94:95], v[90:91], v[92:93]
	ds_read_b128 v[90:93], v52 offset:976
	s_waitcnt vmcnt(41) lgkmcnt(1)
	v_mul_f64 v[96:97], v[86:87], v[30:31]
	v_add_f64 v[2:3], v[2:3], v[4:5]
	v_mul_f64 v[4:5], v[64:65], v[12:13]
	s_waitcnt vmcnt(40)
	v_fmac_f64_e32 v[96:97], v[88:89], v[32:33]
	v_fma_f64 v[4:5], v[62:63], v[6:7], -v[4:5]
	v_add_f64 v[98:99], v[94:95], v[96:97]
	ds_read_b128 v[94:97], v52 offset:992
	v_add_f64 v[2:3], v[2:3], v[4:5]
	v_mul_f64 v[4:5], v[68:69], v[18:19]
	v_fma_f64 v[4:5], v[66:67], v[20:21], -v[4:5]
	v_add_f64 v[2:3], v[2:3], v[4:5]
	v_mul_f64 v[4:5], v[72:73], v[14:15]
	s_waitcnt vmcnt(36) lgkmcnt(1)
	v_mul_f64 v[100:101], v[90:91], v[42:43]
	v_fma_f64 v[4:5], v[70:71], v[16:17], -v[4:5]
	s_waitcnt vmcnt(34)
	v_fmac_f64_e32 v[100:101], v[92:93], v[44:45]
	v_add_f64 v[2:3], v[2:3], v[4:5]
	v_mul_f64 v[4:5], v[76:77], v[26:27]
	v_add_f64 v[102:103], v[98:99], v[100:101]
	ds_read_b128 v[98:101], v52 offset:1008
	s_waitcnt vmcnt(33) lgkmcnt(1)
	v_mul_f64 v[104:105], v[94:95], v[38:39]
	v_fma_f64 v[4:5], v[74:75], v[28:29], -v[4:5]
	s_waitcnt vmcnt(32)
	v_fmac_f64_e32 v[104:105], v[96:97], v[40:41]
	v_add_f64 v[2:3], v[2:3], v[4:5]
	v_mul_f64 v[4:5], v[80:81], v[22:23]
	v_add_f64 v[106:107], v[102:103], v[104:105]
	ds_read_b128 v[102:105], v52 offset:1024
	v_fma_f64 v[4:5], v[78:79], v[24:25], -v[4:5]
	v_add_f64 v[2:3], v[2:3], v[4:5]
	v_mul_f64 v[4:5], v[84:85], v[34:35]
	v_fma_f64 v[4:5], v[82:83], v[36:37], -v[4:5]
	s_waitcnt vmcnt(28) lgkmcnt(1)
	v_mul_f64 v[108:109], v[98:99], v[50:51]
	v_add_f64 v[2:3], v[2:3], v[4:5]
	v_mul_f64 v[4:5], v[88:89], v[30:31]
	s_waitcnt vmcnt(26)
	v_fmac_f64_e32 v[108:109], v[100:101], v[128:129]
	v_fma_f64 v[4:5], v[86:87], v[32:33], -v[4:5]
	v_add_f64 v[110:111], v[106:107], v[108:109]
	ds_read_b128 v[106:109], v52 offset:1040
	s_waitcnt vmcnt(25) lgkmcnt(1)
	v_mul_f64 v[112:113], v[102:103], v[46:47]
	v_add_f64 v[2:3], v[2:3], v[4:5]
	v_mul_f64 v[4:5], v[92:93], v[42:43]
	s_waitcnt vmcnt(24)
	v_fmac_f64_e32 v[112:113], v[104:105], v[48:49]
	v_fma_f64 v[4:5], v[90:91], v[44:45], -v[4:5]
	v_add_f64 v[114:115], v[110:111], v[112:113]
	ds_read_b128 v[110:113], v52 offset:1056
	v_add_f64 v[2:3], v[2:3], v[4:5]
	v_mul_f64 v[4:5], v[96:97], v[38:39]
	v_fma_f64 v[4:5], v[94:95], v[40:41], -v[4:5]
	v_add_f64 v[2:3], v[2:3], v[4:5]
	v_mul_f64 v[4:5], v[100:101], v[50:51]
	s_waitcnt vmcnt(20) lgkmcnt(1)
	v_mul_f64 v[116:117], v[106:107], v[134:135]
	v_fma_f64 v[4:5], v[98:99], v[128:129], -v[4:5]
	s_waitcnt vmcnt(18)
	v_fmac_f64_e32 v[116:117], v[108:109], v[136:137]
	v_add_f64 v[2:3], v[2:3], v[4:5]
	v_mul_f64 v[4:5], v[104:105], v[46:47]
	v_add_f64 v[120:121], v[114:115], v[116:117]
	ds_read_b128 v[114:117], v52 offset:1072
	s_waitcnt vmcnt(17) lgkmcnt(1)
	v_mul_f64 v[122:123], v[110:111], v[130:131]
	v_fma_f64 v[4:5], v[102:103], v[48:49], -v[4:5]
	s_waitcnt vmcnt(16)
	v_fmac_f64_e32 v[122:123], v[112:113], v[132:133]
	v_add_f64 v[2:3], v[2:3], v[4:5]
	v_mul_f64 v[4:5], v[108:109], v[134:135]
	v_add_f64 v[154:155], v[120:121], v[122:123]
	ds_read_b128 v[120:123], v52 offset:1088
	v_fma_f64 v[4:5], v[106:107], v[136:137], -v[4:5]
	v_add_f64 v[2:3], v[2:3], v[4:5]
	v_mul_f64 v[4:5], v[112:113], v[130:131]
	v_fma_f64 v[4:5], v[110:111], v[132:133], -v[4:5]
	v_add_f64 v[2:3], v[2:3], v[4:5]
	s_waitcnt vmcnt(12) lgkmcnt(1)
	v_mul_f64 v[4:5], v[116:117], v[142:143]
	v_mul_f64 v[156:157], v[114:115], v[142:143]
	s_waitcnt vmcnt(10)
	v_fma_f64 v[4:5], v[114:115], v[144:145], -v[4:5]
	v_fmac_f64_e32 v[156:157], v[116:117], v[144:145]
	v_add_f64 v[2:3], v[2:3], v[4:5]
	s_waitcnt vmcnt(9) lgkmcnt(0)
	v_mul_f64 v[4:5], v[122:123], v[138:139]
	v_add_f64 v[52:53], v[154:155], v[156:157]
	v_mul_f64 v[154:155], v[120:121], v[138:139]
	s_waitcnt vmcnt(8)
	v_fma_f64 v[4:5], v[120:121], v[140:141], -v[4:5]
	v_fmac_f64_e32 v[154:155], v[122:123], v[140:141]
	v_add_f64 v[2:3], v[2:3], v[4:5]
	s_waitcnt vmcnt(6)
	v_mul_f64 v[4:5], v[126:127], v[146:147]
	v_add_f64 v[52:53], v[52:53], v[154:155]
	v_mul_f64 v[154:155], v[124:125], v[146:147]
	s_waitcnt vmcnt(4)
	v_fma_f64 v[4:5], v[124:125], v[148:149], -v[4:5]
	v_fmac_f64_e32 v[154:155], v[126:127], v[148:149]
	v_add_f64 v[2:3], v[2:3], v[4:5]
	v_add_f64 v[52:53], v[52:53], v[154:155]
	s_waitcnt vmcnt(2)
	v_add_f64 v[2:3], v[150:151], -v[2:3]
	s_waitcnt vmcnt(0)
	v_add_f64 v[4:5], v[152:153], -v[52:53]
	buffer_store_dword v3, off, s[0:3], 0 offset:276
	buffer_store_dword v2, off, s[0:3], 0 offset:272
	buffer_store_dword v5, off, s[0:3], 0 offset:284
	buffer_store_dword v4, off, s[0:3], 0 offset:280
	s_and_saveexec_b64 s[4:5], vcc
	s_cbranch_execz .LBB34_193
; %bb.192:
	v_accvgpr_read_b32 v5, a83
	buffer_load_dword v2, v5, s[0:3], 0 offen
	buffer_load_dword v3, v5, s[0:3], 0 offen offset:4
	buffer_load_dword v4, v5, s[0:3], 0 offen offset:8
	s_nop 0
	buffer_load_dword v5, v5, s[0:3], 0 offen offset:12
	v_mov_b32_e32 v6, 0
	buffer_store_dword v6, off, s[0:3], 0 offset:256
	buffer_store_dword v6, off, s[0:3], 0 offset:260
	;; [unrolled: 1-line block ×4, first 2 shown]
	s_waitcnt vmcnt(4)
	ds_write_b128 v1, v[2:5]
.LBB34_193:
	s_or_b64 exec, exec, s[4:5]
	s_waitcnt lgkmcnt(0)
	; wave barrier
	s_waitcnt lgkmcnt(0)
	buffer_load_dword v2, off, s[0:3], 0 offset:272
	buffer_load_dword v3, off, s[0:3], 0 offset:276
	;; [unrolled: 1-line block ×76, first 2 shown]
	v_mov_b32_e32 v54, 0
	ds_read_b128 v[56:59], v54 offset:816
	buffer_load_dword v158, off, s[0:3], 0 offset:256
	buffer_load_dword v159, off, s[0:3], 0 offset:260
	;; [unrolled: 1-line block ×4, first 2 shown]
	ds_read_b128 v[60:63], v54 offset:832
	ds_read_b128 v[64:67], v54 offset:848
	;; [unrolled: 1-line block ×4, first 2 shown]
	v_cmp_lt_u32_e32 vcc, 14, v0
	s_waitcnt vmcnt(62) lgkmcnt(4)
	v_mul_f64 v[72:73], v[56:57], v[8:9]
	v_fmac_f64_e32 v[72:73], v[58:59], v[2:3]
	v_add_f64 v[72:73], v[72:73], 0
	v_mul_f64 v[8:9], v[58:59], v[8:9]
	s_waitcnt lgkmcnt(3)
	v_mul_f64 v[74:75], v[60:61], v[10:11]
	v_fmac_f64_e32 v[74:75], v[62:63], v[4:5]
	v_add_f64 v[72:73], v[72:73], v[74:75]
	v_fma_f64 v[2:3], v[56:57], v[2:3], -v[8:9]
	s_waitcnt lgkmcnt(2)
	v_mul_f64 v[74:75], v[64:65], v[12:13]
	v_fmac_f64_e32 v[74:75], v[66:67], v[6:7]
	v_add_f64 v[76:77], v[72:73], v[74:75]
	ds_read_b128 v[72:75], v54 offset:880
	s_waitcnt lgkmcnt(2)
	v_mul_f64 v[78:79], v[68:69], v[18:19]
	v_mul_f64 v[8:9], v[62:63], v[10:11]
	v_fmac_f64_e32 v[78:79], v[70:71], v[20:21]
	v_add_f64 v[80:81], v[76:77], v[78:79]
	ds_read_b128 v[76:79], v54 offset:896
	s_waitcnt vmcnt(61) lgkmcnt(1)
	v_mul_f64 v[82:83], v[72:73], v[14:15]
	s_waitcnt vmcnt(60)
	v_fmac_f64_e32 v[82:83], v[74:75], v[16:17]
	v_add_f64 v[84:85], v[80:81], v[82:83]
	ds_read_b128 v[80:83], v54 offset:912
	s_waitcnt vmcnt(56) lgkmcnt(1)
	v_mul_f64 v[86:87], v[76:77], v[26:27]
	s_waitcnt vmcnt(54)
	;; [unrolled: 6-line block ×4, first 2 shown]
	v_fmac_f64_e32 v[94:95], v[86:87], v[36:37]
	v_add_f64 v[96:97], v[92:93], v[94:95]
	ds_read_b128 v[92:95], v54 offset:960
	v_add_f64 v[2:3], v[2:3], 0
	v_fma_f64 v[4:5], v[60:61], v[4:5], -v[8:9]
	s_waitcnt vmcnt(45) lgkmcnt(1)
	v_mul_f64 v[98:99], v[88:89], v[30:31]
	v_add_f64 v[2:3], v[2:3], v[4:5]
	v_mul_f64 v[4:5], v[66:67], v[12:13]
	s_waitcnt vmcnt(44)
	v_fmac_f64_e32 v[98:99], v[90:91], v[32:33]
	v_fma_f64 v[4:5], v[64:65], v[6:7], -v[4:5]
	v_add_f64 v[100:101], v[96:97], v[98:99]
	ds_read_b128 v[96:99], v54 offset:976
	s_waitcnt vmcnt(40) lgkmcnt(1)
	v_mul_f64 v[102:103], v[92:93], v[42:43]
	v_add_f64 v[2:3], v[2:3], v[4:5]
	v_mul_f64 v[4:5], v[70:71], v[18:19]
	s_waitcnt vmcnt(38)
	v_fmac_f64_e32 v[102:103], v[94:95], v[44:45]
	v_fma_f64 v[4:5], v[68:69], v[20:21], -v[4:5]
	v_add_f64 v[104:105], v[100:101], v[102:103]
	ds_read_b128 v[100:103], v54 offset:992
	v_add_f64 v[2:3], v[2:3], v[4:5]
	v_mul_f64 v[4:5], v[74:75], v[14:15]
	v_fma_f64 v[4:5], v[72:73], v[16:17], -v[4:5]
	v_add_f64 v[2:3], v[2:3], v[4:5]
	v_mul_f64 v[4:5], v[78:79], v[26:27]
	s_waitcnt vmcnt(37) lgkmcnt(1)
	v_mul_f64 v[106:107], v[96:97], v[38:39]
	v_fma_f64 v[4:5], v[76:77], v[28:29], -v[4:5]
	s_waitcnt vmcnt(36)
	v_fmac_f64_e32 v[106:107], v[98:99], v[40:41]
	v_add_f64 v[2:3], v[2:3], v[4:5]
	v_mul_f64 v[4:5], v[82:83], v[22:23]
	v_add_f64 v[108:109], v[104:105], v[106:107]
	ds_read_b128 v[104:107], v54 offset:1008
	s_waitcnt vmcnt(32) lgkmcnt(1)
	v_mul_f64 v[110:111], v[100:101], v[50:51]
	v_fma_f64 v[4:5], v[80:81], v[24:25], -v[4:5]
	s_waitcnt vmcnt(30)
	v_fmac_f64_e32 v[110:111], v[102:103], v[52:53]
	v_add_f64 v[2:3], v[2:3], v[4:5]
	v_mul_f64 v[4:5], v[86:87], v[34:35]
	v_add_f64 v[112:113], v[108:109], v[110:111]
	ds_read_b128 v[108:111], v54 offset:1024
	v_fma_f64 v[4:5], v[84:85], v[36:37], -v[4:5]
	v_add_f64 v[2:3], v[2:3], v[4:5]
	v_mul_f64 v[4:5], v[90:91], v[30:31]
	v_fma_f64 v[4:5], v[88:89], v[32:33], -v[4:5]
	s_waitcnt vmcnt(29) lgkmcnt(1)
	v_mul_f64 v[114:115], v[104:105], v[46:47]
	v_add_f64 v[2:3], v[2:3], v[4:5]
	v_mul_f64 v[4:5], v[94:95], v[42:43]
	s_waitcnt vmcnt(28)
	v_fmac_f64_e32 v[114:115], v[106:107], v[48:49]
	v_fma_f64 v[4:5], v[92:93], v[44:45], -v[4:5]
	v_add_f64 v[120:121], v[112:113], v[114:115]
	ds_read_b128 v[112:115], v54 offset:1040
	s_waitcnt vmcnt(24) lgkmcnt(1)
	v_mul_f64 v[122:123], v[108:109], v[138:139]
	v_add_f64 v[2:3], v[2:3], v[4:5]
	v_mul_f64 v[4:5], v[98:99], v[38:39]
	s_waitcnt vmcnt(22)
	v_fmac_f64_e32 v[122:123], v[110:111], v[140:141]
	v_fma_f64 v[4:5], v[96:97], v[40:41], -v[4:5]
	v_add_f64 v[124:125], v[120:121], v[122:123]
	ds_read_b128 v[120:123], v54 offset:1056
	v_add_f64 v[2:3], v[2:3], v[4:5]
	v_mul_f64 v[4:5], v[102:103], v[50:51]
	v_fma_f64 v[4:5], v[100:101], v[52:53], -v[4:5]
	v_add_f64 v[2:3], v[2:3], v[4:5]
	v_mul_f64 v[4:5], v[106:107], v[46:47]
	s_waitcnt vmcnt(21) lgkmcnt(1)
	v_mul_f64 v[126:127], v[112:113], v[116:117]
	v_fma_f64 v[4:5], v[104:105], v[48:49], -v[4:5]
	s_waitcnt vmcnt(20)
	v_fmac_f64_e32 v[126:127], v[114:115], v[136:137]
	v_add_f64 v[2:3], v[2:3], v[4:5]
	v_mul_f64 v[4:5], v[110:111], v[138:139]
	v_add_f64 v[128:129], v[124:125], v[126:127]
	ds_read_b128 v[124:127], v54 offset:1072
	s_waitcnt vmcnt(16) lgkmcnt(1)
	v_mul_f64 v[130:131], v[120:121], v[146:147]
	v_fma_f64 v[4:5], v[108:109], v[140:141], -v[4:5]
	s_waitcnt vmcnt(14)
	v_fmac_f64_e32 v[130:131], v[122:123], v[148:149]
	v_add_f64 v[2:3], v[2:3], v[4:5]
	v_mul_f64 v[4:5], v[114:115], v[116:117]
	v_add_f64 v[162:163], v[128:129], v[130:131]
	ds_read_b128 v[128:131], v54 offset:1088
	v_fma_f64 v[4:5], v[112:113], v[136:137], -v[4:5]
	v_add_f64 v[2:3], v[2:3], v[4:5]
	v_mul_f64 v[4:5], v[122:123], v[146:147]
	v_fma_f64 v[4:5], v[120:121], v[148:149], -v[4:5]
	v_add_f64 v[2:3], v[2:3], v[4:5]
	s_waitcnt vmcnt(13) lgkmcnt(1)
	v_mul_f64 v[4:5], v[126:127], v[142:143]
	v_mul_f64 v[164:165], v[124:125], v[142:143]
	s_waitcnt vmcnt(12)
	v_fma_f64 v[4:5], v[124:125], v[144:145], -v[4:5]
	v_fmac_f64_e32 v[164:165], v[126:127], v[144:145]
	v_add_f64 v[2:3], v[2:3], v[4:5]
	s_waitcnt vmcnt(8) lgkmcnt(0)
	v_mul_f64 v[4:5], v[130:131], v[154:155]
	v_add_f64 v[162:163], v[162:163], v[164:165]
	v_mul_f64 v[164:165], v[128:129], v[154:155]
	s_waitcnt vmcnt(6)
	v_fma_f64 v[4:5], v[128:129], v[156:157], -v[4:5]
	v_fmac_f64_e32 v[164:165], v[130:131], v[156:157]
	v_add_f64 v[2:3], v[2:3], v[4:5]
	s_waitcnt vmcnt(5)
	v_mul_f64 v[4:5], v[134:135], v[150:151]
	v_add_f64 v[162:163], v[162:163], v[164:165]
	v_mul_f64 v[164:165], v[132:133], v[150:151]
	s_waitcnt vmcnt(4)
	v_fma_f64 v[4:5], v[132:133], v[152:153], -v[4:5]
	v_fmac_f64_e32 v[164:165], v[134:135], v[152:153]
	v_add_f64 v[2:3], v[2:3], v[4:5]
	v_add_f64 v[162:163], v[162:163], v[164:165]
	s_waitcnt vmcnt(2)
	v_add_f64 v[2:3], v[158:159], -v[2:3]
	s_waitcnt vmcnt(0)
	v_add_f64 v[4:5], v[160:161], -v[162:163]
	buffer_store_dword v3, off, s[0:3], 0 offset:260
	buffer_store_dword v2, off, s[0:3], 0 offset:256
	;; [unrolled: 1-line block ×4, first 2 shown]
	s_and_saveexec_b64 s[4:5], vcc
	s_cbranch_execz .LBB34_195
; %bb.194:
	v_accvgpr_read_b32 v5, a84
	buffer_load_dword v2, v5, s[0:3], 0 offen
	buffer_load_dword v3, v5, s[0:3], 0 offen offset:4
	buffer_load_dword v4, v5, s[0:3], 0 offen offset:8
	s_nop 0
	buffer_load_dword v5, v5, s[0:3], 0 offen offset:12
	s_nop 0
	buffer_store_dword v54, off, s[0:3], 0 offset:240
	buffer_store_dword v54, off, s[0:3], 0 offset:244
	;; [unrolled: 1-line block ×4, first 2 shown]
	s_waitcnt vmcnt(4)
	ds_write_b128 v1, v[2:5]
.LBB34_195:
	s_or_b64 exec, exec, s[4:5]
	s_waitcnt lgkmcnt(0)
	; wave barrier
	s_waitcnt lgkmcnt(0)
	buffer_load_dword v2, off, s[0:3], 0 offset:256
	buffer_load_dword v3, off, s[0:3], 0 offset:260
	;; [unrolled: 1-line block ×76, first 2 shown]
	ds_read_b128 v[56:59], v54 offset:800
	buffer_load_dword v163, off, s[0:3], 0 offset:572
	buffer_load_dword v162, off, s[0:3], 0 offset:568
	;; [unrolled: 1-line block ×8, first 2 shown]
	ds_read_b128 v[60:63], v54 offset:816
	ds_read_b128 v[64:67], v54 offset:832
	;; [unrolled: 1-line block ×3, first 2 shown]
	v_cmp_lt_u32_e32 vcc, 13, v0
	ds_read_b128 v[136:139], v54 offset:1104
	s_waitcnt vmcnt(62) lgkmcnt(4)
	v_mul_f64 v[72:73], v[56:57], v[8:9]
	v_fmac_f64_e32 v[72:73], v[58:59], v[2:3]
	v_add_f64 v[72:73], v[72:73], 0
	v_mul_f64 v[8:9], v[58:59], v[8:9]
	s_waitcnt lgkmcnt(3)
	v_mul_f64 v[74:75], v[60:61], v[10:11]
	v_fmac_f64_e32 v[74:75], v[62:63], v[4:5]
	v_add_f64 v[72:73], v[72:73], v[74:75]
	v_fma_f64 v[2:3], v[56:57], v[2:3], -v[8:9]
	s_waitcnt lgkmcnt(2)
	v_mul_f64 v[74:75], v[64:65], v[12:13]
	v_fmac_f64_e32 v[74:75], v[66:67], v[6:7]
	v_add_f64 v[76:77], v[72:73], v[74:75]
	ds_read_b128 v[72:75], v54 offset:864
	v_mul_f64 v[8:9], v[62:63], v[10:11]
	v_add_f64 v[2:3], v[2:3], 0
	s_waitcnt lgkmcnt(2)
	v_mul_f64 v[78:79], v[68:69], v[18:19]
	v_fma_f64 v[4:5], v[60:61], v[4:5], -v[8:9]
	v_fmac_f64_e32 v[78:79], v[70:71], v[20:21]
	v_add_f64 v[80:81], v[76:77], v[78:79]
	ds_read_b128 v[76:79], v54 offset:880
	s_waitcnt lgkmcnt(1)
	v_mul_f64 v[82:83], v[72:73], v[14:15]
	v_fmac_f64_e32 v[82:83], v[74:75], v[16:17]
	v_add_f64 v[84:85], v[80:81], v[82:83]
	ds_read_b128 v[80:83], v54 offset:896
	s_waitcnt vmcnt(58) lgkmcnt(1)
	v_mul_f64 v[86:87], v[76:77], v[26:27]
	s_waitcnt vmcnt(56)
	v_fmac_f64_e32 v[86:87], v[78:79], v[28:29]
	v_add_f64 v[88:89], v[84:85], v[86:87]
	ds_read_b128 v[84:87], v54 offset:912
	s_waitcnt lgkmcnt(1)
	v_mul_f64 v[90:91], v[80:81], v[22:23]
	v_fmac_f64_e32 v[90:91], v[82:83], v[24:25]
	v_add_f64 v[92:93], v[88:89], v[90:91]
	ds_read_b128 v[88:91], v54 offset:928
	s_waitcnt vmcnt(50) lgkmcnt(1)
	v_mul_f64 v[94:95], v[84:85], v[34:35]
	s_waitcnt vmcnt(48)
	v_fmac_f64_e32 v[94:95], v[86:87], v[36:37]
	v_add_f64 v[96:97], v[92:93], v[94:95]
	ds_read_b128 v[92:95], v54 offset:944
	s_waitcnt lgkmcnt(1)
	v_mul_f64 v[98:99], v[88:89], v[30:31]
	v_fmac_f64_e32 v[98:99], v[90:91], v[32:33]
	v_add_f64 v[100:101], v[96:97], v[98:99]
	ds_read_b128 v[96:99], v54 offset:960
	v_add_f64 v[2:3], v[2:3], v[4:5]
	v_mul_f64 v[4:5], v[66:67], v[12:13]
	v_fma_f64 v[4:5], v[64:65], v[6:7], -v[4:5]
	s_waitcnt vmcnt(42) lgkmcnt(1)
	v_mul_f64 v[102:103], v[92:93], v[42:43]
	v_add_f64 v[2:3], v[2:3], v[4:5]
	v_mul_f64 v[4:5], v[70:71], v[18:19]
	s_waitcnt vmcnt(40)
	v_fmac_f64_e32 v[102:103], v[94:95], v[44:45]
	v_fma_f64 v[4:5], v[68:69], v[20:21], -v[4:5]
	v_add_f64 v[104:105], v[100:101], v[102:103]
	ds_read_b128 v[100:103], v54 offset:976
	s_waitcnt lgkmcnt(1)
	v_mul_f64 v[106:107], v[96:97], v[38:39]
	v_add_f64 v[2:3], v[2:3], v[4:5]
	v_mul_f64 v[4:5], v[74:75], v[14:15]
	v_fmac_f64_e32 v[106:107], v[98:99], v[40:41]
	v_fma_f64 v[4:5], v[72:73], v[16:17], -v[4:5]
	v_add_f64 v[108:109], v[104:105], v[106:107]
	ds_read_b128 v[104:107], v54 offset:992
	v_add_f64 v[2:3], v[2:3], v[4:5]
	v_mul_f64 v[4:5], v[78:79], v[26:27]
	v_fma_f64 v[4:5], v[76:77], v[28:29], -v[4:5]
	v_add_f64 v[2:3], v[2:3], v[4:5]
	v_mul_f64 v[4:5], v[82:83], v[22:23]
	s_waitcnt vmcnt(34) lgkmcnt(1)
	v_mul_f64 v[110:111], v[100:101], v[50:51]
	v_fma_f64 v[4:5], v[80:81], v[24:25], -v[4:5]
	s_waitcnt vmcnt(32)
	v_fmac_f64_e32 v[110:111], v[102:103], v[52:53]
	v_add_f64 v[2:3], v[2:3], v[4:5]
	v_mul_f64 v[4:5], v[86:87], v[34:35]
	v_add_f64 v[112:113], v[108:109], v[110:111]
	ds_read_b128 v[108:111], v54 offset:1008
	s_waitcnt lgkmcnt(1)
	v_mul_f64 v[114:115], v[104:105], v[46:47]
	v_fma_f64 v[4:5], v[84:85], v[36:37], -v[4:5]
	v_fmac_f64_e32 v[114:115], v[106:107], v[48:49]
	v_add_f64 v[2:3], v[2:3], v[4:5]
	v_mul_f64 v[4:5], v[90:91], v[30:31]
	v_add_f64 v[120:121], v[112:113], v[114:115]
	ds_read_b128 v[112:115], v54 offset:1024
	v_fma_f64 v[4:5], v[88:89], v[32:33], -v[4:5]
	v_add_f64 v[2:3], v[2:3], v[4:5]
	v_mul_f64 v[4:5], v[94:95], v[42:43]
	v_fma_f64 v[4:5], v[92:93], v[44:45], -v[4:5]
	s_waitcnt vmcnt(26) lgkmcnt(1)
	v_mul_f64 v[122:123], v[108:109], v[142:143]
	v_add_f64 v[2:3], v[2:3], v[4:5]
	v_mul_f64 v[4:5], v[98:99], v[38:39]
	s_waitcnt vmcnt(24)
	v_fmac_f64_e32 v[122:123], v[110:111], v[144:145]
	v_fma_f64 v[4:5], v[96:97], v[40:41], -v[4:5]
	v_add_f64 v[124:125], v[120:121], v[122:123]
	ds_read_b128 v[120:123], v54 offset:1040
	s_waitcnt lgkmcnt(1)
	v_mul_f64 v[126:127], v[112:113], v[116:117]
	v_add_f64 v[2:3], v[2:3], v[4:5]
	v_mul_f64 v[4:5], v[102:103], v[50:51]
	v_fmac_f64_e32 v[126:127], v[114:115], v[140:141]
	v_fma_f64 v[4:5], v[100:101], v[52:53], -v[4:5]
	v_add_f64 v[128:129], v[124:125], v[126:127]
	ds_read_b128 v[124:127], v54 offset:1056
	v_add_f64 v[2:3], v[2:3], v[4:5]
	v_mul_f64 v[4:5], v[106:107], v[46:47]
	v_fma_f64 v[4:5], v[104:105], v[48:49], -v[4:5]
	v_add_f64 v[2:3], v[2:3], v[4:5]
	v_mul_f64 v[4:5], v[110:111], v[142:143]
	s_waitcnt vmcnt(18) lgkmcnt(1)
	v_mul_f64 v[130:131], v[120:121], v[150:151]
	v_fma_f64 v[4:5], v[108:109], v[144:145], -v[4:5]
	s_waitcnt vmcnt(16)
	v_fmac_f64_e32 v[130:131], v[122:123], v[152:153]
	v_add_f64 v[2:3], v[2:3], v[4:5]
	v_mul_f64 v[4:5], v[114:115], v[116:117]
	v_add_f64 v[132:133], v[128:129], v[130:131]
	ds_read_b128 v[128:131], v54 offset:1072
	s_waitcnt lgkmcnt(1)
	v_mul_f64 v[134:135], v[124:125], v[146:147]
	v_fma_f64 v[4:5], v[112:113], v[140:141], -v[4:5]
	v_fmac_f64_e32 v[134:135], v[126:127], v[148:149]
	v_add_f64 v[2:3], v[2:3], v[4:5]
	v_mul_f64 v[4:5], v[122:123], v[150:151]
	v_add_f64 v[170:171], v[132:133], v[134:135]
	ds_read_b128 v[132:135], v54 offset:1088
	v_fma_f64 v[4:5], v[120:121], v[152:153], -v[4:5]
	v_add_f64 v[2:3], v[2:3], v[4:5]
	v_mul_f64 v[4:5], v[126:127], v[146:147]
	v_fma_f64 v[4:5], v[124:125], v[148:149], -v[4:5]
	v_add_f64 v[2:3], v[2:3], v[4:5]
	s_waitcnt vmcnt(10) lgkmcnt(1)
	v_mul_f64 v[4:5], v[130:131], v[158:159]
	v_mul_f64 v[172:173], v[128:129], v[158:159]
	s_waitcnt vmcnt(8)
	v_fma_f64 v[4:5], v[128:129], v[160:161], -v[4:5]
	v_fmac_f64_e32 v[172:173], v[130:131], v[160:161]
	v_add_f64 v[2:3], v[2:3], v[4:5]
	s_waitcnt lgkmcnt(0)
	v_mul_f64 v[4:5], v[134:135], v[154:155]
	v_add_f64 v[54:55], v[170:171], v[172:173]
	v_mul_f64 v[170:171], v[132:133], v[154:155]
	v_fma_f64 v[4:5], v[132:133], v[156:157], -v[4:5]
	v_fmac_f64_e32 v[170:171], v[134:135], v[156:157]
	v_add_f64 v[2:3], v[2:3], v[4:5]
	s_waitcnt vmcnt(6)
	v_mul_f64 v[4:5], v[138:139], v[162:163]
	v_add_f64 v[54:55], v[54:55], v[170:171]
	v_mul_f64 v[170:171], v[136:137], v[162:163]
	s_waitcnt vmcnt(4)
	v_fma_f64 v[4:5], v[136:137], v[164:165], -v[4:5]
	v_fmac_f64_e32 v[170:171], v[138:139], v[164:165]
	v_add_f64 v[2:3], v[2:3], v[4:5]
	v_add_f64 v[54:55], v[54:55], v[170:171]
	s_waitcnt vmcnt(2)
	v_add_f64 v[2:3], v[166:167], -v[2:3]
	s_waitcnt vmcnt(0)
	v_add_f64 v[4:5], v[168:169], -v[54:55]
	buffer_store_dword v3, off, s[0:3], 0 offset:244
	buffer_store_dword v2, off, s[0:3], 0 offset:240
	;; [unrolled: 1-line block ×4, first 2 shown]
	s_and_saveexec_b64 s[4:5], vcc
	s_cbranch_execz .LBB34_197
; %bb.196:
	v_accvgpr_read_b32 v5, a85
	buffer_load_dword v2, v5, s[0:3], 0 offen
	buffer_load_dword v3, v5, s[0:3], 0 offen offset:4
	buffer_load_dword v4, v5, s[0:3], 0 offen offset:8
	s_nop 0
	buffer_load_dword v5, v5, s[0:3], 0 offen offset:12
	v_mov_b32_e32 v6, 0
	buffer_store_dword v6, off, s[0:3], 0 offset:224
	buffer_store_dword v6, off, s[0:3], 0 offset:228
	;; [unrolled: 1-line block ×4, first 2 shown]
	s_waitcnt vmcnt(4)
	ds_write_b128 v1, v[2:5]
.LBB34_197:
	s_or_b64 exec, exec, s[4:5]
	s_waitcnt lgkmcnt(0)
	; wave barrier
	s_waitcnt lgkmcnt(0)
	buffer_load_dword v4, off, s[0:3], 0 offset:224
	buffer_load_dword v5, off, s[0:3], 0 offset:228
	;; [unrolled: 1-line block ×84, first 2 shown]
	v_mov_b32_e32 v86, 0
	ds_read_b128 v[66:69], v86 offset:784
	buffer_load_dword v175, off, s[0:3], 0 offset:572
	buffer_load_dword v174, off, s[0:3], 0 offset:568
	;; [unrolled: 1-line block ×4, first 2 shown]
	ds_read_b128 v[70:73], v86 offset:800
	ds_read_b128 v[74:77], v86 offset:816
	;; [unrolled: 1-line block ×4, first 2 shown]
	v_cmp_lt_u32_e32 vcc, 12, v0
	s_waitcnt vmcnt(62) lgkmcnt(4)
	v_mul_f64 v[82:83], v[66:67], v[12:13]
	v_fmac_f64_e32 v[82:83], v[68:69], v[6:7]
	s_waitcnt lgkmcnt(3)
	v_mul_f64 v[84:85], v[70:71], v[14:15]
	v_add_f64 v[82:83], v[82:83], 0
	v_fmac_f64_e32 v[84:85], v[72:73], v[8:9]
	v_add_f64 v[82:83], v[82:83], v[84:85]
	s_waitcnt lgkmcnt(2)
	v_mul_f64 v[84:85], v[74:75], v[16:17]
	v_fmac_f64_e32 v[84:85], v[76:77], v[10:11]
	v_add_f64 v[88:89], v[82:83], v[84:85]
	ds_read_b128 v[82:85], v86 offset:848
	v_mul_f64 v[12:13], v[68:69], v[12:13]
	s_waitcnt lgkmcnt(2)
	v_mul_f64 v[90:91], v[78:79], v[22:23]
	v_fma_f64 v[6:7], v[66:67], v[6:7], -v[12:13]
	v_fmac_f64_e32 v[90:91], v[80:81], v[24:25]
	v_add_f64 v[92:93], v[88:89], v[90:91]
	ds_read_b128 v[88:91], v86 offset:864
	s_waitcnt lgkmcnt(1)
	v_mul_f64 v[94:95], v[82:83], v[18:19]
	v_fmac_f64_e32 v[94:95], v[84:85], v[20:21]
	v_add_f64 v[96:97], v[92:93], v[94:95]
	ds_read_b128 v[92:95], v86 offset:880
	s_waitcnt vmcnt(58) lgkmcnt(1)
	v_mul_f64 v[98:99], v[88:89], v[30:31]
	s_waitcnt vmcnt(56)
	v_fmac_f64_e32 v[98:99], v[90:91], v[32:33]
	v_add_f64 v[100:101], v[96:97], v[98:99]
	ds_read_b128 v[96:99], v86 offset:896
	s_waitcnt lgkmcnt(1)
	v_mul_f64 v[102:103], v[92:93], v[26:27]
	v_fmac_f64_e32 v[102:103], v[94:95], v[28:29]
	v_add_f64 v[104:105], v[100:101], v[102:103]
	ds_read_b128 v[100:103], v86 offset:912
	s_waitcnt vmcnt(50) lgkmcnt(1)
	v_mul_f64 v[106:107], v[96:97], v[38:39]
	s_waitcnt vmcnt(48)
	v_fmac_f64_e32 v[106:107], v[98:99], v[40:41]
	v_add_f64 v[108:109], v[104:105], v[106:107]
	ds_read_b128 v[104:107], v86 offset:928
	s_waitcnt lgkmcnt(1)
	v_mul_f64 v[110:111], v[100:101], v[34:35]
	v_fmac_f64_e32 v[110:111], v[102:103], v[36:37]
	v_mul_f64 v[12:13], v[72:73], v[14:15]
	v_add_f64 v[112:113], v[108:109], v[110:111]
	ds_read_b128 v[108:111], v86 offset:944
	s_waitcnt vmcnt(42) lgkmcnt(1)
	v_mul_f64 v[114:115], v[104:105], v[46:47]
	v_add_f64 v[6:7], v[6:7], 0
	v_fma_f64 v[8:9], v[70:71], v[8:9], -v[12:13]
	s_waitcnt vmcnt(40)
	v_fmac_f64_e32 v[114:115], v[106:107], v[48:49]
	v_add_f64 v[6:7], v[6:7], v[8:9]
	v_mul_f64 v[8:9], v[76:77], v[16:17]
	v_add_f64 v[120:121], v[112:113], v[114:115]
	ds_read_b128 v[112:115], v86 offset:960
	v_fma_f64 v[8:9], v[74:75], v[10:11], -v[8:9]
	v_add_f64 v[6:7], v[6:7], v[8:9]
	v_mul_f64 v[8:9], v[80:81], v[22:23]
	v_fma_f64 v[8:9], v[78:79], v[24:25], -v[8:9]
	s_waitcnt lgkmcnt(1)
	v_mul_f64 v[122:123], v[108:109], v[42:43]
	v_add_f64 v[6:7], v[6:7], v[8:9]
	v_mul_f64 v[8:9], v[84:85], v[18:19]
	v_fmac_f64_e32 v[122:123], v[110:111], v[44:45]
	v_fma_f64 v[8:9], v[82:83], v[20:21], -v[8:9]
	v_add_f64 v[124:125], v[120:121], v[122:123]
	ds_read_b128 v[120:123], v86 offset:976
	s_waitcnt vmcnt(34) lgkmcnt(1)
	v_mul_f64 v[126:127], v[112:113], v[54:55]
	v_add_f64 v[6:7], v[6:7], v[8:9]
	v_mul_f64 v[8:9], v[90:91], v[30:31]
	s_waitcnt vmcnt(32)
	v_fmac_f64_e32 v[126:127], v[114:115], v[56:57]
	v_fma_f64 v[8:9], v[88:89], v[32:33], -v[8:9]
	v_add_f64 v[128:129], v[124:125], v[126:127]
	ds_read_b128 v[124:127], v86 offset:992
	v_add_f64 v[6:7], v[6:7], v[8:9]
	v_mul_f64 v[8:9], v[94:95], v[26:27]
	v_fma_f64 v[8:9], v[92:93], v[28:29], -v[8:9]
	v_add_f64 v[6:7], v[6:7], v[8:9]
	v_mul_f64 v[8:9], v[98:99], v[38:39]
	s_waitcnt lgkmcnt(1)
	v_mul_f64 v[130:131], v[120:121], v[50:51]
	v_fma_f64 v[8:9], v[96:97], v[40:41], -v[8:9]
	v_fmac_f64_e32 v[130:131], v[122:123], v[52:53]
	v_add_f64 v[6:7], v[6:7], v[8:9]
	v_mul_f64 v[8:9], v[102:103], v[34:35]
	v_add_f64 v[132:133], v[128:129], v[130:131]
	ds_read_b128 v[128:131], v86 offset:1008
	s_waitcnt vmcnt(26) lgkmcnt(1)
	v_mul_f64 v[134:135], v[124:125], v[62:63]
	v_fma_f64 v[8:9], v[100:101], v[36:37], -v[8:9]
	s_waitcnt vmcnt(24)
	v_fmac_f64_e32 v[134:135], v[126:127], v[64:65]
	v_add_f64 v[6:7], v[6:7], v[8:9]
	v_mul_f64 v[8:9], v[106:107], v[46:47]
	v_add_f64 v[136:137], v[132:133], v[134:135]
	ds_read_b128 v[132:135], v86 offset:1024
	v_fma_f64 v[8:9], v[104:105], v[48:49], -v[8:9]
	v_add_f64 v[6:7], v[6:7], v[8:9]
	v_mul_f64 v[8:9], v[110:111], v[42:43]
	v_fma_f64 v[8:9], v[108:109], v[44:45], -v[8:9]
	s_waitcnt lgkmcnt(1)
	v_mul_f64 v[138:139], v[128:129], v[58:59]
	v_add_f64 v[6:7], v[6:7], v[8:9]
	v_mul_f64 v[8:9], v[114:115], v[54:55]
	v_fmac_f64_e32 v[138:139], v[130:131], v[60:61]
	v_fma_f64 v[8:9], v[112:113], v[56:57], -v[8:9]
	v_add_f64 v[140:141], v[136:137], v[138:139]
	ds_read_b128 v[136:139], v86 offset:1040
	s_waitcnt vmcnt(18) lgkmcnt(1)
	v_mul_f64 v[142:143], v[132:133], v[158:159]
	v_add_f64 v[6:7], v[6:7], v[8:9]
	v_mul_f64 v[8:9], v[122:123], v[50:51]
	s_waitcnt vmcnt(16)
	v_fmac_f64_e32 v[142:143], v[134:135], v[160:161]
	v_fma_f64 v[8:9], v[120:121], v[52:53], -v[8:9]
	v_add_f64 v[144:145], v[140:141], v[142:143]
	ds_read_b128 v[140:143], v86 offset:1056
	v_add_f64 v[6:7], v[6:7], v[8:9]
	v_mul_f64 v[8:9], v[126:127], v[62:63]
	v_fma_f64 v[8:9], v[124:125], v[64:65], -v[8:9]
	v_add_f64 v[6:7], v[6:7], v[8:9]
	v_mul_f64 v[8:9], v[130:131], v[58:59]
	s_waitcnt lgkmcnt(1)
	v_mul_f64 v[146:147], v[136:137], v[116:117]
	v_fma_f64 v[8:9], v[128:129], v[60:61], -v[8:9]
	v_fmac_f64_e32 v[146:147], v[138:139], v[156:157]
	v_add_f64 v[6:7], v[6:7], v[8:9]
	v_mul_f64 v[8:9], v[134:135], v[158:159]
	v_add_f64 v[148:149], v[144:145], v[146:147]
	ds_read_b128 v[144:147], v86 offset:1072
	s_waitcnt vmcnt(10) lgkmcnt(1)
	v_mul_f64 v[150:151], v[140:141], v[166:167]
	v_fma_f64 v[8:9], v[132:133], v[160:161], -v[8:9]
	s_waitcnt vmcnt(8)
	v_fmac_f64_e32 v[150:151], v[142:143], v[168:169]
	v_add_f64 v[6:7], v[6:7], v[8:9]
	v_mul_f64 v[8:9], v[138:139], v[116:117]
	v_add_f64 v[178:179], v[148:149], v[150:151]
	ds_read_b128 v[148:151], v86 offset:1088
	v_fma_f64 v[8:9], v[136:137], v[156:157], -v[8:9]
	v_add_f64 v[6:7], v[6:7], v[8:9]
	v_mul_f64 v[8:9], v[142:143], v[166:167]
	v_fma_f64 v[8:9], v[140:141], v[168:169], -v[8:9]
	v_add_f64 v[6:7], v[6:7], v[8:9]
	s_waitcnt lgkmcnt(1)
	v_mul_f64 v[8:9], v[146:147], v[162:163]
	v_mul_f64 v[188:189], v[144:145], v[162:163]
	v_fma_f64 v[8:9], v[144:145], v[164:165], -v[8:9]
	v_fmac_f64_e32 v[188:189], v[146:147], v[164:165]
	v_add_f64 v[6:7], v[6:7], v[8:9]
	s_waitcnt vmcnt(6) lgkmcnt(0)
	v_mul_f64 v[8:9], v[150:151], v[170:171]
	v_add_f64 v[178:179], v[178:179], v[188:189]
	v_mul_f64 v[188:189], v[148:149], v[170:171]
	s_waitcnt vmcnt(4)
	v_fma_f64 v[8:9], v[148:149], v[172:173], -v[8:9]
	v_fmac_f64_e32 v[188:189], v[150:151], v[172:173]
	v_add_f64 v[6:7], v[6:7], v[8:9]
	s_waitcnt vmcnt(2)
	v_mul_f64 v[8:9], v[154:155], v[174:175]
	v_add_f64 v[178:179], v[178:179], v[188:189]
	v_mul_f64 v[188:189], v[152:153], v[174:175]
	s_waitcnt vmcnt(0)
	v_fma_f64 v[8:9], v[152:153], v[176:177], -v[8:9]
	v_fmac_f64_e32 v[188:189], v[154:155], v[176:177]
	v_add_f64 v[6:7], v[6:7], v[8:9]
	v_add_f64 v[178:179], v[178:179], v[188:189]
	v_add_f64 v[4:5], v[4:5], -v[6:7]
	v_add_f64 v[2:3], v[2:3], -v[178:179]
	buffer_store_dword v5, off, s[0:3], 0 offset:228
	buffer_store_dword v4, off, s[0:3], 0 offset:224
	;; [unrolled: 1-line block ×4, first 2 shown]
	s_and_saveexec_b64 s[4:5], vcc
	s_cbranch_execz .LBB34_199
; %bb.198:
	v_accvgpr_read_b32 v5, a86
	buffer_load_dword v2, v5, s[0:3], 0 offen
	buffer_load_dword v3, v5, s[0:3], 0 offen offset:4
	buffer_load_dword v4, v5, s[0:3], 0 offen offset:8
	s_nop 0
	buffer_load_dword v5, v5, s[0:3], 0 offen offset:12
	s_nop 0
	buffer_store_dword v86, off, s[0:3], 0 offset:208
	buffer_store_dword v86, off, s[0:3], 0 offset:212
	;; [unrolled: 1-line block ×4, first 2 shown]
	s_waitcnt vmcnt(4)
	ds_write_b128 v1, v[2:5]
.LBB34_199:
	s_or_b64 exec, exec, s[4:5]
	s_waitcnt lgkmcnt(0)
	; wave barrier
	s_waitcnt lgkmcnt(0)
	ds_read_b128 v[14:17], v86 offset:768
	ds_read_b128 v[10:13], v86 offset:784
	;; [unrolled: 1-line block ×4, first 2 shown]
	buffer_load_dword v20, off, s[0:3], 0 offset:208
	buffer_load_dword v21, off, s[0:3], 0 offset:212
	buffer_load_dword v18, off, s[0:3], 0 offset:216
	buffer_load_dword v19, off, s[0:3], 0 offset:220
	buffer_load_dword v22, off, s[0:3], 0 offset:224
	buffer_load_dword v23, off, s[0:3], 0 offset:228
	buffer_load_dword v28, off, s[0:3], 0 offset:232
	buffer_load_dword v29, off, s[0:3], 0 offset:236
	buffer_load_dword v24, off, s[0:3], 0 offset:240
	buffer_load_dword v25, off, s[0:3], 0 offset:244
	buffer_load_dword v30, off, s[0:3], 0 offset:248
	buffer_load_dword v31, off, s[0:3], 0 offset:252
	buffer_load_dword v26, off, s[0:3], 0 offset:256
	buffer_load_dword v27, off, s[0:3], 0 offset:260
	buffer_load_dword v32, off, s[0:3], 0 offset:264
	buffer_load_dword v33, off, s[0:3], 0 offset:268
	buffer_load_dword v35, off, s[0:3], 0 offset:300
	buffer_load_dword v34, off, s[0:3], 0 offset:296
	buffer_load_dword v37, off, s[0:3], 0 offset:292
	buffer_load_dword v36, off, s[0:3], 0 offset:288
	buffer_load_dword v39, off, s[0:3], 0 offset:284
	buffer_load_dword v38, off, s[0:3], 0 offset:280
	buffer_load_dword v41, off, s[0:3], 0 offset:276
	buffer_load_dword v40, off, s[0:3], 0 offset:272
	buffer_load_dword v43, off, s[0:3], 0 offset:332
	buffer_load_dword v42, off, s[0:3], 0 offset:328
	buffer_load_dword v45, off, s[0:3], 0 offset:324
	buffer_load_dword v44, off, s[0:3], 0 offset:320
	buffer_load_dword v47, off, s[0:3], 0 offset:316
	buffer_load_dword v46, off, s[0:3], 0 offset:312
	buffer_load_dword v49, off, s[0:3], 0 offset:308
	buffer_load_dword v48, off, s[0:3], 0 offset:304
	buffer_load_dword v51, off, s[0:3], 0 offset:364
	buffer_load_dword v50, off, s[0:3], 0 offset:360
	buffer_load_dword v53, off, s[0:3], 0 offset:356
	buffer_load_dword v52, off, s[0:3], 0 offset:352
	buffer_load_dword v55, off, s[0:3], 0 offset:348
	buffer_load_dword v54, off, s[0:3], 0 offset:344
	buffer_load_dword v57, off, s[0:3], 0 offset:340
	buffer_load_dword v56, off, s[0:3], 0 offset:336
	buffer_load_dword v59, off, s[0:3], 0 offset:396
	buffer_load_dword v58, off, s[0:3], 0 offset:392
	buffer_load_dword v61, off, s[0:3], 0 offset:388
	buffer_load_dword v60, off, s[0:3], 0 offset:384
	buffer_load_dword v63, off, s[0:3], 0 offset:380
	buffer_load_dword v62, off, s[0:3], 0 offset:376
	buffer_load_dword v65, off, s[0:3], 0 offset:372
	buffer_load_dword v64, off, s[0:3], 0 offset:368
	buffer_load_dword v67, off, s[0:3], 0 offset:428
	buffer_load_dword v66, off, s[0:3], 0 offset:424
	buffer_load_dword v69, off, s[0:3], 0 offset:420
	buffer_load_dword v68, off, s[0:3], 0 offset:416
	buffer_load_dword v71, off, s[0:3], 0 offset:412
	buffer_load_dword v70, off, s[0:3], 0 offset:408
	buffer_load_dword v73, off, s[0:3], 0 offset:404
	buffer_load_dword v72, off, s[0:3], 0 offset:400
	buffer_load_dword v75, off, s[0:3], 0 offset:460
	buffer_load_dword v74, off, s[0:3], 0 offset:456
	buffer_load_dword v77, off, s[0:3], 0 offset:452
	buffer_load_dword v76, off, s[0:3], 0 offset:448
	buffer_load_dword v79, off, s[0:3], 0 offset:444
	buffer_load_dword v78, off, s[0:3], 0 offset:440
	buffer_load_dword v81, off, s[0:3], 0 offset:436
	buffer_load_dword v80, off, s[0:3], 0 offset:432
	buffer_load_dword v83, off, s[0:3], 0 offset:492
	buffer_load_dword v82, off, s[0:3], 0 offset:488
	buffer_load_dword v85, off, s[0:3], 0 offset:484
	buffer_load_dword v84, off, s[0:3], 0 offset:480
	buffer_load_dword v117, off, s[0:3], 0 offset:476
	buffer_load_dword v116, off, s[0:3], 0 offset:472
	buffer_load_dword v165, off, s[0:3], 0 offset:468
	buffer_load_dword v164, off, s[0:3], 0 offset:464
	buffer_load_dword v167, off, s[0:3], 0 offset:524
	buffer_load_dword v166, off, s[0:3], 0 offset:520
	buffer_load_dword v169, off, s[0:3], 0 offset:516
	buffer_load_dword v168, off, s[0:3], 0 offset:512
	buffer_load_dword v171, off, s[0:3], 0 offset:508
	buffer_load_dword v170, off, s[0:3], 0 offset:504
	buffer_load_dword v173, off, s[0:3], 0 offset:500
	buffer_load_dword v172, off, s[0:3], 0 offset:496
	buffer_load_dword v175, off, s[0:3], 0 offset:556
	buffer_load_dword v174, off, s[0:3], 0 offset:552
	buffer_load_dword v177, off, s[0:3], 0 offset:548
	buffer_load_dword v176, off, s[0:3], 0 offset:544
	buffer_load_dword v179, off, s[0:3], 0 offset:540
	buffer_load_dword v178, off, s[0:3], 0 offset:536
	buffer_load_dword v189, off, s[0:3], 0 offset:532
	buffer_load_dword v188, off, s[0:3], 0 offset:528
	buffer_load_dword v191, off, s[0:3], 0 offset:572
	buffer_load_dword v190, off, s[0:3], 0 offset:568
	buffer_load_dword v193, off, s[0:3], 0 offset:564
	buffer_load_dword v192, off, s[0:3], 0 offset:560
	s_waitcnt vmcnt(62) lgkmcnt(3)
	v_mul_f64 v[88:89], v[14:15], v[28:29]
	v_fmac_f64_e32 v[88:89], v[16:17], v[22:23]
	s_waitcnt lgkmcnt(2)
	v_mul_f64 v[90:91], v[10:11], v[30:31]
	v_add_f64 v[88:89], v[88:89], 0
	v_fmac_f64_e32 v[90:91], v[12:13], v[24:25]
	v_add_f64 v[88:89], v[88:89], v[90:91]
	s_waitcnt lgkmcnt(1)
	v_mul_f64 v[90:91], v[6:7], v[32:33]
	v_fmac_f64_e32 v[90:91], v[8:9], v[26:27]
	v_add_f64 v[92:93], v[88:89], v[90:91]
	ds_read_b128 v[88:91], v86 offset:832
	v_mul_f64 v[16:17], v[16:17], v[28:29]
	v_fma_f64 v[14:15], v[14:15], v[22:23], -v[16:17]
	s_waitcnt lgkmcnt(1)
	v_mul_f64 v[94:95], v[2:3], v[38:39]
	v_mul_f64 v[12:13], v[12:13], v[30:31]
	v_fmac_f64_e32 v[94:95], v[4:5], v[40:41]
	v_add_f64 v[96:97], v[92:93], v[94:95]
	ds_read_b128 v[92:95], v86 offset:848
	s_waitcnt lgkmcnt(1)
	v_mul_f64 v[98:99], v[88:89], v[34:35]
	v_fmac_f64_e32 v[98:99], v[90:91], v[36:37]
	v_add_f64 v[100:101], v[96:97], v[98:99]
	ds_read_b128 v[96:99], v86 offset:864
	s_waitcnt lgkmcnt(1)
	v_mul_f64 v[102:103], v[92:93], v[46:47]
	s_waitcnt vmcnt(60)
	v_fmac_f64_e32 v[102:103], v[94:95], v[48:49]
	v_add_f64 v[104:105], v[100:101], v[102:103]
	ds_read_b128 v[100:103], v86 offset:880
	s_waitcnt lgkmcnt(1)
	v_mul_f64 v[106:107], v[96:97], v[42:43]
	v_fmac_f64_e32 v[106:107], v[98:99], v[44:45]
	v_add_f64 v[108:109], v[104:105], v[106:107]
	ds_read_b128 v[104:107], v86 offset:896
	s_waitcnt vmcnt(54) lgkmcnt(1)
	v_mul_f64 v[110:111], v[100:101], v[54:55]
	s_waitcnt vmcnt(52)
	v_fmac_f64_e32 v[110:111], v[102:103], v[56:57]
	v_add_f64 v[112:113], v[108:109], v[110:111]
	ds_read_b128 v[108:111], v86 offset:912
	s_waitcnt lgkmcnt(1)
	v_mul_f64 v[114:115], v[104:105], v[50:51]
	v_fmac_f64_e32 v[114:115], v[106:107], v[52:53]
	v_add_f64 v[120:121], v[112:113], v[114:115]
	ds_read_b128 v[112:115], v86 offset:928
	s_waitcnt vmcnt(46) lgkmcnt(1)
	v_mul_f64 v[122:123], v[108:109], v[62:63]
	s_waitcnt vmcnt(44)
	v_fmac_f64_e32 v[122:123], v[110:111], v[64:65]
	v_add_f64 v[124:125], v[120:121], v[122:123]
	ds_read_b128 v[120:123], v86 offset:944
	s_waitcnt lgkmcnt(1)
	v_mul_f64 v[126:127], v[112:113], v[58:59]
	v_fmac_f64_e32 v[126:127], v[114:115], v[60:61]
	v_add_f64 v[14:15], v[14:15], 0
	v_fma_f64 v[10:11], v[10:11], v[24:25], -v[12:13]
	v_mul_f64 v[8:9], v[8:9], v[32:33]
	v_add_f64 v[128:129], v[124:125], v[126:127]
	ds_read_b128 v[124:127], v86 offset:960
	v_add_f64 v[10:11], v[14:15], v[10:11]
	v_fma_f64 v[6:7], v[6:7], v[26:27], -v[8:9]
	v_mul_f64 v[4:5], v[4:5], v[38:39]
	v_add_f64 v[6:7], v[10:11], v[6:7]
	v_fma_f64 v[2:3], v[2:3], v[40:41], -v[4:5]
	v_mul_f64 v[4:5], v[90:91], v[34:35]
	v_add_f64 v[2:3], v[6:7], v[2:3]
	v_fma_f64 v[4:5], v[88:89], v[36:37], -v[4:5]
	s_waitcnt vmcnt(38) lgkmcnt(1)
	v_mul_f64 v[130:131], v[120:121], v[70:71]
	v_add_f64 v[2:3], v[2:3], v[4:5]
	v_mul_f64 v[4:5], v[94:95], v[46:47]
	s_waitcnt vmcnt(36)
	v_fmac_f64_e32 v[130:131], v[122:123], v[72:73]
	v_fma_f64 v[4:5], v[92:93], v[48:49], -v[4:5]
	v_add_f64 v[132:133], v[128:129], v[130:131]
	ds_read_b128 v[128:131], v86 offset:976
	s_waitcnt lgkmcnt(1)
	v_mul_f64 v[134:135], v[124:125], v[66:67]
	v_add_f64 v[2:3], v[2:3], v[4:5]
	v_mul_f64 v[4:5], v[98:99], v[42:43]
	v_fmac_f64_e32 v[134:135], v[126:127], v[68:69]
	v_fma_f64 v[4:5], v[96:97], v[44:45], -v[4:5]
	v_add_f64 v[136:137], v[132:133], v[134:135]
	ds_read_b128 v[132:135], v86 offset:992
	v_add_f64 v[2:3], v[2:3], v[4:5]
	v_mul_f64 v[4:5], v[102:103], v[54:55]
	v_fma_f64 v[4:5], v[100:101], v[56:57], -v[4:5]
	v_add_f64 v[2:3], v[2:3], v[4:5]
	v_mul_f64 v[4:5], v[106:107], v[50:51]
	s_waitcnt vmcnt(30) lgkmcnt(1)
	v_mul_f64 v[138:139], v[128:129], v[78:79]
	v_fma_f64 v[4:5], v[104:105], v[52:53], -v[4:5]
	s_waitcnt vmcnt(28)
	v_fmac_f64_e32 v[138:139], v[130:131], v[80:81]
	v_add_f64 v[2:3], v[2:3], v[4:5]
	v_mul_f64 v[4:5], v[110:111], v[62:63]
	v_add_f64 v[140:141], v[136:137], v[138:139]
	ds_read_b128 v[136:139], v86 offset:1008
	s_waitcnt lgkmcnt(1)
	v_mul_f64 v[142:143], v[132:133], v[74:75]
	v_fma_f64 v[4:5], v[108:109], v[64:65], -v[4:5]
	v_fmac_f64_e32 v[142:143], v[134:135], v[76:77]
	v_add_f64 v[2:3], v[2:3], v[4:5]
	v_mul_f64 v[4:5], v[114:115], v[58:59]
	v_add_f64 v[144:145], v[140:141], v[142:143]
	ds_read_b128 v[140:143], v86 offset:1024
	v_fma_f64 v[4:5], v[112:113], v[60:61], -v[4:5]
	v_add_f64 v[2:3], v[2:3], v[4:5]
	v_mul_f64 v[4:5], v[122:123], v[70:71]
	v_fma_f64 v[4:5], v[120:121], v[72:73], -v[4:5]
	s_waitcnt vmcnt(22) lgkmcnt(1)
	v_mul_f64 v[146:147], v[136:137], v[116:117]
	v_add_f64 v[2:3], v[2:3], v[4:5]
	v_mul_f64 v[4:5], v[126:127], v[66:67]
	s_waitcnt vmcnt(20)
	v_fmac_f64_e32 v[146:147], v[138:139], v[164:165]
	v_fma_f64 v[4:5], v[124:125], v[68:69], -v[4:5]
	v_add_f64 v[148:149], v[144:145], v[146:147]
	ds_read_b128 v[144:147], v86 offset:1040
	s_waitcnt lgkmcnt(1)
	v_mul_f64 v[150:151], v[140:141], v[82:83]
	v_add_f64 v[2:3], v[2:3], v[4:5]
	v_mul_f64 v[4:5], v[130:131], v[78:79]
	v_fmac_f64_e32 v[150:151], v[142:143], v[84:85]
	v_fma_f64 v[4:5], v[128:129], v[80:81], -v[4:5]
	v_add_f64 v[152:153], v[148:149], v[150:151]
	ds_read_b128 v[148:151], v86 offset:1056
	v_add_f64 v[2:3], v[2:3], v[4:5]
	v_mul_f64 v[4:5], v[134:135], v[74:75]
	v_fma_f64 v[4:5], v[132:133], v[76:77], -v[4:5]
	v_add_f64 v[2:3], v[2:3], v[4:5]
	v_mul_f64 v[4:5], v[138:139], v[116:117]
	s_waitcnt vmcnt(14) lgkmcnt(1)
	v_mul_f64 v[154:155], v[144:145], v[170:171]
	v_fma_f64 v[4:5], v[136:137], v[164:165], -v[4:5]
	s_waitcnt vmcnt(12)
	v_fmac_f64_e32 v[154:155], v[146:147], v[172:173]
	v_add_f64 v[2:3], v[2:3], v[4:5]
	v_mul_f64 v[4:5], v[142:143], v[82:83]
	v_add_f64 v[156:157], v[152:153], v[154:155]
	ds_read_b128 v[152:155], v86 offset:1072
	s_waitcnt lgkmcnt(1)
	v_mul_f64 v[158:159], v[148:149], v[166:167]
	v_fma_f64 v[4:5], v[140:141], v[84:85], -v[4:5]
	v_fmac_f64_e32 v[158:159], v[150:151], v[168:169]
	v_add_f64 v[2:3], v[2:3], v[4:5]
	v_mul_f64 v[4:5], v[146:147], v[170:171]
	v_add_f64 v[194:195], v[156:157], v[158:159]
	ds_read_b128 v[156:159], v86 offset:1088
	ds_read_b128 v[160:163], v86 offset:1104
	v_fma_f64 v[4:5], v[144:145], v[172:173], -v[4:5]
	v_add_f64 v[2:3], v[2:3], v[4:5]
	v_mul_f64 v[4:5], v[150:151], v[166:167]
	v_fma_f64 v[4:5], v[148:149], v[168:169], -v[4:5]
	v_add_f64 v[2:3], v[2:3], v[4:5]
	s_waitcnt vmcnt(6) lgkmcnt(2)
	v_mul_f64 v[4:5], v[154:155], v[178:179]
	v_mul_f64 v[196:197], v[152:153], v[178:179]
	s_waitcnt vmcnt(4)
	v_fma_f64 v[4:5], v[152:153], v[188:189], -v[4:5]
	v_fmac_f64_e32 v[196:197], v[154:155], v[188:189]
	v_add_f64 v[2:3], v[2:3], v[4:5]
	s_waitcnt lgkmcnt(1)
	v_mul_f64 v[4:5], v[158:159], v[174:175]
	v_add_f64 v[86:87], v[194:195], v[196:197]
	v_mul_f64 v[194:195], v[156:157], v[174:175]
	v_fma_f64 v[4:5], v[156:157], v[176:177], -v[4:5]
	v_fmac_f64_e32 v[194:195], v[158:159], v[176:177]
	v_add_f64 v[2:3], v[2:3], v[4:5]
	s_waitcnt vmcnt(2) lgkmcnt(0)
	v_mul_f64 v[4:5], v[162:163], v[190:191]
	v_add_f64 v[86:87], v[86:87], v[194:195]
	v_mul_f64 v[194:195], v[160:161], v[190:191]
	s_waitcnt vmcnt(0)
	v_fma_f64 v[4:5], v[160:161], v[192:193], -v[4:5]
	v_fmac_f64_e32 v[194:195], v[162:163], v[192:193]
	v_add_f64 v[2:3], v[2:3], v[4:5]
	v_add_f64 v[86:87], v[86:87], v[194:195]
	v_add_f64 v[2:3], v[20:21], -v[2:3]
	v_cmp_lt_u32_e32 vcc, 11, v0
	v_add_f64 v[4:5], v[18:19], -v[86:87]
	buffer_store_dword v3, off, s[0:3], 0 offset:212
	buffer_store_dword v2, off, s[0:3], 0 offset:208
	;; [unrolled: 1-line block ×4, first 2 shown]
	s_and_saveexec_b64 s[4:5], vcc
	s_cbranch_execz .LBB34_201
; %bb.200:
	v_accvgpr_read_b32 v5, a87
	buffer_load_dword v2, v5, s[0:3], 0 offen
	buffer_load_dword v3, v5, s[0:3], 0 offen offset:4
	buffer_load_dword v4, v5, s[0:3], 0 offen offset:8
	s_nop 0
	buffer_load_dword v5, v5, s[0:3], 0 offen offset:12
	v_mov_b32_e32 v6, 0
	buffer_store_dword v6, off, s[0:3], 0 offset:192
	buffer_store_dword v6, off, s[0:3], 0 offset:196
	;; [unrolled: 1-line block ×4, first 2 shown]
	s_waitcnt vmcnt(4)
	ds_write_b128 v1, v[2:5]
.LBB34_201:
	s_or_b64 exec, exec, s[4:5]
	s_waitcnt lgkmcnt(0)
	; wave barrier
	s_waitcnt lgkmcnt(0)
	buffer_load_dword v9, off, s[0:3], 0 offset:220
	buffer_load_dword v6, off, s[0:3], 0 offset:232
	;; [unrolled: 1-line block ×64, first 2 shown]
	v_mov_b32_e32 v98, 0
	ds_read_b128 v[74:77], v98 offset:752
	ds_read_b128 v[78:81], v98 offset:768
	buffer_load_dword v67, off, s[0:3], 0 offset:476
	buffer_load_dword v66, off, s[0:3], 0 offset:472
	;; [unrolled: 1-line block ×8, first 2 shown]
	ds_read_b128 v[82:85], v98 offset:784
	ds_read_b128 v[86:89], v98 offset:800
	buffer_load_dword v117, off, s[0:3], 0 offset:508
	buffer_load_dword v116, off, s[0:3], 0 offset:504
	;; [unrolled: 1-line block ×24, first 2 shown]
	ds_read_b128 v[168:171], v98 offset:1104
	v_cmp_lt_u32_e32 vcc, 10, v0
	s_waitcnt vmcnt(62) lgkmcnt(1)
	v_mul_f64 v[96:97], v[86:87], v[22:23]
	v_fmac_f64_e32 v[96:97], v[88:89], v[24:25]
	v_mul_f64 v[92:93], v[78:79], v[6:7]
	v_mul_f64 v[90:91], v[74:75], v[8:9]
	;; [unrolled: 1-line block ×3, first 2 shown]
	v_fmac_f64_e32 v[90:91], v[76:77], v[10:11]
	v_add_f64 v[90:91], v[90:91], 0
	v_fma_f64 v[8:9], v[74:75], v[10:11], -v[8:9]
	v_mul_f64 v[6:7], v[80:81], v[6:7]
	v_add_f64 v[8:9], v[8:9], 0
	v_fmac_f64_e32 v[92:93], v[80:81], v[14:15]
	v_add_f64 v[90:91], v[90:91], v[92:93]
	v_mul_f64 v[92:93], v[82:83], v[16:17]
	v_fmac_f64_e32 v[92:93], v[84:85], v[12:13]
	v_add_f64 v[94:95], v[90:91], v[92:93]
	ds_read_b128 v[90:93], v98 offset:816
	v_add_f64 v[100:101], v[94:95], v[96:97]
	ds_read_b128 v[94:97], v98 offset:832
	v_fma_f64 v[6:7], v[78:79], v[14:15], -v[6:7]
	v_add_f64 v[6:7], v[8:9], v[6:7]
	s_waitcnt lgkmcnt(1)
	v_mul_f64 v[102:103], v[90:91], v[18:19]
	v_fmac_f64_e32 v[102:103], v[92:93], v[20:21]
	v_add_f64 v[104:105], v[100:101], v[102:103]
	ds_read_b128 v[100:103], v98 offset:848
	s_waitcnt lgkmcnt(1)
	v_mul_f64 v[106:107], v[94:95], v[30:31]
	v_fmac_f64_e32 v[106:107], v[96:97], v[32:33]
	v_add_f64 v[108:109], v[104:105], v[106:107]
	ds_read_b128 v[104:107], v98 offset:864
	;; [unrolled: 5-line block ×3, first 2 shown]
	s_waitcnt vmcnt(58) lgkmcnt(1)
	v_mul_f64 v[114:115], v[104:105], v[38:39]
	s_waitcnt vmcnt(56)
	v_fmac_f64_e32 v[114:115], v[106:107], v[40:41]
	v_add_f64 v[120:121], v[112:113], v[114:115]
	ds_read_b128 v[112:115], v98 offset:896
	s_waitcnt lgkmcnt(1)
	v_mul_f64 v[122:123], v[108:109], v[34:35]
	v_fmac_f64_e32 v[122:123], v[110:111], v[36:37]
	v_add_f64 v[124:125], v[120:121], v[122:123]
	ds_read_b128 v[120:123], v98 offset:912
	s_waitcnt vmcnt(50) lgkmcnt(1)
	v_mul_f64 v[126:127], v[112:113], v[46:47]
	s_waitcnt vmcnt(48)
	v_fmac_f64_e32 v[126:127], v[114:115], v[48:49]
	v_add_f64 v[128:129], v[124:125], v[126:127]
	ds_read_b128 v[124:127], v98 offset:928
	v_mul_f64 v[8:9], v[84:85], v[16:17]
	s_waitcnt lgkmcnt(1)
	v_mul_f64 v[130:131], v[120:121], v[42:43]
	v_fma_f64 v[8:9], v[82:83], v[12:13], -v[8:9]
	v_fmac_f64_e32 v[130:131], v[122:123], v[44:45]
	v_add_f64 v[6:7], v[6:7], v[8:9]
	v_mul_f64 v[8:9], v[88:89], v[22:23]
	v_add_f64 v[132:133], v[128:129], v[130:131]
	ds_read_b128 v[128:131], v98 offset:944
	s_waitcnt vmcnt(42) lgkmcnt(1)
	v_mul_f64 v[134:135], v[124:125], v[54:55]
	v_fma_f64 v[8:9], v[86:87], v[24:25], -v[8:9]
	s_waitcnt vmcnt(40)
	v_fmac_f64_e32 v[134:135], v[126:127], v[56:57]
	v_add_f64 v[6:7], v[6:7], v[8:9]
	v_mul_f64 v[8:9], v[92:93], v[18:19]
	v_add_f64 v[136:137], v[132:133], v[134:135]
	ds_read_b128 v[132:135], v98 offset:960
	v_fma_f64 v[8:9], v[90:91], v[20:21], -v[8:9]
	v_add_f64 v[6:7], v[6:7], v[8:9]
	v_mul_f64 v[8:9], v[96:97], v[30:31]
	v_fma_f64 v[8:9], v[94:95], v[32:33], -v[8:9]
	s_waitcnt lgkmcnt(1)
	v_mul_f64 v[138:139], v[128:129], v[50:51]
	v_add_f64 v[6:7], v[6:7], v[8:9]
	v_mul_f64 v[8:9], v[102:103], v[26:27]
	v_fmac_f64_e32 v[138:139], v[130:131], v[52:53]
	v_fma_f64 v[8:9], v[100:101], v[28:29], -v[8:9]
	v_add_f64 v[140:141], v[136:137], v[138:139]
	ds_read_b128 v[136:139], v98 offset:976
	s_waitcnt vmcnt(34) lgkmcnt(1)
	v_mul_f64 v[142:143], v[132:133], v[62:63]
	v_add_f64 v[6:7], v[6:7], v[8:9]
	v_mul_f64 v[8:9], v[106:107], v[38:39]
	s_waitcnt vmcnt(32)
	v_fmac_f64_e32 v[142:143], v[134:135], v[64:65]
	v_fma_f64 v[8:9], v[104:105], v[40:41], -v[8:9]
	v_add_f64 v[144:145], v[140:141], v[142:143]
	ds_read_b128 v[140:143], v98 offset:992
	v_add_f64 v[6:7], v[6:7], v[8:9]
	v_mul_f64 v[8:9], v[110:111], v[34:35]
	v_fma_f64 v[8:9], v[108:109], v[36:37], -v[8:9]
	v_add_f64 v[6:7], v[6:7], v[8:9]
	v_mul_f64 v[8:9], v[114:115], v[46:47]
	s_waitcnt lgkmcnt(1)
	v_mul_f64 v[146:147], v[136:137], v[58:59]
	v_fma_f64 v[8:9], v[112:113], v[48:49], -v[8:9]
	v_fmac_f64_e32 v[146:147], v[138:139], v[60:61]
	v_add_f64 v[6:7], v[6:7], v[8:9]
	v_mul_f64 v[8:9], v[122:123], v[42:43]
	v_add_f64 v[148:149], v[144:145], v[146:147]
	ds_read_b128 v[144:147], v98 offset:1008
	s_waitcnt vmcnt(26) lgkmcnt(1)
	v_mul_f64 v[150:151], v[140:141], v[70:71]
	v_fma_f64 v[8:9], v[120:121], v[44:45], -v[8:9]
	s_waitcnt vmcnt(24)
	v_fmac_f64_e32 v[150:151], v[142:143], v[72:73]
	v_add_f64 v[6:7], v[6:7], v[8:9]
	v_mul_f64 v[8:9], v[126:127], v[54:55]
	v_add_f64 v[152:153], v[148:149], v[150:151]
	ds_read_b128 v[148:151], v98 offset:1024
	v_fma_f64 v[8:9], v[124:125], v[56:57], -v[8:9]
	v_add_f64 v[6:7], v[6:7], v[8:9]
	v_mul_f64 v[8:9], v[130:131], v[50:51]
	v_fma_f64 v[8:9], v[128:129], v[52:53], -v[8:9]
	s_waitcnt lgkmcnt(1)
	v_mul_f64 v[154:155], v[144:145], v[66:67]
	v_add_f64 v[6:7], v[6:7], v[8:9]
	v_mul_f64 v[8:9], v[134:135], v[62:63]
	v_fmac_f64_e32 v[154:155], v[146:147], v[68:69]
	v_fma_f64 v[8:9], v[132:133], v[64:65], -v[8:9]
	v_add_f64 v[156:157], v[152:153], v[154:155]
	ds_read_b128 v[152:155], v98 offset:1040
	s_waitcnt vmcnt(18) lgkmcnt(1)
	v_mul_f64 v[158:159], v[148:149], v[174:175]
	v_add_f64 v[6:7], v[6:7], v[8:9]
	v_mul_f64 v[8:9], v[138:139], v[58:59]
	s_waitcnt vmcnt(16)
	v_fmac_f64_e32 v[158:159], v[150:151], v[176:177]
	v_fma_f64 v[8:9], v[136:137], v[60:61], -v[8:9]
	v_add_f64 v[160:161], v[156:157], v[158:159]
	ds_read_b128 v[156:159], v98 offset:1056
	v_add_f64 v[6:7], v[6:7], v[8:9]
	v_mul_f64 v[8:9], v[142:143], v[70:71]
	v_fma_f64 v[8:9], v[140:141], v[72:73], -v[8:9]
	v_add_f64 v[6:7], v[6:7], v[8:9]
	v_mul_f64 v[8:9], v[146:147], v[66:67]
	s_waitcnt lgkmcnt(1)
	v_mul_f64 v[162:163], v[152:153], v[116:117]
	v_fma_f64 v[8:9], v[144:145], v[68:69], -v[8:9]
	v_fmac_f64_e32 v[162:163], v[154:155], v[172:173]
	v_add_f64 v[6:7], v[6:7], v[8:9]
	v_mul_f64 v[8:9], v[150:151], v[174:175]
	v_add_f64 v[164:165], v[160:161], v[162:163]
	ds_read_b128 v[160:163], v98 offset:1072
	s_waitcnt vmcnt(10) lgkmcnt(1)
	v_mul_f64 v[166:167], v[156:157], v[190:191]
	v_fma_f64 v[8:9], v[148:149], v[176:177], -v[8:9]
	s_waitcnt vmcnt(8)
	v_fmac_f64_e32 v[166:167], v[158:159], v[192:193]
	v_add_f64 v[6:7], v[6:7], v[8:9]
	v_mul_f64 v[8:9], v[154:155], v[116:117]
	v_add_f64 v[202:203], v[164:165], v[166:167]
	ds_read_b128 v[164:167], v98 offset:1088
	v_fma_f64 v[8:9], v[152:153], v[172:173], -v[8:9]
	v_add_f64 v[6:7], v[6:7], v[8:9]
	v_mul_f64 v[8:9], v[158:159], v[190:191]
	v_fma_f64 v[8:9], v[156:157], v[192:193], -v[8:9]
	v_add_f64 v[6:7], v[6:7], v[8:9]
	s_waitcnt lgkmcnt(1)
	v_mul_f64 v[8:9], v[162:163], v[178:179]
	v_mul_f64 v[204:205], v[160:161], v[178:179]
	v_fma_f64 v[8:9], v[160:161], v[188:189], -v[8:9]
	v_fmac_f64_e32 v[204:205], v[162:163], v[188:189]
	v_add_f64 v[6:7], v[6:7], v[8:9]
	s_waitcnt vmcnt(2) lgkmcnt(0)
	v_mul_f64 v[8:9], v[166:167], v[198:199]
	v_add_f64 v[202:203], v[202:203], v[204:205]
	v_mul_f64 v[204:205], v[164:165], v[198:199]
	s_waitcnt vmcnt(0)
	v_fma_f64 v[8:9], v[164:165], v[200:201], -v[8:9]
	v_fmac_f64_e32 v[204:205], v[166:167], v[200:201]
	v_add_f64 v[6:7], v[6:7], v[8:9]
	v_mul_f64 v[8:9], v[170:171], v[194:195]
	v_add_f64 v[202:203], v[202:203], v[204:205]
	v_mul_f64 v[204:205], v[168:169], v[194:195]
	v_fma_f64 v[8:9], v[168:169], v[196:197], -v[8:9]
	v_fmac_f64_e32 v[204:205], v[170:171], v[196:197]
	v_add_f64 v[6:7], v[6:7], v[8:9]
	v_add_f64 v[202:203], v[202:203], v[204:205]
	v_add_f64 v[4:5], v[4:5], -v[6:7]
	v_add_f64 v[2:3], v[2:3], -v[202:203]
	buffer_store_dword v5, off, s[0:3], 0 offset:196
	buffer_store_dword v4, off, s[0:3], 0 offset:192
	;; [unrolled: 1-line block ×4, first 2 shown]
	s_and_saveexec_b64 s[4:5], vcc
	s_cbranch_execz .LBB34_203
; %bb.202:
	v_accvgpr_read_b32 v5, a88
	buffer_load_dword v2, v5, s[0:3], 0 offen
	buffer_load_dword v3, v5, s[0:3], 0 offen offset:4
	buffer_load_dword v4, v5, s[0:3], 0 offen offset:8
	s_nop 0
	buffer_load_dword v5, v5, s[0:3], 0 offen offset:12
	s_nop 0
	buffer_store_dword v98, off, s[0:3], 0 offset:176
	buffer_store_dword v98, off, s[0:3], 0 offset:180
	;; [unrolled: 1-line block ×4, first 2 shown]
	s_waitcnt vmcnt(4)
	ds_write_b128 v1, v[2:5]
.LBB34_203:
	s_or_b64 exec, exec, s[4:5]
	s_waitcnt lgkmcnt(0)
	; wave barrier
	s_waitcnt lgkmcnt(0)
	buffer_load_dword v22, off, s[0:3], 0 offset:192
	buffer_load_dword v23, off, s[0:3], 0 offset:196
	;; [unrolled: 1-line block ×16, first 2 shown]
	ds_read_b128 v[2:5], v98 offset:736
	ds_read_b128 v[6:9], v98 offset:752
	;; [unrolled: 1-line block ×4, first 2 shown]
	buffer_load_dword v35, off, s[0:3], 0 offset:268
	buffer_load_dword v34, off, s[0:3], 0 offset:264
	buffer_load_dword v37, off, s[0:3], 0 offset:260
	buffer_load_dword v36, off, s[0:3], 0 offset:256
	buffer_load_dword v39, off, s[0:3], 0 offset:252
	buffer_load_dword v38, off, s[0:3], 0 offset:248
	buffer_load_dword v41, off, s[0:3], 0 offset:244
	buffer_load_dword v40, off, s[0:3], 0 offset:240
	buffer_load_dword v43, off, s[0:3], 0 offset:300
	buffer_load_dword v42, off, s[0:3], 0 offset:296
	buffer_load_dword v45, off, s[0:3], 0 offset:292
	buffer_load_dword v44, off, s[0:3], 0 offset:288
	buffer_load_dword v47, off, s[0:3], 0 offset:284
	buffer_load_dword v46, off, s[0:3], 0 offset:280
	buffer_load_dword v49, off, s[0:3], 0 offset:276
	buffer_load_dword v48, off, s[0:3], 0 offset:272
	buffer_load_dword v51, off, s[0:3], 0 offset:332
	buffer_load_dword v50, off, s[0:3], 0 offset:328
	buffer_load_dword v53, off, s[0:3], 0 offset:324
	buffer_load_dword v52, off, s[0:3], 0 offset:320
	buffer_load_dword v55, off, s[0:3], 0 offset:316
	buffer_load_dword v54, off, s[0:3], 0 offset:312
	buffer_load_dword v57, off, s[0:3], 0 offset:308
	buffer_load_dword v56, off, s[0:3], 0 offset:304
	buffer_load_dword v59, off, s[0:3], 0 offset:364
	buffer_load_dword v58, off, s[0:3], 0 offset:360
	buffer_load_dword v61, off, s[0:3], 0 offset:356
	buffer_load_dword v60, off, s[0:3], 0 offset:352
	buffer_load_dword v63, off, s[0:3], 0 offset:348
	buffer_load_dword v62, off, s[0:3], 0 offset:344
	buffer_load_dword v65, off, s[0:3], 0 offset:340
	buffer_load_dword v64, off, s[0:3], 0 offset:336
	buffer_load_dword v67, off, s[0:3], 0 offset:396
	buffer_load_dword v66, off, s[0:3], 0 offset:392
	buffer_load_dword v69, off, s[0:3], 0 offset:388
	buffer_load_dword v68, off, s[0:3], 0 offset:384
	buffer_load_dword v71, off, s[0:3], 0 offset:380
	buffer_load_dword v70, off, s[0:3], 0 offset:376
	buffer_load_dword v73, off, s[0:3], 0 offset:372
	buffer_load_dword v72, off, s[0:3], 0 offset:368
	buffer_load_dword v75, off, s[0:3], 0 offset:428
	buffer_load_dword v74, off, s[0:3], 0 offset:424
	buffer_load_dword v77, off, s[0:3], 0 offset:420
	buffer_load_dword v76, off, s[0:3], 0 offset:416
	buffer_load_dword v79, off, s[0:3], 0 offset:412
	buffer_load_dword v78, off, s[0:3], 0 offset:408
	buffer_load_dword v81, off, s[0:3], 0 offset:404
	buffer_load_dword v80, off, s[0:3], 0 offset:400
	v_cmp_lt_u32_e32 vcc, 9, v0
	s_waitcnt vmcnt(42) lgkmcnt(0)
	v_mul_f64 v[106:107], v[14:15], v[38:39]
	s_waitcnt vmcnt(40)
	v_fmac_f64_e32 v[106:107], v[16:17], v[40:41]
	v_mul_f64 v[82:83], v[2:3], v[24:25]
	v_fmac_f64_e32 v[82:83], v[4:5], v[22:23]
	v_add_f64 v[82:83], v[82:83], 0
	v_mul_f64 v[4:5], v[4:5], v[24:25]
	v_mul_f64 v[84:85], v[6:7], v[32:33]
	v_fma_f64 v[2:3], v[2:3], v[22:23], -v[4:5]
	v_mul_f64 v[100:101], v[10:11], v[26:27]
	v_fmac_f64_e32 v[100:101], v[12:13], v[30:31]
	v_fmac_f64_e32 v[84:85], v[8:9], v[28:29]
	v_add_f64 v[102:103], v[82:83], v[84:85]
	buffer_load_dword v83, off, s[0:3], 0 offset:460
	buffer_load_dword v82, off, s[0:3], 0 offset:456
	;; [unrolled: 1-line block ×32, first 2 shown]
	v_add_f64 v[104:105], v[102:103], v[100:101]
	ds_read_b128 v[100:103], v98 offset:800
	buffer_load_dword v207, off, s[0:3], 0 offset:572
	buffer_load_dword v206, off, s[0:3], 0 offset:568
	;; [unrolled: 1-line block ×4, first 2 shown]
	v_add_f64 v[108:109], v[104:105], v[106:107]
	ds_read_b128 v[104:107], v98 offset:816
	v_mul_f64 v[4:5], v[8:9], v[32:33]
	s_waitcnt lgkmcnt(1)
	v_mul_f64 v[110:111], v[100:101], v[34:35]
	v_fmac_f64_e32 v[110:111], v[102:103], v[36:37]
	v_add_f64 v[112:113], v[108:109], v[110:111]
	ds_read_b128 v[108:111], v98 offset:832
	s_waitcnt vmcnt(62) lgkmcnt(1)
	v_mul_f64 v[114:115], v[104:105], v[46:47]
	v_fmac_f64_e32 v[114:115], v[106:107], v[48:49]
	v_add_f64 v[120:121], v[112:113], v[114:115]
	ds_read_b128 v[112:115], v98 offset:848
	s_waitcnt lgkmcnt(1)
	v_mul_f64 v[122:123], v[108:109], v[42:43]
	v_fmac_f64_e32 v[122:123], v[110:111], v[44:45]
	v_add_f64 v[124:125], v[120:121], v[122:123]
	ds_read_b128 v[120:123], v98 offset:864
	s_waitcnt lgkmcnt(1)
	v_mul_f64 v[126:127], v[112:113], v[54:55]
	s_waitcnt vmcnt(60)
	v_fmac_f64_e32 v[126:127], v[114:115], v[56:57]
	v_add_f64 v[128:129], v[124:125], v[126:127]
	ds_read_b128 v[124:127], v98 offset:880
	s_waitcnt lgkmcnt(1)
	v_mul_f64 v[130:131], v[120:121], v[50:51]
	v_fmac_f64_e32 v[130:131], v[122:123], v[52:53]
	v_add_f64 v[132:133], v[128:129], v[130:131]
	ds_read_b128 v[128:131], v98 offset:896
	s_waitcnt vmcnt(54) lgkmcnt(1)
	v_mul_f64 v[134:135], v[124:125], v[62:63]
	s_waitcnt vmcnt(52)
	v_fmac_f64_e32 v[134:135], v[126:127], v[64:65]
	v_add_f64 v[136:137], v[132:133], v[134:135]
	ds_read_b128 v[132:135], v98 offset:912
	s_waitcnt lgkmcnt(1)
	v_mul_f64 v[138:139], v[128:129], v[58:59]
	v_fmac_f64_e32 v[138:139], v[130:131], v[60:61]
	v_add_f64 v[2:3], v[2:3], 0
	v_fma_f64 v[4:5], v[6:7], v[28:29], -v[4:5]
	v_add_f64 v[140:141], v[136:137], v[138:139]
	ds_read_b128 v[136:139], v98 offset:928
	v_add_f64 v[2:3], v[2:3], v[4:5]
	v_mul_f64 v[4:5], v[12:13], v[26:27]
	v_fma_f64 v[4:5], v[10:11], v[30:31], -v[4:5]
	v_add_f64 v[2:3], v[2:3], v[4:5]
	v_mul_f64 v[4:5], v[16:17], v[38:39]
	s_waitcnt vmcnt(46) lgkmcnt(1)
	v_mul_f64 v[142:143], v[132:133], v[70:71]
	v_fma_f64 v[4:5], v[14:15], v[40:41], -v[4:5]
	s_waitcnt vmcnt(44)
	v_fmac_f64_e32 v[142:143], v[134:135], v[72:73]
	v_add_f64 v[2:3], v[2:3], v[4:5]
	v_mul_f64 v[4:5], v[102:103], v[34:35]
	v_add_f64 v[144:145], v[140:141], v[142:143]
	ds_read_b128 v[140:143], v98 offset:944
	s_waitcnt lgkmcnt(1)
	v_mul_f64 v[146:147], v[136:137], v[66:67]
	v_fma_f64 v[4:5], v[100:101], v[36:37], -v[4:5]
	v_fmac_f64_e32 v[146:147], v[138:139], v[68:69]
	v_add_f64 v[2:3], v[2:3], v[4:5]
	v_mul_f64 v[4:5], v[106:107], v[46:47]
	v_add_f64 v[148:149], v[144:145], v[146:147]
	ds_read_b128 v[144:147], v98 offset:960
	v_fma_f64 v[4:5], v[104:105], v[48:49], -v[4:5]
	v_add_f64 v[2:3], v[2:3], v[4:5]
	v_mul_f64 v[4:5], v[110:111], v[42:43]
	v_fma_f64 v[4:5], v[108:109], v[44:45], -v[4:5]
	s_waitcnt vmcnt(38) lgkmcnt(1)
	v_mul_f64 v[150:151], v[140:141], v[78:79]
	v_add_f64 v[2:3], v[2:3], v[4:5]
	v_mul_f64 v[4:5], v[114:115], v[54:55]
	s_waitcnt vmcnt(36)
	v_fmac_f64_e32 v[150:151], v[142:143], v[80:81]
	v_fma_f64 v[4:5], v[112:113], v[56:57], -v[4:5]
	v_add_f64 v[152:153], v[148:149], v[150:151]
	ds_read_b128 v[148:151], v98 offset:976
	s_waitcnt lgkmcnt(1)
	v_mul_f64 v[154:155], v[144:145], v[74:75]
	v_add_f64 v[2:3], v[2:3], v[4:5]
	v_mul_f64 v[4:5], v[122:123], v[50:51]
	v_fmac_f64_e32 v[154:155], v[146:147], v[76:77]
	v_fma_f64 v[4:5], v[120:121], v[52:53], -v[4:5]
	v_add_f64 v[156:157], v[152:153], v[154:155]
	ds_read_b128 v[152:155], v98 offset:992
	v_add_f64 v[2:3], v[2:3], v[4:5]
	v_mul_f64 v[4:5], v[126:127], v[62:63]
	v_fma_f64 v[4:5], v[124:125], v[64:65], -v[4:5]
	v_add_f64 v[2:3], v[2:3], v[4:5]
	v_mul_f64 v[4:5], v[130:131], v[58:59]
	s_waitcnt vmcnt(30) lgkmcnt(1)
	v_mul_f64 v[158:159], v[148:149], v[86:87]
	v_fma_f64 v[4:5], v[128:129], v[60:61], -v[4:5]
	s_waitcnt vmcnt(28)
	v_fmac_f64_e32 v[158:159], v[150:151], v[88:89]
	v_add_f64 v[2:3], v[2:3], v[4:5]
	v_mul_f64 v[4:5], v[134:135], v[70:71]
	v_add_f64 v[160:161], v[156:157], v[158:159]
	ds_read_b128 v[156:159], v98 offset:1008
	s_waitcnt lgkmcnt(1)
	v_mul_f64 v[162:163], v[152:153], v[82:83]
	v_fma_f64 v[4:5], v[132:133], v[72:73], -v[4:5]
	v_fmac_f64_e32 v[162:163], v[154:155], v[84:85]
	v_add_f64 v[2:3], v[2:3], v[4:5]
	v_mul_f64 v[4:5], v[138:139], v[66:67]
	v_add_f64 v[164:165], v[160:161], v[162:163]
	ds_read_b128 v[160:163], v98 offset:1024
	v_fma_f64 v[4:5], v[136:137], v[68:69], -v[4:5]
	v_add_f64 v[2:3], v[2:3], v[4:5]
	v_mul_f64 v[4:5], v[142:143], v[78:79]
	v_fma_f64 v[4:5], v[140:141], v[80:81], -v[4:5]
	s_waitcnt vmcnt(22) lgkmcnt(1)
	v_mul_f64 v[166:167], v[156:157], v[94:95]
	v_add_f64 v[2:3], v[2:3], v[4:5]
	v_mul_f64 v[4:5], v[146:147], v[74:75]
	s_waitcnt vmcnt(20)
	v_fmac_f64_e32 v[166:167], v[158:159], v[96:97]
	v_fma_f64 v[4:5], v[144:145], v[76:77], -v[4:5]
	v_add_f64 v[168:169], v[164:165], v[166:167]
	ds_read_b128 v[164:167], v98 offset:1040
	s_waitcnt lgkmcnt(1)
	v_mul_f64 v[170:171], v[160:161], v[90:91]
	v_add_f64 v[2:3], v[2:3], v[4:5]
	v_mul_f64 v[4:5], v[150:151], v[86:87]
	v_fmac_f64_e32 v[170:171], v[162:163], v[92:93]
	v_fma_f64 v[4:5], v[148:149], v[88:89], -v[4:5]
	v_add_f64 v[172:173], v[168:169], v[170:171]
	ds_read_b128 v[168:171], v98 offset:1056
	v_add_f64 v[2:3], v[2:3], v[4:5]
	v_mul_f64 v[4:5], v[154:155], v[82:83]
	v_fma_f64 v[4:5], v[152:153], v[84:85], -v[4:5]
	v_add_f64 v[2:3], v[2:3], v[4:5]
	v_mul_f64 v[4:5], v[158:159], v[94:95]
	s_waitcnt vmcnt(14) lgkmcnt(1)
	v_mul_f64 v[174:175], v[164:165], v[194:195]
	v_fma_f64 v[4:5], v[156:157], v[96:97], -v[4:5]
	s_waitcnt vmcnt(12)
	v_fmac_f64_e32 v[174:175], v[166:167], v[196:197]
	v_add_f64 v[2:3], v[2:3], v[4:5]
	v_mul_f64 v[4:5], v[162:163], v[90:91]
	v_add_f64 v[176:177], v[172:173], v[174:175]
	ds_read_b128 v[172:175], v98 offset:1072
	s_waitcnt lgkmcnt(1)
	v_mul_f64 v[178:179], v[168:169], v[116:117]
	v_fma_f64 v[4:5], v[160:161], v[92:93], -v[4:5]
	v_fmac_f64_e32 v[178:179], v[170:171], v[192:193]
	v_add_f64 v[2:3], v[2:3], v[4:5]
	v_mul_f64 v[4:5], v[166:167], v[194:195]
	v_add_f64 v[210:211], v[176:177], v[178:179]
	ds_read_b128 v[176:179], v98 offset:1088
	v_fma_f64 v[4:5], v[164:165], v[196:197], -v[4:5]
	v_add_f64 v[2:3], v[2:3], v[4:5]
	v_mul_f64 v[4:5], v[170:171], v[116:117]
	ds_read_b128 v[188:191], v98 offset:1104
	v_fma_f64 v[4:5], v[168:169], v[192:193], -v[4:5]
	v_add_f64 v[2:3], v[2:3], v[4:5]
	s_waitcnt vmcnt(6) lgkmcnt(2)
	v_mul_f64 v[4:5], v[174:175], v[202:203]
	v_mul_f64 v[212:213], v[172:173], v[202:203]
	s_waitcnt vmcnt(4)
	v_fma_f64 v[4:5], v[172:173], v[204:205], -v[4:5]
	v_fmac_f64_e32 v[212:213], v[174:175], v[204:205]
	v_add_f64 v[2:3], v[2:3], v[4:5]
	s_waitcnt lgkmcnt(1)
	v_mul_f64 v[4:5], v[178:179], v[198:199]
	v_add_f64 v[98:99], v[210:211], v[212:213]
	v_mul_f64 v[210:211], v[176:177], v[198:199]
	v_fma_f64 v[4:5], v[176:177], v[200:201], -v[4:5]
	v_fmac_f64_e32 v[210:211], v[178:179], v[200:201]
	v_add_f64 v[2:3], v[2:3], v[4:5]
	s_waitcnt vmcnt(2) lgkmcnt(0)
	v_mul_f64 v[4:5], v[190:191], v[206:207]
	v_add_f64 v[98:99], v[98:99], v[210:211]
	v_mul_f64 v[210:211], v[188:189], v[206:207]
	s_waitcnt vmcnt(0)
	v_fma_f64 v[4:5], v[188:189], v[208:209], -v[4:5]
	v_fmac_f64_e32 v[210:211], v[190:191], v[208:209]
	v_add_f64 v[2:3], v[2:3], v[4:5]
	v_add_f64 v[98:99], v[98:99], v[210:211]
	v_add_f64 v[2:3], v[20:21], -v[2:3]
	v_add_f64 v[4:5], v[18:19], -v[98:99]
	buffer_store_dword v3, off, s[0:3], 0 offset:180
	buffer_store_dword v2, off, s[0:3], 0 offset:176
	;; [unrolled: 1-line block ×4, first 2 shown]
	s_and_saveexec_b64 s[4:5], vcc
	s_cbranch_execz .LBB34_205
; %bb.204:
	v_accvgpr_read_b32 v5, a89
	buffer_load_dword v2, v5, s[0:3], 0 offen
	buffer_load_dword v3, v5, s[0:3], 0 offen offset:4
	buffer_load_dword v4, v5, s[0:3], 0 offen offset:8
	s_nop 0
	buffer_load_dword v5, v5, s[0:3], 0 offen offset:12
	v_mov_b32_e32 v6, 0
	buffer_store_dword v6, off, s[0:3], 0 offset:160
	buffer_store_dword v6, off, s[0:3], 0 offset:164
	;; [unrolled: 1-line block ×4, first 2 shown]
	s_waitcnt vmcnt(4)
	ds_write_b128 v1, v[2:5]
.LBB34_205:
	s_or_b64 exec, exec, s[4:5]
	s_waitcnt lgkmcnt(0)
	; wave barrier
	s_waitcnt lgkmcnt(0)
	buffer_load_dword v22, off, s[0:3], 0 offset:176
	buffer_load_dword v23, off, s[0:3], 0 offset:180
	;; [unrolled: 1-line block ×64, first 2 shown]
	v_mov_b32_e32 v114, 0
	ds_read_b128 v[18:21], v114 offset:720
	ds_read_b128 v[14:17], v114 offset:736
	;; [unrolled: 1-line block ×5, first 2 shown]
	v_cmp_lt_u32_e32 vcc, 8, v0
	s_waitcnt vmcnt(60) lgkmcnt(4)
	v_mul_f64 v[86:87], v[18:19], v[26:27]
	v_fmac_f64_e32 v[86:87], v[20:21], v[22:23]
	v_add_f64 v[86:87], v[86:87], 0
	v_mul_f64 v[20:21], v[20:21], v[26:27]
	s_waitcnt vmcnt(56) lgkmcnt(3)
	v_mul_f64 v[88:89], v[14:15], v[28:29]
	v_fmac_f64_e32 v[88:89], v[16:17], v[24:25]
	s_waitcnt vmcnt(54) lgkmcnt(2)
	v_mul_f64 v[90:91], v[10:11], v[30:31]
	v_add_f64 v[86:87], v[86:87], v[88:89]
	v_fma_f64 v[18:19], v[18:19], v[22:23], -v[20:21]
	v_mul_f64 v[16:17], v[16:17], v[28:29]
	s_waitcnt vmcnt(50) lgkmcnt(1)
	v_mul_f64 v[102:103], v[6:7], v[40:41]
	v_add_f64 v[18:19], v[18:19], 0
	s_waitcnt vmcnt(48)
	v_fmac_f64_e32 v[90:91], v[12:13], v[44:45]
	v_add_f64 v[104:105], v[86:87], v[90:91]
	buffer_load_dword v87, off, s[0:3], 0 offset:444
	buffer_load_dword v86, off, s[0:3], 0 offset:440
	;; [unrolled: 1-line block ×40, first 2 shown]
	s_waitcnt vmcnt(62)
	v_fmac_f64_e32 v[102:103], v[8:9], v[42:43]
	v_add_f64 v[106:107], v[104:105], v[102:103]
	ds_read_b128 v[102:105], v114 offset:800
	s_waitcnt lgkmcnt(1)
	v_mul_f64 v[108:109], v[2:3], v[36:37]
	v_fmac_f64_e32 v[108:109], v[4:5], v[38:39]
	v_add_f64 v[110:111], v[106:107], v[108:109]
	ds_read_b128 v[106:109], v114 offset:816
	s_waitcnt lgkmcnt(1)
	v_mul_f64 v[112:113], v[102:103], v[50:51]
	;; [unrolled: 5-line block ×5, first 2 shown]
	v_fmac_f64_e32 v[130:131], v[122:123], v[56:57]
	v_add_f64 v[132:133], v[128:129], v[130:131]
	ds_read_b128 v[128:131], v114 offset:880
	s_waitcnt vmcnt(58) lgkmcnt(1)
	v_mul_f64 v[134:135], v[124:125], v[66:67]
	s_waitcnt vmcnt(56)
	v_fmac_f64_e32 v[134:135], v[126:127], v[68:69]
	v_add_f64 v[136:137], v[132:133], v[134:135]
	ds_read_b128 v[132:135], v114 offset:896
	s_waitcnt lgkmcnt(1)
	v_mul_f64 v[138:139], v[128:129], v[62:63]
	v_fmac_f64_e32 v[138:139], v[130:131], v[64:65]
	v_add_f64 v[140:141], v[136:137], v[138:139]
	ds_read_b128 v[136:139], v114 offset:912
	s_waitcnt vmcnt(50) lgkmcnt(1)
	v_mul_f64 v[142:143], v[132:133], v[74:75]
	s_waitcnt vmcnt(48)
	v_fmac_f64_e32 v[142:143], v[134:135], v[76:77]
	v_add_f64 v[144:145], v[140:141], v[142:143]
	ds_read_b128 v[140:143], v114 offset:928
	v_fma_f64 v[14:15], v[14:15], v[24:25], -v[16:17]
	v_mul_f64 v[12:13], v[12:13], v[30:31]
	v_add_f64 v[14:15], v[18:19], v[14:15]
	v_fma_f64 v[10:11], v[10:11], v[44:45], -v[12:13]
	v_mul_f64 v[8:9], v[8:9], v[40:41]
	s_waitcnt lgkmcnt(1)
	v_mul_f64 v[146:147], v[136:137], v[70:71]
	v_add_f64 v[10:11], v[14:15], v[10:11]
	v_fma_f64 v[6:7], v[6:7], v[42:43], -v[8:9]
	v_mul_f64 v[4:5], v[4:5], v[36:37]
	v_fmac_f64_e32 v[146:147], v[138:139], v[72:73]
	v_add_f64 v[6:7], v[10:11], v[6:7]
	v_fma_f64 v[2:3], v[2:3], v[38:39], -v[4:5]
	v_mul_f64 v[4:5], v[104:105], v[50:51]
	v_add_f64 v[148:149], v[144:145], v[146:147]
	ds_read_b128 v[144:147], v114 offset:944
	s_waitcnt vmcnt(42) lgkmcnt(1)
	v_mul_f64 v[150:151], v[140:141], v[82:83]
	v_add_f64 v[2:3], v[6:7], v[2:3]
	v_fma_f64 v[4:5], v[102:103], v[52:53], -v[4:5]
	s_waitcnt vmcnt(40)
	v_fmac_f64_e32 v[150:151], v[142:143], v[84:85]
	v_add_f64 v[2:3], v[2:3], v[4:5]
	v_mul_f64 v[4:5], v[108:109], v[46:47]
	v_add_f64 v[152:153], v[148:149], v[150:151]
	ds_read_b128 v[148:151], v114 offset:960
	v_fma_f64 v[4:5], v[106:107], v[48:49], -v[4:5]
	v_add_f64 v[2:3], v[2:3], v[4:5]
	v_mul_f64 v[4:5], v[112:113], v[58:59]
	v_fma_f64 v[4:5], v[110:111], v[60:61], -v[4:5]
	s_waitcnt lgkmcnt(1)
	v_mul_f64 v[154:155], v[144:145], v[78:79]
	v_add_f64 v[2:3], v[2:3], v[4:5]
	v_mul_f64 v[4:5], v[122:123], v[54:55]
	v_fmac_f64_e32 v[154:155], v[146:147], v[80:81]
	v_fma_f64 v[4:5], v[120:121], v[56:57], -v[4:5]
	v_add_f64 v[156:157], v[152:153], v[154:155]
	ds_read_b128 v[152:155], v114 offset:976
	s_waitcnt vmcnt(34) lgkmcnt(1)
	v_mul_f64 v[158:159], v[148:149], v[90:91]
	v_add_f64 v[2:3], v[2:3], v[4:5]
	v_mul_f64 v[4:5], v[126:127], v[66:67]
	s_waitcnt vmcnt(32)
	v_fmac_f64_e32 v[158:159], v[150:151], v[92:93]
	v_fma_f64 v[4:5], v[124:125], v[68:69], -v[4:5]
	v_add_f64 v[160:161], v[156:157], v[158:159]
	ds_read_b128 v[156:159], v114 offset:992
	v_add_f64 v[2:3], v[2:3], v[4:5]
	v_mul_f64 v[4:5], v[130:131], v[62:63]
	v_fma_f64 v[4:5], v[128:129], v[64:65], -v[4:5]
	v_add_f64 v[2:3], v[2:3], v[4:5]
	v_mul_f64 v[4:5], v[134:135], v[74:75]
	s_waitcnt lgkmcnt(1)
	v_mul_f64 v[162:163], v[152:153], v[86:87]
	v_fma_f64 v[4:5], v[132:133], v[76:77], -v[4:5]
	v_fmac_f64_e32 v[162:163], v[154:155], v[88:89]
	v_add_f64 v[2:3], v[2:3], v[4:5]
	v_mul_f64 v[4:5], v[138:139], v[70:71]
	v_add_f64 v[164:165], v[160:161], v[162:163]
	ds_read_b128 v[160:163], v114 offset:1008
	s_waitcnt vmcnt(26) lgkmcnt(1)
	v_mul_f64 v[166:167], v[156:157], v[98:99]
	v_fma_f64 v[4:5], v[136:137], v[72:73], -v[4:5]
	s_waitcnt vmcnt(24)
	v_fmac_f64_e32 v[166:167], v[158:159], v[100:101]
	v_add_f64 v[2:3], v[2:3], v[4:5]
	v_mul_f64 v[4:5], v[142:143], v[82:83]
	v_add_f64 v[168:169], v[164:165], v[166:167]
	ds_read_b128 v[164:167], v114 offset:1024
	v_fma_f64 v[4:5], v[140:141], v[84:85], -v[4:5]
	v_add_f64 v[2:3], v[2:3], v[4:5]
	v_mul_f64 v[4:5], v[146:147], v[78:79]
	v_fma_f64 v[4:5], v[144:145], v[80:81], -v[4:5]
	s_waitcnt lgkmcnt(1)
	v_mul_f64 v[170:171], v[160:161], v[94:95]
	v_add_f64 v[2:3], v[2:3], v[4:5]
	v_mul_f64 v[4:5], v[150:151], v[90:91]
	v_fmac_f64_e32 v[170:171], v[162:163], v[96:97]
	v_fma_f64 v[4:5], v[148:149], v[92:93], -v[4:5]
	v_add_f64 v[172:173], v[168:169], v[170:171]
	ds_read_b128 v[168:171], v114 offset:1040
	s_waitcnt vmcnt(18) lgkmcnt(1)
	v_mul_f64 v[174:175], v[164:165], v[198:199]
	v_add_f64 v[2:3], v[2:3], v[4:5]
	v_mul_f64 v[4:5], v[154:155], v[86:87]
	s_waitcnt vmcnt(16)
	v_fmac_f64_e32 v[174:175], v[166:167], v[200:201]
	v_fma_f64 v[4:5], v[152:153], v[88:89], -v[4:5]
	v_add_f64 v[176:177], v[172:173], v[174:175]
	ds_read_b128 v[172:175], v114 offset:1056
	v_add_f64 v[2:3], v[2:3], v[4:5]
	v_mul_f64 v[4:5], v[158:159], v[98:99]
	v_fma_f64 v[4:5], v[156:157], v[100:101], -v[4:5]
	v_add_f64 v[2:3], v[2:3], v[4:5]
	v_mul_f64 v[4:5], v[162:163], v[94:95]
	s_waitcnt lgkmcnt(1)
	v_mul_f64 v[178:179], v[168:169], v[116:117]
	v_fma_f64 v[4:5], v[160:161], v[96:97], -v[4:5]
	v_fmac_f64_e32 v[178:179], v[170:171], v[196:197]
	v_add_f64 v[2:3], v[2:3], v[4:5]
	v_mul_f64 v[4:5], v[166:167], v[198:199]
	v_add_f64 v[188:189], v[176:177], v[178:179]
	ds_read_b128 v[176:179], v114 offset:1072
	s_waitcnt vmcnt(10) lgkmcnt(1)
	v_mul_f64 v[190:191], v[172:173], v[206:207]
	v_fma_f64 v[4:5], v[164:165], v[200:201], -v[4:5]
	s_waitcnt vmcnt(8)
	v_fmac_f64_e32 v[190:191], v[174:175], v[208:209]
	v_add_f64 v[2:3], v[2:3], v[4:5]
	v_mul_f64 v[4:5], v[170:171], v[116:117]
	v_add_f64 v[218:219], v[188:189], v[190:191]
	ds_read_b128 v[188:191], v114 offset:1088
	ds_read_b128 v[192:195], v114 offset:1104
	v_fma_f64 v[4:5], v[168:169], v[196:197], -v[4:5]
	v_add_f64 v[2:3], v[2:3], v[4:5]
	v_mul_f64 v[4:5], v[174:175], v[206:207]
	v_fma_f64 v[4:5], v[172:173], v[208:209], -v[4:5]
	v_add_f64 v[2:3], v[2:3], v[4:5]
	s_waitcnt lgkmcnt(2)
	v_mul_f64 v[4:5], v[178:179], v[202:203]
	v_mul_f64 v[220:221], v[176:177], v[202:203]
	v_fma_f64 v[4:5], v[176:177], v[204:205], -v[4:5]
	v_fmac_f64_e32 v[220:221], v[178:179], v[204:205]
	v_add_f64 v[2:3], v[2:3], v[4:5]
	s_waitcnt vmcnt(2) lgkmcnt(1)
	v_mul_f64 v[4:5], v[190:191], v[214:215]
	v_add_f64 v[218:219], v[218:219], v[220:221]
	v_mul_f64 v[220:221], v[188:189], v[214:215]
	s_waitcnt vmcnt(0)
	v_fma_f64 v[4:5], v[188:189], v[216:217], -v[4:5]
	v_fmac_f64_e32 v[220:221], v[190:191], v[216:217]
	v_add_f64 v[2:3], v[2:3], v[4:5]
	s_waitcnt lgkmcnt(0)
	v_mul_f64 v[4:5], v[194:195], v[210:211]
	v_add_f64 v[218:219], v[218:219], v[220:221]
	v_mul_f64 v[220:221], v[192:193], v[210:211]
	v_fma_f64 v[4:5], v[192:193], v[212:213], -v[4:5]
	v_fmac_f64_e32 v[220:221], v[194:195], v[212:213]
	v_add_f64 v[2:3], v[2:3], v[4:5]
	v_add_f64 v[218:219], v[218:219], v[220:221]
	v_add_f64 v[2:3], v[34:35], -v[2:3]
	v_add_f64 v[4:5], v[32:33], -v[218:219]
	buffer_store_dword v3, off, s[0:3], 0 offset:164
	buffer_store_dword v2, off, s[0:3], 0 offset:160
	;; [unrolled: 1-line block ×4, first 2 shown]
	s_and_saveexec_b64 s[4:5], vcc
	s_cbranch_execz .LBB34_207
; %bb.206:
	v_accvgpr_read_b32 v5, a90
	buffer_load_dword v2, v5, s[0:3], 0 offen
	buffer_load_dword v3, v5, s[0:3], 0 offen offset:4
	buffer_load_dword v4, v5, s[0:3], 0 offen offset:8
	s_nop 0
	buffer_load_dword v5, v5, s[0:3], 0 offen offset:12
	s_nop 0
	buffer_store_dword v114, off, s[0:3], 0 offset:144
	buffer_store_dword v114, off, s[0:3], 0 offset:148
	;; [unrolled: 1-line block ×4, first 2 shown]
	s_waitcnt vmcnt(4)
	ds_write_b128 v1, v[2:5]
.LBB34_207:
	s_or_b64 exec, exec, s[4:5]
	s_waitcnt lgkmcnt(0)
	; wave barrier
	s_waitcnt lgkmcnt(0)
	buffer_load_dword v26, off, s[0:3], 0 offset:160
	buffer_load_dword v27, off, s[0:3], 0 offset:164
	;; [unrolled: 1-line block ×24, first 2 shown]
	ds_read_b128 v[22:25], v114 offset:704
	ds_read_b128 v[18:21], v114 offset:720
	;; [unrolled: 1-line block ×6, first 2 shown]
	buffer_load_dword v51, off, s[0:3], 0 offset:268
	buffer_load_dword v50, off, s[0:3], 0 offset:264
	;; [unrolled: 1-line block ×40, first 2 shown]
	v_cmp_lt_u32_e32 vcc, 7, v0
	s_waitcnt vmcnt(34) lgkmcnt(0)
	v_mul_f64 v[124:125], v[14:15], v[54:55]
	s_waitcnt vmcnt(32)
	v_fmac_f64_e32 v[124:125], v[16:17], v[56:57]
	v_mul_f64 v[90:91], v[22:23], v[28:29]
	v_fmac_f64_e32 v[90:91], v[24:25], v[26:27]
	v_mul_f64 v[92:93], v[18:19], v[30:31]
	v_add_f64 v[90:91], v[90:91], 0
	v_mul_f64 v[94:95], v[10:11], v[32:33]
	v_mul_f64 v[24:25], v[24:25], v[28:29]
	;; [unrolled: 1-line block ×3, first 2 shown]
	v_fma_f64 v[22:23], v[22:23], v[26:27], -v[24:25]
	v_add_f64 v[22:23], v[22:23], 0
	v_mul_f64 v[96:97], v[6:7], v[42:43]
	v_fmac_f64_e32 v[92:93], v[20:21], v[48:49]
	v_add_f64 v[90:91], v[90:91], v[92:93]
	v_fmac_f64_e32 v[94:95], v[12:13], v[46:47]
	v_add_f64 v[90:91], v[90:91], v[94:95]
	;; [unrolled: 2-line block ×3, first 2 shown]
	buffer_load_dword v91, off, s[0:3], 0 offset:428
	buffer_load_dword v90, off, s[0:3], 0 offset:424
	;; [unrolled: 1-line block ×40, first 2 shown]
	v_fmac_f64_e32 v[116:117], v[4:5], v[40:41]
	v_add_f64 v[116:117], v[120:121], v[116:117]
	ds_read_b128 v[120:123], v114 offset:800
	buffer_load_dword v221, off, s[0:3], 0 offset:572
	buffer_load_dword v220, off, s[0:3], 0 offset:568
	;; [unrolled: 1-line block ×4, first 2 shown]
	v_add_f64 v[116:117], v[116:117], v[124:125]
	ds_read_b128 v[124:127], v114 offset:816
	v_mul_f64 v[20:21], v[20:21], v[30:31]
	s_waitcnt lgkmcnt(1)
	v_mul_f64 v[128:129], v[120:121], v[50:51]
	v_fmac_f64_e32 v[128:129], v[122:123], v[52:53]
	v_add_f64 v[116:117], v[116:117], v[128:129]
	ds_read_b128 v[128:131], v114 offset:832
	s_waitcnt vmcnt(62) lgkmcnt(1)
	v_mul_f64 v[132:133], v[124:125], v[62:63]
	v_fmac_f64_e32 v[132:133], v[126:127], v[64:65]
	v_add_f64 v[116:117], v[116:117], v[132:133]
	ds_read_b128 v[132:135], v114 offset:848
	s_waitcnt lgkmcnt(1)
	v_mul_f64 v[136:137], v[128:129], v[58:59]
	v_fmac_f64_e32 v[136:137], v[130:131], v[60:61]
	v_add_f64 v[116:117], v[116:117], v[136:137]
	ds_read_b128 v[136:139], v114 offset:864
	s_waitcnt lgkmcnt(1)
	v_mul_f64 v[140:141], v[132:133], v[70:71]
	s_waitcnt vmcnt(60)
	v_fmac_f64_e32 v[140:141], v[134:135], v[72:73]
	v_add_f64 v[116:117], v[116:117], v[140:141]
	ds_read_b128 v[140:143], v114 offset:880
	s_waitcnt lgkmcnt(1)
	v_mul_f64 v[144:145], v[136:137], v[66:67]
	v_fmac_f64_e32 v[144:145], v[138:139], v[68:69]
	v_add_f64 v[116:117], v[116:117], v[144:145]
	ds_read_b128 v[144:147], v114 offset:896
	s_waitcnt vmcnt(54) lgkmcnt(1)
	v_mul_f64 v[148:149], v[140:141], v[78:79]
	s_waitcnt vmcnt(52)
	v_fmac_f64_e32 v[148:149], v[142:143], v[80:81]
	v_add_f64 v[116:117], v[116:117], v[148:149]
	ds_read_b128 v[148:151], v114 offset:912
	s_waitcnt lgkmcnt(1)
	v_mul_f64 v[152:153], v[144:145], v[74:75]
	v_fmac_f64_e32 v[152:153], v[146:147], v[76:77]
	v_fma_f64 v[18:19], v[18:19], v[48:49], -v[20:21]
	v_mul_f64 v[12:13], v[12:13], v[32:33]
	v_add_f64 v[116:117], v[116:117], v[152:153]
	ds_read_b128 v[152:155], v114 offset:928
	v_add_f64 v[18:19], v[22:23], v[18:19]
	v_fma_f64 v[10:11], v[10:11], v[46:47], -v[12:13]
	v_mul_f64 v[8:9], v[8:9], v[42:43]
	v_add_f64 v[10:11], v[18:19], v[10:11]
	v_fma_f64 v[6:7], v[6:7], v[44:45], -v[8:9]
	v_mul_f64 v[4:5], v[4:5], v[38:39]
	;; [unrolled: 3-line block ×3, first 2 shown]
	s_waitcnt vmcnt(46) lgkmcnt(1)
	v_mul_f64 v[156:157], v[148:149], v[86:87]
	v_add_f64 v[2:3], v[6:7], v[2:3]
	v_fma_f64 v[4:5], v[14:15], v[56:57], -v[4:5]
	s_waitcnt vmcnt(44)
	v_fmac_f64_e32 v[156:157], v[150:151], v[88:89]
	v_add_f64 v[2:3], v[2:3], v[4:5]
	v_mul_f64 v[4:5], v[122:123], v[50:51]
	v_add_f64 v[116:117], v[116:117], v[156:157]
	ds_read_b128 v[156:159], v114 offset:944
	s_waitcnt lgkmcnt(1)
	v_mul_f64 v[160:161], v[152:153], v[82:83]
	v_fma_f64 v[4:5], v[120:121], v[52:53], -v[4:5]
	v_fmac_f64_e32 v[160:161], v[154:155], v[84:85]
	v_add_f64 v[2:3], v[2:3], v[4:5]
	v_mul_f64 v[4:5], v[126:127], v[62:63]
	v_add_f64 v[116:117], v[116:117], v[160:161]
	ds_read_b128 v[160:163], v114 offset:960
	v_fma_f64 v[4:5], v[124:125], v[64:65], -v[4:5]
	v_add_f64 v[2:3], v[2:3], v[4:5]
	v_mul_f64 v[4:5], v[130:131], v[58:59]
	v_fma_f64 v[4:5], v[128:129], v[60:61], -v[4:5]
	s_waitcnt vmcnt(38) lgkmcnt(1)
	v_mul_f64 v[164:165], v[156:157], v[94:95]
	v_add_f64 v[2:3], v[2:3], v[4:5]
	v_mul_f64 v[4:5], v[134:135], v[70:71]
	s_waitcnt vmcnt(36)
	v_fmac_f64_e32 v[164:165], v[158:159], v[96:97]
	v_fma_f64 v[4:5], v[132:133], v[72:73], -v[4:5]
	v_add_f64 v[116:117], v[116:117], v[164:165]
	ds_read_b128 v[164:167], v114 offset:976
	s_waitcnt lgkmcnt(1)
	v_mul_f64 v[168:169], v[160:161], v[90:91]
	v_add_f64 v[2:3], v[2:3], v[4:5]
	v_mul_f64 v[4:5], v[138:139], v[66:67]
	v_fmac_f64_e32 v[168:169], v[162:163], v[92:93]
	v_fma_f64 v[4:5], v[136:137], v[68:69], -v[4:5]
	v_add_f64 v[116:117], v[116:117], v[168:169]
	ds_read_b128 v[168:171], v114 offset:992
	v_add_f64 v[2:3], v[2:3], v[4:5]
	v_mul_f64 v[4:5], v[142:143], v[78:79]
	v_fma_f64 v[4:5], v[140:141], v[80:81], -v[4:5]
	v_add_f64 v[2:3], v[2:3], v[4:5]
	v_mul_f64 v[4:5], v[146:147], v[74:75]
	s_waitcnt vmcnt(30) lgkmcnt(1)
	v_mul_f64 v[172:173], v[164:165], v[102:103]
	v_fma_f64 v[4:5], v[144:145], v[76:77], -v[4:5]
	s_waitcnt vmcnt(28)
	v_fmac_f64_e32 v[172:173], v[166:167], v[104:105]
	v_add_f64 v[2:3], v[2:3], v[4:5]
	v_mul_f64 v[4:5], v[150:151], v[86:87]
	v_add_f64 v[116:117], v[116:117], v[172:173]
	ds_read_b128 v[172:175], v114 offset:1008
	s_waitcnt lgkmcnt(1)
	v_mul_f64 v[176:177], v[168:169], v[98:99]
	v_fma_f64 v[4:5], v[148:149], v[88:89], -v[4:5]
	v_fmac_f64_e32 v[176:177], v[170:171], v[100:101]
	v_add_f64 v[2:3], v[2:3], v[4:5]
	v_mul_f64 v[4:5], v[154:155], v[82:83]
	v_add_f64 v[116:117], v[116:117], v[176:177]
	ds_read_b128 v[176:179], v114 offset:1024
	v_fma_f64 v[4:5], v[152:153], v[84:85], -v[4:5]
	v_add_f64 v[2:3], v[2:3], v[4:5]
	v_mul_f64 v[4:5], v[158:159], v[94:95]
	v_fma_f64 v[4:5], v[156:157], v[96:97], -v[4:5]
	s_waitcnt vmcnt(22) lgkmcnt(1)
	v_mul_f64 v[188:189], v[172:173], v[110:111]
	v_add_f64 v[2:3], v[2:3], v[4:5]
	v_mul_f64 v[4:5], v[162:163], v[90:91]
	s_waitcnt vmcnt(20)
	v_fmac_f64_e32 v[188:189], v[174:175], v[112:113]
	v_fma_f64 v[4:5], v[160:161], v[92:93], -v[4:5]
	v_add_f64 v[116:117], v[116:117], v[188:189]
	ds_read_b128 v[188:191], v114 offset:1040
	s_waitcnt lgkmcnt(1)
	v_mul_f64 v[192:193], v[176:177], v[106:107]
	v_add_f64 v[2:3], v[2:3], v[4:5]
	v_mul_f64 v[4:5], v[166:167], v[102:103]
	v_fmac_f64_e32 v[192:193], v[178:179], v[108:109]
	v_fma_f64 v[4:5], v[164:165], v[104:105], -v[4:5]
	v_add_f64 v[116:117], v[116:117], v[192:193]
	ds_read_b128 v[192:195], v114 offset:1056
	v_add_f64 v[2:3], v[2:3], v[4:5]
	v_mul_f64 v[4:5], v[170:171], v[98:99]
	v_fma_f64 v[4:5], v[168:169], v[100:101], -v[4:5]
	v_add_f64 v[2:3], v[2:3], v[4:5]
	v_mul_f64 v[4:5], v[174:175], v[110:111]
	s_waitcnt vmcnt(14) lgkmcnt(1)
	v_mul_f64 v[196:197], v[188:189], v[208:209]
	v_fma_f64 v[4:5], v[172:173], v[112:113], -v[4:5]
	s_waitcnt vmcnt(12)
	v_fmac_f64_e32 v[196:197], v[190:191], v[210:211]
	v_add_f64 v[2:3], v[2:3], v[4:5]
	v_mul_f64 v[4:5], v[178:179], v[106:107]
	v_add_f64 v[116:117], v[116:117], v[196:197]
	ds_read_b128 v[196:199], v114 offset:1072
	s_waitcnt lgkmcnt(1)
	v_mul_f64 v[200:201], v[192:193], v[204:205]
	v_fma_f64 v[4:5], v[176:177], v[108:109], -v[4:5]
	v_fmac_f64_e32 v[200:201], v[194:195], v[206:207]
	v_add_f64 v[2:3], v[2:3], v[4:5]
	v_mul_f64 v[4:5], v[190:191], v[208:209]
	v_add_f64 v[224:225], v[116:117], v[200:201]
	ds_read_b128 v[200:203], v114 offset:1088
	v_fma_f64 v[4:5], v[188:189], v[210:211], -v[4:5]
	v_add_f64 v[2:3], v[2:3], v[4:5]
	v_mul_f64 v[4:5], v[194:195], v[204:205]
	ds_read_b128 v[114:117], v114 offset:1104
	v_fma_f64 v[4:5], v[192:193], v[206:207], -v[4:5]
	v_add_f64 v[2:3], v[2:3], v[4:5]
	s_waitcnt vmcnt(6) lgkmcnt(2)
	v_mul_f64 v[4:5], v[198:199], v[216:217]
	v_mul_f64 v[226:227], v[196:197], v[216:217]
	s_waitcnt vmcnt(4)
	v_fma_f64 v[4:5], v[196:197], v[218:219], -v[4:5]
	v_fmac_f64_e32 v[226:227], v[198:199], v[218:219]
	v_add_f64 v[2:3], v[2:3], v[4:5]
	s_waitcnt lgkmcnt(1)
	v_mul_f64 v[4:5], v[202:203], v[212:213]
	v_add_f64 v[224:225], v[224:225], v[226:227]
	v_mul_f64 v[226:227], v[200:201], v[212:213]
	v_fma_f64 v[4:5], v[200:201], v[214:215], -v[4:5]
	v_fmac_f64_e32 v[226:227], v[202:203], v[214:215]
	v_add_f64 v[2:3], v[2:3], v[4:5]
	s_waitcnt vmcnt(2) lgkmcnt(0)
	v_mul_f64 v[4:5], v[116:117], v[220:221]
	v_add_f64 v[224:225], v[224:225], v[226:227]
	v_mul_f64 v[226:227], v[114:115], v[220:221]
	s_waitcnt vmcnt(0)
	v_fma_f64 v[4:5], v[114:115], v[222:223], -v[4:5]
	v_fmac_f64_e32 v[226:227], v[116:117], v[222:223]
	v_add_f64 v[2:3], v[2:3], v[4:5]
	v_add_f64 v[224:225], v[224:225], v[226:227]
	v_add_f64 v[2:3], v[36:37], -v[2:3]
	v_add_f64 v[4:5], v[34:35], -v[224:225]
	buffer_store_dword v3, off, s[0:3], 0 offset:148
	buffer_store_dword v2, off, s[0:3], 0 offset:144
	;; [unrolled: 1-line block ×4, first 2 shown]
	s_and_saveexec_b64 s[4:5], vcc
	s_cbranch_execz .LBB34_209
; %bb.208:
	v_accvgpr_read_b32 v5, a91
	buffer_load_dword v2, v5, s[0:3], 0 offen
	buffer_load_dword v3, v5, s[0:3], 0 offen offset:4
	buffer_load_dword v4, v5, s[0:3], 0 offen offset:8
	s_nop 0
	buffer_load_dword v5, v5, s[0:3], 0 offen offset:12
	v_mov_b32_e32 v6, 0
	buffer_store_dword v6, off, s[0:3], 0 offset:128
	buffer_store_dword v6, off, s[0:3], 0 offset:132
	;; [unrolled: 1-line block ×4, first 2 shown]
	s_waitcnt vmcnt(4)
	ds_write_b128 v1, v[2:5]
.LBB34_209:
	s_or_b64 exec, exec, s[4:5]
	s_waitcnt lgkmcnt(0)
	; wave barrier
	s_waitcnt lgkmcnt(0)
	buffer_load_dword v30, off, s[0:3], 0 offset:144
	buffer_load_dword v31, off, s[0:3], 0 offset:148
	;; [unrolled: 1-line block ×56, first 2 shown]
	v_mov_b32_e32 v136, 0
	ds_read_b128 v[26:29], v136 offset:688
	ds_read_b128 v[22:25], v136 offset:704
	;; [unrolled: 1-line block ×7, first 2 shown]
	v_cmp_lt_u32_e32 vcc, 6, v0
	s_waitcnt vmcnt(52) lgkmcnt(6)
	v_mul_f64 v[86:87], v[26:27], v[34:35]
	v_fmac_f64_e32 v[86:87], v[28:29], v[30:31]
	v_add_f64 v[86:87], v[86:87], 0
	v_mul_f64 v[28:29], v[28:29], v[34:35]
	s_waitcnt vmcnt(48) lgkmcnt(5)
	v_mul_f64 v[88:89], v[22:23], v[36:37]
	v_fmac_f64_e32 v[88:89], v[24:25], v[32:33]
	s_waitcnt vmcnt(46) lgkmcnt(4)
	v_mul_f64 v[90:91], v[18:19], v[38:39]
	v_add_f64 v[86:87], v[86:87], v[88:89]
	s_waitcnt vmcnt(44) lgkmcnt(2)
	v_mul_f64 v[94:95], v[10:11], v[40:41]
	v_fma_f64 v[26:27], v[26:27], v[30:31], -v[28:29]
	s_waitcnt vmcnt(42)
	v_fmac_f64_e32 v[94:95], v[12:13], v[42:43]
	v_mul_f64 v[24:25], v[24:25], v[36:37]
	s_waitcnt vmcnt(40)
	v_mul_f64 v[92:93], v[14:15], v[48:49]
	v_add_f64 v[26:27], v[26:27], 0
	v_fma_f64 v[22:23], v[22:23], v[32:33], -v[24:25]
	v_add_f64 v[22:23], v[26:27], v[22:23]
	s_waitcnt vmcnt(36) lgkmcnt(1)
	v_mul_f64 v[110:111], v[6:7], v[54:55]
	v_mul_f64 v[12:13], v[12:13], v[40:41]
	s_waitcnt vmcnt(34)
	v_fmac_f64_e32 v[90:91], v[20:21], v[60:61]
	v_add_f64 v[86:87], v[86:87], v[90:91]
	s_waitcnt vmcnt(32)
	v_fmac_f64_e32 v[92:93], v[16:17], v[58:59]
	v_add_f64 v[86:87], v[86:87], v[92:93]
	v_add_f64 v[116:117], v[86:87], v[94:95]
	buffer_load_dword v87, off, s[0:3], 0 offset:380
	buffer_load_dword v86, off, s[0:3], 0 offset:376
	;; [unrolled: 1-line block ×56, first 2 shown]
	ds_read_b128 v[126:129], v136 offset:800
	ds_read_b128 v[130:133], v136 offset:816
	v_mul_f64 v[20:21], v[20:21], v[38:39]
	v_fma_f64 v[18:19], v[18:19], v[60:61], -v[20:21]
	v_mul_f64 v[16:17], v[16:17], v[48:49]
	s_waitcnt vmcnt(62)
	v_fmac_f64_e32 v[110:111], v[8:9], v[56:57]
	v_add_f64 v[18:19], v[22:23], v[18:19]
	v_fma_f64 v[14:15], v[14:15], v[58:59], -v[16:17]
	v_add_f64 v[110:111], v[116:117], v[110:111]
	s_waitcnt lgkmcnt(2)
	v_mul_f64 v[116:117], v[2:3], v[50:51]
	v_add_f64 v[14:15], v[18:19], v[14:15]
	v_fma_f64 v[10:11], v[10:11], v[42:43], -v[12:13]
	v_mul_f64 v[8:9], v[8:9], v[54:55]
	v_fmac_f64_e32 v[116:117], v[4:5], v[52:53]
	ds_read_b128 v[138:141], v136 offset:832
	ds_read_b128 v[142:145], v136 offset:848
	v_add_f64 v[10:11], v[14:15], v[10:11]
	v_fma_f64 v[6:7], v[6:7], v[56:57], -v[8:9]
	v_mul_f64 v[4:5], v[4:5], v[50:51]
	v_add_f64 v[6:7], v[10:11], v[6:7]
	v_fma_f64 v[2:3], v[2:3], v[52:53], -v[4:5]
	s_waitcnt lgkmcnt(3)
	v_mul_f64 v[4:5], v[128:129], v[66:67]
	v_add_f64 v[110:111], v[110:111], v[116:117]
	v_mul_f64 v[116:117], v[126:127], v[66:67]
	v_add_f64 v[2:3], v[6:7], v[2:3]
	v_fma_f64 v[4:5], v[126:127], v[68:69], -v[4:5]
	v_fmac_f64_e32 v[116:117], v[128:129], v[68:69]
	v_add_f64 v[2:3], v[2:3], v[4:5]
	s_waitcnt lgkmcnt(2)
	v_mul_f64 v[4:5], v[132:133], v[62:63]
	v_add_f64 v[110:111], v[110:111], v[116:117]
	v_mul_f64 v[116:117], v[130:131], v[62:63]
	ds_read_b128 v[146:149], v136 offset:864
	ds_read_b128 v[150:153], v136 offset:880
	v_fma_f64 v[4:5], v[130:131], v[64:65], -v[4:5]
	v_fmac_f64_e32 v[116:117], v[132:133], v[64:65]
	v_add_f64 v[2:3], v[2:3], v[4:5]
	s_waitcnt lgkmcnt(3)
	v_mul_f64 v[4:5], v[140:141], v[74:75]
	v_add_f64 v[110:111], v[110:111], v[116:117]
	v_mul_f64 v[116:117], v[138:139], v[74:75]
	v_fma_f64 v[4:5], v[138:139], v[76:77], -v[4:5]
	v_fmac_f64_e32 v[116:117], v[140:141], v[76:77]
	v_add_f64 v[2:3], v[2:3], v[4:5]
	s_waitcnt lgkmcnt(2)
	v_mul_f64 v[4:5], v[144:145], v[70:71]
	v_add_f64 v[110:111], v[110:111], v[116:117]
	v_mul_f64 v[116:117], v[142:143], v[70:71]
	ds_read_b128 v[154:157], v136 offset:896
	ds_read_b128 v[158:161], v136 offset:912
	v_fma_f64 v[4:5], v[142:143], v[72:73], -v[4:5]
	v_fmac_f64_e32 v[116:117], v[144:145], v[72:73]
	v_add_f64 v[2:3], v[2:3], v[4:5]
	s_waitcnt vmcnt(58) lgkmcnt(3)
	v_mul_f64 v[4:5], v[148:149], v[82:83]
	v_add_f64 v[110:111], v[110:111], v[116:117]
	v_mul_f64 v[116:117], v[146:147], v[82:83]
	s_waitcnt vmcnt(56)
	v_fma_f64 v[4:5], v[146:147], v[84:85], -v[4:5]
	v_fmac_f64_e32 v[116:117], v[148:149], v[84:85]
	v_add_f64 v[2:3], v[2:3], v[4:5]
	s_waitcnt lgkmcnt(2)
	v_mul_f64 v[4:5], v[152:153], v[78:79]
	v_add_f64 v[110:111], v[110:111], v[116:117]
	v_mul_f64 v[116:117], v[150:151], v[78:79]
	ds_read_b128 v[162:165], v136 offset:928
	ds_read_b128 v[166:169], v136 offset:944
	v_fma_f64 v[4:5], v[150:151], v[80:81], -v[4:5]
	v_fmac_f64_e32 v[116:117], v[152:153], v[80:81]
	v_add_f64 v[2:3], v[2:3], v[4:5]
	s_waitcnt vmcnt(50) lgkmcnt(3)
	v_mul_f64 v[4:5], v[156:157], v[90:91]
	v_add_f64 v[110:111], v[110:111], v[116:117]
	v_mul_f64 v[116:117], v[154:155], v[90:91]
	s_waitcnt vmcnt(48)
	;; [unrolled: 17-line block ×7, first 2 shown]
	v_fma_f64 v[4:5], v[204:205], v[228:229], -v[4:5]
	v_fmac_f64_e32 v[116:117], v[206:207], v[228:229]
	v_add_f64 v[2:3], v[2:3], v[4:5]
	s_waitcnt lgkmcnt(2)
	v_mul_f64 v[4:5], v[210:211], v[222:223]
	v_add_f64 v[110:111], v[110:111], v[116:117]
	v_mul_f64 v[116:117], v[208:209], v[222:223]
	v_fma_f64 v[4:5], v[208:209], v[224:225], -v[4:5]
	v_fmac_f64_e32 v[116:117], v[210:211], v[224:225]
	v_add_f64 v[2:3], v[2:3], v[4:5]
	s_waitcnt vmcnt(2) lgkmcnt(1)
	v_mul_f64 v[4:5], v[214:215], v[234:235]
	v_add_f64 v[110:111], v[110:111], v[116:117]
	v_mul_f64 v[116:117], v[212:213], v[234:235]
	s_waitcnt vmcnt(0)
	v_fma_f64 v[4:5], v[212:213], v[236:237], -v[4:5]
	v_fmac_f64_e32 v[116:117], v[214:215], v[236:237]
	v_add_f64 v[2:3], v[2:3], v[4:5]
	s_waitcnt lgkmcnt(0)
	v_mul_f64 v[4:5], v[218:219], v[230:231]
	v_add_f64 v[110:111], v[110:111], v[116:117]
	v_mul_f64 v[116:117], v[216:217], v[230:231]
	v_fma_f64 v[4:5], v[216:217], v[232:233], -v[4:5]
	v_fmac_f64_e32 v[116:117], v[218:219], v[232:233]
	v_add_f64 v[2:3], v[2:3], v[4:5]
	v_add_f64 v[110:111], v[110:111], v[116:117]
	v_add_f64 v[2:3], v[46:47], -v[2:3]
	v_add_f64 v[4:5], v[44:45], -v[110:111]
	buffer_store_dword v3, off, s[0:3], 0 offset:132
	buffer_store_dword v2, off, s[0:3], 0 offset:128
	;; [unrolled: 1-line block ×4, first 2 shown]
	s_and_saveexec_b64 s[4:5], vcc
	s_cbranch_execz .LBB34_211
; %bb.210:
	v_accvgpr_read_b32 v5, a92
	buffer_load_dword v2, v5, s[0:3], 0 offen
	buffer_load_dword v3, v5, s[0:3], 0 offen offset:4
	buffer_load_dword v4, v5, s[0:3], 0 offen offset:8
	s_nop 0
	buffer_load_dword v5, v5, s[0:3], 0 offen offset:12
	s_nop 0
	buffer_store_dword v136, off, s[0:3], 0 offset:112
	buffer_store_dword v136, off, s[0:3], 0 offset:116
	;; [unrolled: 1-line block ×4, first 2 shown]
	s_waitcnt vmcnt(4)
	ds_write_b128 v1, v[2:5]
.LBB34_211:
	s_or_b64 exec, exec, s[4:5]
	s_waitcnt lgkmcnt(0)
	; wave barrier
	s_waitcnt lgkmcnt(0)
	buffer_load_dword v34, off, s[0:3], 0 offset:128
	buffer_load_dword v35, off, s[0:3], 0 offset:132
	;; [unrolled: 1-line block ×32, first 2 shown]
	ds_read_b128 v[30:33], v136 offset:672
	ds_read_b128 v[26:29], v136 offset:688
	;; [unrolled: 1-line block ×8, first 2 shown]
	buffer_load_dword v67, off, s[0:3], 0 offset:268
	buffer_load_dword v66, off, s[0:3], 0 offset:264
	buffer_load_dword v69, off, s[0:3], 0 offset:260
	buffer_load_dword v68, off, s[0:3], 0 offset:256
	buffer_load_dword v71, off, s[0:3], 0 offset:252
	buffer_load_dword v70, off, s[0:3], 0 offset:248
	buffer_load_dword v73, off, s[0:3], 0 offset:244
	buffer_load_dword v72, off, s[0:3], 0 offset:240
	buffer_load_dword v75, off, s[0:3], 0 offset:300
	buffer_load_dword v74, off, s[0:3], 0 offset:296
	buffer_load_dword v77, off, s[0:3], 0 offset:292
	buffer_load_dword v76, off, s[0:3], 0 offset:288
	buffer_load_dword v79, off, s[0:3], 0 offset:284
	buffer_load_dword v78, off, s[0:3], 0 offset:280
	buffer_load_dword v81, off, s[0:3], 0 offset:276
	buffer_load_dword v80, off, s[0:3], 0 offset:272
	buffer_load_dword v83, off, s[0:3], 0 offset:332
	buffer_load_dword v82, off, s[0:3], 0 offset:328
	buffer_load_dword v85, off, s[0:3], 0 offset:324
	buffer_load_dword v84, off, s[0:3], 0 offset:320
	buffer_load_dword v87, off, s[0:3], 0 offset:316
	buffer_load_dword v86, off, s[0:3], 0 offset:312
	buffer_load_dword v89, off, s[0:3], 0 offset:308
	buffer_load_dword v88, off, s[0:3], 0 offset:304
	v_cmp_lt_u32_e32 vcc, 5, v0
	s_waitcnt vmcnt(52) lgkmcnt(7)
	v_mul_f64 v[90:91], v[30:31], v[38:39]
	v_fmac_f64_e32 v[90:91], v[32:33], v[34:35]
	v_add_f64 v[90:91], v[90:91], 0
	v_mul_f64 v[32:33], v[32:33], v[38:39]
	s_waitcnt vmcnt(48) lgkmcnt(6)
	v_mul_f64 v[92:93], v[26:27], v[40:41]
	v_fmac_f64_e32 v[92:93], v[28:29], v[36:37]
	s_waitcnt vmcnt(46) lgkmcnt(5)
	v_mul_f64 v[94:95], v[22:23], v[42:43]
	v_add_f64 v[90:91], v[90:91], v[92:93]
	s_waitcnt vmcnt(44) lgkmcnt(4)
	v_mul_f64 v[96:97], v[18:19], v[48:49]
	v_fma_f64 v[30:31], v[30:31], v[34:35], -v[32:33]
	s_waitcnt vmcnt(42) lgkmcnt(1)
	v_mul_f64 v[124:125], v[2:3], v[50:51]
	v_mul_f64 v[28:29], v[28:29], v[40:41]
	s_waitcnt vmcnt(18) lgkmcnt(0)
	v_mul_f64 v[140:141], v[14:15], v[70:71]
	v_mul_f64 v[100:101], v[6:7], v[54:55]
	s_waitcnt vmcnt(16)
	v_fmac_f64_e32 v[140:141], v[16:17], v[72:73]
	v_mul_f64 v[98:99], v[10:11], v[56:57]
	v_add_f64 v[30:31], v[30:31], 0
	v_fmac_f64_e32 v[98:99], v[12:13], v[58:59]
	v_fma_f64 v[26:27], v[26:27], v[36:37], -v[28:29]
	v_fmac_f64_e32 v[94:95], v[24:25], v[64:65]
	v_add_f64 v[90:91], v[90:91], v[94:95]
	v_fmac_f64_e32 v[96:97], v[20:21], v[62:63]
	v_add_f64 v[90:91], v[90:91], v[96:97]
	;; [unrolled: 2-line block ×3, first 2 shown]
	v_add_f64 v[126:127], v[90:91], v[100:101]
	buffer_load_dword v91, off, s[0:3], 0 offset:364
	buffer_load_dword v90, off, s[0:3], 0 offset:360
	;; [unrolled: 1-line block ×56, first 2 shown]
	v_fmac_f64_e32 v[124:125], v[4:5], v[52:53]
	v_add_f64 v[138:139], v[126:127], v[124:125]
	ds_read_b128 v[124:127], v136 offset:800
	buffer_load_dword v239, off, s[0:3], 0 offset:572
	buffer_load_dword v238, off, s[0:3], 0 offset:568
	;; [unrolled: 1-line block ×4, first 2 shown]
	v_add_f64 v[142:143], v[138:139], v[140:141]
	ds_read_b128 v[138:141], v136 offset:816
	v_mul_f64 v[24:25], v[24:25], v[42:43]
	s_waitcnt lgkmcnt(1)
	v_mul_f64 v[144:145], v[124:125], v[66:67]
	v_fmac_f64_e32 v[144:145], v[126:127], v[68:69]
	v_add_f64 v[146:147], v[142:143], v[144:145]
	ds_read_b128 v[142:145], v136 offset:832
	s_waitcnt vmcnt(62) lgkmcnt(1)
	v_mul_f64 v[148:149], v[138:139], v[78:79]
	v_fmac_f64_e32 v[148:149], v[140:141], v[80:81]
	v_add_f64 v[150:151], v[146:147], v[148:149]
	ds_read_b128 v[146:149], v136 offset:848
	s_waitcnt lgkmcnt(1)
	v_mul_f64 v[152:153], v[142:143], v[74:75]
	v_fmac_f64_e32 v[152:153], v[144:145], v[76:77]
	v_add_f64 v[154:155], v[150:151], v[152:153]
	ds_read_b128 v[150:153], v136 offset:864
	s_waitcnt lgkmcnt(1)
	v_mul_f64 v[156:157], v[146:147], v[86:87]
	s_waitcnt vmcnt(60)
	v_fmac_f64_e32 v[156:157], v[148:149], v[88:89]
	v_add_f64 v[158:159], v[154:155], v[156:157]
	ds_read_b128 v[154:157], v136 offset:880
	s_waitcnt lgkmcnt(1)
	v_mul_f64 v[160:161], v[150:151], v[82:83]
	v_fmac_f64_e32 v[160:161], v[152:153], v[84:85]
	v_add_f64 v[162:163], v[158:159], v[160:161]
	ds_read_b128 v[158:161], v136 offset:896
	v_add_f64 v[26:27], v[30:31], v[26:27]
	v_fma_f64 v[22:23], v[22:23], v[64:65], -v[24:25]
	s_waitcnt vmcnt(54) lgkmcnt(1)
	v_mul_f64 v[164:165], v[154:155], v[94:95]
	v_mul_f64 v[20:21], v[20:21], v[48:49]
	s_waitcnt vmcnt(52)
	v_fmac_f64_e32 v[164:165], v[156:157], v[96:97]
	v_add_f64 v[166:167], v[162:163], v[164:165]
	ds_read_b128 v[162:165], v136 offset:912
	s_waitcnt lgkmcnt(1)
	v_mul_f64 v[168:169], v[158:159], v[90:91]
	v_fmac_f64_e32 v[168:169], v[160:161], v[92:93]
	v_add_f64 v[22:23], v[26:27], v[22:23]
	v_fma_f64 v[18:19], v[18:19], v[62:63], -v[20:21]
	v_mul_f64 v[12:13], v[12:13], v[56:57]
	v_add_f64 v[170:171], v[166:167], v[168:169]
	ds_read_b128 v[166:169], v136 offset:928
	v_add_f64 v[18:19], v[22:23], v[18:19]
	v_fma_f64 v[10:11], v[10:11], v[58:59], -v[12:13]
	v_mul_f64 v[8:9], v[8:9], v[54:55]
	v_add_f64 v[10:11], v[18:19], v[10:11]
	v_fma_f64 v[6:7], v[6:7], v[60:61], -v[8:9]
	v_mul_f64 v[4:5], v[4:5], v[50:51]
	;; [unrolled: 3-line block ×3, first 2 shown]
	s_waitcnt vmcnt(46) lgkmcnt(1)
	v_mul_f64 v[172:173], v[162:163], v[102:103]
	v_add_f64 v[2:3], v[6:7], v[2:3]
	v_fma_f64 v[4:5], v[14:15], v[72:73], -v[4:5]
	s_waitcnt vmcnt(44)
	v_fmac_f64_e32 v[172:173], v[164:165], v[104:105]
	v_add_f64 v[2:3], v[2:3], v[4:5]
	v_mul_f64 v[4:5], v[126:127], v[66:67]
	v_add_f64 v[174:175], v[170:171], v[172:173]
	ds_read_b128 v[170:173], v136 offset:944
	s_waitcnt lgkmcnt(1)
	v_mul_f64 v[176:177], v[166:167], v[98:99]
	v_fma_f64 v[4:5], v[124:125], v[68:69], -v[4:5]
	v_fmac_f64_e32 v[176:177], v[168:169], v[100:101]
	v_add_f64 v[2:3], v[2:3], v[4:5]
	v_mul_f64 v[4:5], v[140:141], v[78:79]
	v_add_f64 v[188:189], v[174:175], v[176:177]
	ds_read_b128 v[174:177], v136 offset:960
	v_fma_f64 v[4:5], v[138:139], v[80:81], -v[4:5]
	v_add_f64 v[2:3], v[2:3], v[4:5]
	v_mul_f64 v[4:5], v[144:145], v[74:75]
	v_fma_f64 v[4:5], v[142:143], v[76:77], -v[4:5]
	s_waitcnt vmcnt(38) lgkmcnt(1)
	v_mul_f64 v[190:191], v[170:171], v[110:111]
	v_add_f64 v[2:3], v[2:3], v[4:5]
	v_mul_f64 v[4:5], v[148:149], v[86:87]
	s_waitcnt vmcnt(36)
	v_fmac_f64_e32 v[190:191], v[172:173], v[112:113]
	v_fma_f64 v[4:5], v[146:147], v[88:89], -v[4:5]
	v_add_f64 v[192:193], v[188:189], v[190:191]
	ds_read_b128 v[188:191], v136 offset:976
	s_waitcnt lgkmcnt(1)
	v_mul_f64 v[194:195], v[174:175], v[106:107]
	v_add_f64 v[2:3], v[2:3], v[4:5]
	v_mul_f64 v[4:5], v[152:153], v[82:83]
	v_fmac_f64_e32 v[194:195], v[176:177], v[108:109]
	v_fma_f64 v[4:5], v[150:151], v[84:85], -v[4:5]
	v_add_f64 v[196:197], v[192:193], v[194:195]
	ds_read_b128 v[192:195], v136 offset:992
	v_add_f64 v[2:3], v[2:3], v[4:5]
	v_mul_f64 v[4:5], v[156:157], v[94:95]
	v_fma_f64 v[4:5], v[154:155], v[96:97], -v[4:5]
	v_add_f64 v[2:3], v[2:3], v[4:5]
	v_mul_f64 v[4:5], v[160:161], v[90:91]
	s_waitcnt vmcnt(30) lgkmcnt(1)
	v_mul_f64 v[198:199], v[188:189], v[120:121]
	v_fma_f64 v[4:5], v[158:159], v[92:93], -v[4:5]
	s_waitcnt vmcnt(28)
	v_fmac_f64_e32 v[198:199], v[190:191], v[122:123]
	v_add_f64 v[2:3], v[2:3], v[4:5]
	v_mul_f64 v[4:5], v[164:165], v[102:103]
	v_add_f64 v[200:201], v[196:197], v[198:199]
	ds_read_b128 v[196:199], v136 offset:1008
	s_waitcnt lgkmcnt(1)
	v_mul_f64 v[202:203], v[192:193], v[114:115]
	v_fma_f64 v[4:5], v[162:163], v[104:105], -v[4:5]
	v_fmac_f64_e32 v[202:203], v[194:195], v[116:117]
	v_add_f64 v[2:3], v[2:3], v[4:5]
	v_mul_f64 v[4:5], v[168:169], v[98:99]
	v_add_f64 v[204:205], v[200:201], v[202:203]
	ds_read_b128 v[200:203], v136 offset:1024
	v_fma_f64 v[4:5], v[166:167], v[100:101], -v[4:5]
	v_add_f64 v[2:3], v[2:3], v[4:5]
	v_mul_f64 v[4:5], v[172:173], v[110:111]
	v_fma_f64 v[4:5], v[170:171], v[112:113], -v[4:5]
	s_waitcnt vmcnt(22) lgkmcnt(1)
	v_mul_f64 v[206:207], v[196:197], v[132:133]
	v_add_f64 v[2:3], v[2:3], v[4:5]
	v_mul_f64 v[4:5], v[176:177], v[106:107]
	s_waitcnt vmcnt(20)
	v_fmac_f64_e32 v[206:207], v[198:199], v[134:135]
	v_fma_f64 v[4:5], v[174:175], v[108:109], -v[4:5]
	v_add_f64 v[208:209], v[204:205], v[206:207]
	ds_read_b128 v[204:207], v136 offset:1040
	s_waitcnt lgkmcnt(1)
	v_mul_f64 v[210:211], v[200:201], v[128:129]
	v_add_f64 v[2:3], v[2:3], v[4:5]
	v_mul_f64 v[4:5], v[190:191], v[120:121]
	v_fmac_f64_e32 v[210:211], v[202:203], v[130:131]
	v_fma_f64 v[4:5], v[188:189], v[122:123], -v[4:5]
	v_add_f64 v[212:213], v[208:209], v[210:211]
	ds_read_b128 v[208:211], v136 offset:1056
	v_add_f64 v[2:3], v[2:3], v[4:5]
	v_mul_f64 v[4:5], v[194:195], v[114:115]
	v_fma_f64 v[4:5], v[192:193], v[116:117], -v[4:5]
	v_add_f64 v[2:3], v[2:3], v[4:5]
	v_mul_f64 v[4:5], v[198:199], v[132:133]
	s_waitcnt vmcnt(14) lgkmcnt(1)
	v_mul_f64 v[214:215], v[204:205], v[226:227]
	v_fma_f64 v[4:5], v[196:197], v[134:135], -v[4:5]
	s_waitcnt vmcnt(12)
	v_fmac_f64_e32 v[214:215], v[206:207], v[228:229]
	v_add_f64 v[2:3], v[2:3], v[4:5]
	v_mul_f64 v[4:5], v[202:203], v[128:129]
	v_add_f64 v[216:217], v[212:213], v[214:215]
	ds_read_b128 v[212:215], v136 offset:1072
	s_waitcnt lgkmcnt(1)
	v_mul_f64 v[218:219], v[208:209], v[178:179]
	v_fma_f64 v[4:5], v[200:201], v[130:131], -v[4:5]
	v_fmac_f64_e32 v[218:219], v[210:211], v[224:225]
	v_add_f64 v[2:3], v[2:3], v[4:5]
	v_mul_f64 v[4:5], v[206:207], v[226:227]
	v_add_f64 v[242:243], v[216:217], v[218:219]
	ds_read_b128 v[216:219], v136 offset:1088
	v_fma_f64 v[4:5], v[204:205], v[228:229], -v[4:5]
	v_add_f64 v[2:3], v[2:3], v[4:5]
	v_mul_f64 v[4:5], v[210:211], v[178:179]
	ds_read_b128 v[220:223], v136 offset:1104
	v_fma_f64 v[4:5], v[208:209], v[224:225], -v[4:5]
	v_add_f64 v[2:3], v[2:3], v[4:5]
	s_waitcnt vmcnt(6) lgkmcnt(2)
	v_mul_f64 v[4:5], v[214:215], v[234:235]
	v_mul_f64 v[244:245], v[212:213], v[234:235]
	s_waitcnt vmcnt(4)
	v_fma_f64 v[4:5], v[212:213], v[236:237], -v[4:5]
	v_fmac_f64_e32 v[244:245], v[214:215], v[236:237]
	v_add_f64 v[2:3], v[2:3], v[4:5]
	s_waitcnt lgkmcnt(1)
	v_mul_f64 v[4:5], v[218:219], v[230:231]
	v_add_f64 v[136:137], v[242:243], v[244:245]
	v_mul_f64 v[242:243], v[216:217], v[230:231]
	v_fma_f64 v[4:5], v[216:217], v[232:233], -v[4:5]
	v_fmac_f64_e32 v[242:243], v[218:219], v[232:233]
	v_add_f64 v[2:3], v[2:3], v[4:5]
	s_waitcnt vmcnt(2) lgkmcnt(0)
	v_mul_f64 v[4:5], v[222:223], v[238:239]
	v_add_f64 v[136:137], v[136:137], v[242:243]
	v_mul_f64 v[242:243], v[220:221], v[238:239]
	s_waitcnt vmcnt(0)
	v_fma_f64 v[4:5], v[220:221], v[240:241], -v[4:5]
	v_fmac_f64_e32 v[242:243], v[222:223], v[240:241]
	v_add_f64 v[2:3], v[2:3], v[4:5]
	v_add_f64 v[136:137], v[136:137], v[242:243]
	v_add_f64 v[2:3], v[46:47], -v[2:3]
	v_add_f64 v[4:5], v[44:45], -v[136:137]
	buffer_store_dword v3, off, s[0:3], 0 offset:116
	buffer_store_dword v2, off, s[0:3], 0 offset:112
	;; [unrolled: 1-line block ×4, first 2 shown]
	s_and_saveexec_b64 s[4:5], vcc
	s_cbranch_execz .LBB34_213
; %bb.212:
	v_accvgpr_read_b32 v5, a94
	buffer_load_dword v2, v5, s[0:3], 0 offen
	buffer_load_dword v3, v5, s[0:3], 0 offen offset:4
	buffer_load_dword v4, v5, s[0:3], 0 offen offset:8
	s_nop 0
	buffer_load_dword v5, v5, s[0:3], 0 offen offset:12
	v_mov_b32_e32 v6, 0
	buffer_store_dword v6, off, s[0:3], 0 offset:96
	buffer_store_dword v6, off, s[0:3], 0 offset:100
	;; [unrolled: 1-line block ×4, first 2 shown]
	s_waitcnt vmcnt(4)
	ds_write_b128 v1, v[2:5]
.LBB34_213:
	s_or_b64 exec, exec, s[4:5]
	s_waitcnt lgkmcnt(0)
	; wave barrier
	s_waitcnt lgkmcnt(0)
	buffer_load_dword v38, off, s[0:3], 0 offset:112
	buffer_load_dword v39, off, s[0:3], 0 offset:116
	;; [unrolled: 1-line block ×48, first 2 shown]
	v_mov_b32_e32 v152, 0
	ds_read_b128 v[34:37], v152 offset:656
	ds_read_b128 v[30:33], v152 offset:672
	;; [unrolled: 1-line block ×9, first 2 shown]
	v_cmp_lt_u32_e32 vcc, 4, v0
	s_waitcnt vmcnt(44) lgkmcnt(8)
	v_mul_f64 v[86:87], v[34:35], v[42:43]
	v_fmac_f64_e32 v[86:87], v[36:37], v[38:39]
	v_add_f64 v[86:87], v[86:87], 0
	v_mul_f64 v[36:37], v[36:37], v[42:43]
	s_waitcnt vmcnt(40) lgkmcnt(7)
	v_mul_f64 v[88:89], v[30:31], v[44:45]
	v_fmac_f64_e32 v[88:89], v[32:33], v[40:41]
	s_waitcnt vmcnt(38) lgkmcnt(6)
	v_mul_f64 v[90:91], v[26:27], v[46:47]
	v_add_f64 v[86:87], v[86:87], v[88:89]
	s_waitcnt vmcnt(36) lgkmcnt(4)
	v_mul_f64 v[94:95], v[18:19], v[48:49]
	v_fma_f64 v[34:35], v[34:35], v[38:39], -v[36:37]
	s_waitcnt vmcnt(34)
	v_fmac_f64_e32 v[94:95], v[20:21], v[50:51]
	v_mul_f64 v[32:33], v[32:33], v[44:45]
	s_waitcnt vmcnt(32)
	v_mul_f64 v[92:93], v[22:23], v[52:53]
	v_add_f64 v[34:35], v[34:35], 0
	s_waitcnt vmcnt(30) lgkmcnt(2)
	v_mul_f64 v[98:99], v[10:11], v[54:55]
	v_fma_f64 v[30:31], v[30:31], v[40:41], -v[32:33]
	s_waitcnt vmcnt(28)
	v_fmac_f64_e32 v[98:99], v[12:13], v[56:57]
	v_add_f64 v[30:31], v[34:35], v[30:31]
	s_waitcnt vmcnt(26)
	v_mul_f64 v[96:97], v[14:15], v[58:59]
	v_mul_f64 v[20:21], v[20:21], v[48:49]
	v_fma_f64 v[18:19], v[18:19], v[50:51], -v[20:21]
	v_mul_f64 v[12:13], v[12:13], v[54:55]
	s_waitcnt vmcnt(22) lgkmcnt(1)
	v_mul_f64 v[110:111], v[6:7], v[68:69]
	v_fma_f64 v[10:11], v[10:11], v[56:57], -v[12:13]
	s_waitcnt vmcnt(20)
	v_fmac_f64_e32 v[90:91], v[28:29], v[76:77]
	v_add_f64 v[86:87], v[86:87], v[90:91]
	s_waitcnt vmcnt(18)
	v_fmac_f64_e32 v[92:93], v[24:25], v[74:75]
	v_add_f64 v[86:87], v[86:87], v[92:93]
	;; [unrolled: 3-line block ×3, first 2 shown]
	v_add_f64 v[86:87], v[86:87], v[96:97]
	v_add_f64 v[112:113], v[86:87], v[98:99]
	buffer_load_dword v87, off, s[0:3], 0 offset:316
	buffer_load_dword v86, off, s[0:3], 0 offset:312
	;; [unrolled: 1-line block ×72, first 2 shown]
	s_waitcnt vmcnt(62)
	v_fmac_f64_e32 v[110:111], v[8:9], v[70:71]
	v_add_f64 v[144:145], v[112:113], v[110:111]
	ds_read_b128 v[110:113], v152 offset:800
	s_waitcnt lgkmcnt(1)
	v_mul_f64 v[146:147], v[2:3], v[64:65]
	v_fmac_f64_e32 v[146:147], v[4:5], v[66:67]
	v_add_f64 v[148:149], v[144:145], v[146:147]
	ds_read_b128 v[144:147], v152 offset:816
	s_waitcnt lgkmcnt(1)
	v_mul_f64 v[150:151], v[110:111], v[82:83]
	;; [unrolled: 5-line block ×5, first 2 shown]
	v_fmac_f64_e32 v[164:165], v[156:157], v[88:89]
	v_add_f64 v[166:167], v[162:163], v[164:165]
	ds_read_b128 v[162:165], v152 offset:880
	s_waitcnt vmcnt(58) lgkmcnt(1)
	v_mul_f64 v[168:169], v[158:159], v[98:99]
	s_waitcnt vmcnt(56)
	v_fmac_f64_e32 v[168:169], v[160:161], v[100:101]
	v_add_f64 v[170:171], v[166:167], v[168:169]
	ds_read_b128 v[166:169], v152 offset:896
	s_waitcnt lgkmcnt(1)
	v_mul_f64 v[172:173], v[162:163], v[94:95]
	v_fmac_f64_e32 v[172:173], v[164:165], v[96:97]
	v_mul_f64 v[28:29], v[28:29], v[46:47]
	v_add_f64 v[174:175], v[170:171], v[172:173]
	ds_read_b128 v[170:173], v152 offset:912
	s_waitcnt vmcnt(50) lgkmcnt(1)
	v_mul_f64 v[176:177], v[166:167], v[106:107]
	v_fma_f64 v[26:27], v[26:27], v[76:77], -v[28:29]
	v_mul_f64 v[24:25], v[24:25], v[52:53]
	s_waitcnt vmcnt(48)
	v_fmac_f64_e32 v[176:177], v[168:169], v[108:109]
	v_add_f64 v[26:27], v[30:31], v[26:27]
	v_fma_f64 v[22:23], v[22:23], v[74:75], -v[24:25]
	v_add_f64 v[188:189], v[174:175], v[176:177]
	ds_read_b128 v[174:177], v152 offset:928
	v_add_f64 v[22:23], v[26:27], v[22:23]
	v_mul_f64 v[16:17], v[16:17], v[58:59]
	v_add_f64 v[18:19], v[22:23], v[18:19]
	v_fma_f64 v[14:15], v[14:15], v[72:73], -v[16:17]
	v_add_f64 v[14:15], v[18:19], v[14:15]
	v_mul_f64 v[8:9], v[8:9], v[68:69]
	s_waitcnt lgkmcnt(1)
	v_mul_f64 v[190:191], v[170:171], v[102:103]
	v_add_f64 v[10:11], v[14:15], v[10:11]
	v_fma_f64 v[6:7], v[6:7], v[70:71], -v[8:9]
	v_mul_f64 v[4:5], v[4:5], v[64:65]
	v_fmac_f64_e32 v[190:191], v[172:173], v[104:105]
	v_add_f64 v[6:7], v[10:11], v[6:7]
	v_fma_f64 v[2:3], v[2:3], v[66:67], -v[4:5]
	v_mul_f64 v[4:5], v[112:113], v[82:83]
	v_add_f64 v[192:193], v[188:189], v[190:191]
	ds_read_b128 v[188:191], v152 offset:944
	s_waitcnt vmcnt(42) lgkmcnt(1)
	v_mul_f64 v[194:195], v[174:175], v[120:121]
	v_add_f64 v[2:3], v[6:7], v[2:3]
	v_fma_f64 v[4:5], v[110:111], v[84:85], -v[4:5]
	s_waitcnt vmcnt(40)
	v_fmac_f64_e32 v[194:195], v[176:177], v[122:123]
	v_add_f64 v[2:3], v[2:3], v[4:5]
	v_mul_f64 v[4:5], v[146:147], v[78:79]
	v_add_f64 v[196:197], v[192:193], v[194:195]
	ds_read_b128 v[192:195], v152 offset:960
	v_fma_f64 v[4:5], v[144:145], v[80:81], -v[4:5]
	v_add_f64 v[2:3], v[2:3], v[4:5]
	v_mul_f64 v[4:5], v[150:151], v[90:91]
	v_fma_f64 v[4:5], v[148:149], v[92:93], -v[4:5]
	s_waitcnt lgkmcnt(1)
	v_mul_f64 v[198:199], v[188:189], v[114:115]
	v_add_f64 v[2:3], v[2:3], v[4:5]
	v_mul_f64 v[4:5], v[156:157], v[86:87]
	v_fmac_f64_e32 v[198:199], v[190:191], v[116:117]
	v_fma_f64 v[4:5], v[154:155], v[88:89], -v[4:5]
	v_add_f64 v[200:201], v[196:197], v[198:199]
	ds_read_b128 v[196:199], v152 offset:976
	s_waitcnt vmcnt(34) lgkmcnt(1)
	v_mul_f64 v[202:203], v[192:193], v[128:129]
	v_add_f64 v[2:3], v[2:3], v[4:5]
	v_mul_f64 v[4:5], v[160:161], v[98:99]
	s_waitcnt vmcnt(32)
	v_fmac_f64_e32 v[202:203], v[194:195], v[130:131]
	v_fma_f64 v[4:5], v[158:159], v[100:101], -v[4:5]
	v_add_f64 v[204:205], v[200:201], v[202:203]
	ds_read_b128 v[200:203], v152 offset:992
	v_add_f64 v[2:3], v[2:3], v[4:5]
	v_mul_f64 v[4:5], v[164:165], v[94:95]
	v_fma_f64 v[4:5], v[162:163], v[96:97], -v[4:5]
	v_add_f64 v[2:3], v[2:3], v[4:5]
	v_mul_f64 v[4:5], v[168:169], v[106:107]
	s_waitcnt lgkmcnt(1)
	v_mul_f64 v[206:207], v[196:197], v[124:125]
	v_fma_f64 v[4:5], v[166:167], v[108:109], -v[4:5]
	v_fmac_f64_e32 v[206:207], v[198:199], v[126:127]
	v_add_f64 v[2:3], v[2:3], v[4:5]
	v_mul_f64 v[4:5], v[172:173], v[102:103]
	v_add_f64 v[208:209], v[204:205], v[206:207]
	ds_read_b128 v[204:207], v152 offset:1008
	s_waitcnt vmcnt(26) lgkmcnt(1)
	v_mul_f64 v[210:211], v[200:201], v[136:137]
	v_fma_f64 v[4:5], v[170:171], v[104:105], -v[4:5]
	s_waitcnt vmcnt(24)
	v_fmac_f64_e32 v[210:211], v[202:203], v[138:139]
	v_add_f64 v[2:3], v[2:3], v[4:5]
	v_mul_f64 v[4:5], v[176:177], v[120:121]
	v_add_f64 v[212:213], v[208:209], v[210:211]
	ds_read_b128 v[208:211], v152 offset:1024
	v_fma_f64 v[4:5], v[174:175], v[122:123], -v[4:5]
	v_add_f64 v[2:3], v[2:3], v[4:5]
	v_mul_f64 v[4:5], v[190:191], v[114:115]
	v_fma_f64 v[4:5], v[188:189], v[116:117], -v[4:5]
	s_waitcnt lgkmcnt(1)
	v_mul_f64 v[214:215], v[204:205], v[132:133]
	v_add_f64 v[2:3], v[2:3], v[4:5]
	v_mul_f64 v[4:5], v[194:195], v[128:129]
	v_fmac_f64_e32 v[214:215], v[206:207], v[134:135]
	v_fma_f64 v[4:5], v[192:193], v[130:131], -v[4:5]
	v_add_f64 v[216:217], v[212:213], v[214:215]
	ds_read_b128 v[212:215], v152 offset:1040
	s_waitcnt vmcnt(18) lgkmcnt(1)
	v_mul_f64 v[218:219], v[208:209], v[178:179]
	v_add_f64 v[2:3], v[2:3], v[4:5]
	v_mul_f64 v[4:5], v[198:199], v[124:125]
	s_waitcnt vmcnt(16)
	v_fmac_f64_e32 v[218:219], v[210:211], v[232:233]
	v_fma_f64 v[4:5], v[196:197], v[126:127], -v[4:5]
	v_add_f64 v[220:221], v[216:217], v[218:219]
	ds_read_b128 v[216:219], v152 offset:1056
	v_add_f64 v[2:3], v[2:3], v[4:5]
	v_mul_f64 v[4:5], v[202:203], v[136:137]
	v_fma_f64 v[4:5], v[200:201], v[138:139], -v[4:5]
	v_add_f64 v[2:3], v[2:3], v[4:5]
	v_mul_f64 v[4:5], v[206:207], v[132:133]
	s_waitcnt lgkmcnt(1)
	v_mul_f64 v[222:223], v[212:213], v[140:141]
	v_fma_f64 v[4:5], v[204:205], v[134:135], -v[4:5]
	v_fmac_f64_e32 v[222:223], v[214:215], v[142:143]
	v_add_f64 v[2:3], v[2:3], v[4:5]
	v_mul_f64 v[4:5], v[210:211], v[178:179]
	v_add_f64 v[224:225], v[220:221], v[222:223]
	ds_read_b128 v[220:223], v152 offset:1072
	s_waitcnt vmcnt(10) lgkmcnt(1)
	v_mul_f64 v[226:227], v[216:217], v[238:239]
	v_fma_f64 v[4:5], v[208:209], v[232:233], -v[4:5]
	s_waitcnt vmcnt(8)
	v_fmac_f64_e32 v[226:227], v[218:219], v[240:241]
	v_add_f64 v[2:3], v[2:3], v[4:5]
	v_mul_f64 v[4:5], v[214:215], v[140:141]
	v_add_f64 v[250:251], v[224:225], v[226:227]
	ds_read_b128 v[224:227], v152 offset:1088
	ds_read_b128 v[228:231], v152 offset:1104
	v_fma_f64 v[4:5], v[212:213], v[142:143], -v[4:5]
	v_add_f64 v[2:3], v[2:3], v[4:5]
	v_mul_f64 v[4:5], v[218:219], v[238:239]
	v_fma_f64 v[4:5], v[216:217], v[240:241], -v[4:5]
	v_add_f64 v[2:3], v[2:3], v[4:5]
	s_waitcnt lgkmcnt(2)
	v_mul_f64 v[4:5], v[222:223], v[234:235]
	v_mul_f64 v[252:253], v[220:221], v[234:235]
	v_fma_f64 v[4:5], v[220:221], v[236:237], -v[4:5]
	v_fmac_f64_e32 v[252:253], v[222:223], v[236:237]
	v_add_f64 v[2:3], v[2:3], v[4:5]
	s_waitcnt vmcnt(2) lgkmcnt(1)
	v_mul_f64 v[4:5], v[226:227], v[246:247]
	v_add_f64 v[250:251], v[250:251], v[252:253]
	v_mul_f64 v[252:253], v[224:225], v[246:247]
	s_waitcnt vmcnt(0)
	v_fma_f64 v[4:5], v[224:225], v[248:249], -v[4:5]
	v_fmac_f64_e32 v[252:253], v[226:227], v[248:249]
	v_add_f64 v[2:3], v[2:3], v[4:5]
	s_waitcnt lgkmcnt(0)
	v_mul_f64 v[4:5], v[230:231], v[242:243]
	v_add_f64 v[250:251], v[250:251], v[252:253]
	v_mul_f64 v[252:253], v[228:229], v[242:243]
	v_fma_f64 v[4:5], v[228:229], v[244:245], -v[4:5]
	v_fmac_f64_e32 v[252:253], v[230:231], v[244:245]
	v_add_f64 v[2:3], v[2:3], v[4:5]
	v_add_f64 v[250:251], v[250:251], v[252:253]
	v_add_f64 v[2:3], v[62:63], -v[2:3]
	v_add_f64 v[4:5], v[60:61], -v[250:251]
	buffer_store_dword v3, off, s[0:3], 0 offset:100
	buffer_store_dword v2, off, s[0:3], 0 offset:96
	;; [unrolled: 1-line block ×4, first 2 shown]
	s_and_saveexec_b64 s[4:5], vcc
	s_cbranch_execz .LBB34_215
; %bb.214:
	v_accvgpr_read_b32 v5, a93
	buffer_load_dword v2, v5, s[0:3], 0 offen
	buffer_load_dword v3, v5, s[0:3], 0 offen offset:4
	buffer_load_dword v4, v5, s[0:3], 0 offen offset:8
	s_nop 0
	buffer_load_dword v5, v5, s[0:3], 0 offen offset:12
	s_nop 0
	buffer_store_dword v152, off, s[0:3], 0 offset:80
	buffer_store_dword v152, off, s[0:3], 0 offset:84
	;; [unrolled: 1-line block ×4, first 2 shown]
	s_waitcnt vmcnt(4)
	ds_write_b128 v1, v[2:5]
.LBB34_215:
	s_or_b64 exec, exec, s[4:5]
	s_waitcnt lgkmcnt(0)
	; wave barrier
	s_waitcnt lgkmcnt(0)
	buffer_load_dword v48, off, s[0:3], 0 offset:96
	buffer_load_dword v49, off, s[0:3], 0 offset:100
	;; [unrolled: 1-line block ×40, first 2 shown]
	ds_read_b128 v[38:41], v152 offset:640
	ds_read_b128 v[34:37], v152 offset:656
	;; [unrolled: 1-line block ×10, first 2 shown]
	buffer_load_dword v83, off, s[0:3], 0 offset:268
	buffer_load_dword v82, off, s[0:3], 0 offset:264
	;; [unrolled: 1-line block ×8, first 2 shown]
	v_cmp_lt_u32_e32 vcc, 3, v0
	s_waitcnt vmcnt(44) lgkmcnt(9)
	v_mul_f64 v[90:91], v[38:39], v[50:51]
	v_fmac_f64_e32 v[90:91], v[40:41], v[48:49]
	v_add_f64 v[90:91], v[90:91], 0
	v_mul_f64 v[40:41], v[40:41], v[50:51]
	s_waitcnt vmcnt(40) lgkmcnt(8)
	v_mul_f64 v[92:93], v[34:35], v[44:45]
	v_fmac_f64_e32 v[92:93], v[36:37], v[42:43]
	s_waitcnt vmcnt(38) lgkmcnt(7)
	v_mul_f64 v[94:95], v[30:31], v[46:47]
	v_add_f64 v[90:91], v[90:91], v[92:93]
	s_waitcnt vmcnt(36) lgkmcnt(5)
	v_mul_f64 v[98:99], v[22:23], v[52:53]
	v_mul_f64 v[36:37], v[36:37], v[44:45]
	s_waitcnt vmcnt(34)
	v_fmac_f64_e32 v[98:99], v[24:25], v[54:55]
	v_fma_f64 v[34:35], v[34:35], v[42:43], -v[36:37]
	s_waitcnt vmcnt(32)
	v_mul_f64 v[96:97], v[26:27], v[56:57]
	v_mul_f64 v[24:25], v[24:25], v[52:53]
	s_waitcnt vmcnt(30) lgkmcnt(4)
	v_mul_f64 v[100:101], v[18:19], v[62:63]
	v_fma_f64 v[22:23], v[22:23], v[54:55], -v[24:25]
	s_waitcnt vmcnt(28) lgkmcnt(1)
	v_mul_f64 v[124:125], v[2:3], v[64:65]
	s_waitcnt vmcnt(25)
	v_mul_f64 v[104:105], v[6:7], v[68:69]
	s_waitcnt vmcnt(23)
	;; [unrolled: 2-line block ×3, first 2 shown]
	v_fmac_f64_e32 v[102:103], v[12:13], v[72:73]
	v_mul_f64 v[12:13], v[12:13], v[70:71]
	s_waitcnt vmcnt(19)
	v_fmac_f64_e32 v[94:95], v[32:33], v[80:81]
	v_add_f64 v[90:91], v[90:91], v[94:95]
	s_waitcnt vmcnt(17)
	v_fmac_f64_e32 v[96:97], v[28:29], v[78:79]
	v_add_f64 v[90:91], v[90:91], v[96:97]
	s_waitcnt vmcnt(15)
	v_fmac_f64_e32 v[100:101], v[20:21], v[76:77]
	v_add_f64 v[90:91], v[90:91], v[98:99]
	v_add_f64 v[90:91], v[90:91], v[100:101]
	s_waitcnt vmcnt(13)
	v_fmac_f64_e32 v[104:105], v[8:9], v[74:75]
	v_add_f64 v[90:91], v[90:91], v[102:103]
	v_add_f64 v[126:127], v[90:91], v[104:105]
	buffer_load_dword v91, off, s[0:3], 0 offset:300
	buffer_load_dword v90, off, s[0:3], 0 offset:296
	;; [unrolled: 1-line block ×72, first 2 shown]
	s_waitcnt vmcnt(62)
	v_fmac_f64_e32 v[124:125], v[4:5], v[66:67]
	v_add_f64 v[154:155], v[126:127], v[124:125]
	ds_read_b128 v[124:127], v152 offset:800
	buffer_load_dword v247, off, s[0:3], 0 offset:572
	buffer_load_dword v246, off, s[0:3], 0 offset:568
	;; [unrolled: 1-line block ×4, first 2 shown]
	s_waitcnt lgkmcnt(1)
	v_mul_f64 v[156:157], v[14:15], v[86:87]
	v_fmac_f64_e32 v[156:157], v[16:17], v[88:89]
	v_add_f64 v[158:159], v[154:155], v[156:157]
	ds_read_b128 v[154:157], v152 offset:816
	s_waitcnt lgkmcnt(1)
	v_mul_f64 v[160:161], v[124:125], v[82:83]
	v_fmac_f64_e32 v[160:161], v[126:127], v[84:85]
	v_add_f64 v[162:163], v[158:159], v[160:161]
	ds_read_b128 v[158:161], v152 offset:832
	v_mul_f64 v[32:33], v[32:33], v[46:47]
	s_waitcnt lgkmcnt(1)
	v_mul_f64 v[164:165], v[154:155], v[94:95]
	v_fma_f64 v[30:31], v[30:31], v[80:81], -v[32:33]
	v_fmac_f64_e32 v[164:165], v[156:157], v[96:97]
	v_add_f64 v[166:167], v[162:163], v[164:165]
	ds_read_b128 v[162:165], v152 offset:848
	s_waitcnt lgkmcnt(1)
	v_mul_f64 v[168:169], v[158:159], v[90:91]
	v_fmac_f64_e32 v[168:169], v[160:161], v[92:93]
	v_add_f64 v[170:171], v[166:167], v[168:169]
	ds_read_b128 v[166:169], v152 offset:864
	s_waitcnt vmcnt(62) lgkmcnt(1)
	v_mul_f64 v[172:173], v[162:163], v[102:103]
	s_waitcnt vmcnt(60)
	v_fmac_f64_e32 v[172:173], v[164:165], v[104:105]
	v_add_f64 v[174:175], v[170:171], v[172:173]
	ds_read_b128 v[170:173], v152 offset:880
	s_waitcnt lgkmcnt(1)
	v_mul_f64 v[176:177], v[166:167], v[98:99]
	v_fmac_f64_e32 v[176:177], v[168:169], v[100:101]
	v_add_f64 v[188:189], v[174:175], v[176:177]
	ds_read_b128 v[174:177], v152 offset:896
	s_waitcnt vmcnt(54) lgkmcnt(1)
	v_mul_f64 v[190:191], v[170:171], v[110:111]
	s_waitcnt vmcnt(52)
	;; [unrolled: 11-line block ×7, first 2 shown]
	v_fmac_f64_e32 v[230:231], v[222:223], v[236:237]
	v_add_f64 v[250:251], v[228:229], v[230:231]
	ds_read_b128 v[228:231], v152 offset:1072
	s_waitcnt lgkmcnt(1)
	v_mul_f64 v[252:253], v[224:225], v[178:179]
	v_fmac_f64_e32 v[252:253], v[226:227], v[232:233]
	v_add_f64 v[250:251], v[250:251], v[252:253]
	v_fma_f64 v[252:253], v[38:39], v[48:49], -v[40:41]
	ds_read_b128 v[38:41], v152 offset:1088
	ds_read_b128 v[48:51], v152 offset:1104
	s_waitcnt vmcnt(6) lgkmcnt(2)
	v_mul_f64 v[254:255], v[228:229], v[242:243]
	s_waitcnt vmcnt(4)
	v_fmac_f64_e32 v[254:255], v[230:231], v[244:245]
	v_add_f64 v[152:153], v[250:251], v[254:255]
	s_waitcnt lgkmcnt(1)
	v_mul_f64 v[250:251], v[38:39], v[238:239]
	v_fmac_f64_e32 v[250:251], v[40:41], v[240:241]
	v_add_f64 v[152:153], v[152:153], v[250:251]
	s_waitcnt vmcnt(2) lgkmcnt(0)
	v_mul_f64 v[250:251], v[48:49], v[246:247]
	s_waitcnt vmcnt(0)
	v_fmac_f64_e32 v[250:251], v[50:51], v[248:249]
	v_add_f64 v[152:153], v[152:153], v[250:251]
	v_add_f64 v[250:251], v[252:253], 0
	;; [unrolled: 1-line block ×3, first 2 shown]
	v_mul_f64 v[28:29], v[28:29], v[56:57]
	v_add_f64 v[30:31], v[34:35], v[30:31]
	v_fma_f64 v[26:27], v[26:27], v[78:79], -v[28:29]
	v_add_f64 v[26:27], v[30:31], v[26:27]
	v_mul_f64 v[20:21], v[20:21], v[62:63]
	v_add_f64 v[22:23], v[26:27], v[22:23]
	v_fma_f64 v[18:19], v[18:19], v[76:77], -v[20:21]
	v_add_f64 v[18:19], v[22:23], v[18:19]
	v_fma_f64 v[10:11], v[10:11], v[72:73], -v[12:13]
	v_mul_f64 v[8:9], v[8:9], v[68:69]
	v_add_f64 v[10:11], v[18:19], v[10:11]
	v_fma_f64 v[6:7], v[6:7], v[74:75], -v[8:9]
	v_mul_f64 v[4:5], v[4:5], v[64:65]
	;; [unrolled: 3-line block ×3, first 2 shown]
	v_add_f64 v[2:3], v[6:7], v[2:3]
	v_fma_f64 v[4:5], v[14:15], v[88:89], -v[4:5]
	v_add_f64 v[2:3], v[2:3], v[4:5]
	v_mul_f64 v[4:5], v[126:127], v[82:83]
	v_fma_f64 v[4:5], v[124:125], v[84:85], -v[4:5]
	v_add_f64 v[2:3], v[2:3], v[4:5]
	v_mul_f64 v[4:5], v[156:157], v[94:95]
	;; [unrolled: 3-line block ×20, first 2 shown]
	v_fma_f64 v[4:5], v[48:49], v[248:249], -v[4:5]
	v_add_f64 v[2:3], v[2:3], v[4:5]
	v_add_f64 v[2:3], v[60:61], -v[2:3]
	v_add_f64 v[4:5], v[58:59], -v[152:153]
	buffer_store_dword v3, off, s[0:3], 0 offset:84
	buffer_store_dword v2, off, s[0:3], 0 offset:80
	;; [unrolled: 1-line block ×4, first 2 shown]
	s_and_saveexec_b64 s[4:5], vcc
	s_cbranch_execz .LBB34_217
; %bb.216:
	v_accvgpr_read_b32 v5, a97
	buffer_load_dword v2, v5, s[0:3], 0 offen
	buffer_load_dword v3, v5, s[0:3], 0 offen offset:4
	buffer_load_dword v4, v5, s[0:3], 0 offen offset:8
	s_nop 0
	buffer_load_dword v5, v5, s[0:3], 0 offen offset:12
	v_mov_b32_e32 v6, 0
	buffer_store_dword v6, off, s[0:3], 0 offset:64
	buffer_store_dword v6, off, s[0:3], 0 offset:68
	;; [unrolled: 1-line block ×4, first 2 shown]
	s_waitcnt vmcnt(4)
	ds_write_b128 v1, v[2:5]
.LBB34_217:
	s_or_b64 exec, exec, s[4:5]
	s_waitcnt lgkmcnt(0)
	; wave barrier
	s_waitcnt lgkmcnt(0)
	buffer_load_dword v106, off, s[0:3], 0 offset:80
	buffer_load_dword v107, off, s[0:3], 0 offset:84
	;; [unrolled: 1-line block ×49, first 2 shown]
	v_mov_b32_e32 v178, 0
	ds_read_b128 v[110:113], v178 offset:624
	ds_read_b128 v[174:177], v178 offset:640
	;; [unrolled: 1-line block ×10, first 2 shown]
	buffer_load_dword v124, off, s[0:3], 0 offset:272
	buffer_load_dword v139, off, s[0:3], 0 offset:268
	;; [unrolled: 1-line block ×69, first 2 shown]
	v_cmp_lt_u32_e32 vcc, 2, v0
	s_waitcnt vmcnt(62) lgkmcnt(9)
	v_mul_f64 v[34:35], v[110:111], v[108:109]
	v_fmac_f64_e32 v[34:35], v[112:113], v[106:107]
	v_add_f64 v[34:35], v[34:35], 0
	v_mul_f64 v[108:109], v[112:113], v[108:109]
	s_waitcnt lgkmcnt(8)
	v_mul_f64 v[36:37], v[174:175], v[116:117]
	v_fmac_f64_e32 v[36:37], v[176:177], v[114:115]
	s_waitcnt lgkmcnt(7)
	v_mul_f64 v[38:39], v[30:31], v[188:189]
	v_add_f64 v[34:35], v[34:35], v[36:37]
	s_waitcnt lgkmcnt(5)
	v_mul_f64 v[42:43], v[22:23], v[190:191]
	v_mul_f64 v[116:117], v[176:177], v[116:117]
	v_fmac_f64_e32 v[42:43], v[24:25], v[192:193]
	v_fma_f64 v[174:175], v[174:175], v[114:115], -v[116:117]
	v_mul_f64 v[40:41], v[26:27], v[194:195]
	v_mul_f64 v[24:25], v[24:25], v[190:191]
	s_waitcnt lgkmcnt(3)
	v_mul_f64 v[46:47], v[14:15], v[196:197]
	v_fma_f64 v[22:23], v[22:23], v[192:193], -v[24:25]
	v_fmac_f64_e32 v[46:47], v[16:17], v[198:199]
	v_mul_f64 v[16:17], v[16:17], v[196:197]
	v_mul_f64 v[44:45], v[18:19], v[200:201]
	v_fma_f64 v[14:15], v[14:15], v[198:199], -v[16:17]
	s_waitcnt lgkmcnt(1)
	v_mul_f64 v[50:51], v[6:7], v[202:203]
	v_fmac_f64_e32 v[50:51], v[8:9], v[204:205]
	v_mul_f64 v[8:9], v[8:9], v[202:203]
	v_mul_f64 v[48:49], v[10:11], v[210:211]
	v_fma_f64 v[6:7], v[6:7], v[204:205], -v[8:9]
	s_waitcnt lgkmcnt(0)
	v_mul_f64 v[52:53], v[2:3], v[206:207]
	v_fmac_f64_e32 v[38:39], v[32:33], v[222:223]
	v_add_f64 v[34:35], v[34:35], v[38:39]
	v_fmac_f64_e32 v[40:41], v[28:29], v[220:221]
	v_add_f64 v[34:35], v[34:35], v[40:41]
	;; [unrolled: 2-line block ×3, first 2 shown]
	v_add_f64 v[34:35], v[34:35], v[44:45]
	v_fmac_f64_e32 v[48:49], v[12:13], v[216:217]
	v_add_f64 v[34:35], v[34:35], v[46:47]
	v_add_f64 v[34:35], v[34:35], v[48:49]
	v_fmac_f64_e32 v[52:53], v[4:5], v[214:215]
	v_add_f64 v[34:35], v[34:35], v[50:51]
	v_add_f64 v[42:43], v[34:35], v[52:53]
	ds_read_b128 v[38:41], v178 offset:784
	ds_read_b128 v[34:37], v178 offset:800
	buffer_load_dword v243, off, s[0:3], 0 offset:572
	buffer_load_dword v242, off, s[0:3], 0 offset:568
	buffer_load_dword v247, off, s[0:3], 0 offset:564
	buffer_load_dword v246, off, s[0:3], 0 offset:560
	buffer_load_dword v255, off, s[0:3], 0 offset:556
	buffer_load_dword v254, off, s[0:3], 0 offset:552
	buffer_load_dword v169, off, s[0:3], 0 offset:548
	buffer_load_dword v168, off, s[0:3], 0 offset:544
	ds_read_b128 v[114:117], v178 offset:1104
	v_mul_f64 v[32:33], v[32:33], v[188:189]
	s_waitcnt lgkmcnt(2)
	v_mul_f64 v[44:45], v[38:39], v[212:213]
	v_fmac_f64_e32 v[44:45], v[40:41], v[120:121]
	v_add_f64 v[46:47], v[42:43], v[44:45]
	ds_read_b128 v[42:45], v178 offset:816
	s_waitcnt lgkmcnt(2)
	v_mul_f64 v[48:49], v[34:35], v[138:139]
	v_fmac_f64_e32 v[48:49], v[36:37], v[142:143]
	v_add_f64 v[50:51], v[46:47], v[48:49]
	ds_read_b128 v[46:49], v178 offset:832
	;; [unrolled: 5-line block ×3, first 2 shown]
	s_waitcnt vmcnt(62) lgkmcnt(1)
	v_mul_f64 v[56:57], v[46:47], v[146:147]
	v_fmac_f64_e32 v[56:57], v[48:49], v[150:151]
	v_add_f64 v[58:59], v[54:55], v[56:57]
	ds_read_b128 v[54:57], v178 offset:864
	s_waitcnt lgkmcnt(1)
	v_mul_f64 v[60:61], v[50:51], v[126:127]
	v_fmac_f64_e32 v[60:61], v[52:53], v[128:129]
	v_add_f64 v[62:63], v[58:59], v[60:61]
	ds_read_b128 v[58:61], v178 offset:880
	s_waitcnt vmcnt(58) lgkmcnt(1)
	v_mul_f64 v[64:65], v[54:55], v[154:155]
	s_waitcnt vmcnt(56)
	v_fmac_f64_e32 v[64:65], v[56:57], v[158:159]
	v_add_f64 v[66:67], v[62:63], v[64:65]
	ds_read_b128 v[62:65], v178 offset:896
	s_waitcnt lgkmcnt(1)
	v_mul_f64 v[68:69], v[58:59], v[130:131]
	v_fmac_f64_e32 v[68:69], v[60:61], v[132:133]
	v_add_f64 v[70:71], v[66:67], v[68:69]
	ds_read_b128 v[66:69], v178 offset:912
	s_waitcnt vmcnt(50) lgkmcnt(1)
	v_mul_f64 v[72:73], v[62:63], v[162:163]
	s_waitcnt vmcnt(48)
	;; [unrolled: 11-line block ×5, first 2 shown]
	v_fmac_f64_e32 v[96:97], v[88:89], v[240:241]
	v_add_f64 v[98:99], v[94:95], v[96:97]
	ds_read_b128 v[94:97], v178 offset:1024
	s_waitcnt lgkmcnt(1)
	v_mul_f64 v[100:101], v[90:91], v[156:157]
	v_fmac_f64_e32 v[100:101], v[92:93], v[160:161]
	v_add_f64 v[170:171], v[98:99], v[100:101]
	ds_read_b128 v[98:101], v178 offset:1040
	ds_read_b128 v[102:105], v178 offset:1056
	s_waitcnt vmcnt(18) lgkmcnt(2)
	v_mul_f64 v[172:173], v[94:95], v[244:245]
	s_waitcnt vmcnt(16)
	v_fmac_f64_e32 v[172:173], v[96:97], v[248:249]
	v_add_f64 v[170:171], v[170:171], v[172:173]
	s_waitcnt lgkmcnt(1)
	v_mul_f64 v[172:173], v[98:99], v[164:165]
	v_fmac_f64_e32 v[172:173], v[100:101], v[224:225]
	v_add_f64 v[170:171], v[170:171], v[172:173]
	v_fma_f64 v[172:173], v[110:111], v[106:107], -v[108:109]
	ds_read_b128 v[110:113], v178 offset:1072
	ds_read_b128 v[106:109], v178 offset:1088
	s_waitcnt vmcnt(10) lgkmcnt(2)
	v_mul_f64 v[180:181], v[102:103], v[250:251]
	s_waitcnt vmcnt(8)
	v_fmac_f64_e32 v[180:181], v[104:105], v[252:253]
	v_add_f64 v[170:171], v[170:171], v[180:181]
	s_waitcnt lgkmcnt(1)
	v_mul_f64 v[176:177], v[110:111], v[228:229]
	v_fmac_f64_e32 v[176:177], v[112:113], v[232:233]
	v_add_f64 v[170:171], v[170:171], v[176:177]
	s_waitcnt vmcnt(2) lgkmcnt(0)
	v_mul_f64 v[176:177], v[106:107], v[254:255]
	s_waitcnt vmcnt(0)
	v_fmac_f64_e32 v[176:177], v[108:109], v[168:169]
	v_add_f64 v[170:171], v[170:171], v[176:177]
	v_mul_f64 v[176:177], v[114:115], v[242:243]
	v_fmac_f64_e32 v[176:177], v[116:117], v[246:247]
	v_add_f64 v[170:171], v[170:171], v[176:177]
	buffer_load_dword v176, off, s[0:3], 0 offset:72
	buffer_load_dword v177, off, s[0:3], 0 offset:76
	v_add_f64 v[172:173], v[172:173], 0
	v_add_f64 v[172:173], v[172:173], v[174:175]
	v_fma_f64 v[30:31], v[30:31], v[222:223], -v[32:33]
	v_mul_f64 v[28:29], v[28:29], v[194:195]
	v_add_f64 v[30:31], v[172:173], v[30:31]
	v_fma_f64 v[26:27], v[26:27], v[220:221], -v[28:29]
	v_add_f64 v[26:27], v[30:31], v[26:27]
	v_mul_f64 v[20:21], v[20:21], v[200:201]
	v_add_f64 v[22:23], v[26:27], v[22:23]
	v_fma_f64 v[18:19], v[18:19], v[218:219], -v[20:21]
	v_add_f64 v[18:19], v[22:23], v[18:19]
	;; [unrolled: 4-line block ×3, first 2 shown]
	v_mul_f64 v[4:5], v[4:5], v[206:207]
	v_add_f64 v[6:7], v[10:11], v[6:7]
	v_fma_f64 v[2:3], v[2:3], v[214:215], -v[4:5]
	v_mul_f64 v[4:5], v[40:41], v[212:213]
	v_add_f64 v[2:3], v[6:7], v[2:3]
	v_fma_f64 v[4:5], v[38:39], v[120:121], -v[4:5]
	v_add_f64 v[2:3], v[2:3], v[4:5]
	v_mul_f64 v[4:5], v[36:37], v[138:139]
	v_fma_f64 v[4:5], v[34:35], v[142:143], -v[4:5]
	v_add_f64 v[2:3], v[2:3], v[4:5]
	v_mul_f64 v[4:5], v[44:45], v[122:123]
	;; [unrolled: 3-line block ×20, first 2 shown]
	v_fma_f64 v[4:5], v[114:115], v[246:247], -v[4:5]
	v_add_f64 v[2:3], v[2:3], v[4:5]
	v_add_f64 v[2:3], v[208:209], -v[2:3]
	s_waitcnt vmcnt(0)
	v_add_f64 v[4:5], v[176:177], -v[170:171]
	buffer_store_dword v3, off, s[0:3], 0 offset:68
	buffer_store_dword v2, off, s[0:3], 0 offset:64
	;; [unrolled: 1-line block ×4, first 2 shown]
	s_and_saveexec_b64 s[4:5], vcc
	s_cbranch_execz .LBB34_219
; %bb.218:
	v_accvgpr_read_b32 v5, a96
	buffer_load_dword v2, v5, s[0:3], 0 offen
	buffer_load_dword v3, v5, s[0:3], 0 offen offset:4
	buffer_load_dword v4, v5, s[0:3], 0 offen offset:8
	s_nop 0
	buffer_load_dword v5, v5, s[0:3], 0 offen offset:12
	s_nop 0
	buffer_store_dword v178, off, s[0:3], 0 offset:48
	buffer_store_dword v178, off, s[0:3], 0 offset:52
	;; [unrolled: 1-line block ×4, first 2 shown]
	s_waitcnt vmcnt(4)
	ds_write_b128 v1, v[2:5]
.LBB34_219:
	s_or_b64 exec, exec, s[4:5]
	s_waitcnt lgkmcnt(0)
	; wave barrier
	s_waitcnt lgkmcnt(0)
	buffer_load_dword v112, off, s[0:3], 0 offset:64
	buffer_load_dword v113, off, s[0:3], 0 offset:68
	;; [unrolled: 1-line block ×36, first 2 shown]
	ds_read_b128 v[102:105], v178 offset:608
	ds_read_b128 v[106:109], v178 offset:624
	;; [unrolled: 1-line block ×9, first 2 shown]
	buffer_load_dword v213, off, s[0:3], 0 offset:236
	buffer_load_dword v212, off, s[0:3], 0 offset:232
	;; [unrolled: 1-line block ×78, first 2 shown]
	v_cmp_lt_u32_e32 vcc, 1, v0
	s_waitcnt vmcnt(62) lgkmcnt(8)
	v_mul_f64 v[26:27], v[102:103], v[170:171]
	v_fmac_f64_e32 v[26:27], v[104:105], v[112:113]
	v_add_f64 v[26:27], v[26:27], 0
	v_mul_f64 v[104:105], v[104:105], v[170:171]
	s_waitcnt lgkmcnt(7)
	v_mul_f64 v[28:29], v[106:107], v[172:173]
	v_fmac_f64_e32 v[28:29], v[108:109], v[110:111]
	s_waitcnt lgkmcnt(6)
	v_mul_f64 v[30:31], v[114:115], v[168:169]
	v_add_f64 v[26:27], v[26:27], v[28:29]
	s_waitcnt lgkmcnt(4)
	v_mul_f64 v[34:35], v[18:19], v[188:189]
	v_fma_f64 v[170:171], v[102:103], v[112:113], -v[104:105]
	v_fmac_f64_e32 v[34:35], v[20:21], v[190:191]
	v_mul_f64 v[108:109], v[108:109], v[172:173]
	v_mul_f64 v[32:33], v[22:23], v[192:193]
	v_fma_f64 v[172:173], v[106:107], v[110:111], -v[108:109]
	s_waitcnt lgkmcnt(2)
	v_mul_f64 v[38:39], v[10:11], v[194:195]
	v_add_f64 v[170:171], v[170:171], 0
	v_fmac_f64_e32 v[38:39], v[12:13], v[196:197]
	v_add_f64 v[170:171], v[170:171], v[172:173]
	v_mul_f64 v[36:37], v[14:15], v[200:201]
	v_mul_f64 v[20:21], v[20:21], v[188:189]
	s_waitcnt lgkmcnt(1)
	v_mul_f64 v[40:41], v[6:7], v[198:199]
	v_fma_f64 v[18:19], v[18:19], v[190:191], -v[20:21]
	v_fmac_f64_e32 v[30:31], v[116:117], v[174:175]
	v_add_f64 v[26:27], v[26:27], v[30:31]
	v_fmac_f64_e32 v[32:33], v[24:25], v[208:209]
	v_add_f64 v[26:27], v[26:27], v[32:33]
	;; [unrolled: 2-line block ×3, first 2 shown]
	v_add_f64 v[26:27], v[26:27], v[36:37]
	v_fmac_f64_e32 v[40:41], v[8:9], v[204:205]
	v_add_f64 v[30:31], v[26:27], v[38:39]
	ds_read_b128 v[26:29], v178 offset:752
	s_waitcnt lgkmcnt(1)
	v_mul_f64 v[32:33], v[2:3], v[202:203]
	v_add_f64 v[30:31], v[30:31], v[40:41]
	v_fmac_f64_e32 v[32:33], v[4:5], v[210:211]
	v_add_f64 v[34:35], v[30:31], v[32:33]
	ds_read_b128 v[30:33], v178 offset:768
	s_waitcnt lgkmcnt(1)
	v_mul_f64 v[36:37], v[26:27], v[216:217]
	buffer_load_dword v163, off, s[0:3], 0 offset:500
	buffer_load_dword v162, off, s[0:3], 0 offset:496
	v_fmac_f64_e32 v[36:37], v[28:29], v[218:219]
	v_add_f64 v[38:39], v[34:35], v[36:37]
	s_waitcnt lgkmcnt(0)
	v_mul_f64 v[40:41], v[30:31], v[212:213]
	ds_read_b128 v[34:37], v178 offset:784
	v_fmac_f64_e32 v[40:41], v[32:33], v[214:215]
	v_add_f64 v[42:43], v[38:39], v[40:41]
	ds_read_b128 v[38:41], v178 offset:800
	v_mul_f64 v[116:117], v[116:117], v[168:169]
	s_waitcnt lgkmcnt(1)
	v_mul_f64 v[44:45], v[34:35], v[128:129]
	v_fmac_f64_e32 v[44:45], v[36:37], v[130:131]
	v_add_f64 v[46:47], v[42:43], v[44:45]
	s_waitcnt lgkmcnt(0)
	v_mul_f64 v[48:49], v[38:39], v[120:121]
	v_fmac_f64_e32 v[48:49], v[40:41], v[122:123]
	ds_read_b128 v[42:45], v178 offset:816
	v_add_f64 v[50:51], v[46:47], v[48:49]
	ds_read_b128 v[46:49], v178 offset:832
	buffer_load_dword v165, off, s[0:3], 0 offset:556
	buffer_load_dword v167, off, s[0:3], 0 offset:540
	;; [unrolled: 1-line block ×12, first 2 shown]
	ds_read_b128 v[106:109], v178 offset:1072
	s_waitcnt vmcnt(62) lgkmcnt(2)
	v_mul_f64 v[52:53], v[42:43], v[222:223]
	v_fmac_f64_e32 v[52:53], v[44:45], v[224:225]
	v_add_f64 v[54:55], v[50:51], v[52:53]
	ds_read_b128 v[50:53], v178 offset:848
	s_waitcnt lgkmcnt(2)
	v_mul_f64 v[56:57], v[46:47], v[124:125]
	v_fmac_f64_e32 v[56:57], v[48:49], v[126:127]
	v_add_f64 v[58:59], v[54:55], v[56:57]
	ds_read_b128 v[54:57], v178 offset:864
	s_waitcnt lgkmcnt(1)
	v_mul_f64 v[60:61], v[50:51], v[146:147]
	s_waitcnt vmcnt(60)
	v_fmac_f64_e32 v[60:61], v[52:53], v[226:227]
	v_add_f64 v[62:63], v[58:59], v[60:61]
	ds_read_b128 v[58:61], v178 offset:880
	s_waitcnt lgkmcnt(1)
	v_mul_f64 v[64:65], v[54:55], v[132:133]
	v_fmac_f64_e32 v[64:65], v[56:57], v[134:135]
	v_add_f64 v[66:67], v[62:63], v[64:65]
	ds_read_b128 v[62:65], v178 offset:896
	s_waitcnt vmcnt(54) lgkmcnt(1)
	v_mul_f64 v[68:69], v[58:59], v[230:231]
	s_waitcnt vmcnt(52)
	v_fmac_f64_e32 v[68:69], v[60:61], v[234:235]
	v_add_f64 v[70:71], v[66:67], v[68:69]
	ds_read_b128 v[66:69], v178 offset:912
	s_waitcnt lgkmcnt(1)
	v_mul_f64 v[72:73], v[62:63], v[136:137]
	v_fmac_f64_e32 v[72:73], v[64:65], v[138:139]
	v_add_f64 v[74:75], v[70:71], v[72:73]
	ds_read_b128 v[70:73], v178 offset:928
	s_waitcnt vmcnt(46) lgkmcnt(1)
	;; [unrolled: 11-line block ×4, first 2 shown]
	v_mul_f64 v[92:93], v[82:83], v[156:157]
	s_waitcnt vmcnt(28)
	v_fmac_f64_e32 v[92:93], v[84:85], v[158:159]
	v_add_f64 v[98:99], v[90:91], v[92:93]
	ds_read_b128 v[90:93], v178 offset:1008
	ds_read_b128 v[94:97], v178 offset:1024
	s_waitcnt lgkmcnt(2)
	v_mul_f64 v[100:101], v[86:87], v[148:149]
	v_fmac_f64_e32 v[100:101], v[88:89], v[228:229]
	v_add_f64 v[98:99], v[98:99], v[100:101]
	s_waitcnt vmcnt(22) lgkmcnt(1)
	v_mul_f64 v[100:101], v[90:91], v[160:161]
	s_waitcnt vmcnt(20)
	v_fmac_f64_e32 v[100:101], v[92:93], v[244:245]
	v_add_f64 v[98:99], v[98:99], v[100:101]
	s_waitcnt lgkmcnt(0)
	v_mul_f64 v[100:101], v[94:95], v[232:233]
	v_fmac_f64_e32 v[100:101], v[96:97], v[150:151]
	v_add_f64 v[176:177], v[98:99], v[100:101]
	ds_read_b128 v[98:101], v178 offset:1040
	ds_read_b128 v[102:105], v178 offset:1056
	v_fma_f64 v[174:175], v[114:115], v[174:175], -v[116:117]
	ds_read_b128 v[114:117], v178 offset:1104
	v_mul_f64 v[24:25], v[24:25], v[192:193]
	s_waitcnt vmcnt(14) lgkmcnt(2)
	v_mul_f64 v[112:113], v[98:99], v[246:247]
	s_waitcnt lgkmcnt(1)
	v_mul_f64 v[110:111], v[102:103], v[152:153]
	s_waitcnt vmcnt(12)
	v_fmac_f64_e32 v[112:113], v[100:101], v[162:163]
	v_add_f64 v[112:113], v[176:177], v[112:113]
	v_fmac_f64_e32 v[110:111], v[104:105], v[154:155]
	v_add_f64 v[176:177], v[112:113], v[110:111]
	ds_read_b128 v[110:113], v178 offset:1088
	v_add_f64 v[170:171], v[170:171], v[174:175]
	v_fma_f64 v[22:23], v[22:23], v[208:209], -v[24:25]
	v_add_f64 v[22:23], v[170:171], v[22:23]
	s_waitcnt vmcnt(9)
	v_mul_f64 v[168:169], v[106:107], v[166:167]
	v_mul_f64 v[16:17], v[16:17], v[200:201]
	s_waitcnt vmcnt(7)
	v_fmac_f64_e32 v[168:169], v[108:109], v[252:253]
	v_add_f64 v[168:169], v[176:177], v[168:169]
	s_waitcnt vmcnt(6) lgkmcnt(0)
	v_mul_f64 v[176:177], v[110:111], v[164:165]
	s_waitcnt vmcnt(4)
	v_fmac_f64_e32 v[176:177], v[112:113], v[250:251]
	v_add_f64 v[168:169], v[168:169], v[176:177]
	s_waitcnt vmcnt(2)
	v_mul_f64 v[176:177], v[114:115], v[248:249]
	v_add_f64 v[18:19], v[22:23], v[18:19]
	s_waitcnt vmcnt(0)
	v_fmac_f64_e32 v[176:177], v[116:117], v[254:255]
	v_add_f64 v[168:169], v[168:169], v[176:177]
	buffer_load_dword v178, off, s[0:3], 0 offset:48
	buffer_load_dword v179, off, s[0:3], 0 offset:52
	;; [unrolled: 1-line block ×4, first 2 shown]
	v_fma_f64 v[14:15], v[14:15], v[206:207], -v[16:17]
	v_mul_f64 v[12:13], v[12:13], v[194:195]
	v_add_f64 v[14:15], v[18:19], v[14:15]
	v_fma_f64 v[10:11], v[10:11], v[196:197], -v[12:13]
	v_mul_f64 v[8:9], v[8:9], v[198:199]
	v_add_f64 v[10:11], v[14:15], v[10:11]
	;; [unrolled: 3-line block ×4, first 2 shown]
	v_fma_f64 v[4:5], v[26:27], v[218:219], -v[4:5]
	v_add_f64 v[2:3], v[2:3], v[4:5]
	v_mul_f64 v[4:5], v[32:33], v[212:213]
	v_fma_f64 v[4:5], v[30:31], v[214:215], -v[4:5]
	v_add_f64 v[2:3], v[2:3], v[4:5]
	v_mul_f64 v[4:5], v[36:37], v[128:129]
	;; [unrolled: 3-line block ×22, first 2 shown]
	v_fma_f64 v[4:5], v[114:115], v[254:255], -v[4:5]
	v_add_f64 v[2:3], v[2:3], v[4:5]
	s_waitcnt vmcnt(2)
	v_add_f64 v[2:3], v[178:179], -v[2:3]
	s_waitcnt vmcnt(0)
	v_add_f64 v[4:5], v[176:177], -v[168:169]
	buffer_store_dword v3, off, s[0:3], 0 offset:52
	buffer_store_dword v2, off, s[0:3], 0 offset:48
	;; [unrolled: 1-line block ×4, first 2 shown]
	s_and_saveexec_b64 s[4:5], vcc
	s_cbranch_execz .LBB34_221
; %bb.220:
	v_accvgpr_read_b32 v5, a95
	buffer_load_dword v2, v5, s[0:3], 0 offen
	buffer_load_dword v3, v5, s[0:3], 0 offen offset:4
	buffer_load_dword v4, v5, s[0:3], 0 offen offset:8
	s_nop 0
	buffer_load_dword v5, v5, s[0:3], 0 offen offset:12
	v_mov_b32_e32 v6, 0
	buffer_store_dword v6, off, s[0:3], 0 offset:32
	buffer_store_dword v6, off, s[0:3], 0 offset:36
	;; [unrolled: 1-line block ×4, first 2 shown]
	s_waitcnt vmcnt(4)
	ds_write_b128 v1, v[2:5]
.LBB34_221:
	s_or_b64 exec, exec, s[4:5]
	s_waitcnt lgkmcnt(0)
	; wave barrier
	s_waitcnt lgkmcnt(0)
	buffer_load_dword v94, off, s[0:3], 0 offset:48
	buffer_load_dword v95, off, s[0:3], 0 offset:52
	;; [unrolled: 1-line block ×52, first 2 shown]
	v_mov_b32_e32 v178, 0
	ds_read_b128 v[102:105], v178 offset:592
	ds_read_b128 v[114:117], v178 offset:608
	;; [unrolled: 1-line block ×10, first 2 shown]
	v_cmp_ne_u32_e32 vcc, 0, v0
	s_waitcnt vmcnt(48) lgkmcnt(9)
	v_mul_f64 v[26:27], v[102:103], v[96:97]
	v_fmac_f64_e32 v[26:27], v[104:105], v[94:95]
	v_add_f64 v[26:27], v[26:27], 0
	v_mul_f64 v[96:97], v[104:105], v[96:97]
	s_waitcnt vmcnt(44) lgkmcnt(8)
	v_mul_f64 v[28:29], v[114:115], v[100:101]
	v_fmac_f64_e32 v[28:29], v[116:117], v[98:99]
	s_waitcnt vmcnt(42) lgkmcnt(7)
	v_mul_f64 v[30:31], v[168:169], v[106:107]
	v_add_f64 v[26:27], v[26:27], v[28:29]
	s_waitcnt vmcnt(40) lgkmcnt(5)
	v_mul_f64 v[34:35], v[22:23], v[190:191]
	v_fma_f64 v[180:181], v[102:103], v[94:95], -v[96:97]
	s_waitcnt vmcnt(38)
	v_fmac_f64_e32 v[34:35], v[24:25], v[194:195]
	v_mul_f64 v[100:101], v[116:117], v[100:101]
	s_waitcnt vmcnt(36)
	v_mul_f64 v[32:33], v[174:175], v[110:111]
	v_fma_f64 v[182:183], v[114:115], v[98:99], -v[100:101]
	s_waitcnt vmcnt(34) lgkmcnt(3)
	v_mul_f64 v[38:39], v[14:15], v[188:189]
	v_mul_f64 v[106:107], v[170:171], v[106:107]
	s_waitcnt vmcnt(32)
	v_fmac_f64_e32 v[38:39], v[16:17], v[192:193]
	v_mul_f64 v[110:111], v[176:177], v[110:111]
	s_waitcnt vmcnt(30)
	v_mul_f64 v[36:37], v[18:19], v[200:201]
	v_mul_f64 v[24:25], v[24:25], v[190:191]
	v_fma_f64 v[22:23], v[22:23], v[194:195], -v[24:25]
	s_waitcnt vmcnt(27) lgkmcnt(2)
	v_mul_f64 v[40:41], v[10:11], v[198:199]
	s_waitcnt vmcnt(26) lgkmcnt(1)
	v_mul_f64 v[42:43], v[6:7], v[196:197]
	v_mul_f64 v[16:17], v[16:17], v[188:189]
	s_waitcnt vmcnt(24)
	v_fmac_f64_e32 v[30:31], v[170:171], v[108:109]
	v_add_f64 v[26:27], v[26:27], v[30:31]
	s_waitcnt vmcnt(22)
	v_fmac_f64_e32 v[32:33], v[176:177], v[112:113]
	v_add_f64 v[26:27], v[26:27], v[32:33]
	;; [unrolled: 3-line block ×3, first 2 shown]
	v_add_f64 v[26:27], v[26:27], v[36:37]
	s_waitcnt vmcnt(18)
	v_fmac_f64_e32 v[40:41], v[12:13], v[202:203]
	v_add_f64 v[26:27], v[26:27], v[38:39]
	v_add_f64 v[26:27], v[26:27], v[40:41]
	s_waitcnt vmcnt(16)
	v_fmac_f64_e32 v[42:43], v[8:9], v[208:209]
	v_add_f64 v[34:35], v[26:27], v[42:43]
	ds_read_b128 v[26:29], v178 offset:752
	ds_read_b128 v[30:33], v178 offset:768
	buffer_load_dword v121, off, s[0:3], 0 offset:284
	buffer_load_dword v120, off, s[0:3], 0 offset:280
	;; [unrolled: 1-line block ×56, first 2 shown]
	s_waitcnt vmcnt(62) lgkmcnt(2)
	v_mul_f64 v[36:37], v[2:3], v[212:213]
	v_fmac_f64_e32 v[36:37], v[4:5], v[214:215]
	v_add_f64 v[34:35], v[34:35], v[36:37]
	s_waitcnt lgkmcnt(1)
	v_mul_f64 v[36:37], v[26:27], v[206:207]
	v_fmac_f64_e32 v[36:37], v[28:29], v[210:211]
	v_add_f64 v[34:35], v[34:35], v[36:37]
	s_waitcnt lgkmcnt(0)
	v_mul_f64 v[36:37], v[30:31], v[216:217]
	s_waitcnt vmcnt(60)
	v_fmac_f64_e32 v[36:37], v[32:33], v[220:221]
	v_add_f64 v[42:43], v[34:35], v[36:37]
	ds_read_b128 v[34:37], v178 offset:784
	buffer_load_dword v165, off, s[0:3], 0 offset:508
	buffer_load_dword v164, off, s[0:3], 0 offset:504
	buffer_load_dword v227, off, s[0:3], 0 offset:500
	buffer_load_dword v226, off, s[0:3], 0 offset:496
	buffer_load_dword v243, off, s[0:3], 0 offset:492
	buffer_load_dword v242, off, s[0:3], 0 offset:488
	buffer_load_dword v247, off, s[0:3], 0 offset:484
	buffer_load_dword v246, off, s[0:3], 0 offset:480
	buffer_load_dword v231, off, s[0:3], 0 offset:540
	buffer_load_dword v230, off, s[0:3], 0 offset:536
	buffer_load_dword v235, off, s[0:3], 0 offset:532
	buffer_load_dword v234, off, s[0:3], 0 offset:528
	buffer_load_dword v251, off, s[0:3], 0 offset:524
	buffer_load_dword v250, off, s[0:3], 0 offset:520
	buffer_load_dword v253, off, s[0:3], 0 offset:516
	buffer_load_dword v252, off, s[0:3], 0 offset:512
	ds_read_b128 v[38:41], v178 offset:800
	buffer_load_dword v245, off, s[0:3], 0 offset:572
	buffer_load_dword v244, off, s[0:3], 0 offset:568
	;; [unrolled: 1-line block ×8, first 2 shown]
	ds_read_b128 v[98:101], v178 offset:1040
	s_waitcnt vmcnt(62) lgkmcnt(2)
	v_mul_f64 v[44:45], v[34:35], v[218:219]
	v_fmac_f64_e32 v[44:45], v[36:37], v[222:223]
	v_add_f64 v[46:47], v[42:43], v[44:45]
	ds_read_b128 v[42:45], v178 offset:816
	v_fma_f64 v[170:171], v[174:175], v[112:113], -v[110:111]
	v_mul_f64 v[20:21], v[20:21], v[200:201]
	v_fma_f64 v[18:19], v[18:19], v[204:205], -v[20:21]
	v_fma_f64 v[14:15], v[14:15], v[192:193], -v[16:17]
	v_mul_f64 v[12:13], v[12:13], v[198:199]
	v_fma_f64 v[10:11], v[10:11], v[202:203], -v[12:13]
	v_mul_f64 v[8:9], v[8:9], v[196:197]
	v_fma_f64 v[6:7], v[6:7], v[208:209], -v[8:9]
	v_mul_f64 v[4:5], v[4:5], v[212:213]
	v_fma_f64 v[2:3], v[2:3], v[214:215], -v[4:5]
	v_mul_f64 v[4:5], v[28:29], v[206:207]
	s_waitcnt lgkmcnt(2)
	v_mul_f64 v[48:49], v[38:39], v[136:137]
	v_fma_f64 v[4:5], v[26:27], v[210:211], -v[4:5]
	v_fmac_f64_e32 v[48:49], v[40:41], v[140:141]
	v_add_f64 v[50:51], v[46:47], v[48:49]
	ds_read_b128 v[46:49], v178 offset:832
	s_waitcnt lgkmcnt(1)
	v_mul_f64 v[52:53], v[42:43], v[120:121]
	v_fmac_f64_e32 v[52:53], v[44:45], v[122:123]
	v_add_f64 v[54:55], v[50:51], v[52:53]
	ds_read_b128 v[50:53], v178 offset:848
	s_waitcnt lgkmcnt(1)
	v_mul_f64 v[56:57], v[46:47], v[144:145]
	v_fmac_f64_e32 v[56:57], v[48:49], v[148:149]
	v_add_f64 v[58:59], v[54:55], v[56:57]
	ds_read_b128 v[54:57], v178 offset:864
	s_waitcnt lgkmcnt(1)
	v_mul_f64 v[60:61], v[50:51], v[124:125]
	v_fmac_f64_e32 v[60:61], v[52:53], v[126:127]
	v_add_f64 v[62:63], v[58:59], v[60:61]
	ds_read_b128 v[58:61], v178 offset:880
	s_waitcnt vmcnt(58) lgkmcnt(1)
	v_mul_f64 v[64:65], v[54:55], v[152:153]
	s_waitcnt vmcnt(56)
	v_fmac_f64_e32 v[64:65], v[56:57], v[156:157]
	v_add_f64 v[66:67], v[62:63], v[64:65]
	ds_read_b128 v[62:65], v178 offset:896
	s_waitcnt lgkmcnt(1)
	v_mul_f64 v[68:69], v[58:59], v[128:129]
	v_fmac_f64_e32 v[68:69], v[60:61], v[130:131]
	v_add_f64 v[70:71], v[66:67], v[68:69]
	ds_read_b128 v[66:69], v178 offset:912
	s_waitcnt vmcnt(50) lgkmcnt(1)
	v_mul_f64 v[72:73], v[62:63], v[160:161]
	s_waitcnt vmcnt(48)
	v_fmac_f64_e32 v[72:73], v[64:65], v[162:163]
	v_add_f64 v[74:75], v[70:71], v[72:73]
	ds_read_b128 v[70:73], v178 offset:928
	s_waitcnt lgkmcnt(1)
	v_mul_f64 v[76:77], v[66:67], v[132:133]
	;; [unrolled: 11-line block ×3, first 2 shown]
	v_fmac_f64_e32 v[84:85], v[76:77], v[142:143]
	v_add_f64 v[90:91], v[82:83], v[84:85]
	ds_read_b128 v[82:85], v178 offset:976
	ds_read_b128 v[86:89], v178 offset:992
	s_waitcnt vmcnt(34) lgkmcnt(2)
	v_mul_f64 v[92:93], v[78:79], v[232:233]
	s_waitcnt vmcnt(32)
	v_fmac_f64_e32 v[92:93], v[80:81], v[238:239]
	v_add_f64 v[90:91], v[90:91], v[92:93]
	s_waitcnt lgkmcnt(1)
	v_mul_f64 v[92:93], v[82:83], v[146:147]
	v_fmac_f64_e32 v[92:93], v[84:85], v[150:151]
	v_add_f64 v[90:91], v[90:91], v[92:93]
	s_waitcnt vmcnt(27) lgkmcnt(0)
	v_mul_f64 v[92:93], v[86:87], v[236:237]
	s_waitcnt vmcnt(25)
	v_fmac_f64_e32 v[92:93], v[88:89], v[240:241]
	v_add_f64 v[172:173], v[90:91], v[92:93]
	ds_read_b128 v[90:93], v178 offset:1008
	ds_read_b128 v[94:97], v178 offset:1024
	;; [unrolled: 1-line block ×3, first 2 shown]
	s_waitcnt lgkmcnt(2)
	v_mul_f64 v[102:103], v[90:91], v[154:155]
	s_waitcnt vmcnt(24)
	v_fmac_f64_e32 v[102:103], v[92:93], v[158:159]
	s_waitcnt vmcnt(18) lgkmcnt(1)
	v_mul_f64 v[104:105], v[94:95], v[242:243]
	v_add_f64 v[102:103], v[172:173], v[102:103]
	s_waitcnt vmcnt(16)
	v_fmac_f64_e32 v[104:105], v[96:97], v[246:247]
	v_add_f64 v[102:103], v[102:103], v[104:105]
	v_fma_f64 v[172:173], v[168:169], v[108:109], -v[106:107]
	ds_read_b128 v[106:109], v178 offset:1072
	v_mul_f64 v[104:105], v[98:99], v[164:165]
	v_fmac_f64_e32 v[104:105], v[100:101], v[226:227]
	v_add_f64 v[114:115], v[102:103], v[104:105]
	ds_read_b128 v[102:105], v178 offset:1056
	s_waitcnt vmcnt(10) lgkmcnt(0)
	v_mul_f64 v[116:117], v[102:103], v[250:251]
	s_waitcnt vmcnt(8)
	v_fmac_f64_e32 v[116:117], v[104:105], v[252:253]
	v_add_f64 v[114:115], v[114:115], v[116:117]
	v_mul_f64 v[116:117], v[106:107], v[230:231]
	v_fmac_f64_e32 v[116:117], v[108:109], v[234:235]
	v_add_f64 v[114:115], v[114:115], v[116:117]
	s_waitcnt vmcnt(2)
	v_mul_f64 v[116:117], v[110:111], v[254:255]
	s_waitcnt vmcnt(0)
	v_fmac_f64_e32 v[116:117], v[112:113], v[166:167]
	v_add_f64 v[168:169], v[114:115], v[116:117]
	ds_read_b128 v[114:117], v178 offset:1104
	buffer_load_dword v176, off, s[0:3], 0 offset:32
	buffer_load_dword v177, off, s[0:3], 0 offset:36
	s_waitcnt lgkmcnt(0)
	v_mul_f64 v[174:175], v[114:115], v[244:245]
	v_fmac_f64_e32 v[174:175], v[116:117], v[248:249]
	v_add_f64 v[168:169], v[168:169], v[174:175]
	v_add_f64 v[174:175], v[180:181], 0
	;; [unrolled: 1-line block ×4, first 2 shown]
	buffer_load_dword v172, off, s[0:3], 0 offset:40
	buffer_load_dword v173, off, s[0:3], 0 offset:44
	v_add_f64 v[170:171], v[174:175], v[170:171]
	v_add_f64 v[22:23], v[170:171], v[22:23]
	;; [unrolled: 1-line block ×8, first 2 shown]
	v_mul_f64 v[4:5], v[32:33], v[216:217]
	v_fma_f64 v[4:5], v[30:31], v[220:221], -v[4:5]
	v_add_f64 v[2:3], v[2:3], v[4:5]
	v_mul_f64 v[4:5], v[36:37], v[218:219]
	v_fma_f64 v[4:5], v[34:35], v[222:223], -v[4:5]
	v_add_f64 v[2:3], v[2:3], v[4:5]
	;; [unrolled: 3-line block ×22, first 2 shown]
	s_waitcnt vmcnt(2)
	v_add_f64 v[2:3], v[176:177], -v[2:3]
	s_waitcnt vmcnt(0)
	v_add_f64 v[4:5], v[172:173], -v[168:169]
	buffer_store_dword v3, off, s[0:3], 0 offset:36
	buffer_store_dword v2, off, s[0:3], 0 offset:32
	;; [unrolled: 1-line block ×4, first 2 shown]
	s_and_saveexec_b64 s[4:5], vcc
	s_cbranch_execz .LBB34_223
; %bb.222:
	buffer_load_dword v2, off, s[0:3], 0 offset:16
	buffer_load_dword v3, off, s[0:3], 0 offset:20
	;; [unrolled: 1-line block ×4, first 2 shown]
	s_nop 0
	buffer_store_dword v178, off, s[0:3], 0 offset:16
	buffer_store_dword v178, off, s[0:3], 0 offset:20
	;; [unrolled: 1-line block ×4, first 2 shown]
	s_waitcnt vmcnt(4)
	ds_write_b128 v1, v[2:5]
.LBB34_223:
	s_or_b64 exec, exec, s[4:5]
	s_waitcnt lgkmcnt(0)
	; wave barrier
	s_waitcnt lgkmcnt(0)
	buffer_load_dword v88, off, s[0:3], 0 offset:32
	buffer_load_dword v89, off, s[0:3], 0 offset:36
	;; [unrolled: 1-line block ×26, first 2 shown]
	ds_read_b128 v[84:87], v178 offset:576
	ds_read_b128 v[92:95], v178 offset:592
	;; [unrolled: 1-line block ×6, first 2 shown]
	buffer_load_dword v193, off, s[0:3], 0 offset:116
	buffer_load_dword v192, off, s[0:3], 0 offset:112
	ds_read_b128 v[4:7], v178 offset:672
	buffer_load_dword v195, off, s[0:3], 0 offset:172
	buffer_load_dword v194, off, s[0:3], 0 offset:168
	;; [unrolled: 1-line block ×72, first 2 shown]
	s_and_b64 vcc, exec, s[20:21]
	s_waitcnt vmcnt(62) lgkmcnt(6)
	v_mul_f64 v[8:9], v[84:85], v[90:91]
	v_fmac_f64_e32 v[8:9], v[86:87], v[88:89]
	v_add_f64 v[8:9], v[8:9], 0
	v_mul_f64 v[86:87], v[86:87], v[90:91]
	s_waitcnt lgkmcnt(5)
	v_mul_f64 v[10:11], v[92:93], v[112:113]
	v_fmac_f64_e32 v[10:11], v[94:95], v[100:101]
	s_waitcnt lgkmcnt(4)
	v_mul_f64 v[12:13], v[96:97], v[102:103]
	v_add_f64 v[8:9], v[8:9], v[10:11]
	s_waitcnt lgkmcnt(2)
	v_mul_f64 v[16:17], v[108:109], v[114:115]
	v_fma_f64 v[180:181], v[84:85], v[88:89], -v[86:87]
	v_mul_f64 v[94:95], v[94:95], v[112:113]
	v_mul_f64 v[14:15], v[104:105], v[168:169]
	s_waitcnt lgkmcnt(1)
	v_mul_f64 v[18:19], v[0:1], v[116:117]
	v_fmac_f64_e32 v[12:13], v[98:99], v[172:173]
	v_add_f64 v[8:9], v[8:9], v[12:13]
	v_fmac_f64_e32 v[14:15], v[106:107], v[170:171]
	v_fmac_f64_e32 v[16:17], v[110:111], v[166:167]
	v_add_f64 v[8:9], v[8:9], v[14:15]
	v_add_f64 v[8:9], v[8:9], v[16:17]
	v_mul_f64 v[98:99], v[98:99], v[102:103]
	s_waitcnt lgkmcnt(0)
	v_mul_f64 v[14:15], v[4:5], v[188:189]
	v_fmac_f64_e32 v[14:15], v[6:7], v[190:191]
	v_fmac_f64_e32 v[18:19], v[2:3], v[192:193]
	v_add_f64 v[12:13], v[8:9], v[18:19]
	ds_read_b128 v[8:11], v178 offset:688
	v_add_f64 v[20:21], v[12:13], v[14:15]
	ds_read_b128 v[12:15], v178 offset:704
	ds_read_b128 v[16:19], v178 offset:720
	v_fma_f64 v[172:173], v[96:97], v[172:173], -v[98:99]
	s_waitcnt lgkmcnt(2)
	v_mul_f64 v[22:23], v[8:9], v[198:199]
	v_fmac_f64_e32 v[22:23], v[10:11], v[200:201]
	v_add_f64 v[20:21], v[20:21], v[22:23]
	s_waitcnt lgkmcnt(1)
	v_mul_f64 v[22:23], v[12:13], v[194:195]
	v_fmac_f64_e32 v[22:23], v[14:15], v[196:197]
	v_add_f64 v[24:25], v[20:21], v[22:23]
	ds_read_b128 v[20:23], v178 offset:736
	s_waitcnt vmcnt(58) lgkmcnt(1)
	v_mul_f64 v[26:27], v[16:17], v[206:207]
	s_waitcnt vmcnt(56)
	v_fmac_f64_e32 v[26:27], v[18:19], v[208:209]
	buffer_load_dword v131, off, s[0:3], 0 offset:460
	buffer_load_dword v130, off, s[0:3], 0 offset:456
	;; [unrolled: 1-line block ×8, first 2 shown]
	v_add_f64 v[28:29], v[24:25], v[26:27]
	ds_read_b128 v[24:27], v178 offset:752
	s_waitcnt lgkmcnt(1)
	v_mul_f64 v[30:31], v[20:21], v[202:203]
	v_fmac_f64_e32 v[30:31], v[22:23], v[204:205]
	v_add_f64 v[32:33], v[28:29], v[30:31]
	ds_read_b128 v[28:31], v178 offset:768
	s_waitcnt vmcnt(58) lgkmcnt(1)
	v_mul_f64 v[34:35], v[24:25], v[214:215]
	s_waitcnt vmcnt(56)
	v_fmac_f64_e32 v[34:35], v[26:27], v[216:217]
	v_add_f64 v[36:37], v[32:33], v[34:35]
	ds_read_b128 v[32:35], v178 offset:784
	s_waitcnt lgkmcnt(1)
	v_mul_f64 v[38:39], v[28:29], v[210:211]
	v_fmac_f64_e32 v[38:39], v[30:31], v[212:213]
	v_add_f64 v[40:41], v[36:37], v[38:39]
	ds_read_b128 v[36:39], v178 offset:800
	s_waitcnt vmcnt(50) lgkmcnt(1)
	v_mul_f64 v[42:43], v[32:33], v[224:225]
	s_waitcnt vmcnt(48)
	v_fmac_f64_e32 v[42:43], v[34:35], v[226:227]
	v_add_f64 v[44:45], v[40:41], v[42:43]
	ds_read_b128 v[40:43], v178 offset:816
	buffer_load_dword v139, off, s[0:3], 0 offset:476
	buffer_load_dword v138, off, s[0:3], 0 offset:472
	;; [unrolled: 1-line block ×4, first 2 shown]
	s_waitcnt lgkmcnt(1)
	v_mul_f64 v[46:47], v[36:37], v[218:219]
	v_fmac_f64_e32 v[46:47], v[38:39], v[220:221]
	v_add_f64 v[48:49], v[44:45], v[46:47]
	ds_read_b128 v[44:47], v178 offset:832
	buffer_load_dword v143, off, s[0:3], 0 offset:492
	buffer_load_dword v142, off, s[0:3], 0 offset:488
	;; [unrolled: 1-line block ×8, first 2 shown]
	s_waitcnt vmcnt(54) lgkmcnt(1)
	v_mul_f64 v[50:51], v[40:41], v[242:243]
	s_waitcnt vmcnt(52)
	v_fmac_f64_e32 v[50:51], v[42:43], v[246:247]
	v_add_f64 v[52:53], v[48:49], v[50:51]
	ds_read_b128 v[48:51], v178 offset:848
	buffer_load_dword v153, off, s[0:3], 0 offset:524
	buffer_load_dword v152, off, s[0:3], 0 offset:520
	;; [unrolled: 1-line block ×12, first 2 shown]
	s_waitcnt lgkmcnt(1)
	v_mul_f64 v[54:55], v[44:45], v[222:223]
	v_fmac_f64_e32 v[54:55], v[46:47], v[228:229]
	v_add_f64 v[56:57], v[52:53], v[54:55]
	ds_read_b128 v[52:55], v178 offset:864
	buffer_load_dword v163, off, s[0:3], 0 offset:572
	buffer_load_dword v162, off, s[0:3], 0 offset:568
	;; [unrolled: 1-line block ×4, first 2 shown]
	s_waitcnt vmcnt(62) lgkmcnt(1)
	v_mul_f64 v[58:59], v[48:49], v[250:251]
	s_waitcnt vmcnt(60)
	v_fmac_f64_e32 v[58:59], v[50:51], v[252:253]
	v_add_f64 v[60:61], v[56:57], v[58:59]
	ds_read_b128 v[56:59], v178 offset:880
	s_waitcnt lgkmcnt(1)
	v_mul_f64 v[62:63], v[52:53], v[230:231]
	v_fmac_f64_e32 v[62:63], v[54:55], v[232:233]
	v_add_f64 v[64:65], v[60:61], v[62:63]
	ds_read_b128 v[60:63], v178 offset:896
	s_waitcnt vmcnt(54) lgkmcnt(1)
	v_mul_f64 v[66:67], v[56:57], v[254:255]
	s_waitcnt vmcnt(52)
	v_fmac_f64_e32 v[66:67], v[58:59], v[120:121]
	v_add_f64 v[68:69], v[64:65], v[66:67]
	ds_read_b128 v[64:67], v178 offset:912
	s_waitcnt lgkmcnt(1)
	v_mul_f64 v[70:71], v[60:61], v[234:235]
	v_fmac_f64_e32 v[70:71], v[62:63], v[236:237]
	v_add_f64 v[76:77], v[68:69], v[70:71]
	ds_read_b128 v[68:71], v178 offset:928
	ds_read_b128 v[72:75], v178 offset:944
	s_waitcnt vmcnt(46) lgkmcnt(2)
	v_mul_f64 v[78:79], v[64:65], v[122:123]
	s_waitcnt vmcnt(44)
	v_fmac_f64_e32 v[78:79], v[66:67], v[124:125]
	v_add_f64 v[76:77], v[76:77], v[78:79]
	s_waitcnt lgkmcnt(1)
	v_mul_f64 v[78:79], v[68:69], v[238:239]
	v_fmac_f64_e32 v[78:79], v[70:71], v[240:241]
	v_add_f64 v[80:81], v[76:77], v[78:79]
	ds_read_b128 v[76:79], v178 offset:960
	s_waitcnt vmcnt(38) lgkmcnt(1)
	v_mul_f64 v[82:83], v[72:73], v[126:127]
	s_waitcnt vmcnt(36)
	v_fmac_f64_e32 v[82:83], v[74:75], v[128:129]
	v_add_f64 v[174:175], v[80:81], v[82:83]
	ds_read_b128 v[80:83], v178 offset:976
	ds_read_b128 v[84:87], v178 offset:992
	s_waitcnt lgkmcnt(2)
	v_mul_f64 v[176:177], v[76:77], v[244:245]
	v_fmac_f64_e32 v[176:177], v[78:79], v[248:249]
	v_add_f64 v[88:89], v[174:175], v[176:177]
	v_fma_f64 v[176:177], v[92:93], v[100:101], -v[94:95]
	ds_read_b128 v[96:99], v178 offset:1040
	v_mul_f64 v[106:107], v[106:107], v[168:169]
	v_fma_f64 v[168:169], v[104:105], v[170:171], -v[106:107]
	ds_read_b128 v[104:107], v178 offset:1072
	ds_read_b128 v[92:95], v178 offset:1024
	v_mul_f64 v[110:111], v[110:111], v[114:115]
	v_fma_f64 v[170:171], v[108:109], v[166:167], -v[110:111]
	v_mul_f64 v[2:3], v[2:3], v[116:117]
	v_fma_f64 v[0:1], v[0:1], v[192:193], -v[2:3]
	s_waitcnt vmcnt(30) lgkmcnt(4)
	v_mul_f64 v[90:91], v[80:81], v[134:135]
	v_mul_f64 v[2:3], v[6:7], v[188:189]
	s_waitcnt vmcnt(28)
	v_fmac_f64_e32 v[90:91], v[82:83], v[136:137]
	v_add_f64 v[88:89], v[88:89], v[90:91]
	s_waitcnt lgkmcnt(3)
	v_mul_f64 v[90:91], v[84:85], v[130:131]
	v_fmac_f64_e32 v[90:91], v[86:87], v[132:133]
	v_add_f64 v[174:175], v[88:89], v[90:91]
	ds_read_b128 v[88:91], v178 offset:1008
	v_fma_f64 v[2:3], v[4:5], v[190:191], -v[2:3]
	ds_read_b128 v[108:111], v178 offset:1088
	s_waitcnt vmcnt(26) lgkmcnt(1)
	v_mul_f64 v[100:101], v[88:89], v[138:139]
	s_waitcnt vmcnt(22)
	v_mul_f64 v[102:103], v[92:93], v[142:143]
	v_fmac_f64_e32 v[100:101], v[90:91], v[140:141]
	v_add_f64 v[100:101], v[174:175], v[100:101]
	s_waitcnt vmcnt(20)
	v_fmac_f64_e32 v[102:103], v[94:95], v[146:147]
	v_add_f64 v[100:101], v[100:101], v[102:103]
	s_waitcnt vmcnt(18)
	v_mul_f64 v[102:103], v[96:97], v[144:145]
	s_waitcnt vmcnt(16)
	v_fmac_f64_e32 v[102:103], v[98:99], v[148:149]
	v_add_f64 v[112:113], v[100:101], v[102:103]
	ds_read_b128 v[100:103], v178 offset:1056
	s_waitcnt vmcnt(9)
	v_mul_f64 v[114:115], v[104:105], v[156:157]
	s_waitcnt vmcnt(7)
	v_fmac_f64_e32 v[114:115], v[106:107], v[160:161]
	s_waitcnt lgkmcnt(0)
	v_mul_f64 v[174:175], v[100:101], v[152:153]
	v_fmac_f64_e32 v[174:175], v[102:103], v[154:155]
	v_add_f64 v[112:113], v[112:113], v[174:175]
	v_add_f64 v[112:113], v[112:113], v[114:115]
	s_waitcnt vmcnt(6)
	v_mul_f64 v[114:115], v[108:109], v[150:151]
	s_waitcnt vmcnt(4)
	v_fmac_f64_e32 v[114:115], v[110:111], v[158:159]
	v_add_f64 v[166:167], v[112:113], v[114:115]
	ds_read_b128 v[112:115], v178 offset:1104
	s_waitcnt vmcnt(2) lgkmcnt(0)
	v_mul_f64 v[174:175], v[112:113], v[162:163]
	s_waitcnt vmcnt(0)
	v_fmac_f64_e32 v[174:175], v[114:115], v[164:165]
	v_add_f64 v[166:167], v[166:167], v[174:175]
	v_add_f64 v[174:175], v[180:181], 0
	;; [unrolled: 1-line block ×3, first 2 shown]
	buffer_load_dword v176, off, s[0:3], 0 offset:16
	buffer_load_dword v177, off, s[0:3], 0 offset:20
	v_add_f64 v[174:175], v[174:175], v[172:173]
	buffer_load_dword v172, off, s[0:3], 0 offset:24
	buffer_load_dword v173, off, s[0:3], 0 offset:28
	v_add_f64 v[168:169], v[174:175], v[168:169]
	v_add_f64 v[168:169], v[168:169], v[170:171]
	;; [unrolled: 1-line block ×4, first 2 shown]
	v_mul_f64 v[2:3], v[10:11], v[198:199]
	v_fma_f64 v[2:3], v[8:9], v[200:201], -v[2:3]
	v_add_f64 v[0:1], v[0:1], v[2:3]
	v_mul_f64 v[2:3], v[14:15], v[194:195]
	v_fma_f64 v[2:3], v[12:13], v[196:197], -v[2:3]
	v_add_f64 v[0:1], v[0:1], v[2:3]
	;; [unrolled: 3-line block ×27, first 2 shown]
	s_waitcnt vmcnt(2)
	v_add_f64 v[0:1], v[176:177], -v[0:1]
	s_waitcnt vmcnt(0)
	v_add_f64 v[2:3], v[172:173], -v[166:167]
	buffer_store_dword v1, off, s[0:3], 0 offset:20
	buffer_store_dword v0, off, s[0:3], 0 offset:16
	;; [unrolled: 1-line block ×4, first 2 shown]
	s_cbranch_vccz .LBB34_293
; %bb.224:
	v_pk_mov_b32 v[0:1], s[10:11], s[10:11] op_sel:[0,1]
	flat_load_dword v0, v[0:1] offset:132
	s_waitcnt vmcnt(0) lgkmcnt(0)
	v_add_u32_e32 v0, -1, v0
	v_cmp_ne_u32_e32 vcc, 33, v0
	s_and_saveexec_b64 s[4:5], vcc
	s_cbranch_execz .LBB34_226
; %bb.225:
	v_mov_b32_e32 v1, 16
	v_accvgpr_read_b32 v9, a65
	v_lshl_add_u32 v0, v0, 4, v1
	buffer_load_dword v1, v9, s[0:3], 0 offen offset:4
	buffer_load_dword v2, v9, s[0:3], 0 offen offset:8
	buffer_load_dword v3, v9, s[0:3], 0 offen offset:12
	buffer_load_dword v4, v0, s[0:3], 0 offen
	buffer_load_dword v5, v0, s[0:3], 0 offen offset:4
	buffer_load_dword v6, v0, s[0:3], 0 offen offset:8
	buffer_load_dword v7, v0, s[0:3], 0 offen offset:12
	buffer_load_dword v8, v9, s[0:3], 0 offen
	s_waitcnt vmcnt(4)
	buffer_store_dword v4, v9, s[0:3], 0 offen
	s_waitcnt vmcnt(4)
	buffer_store_dword v5, v9, s[0:3], 0 offen offset:4
	s_waitcnt vmcnt(4)
	buffer_store_dword v6, v9, s[0:3], 0 offen offset:8
	s_waitcnt vmcnt(4)
	buffer_store_dword v7, v9, s[0:3], 0 offen offset:12
	buffer_store_dword v3, v0, s[0:3], 0 offen offset:12
	buffer_store_dword v2, v0, s[0:3], 0 offen offset:8
	buffer_store_dword v1, v0, s[0:3], 0 offen offset:4
	s_waitcnt vmcnt(7)
	buffer_store_dword v8, v0, s[0:3], 0 offen
.LBB34_226:
	s_or_b64 exec, exec, s[4:5]
	v_pk_mov_b32 v[0:1], s[10:11], s[10:11] op_sel:[0,1]
	flat_load_dword v0, v[0:1] offset:128
	s_waitcnt vmcnt(0) lgkmcnt(0)
	v_add_u32_e32 v0, -1, v0
	v_cmp_ne_u32_e32 vcc, 32, v0
	s_and_saveexec_b64 s[4:5], vcc
	s_cbranch_execz .LBB34_228
; %bb.227:
	v_mov_b32_e32 v1, 16
	v_accvgpr_read_b32 v9, a66
	v_lshl_add_u32 v0, v0, 4, v1
	buffer_load_dword v1, v9, s[0:3], 0 offen offset:4
	buffer_load_dword v2, v9, s[0:3], 0 offen offset:8
	buffer_load_dword v3, v9, s[0:3], 0 offen offset:12
	buffer_load_dword v4, v0, s[0:3], 0 offen
	buffer_load_dword v5, v0, s[0:3], 0 offen offset:4
	buffer_load_dword v6, v0, s[0:3], 0 offen offset:8
	buffer_load_dword v7, v0, s[0:3], 0 offen offset:12
	buffer_load_dword v8, v9, s[0:3], 0 offen
	s_waitcnt vmcnt(4)
	buffer_store_dword v4, v9, s[0:3], 0 offen
	s_waitcnt vmcnt(4)
	buffer_store_dword v5, v9, s[0:3], 0 offen offset:4
	s_waitcnt vmcnt(4)
	buffer_store_dword v6, v9, s[0:3], 0 offen offset:8
	s_waitcnt vmcnt(4)
	buffer_store_dword v7, v9, s[0:3], 0 offen offset:12
	buffer_store_dword v3, v0, s[0:3], 0 offen offset:12
	buffer_store_dword v2, v0, s[0:3], 0 offen offset:8
	buffer_store_dword v1, v0, s[0:3], 0 offen offset:4
	s_waitcnt vmcnt(7)
	buffer_store_dword v8, v0, s[0:3], 0 offen
.LBB34_228:
	s_or_b64 exec, exec, s[4:5]
	;; [unrolled: 34-line block ×33, first 2 shown]
	v_pk_mov_b32 v[0:1], s[10:11], s[10:11] op_sel:[0,1]
	flat_load_dword v0, v[0:1]
	s_waitcnt vmcnt(0) lgkmcnt(0)
	v_add_u32_e32 v0, -1, v0
	v_cmp_ne_u32_e32 vcc, 0, v0
	s_and_saveexec_b64 s[4:5], vcc
	s_cbranch_execz .LBB34_292
; %bb.291:
	v_mov_b32_e32 v1, 16
	v_lshl_add_u32 v0, v0, 4, v1
	buffer_load_dword v1, v0, s[0:3], 0 offen
	buffer_load_dword v2, v0, s[0:3], 0 offen offset:4
	buffer_load_dword v3, v0, s[0:3], 0 offen offset:8
	;; [unrolled: 1-line block ×3, first 2 shown]
	buffer_load_dword v5, off, s[0:3], 0 offset:28
	buffer_load_dword v6, off, s[0:3], 0 offset:24
	;; [unrolled: 1-line block ×4, first 2 shown]
	s_waitcnt vmcnt(7)
	buffer_store_dword v1, off, s[0:3], 0 offset:16
	s_waitcnt vmcnt(7)
	buffer_store_dword v2, off, s[0:3], 0 offset:20
	;; [unrolled: 2-line block ×4, first 2 shown]
	s_waitcnt vmcnt(7)
	buffer_store_dword v5, v0, s[0:3], 0 offen offset:12
	s_waitcnt vmcnt(7)
	buffer_store_dword v6, v0, s[0:3], 0 offen offset:8
	;; [unrolled: 2-line block ×3, first 2 shown]
	s_waitcnt vmcnt(7)
	buffer_store_dword v8, v0, s[0:3], 0 offen
.LBB34_292:
	s_or_b64 exec, exec, s[4:5]
.LBB34_293:
	buffer_load_dword v0, off, s[0:3], 0 offset:16
	buffer_load_dword v1, off, s[0:3], 0 offset:20
	;; [unrolled: 1-line block ×4, first 2 shown]
	v_accvgpr_read_b32 v16, a95
	buffer_load_dword v4, v16, s[0:3], 0 offen
	buffer_load_dword v5, v16, s[0:3], 0 offen offset:4
	buffer_load_dword v6, v16, s[0:3], 0 offen offset:8
	;; [unrolled: 1-line block ×3, first 2 shown]
	v_accvgpr_read_b32 v20, a96
	buffer_load_dword v9, v20, s[0:3], 0 offen offset:4
	buffer_load_dword v10, v20, s[0:3], 0 offen offset:8
	;; [unrolled: 1-line block ×3, first 2 shown]
	v_accvgpr_read_b32 v21, a97
	buffer_load_dword v12, v21, s[0:3], 0 offen
	buffer_load_dword v13, v21, s[0:3], 0 offen offset:4
	buffer_load_dword v14, v21, s[0:3], 0 offen offset:8
	buffer_load_dword v8, v20, s[0:3], 0 offen
	buffer_load_dword v15, v21, s[0:3], 0 offen offset:12
	v_accvgpr_read_b32 v28, a93
	buffer_load_dword v17, v28, s[0:3], 0 offen offset:4
	buffer_load_dword v18, v28, s[0:3], 0 offen offset:8
	;; [unrolled: 1-line block ×3, first 2 shown]
	v_accvgpr_read_b32 v29, a94
                                        ; kill: killed $vgpr21
                                        ; kill: killed $vgpr20
                                        ; kill: killed $vgpr16
	buffer_load_dword v20, v29, s[0:3], 0 offen
	buffer_load_dword v21, v29, s[0:3], 0 offen offset:4
	buffer_load_dword v22, v29, s[0:3], 0 offen offset:8
	buffer_load_dword v16, v28, s[0:3], 0 offen
	buffer_load_dword v23, v29, s[0:3], 0 offen offset:12
	v_accvgpr_read_b32 v24, a92
	buffer_load_dword v25, v24, s[0:3], 0 offen offset:4
	buffer_load_dword v26, v24, s[0:3], 0 offen offset:8
	;; [unrolled: 1-line block ×3, first 2 shown]
	v_accvgpr_read_b32 v31, a91
                                        ; kill: killed $vgpr29
                                        ; kill: killed $vgpr28
	buffer_load_dword v28, v31, s[0:3], 0 offen
	buffer_load_dword v29, v31, s[0:3], 0 offen offset:4
	buffer_load_dword v30, v31, s[0:3], 0 offen offset:8
	s_nop 0
	buffer_load_dword v24, v24, s[0:3], 0 offen
	s_nop 0
	buffer_load_dword v31, v31, s[0:3], 0 offen offset:12
	v_accvgpr_read_b32 v32, a90
	buffer_load_dword v33, v32, s[0:3], 0 offen offset:4
	buffer_load_dword v34, v32, s[0:3], 0 offen offset:8
	buffer_load_dword v35, v32, s[0:3], 0 offen offset:12
	v_accvgpr_read_b32 v39, a89
	buffer_load_dword v36, v39, s[0:3], 0 offen
	buffer_load_dword v37, v39, s[0:3], 0 offen offset:4
	buffer_load_dword v38, v39, s[0:3], 0 offen offset:8
	s_nop 0
	buffer_load_dword v32, v32, s[0:3], 0 offen
	s_nop 0
	buffer_load_dword v39, v39, s[0:3], 0 offen offset:12
	v_accvgpr_read_b32 v40, a88
	buffer_load_dword v41, v40, s[0:3], 0 offen offset:4
	buffer_load_dword v42, v40, s[0:3], 0 offen offset:8
	buffer_load_dword v43, v40, s[0:3], 0 offen offset:12
	v_accvgpr_read_b32 v47, a87
	;; [unrolled: 12-line block ×12, first 2 shown]
	buffer_load_dword v128, v116, s[0:3], 0 offen
	buffer_load_dword v129, v116, s[0:3], 0 offen offset:4
	buffer_load_dword v130, v116, s[0:3], 0 offen offset:8
	buffer_load_dword v124, v117, s[0:3], 0 offen
	buffer_load_dword v131, v116, s[0:3], 0 offen offset:12
	v_accvgpr_read_b32 v117, a66
	v_accvgpr_read_b32 v116, a65
	buffer_load_dword v133, v117, s[0:3], 0 offen offset:4
	buffer_load_dword v134, v117, s[0:3], 0 offen offset:8
	;; [unrolled: 1-line block ×3, first 2 shown]
	buffer_load_dword v136, v116, s[0:3], 0 offen
	buffer_load_dword v137, v116, s[0:3], 0 offen offset:4
	buffer_load_dword v138, v116, s[0:3], 0 offen offset:8
	buffer_load_dword v132, v117, s[0:3], 0 offen
	buffer_load_dword v139, v116, s[0:3], 0 offen offset:12
	v_accvgpr_read_b32 v116, a64
	buffer_load_dword v140, v116, s[0:3], 0 offen
	buffer_load_dword v141, v116, s[0:3], 0 offen offset:4
	buffer_load_dword v142, v116, s[0:3], 0 offen offset:8
	;; [unrolled: 1-line block ×3, first 2 shown]
	s_waitcnt vmcnt(62)
	global_store_dwordx4 v[118:119], v[0:3], off
	s_nop 0
	v_accvgpr_read_b32 v0, a0
	v_accvgpr_read_b32 v1, a1
	global_store_dwordx4 v[0:1], v[4:7], off
	v_accvgpr_read_b32 v0, a2
	v_accvgpr_read_b32 v1, a3
	global_store_dwordx4 v[0:1], v[8:11], off
	;; [unrolled: 3-line block ×17, first 2 shown]
	v_accvgpr_read_b32 v0, a34
	v_accvgpr_read_b32 v1, a35
	s_waitcnt vmcnt(62)
	global_store_dwordx4 v[0:1], v[72:75], off
	v_accvgpr_read_b32 v0, a36
	v_accvgpr_read_b32 v1, a37
	global_store_dwordx4 v[0:1], v[76:79], off
	v_accvgpr_read_b32 v0, a38
	v_accvgpr_read_b32 v1, a39
	;; [unrolled: 3-line block ×6, first 2 shown]
	s_waitcnt vmcnt(61)
	global_store_dwordx4 v[0:1], v[96:99], off
	v_accvgpr_read_b32 v0, a48
	v_accvgpr_read_b32 v1, a49
	s_waitcnt vmcnt(61)
	global_store_dwordx4 v[0:1], v[100:103], off
	v_accvgpr_read_b32 v0, a50
	v_accvgpr_read_b32 v1, a51
	;; [unrolled: 4-line block ×8, first 2 shown]
	s_waitcnt vmcnt(37)
	global_store_dwordx4 v[0:1], v[132:135], off
	s_waitcnt vmcnt(37)
	global_store_dwordx4 v[184:185], v[136:139], off
	;; [unrolled: 2-line block ×3, first 2 shown]
	s_endpgm
	.section	.rodata,"a",@progbits
	.p2align	6, 0x0
	.amdhsa_kernel _ZN9rocsolver6v33100L18getri_kernel_smallILi35E19rocblas_complex_numIdEPS3_EEvT1_iilPiilS6_bb
		.amdhsa_group_segment_fixed_size 1128
		.amdhsa_private_segment_fixed_size 592
		.amdhsa_kernarg_size 60
		.amdhsa_user_sgpr_count 8
		.amdhsa_user_sgpr_private_segment_buffer 1
		.amdhsa_user_sgpr_dispatch_ptr 0
		.amdhsa_user_sgpr_queue_ptr 0
		.amdhsa_user_sgpr_kernarg_segment_ptr 1
		.amdhsa_user_sgpr_dispatch_id 0
		.amdhsa_user_sgpr_flat_scratch_init 1
		.amdhsa_user_sgpr_kernarg_preload_length 0
		.amdhsa_user_sgpr_kernarg_preload_offset 0
		.amdhsa_user_sgpr_private_segment_size 0
		.amdhsa_uses_dynamic_stack 0
		.amdhsa_system_sgpr_private_segment_wavefront_offset 1
		.amdhsa_system_sgpr_workgroup_id_x 1
		.amdhsa_system_sgpr_workgroup_id_y 0
		.amdhsa_system_sgpr_workgroup_id_z 0
		.amdhsa_system_sgpr_workgroup_info 0
		.amdhsa_system_vgpr_workitem_id 0
		.amdhsa_next_free_vgpr 354
		.amdhsa_next_free_sgpr 23
		.amdhsa_accum_offset 256
		.amdhsa_reserve_vcc 1
		.amdhsa_reserve_flat_scratch 1
		.amdhsa_float_round_mode_32 0
		.amdhsa_float_round_mode_16_64 0
		.amdhsa_float_denorm_mode_32 3
		.amdhsa_float_denorm_mode_16_64 3
		.amdhsa_dx10_clamp 1
		.amdhsa_ieee_mode 1
		.amdhsa_fp16_overflow 0
		.amdhsa_tg_split 0
		.amdhsa_exception_fp_ieee_invalid_op 0
		.amdhsa_exception_fp_denorm_src 0
		.amdhsa_exception_fp_ieee_div_zero 0
		.amdhsa_exception_fp_ieee_overflow 0
		.amdhsa_exception_fp_ieee_underflow 0
		.amdhsa_exception_fp_ieee_inexact 0
		.amdhsa_exception_int_div_zero 0
	.end_amdhsa_kernel
	.section	.text._ZN9rocsolver6v33100L18getri_kernel_smallILi35E19rocblas_complex_numIdEPS3_EEvT1_iilPiilS6_bb,"axG",@progbits,_ZN9rocsolver6v33100L18getri_kernel_smallILi35E19rocblas_complex_numIdEPS3_EEvT1_iilPiilS6_bb,comdat
.Lfunc_end34:
	.size	_ZN9rocsolver6v33100L18getri_kernel_smallILi35E19rocblas_complex_numIdEPS3_EEvT1_iilPiilS6_bb, .Lfunc_end34-_ZN9rocsolver6v33100L18getri_kernel_smallILi35E19rocblas_complex_numIdEPS3_EEvT1_iilPiilS6_bb
                                        ; -- End function
	.section	.AMDGPU.csdata,"",@progbits
; Kernel info:
; codeLenInByte = 85192
; NumSgprs: 29
; NumVgprs: 256
; NumAgprs: 98
; TotalNumVgprs: 354
; ScratchSize: 592
; MemoryBound: 0
; FloatMode: 240
; IeeeMode: 1
; LDSByteSize: 1128 bytes/workgroup (compile time only)
; SGPRBlocks: 3
; VGPRBlocks: 44
; NumSGPRsForWavesPerEU: 29
; NumVGPRsForWavesPerEU: 354
; AccumOffset: 256
; Occupancy: 1
; WaveLimiterHint : 1
; COMPUTE_PGM_RSRC2:SCRATCH_EN: 1
; COMPUTE_PGM_RSRC2:USER_SGPR: 8
; COMPUTE_PGM_RSRC2:TRAP_HANDLER: 0
; COMPUTE_PGM_RSRC2:TGID_X_EN: 1
; COMPUTE_PGM_RSRC2:TGID_Y_EN: 0
; COMPUTE_PGM_RSRC2:TGID_Z_EN: 0
; COMPUTE_PGM_RSRC2:TIDIG_COMP_CNT: 0
; COMPUTE_PGM_RSRC3_GFX90A:ACCUM_OFFSET: 63
; COMPUTE_PGM_RSRC3_GFX90A:TG_SPLIT: 0
	.section	.text._ZN9rocsolver6v33100L18getri_kernel_smallILi36E19rocblas_complex_numIdEPS3_EEvT1_iilPiilS6_bb,"axG",@progbits,_ZN9rocsolver6v33100L18getri_kernel_smallILi36E19rocblas_complex_numIdEPS3_EEvT1_iilPiilS6_bb,comdat
	.globl	_ZN9rocsolver6v33100L18getri_kernel_smallILi36E19rocblas_complex_numIdEPS3_EEvT1_iilPiilS6_bb ; -- Begin function _ZN9rocsolver6v33100L18getri_kernel_smallILi36E19rocblas_complex_numIdEPS3_EEvT1_iilPiilS6_bb
	.p2align	8
	.type	_ZN9rocsolver6v33100L18getri_kernel_smallILi36E19rocblas_complex_numIdEPS3_EEvT1_iilPiilS6_bb,@function
_ZN9rocsolver6v33100L18getri_kernel_smallILi36E19rocblas_complex_numIdEPS3_EEvT1_iilPiilS6_bb: ; @_ZN9rocsolver6v33100L18getri_kernel_smallILi36E19rocblas_complex_numIdEPS3_EEvT1_iilPiilS6_bb
; %bb.0:
	s_add_u32 flat_scratch_lo, s6, s9
	s_addc_u32 flat_scratch_hi, s7, 0
	s_add_u32 s0, s0, s9
	s_addc_u32 s1, s1, 0
	v_cmp_gt_u32_e32 vcc, 36, v0
	s_and_saveexec_b64 s[6:7], vcc
	s_cbranch_execz .LBB35_158
; %bb.1:
	s_load_dword s22, s[4:5], 0x38
	s_load_dwordx4 s[16:19], s[4:5], 0x10
	s_load_dwordx4 s[12:15], s[4:5], 0x28
                                        ; implicit-def: $sgpr10_sgpr11
	s_waitcnt lgkmcnt(0)
	s_bitcmp1_b32 s22, 8
	s_cselect_b64 s[20:21], -1, 0
	s_ashr_i32 s9, s8, 31
	s_bfe_u32 s6, s22, 0x10008
	s_cmp_eq_u32 s6, 0
	s_cbranch_scc1 .LBB35_3
; %bb.2:
	s_load_dword s6, s[4:5], 0x20
	s_mul_i32 s7, s8, s13
	s_mul_hi_u32 s10, s8, s12
	s_mul_i32 s11, s9, s12
	s_add_i32 s10, s10, s7
	s_add_i32 s11, s10, s11
	s_mul_i32 s10, s8, s12
	s_waitcnt lgkmcnt(0)
	s_ashr_i32 s7, s6, 31
	s_lshl_b64 s[10:11], s[10:11], 2
	s_add_u32 s10, s18, s10
	s_addc_u32 s11, s19, s11
	s_lshl_b64 s[6:7], s[6:7], 2
	s_add_u32 s10, s10, s6
	s_addc_u32 s11, s11, s7
.LBB35_3:
	s_load_dwordx4 s[4:7], s[4:5], 0x0
	s_mul_i32 s12, s8, s17
	s_mul_hi_u32 s13, s8, s16
	s_add_i32 s17, s13, s12
	v_lshlrev_b32_e32 v1, 4, v0
	s_waitcnt lgkmcnt(0)
	s_ashr_i32 s13, s6, 31
	s_mov_b32 s12, s6
	s_mul_i32 s6, s9, s16
	s_add_i32 s17, s17, s6
	s_mul_i32 s16, s8, s16
	s_lshl_b64 s[16:17], s[16:17], 4
	s_add_u32 s6, s4, s16
	s_addc_u32 s16, s5, s17
	s_lshl_b64 s[4:5], s[12:13], 4
	s_add_u32 s4, s6, s4
	s_addc_u32 s5, s16, s5
	s_add_i32 s6, s7, s7
	v_add_u32_e32 v4, s6, v0
	v_ashrrev_i32_e32 v5, 31, v4
	v_add_u32_e32 v2, s7, v4
	v_lshlrev_b64 v[4:5], 4, v[4:5]
	v_mov_b32_e32 v3, s5
	v_add_co_u32_e32 v4, vcc, s4, v4
	v_addc_co_u32_e32 v5, vcc, v3, v5, vcc
	global_load_dwordx4 v[40:43], v1, s[4:5]
	v_add_co_u32_e32 v120, vcc, s4, v1
	s_mov_b32 s12, s7
	s_ashr_i32 s13, s7, 31
	v_addc_co_u32_e32 v121, vcc, 0, v3, vcc
	s_lshl_b64 s[12:13], s[12:13], 4
	v_mov_b32_e32 v3, s13
	v_add_co_u32_e32 v44, vcc, s12, v120
	v_addc_co_u32_e32 v45, vcc, v121, v3, vcc
	v_accvgpr_write_b32 a2, v44
	v_accvgpr_write_b32 a3, v45
	global_load_dwordx4 v[44:47], v[44:45], off
	v_ashrrev_i32_e32 v3, 31, v2
	global_load_dwordx4 v[48:51], v[4:5], off
	v_add_u32_e32 v6, s7, v2
	v_accvgpr_write_b32 a0, v4
	v_lshlrev_b64 v[2:3], 4, v[2:3]
	v_accvgpr_write_b32 a1, v5
	v_mov_b32_e32 v4, s5
	v_add_co_u32_e32 v52, vcc, s4, v2
	v_addc_co_u32_e32 v53, vcc, v4, v3, vcc
	v_accvgpr_write_b32 a4, v52
	v_ashrrev_i32_e32 v7, 31, v6
	v_accvgpr_write_b32 a5, v53
	global_load_dwordx4 v[52:55], v[52:53], off
	v_lshlrev_b64 v[2:3], 4, v[6:7]
	v_add_co_u32_e32 v2, vcc, s4, v2
	v_add_u32_e32 v8, s7, v6
	v_addc_co_u32_e32 v3, vcc, v4, v3, vcc
	v_accvgpr_write_b32 a7, v3
	global_load_dwordx4 v[56:59], v[2:3], off
	v_ashrrev_i32_e32 v9, 31, v8
	v_accvgpr_write_b32 a6, v2
	v_lshlrev_b64 v[2:3], 4, v[8:9]
	v_add_co_u32_e32 v6, vcc, s4, v2
	v_add_u32_e32 v20, s7, v8
	v_addc_co_u32_e32 v7, vcc, v4, v3, vcc
	v_ashrrev_i32_e32 v21, 31, v20
	global_load_dwordx4 v[60:63], v[6:7], off
	v_lshlrev_b64 v[2:3], 4, v[20:21]
	v_add_co_u32_e32 v2, vcc, s4, v2
	v_add_u32_e32 v22, s7, v20
	v_addc_co_u32_e32 v3, vcc, v4, v3, vcc
	global_load_dwordx4 v[64:67], v[2:3], off
	v_accvgpr_write_b32 a11, v3
	v_ashrrev_i32_e32 v23, 31, v22
	v_accvgpr_write_b32 a9, v7
	v_accvgpr_write_b32 a10, v2
	v_lshlrev_b64 v[2:3], 4, v[22:23]
	v_accvgpr_write_b32 a8, v6
	v_add_co_u32_e32 v6, vcc, s4, v2
	v_add_u32_e32 v26, s7, v22
	v_addc_co_u32_e32 v7, vcc, v4, v3, vcc
	v_ashrrev_i32_e32 v27, 31, v26
	global_load_dwordx4 v[20:23], v[6:7], off
	v_lshlrev_b64 v[2:3], 4, v[26:27]
	v_add_co_u32_e32 v2, vcc, s4, v2
	v_add_u32_e32 v28, s7, v26
	v_addc_co_u32_e32 v3, vcc, v4, v3, vcc
	global_load_dwordx4 v[68:71], v[2:3], off
	v_accvgpr_write_b32 a15, v3
	v_ashrrev_i32_e32 v29, 31, v28
	v_accvgpr_write_b32 a13, v7
	v_accvgpr_write_b32 a14, v2
	v_lshlrev_b64 v[2:3], 4, v[28:29]
	v_accvgpr_write_b32 a12, v6
	;; [unrolled: 16-line block ×4, first 2 shown]
	v_add_co_u32_e32 v6, vcc, s4, v2
	v_add_u32_e32 v38, s7, v36
	v_addc_co_u32_e32 v7, vcc, v4, v3, vcc
	v_ashrrev_i32_e32 v39, 31, v38
	global_load_dwordx4 v[34:37], v[6:7], off
	v_lshlrev_b64 v[2:3], 4, v[38:39]
	v_add_u32_e32 v10, s7, v38
	v_add_co_u32_e32 v2, vcc, s4, v2
	v_add_u32_e32 v12, s7, v10
	v_accvgpr_write_b32 a25, v7
	v_addc_co_u32_e32 v3, vcc, v4, v3, vcc
	v_add_u32_e32 v14, s7, v12
	v_accvgpr_write_b32 a24, v6
	global_load_dwordx4 v[6:9], v[2:3], off
	v_add_u32_e32 v16, s7, v14
	v_add_u32_e32 v18, s7, v16
	;; [unrolled: 1-line block ×16, first 2 shown]
	v_accvgpr_write_b32 a29, v3
	v_add_u32_e32 v104, s7, v102
	v_accvgpr_write_b32 a28, v2
	v_add_u32_e32 v2, s7, v104
	v_ashrrev_i32_e32 v3, 31, v2
	v_lshlrev_b64 v[2:3], 4, v[2:3]
	v_add_co_u32_e32 v2, vcc, s4, v2
	v_addc_co_u32_e32 v3, vcc, v4, v3, vcc
	v_ashrrev_i32_e32 v11, 31, v10
	v_accvgpr_write_b32 a27, v3
	v_lshlrev_b64 v[10:11], 4, v[10:11]
	v_accvgpr_write_b32 a26, v2
	global_load_dwordx4 v[2:5], v[2:3], off
	s_waitcnt vmcnt(15)
	buffer_store_dword v43, off, s[0:3], 0 offset:28
	buffer_store_dword v42, off, s[0:3], 0 offset:24
	buffer_store_dword v41, off, s[0:3], 0 offset:20
	buffer_store_dword v40, off, s[0:3], 0 offset:16
	s_waitcnt vmcnt(18)
	buffer_store_dword v47, off, s[0:3], 0 offset:44
	buffer_store_dword v46, off, s[0:3], 0 offset:40
	buffer_store_dword v45, off, s[0:3], 0 offset:36
	buffer_store_dword v44, off, s[0:3], 0 offset:32
	;; [unrolled: 5-line block ×14, first 2 shown]
	s_waitcnt vmcnt(57)
	buffer_store_dword v9, off, s[0:3], 0 offset:252
	v_mov_b32_e32 v9, s5
	v_add_co_u32_e32 v20, vcc, s4, v10
	v_ashrrev_i32_e32 v13, 31, v12
	v_addc_co_u32_e32 v21, vcc, v9, v11, vcc
	v_lshlrev_b64 v[10:11], 4, v[12:13]
	v_add_co_u32_e32 v22, vcc, s4, v10
	v_ashrrev_i32_e32 v15, 31, v14
	v_addc_co_u32_e32 v23, vcc, v9, v11, vcc
	v_lshlrev_b64 v[14:15], 4, v[14:15]
	;; [unrolled: 4-line block ×4, first 2 shown]
	global_load_dwordx4 v[10:13], v[20:21], off
	v_add_co_u32_e32 v30, vcc, s4, v18
	v_ashrrev_i32_e32 v25, 31, v24
	v_addc_co_u32_e32 v31, vcc, v9, v19, vcc
	v_lshlrev_b64 v[18:19], 4, v[24:25]
	v_add_co_u32_e32 v18, vcc, s4, v18
	v_accvgpr_write_b32 a31, v21
	v_accvgpr_write_b32 a33, v23
	v_addc_co_u32_e32 v19, vcc, v9, v19, vcc
	global_load_dwordx4 v[34:37], v[18:19], off
	v_accvgpr_write_b32 a30, v20
	v_accvgpr_write_b32 a32, v22
	global_load_dwordx4 v[20:23], v[22:23], off
	v_accvgpr_write_b32 a41, v19
	global_load_dwordx4 v[14:17], v[26:27], off
	v_ashrrev_i32_e32 v39, 31, v38
	v_accvgpr_write_b32 a40, v18
	v_lshlrev_b64 v[18:19], 4, v[38:39]
	v_add_co_u32_e32 v24, vcc, s4, v18
	v_accvgpr_write_b32 a35, v27
	v_accvgpr_write_b32 a37, v29
	v_addc_co_u32_e32 v25, vcc, v9, v19, vcc
	global_load_dwordx4 v[38:41], v[24:25], off
	v_accvgpr_write_b32 a34, v26
	v_accvgpr_write_b32 a36, v28
	global_load_dwordx4 v[26:29], v[28:29], off
	v_accvgpr_write_b32 a39, v31
	v_accvgpr_write_b32 a38, v30
	global_load_dwordx4 v[30:33], v[30:31], off
	v_ashrrev_i32_e32 v81, 31, v80
	v_lshlrev_b64 v[18:19], 4, v[80:81]
	v_add_co_u32_e32 v18, vcc, s4, v18
	v_addc_co_u32_e32 v19, vcc, v9, v19, vcc
	v_accvgpr_write_b32 a45, v19
	global_load_dwordx4 v[42:45], v[18:19], off
	v_ashrrev_i32_e32 v83, 31, v82
	v_accvgpr_write_b32 a43, v25
	v_accvgpr_write_b32 a44, v18
	v_lshlrev_b64 v[18:19], 4, v[82:83]
	v_accvgpr_write_b32 a42, v24
	v_add_co_u32_e32 v24, vcc, s4, v18
	v_addc_co_u32_e32 v25, vcc, v9, v19, vcc
	v_ashrrev_i32_e32 v85, 31, v84
	global_load_dwordx4 v[46:49], v[24:25], off
	v_lshlrev_b64 v[18:19], 4, v[84:85]
	v_add_co_u32_e32 v18, vcc, s4, v18
	v_addc_co_u32_e32 v19, vcc, v9, v19, vcc
	global_load_dwordx4 v[50:53], v[18:19], off
	v_accvgpr_write_b32 a49, v19
	v_ashrrev_i32_e32 v87, 31, v86
	v_accvgpr_write_b32 a47, v25
	v_accvgpr_write_b32 a48, v18
	v_lshlrev_b64 v[18:19], 4, v[86:87]
	v_accvgpr_write_b32 a46, v24
	v_add_co_u32_e32 v24, vcc, s4, v18
	v_addc_co_u32_e32 v25, vcc, v9, v19, vcc
	v_ashrrev_i32_e32 v89, 31, v88
	global_load_dwordx4 v[54:57], v[24:25], off
	v_lshlrev_b64 v[18:19], 4, v[88:89]
	v_add_co_u32_e32 v18, vcc, s4, v18
	v_addc_co_u32_e32 v19, vcc, v9, v19, vcc
	global_load_dwordx4 v[58:61], v[18:19], off
	v_accvgpr_write_b32 a53, v19
	;; [unrolled: 14-line block ×5, first 2 shown]
	v_ashrrev_i32_e32 v103, 31, v102
	v_accvgpr_write_b32 a63, v25
	v_accvgpr_write_b32 a64, v18
	v_lshlrev_b64 v[18:19], 4, v[102:103]
	v_accvgpr_write_b32 a62, v24
	v_add_co_u32_e32 v24, vcc, s4, v18
	v_addc_co_u32_e32 v25, vcc, v9, v19, vcc
	v_ashrrev_i32_e32 v105, 31, v104
	global_load_dwordx4 v[86:89], v[24:25], off
	v_lshlrev_b64 v[18:19], 4, v[104:105]
	v_add_co_u32_e32 v188, vcc, s4, v18
	v_addc_co_u32_e32 v189, vcc, v9, v19, vcc
	global_load_dwordx4 v[90:93], v[188:189], off
	s_nop 0
	buffer_store_dword v8, off, s[0:3], 0 offset:248
	buffer_store_dword v7, off, s[0:3], 0 offset:244
	buffer_store_dword v6, off, s[0:3], 0 offset:240
	s_waitcnt vmcnt(22)
	buffer_store_dword v13, off, s[0:3], 0 offset:268
	buffer_store_dword v12, off, s[0:3], 0 offset:264
	buffer_store_dword v11, off, s[0:3], 0 offset:260
	buffer_store_dword v10, off, s[0:3], 0 offset:256
	s_waitcnt vmcnt(24)
	buffer_store_dword v23, off, s[0:3], 0 offset:284
	;; [unrolled: 5-line block ×5, first 2 shown]
	buffer_store_dword v32, off, s[0:3], 0 offset:328
	buffer_store_dword v31, off, s[0:3], 0 offset:324
	;; [unrolled: 1-line block ×11, first 2 shown]
	s_waitcnt vmcnt(43)
	buffer_store_dword v45, off, s[0:3], 0 offset:380
	buffer_store_dword v44, off, s[0:3], 0 offset:376
	buffer_store_dword v43, off, s[0:3], 0 offset:372
	buffer_store_dword v42, off, s[0:3], 0 offset:368
	s_waitcnt vmcnt(46)
	buffer_store_dword v49, off, s[0:3], 0 offset:396
	buffer_store_dword v48, off, s[0:3], 0 offset:392
	buffer_store_dword v47, off, s[0:3], 0 offset:388
	buffer_store_dword v46, off, s[0:3], 0 offset:384
	;; [unrolled: 5-line block ×8, first 2 shown]
	buffer_store_dword v77, off, s[0:3], 0 offset:508
	buffer_store_dword v76, off, s[0:3], 0 offset:504
	;; [unrolled: 1-line block ×8, first 2 shown]
	s_waitcnt vmcnt(62)
	buffer_store_dword v85, off, s[0:3], 0 offset:540
	buffer_store_dword v84, off, s[0:3], 0 offset:536
	;; [unrolled: 1-line block ×16, first 2 shown]
	v_mov_b32_e32 v2, 16
	v_add_u32_e32 v3, 16, v2
	v_accvgpr_write_b32 a99, v3
	v_add_u32_e32 v3, 32, v2
	v_accvgpr_write_b32 a101, v3
	;; [unrolled: 2-line block ×33, first 2 shown]
	v_accvgpr_write_b32 a69, v3
	v_add_u32_e32 v3, 0x220, v2
	v_accvgpr_write_b32 a66, v24
	v_accvgpr_write_b32 a68, v3
	v_add_u32_e32 v187, 0x230, v2
	s_bitcmp0_b32 s22, 0
	s_mov_b64 s[6:7], -1
	s_cbranch_scc1 .LBB35_156
; %bb.4:
	v_cmp_eq_u32_e64 s[4:5], 0, v0
	s_and_saveexec_b64 s[6:7], s[4:5]
	s_cbranch_execz .LBB35_6
; %bb.5:
	v_mov_b32_e32 v2, 0
	ds_write_b32 v2, v2 offset:1152
.LBB35_6:
	s_or_b64 exec, exec, s[6:7]
	v_mov_b32_e32 v2, 16
	v_lshl_add_u32 v12, v0, 4, v2
	s_waitcnt lgkmcnt(0)
	; wave barrier
	s_waitcnt lgkmcnt(0)
	buffer_load_dword v2, v12, s[0:3], 0 offen
	buffer_load_dword v3, v12, s[0:3], 0 offen offset:4
	buffer_load_dword v4, v12, s[0:3], 0 offen offset:8
	;; [unrolled: 1-line block ×3, first 2 shown]
	s_waitcnt vmcnt(2)
	v_cmp_eq_f64_e32 vcc, 0, v[2:3]
	s_waitcnt vmcnt(0)
	v_cmp_eq_f64_e64 s[6:7], 0, v[4:5]
	s_and_b64 s[6:7], vcc, s[6:7]
	s_and_saveexec_b64 s[12:13], s[6:7]
	s_cbranch_execz .LBB35_10
; %bb.7:
	v_mov_b32_e32 v2, 0
	ds_read_b32 v4, v2 offset:1152
	v_add_u32_e32 v3, 1, v0
	s_waitcnt lgkmcnt(0)
	v_readfirstlane_b32 s6, v4
	s_cmp_eq_u32 s6, 0
	s_cselect_b64 s[16:17], -1, 0
	v_cmp_gt_i32_e32 vcc, s6, v3
	s_or_b64 s[16:17], s[16:17], vcc
	s_and_b64 exec, exec, s[16:17]
	s_cbranch_execz .LBB35_10
; %bb.8:
	s_mov_b64 s[16:17], 0
	v_mov_b32_e32 v4, s6
.LBB35_9:                               ; =>This Inner Loop Header: Depth=1
	ds_cmpst_rtn_b32 v4, v2, v4, v3 offset:1152
	s_waitcnt lgkmcnt(0)
	v_cmp_ne_u32_e32 vcc, 0, v4
	v_cmp_le_i32_e64 s[6:7], v4, v3
	s_and_b64 s[6:7], vcc, s[6:7]
	s_and_b64 s[6:7], exec, s[6:7]
	s_or_b64 s[16:17], s[6:7], s[16:17]
	s_andn2_b64 exec, exec, s[16:17]
	s_cbranch_execnz .LBB35_9
.LBB35_10:
	s_or_b64 exec, exec, s[12:13]
	v_mov_b32_e32 v3, 0
	s_waitcnt lgkmcnt(0)
	; wave barrier
	ds_read_b32 v2, v3 offset:1152
	s_and_saveexec_b64 s[6:7], s[4:5]
	s_cbranch_execz .LBB35_12
; %bb.11:
	s_lshl_b64 s[12:13], s[8:9], 2
	s_add_u32 s12, s14, s12
	s_addc_u32 s13, s15, s13
	s_waitcnt lgkmcnt(0)
	global_store_dword v3, v2, s[12:13]
.LBB35_12:
	s_or_b64 exec, exec, s[6:7]
	s_waitcnt lgkmcnt(0)
	v_cmp_ne_u32_e32 vcc, 0, v2
	s_mov_b64 s[6:7], 0
	s_cbranch_vccnz .LBB35_156
; %bb.13:
	buffer_load_dword v7, v12, s[0:3], 0 offen offset:4
	buffer_load_dword v6, v12, s[0:3], 0 offen
	buffer_load_dword v9, v12, s[0:3], 0 offen offset:12
	buffer_load_dword v8, v12, s[0:3], 0 offen offset:8
                                        ; implicit-def: $vgpr10_vgpr11
	s_waitcnt vmcnt(3)
	v_xor_b32_e32 v3, 0x80000000, v7
	s_waitcnt vmcnt(2)
	v_cmp_gt_f64_e32 vcc, 0, v[6:7]
	s_waitcnt vmcnt(1)
	v_xor_b32_e32 v4, 0x80000000, v9
	v_cndmask_b32_e32 v3, v7, v3, vcc
	s_waitcnt vmcnt(0)
	v_cmp_gt_f64_e32 vcc, 0, v[8:9]
	v_mov_b32_e32 v2, v6
	v_cndmask_b32_e32 v5, v9, v4, vcc
	v_mov_b32_e32 v4, v8
	v_cmp_ngt_f64_e32 vcc, v[2:3], v[4:5]
                                        ; implicit-def: $vgpr4_vgpr5
	s_and_saveexec_b64 s[6:7], vcc
	s_xor_b64 s[6:7], exec, s[6:7]
	s_cbranch_execz .LBB35_15
; %bb.14:
	v_div_scale_f64 v[2:3], s[12:13], v[8:9], v[8:9], v[6:7]
	v_rcp_f64_e32 v[4:5], v[2:3]
	v_div_scale_f64 v[10:11], vcc, v[6:7], v[8:9], v[6:7]
	v_fma_f64 v[14:15], -v[2:3], v[4:5], 1.0
	v_fmac_f64_e32 v[4:5], v[4:5], v[14:15]
	v_fma_f64 v[14:15], -v[2:3], v[4:5], 1.0
	v_fmac_f64_e32 v[4:5], v[4:5], v[14:15]
	v_mul_f64 v[14:15], v[10:11], v[4:5]
	v_fma_f64 v[2:3], -v[2:3], v[14:15], v[10:11]
	v_div_fmas_f64 v[2:3], v[2:3], v[4:5], v[14:15]
	v_div_fixup_f64 v[2:3], v[2:3], v[8:9], v[6:7]
	v_fmac_f64_e32 v[8:9], v[6:7], v[2:3]
	v_div_scale_f64 v[4:5], s[12:13], v[8:9], v[8:9], 1.0
	v_rcp_f64_e32 v[6:7], v[4:5]
	v_fma_f64 v[10:11], -v[4:5], v[6:7], 1.0
	v_fmac_f64_e32 v[6:7], v[6:7], v[10:11]
	v_fma_f64 v[10:11], -v[4:5], v[6:7], 1.0
	v_fmac_f64_e32 v[6:7], v[6:7], v[10:11]
	v_div_scale_f64 v[10:11], vcc, 1.0, v[8:9], 1.0
	v_mul_f64 v[14:15], v[10:11], v[6:7]
	v_fma_f64 v[4:5], -v[4:5], v[14:15], v[10:11]
	s_nop 1
	v_div_fmas_f64 v[4:5], v[4:5], v[6:7], v[14:15]
	v_div_fixup_f64 v[4:5], v[4:5], v[8:9], 1.0
	v_mul_f64 v[10:11], v[2:3], v[4:5]
	v_xor_b32_e32 v5, 0x80000000, v5
	v_xor_b32_e32 v3, 0x80000000, v11
	v_mov_b32_e32 v2, v10
                                        ; implicit-def: $vgpr6_vgpr7
                                        ; implicit-def: $vgpr8_vgpr9
.LBB35_15:
	s_andn2_saveexec_b64 s[6:7], s[6:7]
	s_cbranch_execz .LBB35_17
; %bb.16:
	v_div_scale_f64 v[2:3], s[12:13], v[6:7], v[6:7], v[8:9]
	v_rcp_f64_e32 v[4:5], v[2:3]
	v_div_scale_f64 v[10:11], vcc, v[8:9], v[6:7], v[8:9]
	v_fma_f64 v[14:15], -v[2:3], v[4:5], 1.0
	v_fmac_f64_e32 v[4:5], v[4:5], v[14:15]
	v_fma_f64 v[14:15], -v[2:3], v[4:5], 1.0
	v_fmac_f64_e32 v[4:5], v[4:5], v[14:15]
	v_mul_f64 v[14:15], v[10:11], v[4:5]
	v_fma_f64 v[2:3], -v[2:3], v[14:15], v[10:11]
	v_div_fmas_f64 v[2:3], v[2:3], v[4:5], v[14:15]
	v_div_fixup_f64 v[4:5], v[2:3], v[6:7], v[8:9]
	v_fmac_f64_e32 v[6:7], v[8:9], v[4:5]
	v_div_scale_f64 v[2:3], s[12:13], v[6:7], v[6:7], 1.0
	v_rcp_f64_e32 v[8:9], v[2:3]
	v_fma_f64 v[10:11], -v[2:3], v[8:9], 1.0
	v_fmac_f64_e32 v[8:9], v[8:9], v[10:11]
	v_fma_f64 v[10:11], -v[2:3], v[8:9], 1.0
	v_fmac_f64_e32 v[8:9], v[8:9], v[10:11]
	v_div_scale_f64 v[10:11], vcc, 1.0, v[6:7], 1.0
	v_mul_f64 v[14:15], v[10:11], v[8:9]
	v_fma_f64 v[2:3], -v[2:3], v[14:15], v[10:11]
	s_nop 1
	v_div_fmas_f64 v[2:3], v[2:3], v[8:9], v[14:15]
	v_div_fixup_f64 v[10:11], v[2:3], v[6:7], 1.0
	v_xor_b32_e32 v3, 0x80000000, v11
	v_mov_b32_e32 v2, v10
	v_mul_f64 v[4:5], v[4:5], -v[10:11]
.LBB35_17:
	s_or_b64 exec, exec, s[6:7]
	buffer_store_dword v11, v12, s[0:3], 0 offen offset:4
	buffer_store_dword v10, v12, s[0:3], 0 offen
	buffer_store_dword v5, v12, s[0:3], 0 offen offset:12
	buffer_store_dword v4, v12, s[0:3], 0 offen offset:8
	v_accvgpr_read_b32 v6, a99
	buffer_load_dword v11, v6, s[0:3], 0 offen offset:12
	buffer_load_dword v10, v6, s[0:3], 0 offen offset:8
	;; [unrolled: 1-line block ×3, first 2 shown]
	buffer_load_dword v8, v6, s[0:3], 0 offen
	v_xor_b32_e32 v5, 0x80000000, v5
	v_add_u32_e32 v6, 0x240, v1
	ds_write_b128 v1, v[2:5]
	s_waitcnt vmcnt(0)
	ds_write_b128 v1, v[8:11] offset:576
	s_waitcnt lgkmcnt(0)
	; wave barrier
	s_waitcnt lgkmcnt(0)
	s_and_saveexec_b64 s[6:7], s[4:5]
	s_cbranch_execz .LBB35_19
; %bb.18:
	buffer_load_dword v14, v12, s[0:3], 0 offen offset:8
	buffer_load_dword v15, v12, s[0:3], 0 offen offset:12
	buffer_load_dword v16, v12, s[0:3], 0 offen
	buffer_load_dword v17, v12, s[0:3], 0 offen offset:4
	ds_read_b128 v[2:5], v6
	v_mov_b32_e32 v7, 0
	ds_read_b128 v[8:11], v7 offset:16
	s_waitcnt vmcnt(2) lgkmcnt(1)
	v_mul_f64 v[18:19], v[4:5], v[14:15]
	v_mul_f64 v[14:15], v[2:3], v[14:15]
	s_waitcnt vmcnt(0)
	v_fmac_f64_e32 v[14:15], v[4:5], v[16:17]
	v_fma_f64 v[2:3], v[2:3], v[16:17], -v[18:19]
	v_add_f64 v[4:5], v[14:15], 0
	v_add_f64 v[2:3], v[2:3], 0
	s_waitcnt lgkmcnt(0)
	v_mul_f64 v[14:15], v[4:5], v[10:11]
	v_mul_f64 v[10:11], v[2:3], v[10:11]
	v_fma_f64 v[2:3], v[2:3], v[8:9], -v[14:15]
	v_fmac_f64_e32 v[10:11], v[4:5], v[8:9]
	buffer_store_dword v2, off, s[0:3], 0 offset:32
	buffer_store_dword v3, off, s[0:3], 0 offset:36
	;; [unrolled: 1-line block ×4, first 2 shown]
.LBB35_19:
	s_or_b64 exec, exec, s[6:7]
	v_accvgpr_read_b32 v5, a101
	s_waitcnt lgkmcnt(0)
	; wave barrier
	buffer_load_dword v2, v5, s[0:3], 0 offen
	buffer_load_dword v3, v5, s[0:3], 0 offen offset:4
	buffer_load_dword v4, v5, s[0:3], 0 offen offset:8
	s_nop 0
	buffer_load_dword v5, v5, s[0:3], 0 offen offset:12
	v_cmp_gt_u32_e32 vcc, 2, v0
	s_waitcnt vmcnt(0)
	ds_write_b128 v6, v[2:5]
	s_waitcnt lgkmcnt(0)
	; wave barrier
	s_waitcnt lgkmcnt(0)
	s_and_saveexec_b64 s[6:7], vcc
	s_cbranch_execz .LBB35_23
; %bb.20:
	buffer_load_dword v8, v12, s[0:3], 0 offen offset:8
	buffer_load_dword v9, v12, s[0:3], 0 offen offset:12
	buffer_load_dword v10, v12, s[0:3], 0 offen
	buffer_load_dword v11, v12, s[0:3], 0 offen offset:4
	ds_read_b128 v[2:5], v6
	s_waitcnt vmcnt(2) lgkmcnt(0)
	v_mul_f64 v[12:13], v[4:5], v[8:9]
	v_mul_f64 v[8:9], v[2:3], v[8:9]
	s_waitcnt vmcnt(0)
	v_fma_f64 v[2:3], v[2:3], v[10:11], -v[12:13]
	v_fmac_f64_e32 v[8:9], v[4:5], v[10:11]
	v_add_f64 v[4:5], v[2:3], 0
	v_add_f64 v[2:3], v[8:9], 0
	s_and_saveexec_b64 s[12:13], s[4:5]
	s_cbranch_execz .LBB35_22
; %bb.21:
	buffer_load_dword v12, off, s[0:3], 0 offset:40
	buffer_load_dword v13, off, s[0:3], 0 offset:44
	;; [unrolled: 1-line block ×4, first 2 shown]
	v_mov_b32_e32 v7, 0
	ds_read_b128 v[8:11], v7 offset:592
	s_waitcnt vmcnt(2) lgkmcnt(0)
	v_mul_f64 v[16:17], v[8:9], v[12:13]
	v_mul_f64 v[12:13], v[10:11], v[12:13]
	s_waitcnt vmcnt(0)
	v_fmac_f64_e32 v[16:17], v[10:11], v[14:15]
	v_fma_f64 v[8:9], v[8:9], v[14:15], -v[12:13]
	v_add_f64 v[2:3], v[2:3], v[16:17]
	v_add_f64 v[4:5], v[4:5], v[8:9]
.LBB35_22:
	s_or_b64 exec, exec, s[12:13]
	v_mov_b32_e32 v7, 0
	ds_read_b128 v[8:11], v7 offset:32
	s_waitcnt lgkmcnt(0)
	v_mul_f64 v[12:13], v[2:3], v[10:11]
	v_mul_f64 v[10:11], v[4:5], v[10:11]
	v_fma_f64 v[4:5], v[4:5], v[8:9], -v[12:13]
	v_fmac_f64_e32 v[10:11], v[2:3], v[8:9]
	buffer_store_dword v5, off, s[0:3], 0 offset:52
	buffer_store_dword v4, off, s[0:3], 0 offset:48
	;; [unrolled: 1-line block ×4, first 2 shown]
.LBB35_23:
	s_or_b64 exec, exec, s[6:7]
	v_accvgpr_read_b32 v5, a100
	s_waitcnt lgkmcnt(0)
	; wave barrier
	buffer_load_dword v2, v5, s[0:3], 0 offen
	buffer_load_dword v3, v5, s[0:3], 0 offen offset:4
	buffer_load_dword v4, v5, s[0:3], 0 offen offset:8
	s_nop 0
	buffer_load_dword v5, v5, s[0:3], 0 offen offset:12
	v_cmp_gt_u32_e32 vcc, 3, v0
	v_add_u32_e32 v7, -1, v0
	s_waitcnt vmcnt(0)
	ds_write_b128 v6, v[2:5]
	s_waitcnt lgkmcnt(0)
	; wave barrier
	s_waitcnt lgkmcnt(0)
	s_and_saveexec_b64 s[4:5], vcc
	s_cbranch_execz .LBB35_27
; %bb.24:
	v_pk_mov_b32 v[2:3], 0, 0
	v_add_u32_e32 v8, -1, v0
	v_add_u32_e32 v9, 0x240, v1
	v_add_u32_e32 v10, 16, v1
	s_mov_b64 s[6:7], 0
	v_pk_mov_b32 v[4:5], v[2:3], v[2:3] op_sel:[0,1]
.LBB35_25:                              ; =>This Inner Loop Header: Depth=1
	buffer_load_dword v16, v10, s[0:3], 0 offen offset:8
	buffer_load_dword v17, v10, s[0:3], 0 offen offset:12
	buffer_load_dword v18, v10, s[0:3], 0 offen
	buffer_load_dword v19, v10, s[0:3], 0 offen offset:4
	ds_read_b128 v[12:15], v9
	v_add_u32_e32 v8, 1, v8
	v_cmp_lt_u32_e32 vcc, 1, v8
	v_add_u32_e32 v9, 16, v9
	v_add_u32_e32 v10, 16, v10
	s_or_b64 s[6:7], vcc, s[6:7]
	s_waitcnt vmcnt(2) lgkmcnt(0)
	v_mul_f64 v[20:21], v[14:15], v[16:17]
	v_mul_f64 v[16:17], v[12:13], v[16:17]
	s_waitcnt vmcnt(0)
	v_fma_f64 v[12:13], v[12:13], v[18:19], -v[20:21]
	v_fmac_f64_e32 v[16:17], v[14:15], v[18:19]
	v_add_f64 v[4:5], v[4:5], v[12:13]
	v_add_f64 v[2:3], v[2:3], v[16:17]
	s_andn2_b64 exec, exec, s[6:7]
	s_cbranch_execnz .LBB35_25
; %bb.26:
	s_or_b64 exec, exec, s[6:7]
	v_mov_b32_e32 v8, 0
	ds_read_b128 v[8:11], v8 offset:48
	s_waitcnt lgkmcnt(0)
	v_mul_f64 v[12:13], v[2:3], v[10:11]
	v_mul_f64 v[10:11], v[4:5], v[10:11]
	v_fma_f64 v[4:5], v[4:5], v[8:9], -v[12:13]
	v_fmac_f64_e32 v[10:11], v[2:3], v[8:9]
	buffer_store_dword v5, off, s[0:3], 0 offset:68
	buffer_store_dword v4, off, s[0:3], 0 offset:64
	buffer_store_dword v11, off, s[0:3], 0 offset:76
	buffer_store_dword v10, off, s[0:3], 0 offset:72
.LBB35_27:
	s_or_b64 exec, exec, s[4:5]
	v_accvgpr_read_b32 v5, a98
	s_waitcnt lgkmcnt(0)
	; wave barrier
	buffer_load_dword v2, v5, s[0:3], 0 offen
	buffer_load_dword v3, v5, s[0:3], 0 offen offset:4
	buffer_load_dword v4, v5, s[0:3], 0 offen offset:8
	s_nop 0
	buffer_load_dword v5, v5, s[0:3], 0 offen offset:12
	v_cmp_gt_u32_e32 vcc, 4, v0
	s_waitcnt vmcnt(0)
	ds_write_b128 v6, v[2:5]
	s_waitcnt lgkmcnt(0)
	; wave barrier
	s_waitcnt lgkmcnt(0)
	s_and_saveexec_b64 s[4:5], vcc
	s_cbranch_execz .LBB35_31
; %bb.28:
	v_pk_mov_b32 v[2:3], 0, 0
	v_add_u32_e32 v8, -1, v0
	v_add_u32_e32 v9, 0x240, v1
	v_add_u32_e32 v10, 16, v1
	s_mov_b64 s[6:7], 0
	v_pk_mov_b32 v[4:5], v[2:3], v[2:3] op_sel:[0,1]
.LBB35_29:                              ; =>This Inner Loop Header: Depth=1
	buffer_load_dword v16, v10, s[0:3], 0 offen offset:8
	buffer_load_dword v17, v10, s[0:3], 0 offen offset:12
	buffer_load_dword v18, v10, s[0:3], 0 offen
	buffer_load_dword v19, v10, s[0:3], 0 offen offset:4
	ds_read_b128 v[12:15], v9
	v_add_u32_e32 v8, 1, v8
	v_cmp_lt_u32_e32 vcc, 2, v8
	v_add_u32_e32 v9, 16, v9
	v_add_u32_e32 v10, 16, v10
	s_or_b64 s[6:7], vcc, s[6:7]
	s_waitcnt vmcnt(2) lgkmcnt(0)
	v_mul_f64 v[20:21], v[14:15], v[16:17]
	v_mul_f64 v[16:17], v[12:13], v[16:17]
	s_waitcnt vmcnt(0)
	v_fma_f64 v[12:13], v[12:13], v[18:19], -v[20:21]
	v_fmac_f64_e32 v[16:17], v[14:15], v[18:19]
	v_add_f64 v[4:5], v[4:5], v[12:13]
	v_add_f64 v[2:3], v[2:3], v[16:17]
	s_andn2_b64 exec, exec, s[6:7]
	s_cbranch_execnz .LBB35_29
; %bb.30:
	s_or_b64 exec, exec, s[6:7]
	v_mov_b32_e32 v8, 0
	ds_read_b128 v[8:11], v8 offset:64
	s_waitcnt lgkmcnt(0)
	v_mul_f64 v[12:13], v[2:3], v[10:11]
	v_mul_f64 v[10:11], v[4:5], v[10:11]
	v_fma_f64 v[4:5], v[4:5], v[8:9], -v[12:13]
	v_fmac_f64_e32 v[10:11], v[2:3], v[8:9]
	buffer_store_dword v5, off, s[0:3], 0 offset:84
	buffer_store_dword v4, off, s[0:3], 0 offset:80
	buffer_store_dword v11, off, s[0:3], 0 offset:92
	buffer_store_dword v10, off, s[0:3], 0 offset:88
.LBB35_31:
	s_or_b64 exec, exec, s[4:5]
	v_accvgpr_read_b32 v5, a97
	s_waitcnt lgkmcnt(0)
	; wave barrier
	buffer_load_dword v2, v5, s[0:3], 0 offen
	buffer_load_dword v3, v5, s[0:3], 0 offen offset:4
	buffer_load_dword v4, v5, s[0:3], 0 offen offset:8
	s_nop 0
	buffer_load_dword v5, v5, s[0:3], 0 offen offset:12
	v_cmp_gt_u32_e32 vcc, 5, v0
	;; [unrolled: 59-line block ×19, first 2 shown]
	s_waitcnt vmcnt(0)
	ds_write_b128 v6, v[2:5]
	s_waitcnt lgkmcnt(0)
	; wave barrier
	s_waitcnt lgkmcnt(0)
	s_and_saveexec_b64 s[4:5], vcc
	s_cbranch_execz .LBB35_103
; %bb.100:
	v_pk_mov_b32 v[2:3], 0, 0
	v_add_u32_e32 v8, -1, v0
	v_add_u32_e32 v9, 0x240, v1
	v_add_u32_e32 v10, 16, v1
	s_mov_b64 s[6:7], 0
	v_pk_mov_b32 v[4:5], v[2:3], v[2:3] op_sel:[0,1]
.LBB35_101:                             ; =>This Inner Loop Header: Depth=1
	buffer_load_dword v16, v10, s[0:3], 0 offen offset:8
	buffer_load_dword v17, v10, s[0:3], 0 offen offset:12
	buffer_load_dword v18, v10, s[0:3], 0 offen
	buffer_load_dword v19, v10, s[0:3], 0 offen offset:4
	ds_read_b128 v[12:15], v9
	v_add_u32_e32 v8, 1, v8
	v_cmp_lt_u32_e32 vcc, 20, v8
	v_add_u32_e32 v9, 16, v9
	v_add_u32_e32 v10, 16, v10
	s_or_b64 s[6:7], vcc, s[6:7]
	s_waitcnt vmcnt(2) lgkmcnt(0)
	v_mul_f64 v[20:21], v[14:15], v[16:17]
	v_mul_f64 v[16:17], v[12:13], v[16:17]
	s_waitcnt vmcnt(0)
	v_fma_f64 v[12:13], v[12:13], v[18:19], -v[20:21]
	v_fmac_f64_e32 v[16:17], v[14:15], v[18:19]
	v_add_f64 v[4:5], v[4:5], v[12:13]
	v_add_f64 v[2:3], v[2:3], v[16:17]
	s_andn2_b64 exec, exec, s[6:7]
	s_cbranch_execnz .LBB35_101
; %bb.102:
	s_or_b64 exec, exec, s[6:7]
	v_mov_b32_e32 v8, 0
	ds_read_b128 v[8:11], v8 offset:352
	s_waitcnt lgkmcnt(0)
	v_mul_f64 v[12:13], v[2:3], v[10:11]
	v_mul_f64 v[10:11], v[4:5], v[10:11]
	v_fma_f64 v[4:5], v[4:5], v[8:9], -v[12:13]
	v_fmac_f64_e32 v[10:11], v[2:3], v[8:9]
	buffer_store_dword v5, off, s[0:3], 0 offset:372
	buffer_store_dword v4, off, s[0:3], 0 offset:368
	buffer_store_dword v11, off, s[0:3], 0 offset:380
	buffer_store_dword v10, off, s[0:3], 0 offset:376
.LBB35_103:
	s_or_b64 exec, exec, s[4:5]
	v_accvgpr_read_b32 v5, a79
	s_waitcnt lgkmcnt(0)
	; wave barrier
	buffer_load_dword v2, v5, s[0:3], 0 offen
	buffer_load_dword v3, v5, s[0:3], 0 offen offset:4
	buffer_load_dword v4, v5, s[0:3], 0 offen offset:8
	s_nop 0
	buffer_load_dword v5, v5, s[0:3], 0 offen offset:12
	v_cmp_gt_u32_e32 vcc, 23, v0
	s_waitcnt vmcnt(0)
	ds_write_b128 v6, v[2:5]
	s_waitcnt lgkmcnt(0)
	; wave barrier
	s_waitcnt lgkmcnt(0)
	s_and_saveexec_b64 s[4:5], vcc
	s_cbranch_execz .LBB35_107
; %bb.104:
	v_pk_mov_b32 v[2:3], 0, 0
	v_add_u32_e32 v8, -1, v0
	v_add_u32_e32 v9, 0x240, v1
	v_add_u32_e32 v10, 16, v1
	s_mov_b64 s[6:7], 0
	v_pk_mov_b32 v[4:5], v[2:3], v[2:3] op_sel:[0,1]
.LBB35_105:                             ; =>This Inner Loop Header: Depth=1
	buffer_load_dword v16, v10, s[0:3], 0 offen offset:8
	buffer_load_dword v17, v10, s[0:3], 0 offen offset:12
	buffer_load_dword v18, v10, s[0:3], 0 offen
	buffer_load_dword v19, v10, s[0:3], 0 offen offset:4
	ds_read_b128 v[12:15], v9
	v_add_u32_e32 v8, 1, v8
	v_cmp_lt_u32_e32 vcc, 21, v8
	v_add_u32_e32 v9, 16, v9
	v_add_u32_e32 v10, 16, v10
	s_or_b64 s[6:7], vcc, s[6:7]
	s_waitcnt vmcnt(2) lgkmcnt(0)
	v_mul_f64 v[20:21], v[14:15], v[16:17]
	v_mul_f64 v[16:17], v[12:13], v[16:17]
	s_waitcnt vmcnt(0)
	v_fma_f64 v[12:13], v[12:13], v[18:19], -v[20:21]
	v_fmac_f64_e32 v[16:17], v[14:15], v[18:19]
	v_add_f64 v[4:5], v[4:5], v[12:13]
	v_add_f64 v[2:3], v[2:3], v[16:17]
	s_andn2_b64 exec, exec, s[6:7]
	s_cbranch_execnz .LBB35_105
; %bb.106:
	s_or_b64 exec, exec, s[6:7]
	v_mov_b32_e32 v8, 0
	ds_read_b128 v[8:11], v8 offset:368
	s_waitcnt lgkmcnt(0)
	v_mul_f64 v[12:13], v[2:3], v[10:11]
	v_mul_f64 v[10:11], v[4:5], v[10:11]
	v_fma_f64 v[4:5], v[4:5], v[8:9], -v[12:13]
	v_fmac_f64_e32 v[10:11], v[2:3], v[8:9]
	buffer_store_dword v5, off, s[0:3], 0 offset:388
	buffer_store_dword v4, off, s[0:3], 0 offset:384
	buffer_store_dword v11, off, s[0:3], 0 offset:396
	buffer_store_dword v10, off, s[0:3], 0 offset:392
.LBB35_107:
	s_or_b64 exec, exec, s[4:5]
	v_accvgpr_read_b32 v5, a78
	s_waitcnt lgkmcnt(0)
	; wave barrier
	buffer_load_dword v2, v5, s[0:3], 0 offen
	buffer_load_dword v3, v5, s[0:3], 0 offen offset:4
	buffer_load_dword v4, v5, s[0:3], 0 offen offset:8
	s_nop 0
	buffer_load_dword v5, v5, s[0:3], 0 offen offset:12
	v_cmp_gt_u32_e32 vcc, 24, v0
	;; [unrolled: 59-line block ×12, first 2 shown]
	s_waitcnt vmcnt(0)
	ds_write_b128 v6, v[2:5]
	s_waitcnt lgkmcnt(0)
	; wave barrier
	s_waitcnt lgkmcnt(0)
	s_and_saveexec_b64 s[4:5], vcc
	s_cbranch_execz .LBB35_151
; %bb.148:
	v_pk_mov_b32 v[2:3], 0, 0
	v_add_u32_e32 v8, -1, v0
	v_add_u32_e32 v9, 0x240, v1
	v_add_u32_e32 v10, 16, v1
	s_mov_b64 s[6:7], 0
	v_pk_mov_b32 v[4:5], v[2:3], v[2:3] op_sel:[0,1]
.LBB35_149:                             ; =>This Inner Loop Header: Depth=1
	buffer_load_dword v16, v10, s[0:3], 0 offen offset:8
	buffer_load_dword v17, v10, s[0:3], 0 offen offset:12
	buffer_load_dword v18, v10, s[0:3], 0 offen
	buffer_load_dword v19, v10, s[0:3], 0 offen offset:4
	ds_read_b128 v[12:15], v9
	v_add_u32_e32 v8, 1, v8
	v_cmp_lt_u32_e32 vcc, 32, v8
	v_add_u32_e32 v9, 16, v9
	v_add_u32_e32 v10, 16, v10
	s_or_b64 s[6:7], vcc, s[6:7]
	s_waitcnt vmcnt(2) lgkmcnt(0)
	v_mul_f64 v[20:21], v[14:15], v[16:17]
	v_mul_f64 v[16:17], v[12:13], v[16:17]
	s_waitcnt vmcnt(0)
	v_fma_f64 v[12:13], v[12:13], v[18:19], -v[20:21]
	v_fmac_f64_e32 v[16:17], v[14:15], v[18:19]
	v_add_f64 v[4:5], v[4:5], v[12:13]
	v_add_f64 v[2:3], v[2:3], v[16:17]
	s_andn2_b64 exec, exec, s[6:7]
	s_cbranch_execnz .LBB35_149
; %bb.150:
	s_or_b64 exec, exec, s[6:7]
	v_mov_b32_e32 v8, 0
	ds_read_b128 v[8:11], v8 offset:544
	s_waitcnt lgkmcnt(0)
	v_mul_f64 v[12:13], v[2:3], v[10:11]
	v_mul_f64 v[10:11], v[4:5], v[10:11]
	v_fma_f64 v[4:5], v[4:5], v[8:9], -v[12:13]
	v_fmac_f64_e32 v[10:11], v[2:3], v[8:9]
	buffer_store_dword v5, off, s[0:3], 0 offset:564
	buffer_store_dword v4, off, s[0:3], 0 offset:560
	buffer_store_dword v11, off, s[0:3], 0 offset:572
	buffer_store_dword v10, off, s[0:3], 0 offset:568
.LBB35_151:
	s_or_b64 exec, exec, s[4:5]
	s_waitcnt lgkmcnt(0)
	; wave barrier
	buffer_load_dword v2, v187, s[0:3], 0 offen
	buffer_load_dword v3, v187, s[0:3], 0 offen offset:4
	buffer_load_dword v4, v187, s[0:3], 0 offen offset:8
	;; [unrolled: 1-line block ×3, first 2 shown]
	v_cmp_ne_u32_e32 vcc, 35, v0
	s_waitcnt vmcnt(0)
	ds_write_b128 v6, v[2:5]
	s_waitcnt lgkmcnt(0)
	; wave barrier
	s_waitcnt lgkmcnt(0)
	s_and_saveexec_b64 s[4:5], vcc
	s_cbranch_execz .LBB35_155
; %bb.152:
	v_pk_mov_b32 v[2:3], 0, 0
	v_add_u32_e32 v6, 0x240, v1
	v_add_u32_e32 v1, 16, v1
	s_mov_b64 s[6:7], 0
	v_pk_mov_b32 v[4:5], v[2:3], v[2:3] op_sel:[0,1]
.LBB35_153:                             ; =>This Inner Loop Header: Depth=1
	buffer_load_dword v12, v1, s[0:3], 0 offen offset:8
	buffer_load_dword v13, v1, s[0:3], 0 offen offset:12
	buffer_load_dword v14, v1, s[0:3], 0 offen
	buffer_load_dword v15, v1, s[0:3], 0 offen offset:4
	ds_read_b128 v[8:11], v6
	v_add_u32_e32 v7, 1, v7
	v_cmp_lt_u32_e32 vcc, 33, v7
	v_add_u32_e32 v6, 16, v6
	v_add_u32_e32 v1, 16, v1
	s_or_b64 s[6:7], vcc, s[6:7]
	s_waitcnt vmcnt(2) lgkmcnt(0)
	v_mul_f64 v[16:17], v[10:11], v[12:13]
	v_mul_f64 v[12:13], v[8:9], v[12:13]
	s_waitcnt vmcnt(0)
	v_fma_f64 v[8:9], v[8:9], v[14:15], -v[16:17]
	v_fmac_f64_e32 v[12:13], v[10:11], v[14:15]
	v_add_f64 v[4:5], v[4:5], v[8:9]
	v_add_f64 v[2:3], v[2:3], v[12:13]
	s_andn2_b64 exec, exec, s[6:7]
	s_cbranch_execnz .LBB35_153
; %bb.154:
	s_or_b64 exec, exec, s[6:7]
	v_mov_b32_e32 v1, 0
	ds_read_b128 v[6:9], v1 offset:560
	s_waitcnt lgkmcnt(0)
	v_mul_f64 v[10:11], v[2:3], v[8:9]
	v_mul_f64 v[8:9], v[4:5], v[8:9]
	v_fma_f64 v[4:5], v[4:5], v[6:7], -v[10:11]
	v_fmac_f64_e32 v[8:9], v[2:3], v[6:7]
	buffer_store_dword v5, off, s[0:3], 0 offset:580
	buffer_store_dword v4, off, s[0:3], 0 offset:576
	;; [unrolled: 1-line block ×4, first 2 shown]
.LBB35_155:
	s_or_b64 exec, exec, s[4:5]
	s_mov_b64 s[6:7], -1
	s_waitcnt lgkmcnt(0)
	; wave barrier
.LBB35_156:
	s_and_b64 vcc, exec, s[6:7]
	s_cbranch_vccz .LBB35_158
; %bb.157:
	s_lshl_b64 s[4:5], s[8:9], 2
	s_add_u32 s4, s14, s4
	s_addc_u32 s5, s15, s5
	v_mov_b32_e32 v1, 0
	global_load_dword v1, v1, s[4:5]
	s_waitcnt vmcnt(0)
	v_cmp_ne_u32_e32 vcc, 0, v1
	s_cbranch_vccz .LBB35_159
.LBB35_158:
	s_endpgm
.LBB35_159:
	v_mov_b32_e32 v1, 0x240
	v_lshl_add_u32 v1, v0, 4, v1
	v_cmp_eq_u32_e32 vcc, 35, v0
	s_and_saveexec_b64 s[4:5], vcc
	s_cbranch_execz .LBB35_161
; %bb.160:
	v_accvgpr_read_b32 v5, a68
	buffer_load_dword v2, v5, s[0:3], 0 offen
	buffer_load_dword v3, v5, s[0:3], 0 offen offset:4
	buffer_load_dword v4, v5, s[0:3], 0 offen offset:8
	s_nop 0
	buffer_load_dword v5, v5, s[0:3], 0 offen offset:12
	v_mov_b32_e32 v6, 0
	buffer_store_dword v6, off, s[0:3], 0 offset:560
	buffer_store_dword v6, off, s[0:3], 0 offset:564
	buffer_store_dword v6, off, s[0:3], 0 offset:568
	buffer_store_dword v6, off, s[0:3], 0 offset:572
	s_waitcnt vmcnt(4)
	ds_write_b128 v1, v[2:5]
.LBB35_161:
	s_or_b64 exec, exec, s[4:5]
	s_waitcnt lgkmcnt(0)
	; wave barrier
	s_waitcnt lgkmcnt(0)
	buffer_load_dword v8, off, s[0:3], 0 offset:584
	buffer_load_dword v9, off, s[0:3], 0 offset:588
	;; [unrolled: 1-line block ×8, first 2 shown]
	v_mov_b32_e32 v2, 0
	ds_read_b128 v[4:7], v2 offset:1136
	v_cmp_lt_u32_e32 vcc, 33, v0
	s_waitcnt vmcnt(6) lgkmcnt(0)
	v_mul_f64 v[16:17], v[4:5], v[8:9]
	v_mul_f64 v[8:9], v[6:7], v[8:9]
	s_waitcnt vmcnt(4)
	v_fma_f64 v[4:5], v[4:5], v[10:11], -v[8:9]
	v_fmac_f64_e32 v[16:17], v[6:7], v[10:11]
	v_add_f64 v[4:5], v[4:5], 0
	v_add_f64 v[6:7], v[16:17], 0
	s_waitcnt vmcnt(2)
	v_add_f64 v[4:5], v[12:13], -v[4:5]
	s_waitcnt vmcnt(0)
	v_add_f64 v[6:7], v[14:15], -v[6:7]
	buffer_store_dword v4, off, s[0:3], 0 offset:560
	buffer_store_dword v5, off, s[0:3], 0 offset:564
	;; [unrolled: 1-line block ×4, first 2 shown]
	s_and_saveexec_b64 s[4:5], vcc
	s_cbranch_execz .LBB35_163
; %bb.162:
	v_accvgpr_read_b32 v3, a69
	buffer_load_dword v4, v3, s[0:3], 0 offen
	buffer_load_dword v5, v3, s[0:3], 0 offen offset:4
	buffer_load_dword v6, v3, s[0:3], 0 offen offset:8
	;; [unrolled: 1-line block ×3, first 2 shown]
	s_nop 0
	buffer_store_dword v2, off, s[0:3], 0 offset:544
	buffer_store_dword v2, off, s[0:3], 0 offset:548
	;; [unrolled: 1-line block ×4, first 2 shown]
	s_waitcnt vmcnt(4)
	ds_write_b128 v1, v[4:7]
.LBB35_163:
	s_or_b64 exec, exec, s[4:5]
	s_waitcnt lgkmcnt(0)
	; wave barrier
	s_waitcnt lgkmcnt(0)
	buffer_load_dword v12, off, s[0:3], 0 offset:568
	buffer_load_dword v13, off, s[0:3], 0 offset:572
	;; [unrolled: 1-line block ×12, first 2 shown]
	ds_read_b128 v[4:7], v2 offset:1120
	ds_read_b128 v[8:11], v2 offset:1136
	v_cmp_lt_u32_e32 vcc, 32, v0
	s_waitcnt vmcnt(10) lgkmcnt(1)
	v_mul_f64 v[2:3], v[4:5], v[12:13]
	v_mul_f64 v[12:13], v[6:7], v[12:13]
	s_waitcnt vmcnt(8) lgkmcnt(0)
	v_mul_f64 v[24:25], v[8:9], v[14:15]
	v_mul_f64 v[14:15], v[10:11], v[14:15]
	s_waitcnt vmcnt(6)
	v_fma_f64 v[4:5], v[4:5], v[16:17], -v[12:13]
	v_fmac_f64_e32 v[2:3], v[6:7], v[16:17]
	s_waitcnt vmcnt(4)
	v_fma_f64 v[6:7], v[8:9], v[18:19], -v[14:15]
	v_add_f64 v[4:5], v[4:5], 0
	v_fmac_f64_e32 v[24:25], v[10:11], v[18:19]
	v_add_f64 v[2:3], v[2:3], 0
	v_add_f64 v[4:5], v[4:5], v[6:7]
	;; [unrolled: 1-line block ×3, first 2 shown]
	s_waitcnt vmcnt(2)
	v_add_f64 v[4:5], v[20:21], -v[4:5]
	s_waitcnt vmcnt(0)
	v_add_f64 v[2:3], v[22:23], -v[2:3]
	buffer_store_dword v4, off, s[0:3], 0 offset:544
	buffer_store_dword v5, off, s[0:3], 0 offset:548
	;; [unrolled: 1-line block ×4, first 2 shown]
	s_and_saveexec_b64 s[4:5], vcc
	s_cbranch_execz .LBB35_165
; %bb.164:
	v_accvgpr_read_b32 v5, a70
	buffer_load_dword v2, v5, s[0:3], 0 offen
	buffer_load_dword v3, v5, s[0:3], 0 offen offset:4
	buffer_load_dword v4, v5, s[0:3], 0 offen offset:8
	s_nop 0
	buffer_load_dword v5, v5, s[0:3], 0 offen offset:12
	v_mov_b32_e32 v6, 0
	buffer_store_dword v6, off, s[0:3], 0 offset:528
	buffer_store_dword v6, off, s[0:3], 0 offset:532
	;; [unrolled: 1-line block ×4, first 2 shown]
	s_waitcnt vmcnt(4)
	ds_write_b128 v1, v[2:5]
.LBB35_165:
	s_or_b64 exec, exec, s[4:5]
	s_waitcnt lgkmcnt(0)
	; wave barrier
	s_waitcnt lgkmcnt(0)
	buffer_load_dword v16, off, s[0:3], 0 offset:552
	buffer_load_dword v17, off, s[0:3], 0 offset:556
	;; [unrolled: 1-line block ×16, first 2 shown]
	v_mov_b32_e32 v2, 0
	ds_read_b128 v[4:7], v2 offset:1104
	ds_read_b128 v[8:11], v2 offset:1120
	;; [unrolled: 1-line block ×3, first 2 shown]
	v_cmp_lt_u32_e32 vcc, 31, v0
	s_waitcnt vmcnt(14) lgkmcnt(2)
	v_mul_f64 v[32:33], v[4:5], v[16:17]
	v_mul_f64 v[16:17], v[6:7], v[16:17]
	s_waitcnt vmcnt(12) lgkmcnt(1)
	v_mul_f64 v[34:35], v[8:9], v[18:19]
	v_mul_f64 v[18:19], v[10:11], v[18:19]
	;; [unrolled: 3-line block ×3, first 2 shown]
	s_waitcnt vmcnt(8)
	v_fma_f64 v[4:5], v[4:5], v[22:23], -v[16:17]
	v_fmac_f64_e32 v[32:33], v[6:7], v[22:23]
	s_waitcnt vmcnt(6)
	v_fma_f64 v[6:7], v[8:9], v[24:25], -v[18:19]
	v_add_f64 v[4:5], v[4:5], 0
	v_fmac_f64_e32 v[34:35], v[10:11], v[24:25]
	s_waitcnt vmcnt(4)
	v_fma_f64 v[8:9], v[12:13], v[26:27], -v[20:21]
	v_add_f64 v[10:11], v[32:33], 0
	v_add_f64 v[4:5], v[4:5], v[6:7]
	v_fmac_f64_e32 v[36:37], v[14:15], v[26:27]
	v_add_f64 v[10:11], v[10:11], v[34:35]
	v_add_f64 v[4:5], v[4:5], v[8:9]
	;; [unrolled: 1-line block ×3, first 2 shown]
	s_waitcnt vmcnt(2)
	v_add_f64 v[4:5], v[28:29], -v[4:5]
	s_waitcnt vmcnt(0)
	v_add_f64 v[6:7], v[30:31], -v[6:7]
	buffer_store_dword v4, off, s[0:3], 0 offset:528
	buffer_store_dword v5, off, s[0:3], 0 offset:532
	;; [unrolled: 1-line block ×4, first 2 shown]
	s_and_saveexec_b64 s[4:5], vcc
	s_cbranch_execz .LBB35_167
; %bb.166:
	v_accvgpr_read_b32 v3, a71
	buffer_load_dword v4, v3, s[0:3], 0 offen
	buffer_load_dword v5, v3, s[0:3], 0 offen offset:4
	buffer_load_dword v6, v3, s[0:3], 0 offen offset:8
	buffer_load_dword v7, v3, s[0:3], 0 offen offset:12
	s_nop 0
	buffer_store_dword v2, off, s[0:3], 0 offset:512
	buffer_store_dword v2, off, s[0:3], 0 offset:516
	;; [unrolled: 1-line block ×4, first 2 shown]
	s_waitcnt vmcnt(4)
	ds_write_b128 v1, v[4:7]
.LBB35_167:
	s_or_b64 exec, exec, s[4:5]
	s_waitcnt lgkmcnt(0)
	; wave barrier
	s_waitcnt lgkmcnt(0)
	buffer_load_dword v20, off, s[0:3], 0 offset:536
	buffer_load_dword v21, off, s[0:3], 0 offset:540
	;; [unrolled: 1-line block ×20, first 2 shown]
	ds_read_b128 v[4:7], v2 offset:1088
	ds_read_b128 v[8:11], v2 offset:1104
	;; [unrolled: 1-line block ×4, first 2 shown]
	v_cmp_lt_u32_e32 vcc, 30, v0
	s_waitcnt vmcnt(18) lgkmcnt(3)
	v_mul_f64 v[2:3], v[4:5], v[20:21]
	v_mul_f64 v[20:21], v[6:7], v[20:21]
	s_waitcnt vmcnt(16) lgkmcnt(2)
	v_mul_f64 v[40:41], v[8:9], v[22:23]
	v_mul_f64 v[22:23], v[10:11], v[22:23]
	;; [unrolled: 3-line block ×4, first 2 shown]
	s_waitcnt vmcnt(10)
	v_fma_f64 v[4:5], v[4:5], v[28:29], -v[20:21]
	v_fmac_f64_e32 v[2:3], v[6:7], v[28:29]
	s_waitcnt vmcnt(8)
	v_fma_f64 v[6:7], v[8:9], v[30:31], -v[22:23]
	v_add_f64 v[4:5], v[4:5], 0
	v_fmac_f64_e32 v[40:41], v[10:11], v[30:31]
	s_waitcnt vmcnt(6)
	v_fma_f64 v[8:9], v[12:13], v[32:33], -v[24:25]
	v_add_f64 v[2:3], v[2:3], 0
	v_add_f64 v[4:5], v[4:5], v[6:7]
	v_fmac_f64_e32 v[42:43], v[14:15], v[32:33]
	s_waitcnt vmcnt(4)
	v_fma_f64 v[10:11], v[16:17], v[34:35], -v[26:27]
	v_add_f64 v[2:3], v[2:3], v[40:41]
	v_add_f64 v[4:5], v[4:5], v[8:9]
	v_fmac_f64_e32 v[44:45], v[18:19], v[34:35]
	v_add_f64 v[2:3], v[2:3], v[42:43]
	v_add_f64 v[4:5], v[4:5], v[10:11]
	;; [unrolled: 1-line block ×3, first 2 shown]
	s_waitcnt vmcnt(2)
	v_add_f64 v[4:5], v[36:37], -v[4:5]
	s_waitcnt vmcnt(0)
	v_add_f64 v[2:3], v[38:39], -v[2:3]
	buffer_store_dword v4, off, s[0:3], 0 offset:512
	buffer_store_dword v5, off, s[0:3], 0 offset:516
	buffer_store_dword v2, off, s[0:3], 0 offset:520
	buffer_store_dword v3, off, s[0:3], 0 offset:524
	s_and_saveexec_b64 s[4:5], vcc
	s_cbranch_execz .LBB35_169
; %bb.168:
	v_accvgpr_read_b32 v5, a72
	buffer_load_dword v2, v5, s[0:3], 0 offen
	buffer_load_dword v3, v5, s[0:3], 0 offen offset:4
	buffer_load_dword v4, v5, s[0:3], 0 offen offset:8
	s_nop 0
	buffer_load_dword v5, v5, s[0:3], 0 offen offset:12
	v_mov_b32_e32 v6, 0
	buffer_store_dword v6, off, s[0:3], 0 offset:496
	buffer_store_dword v6, off, s[0:3], 0 offset:500
	;; [unrolled: 1-line block ×4, first 2 shown]
	s_waitcnt vmcnt(4)
	ds_write_b128 v1, v[2:5]
.LBB35_169:
	s_or_b64 exec, exec, s[4:5]
	s_waitcnt lgkmcnt(0)
	; wave barrier
	s_waitcnt lgkmcnt(0)
	buffer_load_dword v24, off, s[0:3], 0 offset:520
	buffer_load_dword v25, off, s[0:3], 0 offset:524
	;; [unrolled: 1-line block ×24, first 2 shown]
	v_mov_b32_e32 v2, 0
	ds_read_b128 v[4:7], v2 offset:1072
	ds_read_b128 v[8:11], v2 offset:1088
	;; [unrolled: 1-line block ×5, first 2 shown]
	v_cmp_lt_u32_e32 vcc, 29, v0
	s_waitcnt vmcnt(22) lgkmcnt(4)
	v_mul_f64 v[48:49], v[4:5], v[24:25]
	v_mul_f64 v[24:25], v[6:7], v[24:25]
	s_waitcnt vmcnt(20) lgkmcnt(3)
	v_mul_f64 v[50:51], v[8:9], v[26:27]
	v_mul_f64 v[26:27], v[10:11], v[26:27]
	;; [unrolled: 3-line block ×4, first 2 shown]
	s_waitcnt vmcnt(13) lgkmcnt(0)
	v_mul_f64 v[56:57], v[20:21], v[30:31]
	s_waitcnt vmcnt(11)
	v_fma_f64 v[4:5], v[4:5], v[36:37], -v[24:25]
	v_fmac_f64_e32 v[48:49], v[6:7], v[36:37]
	s_waitcnt vmcnt(9)
	v_fma_f64 v[6:7], v[8:9], v[38:39], -v[26:27]
	v_add_f64 v[4:5], v[4:5], 0
	v_fmac_f64_e32 v[50:51], v[10:11], v[38:39]
	s_waitcnt vmcnt(7)
	v_fmac_f64_e32 v[52:53], v[14:15], v[40:41]
	v_fma_f64 v[8:9], v[12:13], v[40:41], -v[28:29]
	v_add_f64 v[14:15], v[48:49], 0
	v_add_f64 v[4:5], v[4:5], v[6:7]
	v_mul_f64 v[30:31], v[22:23], v[30:31]
	s_waitcnt vmcnt(5)
	v_fma_f64 v[10:11], v[16:17], v[42:43], -v[34:35]
	v_add_f64 v[14:15], v[14:15], v[50:51]
	v_add_f64 v[4:5], v[4:5], v[8:9]
	v_fmac_f64_e32 v[54:55], v[18:19], v[42:43]
	s_waitcnt vmcnt(4)
	v_fma_f64 v[12:13], v[20:21], v[32:33], -v[30:31]
	v_add_f64 v[6:7], v[14:15], v[52:53]
	v_add_f64 v[4:5], v[4:5], v[10:11]
	v_fmac_f64_e32 v[56:57], v[22:23], v[32:33]
	v_add_f64 v[6:7], v[6:7], v[54:55]
	v_add_f64 v[4:5], v[4:5], v[12:13]
	v_add_f64 v[6:7], v[6:7], v[56:57]
	s_waitcnt vmcnt(2)
	v_add_f64 v[4:5], v[44:45], -v[4:5]
	s_waitcnt vmcnt(0)
	v_add_f64 v[6:7], v[46:47], -v[6:7]
	buffer_store_dword v5, off, s[0:3], 0 offset:500
	buffer_store_dword v4, off, s[0:3], 0 offset:496
	;; [unrolled: 1-line block ×4, first 2 shown]
	s_and_saveexec_b64 s[4:5], vcc
	s_cbranch_execz .LBB35_171
; %bb.170:
	v_accvgpr_read_b32 v3, a73
	buffer_load_dword v4, v3, s[0:3], 0 offen
	buffer_load_dword v5, v3, s[0:3], 0 offen offset:4
	buffer_load_dword v6, v3, s[0:3], 0 offen offset:8
	;; [unrolled: 1-line block ×3, first 2 shown]
	s_nop 0
	buffer_store_dword v2, off, s[0:3], 0 offset:480
	buffer_store_dword v2, off, s[0:3], 0 offset:484
	;; [unrolled: 1-line block ×4, first 2 shown]
	s_waitcnt vmcnt(4)
	ds_write_b128 v1, v[4:7]
.LBB35_171:
	s_or_b64 exec, exec, s[4:5]
	s_waitcnt lgkmcnt(0)
	; wave barrier
	s_waitcnt lgkmcnt(0)
	ds_read_b128 v[4:7], v2 offset:1056
	ds_read_b128 v[8:11], v2 offset:1072
	;; [unrolled: 1-line block ×4, first 2 shown]
	buffer_load_dword v28, off, s[0:3], 0 offset:480
	buffer_load_dword v29, off, s[0:3], 0 offset:484
	;; [unrolled: 1-line block ×20, first 2 shown]
	v_cmp_lt_u32_e32 vcc, 28, v0
	s_waitcnt vmcnt(12) lgkmcnt(3)
	v_mul_f64 v[20:21], v[4:5], v[34:35]
	v_fmac_f64_e32 v[20:21], v[6:7], v[32:33]
	v_add_f64 v[20:21], v[20:21], 0
	v_mul_f64 v[6:7], v[6:7], v[34:35]
	s_waitcnt vmcnt(8) lgkmcnt(2)
	v_mul_f64 v[22:23], v[8:9], v[38:39]
	v_fmac_f64_e32 v[22:23], v[10:11], v[36:37]
	v_add_f64 v[20:21], v[20:21], v[22:23]
	v_fma_f64 v[4:5], v[4:5], v[32:33], -v[6:7]
	s_waitcnt vmcnt(4) lgkmcnt(1)
	v_mul_f64 v[22:23], v[12:13], v[42:43]
	v_fmac_f64_e32 v[22:23], v[14:15], v[40:41]
	v_add_f64 v[20:21], v[20:21], v[22:23]
	s_waitcnt vmcnt(0) lgkmcnt(0)
	v_mul_f64 v[22:23], v[16:17], v[46:47]
	v_fmac_f64_e32 v[22:23], v[18:19], v[44:45]
	v_add_f64 v[24:25], v[20:21], v[22:23]
	ds_read_b128 v[20:23], v2 offset:1120
	buffer_load_dword v49, off, s[0:3], 0 offset:564
	buffer_load_dword v48, off, s[0:3], 0 offset:560
	;; [unrolled: 1-line block ×4, first 2 shown]
	v_mul_f64 v[6:7], v[10:11], v[38:39]
	v_add_f64 v[4:5], v[4:5], 0
	v_fma_f64 v[6:7], v[8:9], v[36:37], -v[6:7]
	v_add_f64 v[4:5], v[4:5], v[6:7]
	v_mul_f64 v[6:7], v[14:15], v[42:43]
	v_fma_f64 v[6:7], v[12:13], v[40:41], -v[6:7]
	v_add_f64 v[4:5], v[4:5], v[6:7]
	v_mul_f64 v[6:7], v[18:19], v[46:47]
	v_fma_f64 v[6:7], v[16:17], v[44:45], -v[6:7]
	v_add_f64 v[4:5], v[4:5], v[6:7]
	s_waitcnt vmcnt(0) lgkmcnt(0)
	v_mul_f64 v[26:27], v[20:21], v[50:51]
	v_fmac_f64_e32 v[26:27], v[22:23], v[48:49]
	v_add_f64 v[52:53], v[24:25], v[26:27]
	ds_read_b128 v[24:27], v2 offset:1136
	buffer_load_dword v3, off, s[0:3], 0 offset:580
	buffer_load_dword v2, off, s[0:3], 0 offset:576
	;; [unrolled: 1-line block ×4, first 2 shown]
	v_mul_f64 v[6:7], v[22:23], v[50:51]
	v_fma_f64 v[6:7], v[20:21], v[48:49], -v[6:7]
	v_add_f64 v[4:5], v[4:5], v[6:7]
	s_waitcnt vmcnt(0) lgkmcnt(0)
	v_mul_f64 v[56:57], v[24:25], v[54:55]
	v_mul_f64 v[6:7], v[26:27], v[54:55]
	v_fmac_f64_e32 v[56:57], v[26:27], v[2:3]
	v_fma_f64 v[2:3], v[24:25], v[2:3], -v[6:7]
	v_add_f64 v[2:3], v[4:5], v[2:3]
	v_add_f64 v[52:53], v[52:53], v[56:57]
	v_add_f64 v[2:3], v[28:29], -v[2:3]
	v_add_f64 v[4:5], v[30:31], -v[52:53]
	buffer_store_dword v3, off, s[0:3], 0 offset:484
	buffer_store_dword v2, off, s[0:3], 0 offset:480
	;; [unrolled: 1-line block ×4, first 2 shown]
	s_and_saveexec_b64 s[4:5], vcc
	s_cbranch_execz .LBB35_173
; %bb.172:
	v_accvgpr_read_b32 v5, a74
	buffer_load_dword v2, v5, s[0:3], 0 offen
	buffer_load_dword v3, v5, s[0:3], 0 offen offset:4
	buffer_load_dword v4, v5, s[0:3], 0 offen offset:8
	s_nop 0
	buffer_load_dword v5, v5, s[0:3], 0 offen offset:12
	v_mov_b32_e32 v6, 0
	buffer_store_dword v6, off, s[0:3], 0 offset:464
	buffer_store_dword v6, off, s[0:3], 0 offset:468
	;; [unrolled: 1-line block ×4, first 2 shown]
	s_waitcnt vmcnt(4)
	ds_write_b128 v1, v[2:5]
.LBB35_173:
	s_or_b64 exec, exec, s[4:5]
	s_waitcnt lgkmcnt(0)
	; wave barrier
	s_waitcnt lgkmcnt(0)
	buffer_load_dword v32, off, s[0:3], 0 offset:488
	buffer_load_dword v33, off, s[0:3], 0 offset:492
	;; [unrolled: 1-line block ×32, first 2 shown]
	v_mov_b32_e32 v2, 0
	ds_read_b128 v[4:7], v2 offset:1040
	ds_read_b128 v[8:11], v2 offset:1056
	ds_read_b128 v[12:15], v2 offset:1072
	ds_read_b128 v[16:19], v2 offset:1088
	ds_read_b128 v[20:23], v2 offset:1104
	ds_read_b128 v[24:27], v2 offset:1120
	ds_read_b128 v[28:31], v2 offset:1136
	v_cmp_lt_u32_e32 vcc, 27, v0
	s_waitcnt vmcnt(30) lgkmcnt(6)
	v_mul_f64 v[64:65], v[4:5], v[32:33]
	v_mul_f64 v[32:33], v[6:7], v[32:33]
	s_waitcnt vmcnt(28) lgkmcnt(5)
	v_mul_f64 v[66:67], v[8:9], v[34:35]
	v_mul_f64 v[34:35], v[10:11], v[34:35]
	;; [unrolled: 3-line block ×4, first 2 shown]
	s_waitcnt vmcnt(21)
	v_mul_f64 v[70:71], v[16:17], v[42:43]
	v_mul_f64 v[42:43], v[18:19], v[42:43]
	s_waitcnt vmcnt(17) lgkmcnt(1)
	v_mul_f64 v[74:75], v[24:25], v[48:49]
	v_mul_f64 v[48:49], v[26:27], v[48:49]
	s_waitcnt vmcnt(16) lgkmcnt(0)
	v_mul_f64 v[76:77], v[28:29], v[44:45]
	v_mul_f64 v[44:45], v[30:31], v[44:45]
	s_waitcnt vmcnt(13)
	v_fma_f64 v[4:5], v[4:5], v[50:51], -v[32:33]
	v_fmac_f64_e32 v[64:65], v[6:7], v[50:51]
	s_waitcnt vmcnt(11)
	v_fma_f64 v[6:7], v[8:9], v[52:53], -v[34:35]
	v_add_f64 v[4:5], v[4:5], 0
	v_fmac_f64_e32 v[66:67], v[10:11], v[52:53]
	s_waitcnt vmcnt(9)
	v_fma_f64 v[8:9], v[12:13], v[54:55], -v[36:37]
	s_waitcnt vmcnt(7)
	v_fmac_f64_e32 v[70:71], v[18:19], v[56:57]
	v_add_f64 v[18:19], v[64:65], 0
	v_add_f64 v[4:5], v[4:5], v[6:7]
	v_fmac_f64_e32 v[68:69], v[14:15], v[54:55]
	v_fma_f64 v[10:11], v[16:17], v[56:57], -v[42:43]
	v_add_f64 v[18:19], v[18:19], v[66:67]
	v_add_f64 v[4:5], v[4:5], v[8:9]
	v_fma_f64 v[12:13], v[20:21], v[40:41], -v[38:39]
	v_add_f64 v[6:7], v[18:19], v[68:69]
	v_add_f64 v[4:5], v[4:5], v[10:11]
	v_fmac_f64_e32 v[72:73], v[22:23], v[40:41]
	s_waitcnt vmcnt(5)
	v_fma_f64 v[14:15], v[24:25], v[58:59], -v[48:49]
	v_add_f64 v[6:7], v[6:7], v[70:71]
	v_add_f64 v[4:5], v[4:5], v[12:13]
	v_fmac_f64_e32 v[74:75], v[26:27], v[58:59]
	s_waitcnt vmcnt(4)
	v_fma_f64 v[16:17], v[28:29], v[46:47], -v[44:45]
	v_add_f64 v[6:7], v[6:7], v[72:73]
	v_add_f64 v[4:5], v[4:5], v[14:15]
	v_fmac_f64_e32 v[76:77], v[30:31], v[46:47]
	v_add_f64 v[6:7], v[6:7], v[74:75]
	v_add_f64 v[4:5], v[4:5], v[16:17]
	;; [unrolled: 1-line block ×3, first 2 shown]
	s_waitcnt vmcnt(2)
	v_add_f64 v[4:5], v[60:61], -v[4:5]
	s_waitcnt vmcnt(0)
	v_add_f64 v[6:7], v[62:63], -v[6:7]
	buffer_store_dword v5, off, s[0:3], 0 offset:468
	buffer_store_dword v4, off, s[0:3], 0 offset:464
	;; [unrolled: 1-line block ×4, first 2 shown]
	s_and_saveexec_b64 s[4:5], vcc
	s_cbranch_execz .LBB35_175
; %bb.174:
	v_accvgpr_read_b32 v3, a75
	buffer_load_dword v4, v3, s[0:3], 0 offen
	buffer_load_dword v5, v3, s[0:3], 0 offen offset:4
	buffer_load_dword v6, v3, s[0:3], 0 offen offset:8
	;; [unrolled: 1-line block ×3, first 2 shown]
	s_nop 0
	buffer_store_dword v2, off, s[0:3], 0 offset:448
	buffer_store_dword v2, off, s[0:3], 0 offset:452
	;; [unrolled: 1-line block ×4, first 2 shown]
	s_waitcnt vmcnt(4)
	ds_write_b128 v1, v[4:7]
.LBB35_175:
	s_or_b64 exec, exec, s[4:5]
	s_waitcnt lgkmcnt(0)
	; wave barrier
	s_waitcnt lgkmcnt(0)
	buffer_load_dword v36, off, s[0:3], 0 offset:472
	buffer_load_dword v37, off, s[0:3], 0 offset:476
	;; [unrolled: 1-line block ×36, first 2 shown]
	ds_read_b128 v[4:7], v2 offset:1024
	ds_read_b128 v[8:11], v2 offset:1040
	;; [unrolled: 1-line block ×8, first 2 shown]
	v_cmp_lt_u32_e32 vcc, 26, v0
	s_waitcnt vmcnt(34) lgkmcnt(7)
	v_mul_f64 v[2:3], v[4:5], v[36:37]
	v_mul_f64 v[36:37], v[6:7], v[36:37]
	s_waitcnt vmcnt(32) lgkmcnt(6)
	v_mul_f64 v[72:73], v[8:9], v[38:39]
	v_mul_f64 v[38:39], v[10:11], v[38:39]
	;; [unrolled: 3-line block ×4, first 2 shown]
	s_waitcnt vmcnt(25)
	v_mul_f64 v[76:77], v[16:17], v[46:47]
	v_mul_f64 v[46:47], v[18:19], v[46:47]
	s_waitcnt vmcnt(23) lgkmcnt(1)
	v_mul_f64 v[82:83], v[28:29], v[48:49]
	v_mul_f64 v[48:49], v[30:31], v[48:49]
	s_waitcnt vmcnt(20)
	v_mul_f64 v[80:81], v[24:25], v[52:53]
	v_mul_f64 v[52:53], v[26:27], v[52:53]
	s_waitcnt vmcnt(18) lgkmcnt(0)
	v_mul_f64 v[84:85], v[32:33], v[54:55]
	s_waitcnt vmcnt(17)
	v_fmac_f64_e32 v[78:79], v[22:23], v[44:45]
	s_waitcnt vmcnt(16)
	v_fmac_f64_e32 v[82:83], v[30:31], v[50:51]
	s_waitcnt vmcnt(14)
	v_fma_f64 v[4:5], v[4:5], v[56:57], -v[36:37]
	v_fmac_f64_e32 v[2:3], v[6:7], v[56:57]
	s_waitcnt vmcnt(12)
	v_fma_f64 v[6:7], v[8:9], v[58:59], -v[38:39]
	v_add_f64 v[4:5], v[4:5], 0
	v_fmac_f64_e32 v[72:73], v[10:11], v[58:59]
	s_waitcnt vmcnt(10)
	v_fma_f64 v[8:9], v[12:13], v[60:61], -v[40:41]
	v_add_f64 v[2:3], v[2:3], 0
	v_add_f64 v[4:5], v[4:5], v[6:7]
	v_fmac_f64_e32 v[74:75], v[14:15], v[60:61]
	s_waitcnt vmcnt(8)
	v_fma_f64 v[10:11], v[16:17], v[62:63], -v[46:47]
	v_add_f64 v[2:3], v[2:3], v[72:73]
	v_add_f64 v[4:5], v[4:5], v[8:9]
	v_fmac_f64_e32 v[76:77], v[18:19], v[62:63]
	v_fma_f64 v[12:13], v[20:21], v[44:45], -v[42:43]
	v_add_f64 v[2:3], v[2:3], v[74:75]
	v_add_f64 v[4:5], v[4:5], v[10:11]
	s_waitcnt vmcnt(6)
	v_fma_f64 v[14:15], v[24:25], v[64:65], -v[52:53]
	v_add_f64 v[2:3], v[2:3], v[76:77]
	v_add_f64 v[4:5], v[4:5], v[12:13]
	v_fmac_f64_e32 v[80:81], v[26:27], v[64:65]
	v_fma_f64 v[16:17], v[28:29], v[50:51], -v[48:49]
	v_add_f64 v[2:3], v[2:3], v[78:79]
	v_add_f64 v[4:5], v[4:5], v[14:15]
	v_mul_f64 v[6:7], v[34:35], v[54:55]
	v_add_f64 v[2:3], v[2:3], v[80:81]
	v_add_f64 v[4:5], v[4:5], v[16:17]
	s_waitcnt vmcnt(4)
	v_fma_f64 v[6:7], v[32:33], v[66:67], -v[6:7]
	v_fmac_f64_e32 v[84:85], v[34:35], v[66:67]
	v_add_f64 v[2:3], v[2:3], v[82:83]
	v_add_f64 v[4:5], v[4:5], v[6:7]
	;; [unrolled: 1-line block ×3, first 2 shown]
	s_waitcnt vmcnt(2)
	v_add_f64 v[4:5], v[68:69], -v[4:5]
	s_waitcnt vmcnt(0)
	v_add_f64 v[2:3], v[70:71], -v[2:3]
	buffer_store_dword v5, off, s[0:3], 0 offset:452
	buffer_store_dword v4, off, s[0:3], 0 offset:448
	;; [unrolled: 1-line block ×4, first 2 shown]
	s_and_saveexec_b64 s[4:5], vcc
	s_cbranch_execz .LBB35_177
; %bb.176:
	v_accvgpr_read_b32 v5, a76
	buffer_load_dword v2, v5, s[0:3], 0 offen
	buffer_load_dword v3, v5, s[0:3], 0 offen offset:4
	buffer_load_dword v4, v5, s[0:3], 0 offen offset:8
	s_nop 0
	buffer_load_dword v5, v5, s[0:3], 0 offen offset:12
	v_mov_b32_e32 v6, 0
	buffer_store_dword v6, off, s[0:3], 0 offset:432
	buffer_store_dword v6, off, s[0:3], 0 offset:436
	buffer_store_dword v6, off, s[0:3], 0 offset:440
	buffer_store_dword v6, off, s[0:3], 0 offset:444
	s_waitcnt vmcnt(4)
	ds_write_b128 v1, v[2:5]
.LBB35_177:
	s_or_b64 exec, exec, s[4:5]
	s_waitcnt lgkmcnt(0)
	; wave barrier
	s_waitcnt lgkmcnt(0)
	buffer_load_dword v40, off, s[0:3], 0 offset:456
	buffer_load_dword v41, off, s[0:3], 0 offset:460
	;; [unrolled: 1-line block ×40, first 2 shown]
	v_mov_b32_e32 v6, 0
	ds_read_b128 v[2:5], v6 offset:1008
	ds_read_b128 v[8:11], v6 offset:1024
	;; [unrolled: 1-line block ×9, first 2 shown]
	v_cmp_lt_u32_e32 vcc, 25, v0
	s_waitcnt vmcnt(38) lgkmcnt(8)
	v_mul_f64 v[80:81], v[2:3], v[40:41]
	v_mul_f64 v[40:41], v[4:5], v[40:41]
	s_waitcnt vmcnt(36) lgkmcnt(7)
	v_mul_f64 v[82:83], v[8:9], v[42:43]
	v_mul_f64 v[42:43], v[10:11], v[42:43]
	s_waitcnt vmcnt(34) lgkmcnt(6)
	v_mul_f64 v[84:85], v[12:13], v[44:45]
	v_mul_f64 v[44:45], v[14:15], v[44:45]
	s_waitcnt vmcnt(32) lgkmcnt(4)
	v_mul_f64 v[88:89], v[20:21], v[46:47]
	s_waitcnt vmcnt(30)
	v_fmac_f64_e32 v[88:89], v[22:23], v[48:49]
	s_waitcnt vmcnt(28)
	v_mul_f64 v[86:87], v[16:17], v[50:51]
	v_mul_f64 v[50:51], v[18:19], v[50:51]
	s_waitcnt vmcnt(26) lgkmcnt(2)
	v_mul_f64 v[92:93], v[28:29], v[52:53]
	s_waitcnt vmcnt(24)
	v_fmac_f64_e32 v[92:93], v[30:31], v[54:55]
	s_waitcnt vmcnt(22)
	v_mul_f64 v[90:91], v[24:25], v[56:57]
	s_waitcnt vmcnt(18) lgkmcnt(1)
	v_mul_f64 v[94:95], v[32:33], v[62:63]
	s_waitcnt vmcnt(17) lgkmcnt(0)
	v_mul_f64 v[96:97], v[36:37], v[58:59]
	s_waitcnt vmcnt(15)
	v_fma_f64 v[2:3], v[2:3], v[64:65], -v[40:41]
	v_fmac_f64_e32 v[80:81], v[4:5], v[64:65]
	s_waitcnt vmcnt(13)
	v_fma_f64 v[4:5], v[8:9], v[66:67], -v[42:43]
	v_add_f64 v[2:3], v[2:3], 0
	s_waitcnt vmcnt(11)
	v_fma_f64 v[8:9], v[12:13], v[68:69], -v[44:45]
	v_add_f64 v[2:3], v[2:3], v[4:5]
	v_fmac_f64_e32 v[82:83], v[10:11], v[66:67]
	s_waitcnt vmcnt(9)
	v_fma_f64 v[10:11], v[16:17], v[70:71], -v[50:51]
	v_add_f64 v[2:3], v[2:3], v[8:9]
	v_mul_f64 v[8:9], v[22:23], v[46:47]
	v_add_f64 v[2:3], v[2:3], v[10:11]
	v_fma_f64 v[8:9], v[20:21], v[48:49], -v[8:9]
	v_add_f64 v[2:3], v[2:3], v[8:9]
	v_mul_f64 v[8:9], v[26:27], v[56:57]
	v_add_f64 v[12:13], v[80:81], 0
	s_waitcnt vmcnt(7)
	v_fma_f64 v[8:9], v[24:25], v[72:73], -v[8:9]
	v_fmac_f64_e32 v[84:85], v[14:15], v[68:69]
	v_add_f64 v[12:13], v[12:13], v[82:83]
	v_add_f64 v[2:3], v[2:3], v[8:9]
	v_mul_f64 v[8:9], v[30:31], v[52:53]
	v_fmac_f64_e32 v[86:87], v[18:19], v[70:71]
	v_add_f64 v[4:5], v[12:13], v[84:85]
	v_fma_f64 v[8:9], v[28:29], v[54:55], -v[8:9]
	v_add_f64 v[4:5], v[4:5], v[86:87]
	v_add_f64 v[2:3], v[2:3], v[8:9]
	v_mul_f64 v[8:9], v[34:35], v[62:63]
	v_fmac_f64_e32 v[90:91], v[26:27], v[72:73]
	v_add_f64 v[4:5], v[4:5], v[88:89]
	s_waitcnt vmcnt(5)
	v_fma_f64 v[8:9], v[32:33], v[74:75], -v[8:9]
	v_add_f64 v[4:5], v[4:5], v[90:91]
	v_add_f64 v[2:3], v[2:3], v[8:9]
	v_mul_f64 v[8:9], v[38:39], v[58:59]
	v_fmac_f64_e32 v[94:95], v[34:35], v[74:75]
	v_add_f64 v[4:5], v[4:5], v[92:93]
	s_waitcnt vmcnt(4)
	v_fma_f64 v[8:9], v[36:37], v[60:61], -v[8:9]
	v_fmac_f64_e32 v[96:97], v[38:39], v[60:61]
	v_add_f64 v[4:5], v[4:5], v[94:95]
	v_add_f64 v[2:3], v[2:3], v[8:9]
	;; [unrolled: 1-line block ×3, first 2 shown]
	s_waitcnt vmcnt(2)
	v_add_f64 v[2:3], v[76:77], -v[2:3]
	s_waitcnt vmcnt(0)
	v_add_f64 v[4:5], v[78:79], -v[4:5]
	buffer_store_dword v3, off, s[0:3], 0 offset:436
	buffer_store_dword v2, off, s[0:3], 0 offset:432
	;; [unrolled: 1-line block ×4, first 2 shown]
	s_and_saveexec_b64 s[4:5], vcc
	s_cbranch_execz .LBB35_179
; %bb.178:
	v_accvgpr_read_b32 v5, a77
	buffer_load_dword v2, v5, s[0:3], 0 offen
	buffer_load_dword v3, v5, s[0:3], 0 offen offset:4
	buffer_load_dword v4, v5, s[0:3], 0 offen offset:8
	s_nop 0
	buffer_load_dword v5, v5, s[0:3], 0 offen offset:12
	s_nop 0
	buffer_store_dword v6, off, s[0:3], 0 offset:416
	buffer_store_dword v6, off, s[0:3], 0 offset:420
	;; [unrolled: 1-line block ×4, first 2 shown]
	s_waitcnt vmcnt(4)
	ds_write_b128 v1, v[2:5]
.LBB35_179:
	s_or_b64 exec, exec, s[4:5]
	s_waitcnt lgkmcnt(0)
	; wave barrier
	s_waitcnt lgkmcnt(0)
	buffer_load_dword v4, off, s[0:3], 0 offset:432
	buffer_load_dword v5, off, s[0:3], 0 offset:436
	;; [unrolled: 1-line block ×44, first 2 shown]
	ds_read_b128 v[8:11], v6 offset:992
	ds_read_b128 v[12:15], v6 offset:1008
	;; [unrolled: 1-line block ×10, first 2 shown]
	v_cmp_lt_u32_e32 vcc, 24, v0
	s_waitcnt vmcnt(40) lgkmcnt(9)
	v_mul_f64 v[6:7], v[8:9], v[48:49]
	v_mul_f64 v[48:49], v[10:11], v[48:49]
	s_waitcnt vmcnt(38) lgkmcnt(8)
	v_mul_f64 v[88:89], v[12:13], v[50:51]
	v_mul_f64 v[50:51], v[14:15], v[50:51]
	v_fmac_f64_e32 v[6:7], v[10:11], v[4:5]
	v_fma_f64 v[4:5], v[8:9], v[4:5], -v[48:49]
	s_waitcnt vmcnt(36) lgkmcnt(7)
	v_mul_f64 v[90:91], v[16:17], v[2:3]
	v_add_f64 v[4:5], v[4:5], 0
	v_mul_f64 v[2:3], v[18:19], v[2:3]
	v_add_f64 v[6:7], v[6:7], 0
	s_waitcnt vmcnt(30) lgkmcnt(6)
	v_mul_f64 v[92:93], v[20:21], v[56:57]
	s_waitcnt lgkmcnt(5)
	v_mul_f64 v[94:95], v[24:25], v[52:53]
	v_fmac_f64_e32 v[94:95], v[26:27], v[54:55]
	s_waitcnt vmcnt(28) lgkmcnt(3)
	v_mul_f64 v[98:99], v[32:33], v[58:59]
	s_waitcnt vmcnt(26)
	v_fmac_f64_e32 v[98:99], v[34:35], v[60:61]
	s_waitcnt vmcnt(24)
	v_mul_f64 v[96:97], v[28:29], v[62:63]
	s_waitcnt vmcnt(22) lgkmcnt(1)
	v_mul_f64 v[102:103], v[40:41], v[64:65]
	s_waitcnt vmcnt(20)
	v_fmac_f64_e32 v[102:103], v[42:43], v[66:67]
	s_waitcnt vmcnt(18)
	v_mul_f64 v[100:101], v[36:37], v[68:69]
	s_waitcnt vmcnt(16) lgkmcnt(0)
	v_mul_f64 v[104:105], v[44:45], v[70:71]
	s_waitcnt vmcnt(14)
	v_fma_f64 v[8:9], v[12:13], v[72:73], -v[50:51]
	v_add_f64 v[4:5], v[4:5], v[8:9]
	s_waitcnt vmcnt(12)
	v_fma_f64 v[2:3], v[16:17], v[74:75], -v[2:3]
	v_add_f64 v[2:3], v[4:5], v[2:3]
	v_mul_f64 v[4:5], v[22:23], v[56:57]
	s_waitcnt vmcnt(10)
	v_fma_f64 v[4:5], v[20:21], v[76:77], -v[4:5]
	v_add_f64 v[2:3], v[2:3], v[4:5]
	v_mul_f64 v[4:5], v[26:27], v[52:53]
	v_fma_f64 v[4:5], v[24:25], v[54:55], -v[4:5]
	v_add_f64 v[2:3], v[2:3], v[4:5]
	v_mul_f64 v[4:5], v[30:31], v[62:63]
	s_waitcnt vmcnt(8)
	v_fma_f64 v[4:5], v[28:29], v[78:79], -v[4:5]
	v_fmac_f64_e32 v[88:89], v[14:15], v[72:73]
	v_add_f64 v[2:3], v[2:3], v[4:5]
	v_mul_f64 v[4:5], v[34:35], v[58:59]
	v_fmac_f64_e32 v[90:91], v[18:19], v[74:75]
	v_add_f64 v[6:7], v[6:7], v[88:89]
	v_fma_f64 v[4:5], v[32:33], v[60:61], -v[4:5]
	v_fmac_f64_e32 v[92:93], v[22:23], v[76:77]
	v_add_f64 v[6:7], v[6:7], v[90:91]
	v_add_f64 v[2:3], v[2:3], v[4:5]
	v_mul_f64 v[4:5], v[38:39], v[68:69]
	v_add_f64 v[6:7], v[6:7], v[92:93]
	s_waitcnt vmcnt(6)
	v_fma_f64 v[4:5], v[36:37], v[80:81], -v[4:5]
	v_fmac_f64_e32 v[96:97], v[30:31], v[78:79]
	v_add_f64 v[6:7], v[6:7], v[94:95]
	v_add_f64 v[2:3], v[2:3], v[4:5]
	v_mul_f64 v[4:5], v[42:43], v[64:65]
	v_add_f64 v[6:7], v[6:7], v[96:97]
	v_fma_f64 v[4:5], v[40:41], v[66:67], -v[4:5]
	v_fmac_f64_e32 v[100:101], v[38:39], v[80:81]
	v_add_f64 v[6:7], v[6:7], v[98:99]
	v_add_f64 v[2:3], v[2:3], v[4:5]
	v_mul_f64 v[4:5], v[46:47], v[70:71]
	v_add_f64 v[6:7], v[6:7], v[100:101]
	s_waitcnt vmcnt(4)
	v_fma_f64 v[4:5], v[44:45], v[82:83], -v[4:5]
	v_fmac_f64_e32 v[104:105], v[46:47], v[82:83]
	v_add_f64 v[6:7], v[6:7], v[102:103]
	v_add_f64 v[2:3], v[2:3], v[4:5]
	;; [unrolled: 1-line block ×3, first 2 shown]
	s_waitcnt vmcnt(2)
	v_add_f64 v[2:3], v[84:85], -v[2:3]
	s_waitcnt vmcnt(0)
	v_add_f64 v[4:5], v[86:87], -v[6:7]
	buffer_store_dword v3, off, s[0:3], 0 offset:420
	buffer_store_dword v2, off, s[0:3], 0 offset:416
	;; [unrolled: 1-line block ×4, first 2 shown]
	s_and_saveexec_b64 s[4:5], vcc
	s_cbranch_execz .LBB35_181
; %bb.180:
	v_accvgpr_read_b32 v5, a78
	buffer_load_dword v2, v5, s[0:3], 0 offen
	buffer_load_dword v3, v5, s[0:3], 0 offen offset:4
	buffer_load_dword v4, v5, s[0:3], 0 offen offset:8
	s_nop 0
	buffer_load_dword v5, v5, s[0:3], 0 offen offset:12
	v_mov_b32_e32 v6, 0
	buffer_store_dword v6, off, s[0:3], 0 offset:400
	buffer_store_dword v6, off, s[0:3], 0 offset:404
	;; [unrolled: 1-line block ×4, first 2 shown]
	s_waitcnt vmcnt(4)
	ds_write_b128 v1, v[2:5]
.LBB35_181:
	s_or_b64 exec, exec, s[4:5]
	s_waitcnt lgkmcnt(0)
	; wave barrier
	s_waitcnt lgkmcnt(0)
	buffer_load_dword v2, off, s[0:3], 0 offset:416
	buffer_load_dword v3, off, s[0:3], 0 offset:420
	;; [unrolled: 1-line block ×48, first 2 shown]
	v_mov_b32_e32 v12, 0
	ds_read_b128 v[14:17], v12 offset:976
	ds_read_b128 v[18:21], v12 offset:992
	;; [unrolled: 1-line block ×11, first 2 shown]
	v_cmp_lt_u32_e32 vcc, 23, v0
	s_waitcnt vmcnt(44) lgkmcnt(10)
	v_mul_f64 v[96:97], v[14:15], v[6:7]
	v_mul_f64 v[6:7], v[16:17], v[6:7]
	v_fmac_f64_e32 v[96:97], v[16:17], v[2:3]
	v_fma_f64 v[2:3], v[14:15], v[2:3], -v[6:7]
	s_waitcnt vmcnt(40) lgkmcnt(9)
	v_mul_f64 v[98:99], v[18:19], v[8:9]
	v_mul_f64 v[6:7], v[20:21], v[8:9]
	v_fmac_f64_e32 v[98:99], v[20:21], v[4:5]
	v_add_f64 v[2:3], v[2:3], 0
	v_fma_f64 v[4:5], v[18:19], v[4:5], -v[6:7]
	v_add_f64 v[2:3], v[2:3], v[4:5]
	s_waitcnt vmcnt(38) lgkmcnt(8)
	v_mul_f64 v[4:5], v[24:25], v[10:11]
	v_mul_f64 v[100:101], v[22:23], v[10:11]
	v_add_f64 v[96:97], v[96:97], 0
	s_waitcnt vmcnt(32) lgkmcnt(7)
	v_mul_f64 v[102:103], v[26:27], v[62:63]
	v_add_f64 v[96:97], v[96:97], v[98:99]
	s_waitcnt lgkmcnt(6)
	v_mul_f64 v[104:105], v[30:31], v[58:59]
	v_fmac_f64_e32 v[104:105], v[32:33], v[60:61]
	s_waitcnt vmcnt(30) lgkmcnt(4)
	v_mul_f64 v[108:109], v[38:39], v[64:65]
	s_waitcnt vmcnt(26)
	v_mul_f64 v[106:107], v[34:35], v[68:69]
	v_fmac_f64_e32 v[108:109], v[40:41], v[66:67]
	s_waitcnt vmcnt(24) lgkmcnt(2)
	v_mul_f64 v[112:113], v[46:47], v[70:71]
	s_waitcnt vmcnt(22)
	v_fmac_f64_e32 v[112:113], v[48:49], v[72:73]
	s_waitcnt vmcnt(20)
	v_mul_f64 v[110:111], v[42:43], v[74:75]
	s_waitcnt vmcnt(16) lgkmcnt(1)
	v_mul_f64 v[114:115], v[50:51], v[80:81]
	s_waitcnt vmcnt(14)
	v_fma_f64 v[4:5], v[22:23], v[82:83], -v[4:5]
	v_add_f64 v[2:3], v[2:3], v[4:5]
	v_mul_f64 v[4:5], v[28:29], v[62:63]
	s_waitcnt vmcnt(12)
	v_fma_f64 v[4:5], v[26:27], v[84:85], -v[4:5]
	v_add_f64 v[2:3], v[2:3], v[4:5]
	v_mul_f64 v[4:5], v[32:33], v[58:59]
	v_fma_f64 v[4:5], v[30:31], v[60:61], -v[4:5]
	v_add_f64 v[2:3], v[2:3], v[4:5]
	v_mul_f64 v[4:5], v[36:37], v[68:69]
	s_waitcnt vmcnt(10)
	v_fma_f64 v[4:5], v[34:35], v[86:87], -v[4:5]
	v_add_f64 v[2:3], v[2:3], v[4:5]
	v_mul_f64 v[4:5], v[40:41], v[64:65]
	v_fma_f64 v[4:5], v[38:39], v[66:67], -v[4:5]
	v_fmac_f64_e32 v[100:101], v[24:25], v[82:83]
	v_add_f64 v[2:3], v[2:3], v[4:5]
	v_mul_f64 v[4:5], v[44:45], v[74:75]
	v_fmac_f64_e32 v[102:103], v[28:29], v[84:85]
	v_add_f64 v[96:97], v[96:97], v[100:101]
	s_waitcnt vmcnt(8)
	v_fma_f64 v[4:5], v[42:43], v[88:89], -v[4:5]
	v_add_f64 v[96:97], v[96:97], v[102:103]
	v_add_f64 v[2:3], v[2:3], v[4:5]
	v_mul_f64 v[4:5], v[48:49], v[70:71]
	v_fmac_f64_e32 v[106:107], v[36:37], v[86:87]
	v_add_f64 v[96:97], v[96:97], v[104:105]
	v_fma_f64 v[4:5], v[46:47], v[72:73], -v[4:5]
	v_add_f64 v[96:97], v[96:97], v[106:107]
	v_add_f64 v[2:3], v[2:3], v[4:5]
	v_mul_f64 v[4:5], v[52:53], v[80:81]
	v_fmac_f64_e32 v[110:111], v[44:45], v[88:89]
	v_add_f64 v[96:97], v[96:97], v[108:109]
	s_waitcnt vmcnt(6)
	v_fma_f64 v[4:5], v[50:51], v[90:91], -v[4:5]
	v_add_f64 v[96:97], v[96:97], v[110:111]
	v_add_f64 v[2:3], v[2:3], v[4:5]
	s_waitcnt vmcnt(5) lgkmcnt(0)
	v_mul_f64 v[4:5], v[56:57], v[76:77]
	v_fmac_f64_e32 v[114:115], v[52:53], v[90:91]
	v_add_f64 v[96:97], v[96:97], v[112:113]
	v_mul_f64 v[98:99], v[54:55], v[76:77]
	s_waitcnt vmcnt(4)
	v_fma_f64 v[4:5], v[54:55], v[78:79], -v[4:5]
	v_add_f64 v[96:97], v[96:97], v[114:115]
	v_fmac_f64_e32 v[98:99], v[56:57], v[78:79]
	v_add_f64 v[2:3], v[2:3], v[4:5]
	v_add_f64 v[96:97], v[96:97], v[98:99]
	s_waitcnt vmcnt(2)
	v_add_f64 v[2:3], v[92:93], -v[2:3]
	s_waitcnt vmcnt(0)
	v_add_f64 v[4:5], v[94:95], -v[96:97]
	buffer_store_dword v3, off, s[0:3], 0 offset:404
	buffer_store_dword v2, off, s[0:3], 0 offset:400
	;; [unrolled: 1-line block ×4, first 2 shown]
	s_and_saveexec_b64 s[4:5], vcc
	s_cbranch_execz .LBB35_183
; %bb.182:
	v_accvgpr_read_b32 v5, a79
	buffer_load_dword v2, v5, s[0:3], 0 offen
	buffer_load_dword v3, v5, s[0:3], 0 offen offset:4
	buffer_load_dword v4, v5, s[0:3], 0 offen offset:8
	s_nop 0
	buffer_load_dword v5, v5, s[0:3], 0 offen offset:12
	s_nop 0
	buffer_store_dword v12, off, s[0:3], 0 offset:384
	buffer_store_dword v12, off, s[0:3], 0 offset:388
	;; [unrolled: 1-line block ×4, first 2 shown]
	s_waitcnt vmcnt(4)
	ds_write_b128 v1, v[2:5]
.LBB35_183:
	s_or_b64 exec, exec, s[4:5]
	s_waitcnt lgkmcnt(0)
	; wave barrier
	s_waitcnt lgkmcnt(0)
	buffer_load_dword v2, off, s[0:3], 0 offset:400
	buffer_load_dword v3, off, s[0:3], 0 offset:404
	;; [unrolled: 1-line block ×52, first 2 shown]
	ds_read_b128 v[14:17], v12 offset:960
	ds_read_b128 v[18:21], v12 offset:976
	;; [unrolled: 1-line block ×10, first 2 shown]
	v_cmp_lt_u32_e32 vcc, 22, v0
	s_waitcnt vmcnt(48) lgkmcnt(9)
	v_mul_f64 v[54:55], v[14:15], v[6:7]
	v_mul_f64 v[6:7], v[16:17], v[6:7]
	v_fmac_f64_e32 v[54:55], v[16:17], v[2:3]
	v_fma_f64 v[2:3], v[14:15], v[2:3], -v[6:7]
	s_waitcnt vmcnt(44) lgkmcnt(8)
	v_mul_f64 v[56:57], v[18:19], v[8:9]
	v_mul_f64 v[6:7], v[20:21], v[8:9]
	v_fmac_f64_e32 v[56:57], v[20:21], v[4:5]
	v_add_f64 v[2:3], v[2:3], 0
	v_fma_f64 v[4:5], v[18:19], v[4:5], -v[6:7]
	v_add_f64 v[2:3], v[2:3], v[4:5]
	s_waitcnt vmcnt(42) lgkmcnt(7)
	v_mul_f64 v[4:5], v[24:25], v[10:11]
	v_mul_f64 v[58:59], v[22:23], v[10:11]
	v_add_f64 v[54:55], v[54:55], 0
	s_waitcnt vmcnt(36) lgkmcnt(6)
	v_mul_f64 v[60:61], v[26:27], v[66:67]
	v_add_f64 v[54:55], v[54:55], v[56:57]
	s_waitcnt lgkmcnt(5)
	v_mul_f64 v[104:105], v[30:31], v[62:63]
	v_fmac_f64_e32 v[104:105], v[32:33], v[64:65]
	s_waitcnt vmcnt(34) lgkmcnt(3)
	v_mul_f64 v[108:109], v[38:39], v[68:69]
	s_waitcnt vmcnt(30)
	v_mul_f64 v[106:107], v[34:35], v[72:73]
	v_fmac_f64_e32 v[108:109], v[40:41], v[70:71]
	s_waitcnt vmcnt(26) lgkmcnt(2)
	v_mul_f64 v[110:111], v[42:43], v[78:79]
	s_waitcnt vmcnt(25) lgkmcnt(1)
	v_mul_f64 v[112:113], v[46:47], v[74:75]
	s_waitcnt vmcnt(23)
	v_fma_f64 v[4:5], v[22:23], v[80:81], -v[4:5]
	v_add_f64 v[2:3], v[2:3], v[4:5]
	v_mul_f64 v[4:5], v[28:29], v[66:67]
	s_waitcnt vmcnt(21)
	v_fma_f64 v[4:5], v[26:27], v[82:83], -v[4:5]
	v_fmac_f64_e32 v[58:59], v[24:25], v[80:81]
	v_add_f64 v[2:3], v[2:3], v[4:5]
	v_mul_f64 v[4:5], v[32:33], v[62:63]
	v_fmac_f64_e32 v[60:61], v[28:29], v[82:83]
	v_add_f64 v[54:55], v[54:55], v[58:59]
	v_fma_f64 v[4:5], v[30:31], v[64:65], -v[4:5]
	v_add_f64 v[54:55], v[54:55], v[60:61]
	v_add_f64 v[2:3], v[2:3], v[4:5]
	v_mul_f64 v[4:5], v[36:37], v[72:73]
	s_waitcnt vmcnt(19)
	v_fmac_f64_e32 v[106:107], v[36:37], v[84:85]
	v_add_f64 v[54:55], v[54:55], v[104:105]
	v_fma_f64 v[4:5], v[34:35], v[84:85], -v[4:5]
	v_add_f64 v[54:55], v[54:55], v[106:107]
	v_add_f64 v[2:3], v[2:3], v[4:5]
	v_mul_f64 v[4:5], v[40:41], v[68:69]
	s_waitcnt vmcnt(17)
	v_fmac_f64_e32 v[110:111], v[44:45], v[86:87]
	v_add_f64 v[54:55], v[54:55], v[108:109]
	v_fma_f64 v[4:5], v[38:39], v[70:71], -v[4:5]
	s_waitcnt vmcnt(16)
	v_fmac_f64_e32 v[112:113], v[48:49], v[76:77]
	v_add_f64 v[54:55], v[54:55], v[110:111]
	v_add_f64 v[2:3], v[2:3], v[4:5]
	v_mul_f64 v[4:5], v[44:45], v[78:79]
	v_add_f64 v[104:105], v[54:55], v[112:113]
	ds_read_b128 v[54:57], v12 offset:1120
	ds_read_b128 v[58:61], v12 offset:1136
	v_fma_f64 v[4:5], v[42:43], v[86:87], -v[4:5]
	v_add_f64 v[2:3], v[2:3], v[4:5]
	v_mul_f64 v[4:5], v[48:49], v[74:75]
	v_fma_f64 v[4:5], v[46:47], v[76:77], -v[4:5]
	v_add_f64 v[2:3], v[2:3], v[4:5]
	s_waitcnt vmcnt(12) lgkmcnt(2)
	v_mul_f64 v[4:5], v[52:53], v[92:93]
	v_mul_f64 v[106:107], v[50:51], v[92:93]
	s_waitcnt vmcnt(10)
	v_fma_f64 v[4:5], v[50:51], v[94:95], -v[4:5]
	v_fmac_f64_e32 v[106:107], v[52:53], v[94:95]
	v_add_f64 v[2:3], v[2:3], v[4:5]
	s_waitcnt vmcnt(8) lgkmcnt(1)
	v_mul_f64 v[4:5], v[56:57], v[88:89]
	v_add_f64 v[12:13], v[104:105], v[106:107]
	v_mul_f64 v[104:105], v[54:55], v[88:89]
	v_fma_f64 v[4:5], v[54:55], v[90:91], -v[4:5]
	v_fmac_f64_e32 v[104:105], v[56:57], v[90:91]
	v_add_f64 v[2:3], v[2:3], v[4:5]
	s_waitcnt vmcnt(6) lgkmcnt(0)
	v_mul_f64 v[4:5], v[60:61], v[96:97]
	v_add_f64 v[12:13], v[12:13], v[104:105]
	v_mul_f64 v[104:105], v[58:59], v[96:97]
	s_waitcnt vmcnt(4)
	v_fma_f64 v[4:5], v[58:59], v[98:99], -v[4:5]
	v_fmac_f64_e32 v[104:105], v[60:61], v[98:99]
	v_add_f64 v[2:3], v[2:3], v[4:5]
	v_add_f64 v[12:13], v[12:13], v[104:105]
	s_waitcnt vmcnt(2)
	v_add_f64 v[2:3], v[100:101], -v[2:3]
	s_waitcnt vmcnt(0)
	v_add_f64 v[4:5], v[102:103], -v[12:13]
	buffer_store_dword v3, off, s[0:3], 0 offset:388
	buffer_store_dword v2, off, s[0:3], 0 offset:384
	;; [unrolled: 1-line block ×4, first 2 shown]
	s_and_saveexec_b64 s[4:5], vcc
	s_cbranch_execz .LBB35_185
; %bb.184:
	v_accvgpr_read_b32 v5, a80
	buffer_load_dword v2, v5, s[0:3], 0 offen
	buffer_load_dword v3, v5, s[0:3], 0 offen offset:4
	buffer_load_dword v4, v5, s[0:3], 0 offen offset:8
	s_nop 0
	buffer_load_dword v5, v5, s[0:3], 0 offen offset:12
	v_mov_b32_e32 v6, 0
	buffer_store_dword v6, off, s[0:3], 0 offset:368
	buffer_store_dword v6, off, s[0:3], 0 offset:372
	;; [unrolled: 1-line block ×4, first 2 shown]
	s_waitcnt vmcnt(4)
	ds_write_b128 v1, v[2:5]
.LBB35_185:
	s_or_b64 exec, exec, s[4:5]
	s_waitcnt lgkmcnt(0)
	; wave barrier
	s_waitcnt lgkmcnt(0)
	buffer_load_dword v2, off, s[0:3], 0 offset:384
	buffer_load_dword v3, off, s[0:3], 0 offset:388
	;; [unrolled: 1-line block ×56, first 2 shown]
	v_mov_b32_e32 v24, 0
	ds_read_b128 v[18:21], v24 offset:944
	ds_read_b128 v[26:29], v24 offset:960
	ds_read_b128 v[30:33], v24 offset:976
	ds_read_b128 v[34:37], v24 offset:992
	ds_read_b128 v[38:41], v24 offset:1008
	ds_read_b128 v[42:45], v24 offset:1024
	ds_read_b128 v[46:49], v24 offset:1040
	ds_read_b128 v[50:53], v24 offset:1056
	ds_read_b128 v[70:73], v24 offset:1136
	v_cmp_lt_u32_e32 vcc, 21, v0
	s_waitcnt vmcnt(52) lgkmcnt(8)
	v_mul_f64 v[54:55], v[18:19], v[6:7]
	v_fmac_f64_e32 v[54:55], v[20:21], v[2:3]
	v_mul_f64 v[6:7], v[20:21], v[6:7]
	v_add_f64 v[54:55], v[54:55], 0
	s_waitcnt vmcnt(48) lgkmcnt(7)
	v_mul_f64 v[56:57], v[26:27], v[8:9]
	v_fmac_f64_e32 v[56:57], v[28:29], v[4:5]
	s_waitcnt vmcnt(46) lgkmcnt(6)
	v_mul_f64 v[58:59], v[30:31], v[10:11]
	v_fma_f64 v[2:3], v[18:19], v[2:3], -v[6:7]
	v_mul_f64 v[6:7], v[28:29], v[8:9]
	v_add_f64 v[54:55], v[54:55], v[56:57]
	v_add_f64 v[2:3], v[2:3], 0
	v_fma_f64 v[4:5], v[26:27], v[4:5], -v[6:7]
	s_waitcnt vmcnt(40) lgkmcnt(5)
	v_mul_f64 v[60:61], v[34:35], v[16:17]
	s_waitcnt lgkmcnt(4)
	v_mul_f64 v[62:63], v[38:39], v[12:13]
	v_add_f64 v[2:3], v[2:3], v[4:5]
	v_mul_f64 v[4:5], v[32:33], v[10:11]
	s_waitcnt vmcnt(36) lgkmcnt(3)
	v_mul_f64 v[64:65], v[42:43], v[76:77]
	v_fmac_f64_e32 v[62:63], v[40:41], v[14:15]
	s_waitcnt vmcnt(35) lgkmcnt(2)
	v_mul_f64 v[66:67], v[46:47], v[22:23]
	s_waitcnt vmcnt(33)
	v_fmac_f64_e32 v[58:59], v[32:33], v[78:79]
	v_add_f64 v[54:55], v[54:55], v[58:59]
	s_waitcnt vmcnt(31)
	v_fmac_f64_e32 v[60:61], v[36:37], v[80:81]
	v_add_f64 v[54:55], v[54:55], v[60:61]
	v_fma_f64 v[4:5], v[30:31], v[78:79], -v[4:5]
	s_waitcnt vmcnt(29)
	v_fmac_f64_e32 v[64:65], v[44:45], v[82:83]
	v_add_f64 v[54:55], v[54:55], v[62:63]
	v_add_f64 v[2:3], v[2:3], v[4:5]
	v_mul_f64 v[4:5], v[36:37], v[16:17]
	s_waitcnt vmcnt(28)
	v_fmac_f64_e32 v[66:67], v[48:49], v[74:75]
	v_add_f64 v[54:55], v[54:55], v[64:65]
	v_fma_f64 v[4:5], v[34:35], v[80:81], -v[4:5]
	v_add_f64 v[58:59], v[54:55], v[66:67]
	ds_read_b128 v[54:57], v24 offset:1072
	s_waitcnt vmcnt(24) lgkmcnt(2)
	v_mul_f64 v[60:61], v[50:51], v[88:89]
	v_add_f64 v[2:3], v[2:3], v[4:5]
	v_mul_f64 v[4:5], v[40:41], v[12:13]
	s_waitcnt vmcnt(22)
	v_fmac_f64_e32 v[60:61], v[52:53], v[90:91]
	v_fma_f64 v[4:5], v[38:39], v[14:15], -v[4:5]
	v_add_f64 v[62:63], v[58:59], v[60:61]
	ds_read_b128 v[58:61], v24 offset:1088
	v_add_f64 v[2:3], v[2:3], v[4:5]
	v_mul_f64 v[4:5], v[44:45], v[76:77]
	v_fma_f64 v[4:5], v[42:43], v[82:83], -v[4:5]
	v_add_f64 v[2:3], v[2:3], v[4:5]
	v_mul_f64 v[4:5], v[48:49], v[22:23]
	s_waitcnt vmcnt(20) lgkmcnt(1)
	v_mul_f64 v[64:65], v[54:55], v[84:85]
	v_fma_f64 v[4:5], v[46:47], v[74:75], -v[4:5]
	v_fmac_f64_e32 v[64:65], v[56:57], v[86:87]
	v_add_f64 v[2:3], v[2:3], v[4:5]
	v_mul_f64 v[4:5], v[52:53], v[88:89]
	v_add_f64 v[66:67], v[62:63], v[64:65]
	ds_read_b128 v[62:65], v24 offset:1104
	s_waitcnt vmcnt(16) lgkmcnt(1)
	v_mul_f64 v[68:69], v[58:59], v[96:97]
	v_fma_f64 v[4:5], v[50:51], v[90:91], -v[4:5]
	s_waitcnt vmcnt(14)
	v_fmac_f64_e32 v[68:69], v[60:61], v[98:99]
	v_add_f64 v[2:3], v[2:3], v[4:5]
	v_mul_f64 v[4:5], v[56:57], v[84:85]
	v_add_f64 v[112:113], v[66:67], v[68:69]
	ds_read_b128 v[66:69], v24 offset:1120
	v_fma_f64 v[4:5], v[54:55], v[86:87], -v[4:5]
	v_add_f64 v[2:3], v[2:3], v[4:5]
	v_mul_f64 v[4:5], v[60:61], v[96:97]
	v_fma_f64 v[4:5], v[58:59], v[98:99], -v[4:5]
	v_add_f64 v[2:3], v[2:3], v[4:5]
	s_waitcnt vmcnt(12) lgkmcnt(1)
	v_mul_f64 v[4:5], v[64:65], v[92:93]
	v_mul_f64 v[114:115], v[62:63], v[92:93]
	v_fma_f64 v[4:5], v[62:63], v[94:95], -v[4:5]
	v_fmac_f64_e32 v[114:115], v[64:65], v[94:95]
	v_add_f64 v[2:3], v[2:3], v[4:5]
	s_waitcnt vmcnt(8) lgkmcnt(0)
	v_mul_f64 v[4:5], v[68:69], v[104:105]
	v_add_f64 v[112:113], v[112:113], v[114:115]
	v_mul_f64 v[114:115], v[66:67], v[104:105]
	s_waitcnt vmcnt(6)
	v_fma_f64 v[4:5], v[66:67], v[106:107], -v[4:5]
	v_fmac_f64_e32 v[114:115], v[68:69], v[106:107]
	v_add_f64 v[2:3], v[2:3], v[4:5]
	s_waitcnt vmcnt(5)
	v_mul_f64 v[4:5], v[72:73], v[100:101]
	v_add_f64 v[112:113], v[112:113], v[114:115]
	v_mul_f64 v[114:115], v[70:71], v[100:101]
	s_waitcnt vmcnt(4)
	v_fma_f64 v[4:5], v[70:71], v[102:103], -v[4:5]
	v_fmac_f64_e32 v[114:115], v[72:73], v[102:103]
	v_add_f64 v[2:3], v[2:3], v[4:5]
	v_add_f64 v[112:113], v[112:113], v[114:115]
	s_waitcnt vmcnt(2)
	v_add_f64 v[2:3], v[108:109], -v[2:3]
	s_waitcnt vmcnt(0)
	v_add_f64 v[4:5], v[110:111], -v[112:113]
	buffer_store_dword v3, off, s[0:3], 0 offset:372
	buffer_store_dword v2, off, s[0:3], 0 offset:368
	;; [unrolled: 1-line block ×4, first 2 shown]
	s_and_saveexec_b64 s[4:5], vcc
	s_cbranch_execz .LBB35_187
; %bb.186:
	v_accvgpr_read_b32 v5, a81
	buffer_load_dword v2, v5, s[0:3], 0 offen
	buffer_load_dword v3, v5, s[0:3], 0 offen offset:4
	buffer_load_dword v4, v5, s[0:3], 0 offen offset:8
	s_nop 0
	buffer_load_dword v5, v5, s[0:3], 0 offen offset:12
	s_nop 0
	buffer_store_dword v24, off, s[0:3], 0 offset:352
	buffer_store_dword v24, off, s[0:3], 0 offset:356
	buffer_store_dword v24, off, s[0:3], 0 offset:360
	buffer_store_dword v24, off, s[0:3], 0 offset:364
	s_waitcnt vmcnt(4)
	ds_write_b128 v1, v[2:5]
.LBB35_187:
	s_or_b64 exec, exec, s[4:5]
	s_waitcnt lgkmcnt(0)
	; wave barrier
	s_waitcnt lgkmcnt(0)
	buffer_load_dword v2, off, s[0:3], 0 offset:368
	buffer_load_dword v3, off, s[0:3], 0 offset:372
	;; [unrolled: 1-line block ×60, first 2 shown]
	ds_read_b128 v[26:29], v24 offset:928
	ds_read_b128 v[30:33], v24 offset:944
	;; [unrolled: 1-line block ×8, first 2 shown]
	v_cmp_lt_u32_e32 vcc, 20, v0
	ds_read_b128 v[78:81], v24 offset:1136
	s_waitcnt vmcnt(56) lgkmcnt(8)
	v_mul_f64 v[58:59], v[26:27], v[6:7]
	v_fmac_f64_e32 v[58:59], v[28:29], v[2:3]
	v_add_f64 v[58:59], v[58:59], 0
	v_mul_f64 v[6:7], v[28:29], v[6:7]
	s_waitcnt vmcnt(52) lgkmcnt(7)
	v_mul_f64 v[60:61], v[30:31], v[8:9]
	v_fmac_f64_e32 v[60:61], v[32:33], v[4:5]
	s_waitcnt vmcnt(50) lgkmcnt(6)
	v_mul_f64 v[62:63], v[34:35], v[10:11]
	v_add_f64 v[58:59], v[58:59], v[60:61]
	s_waitcnt vmcnt(48) lgkmcnt(4)
	v_mul_f64 v[66:67], v[42:43], v[12:13]
	v_fma_f64 v[2:3], v[26:27], v[2:3], -v[6:7]
	s_waitcnt vmcnt(46)
	v_fmac_f64_e32 v[66:67], v[44:45], v[14:15]
	v_mul_f64 v[6:7], v[32:33], v[8:9]
	s_waitcnt vmcnt(44)
	v_mul_f64 v[64:65], v[38:39], v[16:17]
	v_add_f64 v[2:3], v[2:3], 0
	v_fma_f64 v[4:5], v[30:31], v[4:5], -v[6:7]
	v_add_f64 v[2:3], v[2:3], v[4:5]
	s_waitcnt vmcnt(40) lgkmcnt(3)
	v_mul_f64 v[68:69], v[46:47], v[22:23]
	v_mul_f64 v[4:5], v[36:37], v[10:11]
	s_waitcnt vmcnt(38)
	v_fmac_f64_e32 v[62:63], v[36:37], v[82:83]
	v_add_f64 v[58:59], v[58:59], v[62:63]
	s_waitcnt vmcnt(36)
	v_fmac_f64_e32 v[64:65], v[40:41], v[84:85]
	v_add_f64 v[58:59], v[58:59], v[64:65]
	;; [unrolled: 3-line block ×3, first 2 shown]
	s_waitcnt vmcnt(32) lgkmcnt(2)
	v_mul_f64 v[60:61], v[50:51], v[18:19]
	v_add_f64 v[58:59], v[58:59], v[68:69]
	v_fmac_f64_e32 v[60:61], v[52:53], v[20:21]
	v_add_f64 v[62:63], v[58:59], v[60:61]
	ds_read_b128 v[58:61], v24 offset:1056
	v_fma_f64 v[4:5], v[34:35], v[82:83], -v[4:5]
	v_add_f64 v[2:3], v[2:3], v[4:5]
	v_mul_f64 v[4:5], v[40:41], v[16:17]
	v_fma_f64 v[4:5], v[38:39], v[84:85], -v[4:5]
	s_waitcnt vmcnt(28) lgkmcnt(2)
	v_mul_f64 v[64:65], v[54:55], v[92:93]
	v_add_f64 v[2:3], v[2:3], v[4:5]
	v_mul_f64 v[4:5], v[44:45], v[12:13]
	s_waitcnt vmcnt(26)
	v_fmac_f64_e32 v[64:65], v[56:57], v[94:95]
	v_fma_f64 v[4:5], v[42:43], v[14:15], -v[4:5]
	v_add_f64 v[66:67], v[62:63], v[64:65]
	ds_read_b128 v[62:65], v24 offset:1072
	s_waitcnt vmcnt(24) lgkmcnt(1)
	v_mul_f64 v[68:69], v[58:59], v[88:89]
	v_add_f64 v[2:3], v[2:3], v[4:5]
	v_mul_f64 v[4:5], v[48:49], v[22:23]
	v_fmac_f64_e32 v[68:69], v[60:61], v[90:91]
	v_fma_f64 v[4:5], v[46:47], v[86:87], -v[4:5]
	v_add_f64 v[70:71], v[66:67], v[68:69]
	ds_read_b128 v[66:69], v24 offset:1088
	v_add_f64 v[2:3], v[2:3], v[4:5]
	v_mul_f64 v[4:5], v[52:53], v[18:19]
	v_fma_f64 v[4:5], v[50:51], v[20:21], -v[4:5]
	v_add_f64 v[2:3], v[2:3], v[4:5]
	v_mul_f64 v[4:5], v[56:57], v[92:93]
	s_waitcnt vmcnt(20) lgkmcnt(1)
	v_mul_f64 v[72:73], v[62:63], v[100:101]
	v_fma_f64 v[4:5], v[54:55], v[94:95], -v[4:5]
	s_waitcnt vmcnt(18)
	v_fmac_f64_e32 v[72:73], v[64:65], v[102:103]
	v_add_f64 v[2:3], v[2:3], v[4:5]
	v_mul_f64 v[4:5], v[60:61], v[88:89]
	v_add_f64 v[74:75], v[70:71], v[72:73]
	ds_read_b128 v[70:73], v24 offset:1104
	s_waitcnt vmcnt(16) lgkmcnt(1)
	v_mul_f64 v[76:77], v[66:67], v[96:97]
	v_fma_f64 v[4:5], v[58:59], v[90:91], -v[4:5]
	v_fmac_f64_e32 v[76:77], v[68:69], v[98:99]
	v_add_f64 v[2:3], v[2:3], v[4:5]
	v_mul_f64 v[4:5], v[64:65], v[100:101]
	v_add_f64 v[122:123], v[74:75], v[76:77]
	ds_read_b128 v[74:77], v24 offset:1120
	v_fma_f64 v[4:5], v[62:63], v[102:103], -v[4:5]
	v_add_f64 v[2:3], v[2:3], v[4:5]
	v_mul_f64 v[4:5], v[68:69], v[96:97]
	v_fma_f64 v[4:5], v[66:67], v[98:99], -v[4:5]
	v_add_f64 v[2:3], v[2:3], v[4:5]
	s_waitcnt vmcnt(12) lgkmcnt(1)
	v_mul_f64 v[4:5], v[72:73], v[108:109]
	v_mul_f64 v[124:125], v[70:71], v[108:109]
	s_waitcnt vmcnt(10)
	v_fma_f64 v[4:5], v[70:71], v[110:111], -v[4:5]
	v_fmac_f64_e32 v[124:125], v[72:73], v[110:111]
	v_add_f64 v[2:3], v[2:3], v[4:5]
	s_waitcnt vmcnt(8) lgkmcnt(0)
	v_mul_f64 v[4:5], v[76:77], v[104:105]
	v_add_f64 v[24:25], v[122:123], v[124:125]
	v_mul_f64 v[122:123], v[74:75], v[104:105]
	v_fma_f64 v[4:5], v[74:75], v[106:107], -v[4:5]
	v_fmac_f64_e32 v[122:123], v[76:77], v[106:107]
	v_add_f64 v[2:3], v[2:3], v[4:5]
	s_waitcnt vmcnt(6)
	v_mul_f64 v[4:5], v[80:81], v[112:113]
	v_add_f64 v[24:25], v[24:25], v[122:123]
	v_mul_f64 v[122:123], v[78:79], v[112:113]
	s_waitcnt vmcnt(4)
	v_fma_f64 v[4:5], v[78:79], v[114:115], -v[4:5]
	v_fmac_f64_e32 v[122:123], v[80:81], v[114:115]
	v_add_f64 v[2:3], v[2:3], v[4:5]
	v_add_f64 v[24:25], v[24:25], v[122:123]
	s_waitcnt vmcnt(2)
	v_add_f64 v[2:3], v[116:117], -v[2:3]
	s_waitcnt vmcnt(0)
	v_add_f64 v[4:5], v[118:119], -v[24:25]
	buffer_store_dword v3, off, s[0:3], 0 offset:356
	buffer_store_dword v2, off, s[0:3], 0 offset:352
	;; [unrolled: 1-line block ×4, first 2 shown]
	s_and_saveexec_b64 s[4:5], vcc
	s_cbranch_execz .LBB35_189
; %bb.188:
	v_accvgpr_read_b32 v5, a82
	buffer_load_dword v2, v5, s[0:3], 0 offen
	buffer_load_dword v3, v5, s[0:3], 0 offen offset:4
	buffer_load_dword v4, v5, s[0:3], 0 offen offset:8
	s_nop 0
	buffer_load_dword v5, v5, s[0:3], 0 offen offset:12
	v_mov_b32_e32 v6, 0
	buffer_store_dword v6, off, s[0:3], 0 offset:336
	buffer_store_dword v6, off, s[0:3], 0 offset:340
	;; [unrolled: 1-line block ×4, first 2 shown]
	s_waitcnt vmcnt(4)
	ds_write_b128 v1, v[2:5]
.LBB35_189:
	s_or_b64 exec, exec, s[4:5]
	s_waitcnt lgkmcnt(0)
	; wave barrier
	s_waitcnt lgkmcnt(0)
	buffer_load_dword v2, off, s[0:3], 0 offset:352
	buffer_load_dword v3, off, s[0:3], 0 offset:356
	;; [unrolled: 1-line block ×64, first 2 shown]
	v_mov_b32_e32 v38, 0
	ds_read_b128 v[30:33], v38 offset:912
	ds_read_b128 v[34:37], v38 offset:928
	;; [unrolled: 1-line block ×7, first 2 shown]
	v_cmp_lt_u32_e32 vcc, 19, v0
	s_waitcnt vmcnt(60) lgkmcnt(6)
	v_mul_f64 v[56:57], v[30:31], v[6:7]
	v_fmac_f64_e32 v[56:57], v[32:33], v[2:3]
	v_add_f64 v[56:57], v[56:57], 0
	v_mul_f64 v[6:7], v[32:33], v[6:7]
	s_waitcnt vmcnt(56) lgkmcnt(5)
	v_mul_f64 v[58:59], v[34:35], v[8:9]
	v_fmac_f64_e32 v[58:59], v[36:37], v[4:5]
	s_waitcnt vmcnt(54) lgkmcnt(4)
	v_mul_f64 v[60:61], v[40:41], v[10:11]
	v_add_f64 v[56:57], v[56:57], v[58:59]
	v_fma_f64 v[2:3], v[30:31], v[2:3], -v[6:7]
	v_mul_f64 v[6:7], v[36:37], v[8:9]
	s_waitcnt vmcnt(50) lgkmcnt(3)
	v_mul_f64 v[62:63], v[44:45], v[16:17]
	s_waitcnt vmcnt(49) lgkmcnt(2)
	v_mul_f64 v[64:65], v[48:49], v[12:13]
	v_add_f64 v[2:3], v[2:3], 0
	s_waitcnt vmcnt(47)
	v_fmac_f64_e32 v[60:61], v[42:43], v[20:21]
	v_add_f64 v[56:57], v[56:57], v[60:61]
	s_waitcnt vmcnt(45)
	v_fmac_f64_e32 v[62:63], v[46:47], v[18:19]
	;; [unrolled: 3-line block ×3, first 2 shown]
	v_add_f64 v[60:61], v[56:57], v[64:65]
	ds_read_b128 v[56:59], v38 offset:1008
	s_waitcnt vmcnt(40) lgkmcnt(2)
	v_mul_f64 v[62:63], v[52:53], v[26:27]
	v_fma_f64 v[4:5], v[34:35], v[4:5], -v[6:7]
	s_waitcnt vmcnt(38)
	v_fmac_f64_e32 v[62:63], v[54:55], v[28:29]
	v_add_f64 v[64:65], v[60:61], v[62:63]
	ds_read_b128 v[60:63], v38 offset:1024
	s_waitcnt vmcnt(36) lgkmcnt(1)
	v_mul_f64 v[66:67], v[56:57], v[22:23]
	v_fmac_f64_e32 v[66:67], v[58:59], v[24:25]
	v_add_f64 v[2:3], v[2:3], v[4:5]
	v_mul_f64 v[4:5], v[42:43], v[10:11]
	v_add_f64 v[68:69], v[64:65], v[66:67]
	ds_read_b128 v[64:67], v38 offset:1040
	s_waitcnt vmcnt(32) lgkmcnt(1)
	v_mul_f64 v[70:71], v[60:61], v[96:97]
	v_fma_f64 v[4:5], v[40:41], v[20:21], -v[4:5]
	s_waitcnt vmcnt(30)
	v_fmac_f64_e32 v[70:71], v[62:63], v[98:99]
	v_add_f64 v[2:3], v[2:3], v[4:5]
	v_mul_f64 v[4:5], v[46:47], v[16:17]
	v_add_f64 v[72:73], v[68:69], v[70:71]
	ds_read_b128 v[68:71], v38 offset:1056
	v_fma_f64 v[4:5], v[44:45], v[18:19], -v[4:5]
	v_add_f64 v[2:3], v[2:3], v[4:5]
	v_mul_f64 v[4:5], v[50:51], v[12:13]
	v_fma_f64 v[4:5], v[48:49], v[14:15], -v[4:5]
	s_waitcnt vmcnt(28) lgkmcnt(1)
	v_mul_f64 v[74:75], v[64:65], v[92:93]
	v_add_f64 v[2:3], v[2:3], v[4:5]
	v_mul_f64 v[4:5], v[54:55], v[26:27]
	v_fmac_f64_e32 v[74:75], v[66:67], v[94:95]
	v_fma_f64 v[4:5], v[52:53], v[28:29], -v[4:5]
	v_add_f64 v[76:77], v[72:73], v[74:75]
	ds_read_b128 v[72:75], v38 offset:1072
	s_waitcnt vmcnt(24) lgkmcnt(1)
	v_mul_f64 v[78:79], v[68:69], v[104:105]
	v_add_f64 v[2:3], v[2:3], v[4:5]
	v_mul_f64 v[4:5], v[58:59], v[22:23]
	s_waitcnt vmcnt(22)
	v_fmac_f64_e32 v[78:79], v[70:71], v[106:107]
	v_fma_f64 v[4:5], v[56:57], v[24:25], -v[4:5]
	v_add_f64 v[80:81], v[76:77], v[78:79]
	ds_read_b128 v[76:79], v38 offset:1088
	v_add_f64 v[2:3], v[2:3], v[4:5]
	v_mul_f64 v[4:5], v[62:63], v[96:97]
	v_fma_f64 v[4:5], v[60:61], v[98:99], -v[4:5]
	v_add_f64 v[2:3], v[2:3], v[4:5]
	v_mul_f64 v[4:5], v[66:67], v[92:93]
	s_waitcnt vmcnt(20) lgkmcnt(1)
	v_mul_f64 v[82:83], v[72:73], v[100:101]
	v_fma_f64 v[4:5], v[64:65], v[94:95], -v[4:5]
	v_fmac_f64_e32 v[82:83], v[74:75], v[102:103]
	v_add_f64 v[2:3], v[2:3], v[4:5]
	v_mul_f64 v[4:5], v[70:71], v[104:105]
	v_add_f64 v[84:85], v[80:81], v[82:83]
	ds_read_b128 v[80:83], v38 offset:1104
	s_waitcnt vmcnt(16) lgkmcnt(1)
	v_mul_f64 v[86:87], v[76:77], v[112:113]
	v_fma_f64 v[4:5], v[68:69], v[106:107], -v[4:5]
	s_waitcnt vmcnt(14)
	v_fmac_f64_e32 v[86:87], v[78:79], v[114:115]
	v_add_f64 v[2:3], v[2:3], v[4:5]
	v_mul_f64 v[4:5], v[74:75], v[100:101]
	v_add_f64 v[130:131], v[84:85], v[86:87]
	ds_read_b128 v[84:87], v38 offset:1120
	v_fma_f64 v[4:5], v[72:73], v[102:103], -v[4:5]
	v_add_f64 v[2:3], v[2:3], v[4:5]
	v_mul_f64 v[4:5], v[78:79], v[112:113]
	v_fma_f64 v[4:5], v[76:77], v[114:115], -v[4:5]
	v_add_f64 v[2:3], v[2:3], v[4:5]
	s_waitcnt vmcnt(12) lgkmcnt(1)
	v_mul_f64 v[4:5], v[82:83], v[108:109]
	v_mul_f64 v[132:133], v[80:81], v[108:109]
	v_fma_f64 v[4:5], v[80:81], v[110:111], -v[4:5]
	v_fmac_f64_e32 v[132:133], v[82:83], v[110:111]
	v_add_f64 v[2:3], v[2:3], v[4:5]
	s_waitcnt vmcnt(8) lgkmcnt(0)
	v_mul_f64 v[4:5], v[86:87], v[122:123]
	v_add_f64 v[130:131], v[130:131], v[132:133]
	v_mul_f64 v[132:133], v[84:85], v[122:123]
	s_waitcnt vmcnt(6)
	v_fma_f64 v[4:5], v[84:85], v[124:125], -v[4:5]
	v_fmac_f64_e32 v[132:133], v[86:87], v[124:125]
	v_add_f64 v[2:3], v[2:3], v[4:5]
	s_waitcnt vmcnt(5)
	v_mul_f64 v[4:5], v[90:91], v[116:117]
	v_add_f64 v[130:131], v[130:131], v[132:133]
	v_mul_f64 v[132:133], v[88:89], v[116:117]
	s_waitcnt vmcnt(4)
	v_fma_f64 v[4:5], v[88:89], v[118:119], -v[4:5]
	v_fmac_f64_e32 v[132:133], v[90:91], v[118:119]
	v_add_f64 v[2:3], v[2:3], v[4:5]
	v_add_f64 v[130:131], v[130:131], v[132:133]
	s_waitcnt vmcnt(2)
	v_add_f64 v[2:3], v[126:127], -v[2:3]
	s_waitcnt vmcnt(0)
	v_add_f64 v[4:5], v[128:129], -v[130:131]
	buffer_store_dword v3, off, s[0:3], 0 offset:340
	buffer_store_dword v2, off, s[0:3], 0 offset:336
	;; [unrolled: 1-line block ×4, first 2 shown]
	s_and_saveexec_b64 s[4:5], vcc
	s_cbranch_execz .LBB35_191
; %bb.190:
	v_accvgpr_read_b32 v5, a83
	buffer_load_dword v2, v5, s[0:3], 0 offen
	buffer_load_dword v3, v5, s[0:3], 0 offen offset:4
	buffer_load_dword v4, v5, s[0:3], 0 offen offset:8
	s_nop 0
	buffer_load_dword v5, v5, s[0:3], 0 offen offset:12
	s_nop 0
	buffer_store_dword v38, off, s[0:3], 0 offset:320
	buffer_store_dword v38, off, s[0:3], 0 offset:324
	;; [unrolled: 1-line block ×4, first 2 shown]
	s_waitcnt vmcnt(4)
	ds_write_b128 v1, v[2:5]
.LBB35_191:
	s_or_b64 exec, exec, s[4:5]
	s_waitcnt lgkmcnt(0)
	; wave barrier
	s_waitcnt lgkmcnt(0)
	buffer_load_dword v2, off, s[0:3], 0 offset:336
	buffer_load_dword v3, off, s[0:3], 0 offset:340
	buffer_load_dword v4, off, s[0:3], 0 offset:344
	buffer_load_dword v5, off, s[0:3], 0 offset:348
	buffer_load_dword v6, off, s[0:3], 0 offset:360
	buffer_load_dword v7, off, s[0:3], 0 offset:364
	buffer_load_dword v8, off, s[0:3], 0 offset:376
	buffer_load_dword v9, off, s[0:3], 0 offset:380
	buffer_load_dword v10, off, s[0:3], 0 offset:408
	buffer_load_dword v12, off, s[0:3], 0 offset:400
	buffer_load_dword v15, off, s[0:3], 0 offset:396
	buffer_load_dword v14, off, s[0:3], 0 offset:392
	buffer_load_dword v20, off, s[0:3], 0 offset:352
	buffer_load_dword v21, off, s[0:3], 0 offset:356
	buffer_load_dword v18, off, s[0:3], 0 offset:368
	buffer_load_dword v19, off, s[0:3], 0 offset:372
	buffer_load_dword v17, off, s[0:3], 0 offset:388
	buffer_load_dword v16, off, s[0:3], 0 offset:384
	buffer_load_dword v13, off, s[0:3], 0 offset:404
	buffer_load_dword v11, off, s[0:3], 0 offset:412
	buffer_load_dword v22, off, s[0:3], 0 offset:440
	buffer_load_dword v24, off, s[0:3], 0 offset:432
	buffer_load_dword v27, off, s[0:3], 0 offset:428
	buffer_load_dword v26, off, s[0:3], 0 offset:424
	buffer_load_dword v29, off, s[0:3], 0 offset:420
	buffer_load_dword v28, off, s[0:3], 0 offset:416
	buffer_load_dword v25, off, s[0:3], 0 offset:436
	buffer_load_dword v23, off, s[0:3], 0 offset:444
	buffer_load_dword v30, off, s[0:3], 0 offset:472
	buffer_load_dword v32, off, s[0:3], 0 offset:464
	buffer_load_dword v35, off, s[0:3], 0 offset:460
	buffer_load_dword v34, off, s[0:3], 0 offset:456
	buffer_load_dword v37, off, s[0:3], 0 offset:452
	buffer_load_dword v36, off, s[0:3], 0 offset:448
	buffer_load_dword v33, off, s[0:3], 0 offset:468
	buffer_load_dword v31, off, s[0:3], 0 offset:476
	buffer_load_dword v104, off, s[0:3], 0 offset:504
	buffer_load_dword v106, off, s[0:3], 0 offset:496
	buffer_load_dword v109, off, s[0:3], 0 offset:492
	buffer_load_dword v108, off, s[0:3], 0 offset:488
	buffer_load_dword v111, off, s[0:3], 0 offset:484
	buffer_load_dword v110, off, s[0:3], 0 offset:480
	buffer_load_dword v107, off, s[0:3], 0 offset:500
	buffer_load_dword v105, off, s[0:3], 0 offset:508
	buffer_load_dword v112, off, s[0:3], 0 offset:536
	buffer_load_dword v114, off, s[0:3], 0 offset:528
	buffer_load_dword v117, off, s[0:3], 0 offset:524
	buffer_load_dword v116, off, s[0:3], 0 offset:520
	buffer_load_dword v119, off, s[0:3], 0 offset:516
	buffer_load_dword v118, off, s[0:3], 0 offset:512
	buffer_load_dword v115, off, s[0:3], 0 offset:532
	buffer_load_dword v113, off, s[0:3], 0 offset:540
	buffer_load_dword v122, off, s[0:3], 0 offset:568
	buffer_load_dword v124, off, s[0:3], 0 offset:560
	buffer_load_dword v127, off, s[0:3], 0 offset:556
	buffer_load_dword v126, off, s[0:3], 0 offset:552
	buffer_load_dword v129, off, s[0:3], 0 offset:548
	buffer_load_dword v128, off, s[0:3], 0 offset:544
	buffer_load_dword v125, off, s[0:3], 0 offset:564
	buffer_load_dword v123, off, s[0:3], 0 offset:572
	buffer_load_dword v131, off, s[0:3], 0 offset:588
	buffer_load_dword v130, off, s[0:3], 0 offset:584
	buffer_load_dword v133, off, s[0:3], 0 offset:580
	buffer_load_dword v132, off, s[0:3], 0 offset:576
	ds_read_b128 v[40:43], v38 offset:896
	ds_read_b128 v[44:47], v38 offset:912
	;; [unrolled: 1-line block ×4, first 2 shown]
	buffer_load_dword v134, off, s[0:3], 0 offset:320
	buffer_load_dword v135, off, s[0:3], 0 offset:324
	;; [unrolled: 1-line block ×4, first 2 shown]
	v_cmp_lt_u32_e32 vcc, 18, v0
	ds_read_b128 v[100:103], v38 offset:1136
	s_waitcnt vmcnt(62) lgkmcnt(4)
	v_mul_f64 v[56:57], v[40:41], v[4:5]
	v_fmac_f64_e32 v[56:57], v[42:43], v[2:3]
	s_waitcnt lgkmcnt(3)
	v_mul_f64 v[58:59], v[44:45], v[6:7]
	v_add_f64 v[56:57], v[56:57], 0
	s_waitcnt vmcnt(60) lgkmcnt(2)
	v_mul_f64 v[60:61], v[48:49], v[8:9]
	v_mul_f64 v[4:5], v[42:43], v[4:5]
	v_fma_f64 v[2:3], v[40:41], v[2:3], -v[4:5]
	v_mul_f64 v[4:5], v[46:47], v[6:7]
	s_waitcnt vmcnt(56) lgkmcnt(1)
	v_mul_f64 v[62:63], v[52:53], v[14:15]
	v_add_f64 v[2:3], v[2:3], 0
	s_waitcnt vmcnt(54)
	v_fmac_f64_e32 v[58:59], v[46:47], v[20:21]
	v_add_f64 v[64:65], v[56:57], v[58:59]
	ds_read_b128 v[56:59], v38 offset:960
	s_waitcnt vmcnt(52)
	v_fmac_f64_e32 v[60:61], v[50:51], v[18:19]
	v_add_f64 v[60:61], v[64:65], v[60:61]
	s_waitcnt vmcnt(50)
	v_fmac_f64_e32 v[62:63], v[54:55], v[16:17]
	v_add_f64 v[64:65], v[60:61], v[62:63]
	ds_read_b128 v[60:63], v38 offset:976
	s_waitcnt vmcnt(48) lgkmcnt(1)
	v_mul_f64 v[66:67], v[56:57], v[10:11]
	v_fmac_f64_e32 v[66:67], v[58:59], v[12:13]
	v_add_f64 v[68:69], v[64:65], v[66:67]
	ds_read_b128 v[64:67], v38 offset:992
	s_waitcnt vmcnt(44) lgkmcnt(1)
	v_mul_f64 v[70:71], v[60:61], v[26:27]
	s_waitcnt vmcnt(42)
	v_fmac_f64_e32 v[70:71], v[62:63], v[28:29]
	v_add_f64 v[72:73], v[68:69], v[70:71]
	ds_read_b128 v[68:71], v38 offset:1008
	s_waitcnt vmcnt(40) lgkmcnt(1)
	v_mul_f64 v[74:75], v[64:65], v[22:23]
	v_fmac_f64_e32 v[74:75], v[66:67], v[24:25]
	v_add_f64 v[76:77], v[72:73], v[74:75]
	ds_read_b128 v[72:75], v38 offset:1024
	v_fma_f64 v[4:5], v[44:45], v[20:21], -v[4:5]
	v_add_f64 v[2:3], v[2:3], v[4:5]
	v_mul_f64 v[4:5], v[50:51], v[8:9]
	s_waitcnt vmcnt(36) lgkmcnt(1)
	v_mul_f64 v[78:79], v[68:69], v[34:35]
	v_fma_f64 v[4:5], v[48:49], v[18:19], -v[4:5]
	s_waitcnt vmcnt(34)
	v_fmac_f64_e32 v[78:79], v[70:71], v[36:37]
	v_add_f64 v[2:3], v[2:3], v[4:5]
	v_mul_f64 v[4:5], v[54:55], v[14:15]
	v_add_f64 v[80:81], v[76:77], v[78:79]
	ds_read_b128 v[76:79], v38 offset:1040
	s_waitcnt vmcnt(32) lgkmcnt(1)
	v_mul_f64 v[82:83], v[72:73], v[30:31]
	v_fma_f64 v[4:5], v[52:53], v[16:17], -v[4:5]
	v_fmac_f64_e32 v[82:83], v[74:75], v[32:33]
	v_add_f64 v[2:3], v[2:3], v[4:5]
	v_mul_f64 v[4:5], v[58:59], v[10:11]
	v_add_f64 v[84:85], v[80:81], v[82:83]
	ds_read_b128 v[80:83], v38 offset:1056
	v_fma_f64 v[4:5], v[56:57], v[12:13], -v[4:5]
	v_add_f64 v[2:3], v[2:3], v[4:5]
	v_mul_f64 v[4:5], v[62:63], v[26:27]
	v_fma_f64 v[4:5], v[60:61], v[28:29], -v[4:5]
	s_waitcnt vmcnt(28) lgkmcnt(1)
	v_mul_f64 v[86:87], v[76:77], v[108:109]
	v_add_f64 v[2:3], v[2:3], v[4:5]
	v_mul_f64 v[4:5], v[66:67], v[22:23]
	s_waitcnt vmcnt(26)
	v_fmac_f64_e32 v[86:87], v[78:79], v[110:111]
	v_fma_f64 v[4:5], v[64:65], v[24:25], -v[4:5]
	v_add_f64 v[88:89], v[84:85], v[86:87]
	ds_read_b128 v[84:87], v38 offset:1072
	s_waitcnt vmcnt(24) lgkmcnt(1)
	v_mul_f64 v[90:91], v[80:81], v[104:105]
	v_add_f64 v[2:3], v[2:3], v[4:5]
	v_mul_f64 v[4:5], v[70:71], v[34:35]
	v_fmac_f64_e32 v[90:91], v[82:83], v[106:107]
	v_fma_f64 v[4:5], v[68:69], v[36:37], -v[4:5]
	v_add_f64 v[92:93], v[88:89], v[90:91]
	ds_read_b128 v[88:91], v38 offset:1088
	v_add_f64 v[2:3], v[2:3], v[4:5]
	v_mul_f64 v[4:5], v[74:75], v[30:31]
	v_fma_f64 v[4:5], v[72:73], v[32:33], -v[4:5]
	v_add_f64 v[2:3], v[2:3], v[4:5]
	v_mul_f64 v[4:5], v[78:79], v[108:109]
	s_waitcnt vmcnt(20) lgkmcnt(1)
	v_mul_f64 v[94:95], v[84:85], v[116:117]
	v_fma_f64 v[4:5], v[76:77], v[110:111], -v[4:5]
	s_waitcnt vmcnt(18)
	v_fmac_f64_e32 v[94:95], v[86:87], v[118:119]
	v_add_f64 v[2:3], v[2:3], v[4:5]
	v_mul_f64 v[4:5], v[82:83], v[104:105]
	v_add_f64 v[96:97], v[92:93], v[94:95]
	ds_read_b128 v[92:95], v38 offset:1104
	s_waitcnt vmcnt(16) lgkmcnt(1)
	v_mul_f64 v[98:99], v[88:89], v[112:113]
	v_fma_f64 v[4:5], v[80:81], v[106:107], -v[4:5]
	v_fmac_f64_e32 v[98:99], v[90:91], v[114:115]
	v_add_f64 v[2:3], v[2:3], v[4:5]
	v_mul_f64 v[4:5], v[86:87], v[116:117]
	v_add_f64 v[138:139], v[96:97], v[98:99]
	ds_read_b128 v[96:99], v38 offset:1120
	v_fma_f64 v[4:5], v[84:85], v[118:119], -v[4:5]
	v_add_f64 v[2:3], v[2:3], v[4:5]
	v_mul_f64 v[4:5], v[90:91], v[112:113]
	v_fma_f64 v[4:5], v[88:89], v[114:115], -v[4:5]
	v_add_f64 v[2:3], v[2:3], v[4:5]
	s_waitcnt vmcnt(12) lgkmcnt(1)
	v_mul_f64 v[4:5], v[94:95], v[126:127]
	v_mul_f64 v[140:141], v[92:93], v[126:127]
	s_waitcnt vmcnt(10)
	v_fma_f64 v[4:5], v[92:93], v[128:129], -v[4:5]
	v_fmac_f64_e32 v[140:141], v[94:95], v[128:129]
	v_add_f64 v[2:3], v[2:3], v[4:5]
	s_waitcnt vmcnt(8) lgkmcnt(0)
	v_mul_f64 v[4:5], v[98:99], v[122:123]
	v_add_f64 v[38:39], v[138:139], v[140:141]
	v_mul_f64 v[138:139], v[96:97], v[122:123]
	v_fma_f64 v[4:5], v[96:97], v[124:125], -v[4:5]
	v_fmac_f64_e32 v[138:139], v[98:99], v[124:125]
	v_add_f64 v[2:3], v[2:3], v[4:5]
	s_waitcnt vmcnt(6)
	v_mul_f64 v[4:5], v[102:103], v[130:131]
	v_add_f64 v[38:39], v[38:39], v[138:139]
	v_mul_f64 v[138:139], v[100:101], v[130:131]
	s_waitcnt vmcnt(4)
	v_fma_f64 v[4:5], v[100:101], v[132:133], -v[4:5]
	v_fmac_f64_e32 v[138:139], v[102:103], v[132:133]
	v_add_f64 v[2:3], v[2:3], v[4:5]
	v_add_f64 v[38:39], v[38:39], v[138:139]
	s_waitcnt vmcnt(2)
	v_add_f64 v[2:3], v[134:135], -v[2:3]
	s_waitcnt vmcnt(0)
	v_add_f64 v[4:5], v[136:137], -v[38:39]
	buffer_store_dword v3, off, s[0:3], 0 offset:324
	buffer_store_dword v2, off, s[0:3], 0 offset:320
	;; [unrolled: 1-line block ×4, first 2 shown]
	s_and_saveexec_b64 s[4:5], vcc
	s_cbranch_execz .LBB35_193
; %bb.192:
	v_accvgpr_read_b32 v5, a84
	buffer_load_dword v2, v5, s[0:3], 0 offen
	buffer_load_dword v3, v5, s[0:3], 0 offen offset:4
	buffer_load_dword v4, v5, s[0:3], 0 offen offset:8
	s_nop 0
	buffer_load_dword v5, v5, s[0:3], 0 offen offset:12
	v_mov_b32_e32 v6, 0
	buffer_store_dword v6, off, s[0:3], 0 offset:304
	buffer_store_dword v6, off, s[0:3], 0 offset:308
	;; [unrolled: 1-line block ×4, first 2 shown]
	s_waitcnt vmcnt(4)
	ds_write_b128 v1, v[2:5]
.LBB35_193:
	s_or_b64 exec, exec, s[4:5]
	s_waitcnt lgkmcnt(0)
	; wave barrier
	s_waitcnt lgkmcnt(0)
	buffer_load_dword v2, off, s[0:3], 0 offset:320
	buffer_load_dword v3, off, s[0:3], 0 offset:324
	;; [unrolled: 1-line block ×68, first 2 shown]
	v_mov_b32_e32 v52, 0
	ds_read_b128 v[42:45], v52 offset:880
	ds_read_b128 v[46:49], v52 offset:896
	buffer_load_dword v142, off, s[0:3], 0 offset:304
	buffer_load_dword v143, off, s[0:3], 0 offset:308
	;; [unrolled: 1-line block ×4, first 2 shown]
	ds_read_b128 v[54:57], v52 offset:912
	ds_read_b128 v[58:61], v52 offset:928
	;; [unrolled: 1-line block ×3, first 2 shown]
	v_cmp_lt_u32_e32 vcc, 17, v0
	s_waitcnt vmcnt(62) lgkmcnt(4)
	v_mul_f64 v[62:63], v[42:43], v[8:9]
	v_fmac_f64_e32 v[62:63], v[44:45], v[2:3]
	v_add_f64 v[62:63], v[62:63], 0
	v_mul_f64 v[8:9], v[44:45], v[8:9]
	s_waitcnt lgkmcnt(3)
	v_mul_f64 v[64:65], v[46:47], v[10:11]
	v_fmac_f64_e32 v[64:65], v[48:49], v[4:5]
	v_add_f64 v[62:63], v[62:63], v[64:65]
	v_fma_f64 v[2:3], v[42:43], v[2:3], -v[8:9]
	s_waitcnt vmcnt(60) lgkmcnt(2)
	v_mul_f64 v[64:65], v[54:55], v[12:13]
	v_fmac_f64_e32 v[64:65], v[56:57], v[6:7]
	v_add_f64 v[66:67], v[62:63], v[64:65]
	ds_read_b128 v[62:65], v52 offset:944
	s_waitcnt vmcnt(56) lgkmcnt(2)
	v_mul_f64 v[68:69], v[58:59], v[18:19]
	v_mul_f64 v[8:9], v[48:49], v[10:11]
	s_waitcnt vmcnt(54)
	v_fmac_f64_e32 v[68:69], v[60:61], v[20:21]
	v_add_f64 v[70:71], v[66:67], v[68:69]
	ds_read_b128 v[66:69], v52 offset:960
	s_waitcnt vmcnt(52) lgkmcnt(1)
	v_mul_f64 v[72:73], v[62:63], v[14:15]
	v_fmac_f64_e32 v[72:73], v[64:65], v[16:17]
	v_add_f64 v[74:75], v[70:71], v[72:73]
	ds_read_b128 v[70:73], v52 offset:976
	s_waitcnt vmcnt(48) lgkmcnt(1)
	v_mul_f64 v[76:77], v[66:67], v[26:27]
	s_waitcnt vmcnt(46)
	v_fmac_f64_e32 v[76:77], v[68:69], v[28:29]
	v_add_f64 v[78:79], v[74:75], v[76:77]
	ds_read_b128 v[74:77], v52 offset:992
	s_waitcnt vmcnt(44) lgkmcnt(1)
	v_mul_f64 v[80:81], v[70:71], v[22:23]
	v_fmac_f64_e32 v[80:81], v[72:73], v[24:25]
	v_add_f64 v[82:83], v[78:79], v[80:81]
	ds_read_b128 v[78:81], v52 offset:1008
	s_waitcnt vmcnt(40) lgkmcnt(1)
	v_mul_f64 v[84:85], v[74:75], v[34:35]
	s_waitcnt vmcnt(38)
	v_fmac_f64_e32 v[84:85], v[76:77], v[36:37]
	v_add_f64 v[2:3], v[2:3], 0
	v_fma_f64 v[4:5], v[46:47], v[4:5], -v[8:9]
	v_add_f64 v[86:87], v[82:83], v[84:85]
	ds_read_b128 v[82:85], v52 offset:1024
	v_add_f64 v[2:3], v[2:3], v[4:5]
	v_mul_f64 v[4:5], v[56:57], v[12:13]
	v_fma_f64 v[4:5], v[54:55], v[6:7], -v[4:5]
	v_add_f64 v[2:3], v[2:3], v[4:5]
	v_mul_f64 v[4:5], v[60:61], v[18:19]
	s_waitcnt vmcnt(36) lgkmcnt(1)
	v_mul_f64 v[88:89], v[78:79], v[30:31]
	v_fma_f64 v[4:5], v[58:59], v[20:21], -v[4:5]
	v_fmac_f64_e32 v[88:89], v[80:81], v[32:33]
	v_add_f64 v[2:3], v[2:3], v[4:5]
	v_mul_f64 v[4:5], v[64:65], v[14:15]
	v_add_f64 v[90:91], v[86:87], v[88:89]
	ds_read_b128 v[86:89], v52 offset:1040
	s_waitcnt vmcnt(32) lgkmcnt(1)
	v_mul_f64 v[92:93], v[82:83], v[50:51]
	v_fma_f64 v[4:5], v[62:63], v[16:17], -v[4:5]
	s_waitcnt vmcnt(30)
	v_fmac_f64_e32 v[92:93], v[84:85], v[114:115]
	v_add_f64 v[2:3], v[2:3], v[4:5]
	v_mul_f64 v[4:5], v[68:69], v[26:27]
	v_add_f64 v[94:95], v[90:91], v[92:93]
	ds_read_b128 v[90:93], v52 offset:1056
	v_fma_f64 v[4:5], v[66:67], v[28:29], -v[4:5]
	v_add_f64 v[2:3], v[2:3], v[4:5]
	v_mul_f64 v[4:5], v[72:73], v[22:23]
	v_fma_f64 v[4:5], v[70:71], v[24:25], -v[4:5]
	s_waitcnt vmcnt(28) lgkmcnt(1)
	v_mul_f64 v[96:97], v[86:87], v[38:39]
	v_add_f64 v[2:3], v[2:3], v[4:5]
	v_mul_f64 v[4:5], v[76:77], v[34:35]
	v_fmac_f64_e32 v[96:97], v[88:89], v[40:41]
	v_fma_f64 v[4:5], v[74:75], v[36:37], -v[4:5]
	v_add_f64 v[98:99], v[94:95], v[96:97]
	ds_read_b128 v[94:97], v52 offset:1072
	s_waitcnt vmcnt(24) lgkmcnt(1)
	v_mul_f64 v[100:101], v[90:91], v[122:123]
	v_add_f64 v[2:3], v[2:3], v[4:5]
	v_mul_f64 v[4:5], v[80:81], v[30:31]
	s_waitcnt vmcnt(22)
	v_fmac_f64_e32 v[100:101], v[92:93], v[124:125]
	v_fma_f64 v[4:5], v[78:79], v[32:33], -v[4:5]
	v_add_f64 v[102:103], v[98:99], v[100:101]
	ds_read_b128 v[98:101], v52 offset:1088
	v_add_f64 v[2:3], v[2:3], v[4:5]
	v_mul_f64 v[4:5], v[84:85], v[50:51]
	v_fma_f64 v[4:5], v[82:83], v[114:115], -v[4:5]
	v_add_f64 v[2:3], v[2:3], v[4:5]
	v_mul_f64 v[4:5], v[88:89], v[38:39]
	s_waitcnt vmcnt(20) lgkmcnt(1)
	v_mul_f64 v[104:105], v[94:95], v[116:117]
	v_fma_f64 v[4:5], v[86:87], v[40:41], -v[4:5]
	v_fmac_f64_e32 v[104:105], v[96:97], v[118:119]
	v_add_f64 v[2:3], v[2:3], v[4:5]
	v_mul_f64 v[4:5], v[92:93], v[122:123]
	v_add_f64 v[106:107], v[102:103], v[104:105]
	ds_read_b128 v[102:105], v52 offset:1104
	s_waitcnt vmcnt(16) lgkmcnt(1)
	v_mul_f64 v[108:109], v[98:99], v[130:131]
	v_fma_f64 v[4:5], v[90:91], v[124:125], -v[4:5]
	s_waitcnt vmcnt(14)
	v_fmac_f64_e32 v[108:109], v[100:101], v[132:133]
	v_add_f64 v[2:3], v[2:3], v[4:5]
	v_mul_f64 v[4:5], v[96:97], v[116:117]
	v_add_f64 v[146:147], v[106:107], v[108:109]
	ds_read_b128 v[106:109], v52 offset:1120
	v_fma_f64 v[4:5], v[94:95], v[118:119], -v[4:5]
	v_add_f64 v[2:3], v[2:3], v[4:5]
	v_mul_f64 v[4:5], v[100:101], v[130:131]
	v_fma_f64 v[4:5], v[98:99], v[132:133], -v[4:5]
	v_add_f64 v[2:3], v[2:3], v[4:5]
	s_waitcnt vmcnt(12) lgkmcnt(1)
	v_mul_f64 v[4:5], v[104:105], v[126:127]
	v_mul_f64 v[148:149], v[102:103], v[126:127]
	v_fma_f64 v[4:5], v[102:103], v[128:129], -v[4:5]
	v_fmac_f64_e32 v[148:149], v[104:105], v[128:129]
	v_add_f64 v[2:3], v[2:3], v[4:5]
	s_waitcnt vmcnt(8) lgkmcnt(0)
	v_mul_f64 v[4:5], v[108:109], v[138:139]
	v_add_f64 v[146:147], v[146:147], v[148:149]
	v_mul_f64 v[148:149], v[106:107], v[138:139]
	s_waitcnt vmcnt(6)
	v_fma_f64 v[4:5], v[106:107], v[140:141], -v[4:5]
	v_fmac_f64_e32 v[148:149], v[108:109], v[140:141]
	v_add_f64 v[2:3], v[2:3], v[4:5]
	s_waitcnt vmcnt(5)
	v_mul_f64 v[4:5], v[112:113], v[134:135]
	v_add_f64 v[146:147], v[146:147], v[148:149]
	v_mul_f64 v[148:149], v[110:111], v[134:135]
	s_waitcnt vmcnt(4)
	v_fma_f64 v[4:5], v[110:111], v[136:137], -v[4:5]
	v_fmac_f64_e32 v[148:149], v[112:113], v[136:137]
	v_add_f64 v[2:3], v[2:3], v[4:5]
	v_add_f64 v[146:147], v[146:147], v[148:149]
	s_waitcnt vmcnt(2)
	v_add_f64 v[2:3], v[142:143], -v[2:3]
	s_waitcnt vmcnt(0)
	v_add_f64 v[4:5], v[144:145], -v[146:147]
	buffer_store_dword v3, off, s[0:3], 0 offset:308
	buffer_store_dword v2, off, s[0:3], 0 offset:304
	;; [unrolled: 1-line block ×4, first 2 shown]
	s_and_saveexec_b64 s[4:5], vcc
	s_cbranch_execz .LBB35_195
; %bb.194:
	v_accvgpr_read_b32 v5, a85
	buffer_load_dword v2, v5, s[0:3], 0 offen
	buffer_load_dword v3, v5, s[0:3], 0 offen offset:4
	buffer_load_dword v4, v5, s[0:3], 0 offen offset:8
	s_nop 0
	buffer_load_dword v5, v5, s[0:3], 0 offen offset:12
	s_nop 0
	buffer_store_dword v52, off, s[0:3], 0 offset:288
	buffer_store_dword v52, off, s[0:3], 0 offset:292
	;; [unrolled: 1-line block ×4, first 2 shown]
	s_waitcnt vmcnt(4)
	ds_write_b128 v1, v[2:5]
.LBB35_195:
	s_or_b64 exec, exec, s[4:5]
	s_waitcnt lgkmcnt(0)
	; wave barrier
	s_waitcnt lgkmcnt(0)
	buffer_load_dword v2, off, s[0:3], 0 offset:304
	buffer_load_dword v3, off, s[0:3], 0 offset:308
	;; [unrolled: 1-line block ×72, first 2 shown]
	ds_read_b128 v[54:57], v52 offset:864
	buffer_load_dword v150, off, s[0:3], 0 offset:288
	buffer_load_dword v151, off, s[0:3], 0 offset:292
	;; [unrolled: 1-line block ×4, first 2 shown]
	ds_read_b128 v[58:61], v52 offset:880
	ds_read_b128 v[62:65], v52 offset:896
	;; [unrolled: 1-line block ×3, first 2 shown]
	v_cmp_lt_u32_e32 vcc, 16, v0
	ds_read_b128 v[126:129], v52 offset:1136
	s_waitcnt vmcnt(62) lgkmcnt(4)
	v_mul_f64 v[70:71], v[54:55], v[8:9]
	v_fmac_f64_e32 v[70:71], v[56:57], v[2:3]
	v_add_f64 v[70:71], v[70:71], 0
	v_mul_f64 v[8:9], v[56:57], v[8:9]
	s_waitcnt lgkmcnt(3)
	v_mul_f64 v[72:73], v[58:59], v[10:11]
	v_fmac_f64_e32 v[72:73], v[60:61], v[4:5]
	v_add_f64 v[70:71], v[70:71], v[72:73]
	v_fma_f64 v[2:3], v[54:55], v[2:3], -v[8:9]
	s_waitcnt lgkmcnt(2)
	v_mul_f64 v[72:73], v[62:63], v[12:13]
	v_fmac_f64_e32 v[72:73], v[64:65], v[6:7]
	v_add_f64 v[74:75], v[70:71], v[72:73]
	ds_read_b128 v[70:73], v52 offset:928
	s_waitcnt vmcnt(60) lgkmcnt(2)
	v_mul_f64 v[76:77], v[66:67], v[18:19]
	v_mul_f64 v[8:9], v[60:61], v[10:11]
	s_waitcnt vmcnt(58)
	v_fmac_f64_e32 v[76:77], v[68:69], v[20:21]
	v_add_f64 v[78:79], v[74:75], v[76:77]
	ds_read_b128 v[74:77], v52 offset:944
	s_waitcnt vmcnt(57) lgkmcnt(1)
	v_mul_f64 v[80:81], v[70:71], v[14:15]
	s_waitcnt vmcnt(56)
	v_fmac_f64_e32 v[80:81], v[72:73], v[16:17]
	v_add_f64 v[82:83], v[78:79], v[80:81]
	ds_read_b128 v[78:81], v52 offset:960
	s_waitcnt vmcnt(52) lgkmcnt(1)
	;; [unrolled: 6-line block ×4, first 2 shown]
	v_mul_f64 v[92:93], v[82:83], v[34:35]
	s_waitcnt vmcnt(42)
	v_fmac_f64_e32 v[92:93], v[84:85], v[36:37]
	v_add_f64 v[2:3], v[2:3], 0
	v_fma_f64 v[4:5], v[58:59], v[4:5], -v[8:9]
	v_add_f64 v[94:95], v[90:91], v[92:93]
	ds_read_b128 v[90:93], v52 offset:1008
	s_waitcnt vmcnt(41) lgkmcnt(1)
	v_mul_f64 v[96:97], v[86:87], v[30:31]
	v_add_f64 v[2:3], v[2:3], v[4:5]
	v_mul_f64 v[4:5], v[64:65], v[12:13]
	s_waitcnt vmcnt(40)
	v_fmac_f64_e32 v[96:97], v[88:89], v[32:33]
	v_fma_f64 v[4:5], v[62:63], v[6:7], -v[4:5]
	v_add_f64 v[98:99], v[94:95], v[96:97]
	ds_read_b128 v[94:97], v52 offset:1024
	v_add_f64 v[2:3], v[2:3], v[4:5]
	v_mul_f64 v[4:5], v[68:69], v[18:19]
	v_fma_f64 v[4:5], v[66:67], v[20:21], -v[4:5]
	v_add_f64 v[2:3], v[2:3], v[4:5]
	v_mul_f64 v[4:5], v[72:73], v[14:15]
	s_waitcnt vmcnt(36) lgkmcnt(1)
	v_mul_f64 v[100:101], v[90:91], v[42:43]
	v_fma_f64 v[4:5], v[70:71], v[16:17], -v[4:5]
	s_waitcnt vmcnt(34)
	v_fmac_f64_e32 v[100:101], v[92:93], v[44:45]
	v_add_f64 v[2:3], v[2:3], v[4:5]
	v_mul_f64 v[4:5], v[76:77], v[26:27]
	v_add_f64 v[102:103], v[98:99], v[100:101]
	ds_read_b128 v[98:101], v52 offset:1040
	s_waitcnt vmcnt(33) lgkmcnt(1)
	v_mul_f64 v[104:105], v[94:95], v[38:39]
	v_fma_f64 v[4:5], v[74:75], v[28:29], -v[4:5]
	s_waitcnt vmcnt(32)
	v_fmac_f64_e32 v[104:105], v[96:97], v[40:41]
	v_add_f64 v[2:3], v[2:3], v[4:5]
	v_mul_f64 v[4:5], v[80:81], v[22:23]
	v_add_f64 v[106:107], v[102:103], v[104:105]
	ds_read_b128 v[102:105], v52 offset:1056
	v_fma_f64 v[4:5], v[78:79], v[24:25], -v[4:5]
	v_add_f64 v[2:3], v[2:3], v[4:5]
	v_mul_f64 v[4:5], v[84:85], v[34:35]
	v_fma_f64 v[4:5], v[82:83], v[36:37], -v[4:5]
	s_waitcnt vmcnt(28) lgkmcnt(1)
	v_mul_f64 v[108:109], v[98:99], v[50:51]
	v_add_f64 v[2:3], v[2:3], v[4:5]
	v_mul_f64 v[4:5], v[88:89], v[30:31]
	s_waitcnt vmcnt(26)
	v_fmac_f64_e32 v[108:109], v[100:101], v[118:119]
	v_fma_f64 v[4:5], v[86:87], v[32:33], -v[4:5]
	v_add_f64 v[110:111], v[106:107], v[108:109]
	ds_read_b128 v[106:109], v52 offset:1072
	s_waitcnt vmcnt(25) lgkmcnt(1)
	v_mul_f64 v[112:113], v[102:103], v[46:47]
	v_add_f64 v[2:3], v[2:3], v[4:5]
	v_mul_f64 v[4:5], v[92:93], v[42:43]
	s_waitcnt vmcnt(24)
	v_fmac_f64_e32 v[112:113], v[104:105], v[48:49]
	v_fma_f64 v[4:5], v[90:91], v[44:45], -v[4:5]
	v_add_f64 v[114:115], v[110:111], v[112:113]
	ds_read_b128 v[110:113], v52 offset:1088
	v_add_f64 v[2:3], v[2:3], v[4:5]
	v_mul_f64 v[4:5], v[96:97], v[38:39]
	v_fma_f64 v[4:5], v[94:95], v[40:41], -v[4:5]
	v_add_f64 v[2:3], v[2:3], v[4:5]
	v_mul_f64 v[4:5], v[100:101], v[50:51]
	s_waitcnt vmcnt(20) lgkmcnt(1)
	v_mul_f64 v[116:117], v[106:107], v[134:135]
	v_fma_f64 v[4:5], v[98:99], v[118:119], -v[4:5]
	s_waitcnt vmcnt(18)
	v_fmac_f64_e32 v[116:117], v[108:109], v[136:137]
	v_add_f64 v[2:3], v[2:3], v[4:5]
	v_mul_f64 v[4:5], v[104:105], v[46:47]
	v_add_f64 v[122:123], v[114:115], v[116:117]
	ds_read_b128 v[114:117], v52 offset:1104
	s_waitcnt vmcnt(17) lgkmcnt(1)
	v_mul_f64 v[124:125], v[110:111], v[130:131]
	v_fma_f64 v[4:5], v[102:103], v[48:49], -v[4:5]
	s_waitcnt vmcnt(16)
	v_fmac_f64_e32 v[124:125], v[112:113], v[132:133]
	v_add_f64 v[2:3], v[2:3], v[4:5]
	v_mul_f64 v[4:5], v[108:109], v[134:135]
	v_add_f64 v[154:155], v[122:123], v[124:125]
	ds_read_b128 v[122:125], v52 offset:1120
	v_fma_f64 v[4:5], v[106:107], v[136:137], -v[4:5]
	v_add_f64 v[2:3], v[2:3], v[4:5]
	v_mul_f64 v[4:5], v[112:113], v[130:131]
	v_fma_f64 v[4:5], v[110:111], v[132:133], -v[4:5]
	v_add_f64 v[2:3], v[2:3], v[4:5]
	s_waitcnt vmcnt(12) lgkmcnt(1)
	v_mul_f64 v[4:5], v[116:117], v[142:143]
	v_mul_f64 v[156:157], v[114:115], v[142:143]
	s_waitcnt vmcnt(10)
	v_fma_f64 v[4:5], v[114:115], v[144:145], -v[4:5]
	v_fmac_f64_e32 v[156:157], v[116:117], v[144:145]
	v_add_f64 v[2:3], v[2:3], v[4:5]
	s_waitcnt vmcnt(9) lgkmcnt(0)
	v_mul_f64 v[4:5], v[124:125], v[138:139]
	v_add_f64 v[52:53], v[154:155], v[156:157]
	v_mul_f64 v[154:155], v[122:123], v[138:139]
	s_waitcnt vmcnt(8)
	v_fma_f64 v[4:5], v[122:123], v[140:141], -v[4:5]
	v_fmac_f64_e32 v[154:155], v[124:125], v[140:141]
	v_add_f64 v[2:3], v[2:3], v[4:5]
	s_waitcnt vmcnt(6)
	v_mul_f64 v[4:5], v[128:129], v[146:147]
	v_add_f64 v[52:53], v[52:53], v[154:155]
	v_mul_f64 v[154:155], v[126:127], v[146:147]
	s_waitcnt vmcnt(4)
	v_fma_f64 v[4:5], v[126:127], v[148:149], -v[4:5]
	v_fmac_f64_e32 v[154:155], v[128:129], v[148:149]
	v_add_f64 v[2:3], v[2:3], v[4:5]
	v_add_f64 v[52:53], v[52:53], v[154:155]
	s_waitcnt vmcnt(2)
	v_add_f64 v[2:3], v[150:151], -v[2:3]
	s_waitcnt vmcnt(0)
	v_add_f64 v[4:5], v[152:153], -v[52:53]
	buffer_store_dword v3, off, s[0:3], 0 offset:292
	buffer_store_dword v2, off, s[0:3], 0 offset:288
	;; [unrolled: 1-line block ×4, first 2 shown]
	s_and_saveexec_b64 s[4:5], vcc
	s_cbranch_execz .LBB35_197
; %bb.196:
	v_accvgpr_read_b32 v5, a86
	buffer_load_dword v2, v5, s[0:3], 0 offen
	buffer_load_dword v3, v5, s[0:3], 0 offen offset:4
	buffer_load_dword v4, v5, s[0:3], 0 offen offset:8
	s_nop 0
	buffer_load_dword v5, v5, s[0:3], 0 offen offset:12
	v_mov_b32_e32 v6, 0
	buffer_store_dword v6, off, s[0:3], 0 offset:272
	buffer_store_dword v6, off, s[0:3], 0 offset:276
	;; [unrolled: 1-line block ×4, first 2 shown]
	s_waitcnt vmcnt(4)
	ds_write_b128 v1, v[2:5]
.LBB35_197:
	s_or_b64 exec, exec, s[4:5]
	s_waitcnt lgkmcnt(0)
	; wave barrier
	s_waitcnt lgkmcnt(0)
	buffer_load_dword v2, off, s[0:3], 0 offset:288
	buffer_load_dword v3, off, s[0:3], 0 offset:292
	;; [unrolled: 1-line block ×76, first 2 shown]
	v_mov_b32_e32 v54, 0
	ds_read_b128 v[56:59], v54 offset:848
	buffer_load_dword v158, off, s[0:3], 0 offset:272
	buffer_load_dword v159, off, s[0:3], 0 offset:276
	;; [unrolled: 1-line block ×4, first 2 shown]
	ds_read_b128 v[60:63], v54 offset:864
	ds_read_b128 v[64:67], v54 offset:880
	;; [unrolled: 1-line block ×4, first 2 shown]
	v_cmp_lt_u32_e32 vcc, 15, v0
	s_waitcnt vmcnt(62) lgkmcnt(4)
	v_mul_f64 v[72:73], v[56:57], v[8:9]
	v_fmac_f64_e32 v[72:73], v[58:59], v[2:3]
	v_add_f64 v[72:73], v[72:73], 0
	v_mul_f64 v[8:9], v[58:59], v[8:9]
	s_waitcnt lgkmcnt(3)
	v_mul_f64 v[74:75], v[60:61], v[10:11]
	v_fmac_f64_e32 v[74:75], v[62:63], v[4:5]
	v_add_f64 v[72:73], v[72:73], v[74:75]
	v_fma_f64 v[2:3], v[56:57], v[2:3], -v[8:9]
	s_waitcnt lgkmcnt(2)
	v_mul_f64 v[74:75], v[64:65], v[12:13]
	v_fmac_f64_e32 v[74:75], v[66:67], v[6:7]
	v_add_f64 v[76:77], v[72:73], v[74:75]
	ds_read_b128 v[72:75], v54 offset:912
	s_waitcnt lgkmcnt(2)
	v_mul_f64 v[78:79], v[68:69], v[18:19]
	v_mul_f64 v[8:9], v[62:63], v[10:11]
	v_fmac_f64_e32 v[78:79], v[70:71], v[20:21]
	v_add_f64 v[80:81], v[76:77], v[78:79]
	ds_read_b128 v[76:79], v54 offset:928
	s_waitcnt vmcnt(61) lgkmcnt(1)
	v_mul_f64 v[82:83], v[72:73], v[14:15]
	s_waitcnt vmcnt(60)
	v_fmac_f64_e32 v[82:83], v[74:75], v[16:17]
	v_add_f64 v[84:85], v[80:81], v[82:83]
	ds_read_b128 v[80:83], v54 offset:944
	s_waitcnt vmcnt(56) lgkmcnt(1)
	v_mul_f64 v[86:87], v[76:77], v[26:27]
	s_waitcnt vmcnt(54)
	v_fmac_f64_e32 v[86:87], v[78:79], v[28:29]
	v_add_f64 v[88:89], v[84:85], v[86:87]
	ds_read_b128 v[84:87], v54 offset:960
	s_waitcnt vmcnt(53) lgkmcnt(1)
	v_mul_f64 v[90:91], v[80:81], v[22:23]
	s_waitcnt vmcnt(52)
	v_fmac_f64_e32 v[90:91], v[82:83], v[24:25]
	v_add_f64 v[92:93], v[88:89], v[90:91]
	ds_read_b128 v[88:91], v54 offset:976
	s_waitcnt vmcnt(48) lgkmcnt(1)
	v_mul_f64 v[94:95], v[84:85], v[34:35]
	s_waitcnt vmcnt(46)
	v_fmac_f64_e32 v[94:95], v[86:87], v[36:37]
	v_add_f64 v[96:97], v[92:93], v[94:95]
	ds_read_b128 v[92:95], v54 offset:992
	v_add_f64 v[2:3], v[2:3], 0
	v_fma_f64 v[4:5], v[60:61], v[4:5], -v[8:9]
	s_waitcnt vmcnt(45) lgkmcnt(1)
	v_mul_f64 v[98:99], v[88:89], v[30:31]
	v_add_f64 v[2:3], v[2:3], v[4:5]
	v_mul_f64 v[4:5], v[66:67], v[12:13]
	s_waitcnt vmcnt(44)
	v_fmac_f64_e32 v[98:99], v[90:91], v[32:33]
	v_fma_f64 v[4:5], v[64:65], v[6:7], -v[4:5]
	v_add_f64 v[100:101], v[96:97], v[98:99]
	ds_read_b128 v[96:99], v54 offset:1008
	s_waitcnt vmcnt(40) lgkmcnt(1)
	v_mul_f64 v[102:103], v[92:93], v[42:43]
	v_add_f64 v[2:3], v[2:3], v[4:5]
	v_mul_f64 v[4:5], v[70:71], v[18:19]
	s_waitcnt vmcnt(38)
	v_fmac_f64_e32 v[102:103], v[94:95], v[44:45]
	v_fma_f64 v[4:5], v[68:69], v[20:21], -v[4:5]
	v_add_f64 v[104:105], v[100:101], v[102:103]
	ds_read_b128 v[100:103], v54 offset:1024
	v_add_f64 v[2:3], v[2:3], v[4:5]
	v_mul_f64 v[4:5], v[74:75], v[14:15]
	v_fma_f64 v[4:5], v[72:73], v[16:17], -v[4:5]
	v_add_f64 v[2:3], v[2:3], v[4:5]
	v_mul_f64 v[4:5], v[78:79], v[26:27]
	s_waitcnt vmcnt(37) lgkmcnt(1)
	v_mul_f64 v[106:107], v[96:97], v[38:39]
	v_fma_f64 v[4:5], v[76:77], v[28:29], -v[4:5]
	s_waitcnt vmcnt(36)
	v_fmac_f64_e32 v[106:107], v[98:99], v[40:41]
	v_add_f64 v[2:3], v[2:3], v[4:5]
	v_mul_f64 v[4:5], v[82:83], v[22:23]
	v_add_f64 v[108:109], v[104:105], v[106:107]
	ds_read_b128 v[104:107], v54 offset:1040
	s_waitcnt vmcnt(32) lgkmcnt(1)
	v_mul_f64 v[110:111], v[100:101], v[50:51]
	v_fma_f64 v[4:5], v[80:81], v[24:25], -v[4:5]
	s_waitcnt vmcnt(30)
	v_fmac_f64_e32 v[110:111], v[102:103], v[52:53]
	v_add_f64 v[2:3], v[2:3], v[4:5]
	v_mul_f64 v[4:5], v[86:87], v[34:35]
	v_add_f64 v[112:113], v[108:109], v[110:111]
	ds_read_b128 v[108:111], v54 offset:1056
	v_fma_f64 v[4:5], v[84:85], v[36:37], -v[4:5]
	v_add_f64 v[2:3], v[2:3], v[4:5]
	v_mul_f64 v[4:5], v[90:91], v[30:31]
	v_fma_f64 v[4:5], v[88:89], v[32:33], -v[4:5]
	s_waitcnt vmcnt(29) lgkmcnt(1)
	v_mul_f64 v[114:115], v[104:105], v[46:47]
	v_add_f64 v[2:3], v[2:3], v[4:5]
	v_mul_f64 v[4:5], v[94:95], v[42:43]
	s_waitcnt vmcnt(28)
	v_fmac_f64_e32 v[114:115], v[106:107], v[48:49]
	v_fma_f64 v[4:5], v[92:93], v[44:45], -v[4:5]
	v_add_f64 v[116:117], v[112:113], v[114:115]
	ds_read_b128 v[112:115], v54 offset:1072
	s_waitcnt vmcnt(24) lgkmcnt(1)
	v_mul_f64 v[118:119], v[108:109], v[138:139]
	v_add_f64 v[2:3], v[2:3], v[4:5]
	v_mul_f64 v[4:5], v[98:99], v[38:39]
	s_waitcnt vmcnt(22)
	v_fmac_f64_e32 v[118:119], v[110:111], v[140:141]
	v_fma_f64 v[4:5], v[96:97], v[40:41], -v[4:5]
	v_add_f64 v[122:123], v[116:117], v[118:119]
	ds_read_b128 v[116:119], v54 offset:1088
	v_add_f64 v[2:3], v[2:3], v[4:5]
	v_mul_f64 v[4:5], v[102:103], v[50:51]
	v_fma_f64 v[4:5], v[100:101], v[52:53], -v[4:5]
	v_add_f64 v[2:3], v[2:3], v[4:5]
	v_mul_f64 v[4:5], v[106:107], v[46:47]
	s_waitcnt vmcnt(21) lgkmcnt(1)
	v_mul_f64 v[124:125], v[112:113], v[134:135]
	v_fma_f64 v[4:5], v[104:105], v[48:49], -v[4:5]
	s_waitcnt vmcnt(20)
	v_fmac_f64_e32 v[124:125], v[114:115], v[136:137]
	v_add_f64 v[2:3], v[2:3], v[4:5]
	v_mul_f64 v[4:5], v[110:111], v[138:139]
	v_add_f64 v[126:127], v[122:123], v[124:125]
	ds_read_b128 v[122:125], v54 offset:1104
	s_waitcnt vmcnt(16) lgkmcnt(1)
	v_mul_f64 v[128:129], v[116:117], v[146:147]
	v_fma_f64 v[4:5], v[108:109], v[140:141], -v[4:5]
	s_waitcnt vmcnt(14)
	v_fmac_f64_e32 v[128:129], v[118:119], v[148:149]
	v_add_f64 v[2:3], v[2:3], v[4:5]
	v_mul_f64 v[4:5], v[114:115], v[134:135]
	v_add_f64 v[162:163], v[126:127], v[128:129]
	ds_read_b128 v[126:129], v54 offset:1120
	v_fma_f64 v[4:5], v[112:113], v[136:137], -v[4:5]
	v_add_f64 v[2:3], v[2:3], v[4:5]
	v_mul_f64 v[4:5], v[118:119], v[146:147]
	v_fma_f64 v[4:5], v[116:117], v[148:149], -v[4:5]
	v_add_f64 v[2:3], v[2:3], v[4:5]
	s_waitcnt vmcnt(13) lgkmcnt(1)
	v_mul_f64 v[4:5], v[124:125], v[142:143]
	v_mul_f64 v[164:165], v[122:123], v[142:143]
	s_waitcnt vmcnt(12)
	v_fma_f64 v[4:5], v[122:123], v[144:145], -v[4:5]
	v_fmac_f64_e32 v[164:165], v[124:125], v[144:145]
	v_add_f64 v[2:3], v[2:3], v[4:5]
	s_waitcnt vmcnt(8) lgkmcnt(0)
	v_mul_f64 v[4:5], v[128:129], v[154:155]
	v_add_f64 v[162:163], v[162:163], v[164:165]
	v_mul_f64 v[164:165], v[126:127], v[154:155]
	s_waitcnt vmcnt(6)
	v_fma_f64 v[4:5], v[126:127], v[156:157], -v[4:5]
	v_fmac_f64_e32 v[164:165], v[128:129], v[156:157]
	v_add_f64 v[2:3], v[2:3], v[4:5]
	s_waitcnt vmcnt(5)
	v_mul_f64 v[4:5], v[132:133], v[150:151]
	v_add_f64 v[162:163], v[162:163], v[164:165]
	v_mul_f64 v[164:165], v[130:131], v[150:151]
	s_waitcnt vmcnt(4)
	v_fma_f64 v[4:5], v[130:131], v[152:153], -v[4:5]
	v_fmac_f64_e32 v[164:165], v[132:133], v[152:153]
	v_add_f64 v[2:3], v[2:3], v[4:5]
	v_add_f64 v[162:163], v[162:163], v[164:165]
	s_waitcnt vmcnt(2)
	v_add_f64 v[2:3], v[158:159], -v[2:3]
	s_waitcnt vmcnt(0)
	v_add_f64 v[4:5], v[160:161], -v[162:163]
	buffer_store_dword v3, off, s[0:3], 0 offset:276
	buffer_store_dword v2, off, s[0:3], 0 offset:272
	;; [unrolled: 1-line block ×4, first 2 shown]
	s_and_saveexec_b64 s[4:5], vcc
	s_cbranch_execz .LBB35_199
; %bb.198:
	v_accvgpr_read_b32 v5, a87
	buffer_load_dword v2, v5, s[0:3], 0 offen
	buffer_load_dword v3, v5, s[0:3], 0 offen offset:4
	buffer_load_dword v4, v5, s[0:3], 0 offen offset:8
	s_nop 0
	buffer_load_dword v5, v5, s[0:3], 0 offen offset:12
	s_nop 0
	buffer_store_dword v54, off, s[0:3], 0 offset:256
	buffer_store_dword v54, off, s[0:3], 0 offset:260
	;; [unrolled: 1-line block ×4, first 2 shown]
	s_waitcnt vmcnt(4)
	ds_write_b128 v1, v[2:5]
.LBB35_199:
	s_or_b64 exec, exec, s[4:5]
	s_waitcnt lgkmcnt(0)
	; wave barrier
	s_waitcnt lgkmcnt(0)
	buffer_load_dword v2, off, s[0:3], 0 offset:272
	buffer_load_dword v3, off, s[0:3], 0 offset:276
	;; [unrolled: 1-line block ×76, first 2 shown]
	ds_read_b128 v[56:59], v54 offset:832
	buffer_load_dword v163, off, s[0:3], 0 offset:588
	buffer_load_dword v162, off, s[0:3], 0 offset:584
	;; [unrolled: 1-line block ×8, first 2 shown]
	ds_read_b128 v[60:63], v54 offset:848
	ds_read_b128 v[64:67], v54 offset:864
	;; [unrolled: 1-line block ×3, first 2 shown]
	v_cmp_lt_u32_e32 vcc, 14, v0
	ds_read_b128 v[134:137], v54 offset:1136
	s_waitcnt vmcnt(62) lgkmcnt(4)
	v_mul_f64 v[72:73], v[56:57], v[8:9]
	v_fmac_f64_e32 v[72:73], v[58:59], v[2:3]
	v_add_f64 v[72:73], v[72:73], 0
	v_mul_f64 v[8:9], v[58:59], v[8:9]
	s_waitcnt lgkmcnt(3)
	v_mul_f64 v[74:75], v[60:61], v[10:11]
	v_fmac_f64_e32 v[74:75], v[62:63], v[4:5]
	v_add_f64 v[72:73], v[72:73], v[74:75]
	v_fma_f64 v[2:3], v[56:57], v[2:3], -v[8:9]
	s_waitcnt lgkmcnt(2)
	v_mul_f64 v[74:75], v[64:65], v[12:13]
	v_fmac_f64_e32 v[74:75], v[66:67], v[6:7]
	v_add_f64 v[76:77], v[72:73], v[74:75]
	ds_read_b128 v[72:75], v54 offset:896
	v_mul_f64 v[8:9], v[62:63], v[10:11]
	v_add_f64 v[2:3], v[2:3], 0
	s_waitcnt lgkmcnt(2)
	v_mul_f64 v[78:79], v[68:69], v[18:19]
	v_fma_f64 v[4:5], v[60:61], v[4:5], -v[8:9]
	v_fmac_f64_e32 v[78:79], v[70:71], v[20:21]
	v_add_f64 v[80:81], v[76:77], v[78:79]
	ds_read_b128 v[76:79], v54 offset:912
	s_waitcnt lgkmcnt(1)
	v_mul_f64 v[82:83], v[72:73], v[14:15]
	v_fmac_f64_e32 v[82:83], v[74:75], v[16:17]
	v_add_f64 v[84:85], v[80:81], v[82:83]
	ds_read_b128 v[80:83], v54 offset:928
	s_waitcnt vmcnt(58) lgkmcnt(1)
	v_mul_f64 v[86:87], v[76:77], v[26:27]
	s_waitcnt vmcnt(56)
	v_fmac_f64_e32 v[86:87], v[78:79], v[28:29]
	v_add_f64 v[88:89], v[84:85], v[86:87]
	ds_read_b128 v[84:87], v54 offset:944
	s_waitcnt lgkmcnt(1)
	v_mul_f64 v[90:91], v[80:81], v[22:23]
	v_fmac_f64_e32 v[90:91], v[82:83], v[24:25]
	v_add_f64 v[92:93], v[88:89], v[90:91]
	ds_read_b128 v[88:91], v54 offset:960
	s_waitcnt vmcnt(50) lgkmcnt(1)
	v_mul_f64 v[94:95], v[84:85], v[34:35]
	s_waitcnt vmcnt(48)
	v_fmac_f64_e32 v[94:95], v[86:87], v[36:37]
	v_add_f64 v[96:97], v[92:93], v[94:95]
	ds_read_b128 v[92:95], v54 offset:976
	s_waitcnt lgkmcnt(1)
	v_mul_f64 v[98:99], v[88:89], v[30:31]
	v_fmac_f64_e32 v[98:99], v[90:91], v[32:33]
	v_add_f64 v[100:101], v[96:97], v[98:99]
	ds_read_b128 v[96:99], v54 offset:992
	v_add_f64 v[2:3], v[2:3], v[4:5]
	v_mul_f64 v[4:5], v[66:67], v[12:13]
	v_fma_f64 v[4:5], v[64:65], v[6:7], -v[4:5]
	s_waitcnt vmcnt(42) lgkmcnt(1)
	v_mul_f64 v[102:103], v[92:93], v[42:43]
	v_add_f64 v[2:3], v[2:3], v[4:5]
	v_mul_f64 v[4:5], v[70:71], v[18:19]
	s_waitcnt vmcnt(40)
	v_fmac_f64_e32 v[102:103], v[94:95], v[44:45]
	v_fma_f64 v[4:5], v[68:69], v[20:21], -v[4:5]
	v_add_f64 v[104:105], v[100:101], v[102:103]
	ds_read_b128 v[100:103], v54 offset:1008
	s_waitcnt lgkmcnt(1)
	v_mul_f64 v[106:107], v[96:97], v[38:39]
	v_add_f64 v[2:3], v[2:3], v[4:5]
	v_mul_f64 v[4:5], v[74:75], v[14:15]
	v_fmac_f64_e32 v[106:107], v[98:99], v[40:41]
	v_fma_f64 v[4:5], v[72:73], v[16:17], -v[4:5]
	v_add_f64 v[108:109], v[104:105], v[106:107]
	ds_read_b128 v[104:107], v54 offset:1024
	v_add_f64 v[2:3], v[2:3], v[4:5]
	v_mul_f64 v[4:5], v[78:79], v[26:27]
	v_fma_f64 v[4:5], v[76:77], v[28:29], -v[4:5]
	v_add_f64 v[2:3], v[2:3], v[4:5]
	v_mul_f64 v[4:5], v[82:83], v[22:23]
	s_waitcnt vmcnt(34) lgkmcnt(1)
	v_mul_f64 v[110:111], v[100:101], v[50:51]
	v_fma_f64 v[4:5], v[80:81], v[24:25], -v[4:5]
	s_waitcnt vmcnt(32)
	v_fmac_f64_e32 v[110:111], v[102:103], v[52:53]
	v_add_f64 v[2:3], v[2:3], v[4:5]
	v_mul_f64 v[4:5], v[86:87], v[34:35]
	v_add_f64 v[112:113], v[108:109], v[110:111]
	ds_read_b128 v[108:111], v54 offset:1040
	s_waitcnt lgkmcnt(1)
	v_mul_f64 v[114:115], v[104:105], v[46:47]
	v_fma_f64 v[4:5], v[84:85], v[36:37], -v[4:5]
	v_fmac_f64_e32 v[114:115], v[106:107], v[48:49]
	v_add_f64 v[2:3], v[2:3], v[4:5]
	v_mul_f64 v[4:5], v[90:91], v[30:31]
	v_add_f64 v[116:117], v[112:113], v[114:115]
	ds_read_b128 v[112:115], v54 offset:1056
	v_fma_f64 v[4:5], v[88:89], v[32:33], -v[4:5]
	v_add_f64 v[2:3], v[2:3], v[4:5]
	v_mul_f64 v[4:5], v[94:95], v[42:43]
	v_fma_f64 v[4:5], v[92:93], v[44:45], -v[4:5]
	s_waitcnt vmcnt(26) lgkmcnt(1)
	v_mul_f64 v[118:119], v[108:109], v[142:143]
	v_add_f64 v[2:3], v[2:3], v[4:5]
	v_mul_f64 v[4:5], v[98:99], v[38:39]
	s_waitcnt vmcnt(24)
	v_fmac_f64_e32 v[118:119], v[110:111], v[144:145]
	v_fma_f64 v[4:5], v[96:97], v[40:41], -v[4:5]
	v_add_f64 v[122:123], v[116:117], v[118:119]
	ds_read_b128 v[116:119], v54 offset:1072
	s_waitcnt lgkmcnt(1)
	v_mul_f64 v[124:125], v[112:113], v[138:139]
	v_add_f64 v[2:3], v[2:3], v[4:5]
	v_mul_f64 v[4:5], v[102:103], v[50:51]
	v_fmac_f64_e32 v[124:125], v[114:115], v[140:141]
	v_fma_f64 v[4:5], v[100:101], v[52:53], -v[4:5]
	v_add_f64 v[126:127], v[122:123], v[124:125]
	ds_read_b128 v[122:125], v54 offset:1088
	v_add_f64 v[2:3], v[2:3], v[4:5]
	v_mul_f64 v[4:5], v[106:107], v[46:47]
	v_fma_f64 v[4:5], v[104:105], v[48:49], -v[4:5]
	v_add_f64 v[2:3], v[2:3], v[4:5]
	v_mul_f64 v[4:5], v[110:111], v[142:143]
	s_waitcnt vmcnt(18) lgkmcnt(1)
	v_mul_f64 v[128:129], v[116:117], v[150:151]
	v_fma_f64 v[4:5], v[108:109], v[144:145], -v[4:5]
	s_waitcnt vmcnt(16)
	v_fmac_f64_e32 v[128:129], v[118:119], v[152:153]
	v_add_f64 v[2:3], v[2:3], v[4:5]
	v_mul_f64 v[4:5], v[114:115], v[138:139]
	v_add_f64 v[130:131], v[126:127], v[128:129]
	ds_read_b128 v[126:129], v54 offset:1104
	s_waitcnt lgkmcnt(1)
	v_mul_f64 v[132:133], v[122:123], v[146:147]
	v_fma_f64 v[4:5], v[112:113], v[140:141], -v[4:5]
	v_fmac_f64_e32 v[132:133], v[124:125], v[148:149]
	v_add_f64 v[2:3], v[2:3], v[4:5]
	v_mul_f64 v[4:5], v[118:119], v[150:151]
	v_add_f64 v[170:171], v[130:131], v[132:133]
	ds_read_b128 v[130:133], v54 offset:1120
	v_fma_f64 v[4:5], v[116:117], v[152:153], -v[4:5]
	v_add_f64 v[2:3], v[2:3], v[4:5]
	v_mul_f64 v[4:5], v[124:125], v[146:147]
	v_fma_f64 v[4:5], v[122:123], v[148:149], -v[4:5]
	v_add_f64 v[2:3], v[2:3], v[4:5]
	s_waitcnt vmcnt(10) lgkmcnt(1)
	v_mul_f64 v[4:5], v[128:129], v[158:159]
	v_mul_f64 v[172:173], v[126:127], v[158:159]
	s_waitcnt vmcnt(8)
	v_fma_f64 v[4:5], v[126:127], v[160:161], -v[4:5]
	v_fmac_f64_e32 v[172:173], v[128:129], v[160:161]
	v_add_f64 v[2:3], v[2:3], v[4:5]
	s_waitcnt lgkmcnt(0)
	v_mul_f64 v[4:5], v[132:133], v[154:155]
	v_add_f64 v[54:55], v[170:171], v[172:173]
	v_mul_f64 v[170:171], v[130:131], v[154:155]
	v_fma_f64 v[4:5], v[130:131], v[156:157], -v[4:5]
	v_fmac_f64_e32 v[170:171], v[132:133], v[156:157]
	v_add_f64 v[2:3], v[2:3], v[4:5]
	s_waitcnt vmcnt(6)
	v_mul_f64 v[4:5], v[136:137], v[162:163]
	v_add_f64 v[54:55], v[54:55], v[170:171]
	v_mul_f64 v[170:171], v[134:135], v[162:163]
	s_waitcnt vmcnt(4)
	v_fma_f64 v[4:5], v[134:135], v[164:165], -v[4:5]
	v_fmac_f64_e32 v[170:171], v[136:137], v[164:165]
	v_add_f64 v[2:3], v[2:3], v[4:5]
	v_add_f64 v[54:55], v[54:55], v[170:171]
	s_waitcnt vmcnt(2)
	v_add_f64 v[2:3], v[166:167], -v[2:3]
	s_waitcnt vmcnt(0)
	v_add_f64 v[4:5], v[168:169], -v[54:55]
	buffer_store_dword v3, off, s[0:3], 0 offset:260
	buffer_store_dword v2, off, s[0:3], 0 offset:256
	buffer_store_dword v5, off, s[0:3], 0 offset:268
	buffer_store_dword v4, off, s[0:3], 0 offset:264
	s_and_saveexec_b64 s[4:5], vcc
	s_cbranch_execz .LBB35_201
; %bb.200:
	v_accvgpr_read_b32 v5, a88
	buffer_load_dword v2, v5, s[0:3], 0 offen
	buffer_load_dword v3, v5, s[0:3], 0 offen offset:4
	buffer_load_dword v4, v5, s[0:3], 0 offen offset:8
	s_nop 0
	buffer_load_dword v5, v5, s[0:3], 0 offen offset:12
	v_mov_b32_e32 v6, 0
	buffer_store_dword v6, off, s[0:3], 0 offset:240
	buffer_store_dword v6, off, s[0:3], 0 offset:244
	buffer_store_dword v6, off, s[0:3], 0 offset:248
	buffer_store_dword v6, off, s[0:3], 0 offset:252
	s_waitcnt vmcnt(4)
	ds_write_b128 v1, v[2:5]
.LBB35_201:
	s_or_b64 exec, exec, s[4:5]
	s_waitcnt lgkmcnt(0)
	; wave barrier
	s_waitcnt lgkmcnt(0)
	buffer_load_dword v4, off, s[0:3], 0 offset:240
	buffer_load_dword v5, off, s[0:3], 0 offset:244
	;; [unrolled: 1-line block ×84, first 2 shown]
	v_mov_b32_e32 v86, 0
	ds_read_b128 v[66:69], v86 offset:816
	buffer_load_dword v175, off, s[0:3], 0 offset:588
	buffer_load_dword v174, off, s[0:3], 0 offset:584
	;; [unrolled: 1-line block ×4, first 2 shown]
	ds_read_b128 v[70:73], v86 offset:832
	ds_read_b128 v[74:77], v86 offset:848
	;; [unrolled: 1-line block ×4, first 2 shown]
	v_cmp_lt_u32_e32 vcc, 13, v0
	s_waitcnt vmcnt(62) lgkmcnt(4)
	v_mul_f64 v[82:83], v[66:67], v[12:13]
	v_fmac_f64_e32 v[82:83], v[68:69], v[6:7]
	s_waitcnt lgkmcnt(3)
	v_mul_f64 v[84:85], v[70:71], v[14:15]
	v_add_f64 v[82:83], v[82:83], 0
	v_fmac_f64_e32 v[84:85], v[72:73], v[8:9]
	v_add_f64 v[82:83], v[82:83], v[84:85]
	s_waitcnt lgkmcnt(2)
	v_mul_f64 v[84:85], v[74:75], v[16:17]
	v_fmac_f64_e32 v[84:85], v[76:77], v[10:11]
	v_add_f64 v[88:89], v[82:83], v[84:85]
	ds_read_b128 v[82:85], v86 offset:880
	v_mul_f64 v[12:13], v[68:69], v[12:13]
	s_waitcnt lgkmcnt(2)
	v_mul_f64 v[90:91], v[78:79], v[22:23]
	v_fma_f64 v[6:7], v[66:67], v[6:7], -v[12:13]
	v_fmac_f64_e32 v[90:91], v[80:81], v[24:25]
	v_add_f64 v[92:93], v[88:89], v[90:91]
	ds_read_b128 v[88:91], v86 offset:896
	s_waitcnt lgkmcnt(1)
	v_mul_f64 v[94:95], v[82:83], v[18:19]
	v_fmac_f64_e32 v[94:95], v[84:85], v[20:21]
	v_add_f64 v[96:97], v[92:93], v[94:95]
	ds_read_b128 v[92:95], v86 offset:912
	s_waitcnt vmcnt(58) lgkmcnt(1)
	v_mul_f64 v[98:99], v[88:89], v[30:31]
	s_waitcnt vmcnt(56)
	v_fmac_f64_e32 v[98:99], v[90:91], v[32:33]
	v_add_f64 v[100:101], v[96:97], v[98:99]
	ds_read_b128 v[96:99], v86 offset:928
	s_waitcnt lgkmcnt(1)
	v_mul_f64 v[102:103], v[92:93], v[26:27]
	v_fmac_f64_e32 v[102:103], v[94:95], v[28:29]
	v_add_f64 v[104:105], v[100:101], v[102:103]
	ds_read_b128 v[100:103], v86 offset:944
	s_waitcnt vmcnt(50) lgkmcnt(1)
	v_mul_f64 v[106:107], v[96:97], v[38:39]
	s_waitcnt vmcnt(48)
	v_fmac_f64_e32 v[106:107], v[98:99], v[40:41]
	v_add_f64 v[108:109], v[104:105], v[106:107]
	ds_read_b128 v[104:107], v86 offset:960
	s_waitcnt lgkmcnt(1)
	v_mul_f64 v[110:111], v[100:101], v[34:35]
	v_fmac_f64_e32 v[110:111], v[102:103], v[36:37]
	v_mul_f64 v[12:13], v[72:73], v[14:15]
	v_add_f64 v[112:113], v[108:109], v[110:111]
	ds_read_b128 v[108:111], v86 offset:976
	s_waitcnt vmcnt(42) lgkmcnt(1)
	v_mul_f64 v[114:115], v[104:105], v[46:47]
	v_add_f64 v[6:7], v[6:7], 0
	v_fma_f64 v[8:9], v[70:71], v[8:9], -v[12:13]
	s_waitcnt vmcnt(40)
	v_fmac_f64_e32 v[114:115], v[106:107], v[48:49]
	v_add_f64 v[6:7], v[6:7], v[8:9]
	v_mul_f64 v[8:9], v[76:77], v[16:17]
	v_add_f64 v[116:117], v[112:113], v[114:115]
	ds_read_b128 v[112:115], v86 offset:992
	v_fma_f64 v[8:9], v[74:75], v[10:11], -v[8:9]
	v_add_f64 v[6:7], v[6:7], v[8:9]
	v_mul_f64 v[8:9], v[80:81], v[22:23]
	v_fma_f64 v[8:9], v[78:79], v[24:25], -v[8:9]
	s_waitcnt lgkmcnt(1)
	v_mul_f64 v[118:119], v[108:109], v[42:43]
	v_add_f64 v[6:7], v[6:7], v[8:9]
	v_mul_f64 v[8:9], v[84:85], v[18:19]
	v_fmac_f64_e32 v[118:119], v[110:111], v[44:45]
	v_fma_f64 v[8:9], v[82:83], v[20:21], -v[8:9]
	v_add_f64 v[122:123], v[116:117], v[118:119]
	ds_read_b128 v[116:119], v86 offset:1008
	s_waitcnt vmcnt(34) lgkmcnt(1)
	v_mul_f64 v[124:125], v[112:113], v[54:55]
	v_add_f64 v[6:7], v[6:7], v[8:9]
	v_mul_f64 v[8:9], v[90:91], v[30:31]
	s_waitcnt vmcnt(32)
	v_fmac_f64_e32 v[124:125], v[114:115], v[56:57]
	v_fma_f64 v[8:9], v[88:89], v[32:33], -v[8:9]
	v_add_f64 v[126:127], v[122:123], v[124:125]
	ds_read_b128 v[122:125], v86 offset:1024
	v_add_f64 v[6:7], v[6:7], v[8:9]
	v_mul_f64 v[8:9], v[94:95], v[26:27]
	v_fma_f64 v[8:9], v[92:93], v[28:29], -v[8:9]
	v_add_f64 v[6:7], v[6:7], v[8:9]
	v_mul_f64 v[8:9], v[98:99], v[38:39]
	s_waitcnt lgkmcnt(1)
	v_mul_f64 v[128:129], v[116:117], v[50:51]
	v_fma_f64 v[8:9], v[96:97], v[40:41], -v[8:9]
	v_fmac_f64_e32 v[128:129], v[118:119], v[52:53]
	v_add_f64 v[6:7], v[6:7], v[8:9]
	v_mul_f64 v[8:9], v[102:103], v[34:35]
	v_add_f64 v[130:131], v[126:127], v[128:129]
	ds_read_b128 v[126:129], v86 offset:1040
	s_waitcnt vmcnt(26) lgkmcnt(1)
	v_mul_f64 v[132:133], v[122:123], v[62:63]
	v_fma_f64 v[8:9], v[100:101], v[36:37], -v[8:9]
	s_waitcnt vmcnt(24)
	v_fmac_f64_e32 v[132:133], v[124:125], v[64:65]
	v_add_f64 v[6:7], v[6:7], v[8:9]
	v_mul_f64 v[8:9], v[106:107], v[46:47]
	v_add_f64 v[134:135], v[130:131], v[132:133]
	ds_read_b128 v[130:133], v86 offset:1056
	v_fma_f64 v[8:9], v[104:105], v[48:49], -v[8:9]
	v_add_f64 v[6:7], v[6:7], v[8:9]
	v_mul_f64 v[8:9], v[110:111], v[42:43]
	v_fma_f64 v[8:9], v[108:109], v[44:45], -v[8:9]
	s_waitcnt lgkmcnt(1)
	v_mul_f64 v[136:137], v[126:127], v[58:59]
	v_add_f64 v[6:7], v[6:7], v[8:9]
	v_mul_f64 v[8:9], v[114:115], v[54:55]
	v_fmac_f64_e32 v[136:137], v[128:129], v[60:61]
	v_fma_f64 v[8:9], v[112:113], v[56:57], -v[8:9]
	v_add_f64 v[138:139], v[134:135], v[136:137]
	ds_read_b128 v[134:137], v86 offset:1072
	s_waitcnt vmcnt(18) lgkmcnt(1)
	v_mul_f64 v[140:141], v[130:131], v[158:159]
	v_add_f64 v[6:7], v[6:7], v[8:9]
	v_mul_f64 v[8:9], v[118:119], v[50:51]
	s_waitcnt vmcnt(16)
	v_fmac_f64_e32 v[140:141], v[132:133], v[160:161]
	v_fma_f64 v[8:9], v[116:117], v[52:53], -v[8:9]
	v_add_f64 v[142:143], v[138:139], v[140:141]
	ds_read_b128 v[138:141], v86 offset:1088
	v_add_f64 v[6:7], v[6:7], v[8:9]
	v_mul_f64 v[8:9], v[124:125], v[62:63]
	v_fma_f64 v[8:9], v[122:123], v[64:65], -v[8:9]
	v_add_f64 v[6:7], v[6:7], v[8:9]
	v_mul_f64 v[8:9], v[128:129], v[58:59]
	s_waitcnt lgkmcnt(1)
	v_mul_f64 v[144:145], v[134:135], v[154:155]
	v_fma_f64 v[8:9], v[126:127], v[60:61], -v[8:9]
	v_fmac_f64_e32 v[144:145], v[136:137], v[156:157]
	v_add_f64 v[6:7], v[6:7], v[8:9]
	v_mul_f64 v[8:9], v[132:133], v[158:159]
	v_add_f64 v[146:147], v[142:143], v[144:145]
	ds_read_b128 v[142:145], v86 offset:1104
	s_waitcnt vmcnt(10) lgkmcnt(1)
	v_mul_f64 v[148:149], v[138:139], v[166:167]
	v_fma_f64 v[8:9], v[130:131], v[160:161], -v[8:9]
	s_waitcnt vmcnt(8)
	v_fmac_f64_e32 v[148:149], v[140:141], v[168:169]
	v_add_f64 v[6:7], v[6:7], v[8:9]
	v_mul_f64 v[8:9], v[136:137], v[154:155]
	v_add_f64 v[178:179], v[146:147], v[148:149]
	ds_read_b128 v[146:149], v86 offset:1120
	v_fma_f64 v[8:9], v[134:135], v[156:157], -v[8:9]
	v_add_f64 v[6:7], v[6:7], v[8:9]
	v_mul_f64 v[8:9], v[140:141], v[166:167]
	v_fma_f64 v[8:9], v[138:139], v[168:169], -v[8:9]
	v_add_f64 v[6:7], v[6:7], v[8:9]
	s_waitcnt lgkmcnt(1)
	v_mul_f64 v[8:9], v[144:145], v[162:163]
	v_mul_f64 v[180:181], v[142:143], v[162:163]
	v_fma_f64 v[8:9], v[142:143], v[164:165], -v[8:9]
	v_fmac_f64_e32 v[180:181], v[144:145], v[164:165]
	v_add_f64 v[6:7], v[6:7], v[8:9]
	s_waitcnt vmcnt(6) lgkmcnt(0)
	v_mul_f64 v[8:9], v[148:149], v[170:171]
	v_add_f64 v[178:179], v[178:179], v[180:181]
	v_mul_f64 v[180:181], v[146:147], v[170:171]
	s_waitcnt vmcnt(4)
	v_fma_f64 v[8:9], v[146:147], v[172:173], -v[8:9]
	v_fmac_f64_e32 v[180:181], v[148:149], v[172:173]
	v_add_f64 v[6:7], v[6:7], v[8:9]
	s_waitcnt vmcnt(2)
	v_mul_f64 v[8:9], v[152:153], v[174:175]
	v_add_f64 v[178:179], v[178:179], v[180:181]
	v_mul_f64 v[180:181], v[150:151], v[174:175]
	s_waitcnt vmcnt(0)
	v_fma_f64 v[8:9], v[150:151], v[176:177], -v[8:9]
	v_fmac_f64_e32 v[180:181], v[152:153], v[176:177]
	v_add_f64 v[6:7], v[6:7], v[8:9]
	v_add_f64 v[178:179], v[178:179], v[180:181]
	v_add_f64 v[4:5], v[4:5], -v[6:7]
	v_add_f64 v[2:3], v[2:3], -v[178:179]
	buffer_store_dword v5, off, s[0:3], 0 offset:244
	buffer_store_dword v4, off, s[0:3], 0 offset:240
	;; [unrolled: 1-line block ×4, first 2 shown]
	s_and_saveexec_b64 s[4:5], vcc
	s_cbranch_execz .LBB35_203
; %bb.202:
	v_accvgpr_read_b32 v5, a89
	buffer_load_dword v2, v5, s[0:3], 0 offen
	buffer_load_dword v3, v5, s[0:3], 0 offen offset:4
	buffer_load_dword v4, v5, s[0:3], 0 offen offset:8
	s_nop 0
	buffer_load_dword v5, v5, s[0:3], 0 offen offset:12
	s_nop 0
	buffer_store_dword v86, off, s[0:3], 0 offset:224
	buffer_store_dword v86, off, s[0:3], 0 offset:228
	;; [unrolled: 1-line block ×4, first 2 shown]
	s_waitcnt vmcnt(4)
	ds_write_b128 v1, v[2:5]
.LBB35_203:
	s_or_b64 exec, exec, s[4:5]
	s_waitcnt lgkmcnt(0)
	; wave barrier
	s_waitcnt lgkmcnt(0)
	ds_read_b128 v[14:17], v86 offset:800
	ds_read_b128 v[10:13], v86 offset:816
	;; [unrolled: 1-line block ×4, first 2 shown]
	buffer_load_dword v20, off, s[0:3], 0 offset:224
	buffer_load_dword v21, off, s[0:3], 0 offset:228
	;; [unrolled: 1-line block ×92, first 2 shown]
	s_waitcnt vmcnt(62) lgkmcnt(3)
	v_mul_f64 v[88:89], v[14:15], v[28:29]
	v_fmac_f64_e32 v[88:89], v[16:17], v[22:23]
	s_waitcnt lgkmcnt(2)
	v_mul_f64 v[90:91], v[10:11], v[30:31]
	v_add_f64 v[88:89], v[88:89], 0
	v_fmac_f64_e32 v[90:91], v[12:13], v[24:25]
	v_add_f64 v[88:89], v[88:89], v[90:91]
	s_waitcnt lgkmcnt(1)
	v_mul_f64 v[90:91], v[6:7], v[32:33]
	v_fmac_f64_e32 v[90:91], v[8:9], v[26:27]
	v_add_f64 v[92:93], v[88:89], v[90:91]
	ds_read_b128 v[88:91], v86 offset:864
	v_mul_f64 v[16:17], v[16:17], v[28:29]
	v_fma_f64 v[14:15], v[14:15], v[22:23], -v[16:17]
	s_waitcnt lgkmcnt(1)
	v_mul_f64 v[94:95], v[2:3], v[38:39]
	v_mul_f64 v[12:13], v[12:13], v[30:31]
	v_fmac_f64_e32 v[94:95], v[4:5], v[40:41]
	v_add_f64 v[96:97], v[92:93], v[94:95]
	ds_read_b128 v[92:95], v86 offset:880
	s_waitcnt lgkmcnt(1)
	v_mul_f64 v[98:99], v[88:89], v[34:35]
	v_fmac_f64_e32 v[98:99], v[90:91], v[36:37]
	v_add_f64 v[100:101], v[96:97], v[98:99]
	ds_read_b128 v[96:99], v86 offset:896
	s_waitcnt lgkmcnt(1)
	v_mul_f64 v[102:103], v[92:93], v[46:47]
	s_waitcnt vmcnt(60)
	v_fmac_f64_e32 v[102:103], v[94:95], v[48:49]
	v_add_f64 v[104:105], v[100:101], v[102:103]
	ds_read_b128 v[100:103], v86 offset:912
	s_waitcnt lgkmcnt(1)
	v_mul_f64 v[106:107], v[96:97], v[42:43]
	v_fmac_f64_e32 v[106:107], v[98:99], v[44:45]
	v_add_f64 v[108:109], v[104:105], v[106:107]
	ds_read_b128 v[104:107], v86 offset:928
	s_waitcnt vmcnt(54) lgkmcnt(1)
	v_mul_f64 v[110:111], v[100:101], v[54:55]
	s_waitcnt vmcnt(52)
	v_fmac_f64_e32 v[110:111], v[102:103], v[56:57]
	v_add_f64 v[112:113], v[108:109], v[110:111]
	ds_read_b128 v[108:111], v86 offset:944
	s_waitcnt lgkmcnt(1)
	v_mul_f64 v[114:115], v[104:105], v[50:51]
	v_fmac_f64_e32 v[114:115], v[106:107], v[52:53]
	v_add_f64 v[116:117], v[112:113], v[114:115]
	ds_read_b128 v[112:115], v86 offset:960
	s_waitcnt vmcnt(46) lgkmcnt(1)
	v_mul_f64 v[118:119], v[108:109], v[62:63]
	s_waitcnt vmcnt(44)
	v_fmac_f64_e32 v[118:119], v[110:111], v[64:65]
	v_add_f64 v[122:123], v[116:117], v[118:119]
	ds_read_b128 v[116:119], v86 offset:976
	s_waitcnt lgkmcnt(1)
	v_mul_f64 v[124:125], v[112:113], v[58:59]
	v_fmac_f64_e32 v[124:125], v[114:115], v[60:61]
	v_add_f64 v[14:15], v[14:15], 0
	v_fma_f64 v[10:11], v[10:11], v[24:25], -v[12:13]
	v_mul_f64 v[8:9], v[8:9], v[32:33]
	v_add_f64 v[126:127], v[122:123], v[124:125]
	ds_read_b128 v[122:125], v86 offset:992
	v_add_f64 v[10:11], v[14:15], v[10:11]
	v_fma_f64 v[6:7], v[6:7], v[26:27], -v[8:9]
	v_mul_f64 v[4:5], v[4:5], v[38:39]
	v_add_f64 v[6:7], v[10:11], v[6:7]
	v_fma_f64 v[2:3], v[2:3], v[40:41], -v[4:5]
	v_mul_f64 v[4:5], v[90:91], v[34:35]
	v_add_f64 v[2:3], v[6:7], v[2:3]
	v_fma_f64 v[4:5], v[88:89], v[36:37], -v[4:5]
	s_waitcnt vmcnt(38) lgkmcnt(1)
	v_mul_f64 v[128:129], v[116:117], v[70:71]
	v_add_f64 v[2:3], v[2:3], v[4:5]
	v_mul_f64 v[4:5], v[94:95], v[46:47]
	s_waitcnt vmcnt(36)
	v_fmac_f64_e32 v[128:129], v[118:119], v[72:73]
	v_fma_f64 v[4:5], v[92:93], v[48:49], -v[4:5]
	v_add_f64 v[130:131], v[126:127], v[128:129]
	ds_read_b128 v[126:129], v86 offset:1008
	s_waitcnt lgkmcnt(1)
	v_mul_f64 v[132:133], v[122:123], v[66:67]
	v_add_f64 v[2:3], v[2:3], v[4:5]
	v_mul_f64 v[4:5], v[98:99], v[42:43]
	v_fmac_f64_e32 v[132:133], v[124:125], v[68:69]
	v_fma_f64 v[4:5], v[96:97], v[44:45], -v[4:5]
	v_add_f64 v[134:135], v[130:131], v[132:133]
	ds_read_b128 v[130:133], v86 offset:1024
	v_add_f64 v[2:3], v[2:3], v[4:5]
	v_mul_f64 v[4:5], v[102:103], v[54:55]
	v_fma_f64 v[4:5], v[100:101], v[56:57], -v[4:5]
	v_add_f64 v[2:3], v[2:3], v[4:5]
	v_mul_f64 v[4:5], v[106:107], v[50:51]
	s_waitcnt vmcnt(30) lgkmcnt(1)
	v_mul_f64 v[136:137], v[126:127], v[78:79]
	v_fma_f64 v[4:5], v[104:105], v[52:53], -v[4:5]
	s_waitcnt vmcnt(28)
	v_fmac_f64_e32 v[136:137], v[128:129], v[80:81]
	v_add_f64 v[2:3], v[2:3], v[4:5]
	v_mul_f64 v[4:5], v[110:111], v[62:63]
	v_add_f64 v[138:139], v[134:135], v[136:137]
	ds_read_b128 v[134:137], v86 offset:1040
	s_waitcnt lgkmcnt(1)
	v_mul_f64 v[140:141], v[130:131], v[74:75]
	v_fma_f64 v[4:5], v[108:109], v[64:65], -v[4:5]
	v_fmac_f64_e32 v[140:141], v[132:133], v[76:77]
	v_add_f64 v[2:3], v[2:3], v[4:5]
	v_mul_f64 v[4:5], v[114:115], v[58:59]
	v_add_f64 v[142:143], v[138:139], v[140:141]
	ds_read_b128 v[138:141], v86 offset:1056
	v_fma_f64 v[4:5], v[112:113], v[60:61], -v[4:5]
	v_add_f64 v[2:3], v[2:3], v[4:5]
	v_mul_f64 v[4:5], v[118:119], v[70:71]
	v_fma_f64 v[4:5], v[116:117], v[72:73], -v[4:5]
	s_waitcnt vmcnt(22) lgkmcnt(1)
	v_mul_f64 v[144:145], v[134:135], v[162:163]
	v_add_f64 v[2:3], v[2:3], v[4:5]
	v_mul_f64 v[4:5], v[124:125], v[66:67]
	s_waitcnt vmcnt(20)
	v_fmac_f64_e32 v[144:145], v[136:137], v[164:165]
	v_fma_f64 v[4:5], v[122:123], v[68:69], -v[4:5]
	v_add_f64 v[146:147], v[142:143], v[144:145]
	ds_read_b128 v[142:145], v86 offset:1072
	s_waitcnt lgkmcnt(1)
	v_mul_f64 v[148:149], v[138:139], v[82:83]
	v_add_f64 v[2:3], v[2:3], v[4:5]
	v_mul_f64 v[4:5], v[128:129], v[78:79]
	v_fmac_f64_e32 v[148:149], v[140:141], v[84:85]
	v_fma_f64 v[4:5], v[126:127], v[80:81], -v[4:5]
	v_add_f64 v[150:151], v[146:147], v[148:149]
	ds_read_b128 v[146:149], v86 offset:1088
	v_add_f64 v[2:3], v[2:3], v[4:5]
	v_mul_f64 v[4:5], v[132:133], v[74:75]
	v_fma_f64 v[4:5], v[130:131], v[76:77], -v[4:5]
	v_add_f64 v[2:3], v[2:3], v[4:5]
	v_mul_f64 v[4:5], v[136:137], v[162:163]
	s_waitcnt vmcnt(14) lgkmcnt(1)
	v_mul_f64 v[152:153], v[142:143], v[170:171]
	v_fma_f64 v[4:5], v[134:135], v[164:165], -v[4:5]
	s_waitcnt vmcnt(12)
	v_fmac_f64_e32 v[152:153], v[144:145], v[172:173]
	v_add_f64 v[2:3], v[2:3], v[4:5]
	v_mul_f64 v[4:5], v[140:141], v[82:83]
	v_add_f64 v[154:155], v[150:151], v[152:153]
	ds_read_b128 v[150:153], v86 offset:1104
	s_waitcnt lgkmcnt(1)
	v_mul_f64 v[156:157], v[146:147], v[166:167]
	v_fma_f64 v[4:5], v[138:139], v[84:85], -v[4:5]
	v_fmac_f64_e32 v[156:157], v[148:149], v[168:169]
	v_add_f64 v[2:3], v[2:3], v[4:5]
	v_mul_f64 v[4:5], v[144:145], v[170:171]
	v_add_f64 v[190:191], v[154:155], v[156:157]
	ds_read_b128 v[154:157], v86 offset:1120
	ds_read_b128 v[158:161], v86 offset:1136
	v_fma_f64 v[4:5], v[142:143], v[172:173], -v[4:5]
	v_add_f64 v[2:3], v[2:3], v[4:5]
	v_mul_f64 v[4:5], v[148:149], v[166:167]
	v_fma_f64 v[4:5], v[146:147], v[168:169], -v[4:5]
	v_add_f64 v[2:3], v[2:3], v[4:5]
	s_waitcnt vmcnt(6) lgkmcnt(2)
	v_mul_f64 v[4:5], v[152:153], v[178:179]
	v_mul_f64 v[192:193], v[150:151], v[178:179]
	s_waitcnt vmcnt(4)
	v_fma_f64 v[4:5], v[150:151], v[180:181], -v[4:5]
	v_fmac_f64_e32 v[192:193], v[152:153], v[180:181]
	v_add_f64 v[2:3], v[2:3], v[4:5]
	s_waitcnt lgkmcnt(1)
	v_mul_f64 v[4:5], v[156:157], v[174:175]
	v_add_f64 v[86:87], v[190:191], v[192:193]
	v_mul_f64 v[190:191], v[154:155], v[174:175]
	v_fma_f64 v[4:5], v[154:155], v[176:177], -v[4:5]
	v_fmac_f64_e32 v[190:191], v[156:157], v[176:177]
	v_add_f64 v[2:3], v[2:3], v[4:5]
	s_waitcnt vmcnt(2) lgkmcnt(0)
	v_mul_f64 v[4:5], v[160:161], v[182:183]
	v_add_f64 v[86:87], v[86:87], v[190:191]
	v_mul_f64 v[190:191], v[158:159], v[182:183]
	s_waitcnt vmcnt(0)
	v_fma_f64 v[4:5], v[158:159], v[184:185], -v[4:5]
	v_fmac_f64_e32 v[190:191], v[160:161], v[184:185]
	v_add_f64 v[2:3], v[2:3], v[4:5]
	v_add_f64 v[86:87], v[86:87], v[190:191]
	v_add_f64 v[2:3], v[20:21], -v[2:3]
	v_cmp_lt_u32_e32 vcc, 12, v0
	v_add_f64 v[4:5], v[18:19], -v[86:87]
	buffer_store_dword v3, off, s[0:3], 0 offset:228
	buffer_store_dword v2, off, s[0:3], 0 offset:224
	;; [unrolled: 1-line block ×4, first 2 shown]
	s_and_saveexec_b64 s[4:5], vcc
	s_cbranch_execz .LBB35_205
; %bb.204:
	v_accvgpr_read_b32 v5, a90
	buffer_load_dword v2, v5, s[0:3], 0 offen
	buffer_load_dword v3, v5, s[0:3], 0 offen offset:4
	buffer_load_dword v4, v5, s[0:3], 0 offen offset:8
	s_nop 0
	buffer_load_dword v5, v5, s[0:3], 0 offen offset:12
	v_mov_b32_e32 v6, 0
	buffer_store_dword v6, off, s[0:3], 0 offset:208
	buffer_store_dword v6, off, s[0:3], 0 offset:212
	buffer_store_dword v6, off, s[0:3], 0 offset:216
	buffer_store_dword v6, off, s[0:3], 0 offset:220
	s_waitcnt vmcnt(4)
	ds_write_b128 v1, v[2:5]
.LBB35_205:
	s_or_b64 exec, exec, s[4:5]
	s_waitcnt lgkmcnt(0)
	; wave barrier
	s_waitcnt lgkmcnt(0)
	buffer_load_dword v9, off, s[0:3], 0 offset:236
	buffer_load_dword v6, off, s[0:3], 0 offset:248
	;; [unrolled: 1-line block ×64, first 2 shown]
	v_mov_b32_e32 v98, 0
	ds_read_b128 v[74:77], v98 offset:784
	ds_read_b128 v[78:81], v98 offset:800
	buffer_load_dword v67, off, s[0:3], 0 offset:492
	buffer_load_dword v66, off, s[0:3], 0 offset:488
	;; [unrolled: 1-line block ×8, first 2 shown]
	ds_read_b128 v[82:85], v98 offset:816
	ds_read_b128 v[86:89], v98 offset:832
	buffer_load_dword v171, off, s[0:3], 0 offset:524
	buffer_load_dword v170, off, s[0:3], 0 offset:520
	;; [unrolled: 1-line block ×24, first 2 shown]
	ds_read_b128 v[166:169], v98 offset:1136
	v_cmp_lt_u32_e32 vcc, 11, v0
	s_waitcnt vmcnt(62) lgkmcnt(1)
	v_mul_f64 v[96:97], v[86:87], v[22:23]
	v_fmac_f64_e32 v[96:97], v[88:89], v[24:25]
	v_mul_f64 v[92:93], v[78:79], v[6:7]
	v_mul_f64 v[90:91], v[74:75], v[8:9]
	;; [unrolled: 1-line block ×3, first 2 shown]
	v_fmac_f64_e32 v[90:91], v[76:77], v[10:11]
	v_add_f64 v[90:91], v[90:91], 0
	v_fma_f64 v[8:9], v[74:75], v[10:11], -v[8:9]
	v_mul_f64 v[6:7], v[80:81], v[6:7]
	v_add_f64 v[8:9], v[8:9], 0
	v_fmac_f64_e32 v[92:93], v[80:81], v[14:15]
	v_add_f64 v[90:91], v[90:91], v[92:93]
	v_mul_f64 v[92:93], v[82:83], v[16:17]
	v_fmac_f64_e32 v[92:93], v[84:85], v[12:13]
	v_add_f64 v[94:95], v[90:91], v[92:93]
	ds_read_b128 v[90:93], v98 offset:848
	v_add_f64 v[100:101], v[94:95], v[96:97]
	ds_read_b128 v[94:97], v98 offset:864
	v_fma_f64 v[6:7], v[78:79], v[14:15], -v[6:7]
	v_add_f64 v[6:7], v[8:9], v[6:7]
	s_waitcnt lgkmcnt(1)
	v_mul_f64 v[102:103], v[90:91], v[18:19]
	v_fmac_f64_e32 v[102:103], v[92:93], v[20:21]
	v_add_f64 v[104:105], v[100:101], v[102:103]
	ds_read_b128 v[100:103], v98 offset:880
	s_waitcnt lgkmcnt(1)
	v_mul_f64 v[106:107], v[94:95], v[30:31]
	v_fmac_f64_e32 v[106:107], v[96:97], v[32:33]
	v_add_f64 v[108:109], v[104:105], v[106:107]
	ds_read_b128 v[104:107], v98 offset:896
	;; [unrolled: 5-line block ×3, first 2 shown]
	s_waitcnt vmcnt(58) lgkmcnt(1)
	v_mul_f64 v[114:115], v[104:105], v[38:39]
	s_waitcnt vmcnt(56)
	v_fmac_f64_e32 v[114:115], v[106:107], v[40:41]
	v_add_f64 v[116:117], v[112:113], v[114:115]
	ds_read_b128 v[112:115], v98 offset:928
	s_waitcnt lgkmcnt(1)
	v_mul_f64 v[118:119], v[108:109], v[34:35]
	v_fmac_f64_e32 v[118:119], v[110:111], v[36:37]
	v_add_f64 v[122:123], v[116:117], v[118:119]
	ds_read_b128 v[116:119], v98 offset:944
	s_waitcnt vmcnt(50) lgkmcnt(1)
	v_mul_f64 v[124:125], v[112:113], v[46:47]
	s_waitcnt vmcnt(48)
	v_fmac_f64_e32 v[124:125], v[114:115], v[48:49]
	v_add_f64 v[126:127], v[122:123], v[124:125]
	ds_read_b128 v[122:125], v98 offset:960
	v_mul_f64 v[8:9], v[84:85], v[16:17]
	s_waitcnt lgkmcnt(1)
	v_mul_f64 v[128:129], v[116:117], v[42:43]
	v_fma_f64 v[8:9], v[82:83], v[12:13], -v[8:9]
	v_fmac_f64_e32 v[128:129], v[118:119], v[44:45]
	v_add_f64 v[6:7], v[6:7], v[8:9]
	v_mul_f64 v[8:9], v[88:89], v[22:23]
	v_add_f64 v[130:131], v[126:127], v[128:129]
	ds_read_b128 v[126:129], v98 offset:976
	s_waitcnt vmcnt(42) lgkmcnt(1)
	v_mul_f64 v[132:133], v[122:123], v[54:55]
	v_fma_f64 v[8:9], v[86:87], v[24:25], -v[8:9]
	s_waitcnt vmcnt(40)
	v_fmac_f64_e32 v[132:133], v[124:125], v[56:57]
	v_add_f64 v[6:7], v[6:7], v[8:9]
	v_mul_f64 v[8:9], v[92:93], v[18:19]
	v_add_f64 v[134:135], v[130:131], v[132:133]
	ds_read_b128 v[130:133], v98 offset:992
	v_fma_f64 v[8:9], v[90:91], v[20:21], -v[8:9]
	v_add_f64 v[6:7], v[6:7], v[8:9]
	v_mul_f64 v[8:9], v[96:97], v[30:31]
	v_fma_f64 v[8:9], v[94:95], v[32:33], -v[8:9]
	s_waitcnt lgkmcnt(1)
	v_mul_f64 v[136:137], v[126:127], v[50:51]
	v_add_f64 v[6:7], v[6:7], v[8:9]
	v_mul_f64 v[8:9], v[102:103], v[26:27]
	v_fmac_f64_e32 v[136:137], v[128:129], v[52:53]
	v_fma_f64 v[8:9], v[100:101], v[28:29], -v[8:9]
	v_add_f64 v[138:139], v[134:135], v[136:137]
	ds_read_b128 v[134:137], v98 offset:1008
	s_waitcnt vmcnt(34) lgkmcnt(1)
	v_mul_f64 v[140:141], v[130:131], v[62:63]
	v_add_f64 v[6:7], v[6:7], v[8:9]
	v_mul_f64 v[8:9], v[106:107], v[38:39]
	s_waitcnt vmcnt(32)
	v_fmac_f64_e32 v[140:141], v[132:133], v[64:65]
	v_fma_f64 v[8:9], v[104:105], v[40:41], -v[8:9]
	v_add_f64 v[142:143], v[138:139], v[140:141]
	ds_read_b128 v[138:141], v98 offset:1024
	v_add_f64 v[6:7], v[6:7], v[8:9]
	v_mul_f64 v[8:9], v[110:111], v[34:35]
	v_fma_f64 v[8:9], v[108:109], v[36:37], -v[8:9]
	v_add_f64 v[6:7], v[6:7], v[8:9]
	v_mul_f64 v[8:9], v[114:115], v[46:47]
	s_waitcnt lgkmcnt(1)
	v_mul_f64 v[144:145], v[134:135], v[58:59]
	v_fma_f64 v[8:9], v[112:113], v[48:49], -v[8:9]
	v_fmac_f64_e32 v[144:145], v[136:137], v[60:61]
	v_add_f64 v[6:7], v[6:7], v[8:9]
	v_mul_f64 v[8:9], v[118:119], v[42:43]
	v_add_f64 v[146:147], v[142:143], v[144:145]
	ds_read_b128 v[142:145], v98 offset:1040
	s_waitcnt vmcnt(26) lgkmcnt(1)
	v_mul_f64 v[148:149], v[138:139], v[70:71]
	v_fma_f64 v[8:9], v[116:117], v[44:45], -v[8:9]
	s_waitcnt vmcnt(24)
	v_fmac_f64_e32 v[148:149], v[140:141], v[72:73]
	v_add_f64 v[6:7], v[6:7], v[8:9]
	v_mul_f64 v[8:9], v[124:125], v[54:55]
	v_add_f64 v[150:151], v[146:147], v[148:149]
	ds_read_b128 v[146:149], v98 offset:1056
	v_fma_f64 v[8:9], v[122:123], v[56:57], -v[8:9]
	v_add_f64 v[6:7], v[6:7], v[8:9]
	v_mul_f64 v[8:9], v[128:129], v[50:51]
	v_fma_f64 v[8:9], v[126:127], v[52:53], -v[8:9]
	s_waitcnt lgkmcnt(1)
	v_mul_f64 v[152:153], v[142:143], v[66:67]
	v_add_f64 v[6:7], v[6:7], v[8:9]
	v_mul_f64 v[8:9], v[132:133], v[62:63]
	v_fmac_f64_e32 v[152:153], v[144:145], v[68:69]
	v_fma_f64 v[8:9], v[130:131], v[64:65], -v[8:9]
	v_add_f64 v[154:155], v[150:151], v[152:153]
	ds_read_b128 v[150:153], v98 offset:1072
	s_waitcnt vmcnt(18) lgkmcnt(1)
	v_mul_f64 v[156:157], v[146:147], v[174:175]
	v_add_f64 v[6:7], v[6:7], v[8:9]
	v_mul_f64 v[8:9], v[136:137], v[58:59]
	s_waitcnt vmcnt(16)
	v_fmac_f64_e32 v[156:157], v[148:149], v[176:177]
	v_fma_f64 v[8:9], v[134:135], v[60:61], -v[8:9]
	v_add_f64 v[158:159], v[154:155], v[156:157]
	ds_read_b128 v[154:157], v98 offset:1088
	v_add_f64 v[6:7], v[6:7], v[8:9]
	v_mul_f64 v[8:9], v[140:141], v[70:71]
	v_fma_f64 v[8:9], v[138:139], v[72:73], -v[8:9]
	v_add_f64 v[6:7], v[6:7], v[8:9]
	v_mul_f64 v[8:9], v[144:145], v[66:67]
	s_waitcnt lgkmcnt(1)
	v_mul_f64 v[160:161], v[150:151], v[170:171]
	v_fma_f64 v[8:9], v[142:143], v[68:69], -v[8:9]
	v_fmac_f64_e32 v[160:161], v[152:153], v[172:173]
	v_add_f64 v[6:7], v[6:7], v[8:9]
	v_mul_f64 v[8:9], v[148:149], v[174:175]
	v_add_f64 v[162:163], v[158:159], v[160:161]
	ds_read_b128 v[158:161], v98 offset:1104
	s_waitcnt vmcnt(10) lgkmcnt(1)
	v_mul_f64 v[164:165], v[154:155], v[182:183]
	v_fma_f64 v[8:9], v[146:147], v[176:177], -v[8:9]
	s_waitcnt vmcnt(8)
	v_fmac_f64_e32 v[164:165], v[156:157], v[184:185]
	v_add_f64 v[6:7], v[6:7], v[8:9]
	v_mul_f64 v[8:9], v[152:153], v[170:171]
	v_add_f64 v[198:199], v[162:163], v[164:165]
	ds_read_b128 v[162:165], v98 offset:1120
	v_fma_f64 v[8:9], v[150:151], v[172:173], -v[8:9]
	v_add_f64 v[6:7], v[6:7], v[8:9]
	v_mul_f64 v[8:9], v[156:157], v[182:183]
	v_fma_f64 v[8:9], v[154:155], v[184:185], -v[8:9]
	v_add_f64 v[6:7], v[6:7], v[8:9]
	s_waitcnt lgkmcnt(1)
	v_mul_f64 v[8:9], v[160:161], v[178:179]
	v_mul_f64 v[200:201], v[158:159], v[178:179]
	v_fma_f64 v[8:9], v[158:159], v[180:181], -v[8:9]
	v_fmac_f64_e32 v[200:201], v[160:161], v[180:181]
	v_add_f64 v[6:7], v[6:7], v[8:9]
	s_waitcnt vmcnt(2) lgkmcnt(0)
	v_mul_f64 v[8:9], v[164:165], v[194:195]
	v_add_f64 v[198:199], v[198:199], v[200:201]
	v_mul_f64 v[200:201], v[162:163], v[194:195]
	s_waitcnt vmcnt(0)
	v_fma_f64 v[8:9], v[162:163], v[196:197], -v[8:9]
	v_fmac_f64_e32 v[200:201], v[164:165], v[196:197]
	v_add_f64 v[6:7], v[6:7], v[8:9]
	v_mul_f64 v[8:9], v[168:169], v[190:191]
	v_add_f64 v[198:199], v[198:199], v[200:201]
	v_mul_f64 v[200:201], v[166:167], v[190:191]
	v_fma_f64 v[8:9], v[166:167], v[192:193], -v[8:9]
	v_fmac_f64_e32 v[200:201], v[168:169], v[192:193]
	v_add_f64 v[6:7], v[6:7], v[8:9]
	v_add_f64 v[198:199], v[198:199], v[200:201]
	v_add_f64 v[4:5], v[4:5], -v[6:7]
	v_add_f64 v[2:3], v[2:3], -v[198:199]
	buffer_store_dword v5, off, s[0:3], 0 offset:212
	buffer_store_dword v4, off, s[0:3], 0 offset:208
	;; [unrolled: 1-line block ×4, first 2 shown]
	s_and_saveexec_b64 s[4:5], vcc
	s_cbranch_execz .LBB35_207
; %bb.206:
	v_accvgpr_read_b32 v5, a91
	buffer_load_dword v2, v5, s[0:3], 0 offen
	buffer_load_dword v3, v5, s[0:3], 0 offen offset:4
	buffer_load_dword v4, v5, s[0:3], 0 offen offset:8
	s_nop 0
	buffer_load_dword v5, v5, s[0:3], 0 offen offset:12
	s_nop 0
	buffer_store_dword v98, off, s[0:3], 0 offset:192
	buffer_store_dword v98, off, s[0:3], 0 offset:196
	;; [unrolled: 1-line block ×4, first 2 shown]
	s_waitcnt vmcnt(4)
	ds_write_b128 v1, v[2:5]
.LBB35_207:
	s_or_b64 exec, exec, s[4:5]
	s_waitcnt lgkmcnt(0)
	; wave barrier
	s_waitcnt lgkmcnt(0)
	buffer_load_dword v22, off, s[0:3], 0 offset:208
	buffer_load_dword v23, off, s[0:3], 0 offset:212
	;; [unrolled: 1-line block ×16, first 2 shown]
	ds_read_b128 v[2:5], v98 offset:768
	ds_read_b128 v[6:9], v98 offset:784
	;; [unrolled: 1-line block ×4, first 2 shown]
	buffer_load_dword v35, off, s[0:3], 0 offset:284
	buffer_load_dword v34, off, s[0:3], 0 offset:280
	;; [unrolled: 1-line block ×48, first 2 shown]
	v_cmp_lt_u32_e32 vcc, 10, v0
	s_waitcnt vmcnt(42) lgkmcnt(0)
	v_mul_f64 v[106:107], v[14:15], v[38:39]
	s_waitcnt vmcnt(40)
	v_fmac_f64_e32 v[106:107], v[16:17], v[40:41]
	v_mul_f64 v[82:83], v[2:3], v[24:25]
	v_fmac_f64_e32 v[82:83], v[4:5], v[22:23]
	v_add_f64 v[82:83], v[82:83], 0
	v_mul_f64 v[4:5], v[4:5], v[24:25]
	v_mul_f64 v[84:85], v[6:7], v[32:33]
	v_fma_f64 v[2:3], v[2:3], v[22:23], -v[4:5]
	v_mul_f64 v[100:101], v[10:11], v[26:27]
	v_fmac_f64_e32 v[100:101], v[12:13], v[30:31]
	v_fmac_f64_e32 v[84:85], v[8:9], v[28:29]
	v_add_f64 v[102:103], v[82:83], v[84:85]
	buffer_load_dword v83, off, s[0:3], 0 offset:476
	buffer_load_dword v82, off, s[0:3], 0 offset:472
	;; [unrolled: 1-line block ×32, first 2 shown]
	v_add_f64 v[104:105], v[102:103], v[100:101]
	ds_read_b128 v[100:103], v98 offset:832
	buffer_load_dword v203, off, s[0:3], 0 offset:588
	buffer_load_dword v202, off, s[0:3], 0 offset:584
	;; [unrolled: 1-line block ×4, first 2 shown]
	v_add_f64 v[108:109], v[104:105], v[106:107]
	ds_read_b128 v[104:107], v98 offset:848
	v_mul_f64 v[4:5], v[8:9], v[32:33]
	s_waitcnt lgkmcnt(1)
	v_mul_f64 v[110:111], v[100:101], v[34:35]
	v_fmac_f64_e32 v[110:111], v[102:103], v[36:37]
	v_add_f64 v[112:113], v[108:109], v[110:111]
	ds_read_b128 v[108:111], v98 offset:864
	s_waitcnt vmcnt(62) lgkmcnt(1)
	v_mul_f64 v[114:115], v[104:105], v[46:47]
	v_fmac_f64_e32 v[114:115], v[106:107], v[48:49]
	v_add_f64 v[116:117], v[112:113], v[114:115]
	ds_read_b128 v[112:115], v98 offset:880
	s_waitcnt lgkmcnt(1)
	v_mul_f64 v[118:119], v[108:109], v[42:43]
	v_fmac_f64_e32 v[118:119], v[110:111], v[44:45]
	v_add_f64 v[122:123], v[116:117], v[118:119]
	ds_read_b128 v[116:119], v98 offset:896
	s_waitcnt lgkmcnt(1)
	v_mul_f64 v[124:125], v[112:113], v[54:55]
	s_waitcnt vmcnt(60)
	v_fmac_f64_e32 v[124:125], v[114:115], v[56:57]
	v_add_f64 v[126:127], v[122:123], v[124:125]
	ds_read_b128 v[122:125], v98 offset:912
	s_waitcnt lgkmcnt(1)
	v_mul_f64 v[128:129], v[116:117], v[50:51]
	v_fmac_f64_e32 v[128:129], v[118:119], v[52:53]
	v_add_f64 v[130:131], v[126:127], v[128:129]
	ds_read_b128 v[126:129], v98 offset:928
	s_waitcnt vmcnt(54) lgkmcnt(1)
	v_mul_f64 v[132:133], v[122:123], v[62:63]
	s_waitcnt vmcnt(52)
	v_fmac_f64_e32 v[132:133], v[124:125], v[64:65]
	v_add_f64 v[134:135], v[130:131], v[132:133]
	ds_read_b128 v[130:133], v98 offset:944
	s_waitcnt lgkmcnt(1)
	v_mul_f64 v[136:137], v[126:127], v[58:59]
	v_fmac_f64_e32 v[136:137], v[128:129], v[60:61]
	v_add_f64 v[2:3], v[2:3], 0
	v_fma_f64 v[4:5], v[6:7], v[28:29], -v[4:5]
	v_add_f64 v[138:139], v[134:135], v[136:137]
	ds_read_b128 v[134:137], v98 offset:960
	v_add_f64 v[2:3], v[2:3], v[4:5]
	v_mul_f64 v[4:5], v[12:13], v[26:27]
	v_fma_f64 v[4:5], v[10:11], v[30:31], -v[4:5]
	v_add_f64 v[2:3], v[2:3], v[4:5]
	v_mul_f64 v[4:5], v[16:17], v[38:39]
	s_waitcnt vmcnt(46) lgkmcnt(1)
	v_mul_f64 v[140:141], v[130:131], v[70:71]
	v_fma_f64 v[4:5], v[14:15], v[40:41], -v[4:5]
	s_waitcnt vmcnt(44)
	v_fmac_f64_e32 v[140:141], v[132:133], v[72:73]
	v_add_f64 v[2:3], v[2:3], v[4:5]
	v_mul_f64 v[4:5], v[102:103], v[34:35]
	v_add_f64 v[142:143], v[138:139], v[140:141]
	ds_read_b128 v[138:141], v98 offset:976
	s_waitcnt lgkmcnt(1)
	v_mul_f64 v[144:145], v[134:135], v[66:67]
	v_fma_f64 v[4:5], v[100:101], v[36:37], -v[4:5]
	v_fmac_f64_e32 v[144:145], v[136:137], v[68:69]
	v_add_f64 v[2:3], v[2:3], v[4:5]
	v_mul_f64 v[4:5], v[106:107], v[46:47]
	v_add_f64 v[146:147], v[142:143], v[144:145]
	ds_read_b128 v[142:145], v98 offset:992
	v_fma_f64 v[4:5], v[104:105], v[48:49], -v[4:5]
	v_add_f64 v[2:3], v[2:3], v[4:5]
	v_mul_f64 v[4:5], v[110:111], v[42:43]
	v_fma_f64 v[4:5], v[108:109], v[44:45], -v[4:5]
	s_waitcnt vmcnt(38) lgkmcnt(1)
	v_mul_f64 v[148:149], v[138:139], v[78:79]
	v_add_f64 v[2:3], v[2:3], v[4:5]
	v_mul_f64 v[4:5], v[114:115], v[54:55]
	s_waitcnt vmcnt(36)
	v_fmac_f64_e32 v[148:149], v[140:141], v[80:81]
	v_fma_f64 v[4:5], v[112:113], v[56:57], -v[4:5]
	v_add_f64 v[150:151], v[146:147], v[148:149]
	ds_read_b128 v[146:149], v98 offset:1008
	s_waitcnt lgkmcnt(1)
	v_mul_f64 v[152:153], v[142:143], v[74:75]
	v_add_f64 v[2:3], v[2:3], v[4:5]
	v_mul_f64 v[4:5], v[118:119], v[50:51]
	v_fmac_f64_e32 v[152:153], v[144:145], v[76:77]
	v_fma_f64 v[4:5], v[116:117], v[52:53], -v[4:5]
	v_add_f64 v[154:155], v[150:151], v[152:153]
	ds_read_b128 v[150:153], v98 offset:1024
	v_add_f64 v[2:3], v[2:3], v[4:5]
	v_mul_f64 v[4:5], v[124:125], v[62:63]
	v_fma_f64 v[4:5], v[122:123], v[64:65], -v[4:5]
	v_add_f64 v[2:3], v[2:3], v[4:5]
	v_mul_f64 v[4:5], v[128:129], v[58:59]
	s_waitcnt vmcnt(30) lgkmcnt(1)
	v_mul_f64 v[156:157], v[146:147], v[86:87]
	v_fma_f64 v[4:5], v[126:127], v[60:61], -v[4:5]
	s_waitcnt vmcnt(28)
	v_fmac_f64_e32 v[156:157], v[148:149], v[88:89]
	v_add_f64 v[2:3], v[2:3], v[4:5]
	v_mul_f64 v[4:5], v[132:133], v[70:71]
	v_add_f64 v[158:159], v[154:155], v[156:157]
	ds_read_b128 v[154:157], v98 offset:1040
	s_waitcnt lgkmcnt(1)
	v_mul_f64 v[160:161], v[150:151], v[82:83]
	v_fma_f64 v[4:5], v[130:131], v[72:73], -v[4:5]
	v_fmac_f64_e32 v[160:161], v[152:153], v[84:85]
	v_add_f64 v[2:3], v[2:3], v[4:5]
	v_mul_f64 v[4:5], v[136:137], v[66:67]
	v_add_f64 v[162:163], v[158:159], v[160:161]
	ds_read_b128 v[158:161], v98 offset:1056
	v_fma_f64 v[4:5], v[134:135], v[68:69], -v[4:5]
	v_add_f64 v[2:3], v[2:3], v[4:5]
	v_mul_f64 v[4:5], v[140:141], v[78:79]
	v_fma_f64 v[4:5], v[138:139], v[80:81], -v[4:5]
	s_waitcnt vmcnt(22) lgkmcnt(1)
	v_mul_f64 v[164:165], v[154:155], v[94:95]
	v_add_f64 v[2:3], v[2:3], v[4:5]
	v_mul_f64 v[4:5], v[144:145], v[74:75]
	s_waitcnt vmcnt(20)
	v_fmac_f64_e32 v[164:165], v[156:157], v[96:97]
	v_fma_f64 v[4:5], v[142:143], v[76:77], -v[4:5]
	v_add_f64 v[166:167], v[162:163], v[164:165]
	ds_read_b128 v[162:165], v98 offset:1072
	s_waitcnt lgkmcnt(1)
	v_mul_f64 v[168:169], v[158:159], v[90:91]
	v_add_f64 v[2:3], v[2:3], v[4:5]
	v_mul_f64 v[4:5], v[148:149], v[86:87]
	v_fmac_f64_e32 v[168:169], v[160:161], v[92:93]
	v_fma_f64 v[4:5], v[146:147], v[88:89], -v[4:5]
	v_add_f64 v[170:171], v[166:167], v[168:169]
	ds_read_b128 v[166:169], v98 offset:1088
	v_add_f64 v[2:3], v[2:3], v[4:5]
	v_mul_f64 v[4:5], v[152:153], v[82:83]
	v_fma_f64 v[4:5], v[150:151], v[84:85], -v[4:5]
	v_add_f64 v[2:3], v[2:3], v[4:5]
	v_mul_f64 v[4:5], v[156:157], v[94:95]
	s_waitcnt vmcnt(14) lgkmcnt(1)
	v_mul_f64 v[172:173], v[162:163], v[190:191]
	v_fma_f64 v[4:5], v[154:155], v[96:97], -v[4:5]
	s_waitcnt vmcnt(12)
	v_fmac_f64_e32 v[172:173], v[164:165], v[192:193]
	v_add_f64 v[2:3], v[2:3], v[4:5]
	v_mul_f64 v[4:5], v[160:161], v[90:91]
	v_add_f64 v[174:175], v[170:171], v[172:173]
	ds_read_b128 v[170:173], v98 offset:1104
	s_waitcnt lgkmcnt(1)
	v_mul_f64 v[176:177], v[166:167], v[182:183]
	v_fma_f64 v[4:5], v[158:159], v[92:93], -v[4:5]
	v_fmac_f64_e32 v[176:177], v[168:169], v[184:185]
	v_add_f64 v[2:3], v[2:3], v[4:5]
	v_mul_f64 v[4:5], v[164:165], v[190:191]
	v_add_f64 v[206:207], v[174:175], v[176:177]
	ds_read_b128 v[174:177], v98 offset:1120
	v_fma_f64 v[4:5], v[162:163], v[192:193], -v[4:5]
	v_add_f64 v[2:3], v[2:3], v[4:5]
	v_mul_f64 v[4:5], v[168:169], v[182:183]
	ds_read_b128 v[178:181], v98 offset:1136
	v_fma_f64 v[4:5], v[166:167], v[184:185], -v[4:5]
	v_add_f64 v[2:3], v[2:3], v[4:5]
	s_waitcnt vmcnt(6) lgkmcnt(2)
	v_mul_f64 v[4:5], v[172:173], v[198:199]
	v_mul_f64 v[208:209], v[170:171], v[198:199]
	s_waitcnt vmcnt(4)
	v_fma_f64 v[4:5], v[170:171], v[200:201], -v[4:5]
	v_fmac_f64_e32 v[208:209], v[172:173], v[200:201]
	v_add_f64 v[2:3], v[2:3], v[4:5]
	s_waitcnt lgkmcnt(1)
	v_mul_f64 v[4:5], v[176:177], v[194:195]
	v_add_f64 v[98:99], v[206:207], v[208:209]
	v_mul_f64 v[206:207], v[174:175], v[194:195]
	v_fma_f64 v[4:5], v[174:175], v[196:197], -v[4:5]
	v_fmac_f64_e32 v[206:207], v[176:177], v[196:197]
	v_add_f64 v[2:3], v[2:3], v[4:5]
	s_waitcnt vmcnt(2) lgkmcnt(0)
	v_mul_f64 v[4:5], v[180:181], v[202:203]
	v_add_f64 v[98:99], v[98:99], v[206:207]
	v_mul_f64 v[206:207], v[178:179], v[202:203]
	s_waitcnt vmcnt(0)
	v_fma_f64 v[4:5], v[178:179], v[204:205], -v[4:5]
	v_fmac_f64_e32 v[206:207], v[180:181], v[204:205]
	v_add_f64 v[2:3], v[2:3], v[4:5]
	v_add_f64 v[98:99], v[98:99], v[206:207]
	v_add_f64 v[2:3], v[20:21], -v[2:3]
	v_add_f64 v[4:5], v[18:19], -v[98:99]
	buffer_store_dword v3, off, s[0:3], 0 offset:196
	buffer_store_dword v2, off, s[0:3], 0 offset:192
	;; [unrolled: 1-line block ×4, first 2 shown]
	s_and_saveexec_b64 s[4:5], vcc
	s_cbranch_execz .LBB35_209
; %bb.208:
	v_accvgpr_read_b32 v5, a92
	buffer_load_dword v2, v5, s[0:3], 0 offen
	buffer_load_dword v3, v5, s[0:3], 0 offen offset:4
	buffer_load_dword v4, v5, s[0:3], 0 offen offset:8
	s_nop 0
	buffer_load_dword v5, v5, s[0:3], 0 offen offset:12
	v_mov_b32_e32 v6, 0
	buffer_store_dword v6, off, s[0:3], 0 offset:176
	buffer_store_dword v6, off, s[0:3], 0 offset:180
	;; [unrolled: 1-line block ×4, first 2 shown]
	s_waitcnt vmcnt(4)
	ds_write_b128 v1, v[2:5]
.LBB35_209:
	s_or_b64 exec, exec, s[4:5]
	s_waitcnt lgkmcnt(0)
	; wave barrier
	s_waitcnt lgkmcnt(0)
	buffer_load_dword v22, off, s[0:3], 0 offset:192
	buffer_load_dword v23, off, s[0:3], 0 offset:196
	;; [unrolled: 1-line block ×64, first 2 shown]
	v_mov_b32_e32 v114, 0
	ds_read_b128 v[18:21], v114 offset:752
	ds_read_b128 v[14:17], v114 offset:768
	;; [unrolled: 1-line block ×5, first 2 shown]
	v_cmp_lt_u32_e32 vcc, 9, v0
	s_waitcnt vmcnt(60) lgkmcnt(4)
	v_mul_f64 v[86:87], v[18:19], v[26:27]
	v_fmac_f64_e32 v[86:87], v[20:21], v[22:23]
	v_add_f64 v[86:87], v[86:87], 0
	v_mul_f64 v[20:21], v[20:21], v[26:27]
	s_waitcnt vmcnt(56) lgkmcnt(3)
	v_mul_f64 v[88:89], v[14:15], v[28:29]
	v_fmac_f64_e32 v[88:89], v[16:17], v[24:25]
	s_waitcnt vmcnt(54) lgkmcnt(2)
	v_mul_f64 v[90:91], v[10:11], v[30:31]
	v_add_f64 v[86:87], v[86:87], v[88:89]
	v_fma_f64 v[18:19], v[18:19], v[22:23], -v[20:21]
	v_mul_f64 v[16:17], v[16:17], v[28:29]
	s_waitcnt vmcnt(50) lgkmcnt(1)
	v_mul_f64 v[102:103], v[6:7], v[40:41]
	v_add_f64 v[18:19], v[18:19], 0
	s_waitcnt vmcnt(48)
	v_fmac_f64_e32 v[90:91], v[12:13], v[44:45]
	v_add_f64 v[104:105], v[86:87], v[90:91]
	buffer_load_dword v87, off, s[0:3], 0 offset:460
	buffer_load_dword v86, off, s[0:3], 0 offset:456
	;; [unrolled: 1-line block ×40, first 2 shown]
	s_waitcnt vmcnt(62)
	v_fmac_f64_e32 v[102:103], v[8:9], v[42:43]
	v_add_f64 v[106:107], v[104:105], v[102:103]
	ds_read_b128 v[102:105], v114 offset:832
	s_waitcnt lgkmcnt(1)
	v_mul_f64 v[108:109], v[2:3], v[36:37]
	v_fmac_f64_e32 v[108:109], v[4:5], v[38:39]
	v_add_f64 v[110:111], v[106:107], v[108:109]
	ds_read_b128 v[106:109], v114 offset:848
	s_waitcnt lgkmcnt(1)
	v_mul_f64 v[112:113], v[102:103], v[50:51]
	;; [unrolled: 5-line block ×5, first 2 shown]
	v_fmac_f64_e32 v[128:129], v[118:119], v[56:57]
	v_add_f64 v[130:131], v[126:127], v[128:129]
	ds_read_b128 v[126:129], v114 offset:912
	s_waitcnt vmcnt(58) lgkmcnt(1)
	v_mul_f64 v[132:133], v[122:123], v[66:67]
	s_waitcnt vmcnt(56)
	v_fmac_f64_e32 v[132:133], v[124:125], v[68:69]
	v_add_f64 v[134:135], v[130:131], v[132:133]
	ds_read_b128 v[130:133], v114 offset:928
	s_waitcnt lgkmcnt(1)
	v_mul_f64 v[136:137], v[126:127], v[62:63]
	v_fmac_f64_e32 v[136:137], v[128:129], v[64:65]
	v_add_f64 v[138:139], v[134:135], v[136:137]
	ds_read_b128 v[134:137], v114 offset:944
	s_waitcnt vmcnt(50) lgkmcnt(1)
	v_mul_f64 v[140:141], v[130:131], v[74:75]
	s_waitcnt vmcnt(48)
	v_fmac_f64_e32 v[140:141], v[132:133], v[76:77]
	v_add_f64 v[142:143], v[138:139], v[140:141]
	ds_read_b128 v[138:141], v114 offset:960
	v_fma_f64 v[14:15], v[14:15], v[24:25], -v[16:17]
	v_mul_f64 v[12:13], v[12:13], v[30:31]
	v_add_f64 v[14:15], v[18:19], v[14:15]
	v_fma_f64 v[10:11], v[10:11], v[44:45], -v[12:13]
	v_mul_f64 v[8:9], v[8:9], v[40:41]
	s_waitcnt lgkmcnt(1)
	v_mul_f64 v[144:145], v[134:135], v[70:71]
	v_add_f64 v[10:11], v[14:15], v[10:11]
	v_fma_f64 v[6:7], v[6:7], v[42:43], -v[8:9]
	v_mul_f64 v[4:5], v[4:5], v[36:37]
	v_fmac_f64_e32 v[144:145], v[136:137], v[72:73]
	v_add_f64 v[6:7], v[10:11], v[6:7]
	v_fma_f64 v[2:3], v[2:3], v[38:39], -v[4:5]
	v_mul_f64 v[4:5], v[104:105], v[50:51]
	v_add_f64 v[146:147], v[142:143], v[144:145]
	ds_read_b128 v[142:145], v114 offset:976
	s_waitcnt vmcnt(42) lgkmcnt(1)
	v_mul_f64 v[148:149], v[138:139], v[82:83]
	v_add_f64 v[2:3], v[6:7], v[2:3]
	v_fma_f64 v[4:5], v[102:103], v[52:53], -v[4:5]
	s_waitcnt vmcnt(40)
	v_fmac_f64_e32 v[148:149], v[140:141], v[84:85]
	v_add_f64 v[2:3], v[2:3], v[4:5]
	v_mul_f64 v[4:5], v[108:109], v[46:47]
	v_add_f64 v[150:151], v[146:147], v[148:149]
	ds_read_b128 v[146:149], v114 offset:992
	v_fma_f64 v[4:5], v[106:107], v[48:49], -v[4:5]
	v_add_f64 v[2:3], v[2:3], v[4:5]
	v_mul_f64 v[4:5], v[112:113], v[58:59]
	v_fma_f64 v[4:5], v[110:111], v[60:61], -v[4:5]
	s_waitcnt lgkmcnt(1)
	v_mul_f64 v[152:153], v[142:143], v[78:79]
	v_add_f64 v[2:3], v[2:3], v[4:5]
	v_mul_f64 v[4:5], v[118:119], v[54:55]
	v_fmac_f64_e32 v[152:153], v[144:145], v[80:81]
	v_fma_f64 v[4:5], v[116:117], v[56:57], -v[4:5]
	v_add_f64 v[154:155], v[150:151], v[152:153]
	ds_read_b128 v[150:153], v114 offset:1008
	s_waitcnt vmcnt(34) lgkmcnt(1)
	v_mul_f64 v[156:157], v[146:147], v[90:91]
	v_add_f64 v[2:3], v[2:3], v[4:5]
	v_mul_f64 v[4:5], v[124:125], v[66:67]
	s_waitcnt vmcnt(32)
	v_fmac_f64_e32 v[156:157], v[148:149], v[92:93]
	v_fma_f64 v[4:5], v[122:123], v[68:69], -v[4:5]
	v_add_f64 v[158:159], v[154:155], v[156:157]
	ds_read_b128 v[154:157], v114 offset:1024
	v_add_f64 v[2:3], v[2:3], v[4:5]
	v_mul_f64 v[4:5], v[128:129], v[62:63]
	v_fma_f64 v[4:5], v[126:127], v[64:65], -v[4:5]
	v_add_f64 v[2:3], v[2:3], v[4:5]
	v_mul_f64 v[4:5], v[132:133], v[74:75]
	s_waitcnt lgkmcnt(1)
	v_mul_f64 v[160:161], v[150:151], v[86:87]
	v_fma_f64 v[4:5], v[130:131], v[76:77], -v[4:5]
	v_fmac_f64_e32 v[160:161], v[152:153], v[88:89]
	v_add_f64 v[2:3], v[2:3], v[4:5]
	v_mul_f64 v[4:5], v[136:137], v[70:71]
	v_add_f64 v[162:163], v[158:159], v[160:161]
	ds_read_b128 v[158:161], v114 offset:1040
	s_waitcnt vmcnt(26) lgkmcnt(1)
	v_mul_f64 v[164:165], v[154:155], v[98:99]
	v_fma_f64 v[4:5], v[134:135], v[72:73], -v[4:5]
	s_waitcnt vmcnt(24)
	v_fmac_f64_e32 v[164:165], v[156:157], v[100:101]
	v_add_f64 v[2:3], v[2:3], v[4:5]
	v_mul_f64 v[4:5], v[140:141], v[82:83]
	v_add_f64 v[166:167], v[162:163], v[164:165]
	ds_read_b128 v[162:165], v114 offset:1056
	v_fma_f64 v[4:5], v[138:139], v[84:85], -v[4:5]
	v_add_f64 v[2:3], v[2:3], v[4:5]
	v_mul_f64 v[4:5], v[144:145], v[78:79]
	v_fma_f64 v[4:5], v[142:143], v[80:81], -v[4:5]
	s_waitcnt lgkmcnt(1)
	v_mul_f64 v[168:169], v[158:159], v[94:95]
	v_add_f64 v[2:3], v[2:3], v[4:5]
	v_mul_f64 v[4:5], v[148:149], v[90:91]
	v_fmac_f64_e32 v[168:169], v[160:161], v[96:97]
	v_fma_f64 v[4:5], v[146:147], v[92:93], -v[4:5]
	v_add_f64 v[170:171], v[166:167], v[168:169]
	ds_read_b128 v[166:169], v114 offset:1072
	s_waitcnt vmcnt(18) lgkmcnt(1)
	v_mul_f64 v[172:173], v[162:163], v[194:195]
	v_add_f64 v[2:3], v[2:3], v[4:5]
	v_mul_f64 v[4:5], v[152:153], v[86:87]
	s_waitcnt vmcnt(16)
	v_fmac_f64_e32 v[172:173], v[164:165], v[196:197]
	v_fma_f64 v[4:5], v[150:151], v[88:89], -v[4:5]
	v_add_f64 v[174:175], v[170:171], v[172:173]
	ds_read_b128 v[170:173], v114 offset:1088
	v_add_f64 v[2:3], v[2:3], v[4:5]
	v_mul_f64 v[4:5], v[156:157], v[98:99]
	v_fma_f64 v[4:5], v[154:155], v[100:101], -v[4:5]
	v_add_f64 v[2:3], v[2:3], v[4:5]
	v_mul_f64 v[4:5], v[160:161], v[94:95]
	s_waitcnt lgkmcnt(1)
	v_mul_f64 v[176:177], v[166:167], v[182:183]
	v_fma_f64 v[4:5], v[158:159], v[96:97], -v[4:5]
	v_fmac_f64_e32 v[176:177], v[168:169], v[184:185]
	v_add_f64 v[2:3], v[2:3], v[4:5]
	v_mul_f64 v[4:5], v[164:165], v[194:195]
	v_add_f64 v[178:179], v[174:175], v[176:177]
	ds_read_b128 v[174:177], v114 offset:1104
	s_waitcnt vmcnt(10) lgkmcnt(1)
	v_mul_f64 v[180:181], v[170:171], v[202:203]
	v_fma_f64 v[4:5], v[162:163], v[196:197], -v[4:5]
	s_waitcnt vmcnt(8)
	v_fmac_f64_e32 v[180:181], v[172:173], v[204:205]
	v_add_f64 v[2:3], v[2:3], v[4:5]
	v_mul_f64 v[4:5], v[168:169], v[182:183]
	v_add_f64 v[214:215], v[178:179], v[180:181]
	ds_read_b128 v[178:181], v114 offset:1120
	ds_read_b128 v[190:193], v114 offset:1136
	v_fma_f64 v[4:5], v[166:167], v[184:185], -v[4:5]
	v_add_f64 v[2:3], v[2:3], v[4:5]
	v_mul_f64 v[4:5], v[172:173], v[202:203]
	v_fma_f64 v[4:5], v[170:171], v[204:205], -v[4:5]
	v_add_f64 v[2:3], v[2:3], v[4:5]
	s_waitcnt lgkmcnt(2)
	v_mul_f64 v[4:5], v[176:177], v[198:199]
	v_mul_f64 v[216:217], v[174:175], v[198:199]
	v_fma_f64 v[4:5], v[174:175], v[200:201], -v[4:5]
	v_fmac_f64_e32 v[216:217], v[176:177], v[200:201]
	v_add_f64 v[2:3], v[2:3], v[4:5]
	s_waitcnt vmcnt(2) lgkmcnt(1)
	v_mul_f64 v[4:5], v[180:181], v[210:211]
	v_add_f64 v[214:215], v[214:215], v[216:217]
	v_mul_f64 v[216:217], v[178:179], v[210:211]
	s_waitcnt vmcnt(0)
	v_fma_f64 v[4:5], v[178:179], v[212:213], -v[4:5]
	v_fmac_f64_e32 v[216:217], v[180:181], v[212:213]
	v_add_f64 v[2:3], v[2:3], v[4:5]
	s_waitcnt lgkmcnt(0)
	v_mul_f64 v[4:5], v[192:193], v[206:207]
	v_add_f64 v[214:215], v[214:215], v[216:217]
	v_mul_f64 v[216:217], v[190:191], v[206:207]
	v_fma_f64 v[4:5], v[190:191], v[208:209], -v[4:5]
	v_fmac_f64_e32 v[216:217], v[192:193], v[208:209]
	v_add_f64 v[2:3], v[2:3], v[4:5]
	v_add_f64 v[214:215], v[214:215], v[216:217]
	v_add_f64 v[2:3], v[34:35], -v[2:3]
	v_add_f64 v[4:5], v[32:33], -v[214:215]
	buffer_store_dword v3, off, s[0:3], 0 offset:180
	buffer_store_dword v2, off, s[0:3], 0 offset:176
	;; [unrolled: 1-line block ×4, first 2 shown]
	s_and_saveexec_b64 s[4:5], vcc
	s_cbranch_execz .LBB35_211
; %bb.210:
	v_accvgpr_read_b32 v5, a93
	buffer_load_dword v2, v5, s[0:3], 0 offen
	buffer_load_dword v3, v5, s[0:3], 0 offen offset:4
	buffer_load_dword v4, v5, s[0:3], 0 offen offset:8
	s_nop 0
	buffer_load_dword v5, v5, s[0:3], 0 offen offset:12
	s_nop 0
	buffer_store_dword v114, off, s[0:3], 0 offset:160
	buffer_store_dword v114, off, s[0:3], 0 offset:164
	;; [unrolled: 1-line block ×4, first 2 shown]
	s_waitcnt vmcnt(4)
	ds_write_b128 v1, v[2:5]
.LBB35_211:
	s_or_b64 exec, exec, s[4:5]
	s_waitcnt lgkmcnt(0)
	; wave barrier
	s_waitcnt lgkmcnt(0)
	buffer_load_dword v26, off, s[0:3], 0 offset:176
	buffer_load_dword v27, off, s[0:3], 0 offset:180
	;; [unrolled: 1-line block ×24, first 2 shown]
	ds_read_b128 v[22:25], v114 offset:736
	ds_read_b128 v[18:21], v114 offset:752
	ds_read_b128 v[10:13], v114 offset:768
	ds_read_b128 v[6:9], v114 offset:784
	ds_read_b128 v[2:5], v114 offset:800
	ds_read_b128 v[14:17], v114 offset:816
	buffer_load_dword v51, off, s[0:3], 0 offset:284
	buffer_load_dword v50, off, s[0:3], 0 offset:280
	;; [unrolled: 1-line block ×40, first 2 shown]
	v_cmp_lt_u32_e32 vcc, 8, v0
	s_waitcnt vmcnt(34) lgkmcnt(0)
	v_mul_f64 v[124:125], v[14:15], v[54:55]
	s_waitcnt vmcnt(32)
	v_fmac_f64_e32 v[124:125], v[16:17], v[56:57]
	v_mul_f64 v[90:91], v[22:23], v[28:29]
	v_fmac_f64_e32 v[90:91], v[24:25], v[26:27]
	v_mul_f64 v[92:93], v[18:19], v[30:31]
	v_add_f64 v[90:91], v[90:91], 0
	v_mul_f64 v[94:95], v[10:11], v[32:33]
	v_mul_f64 v[24:25], v[24:25], v[28:29]
	;; [unrolled: 1-line block ×3, first 2 shown]
	v_fma_f64 v[22:23], v[22:23], v[26:27], -v[24:25]
	v_add_f64 v[22:23], v[22:23], 0
	v_mul_f64 v[96:97], v[6:7], v[42:43]
	v_fmac_f64_e32 v[92:93], v[20:21], v[48:49]
	v_add_f64 v[90:91], v[90:91], v[92:93]
	v_fmac_f64_e32 v[94:95], v[12:13], v[46:47]
	v_add_f64 v[90:91], v[90:91], v[94:95]
	;; [unrolled: 2-line block ×3, first 2 shown]
	buffer_load_dword v91, off, s[0:3], 0 offset:444
	buffer_load_dword v90, off, s[0:3], 0 offset:440
	;; [unrolled: 1-line block ×40, first 2 shown]
	v_fmac_f64_e32 v[116:117], v[4:5], v[40:41]
	v_add_f64 v[122:123], v[118:119], v[116:117]
	ds_read_b128 v[116:119], v114 offset:832
	buffer_load_dword v219, off, s[0:3], 0 offset:588
	buffer_load_dword v218, off, s[0:3], 0 offset:584
	;; [unrolled: 1-line block ×4, first 2 shown]
	v_add_f64 v[126:127], v[122:123], v[124:125]
	ds_read_b128 v[122:125], v114 offset:848
	v_mul_f64 v[20:21], v[20:21], v[30:31]
	s_waitcnt lgkmcnt(1)
	v_mul_f64 v[128:129], v[116:117], v[50:51]
	v_fmac_f64_e32 v[128:129], v[118:119], v[52:53]
	v_add_f64 v[130:131], v[126:127], v[128:129]
	ds_read_b128 v[126:129], v114 offset:864
	s_waitcnt vmcnt(62) lgkmcnt(1)
	v_mul_f64 v[132:133], v[122:123], v[62:63]
	v_fmac_f64_e32 v[132:133], v[124:125], v[64:65]
	v_add_f64 v[134:135], v[130:131], v[132:133]
	ds_read_b128 v[130:133], v114 offset:880
	s_waitcnt lgkmcnt(1)
	v_mul_f64 v[136:137], v[126:127], v[58:59]
	v_fmac_f64_e32 v[136:137], v[128:129], v[60:61]
	v_add_f64 v[138:139], v[134:135], v[136:137]
	ds_read_b128 v[134:137], v114 offset:896
	s_waitcnt lgkmcnt(1)
	v_mul_f64 v[140:141], v[130:131], v[70:71]
	s_waitcnt vmcnt(60)
	v_fmac_f64_e32 v[140:141], v[132:133], v[72:73]
	v_add_f64 v[142:143], v[138:139], v[140:141]
	ds_read_b128 v[138:141], v114 offset:912
	s_waitcnt lgkmcnt(1)
	v_mul_f64 v[144:145], v[134:135], v[66:67]
	v_fmac_f64_e32 v[144:145], v[136:137], v[68:69]
	v_add_f64 v[146:147], v[142:143], v[144:145]
	ds_read_b128 v[142:145], v114 offset:928
	s_waitcnt vmcnt(54) lgkmcnt(1)
	v_mul_f64 v[148:149], v[138:139], v[78:79]
	s_waitcnt vmcnt(52)
	v_fmac_f64_e32 v[148:149], v[140:141], v[80:81]
	v_add_f64 v[150:151], v[146:147], v[148:149]
	ds_read_b128 v[146:149], v114 offset:944
	s_waitcnt lgkmcnt(1)
	v_mul_f64 v[152:153], v[142:143], v[74:75]
	v_fmac_f64_e32 v[152:153], v[144:145], v[76:77]
	v_fma_f64 v[18:19], v[18:19], v[48:49], -v[20:21]
	v_mul_f64 v[12:13], v[12:13], v[32:33]
	v_add_f64 v[154:155], v[150:151], v[152:153]
	ds_read_b128 v[150:153], v114 offset:960
	v_add_f64 v[18:19], v[22:23], v[18:19]
	v_fma_f64 v[10:11], v[10:11], v[46:47], -v[12:13]
	v_mul_f64 v[8:9], v[8:9], v[42:43]
	v_add_f64 v[10:11], v[18:19], v[10:11]
	v_fma_f64 v[6:7], v[6:7], v[44:45], -v[8:9]
	v_mul_f64 v[4:5], v[4:5], v[38:39]
	;; [unrolled: 3-line block ×3, first 2 shown]
	s_waitcnt vmcnt(46) lgkmcnt(1)
	v_mul_f64 v[156:157], v[146:147], v[86:87]
	v_add_f64 v[2:3], v[6:7], v[2:3]
	v_fma_f64 v[4:5], v[14:15], v[56:57], -v[4:5]
	s_waitcnt vmcnt(44)
	v_fmac_f64_e32 v[156:157], v[148:149], v[88:89]
	v_add_f64 v[2:3], v[2:3], v[4:5]
	v_mul_f64 v[4:5], v[118:119], v[50:51]
	v_add_f64 v[158:159], v[154:155], v[156:157]
	ds_read_b128 v[154:157], v114 offset:976
	s_waitcnt lgkmcnt(1)
	v_mul_f64 v[160:161], v[150:151], v[82:83]
	v_fma_f64 v[4:5], v[116:117], v[52:53], -v[4:5]
	v_fmac_f64_e32 v[160:161], v[152:153], v[84:85]
	v_add_f64 v[2:3], v[2:3], v[4:5]
	v_mul_f64 v[4:5], v[124:125], v[62:63]
	v_add_f64 v[162:163], v[158:159], v[160:161]
	ds_read_b128 v[158:161], v114 offset:992
	v_fma_f64 v[4:5], v[122:123], v[64:65], -v[4:5]
	v_add_f64 v[2:3], v[2:3], v[4:5]
	v_mul_f64 v[4:5], v[128:129], v[58:59]
	v_fma_f64 v[4:5], v[126:127], v[60:61], -v[4:5]
	s_waitcnt vmcnt(38) lgkmcnt(1)
	v_mul_f64 v[164:165], v[154:155], v[94:95]
	v_add_f64 v[2:3], v[2:3], v[4:5]
	v_mul_f64 v[4:5], v[132:133], v[70:71]
	s_waitcnt vmcnt(36)
	v_fmac_f64_e32 v[164:165], v[156:157], v[96:97]
	v_fma_f64 v[4:5], v[130:131], v[72:73], -v[4:5]
	v_add_f64 v[166:167], v[162:163], v[164:165]
	ds_read_b128 v[162:165], v114 offset:1008
	s_waitcnt lgkmcnt(1)
	v_mul_f64 v[168:169], v[158:159], v[90:91]
	v_add_f64 v[2:3], v[2:3], v[4:5]
	v_mul_f64 v[4:5], v[136:137], v[66:67]
	v_fmac_f64_e32 v[168:169], v[160:161], v[92:93]
	v_fma_f64 v[4:5], v[134:135], v[68:69], -v[4:5]
	v_add_f64 v[170:171], v[166:167], v[168:169]
	ds_read_b128 v[166:169], v114 offset:1024
	v_add_f64 v[2:3], v[2:3], v[4:5]
	v_mul_f64 v[4:5], v[140:141], v[78:79]
	v_fma_f64 v[4:5], v[138:139], v[80:81], -v[4:5]
	v_add_f64 v[2:3], v[2:3], v[4:5]
	v_mul_f64 v[4:5], v[144:145], v[74:75]
	s_waitcnt vmcnt(30) lgkmcnt(1)
	v_mul_f64 v[172:173], v[162:163], v[102:103]
	v_fma_f64 v[4:5], v[142:143], v[76:77], -v[4:5]
	s_waitcnt vmcnt(28)
	v_fmac_f64_e32 v[172:173], v[164:165], v[104:105]
	v_add_f64 v[2:3], v[2:3], v[4:5]
	v_mul_f64 v[4:5], v[148:149], v[86:87]
	v_add_f64 v[174:175], v[170:171], v[172:173]
	ds_read_b128 v[170:173], v114 offset:1040
	s_waitcnt lgkmcnt(1)
	v_mul_f64 v[176:177], v[166:167], v[98:99]
	v_fma_f64 v[4:5], v[146:147], v[88:89], -v[4:5]
	v_fmac_f64_e32 v[176:177], v[168:169], v[100:101]
	v_add_f64 v[2:3], v[2:3], v[4:5]
	v_mul_f64 v[4:5], v[152:153], v[82:83]
	v_add_f64 v[178:179], v[174:175], v[176:177]
	ds_read_b128 v[174:177], v114 offset:1056
	v_fma_f64 v[4:5], v[150:151], v[84:85], -v[4:5]
	v_add_f64 v[2:3], v[2:3], v[4:5]
	v_mul_f64 v[4:5], v[156:157], v[94:95]
	v_fma_f64 v[4:5], v[154:155], v[96:97], -v[4:5]
	s_waitcnt vmcnt(22) lgkmcnt(1)
	v_mul_f64 v[180:181], v[170:171], v[110:111]
	v_add_f64 v[2:3], v[2:3], v[4:5]
	v_mul_f64 v[4:5], v[160:161], v[90:91]
	s_waitcnt vmcnt(20)
	v_fmac_f64_e32 v[180:181], v[172:173], v[112:113]
	v_fma_f64 v[4:5], v[158:159], v[92:93], -v[4:5]
	v_add_f64 v[190:191], v[178:179], v[180:181]
	ds_read_b128 v[178:181], v114 offset:1072
	s_waitcnt lgkmcnt(1)
	v_mul_f64 v[192:193], v[174:175], v[106:107]
	v_add_f64 v[2:3], v[2:3], v[4:5]
	v_mul_f64 v[4:5], v[164:165], v[102:103]
	v_fmac_f64_e32 v[192:193], v[176:177], v[108:109]
	v_fma_f64 v[4:5], v[162:163], v[104:105], -v[4:5]
	v_add_f64 v[194:195], v[190:191], v[192:193]
	ds_read_b128 v[190:193], v114 offset:1088
	v_add_f64 v[2:3], v[2:3], v[4:5]
	v_mul_f64 v[4:5], v[168:169], v[98:99]
	v_fma_f64 v[4:5], v[166:167], v[100:101], -v[4:5]
	v_add_f64 v[2:3], v[2:3], v[4:5]
	v_mul_f64 v[4:5], v[172:173], v[110:111]
	s_waitcnt vmcnt(14) lgkmcnt(1)
	v_mul_f64 v[196:197], v[178:179], v[206:207]
	v_fma_f64 v[4:5], v[170:171], v[112:113], -v[4:5]
	s_waitcnt vmcnt(12)
	v_fmac_f64_e32 v[196:197], v[180:181], v[208:209]
	v_add_f64 v[2:3], v[2:3], v[4:5]
	v_mul_f64 v[4:5], v[176:177], v[106:107]
	v_add_f64 v[198:199], v[194:195], v[196:197]
	ds_read_b128 v[194:197], v114 offset:1104
	s_waitcnt lgkmcnt(1)
	v_mul_f64 v[200:201], v[190:191], v[182:183]
	v_fma_f64 v[4:5], v[174:175], v[108:109], -v[4:5]
	v_fmac_f64_e32 v[200:201], v[192:193], v[184:185]
	v_add_f64 v[2:3], v[2:3], v[4:5]
	v_mul_f64 v[4:5], v[180:181], v[206:207]
	v_add_f64 v[222:223], v[198:199], v[200:201]
	ds_read_b128 v[198:201], v114 offset:1120
	v_fma_f64 v[4:5], v[178:179], v[208:209], -v[4:5]
	v_add_f64 v[2:3], v[2:3], v[4:5]
	v_mul_f64 v[4:5], v[192:193], v[182:183]
	ds_read_b128 v[202:205], v114 offset:1136
	v_fma_f64 v[4:5], v[190:191], v[184:185], -v[4:5]
	v_add_f64 v[2:3], v[2:3], v[4:5]
	s_waitcnt vmcnt(6) lgkmcnt(2)
	v_mul_f64 v[4:5], v[196:197], v[214:215]
	v_mul_f64 v[224:225], v[194:195], v[214:215]
	s_waitcnt vmcnt(4)
	v_fma_f64 v[4:5], v[194:195], v[216:217], -v[4:5]
	v_fmac_f64_e32 v[224:225], v[196:197], v[216:217]
	v_add_f64 v[2:3], v[2:3], v[4:5]
	s_waitcnt lgkmcnt(1)
	v_mul_f64 v[4:5], v[200:201], v[210:211]
	v_add_f64 v[114:115], v[222:223], v[224:225]
	v_mul_f64 v[222:223], v[198:199], v[210:211]
	v_fma_f64 v[4:5], v[198:199], v[212:213], -v[4:5]
	v_fmac_f64_e32 v[222:223], v[200:201], v[212:213]
	v_add_f64 v[2:3], v[2:3], v[4:5]
	s_waitcnt vmcnt(2) lgkmcnt(0)
	v_mul_f64 v[4:5], v[204:205], v[218:219]
	v_add_f64 v[114:115], v[114:115], v[222:223]
	v_mul_f64 v[222:223], v[202:203], v[218:219]
	s_waitcnt vmcnt(0)
	v_fma_f64 v[4:5], v[202:203], v[220:221], -v[4:5]
	v_fmac_f64_e32 v[222:223], v[204:205], v[220:221]
	v_add_f64 v[2:3], v[2:3], v[4:5]
	v_add_f64 v[114:115], v[114:115], v[222:223]
	v_add_f64 v[2:3], v[36:37], -v[2:3]
	v_add_f64 v[4:5], v[34:35], -v[114:115]
	buffer_store_dword v3, off, s[0:3], 0 offset:164
	buffer_store_dword v2, off, s[0:3], 0 offset:160
	;; [unrolled: 1-line block ×4, first 2 shown]
	s_and_saveexec_b64 s[4:5], vcc
	s_cbranch_execz .LBB35_213
; %bb.212:
	v_accvgpr_read_b32 v5, a94
	buffer_load_dword v2, v5, s[0:3], 0 offen
	buffer_load_dword v3, v5, s[0:3], 0 offen offset:4
	buffer_load_dword v4, v5, s[0:3], 0 offen offset:8
	s_nop 0
	buffer_load_dword v5, v5, s[0:3], 0 offen offset:12
	v_mov_b32_e32 v6, 0
	buffer_store_dword v6, off, s[0:3], 0 offset:144
	buffer_store_dword v6, off, s[0:3], 0 offset:148
	;; [unrolled: 1-line block ×4, first 2 shown]
	s_waitcnt vmcnt(4)
	ds_write_b128 v1, v[2:5]
.LBB35_213:
	s_or_b64 exec, exec, s[4:5]
	s_waitcnt lgkmcnt(0)
	; wave barrier
	s_waitcnt lgkmcnt(0)
	buffer_load_dword v30, off, s[0:3], 0 offset:160
	buffer_load_dword v31, off, s[0:3], 0 offset:164
	;; [unrolled: 1-line block ×56, first 2 shown]
	v_mov_b32_e32 v136, 0
	ds_read_b128 v[26:29], v136 offset:720
	ds_read_b128 v[22:25], v136 offset:736
	;; [unrolled: 1-line block ×7, first 2 shown]
	v_cmp_lt_u32_e32 vcc, 7, v0
	s_waitcnt vmcnt(52) lgkmcnt(6)
	v_mul_f64 v[86:87], v[26:27], v[34:35]
	v_fmac_f64_e32 v[86:87], v[28:29], v[30:31]
	v_add_f64 v[86:87], v[86:87], 0
	v_mul_f64 v[28:29], v[28:29], v[34:35]
	s_waitcnt vmcnt(48) lgkmcnt(5)
	v_mul_f64 v[88:89], v[22:23], v[36:37]
	v_fmac_f64_e32 v[88:89], v[24:25], v[32:33]
	s_waitcnt vmcnt(46) lgkmcnt(4)
	v_mul_f64 v[90:91], v[18:19], v[38:39]
	v_add_f64 v[86:87], v[86:87], v[88:89]
	s_waitcnt vmcnt(44) lgkmcnt(2)
	v_mul_f64 v[94:95], v[10:11], v[40:41]
	v_fma_f64 v[26:27], v[26:27], v[30:31], -v[28:29]
	s_waitcnt vmcnt(42)
	v_fmac_f64_e32 v[94:95], v[12:13], v[42:43]
	v_mul_f64 v[24:25], v[24:25], v[36:37]
	s_waitcnt vmcnt(40)
	v_mul_f64 v[92:93], v[14:15], v[48:49]
	v_add_f64 v[26:27], v[26:27], 0
	v_fma_f64 v[22:23], v[22:23], v[32:33], -v[24:25]
	v_add_f64 v[22:23], v[26:27], v[22:23]
	s_waitcnt vmcnt(36) lgkmcnt(1)
	v_mul_f64 v[110:111], v[6:7], v[54:55]
	v_mul_f64 v[12:13], v[12:13], v[40:41]
	s_waitcnt vmcnt(34)
	v_fmac_f64_e32 v[90:91], v[20:21], v[60:61]
	v_add_f64 v[86:87], v[86:87], v[90:91]
	s_waitcnt vmcnt(32)
	v_fmac_f64_e32 v[92:93], v[16:17], v[58:59]
	v_add_f64 v[86:87], v[86:87], v[92:93]
	v_add_f64 v[116:117], v[86:87], v[94:95]
	buffer_load_dword v87, off, s[0:3], 0 offset:396
	buffer_load_dword v86, off, s[0:3], 0 offset:392
	;; [unrolled: 1-line block ×56, first 2 shown]
	ds_read_b128 v[126:129], v136 offset:832
	ds_read_b128 v[130:133], v136 offset:848
	v_mul_f64 v[20:21], v[20:21], v[38:39]
	v_fma_f64 v[18:19], v[18:19], v[60:61], -v[20:21]
	v_mul_f64 v[16:17], v[16:17], v[48:49]
	s_waitcnt vmcnt(62)
	v_fmac_f64_e32 v[110:111], v[8:9], v[56:57]
	v_add_f64 v[18:19], v[22:23], v[18:19]
	v_fma_f64 v[14:15], v[14:15], v[58:59], -v[16:17]
	v_add_f64 v[110:111], v[116:117], v[110:111]
	s_waitcnt lgkmcnt(2)
	v_mul_f64 v[116:117], v[2:3], v[50:51]
	v_add_f64 v[14:15], v[18:19], v[14:15]
	v_fma_f64 v[10:11], v[10:11], v[42:43], -v[12:13]
	v_mul_f64 v[8:9], v[8:9], v[54:55]
	v_fmac_f64_e32 v[116:117], v[4:5], v[52:53]
	ds_read_b128 v[138:141], v136 offset:864
	ds_read_b128 v[142:145], v136 offset:880
	v_add_f64 v[10:11], v[14:15], v[10:11]
	v_fma_f64 v[6:7], v[6:7], v[56:57], -v[8:9]
	v_mul_f64 v[4:5], v[4:5], v[50:51]
	v_add_f64 v[6:7], v[10:11], v[6:7]
	v_fma_f64 v[2:3], v[2:3], v[52:53], -v[4:5]
	s_waitcnt lgkmcnt(3)
	v_mul_f64 v[4:5], v[128:129], v[66:67]
	v_add_f64 v[110:111], v[110:111], v[116:117]
	v_mul_f64 v[116:117], v[126:127], v[66:67]
	v_add_f64 v[2:3], v[6:7], v[2:3]
	v_fma_f64 v[4:5], v[126:127], v[68:69], -v[4:5]
	v_fmac_f64_e32 v[116:117], v[128:129], v[68:69]
	v_add_f64 v[2:3], v[2:3], v[4:5]
	s_waitcnt lgkmcnt(2)
	v_mul_f64 v[4:5], v[132:133], v[62:63]
	v_add_f64 v[110:111], v[110:111], v[116:117]
	v_mul_f64 v[116:117], v[130:131], v[62:63]
	ds_read_b128 v[146:149], v136 offset:896
	ds_read_b128 v[150:153], v136 offset:912
	v_fma_f64 v[4:5], v[130:131], v[64:65], -v[4:5]
	v_fmac_f64_e32 v[116:117], v[132:133], v[64:65]
	v_add_f64 v[2:3], v[2:3], v[4:5]
	s_waitcnt lgkmcnt(3)
	v_mul_f64 v[4:5], v[140:141], v[74:75]
	v_add_f64 v[110:111], v[110:111], v[116:117]
	v_mul_f64 v[116:117], v[138:139], v[74:75]
	v_fma_f64 v[4:5], v[138:139], v[76:77], -v[4:5]
	v_fmac_f64_e32 v[116:117], v[140:141], v[76:77]
	v_add_f64 v[2:3], v[2:3], v[4:5]
	s_waitcnt lgkmcnt(2)
	v_mul_f64 v[4:5], v[144:145], v[70:71]
	v_add_f64 v[110:111], v[110:111], v[116:117]
	v_mul_f64 v[116:117], v[142:143], v[70:71]
	ds_read_b128 v[154:157], v136 offset:928
	ds_read_b128 v[158:161], v136 offset:944
	v_fma_f64 v[4:5], v[142:143], v[72:73], -v[4:5]
	v_fmac_f64_e32 v[116:117], v[144:145], v[72:73]
	v_add_f64 v[2:3], v[2:3], v[4:5]
	s_waitcnt vmcnt(58) lgkmcnt(3)
	v_mul_f64 v[4:5], v[148:149], v[82:83]
	v_add_f64 v[110:111], v[110:111], v[116:117]
	v_mul_f64 v[116:117], v[146:147], v[82:83]
	s_waitcnt vmcnt(56)
	v_fma_f64 v[4:5], v[146:147], v[84:85], -v[4:5]
	v_fmac_f64_e32 v[116:117], v[148:149], v[84:85]
	v_add_f64 v[2:3], v[2:3], v[4:5]
	s_waitcnt lgkmcnt(2)
	v_mul_f64 v[4:5], v[152:153], v[78:79]
	v_add_f64 v[110:111], v[110:111], v[116:117]
	v_mul_f64 v[116:117], v[150:151], v[78:79]
	ds_read_b128 v[162:165], v136 offset:960
	ds_read_b128 v[166:169], v136 offset:976
	v_fma_f64 v[4:5], v[150:151], v[80:81], -v[4:5]
	v_fmac_f64_e32 v[116:117], v[152:153], v[80:81]
	v_add_f64 v[2:3], v[2:3], v[4:5]
	s_waitcnt vmcnt(50) lgkmcnt(3)
	v_mul_f64 v[4:5], v[156:157], v[90:91]
	v_add_f64 v[110:111], v[110:111], v[116:117]
	v_mul_f64 v[116:117], v[154:155], v[90:91]
	s_waitcnt vmcnt(48)
	;; [unrolled: 17-line block ×7, first 2 shown]
	v_fma_f64 v[4:5], v[202:203], v[224:225], -v[4:5]
	v_fmac_f64_e32 v[116:117], v[204:205], v[224:225]
	v_add_f64 v[2:3], v[2:3], v[4:5]
	s_waitcnt lgkmcnt(2)
	v_mul_f64 v[4:5], v[208:209], v[218:219]
	v_add_f64 v[110:111], v[110:111], v[116:117]
	v_mul_f64 v[116:117], v[206:207], v[218:219]
	v_fma_f64 v[4:5], v[206:207], v[220:221], -v[4:5]
	v_fmac_f64_e32 v[116:117], v[208:209], v[220:221]
	v_add_f64 v[2:3], v[2:3], v[4:5]
	s_waitcnt vmcnt(2) lgkmcnt(1)
	v_mul_f64 v[4:5], v[212:213], v[230:231]
	v_add_f64 v[110:111], v[110:111], v[116:117]
	v_mul_f64 v[116:117], v[210:211], v[230:231]
	s_waitcnt vmcnt(0)
	v_fma_f64 v[4:5], v[210:211], v[232:233], -v[4:5]
	v_fmac_f64_e32 v[116:117], v[212:213], v[232:233]
	v_add_f64 v[2:3], v[2:3], v[4:5]
	s_waitcnt lgkmcnt(0)
	v_mul_f64 v[4:5], v[216:217], v[226:227]
	v_add_f64 v[110:111], v[110:111], v[116:117]
	v_mul_f64 v[116:117], v[214:215], v[226:227]
	v_fma_f64 v[4:5], v[214:215], v[228:229], -v[4:5]
	v_fmac_f64_e32 v[116:117], v[216:217], v[228:229]
	v_add_f64 v[2:3], v[2:3], v[4:5]
	v_add_f64 v[110:111], v[110:111], v[116:117]
	v_add_f64 v[2:3], v[46:47], -v[2:3]
	v_add_f64 v[4:5], v[44:45], -v[110:111]
	buffer_store_dword v3, off, s[0:3], 0 offset:148
	buffer_store_dword v2, off, s[0:3], 0 offset:144
	;; [unrolled: 1-line block ×4, first 2 shown]
	s_and_saveexec_b64 s[4:5], vcc
	s_cbranch_execz .LBB35_215
; %bb.214:
	v_accvgpr_read_b32 v5, a95
	buffer_load_dword v2, v5, s[0:3], 0 offen
	buffer_load_dword v3, v5, s[0:3], 0 offen offset:4
	buffer_load_dword v4, v5, s[0:3], 0 offen offset:8
	s_nop 0
	buffer_load_dword v5, v5, s[0:3], 0 offen offset:12
	s_nop 0
	buffer_store_dword v136, off, s[0:3], 0 offset:128
	buffer_store_dword v136, off, s[0:3], 0 offset:132
	;; [unrolled: 1-line block ×4, first 2 shown]
	s_waitcnt vmcnt(4)
	ds_write_b128 v1, v[2:5]
.LBB35_215:
	s_or_b64 exec, exec, s[4:5]
	s_waitcnt lgkmcnt(0)
	; wave barrier
	s_waitcnt lgkmcnt(0)
	buffer_load_dword v34, off, s[0:3], 0 offset:144
	buffer_load_dword v35, off, s[0:3], 0 offset:148
	;; [unrolled: 1-line block ×32, first 2 shown]
	ds_read_b128 v[30:33], v136 offset:704
	ds_read_b128 v[26:29], v136 offset:720
	;; [unrolled: 1-line block ×8, first 2 shown]
	buffer_load_dword v67, off, s[0:3], 0 offset:284
	buffer_load_dword v66, off, s[0:3], 0 offset:280
	;; [unrolled: 1-line block ×24, first 2 shown]
	v_cmp_lt_u32_e32 vcc, 6, v0
	s_waitcnt vmcnt(52) lgkmcnt(7)
	v_mul_f64 v[90:91], v[30:31], v[38:39]
	v_fmac_f64_e32 v[90:91], v[32:33], v[34:35]
	v_add_f64 v[90:91], v[90:91], 0
	v_mul_f64 v[32:33], v[32:33], v[38:39]
	s_waitcnt vmcnt(48) lgkmcnt(6)
	v_mul_f64 v[92:93], v[26:27], v[40:41]
	v_fmac_f64_e32 v[92:93], v[28:29], v[36:37]
	s_waitcnt vmcnt(46) lgkmcnt(5)
	v_mul_f64 v[94:95], v[22:23], v[42:43]
	v_add_f64 v[90:91], v[90:91], v[92:93]
	s_waitcnt vmcnt(44) lgkmcnt(4)
	v_mul_f64 v[96:97], v[18:19], v[48:49]
	v_fma_f64 v[30:31], v[30:31], v[34:35], -v[32:33]
	s_waitcnt vmcnt(42) lgkmcnt(1)
	v_mul_f64 v[124:125], v[2:3], v[50:51]
	v_mul_f64 v[28:29], v[28:29], v[40:41]
	s_waitcnt vmcnt(18) lgkmcnt(0)
	v_mul_f64 v[140:141], v[14:15], v[70:71]
	v_mul_f64 v[100:101], v[6:7], v[54:55]
	s_waitcnt vmcnt(16)
	v_fmac_f64_e32 v[140:141], v[16:17], v[72:73]
	v_mul_f64 v[98:99], v[10:11], v[56:57]
	v_add_f64 v[30:31], v[30:31], 0
	v_fmac_f64_e32 v[98:99], v[12:13], v[58:59]
	v_fma_f64 v[26:27], v[26:27], v[36:37], -v[28:29]
	v_fmac_f64_e32 v[94:95], v[24:25], v[64:65]
	v_add_f64 v[90:91], v[90:91], v[94:95]
	v_fmac_f64_e32 v[96:97], v[20:21], v[62:63]
	v_add_f64 v[90:91], v[90:91], v[96:97]
	;; [unrolled: 2-line block ×3, first 2 shown]
	v_add_f64 v[126:127], v[90:91], v[100:101]
	buffer_load_dword v91, off, s[0:3], 0 offset:380
	buffer_load_dword v90, off, s[0:3], 0 offset:376
	;; [unrolled: 1-line block ×56, first 2 shown]
	v_fmac_f64_e32 v[124:125], v[4:5], v[52:53]
	v_add_f64 v[138:139], v[126:127], v[124:125]
	ds_read_b128 v[124:127], v136 offset:832
	buffer_load_dword v235, off, s[0:3], 0 offset:588
	buffer_load_dword v234, off, s[0:3], 0 offset:584
	;; [unrolled: 1-line block ×4, first 2 shown]
	v_add_f64 v[142:143], v[138:139], v[140:141]
	ds_read_b128 v[138:141], v136 offset:848
	v_mul_f64 v[24:25], v[24:25], v[42:43]
	s_waitcnt lgkmcnt(1)
	v_mul_f64 v[144:145], v[124:125], v[66:67]
	v_fmac_f64_e32 v[144:145], v[126:127], v[68:69]
	v_add_f64 v[146:147], v[142:143], v[144:145]
	ds_read_b128 v[142:145], v136 offset:864
	s_waitcnt vmcnt(62) lgkmcnt(1)
	v_mul_f64 v[148:149], v[138:139], v[78:79]
	v_fmac_f64_e32 v[148:149], v[140:141], v[80:81]
	v_add_f64 v[150:151], v[146:147], v[148:149]
	ds_read_b128 v[146:149], v136 offset:880
	s_waitcnt lgkmcnt(1)
	v_mul_f64 v[152:153], v[142:143], v[74:75]
	v_fmac_f64_e32 v[152:153], v[144:145], v[76:77]
	v_add_f64 v[154:155], v[150:151], v[152:153]
	ds_read_b128 v[150:153], v136 offset:896
	s_waitcnt lgkmcnt(1)
	v_mul_f64 v[156:157], v[146:147], v[86:87]
	s_waitcnt vmcnt(60)
	v_fmac_f64_e32 v[156:157], v[148:149], v[88:89]
	v_add_f64 v[158:159], v[154:155], v[156:157]
	ds_read_b128 v[154:157], v136 offset:912
	s_waitcnt lgkmcnt(1)
	v_mul_f64 v[160:161], v[150:151], v[82:83]
	v_fmac_f64_e32 v[160:161], v[152:153], v[84:85]
	v_add_f64 v[162:163], v[158:159], v[160:161]
	ds_read_b128 v[158:161], v136 offset:928
	v_add_f64 v[26:27], v[30:31], v[26:27]
	v_fma_f64 v[22:23], v[22:23], v[64:65], -v[24:25]
	s_waitcnt vmcnt(54) lgkmcnt(1)
	v_mul_f64 v[164:165], v[154:155], v[94:95]
	v_mul_f64 v[20:21], v[20:21], v[48:49]
	s_waitcnt vmcnt(52)
	v_fmac_f64_e32 v[164:165], v[156:157], v[96:97]
	v_add_f64 v[166:167], v[162:163], v[164:165]
	ds_read_b128 v[162:165], v136 offset:944
	s_waitcnt lgkmcnt(1)
	v_mul_f64 v[168:169], v[158:159], v[90:91]
	v_fmac_f64_e32 v[168:169], v[160:161], v[92:93]
	v_add_f64 v[22:23], v[26:27], v[22:23]
	v_fma_f64 v[18:19], v[18:19], v[62:63], -v[20:21]
	v_mul_f64 v[12:13], v[12:13], v[56:57]
	v_add_f64 v[170:171], v[166:167], v[168:169]
	ds_read_b128 v[166:169], v136 offset:960
	v_add_f64 v[18:19], v[22:23], v[18:19]
	v_fma_f64 v[10:11], v[10:11], v[58:59], -v[12:13]
	v_mul_f64 v[8:9], v[8:9], v[54:55]
	v_add_f64 v[10:11], v[18:19], v[10:11]
	v_fma_f64 v[6:7], v[6:7], v[60:61], -v[8:9]
	v_mul_f64 v[4:5], v[4:5], v[50:51]
	v_add_f64 v[6:7], v[10:11], v[6:7]
	v_fma_f64 v[2:3], v[2:3], v[52:53], -v[4:5]
	v_mul_f64 v[4:5], v[16:17], v[70:71]
	s_waitcnt vmcnt(46) lgkmcnt(1)
	v_mul_f64 v[172:173], v[162:163], v[102:103]
	v_add_f64 v[2:3], v[6:7], v[2:3]
	v_fma_f64 v[4:5], v[14:15], v[72:73], -v[4:5]
	s_waitcnt vmcnt(44)
	v_fmac_f64_e32 v[172:173], v[164:165], v[104:105]
	v_add_f64 v[2:3], v[2:3], v[4:5]
	v_mul_f64 v[4:5], v[126:127], v[66:67]
	v_add_f64 v[174:175], v[170:171], v[172:173]
	ds_read_b128 v[170:173], v136 offset:976
	s_waitcnt lgkmcnt(1)
	v_mul_f64 v[176:177], v[166:167], v[98:99]
	v_fma_f64 v[4:5], v[124:125], v[68:69], -v[4:5]
	v_fmac_f64_e32 v[176:177], v[168:169], v[100:101]
	v_add_f64 v[2:3], v[2:3], v[4:5]
	v_mul_f64 v[4:5], v[140:141], v[78:79]
	v_add_f64 v[178:179], v[174:175], v[176:177]
	ds_read_b128 v[174:177], v136 offset:992
	v_fma_f64 v[4:5], v[138:139], v[80:81], -v[4:5]
	v_add_f64 v[2:3], v[2:3], v[4:5]
	v_mul_f64 v[4:5], v[144:145], v[74:75]
	v_fma_f64 v[4:5], v[142:143], v[76:77], -v[4:5]
	s_waitcnt vmcnt(38) lgkmcnt(1)
	v_mul_f64 v[180:181], v[170:171], v[110:111]
	v_add_f64 v[2:3], v[2:3], v[4:5]
	v_mul_f64 v[4:5], v[148:149], v[86:87]
	s_waitcnt vmcnt(36)
	v_fmac_f64_e32 v[180:181], v[172:173], v[112:113]
	v_fma_f64 v[4:5], v[146:147], v[88:89], -v[4:5]
	v_add_f64 v[190:191], v[178:179], v[180:181]
	ds_read_b128 v[178:181], v136 offset:1008
	s_waitcnt lgkmcnt(1)
	v_mul_f64 v[192:193], v[174:175], v[106:107]
	v_add_f64 v[2:3], v[2:3], v[4:5]
	v_mul_f64 v[4:5], v[152:153], v[82:83]
	v_fmac_f64_e32 v[192:193], v[176:177], v[108:109]
	v_fma_f64 v[4:5], v[150:151], v[84:85], -v[4:5]
	v_add_f64 v[194:195], v[190:191], v[192:193]
	ds_read_b128 v[190:193], v136 offset:1024
	v_add_f64 v[2:3], v[2:3], v[4:5]
	v_mul_f64 v[4:5], v[156:157], v[94:95]
	v_fma_f64 v[4:5], v[154:155], v[96:97], -v[4:5]
	v_add_f64 v[2:3], v[2:3], v[4:5]
	v_mul_f64 v[4:5], v[160:161], v[90:91]
	s_waitcnt vmcnt(30) lgkmcnt(1)
	v_mul_f64 v[196:197], v[178:179], v[118:119]
	v_fma_f64 v[4:5], v[158:159], v[92:93], -v[4:5]
	s_waitcnt vmcnt(28)
	v_fmac_f64_e32 v[196:197], v[180:181], v[122:123]
	v_add_f64 v[2:3], v[2:3], v[4:5]
	v_mul_f64 v[4:5], v[164:165], v[102:103]
	v_add_f64 v[198:199], v[194:195], v[196:197]
	ds_read_b128 v[194:197], v136 offset:1040
	s_waitcnt lgkmcnt(1)
	v_mul_f64 v[200:201], v[190:191], v[114:115]
	v_fma_f64 v[4:5], v[162:163], v[104:105], -v[4:5]
	v_fmac_f64_e32 v[200:201], v[192:193], v[116:117]
	v_add_f64 v[2:3], v[2:3], v[4:5]
	v_mul_f64 v[4:5], v[168:169], v[98:99]
	v_add_f64 v[202:203], v[198:199], v[200:201]
	ds_read_b128 v[198:201], v136 offset:1056
	v_fma_f64 v[4:5], v[166:167], v[100:101], -v[4:5]
	v_add_f64 v[2:3], v[2:3], v[4:5]
	v_mul_f64 v[4:5], v[172:173], v[110:111]
	v_fma_f64 v[4:5], v[170:171], v[112:113], -v[4:5]
	s_waitcnt vmcnt(22) lgkmcnt(1)
	v_mul_f64 v[204:205], v[194:195], v[132:133]
	v_add_f64 v[2:3], v[2:3], v[4:5]
	v_mul_f64 v[4:5], v[176:177], v[106:107]
	s_waitcnt vmcnt(20)
	v_fmac_f64_e32 v[204:205], v[196:197], v[134:135]
	v_fma_f64 v[4:5], v[174:175], v[108:109], -v[4:5]
	v_add_f64 v[206:207], v[202:203], v[204:205]
	ds_read_b128 v[202:205], v136 offset:1072
	s_waitcnt lgkmcnt(1)
	v_mul_f64 v[208:209], v[198:199], v[128:129]
	v_add_f64 v[2:3], v[2:3], v[4:5]
	v_mul_f64 v[4:5], v[180:181], v[118:119]
	v_fmac_f64_e32 v[208:209], v[200:201], v[130:131]
	v_fma_f64 v[4:5], v[178:179], v[122:123], -v[4:5]
	v_add_f64 v[210:211], v[206:207], v[208:209]
	ds_read_b128 v[206:209], v136 offset:1088
	v_add_f64 v[2:3], v[2:3], v[4:5]
	v_mul_f64 v[4:5], v[192:193], v[114:115]
	v_fma_f64 v[4:5], v[190:191], v[116:117], -v[4:5]
	v_add_f64 v[2:3], v[2:3], v[4:5]
	v_mul_f64 v[4:5], v[196:197], v[132:133]
	s_waitcnt vmcnt(14) lgkmcnt(1)
	v_mul_f64 v[212:213], v[202:203], v[222:223]
	v_fma_f64 v[4:5], v[194:195], v[134:135], -v[4:5]
	s_waitcnt vmcnt(12)
	v_fmac_f64_e32 v[212:213], v[204:205], v[224:225]
	v_add_f64 v[2:3], v[2:3], v[4:5]
	v_mul_f64 v[4:5], v[200:201], v[128:129]
	v_add_f64 v[214:215], v[210:211], v[212:213]
	ds_read_b128 v[210:213], v136 offset:1104
	s_waitcnt lgkmcnt(1)
	v_mul_f64 v[216:217], v[206:207], v[182:183]
	v_fma_f64 v[4:5], v[198:199], v[130:131], -v[4:5]
	v_fmac_f64_e32 v[216:217], v[208:209], v[184:185]
	v_add_f64 v[2:3], v[2:3], v[4:5]
	v_mul_f64 v[4:5], v[204:205], v[222:223]
	v_add_f64 v[238:239], v[214:215], v[216:217]
	ds_read_b128 v[214:217], v136 offset:1120
	v_fma_f64 v[4:5], v[202:203], v[224:225], -v[4:5]
	v_add_f64 v[2:3], v[2:3], v[4:5]
	v_mul_f64 v[4:5], v[208:209], v[182:183]
	ds_read_b128 v[218:221], v136 offset:1136
	v_fma_f64 v[4:5], v[206:207], v[184:185], -v[4:5]
	v_add_f64 v[2:3], v[2:3], v[4:5]
	s_waitcnt vmcnt(6) lgkmcnt(2)
	v_mul_f64 v[4:5], v[212:213], v[230:231]
	v_mul_f64 v[240:241], v[210:211], v[230:231]
	s_waitcnt vmcnt(4)
	v_fma_f64 v[4:5], v[210:211], v[232:233], -v[4:5]
	v_fmac_f64_e32 v[240:241], v[212:213], v[232:233]
	v_add_f64 v[2:3], v[2:3], v[4:5]
	s_waitcnt lgkmcnt(1)
	v_mul_f64 v[4:5], v[216:217], v[226:227]
	v_add_f64 v[136:137], v[238:239], v[240:241]
	v_mul_f64 v[238:239], v[214:215], v[226:227]
	v_fma_f64 v[4:5], v[214:215], v[228:229], -v[4:5]
	v_fmac_f64_e32 v[238:239], v[216:217], v[228:229]
	v_add_f64 v[2:3], v[2:3], v[4:5]
	s_waitcnt vmcnt(2) lgkmcnt(0)
	v_mul_f64 v[4:5], v[220:221], v[234:235]
	v_add_f64 v[136:137], v[136:137], v[238:239]
	v_mul_f64 v[238:239], v[218:219], v[234:235]
	s_waitcnt vmcnt(0)
	v_fma_f64 v[4:5], v[218:219], v[236:237], -v[4:5]
	v_fmac_f64_e32 v[238:239], v[220:221], v[236:237]
	v_add_f64 v[2:3], v[2:3], v[4:5]
	v_add_f64 v[136:137], v[136:137], v[238:239]
	v_add_f64 v[2:3], v[46:47], -v[2:3]
	v_add_f64 v[4:5], v[44:45], -v[136:137]
	buffer_store_dword v3, off, s[0:3], 0 offset:132
	buffer_store_dword v2, off, s[0:3], 0 offset:128
	;; [unrolled: 1-line block ×4, first 2 shown]
	s_and_saveexec_b64 s[4:5], vcc
	s_cbranch_execz .LBB35_217
; %bb.216:
	v_accvgpr_read_b32 v5, a96
	buffer_load_dword v2, v5, s[0:3], 0 offen
	buffer_load_dword v3, v5, s[0:3], 0 offen offset:4
	buffer_load_dword v4, v5, s[0:3], 0 offen offset:8
	s_nop 0
	buffer_load_dword v5, v5, s[0:3], 0 offen offset:12
	v_mov_b32_e32 v6, 0
	buffer_store_dword v6, off, s[0:3], 0 offset:112
	buffer_store_dword v6, off, s[0:3], 0 offset:116
	;; [unrolled: 1-line block ×4, first 2 shown]
	s_waitcnt vmcnt(4)
	ds_write_b128 v1, v[2:5]
.LBB35_217:
	s_or_b64 exec, exec, s[4:5]
	s_waitcnt lgkmcnt(0)
	; wave barrier
	s_waitcnt lgkmcnt(0)
	buffer_load_dword v38, off, s[0:3], 0 offset:128
	buffer_load_dword v39, off, s[0:3], 0 offset:132
	;; [unrolled: 1-line block ×48, first 2 shown]
	v_mov_b32_e32 v152, 0
	ds_read_b128 v[34:37], v152 offset:688
	ds_read_b128 v[30:33], v152 offset:704
	;; [unrolled: 1-line block ×9, first 2 shown]
	v_cmp_lt_u32_e32 vcc, 5, v0
	s_waitcnt vmcnt(44) lgkmcnt(8)
	v_mul_f64 v[86:87], v[34:35], v[42:43]
	v_fmac_f64_e32 v[86:87], v[36:37], v[38:39]
	v_add_f64 v[86:87], v[86:87], 0
	v_mul_f64 v[36:37], v[36:37], v[42:43]
	s_waitcnt vmcnt(40) lgkmcnt(7)
	v_mul_f64 v[88:89], v[30:31], v[44:45]
	v_fmac_f64_e32 v[88:89], v[32:33], v[40:41]
	s_waitcnt vmcnt(38) lgkmcnt(6)
	v_mul_f64 v[90:91], v[26:27], v[46:47]
	v_add_f64 v[86:87], v[86:87], v[88:89]
	s_waitcnt vmcnt(36) lgkmcnt(4)
	v_mul_f64 v[94:95], v[18:19], v[48:49]
	v_fma_f64 v[34:35], v[34:35], v[38:39], -v[36:37]
	s_waitcnt vmcnt(34)
	v_fmac_f64_e32 v[94:95], v[20:21], v[50:51]
	v_mul_f64 v[32:33], v[32:33], v[44:45]
	s_waitcnt vmcnt(32)
	v_mul_f64 v[92:93], v[22:23], v[52:53]
	v_add_f64 v[34:35], v[34:35], 0
	s_waitcnt vmcnt(30) lgkmcnt(2)
	v_mul_f64 v[98:99], v[10:11], v[54:55]
	v_fma_f64 v[30:31], v[30:31], v[40:41], -v[32:33]
	s_waitcnt vmcnt(28)
	v_fmac_f64_e32 v[98:99], v[12:13], v[56:57]
	v_add_f64 v[30:31], v[34:35], v[30:31]
	s_waitcnt vmcnt(26)
	v_mul_f64 v[96:97], v[14:15], v[58:59]
	v_mul_f64 v[20:21], v[20:21], v[48:49]
	v_fma_f64 v[18:19], v[18:19], v[50:51], -v[20:21]
	v_mul_f64 v[12:13], v[12:13], v[54:55]
	s_waitcnt vmcnt(22) lgkmcnt(1)
	v_mul_f64 v[110:111], v[6:7], v[68:69]
	v_fma_f64 v[10:11], v[10:11], v[56:57], -v[12:13]
	s_waitcnt vmcnt(20)
	v_fmac_f64_e32 v[90:91], v[28:29], v[76:77]
	v_add_f64 v[86:87], v[86:87], v[90:91]
	s_waitcnt vmcnt(18)
	v_fmac_f64_e32 v[92:93], v[24:25], v[74:75]
	v_add_f64 v[86:87], v[86:87], v[92:93]
	;; [unrolled: 3-line block ×3, first 2 shown]
	v_add_f64 v[86:87], v[86:87], v[96:97]
	v_add_f64 v[112:113], v[86:87], v[98:99]
	buffer_load_dword v87, off, s[0:3], 0 offset:332
	buffer_load_dword v86, off, s[0:3], 0 offset:328
	;; [unrolled: 1-line block ×72, first 2 shown]
	s_waitcnt vmcnt(62)
	v_fmac_f64_e32 v[110:111], v[8:9], v[70:71]
	v_add_f64 v[144:145], v[112:113], v[110:111]
	ds_read_b128 v[110:113], v152 offset:832
	s_waitcnt lgkmcnt(1)
	v_mul_f64 v[146:147], v[2:3], v[64:65]
	v_fmac_f64_e32 v[146:147], v[4:5], v[66:67]
	v_add_f64 v[148:149], v[144:145], v[146:147]
	ds_read_b128 v[144:147], v152 offset:848
	s_waitcnt lgkmcnt(1)
	v_mul_f64 v[150:151], v[110:111], v[82:83]
	;; [unrolled: 5-line block ×5, first 2 shown]
	v_fmac_f64_e32 v[164:165], v[156:157], v[88:89]
	v_add_f64 v[166:167], v[162:163], v[164:165]
	ds_read_b128 v[162:165], v152 offset:912
	s_waitcnt vmcnt(58) lgkmcnt(1)
	v_mul_f64 v[168:169], v[158:159], v[98:99]
	s_waitcnt vmcnt(56)
	v_fmac_f64_e32 v[168:169], v[160:161], v[100:101]
	v_add_f64 v[170:171], v[166:167], v[168:169]
	ds_read_b128 v[166:169], v152 offset:928
	s_waitcnt lgkmcnt(1)
	v_mul_f64 v[172:173], v[162:163], v[94:95]
	v_fmac_f64_e32 v[172:173], v[164:165], v[96:97]
	v_mul_f64 v[28:29], v[28:29], v[46:47]
	v_add_f64 v[174:175], v[170:171], v[172:173]
	ds_read_b128 v[170:173], v152 offset:944
	s_waitcnt vmcnt(50) lgkmcnt(1)
	v_mul_f64 v[176:177], v[166:167], v[106:107]
	v_fma_f64 v[26:27], v[26:27], v[76:77], -v[28:29]
	v_mul_f64 v[24:25], v[24:25], v[52:53]
	s_waitcnt vmcnt(48)
	v_fmac_f64_e32 v[176:177], v[168:169], v[108:109]
	v_add_f64 v[26:27], v[30:31], v[26:27]
	v_fma_f64 v[22:23], v[22:23], v[74:75], -v[24:25]
	v_add_f64 v[178:179], v[174:175], v[176:177]
	ds_read_b128 v[174:177], v152 offset:960
	v_add_f64 v[22:23], v[26:27], v[22:23]
	v_mul_f64 v[16:17], v[16:17], v[58:59]
	v_add_f64 v[18:19], v[22:23], v[18:19]
	v_fma_f64 v[14:15], v[14:15], v[72:73], -v[16:17]
	v_add_f64 v[14:15], v[18:19], v[14:15]
	v_mul_f64 v[8:9], v[8:9], v[68:69]
	s_waitcnt lgkmcnt(1)
	v_mul_f64 v[180:181], v[170:171], v[102:103]
	v_add_f64 v[10:11], v[14:15], v[10:11]
	v_fma_f64 v[6:7], v[6:7], v[70:71], -v[8:9]
	v_mul_f64 v[4:5], v[4:5], v[64:65]
	v_fmac_f64_e32 v[180:181], v[172:173], v[104:105]
	v_add_f64 v[6:7], v[10:11], v[6:7]
	v_fma_f64 v[2:3], v[2:3], v[66:67], -v[4:5]
	v_mul_f64 v[4:5], v[112:113], v[82:83]
	v_add_f64 v[190:191], v[178:179], v[180:181]
	ds_read_b128 v[178:181], v152 offset:976
	s_waitcnt vmcnt(42) lgkmcnt(1)
	v_mul_f64 v[192:193], v[174:175], v[118:119]
	v_add_f64 v[2:3], v[6:7], v[2:3]
	v_fma_f64 v[4:5], v[110:111], v[84:85], -v[4:5]
	s_waitcnt vmcnt(40)
	v_fmac_f64_e32 v[192:193], v[176:177], v[122:123]
	v_add_f64 v[2:3], v[2:3], v[4:5]
	v_mul_f64 v[4:5], v[146:147], v[78:79]
	v_add_f64 v[194:195], v[190:191], v[192:193]
	ds_read_b128 v[190:193], v152 offset:992
	v_fma_f64 v[4:5], v[144:145], v[80:81], -v[4:5]
	v_add_f64 v[2:3], v[2:3], v[4:5]
	v_mul_f64 v[4:5], v[150:151], v[90:91]
	v_fma_f64 v[4:5], v[148:149], v[92:93], -v[4:5]
	s_waitcnt lgkmcnt(1)
	v_mul_f64 v[196:197], v[178:179], v[114:115]
	v_add_f64 v[2:3], v[2:3], v[4:5]
	v_mul_f64 v[4:5], v[156:157], v[86:87]
	v_fmac_f64_e32 v[196:197], v[180:181], v[116:117]
	v_fma_f64 v[4:5], v[154:155], v[88:89], -v[4:5]
	v_add_f64 v[198:199], v[194:195], v[196:197]
	ds_read_b128 v[194:197], v152 offset:1008
	s_waitcnt vmcnt(34) lgkmcnt(1)
	v_mul_f64 v[200:201], v[190:191], v[128:129]
	v_add_f64 v[2:3], v[2:3], v[4:5]
	v_mul_f64 v[4:5], v[160:161], v[98:99]
	s_waitcnt vmcnt(32)
	v_fmac_f64_e32 v[200:201], v[192:193], v[130:131]
	v_fma_f64 v[4:5], v[158:159], v[100:101], -v[4:5]
	v_add_f64 v[202:203], v[198:199], v[200:201]
	ds_read_b128 v[198:201], v152 offset:1024
	v_add_f64 v[2:3], v[2:3], v[4:5]
	v_mul_f64 v[4:5], v[164:165], v[94:95]
	v_fma_f64 v[4:5], v[162:163], v[96:97], -v[4:5]
	v_add_f64 v[2:3], v[2:3], v[4:5]
	v_mul_f64 v[4:5], v[168:169], v[106:107]
	s_waitcnt lgkmcnt(1)
	v_mul_f64 v[204:205], v[194:195], v[124:125]
	v_fma_f64 v[4:5], v[166:167], v[108:109], -v[4:5]
	v_fmac_f64_e32 v[204:205], v[196:197], v[126:127]
	v_add_f64 v[2:3], v[2:3], v[4:5]
	v_mul_f64 v[4:5], v[172:173], v[102:103]
	v_add_f64 v[206:207], v[202:203], v[204:205]
	ds_read_b128 v[202:205], v152 offset:1040
	s_waitcnt vmcnt(26) lgkmcnt(1)
	v_mul_f64 v[208:209], v[198:199], v[136:137]
	v_fma_f64 v[4:5], v[170:171], v[104:105], -v[4:5]
	s_waitcnt vmcnt(24)
	v_fmac_f64_e32 v[208:209], v[200:201], v[138:139]
	v_add_f64 v[2:3], v[2:3], v[4:5]
	v_mul_f64 v[4:5], v[176:177], v[118:119]
	v_add_f64 v[210:211], v[206:207], v[208:209]
	ds_read_b128 v[206:209], v152 offset:1056
	v_fma_f64 v[4:5], v[174:175], v[122:123], -v[4:5]
	v_add_f64 v[2:3], v[2:3], v[4:5]
	v_mul_f64 v[4:5], v[180:181], v[114:115]
	v_fma_f64 v[4:5], v[178:179], v[116:117], -v[4:5]
	s_waitcnt lgkmcnt(1)
	v_mul_f64 v[212:213], v[202:203], v[132:133]
	v_add_f64 v[2:3], v[2:3], v[4:5]
	v_mul_f64 v[4:5], v[192:193], v[128:129]
	v_fmac_f64_e32 v[212:213], v[204:205], v[134:135]
	v_fma_f64 v[4:5], v[190:191], v[130:131], -v[4:5]
	v_add_f64 v[214:215], v[210:211], v[212:213]
	ds_read_b128 v[210:213], v152 offset:1072
	s_waitcnt vmcnt(18) lgkmcnt(1)
	v_mul_f64 v[216:217], v[206:207], v[182:183]
	v_add_f64 v[2:3], v[2:3], v[4:5]
	v_mul_f64 v[4:5], v[196:197], v[124:125]
	s_waitcnt vmcnt(16)
	v_fmac_f64_e32 v[216:217], v[208:209], v[184:185]
	v_fma_f64 v[4:5], v[194:195], v[126:127], -v[4:5]
	v_add_f64 v[218:219], v[214:215], v[216:217]
	ds_read_b128 v[214:217], v152 offset:1088
	v_add_f64 v[2:3], v[2:3], v[4:5]
	v_mul_f64 v[4:5], v[200:201], v[136:137]
	v_fma_f64 v[4:5], v[198:199], v[138:139], -v[4:5]
	v_add_f64 v[2:3], v[2:3], v[4:5]
	v_mul_f64 v[4:5], v[204:205], v[132:133]
	s_waitcnt lgkmcnt(1)
	v_mul_f64 v[220:221], v[210:211], v[140:141]
	v_fma_f64 v[4:5], v[202:203], v[134:135], -v[4:5]
	v_fmac_f64_e32 v[220:221], v[212:213], v[142:143]
	v_add_f64 v[2:3], v[2:3], v[4:5]
	v_mul_f64 v[4:5], v[208:209], v[182:183]
	v_add_f64 v[222:223], v[218:219], v[220:221]
	ds_read_b128 v[218:221], v152 offset:1104
	s_waitcnt vmcnt(10) lgkmcnt(1)
	v_mul_f64 v[224:225], v[214:215], v[234:235]
	v_fma_f64 v[4:5], v[206:207], v[184:185], -v[4:5]
	s_waitcnt vmcnt(8)
	v_fmac_f64_e32 v[224:225], v[216:217], v[236:237]
	v_add_f64 v[2:3], v[2:3], v[4:5]
	v_mul_f64 v[4:5], v[212:213], v[140:141]
	v_add_f64 v[246:247], v[222:223], v[224:225]
	ds_read_b128 v[222:225], v152 offset:1120
	ds_read_b128 v[226:229], v152 offset:1136
	v_fma_f64 v[4:5], v[210:211], v[142:143], -v[4:5]
	v_add_f64 v[2:3], v[2:3], v[4:5]
	v_mul_f64 v[4:5], v[216:217], v[234:235]
	v_fma_f64 v[4:5], v[214:215], v[236:237], -v[4:5]
	v_add_f64 v[2:3], v[2:3], v[4:5]
	s_waitcnt lgkmcnt(2)
	v_mul_f64 v[4:5], v[220:221], v[230:231]
	v_mul_f64 v[248:249], v[218:219], v[230:231]
	v_fma_f64 v[4:5], v[218:219], v[232:233], -v[4:5]
	v_fmac_f64_e32 v[248:249], v[220:221], v[232:233]
	v_add_f64 v[2:3], v[2:3], v[4:5]
	s_waitcnt vmcnt(2) lgkmcnt(1)
	v_mul_f64 v[4:5], v[224:225], v[242:243]
	v_add_f64 v[246:247], v[246:247], v[248:249]
	v_mul_f64 v[248:249], v[222:223], v[242:243]
	s_waitcnt vmcnt(0)
	v_fma_f64 v[4:5], v[222:223], v[244:245], -v[4:5]
	v_fmac_f64_e32 v[248:249], v[224:225], v[244:245]
	v_add_f64 v[2:3], v[2:3], v[4:5]
	s_waitcnt lgkmcnt(0)
	v_mul_f64 v[4:5], v[228:229], v[238:239]
	v_add_f64 v[246:247], v[246:247], v[248:249]
	v_mul_f64 v[248:249], v[226:227], v[238:239]
	v_fma_f64 v[4:5], v[226:227], v[240:241], -v[4:5]
	v_fmac_f64_e32 v[248:249], v[228:229], v[240:241]
	v_add_f64 v[2:3], v[2:3], v[4:5]
	v_add_f64 v[246:247], v[246:247], v[248:249]
	v_add_f64 v[2:3], v[62:63], -v[2:3]
	v_add_f64 v[4:5], v[60:61], -v[246:247]
	buffer_store_dword v3, off, s[0:3], 0 offset:116
	buffer_store_dword v2, off, s[0:3], 0 offset:112
	;; [unrolled: 1-line block ×4, first 2 shown]
	s_and_saveexec_b64 s[4:5], vcc
	s_cbranch_execz .LBB35_219
; %bb.218:
	v_accvgpr_read_b32 v5, a97
	buffer_load_dword v2, v5, s[0:3], 0 offen
	buffer_load_dword v3, v5, s[0:3], 0 offen offset:4
	buffer_load_dword v4, v5, s[0:3], 0 offen offset:8
	s_nop 0
	buffer_load_dword v5, v5, s[0:3], 0 offen offset:12
	s_nop 0
	buffer_store_dword v152, off, s[0:3], 0 offset:96
	buffer_store_dword v152, off, s[0:3], 0 offset:100
	;; [unrolled: 1-line block ×4, first 2 shown]
	s_waitcnt vmcnt(4)
	ds_write_b128 v1, v[2:5]
.LBB35_219:
	s_or_b64 exec, exec, s[4:5]
	s_waitcnt lgkmcnt(0)
	; wave barrier
	s_waitcnt lgkmcnt(0)
	buffer_load_dword v48, off, s[0:3], 0 offset:112
	buffer_load_dword v49, off, s[0:3], 0 offset:116
	;; [unrolled: 1-line block ×40, first 2 shown]
	ds_read_b128 v[38:41], v152 offset:672
	ds_read_b128 v[34:37], v152 offset:688
	;; [unrolled: 1-line block ×10, first 2 shown]
	buffer_load_dword v83, off, s[0:3], 0 offset:284
	buffer_load_dword v82, off, s[0:3], 0 offset:280
	;; [unrolled: 1-line block ×8, first 2 shown]
	v_cmp_lt_u32_e32 vcc, 4, v0
	s_waitcnt vmcnt(44) lgkmcnt(9)
	v_mul_f64 v[90:91], v[38:39], v[50:51]
	v_fmac_f64_e32 v[90:91], v[40:41], v[48:49]
	v_add_f64 v[90:91], v[90:91], 0
	v_mul_f64 v[40:41], v[40:41], v[50:51]
	s_waitcnt vmcnt(40) lgkmcnt(8)
	v_mul_f64 v[92:93], v[34:35], v[44:45]
	v_fmac_f64_e32 v[92:93], v[36:37], v[42:43]
	s_waitcnt vmcnt(38) lgkmcnt(7)
	v_mul_f64 v[94:95], v[30:31], v[46:47]
	v_add_f64 v[90:91], v[90:91], v[92:93]
	s_waitcnt vmcnt(36) lgkmcnt(5)
	v_mul_f64 v[98:99], v[22:23], v[52:53]
	v_mul_f64 v[36:37], v[36:37], v[44:45]
	s_waitcnt vmcnt(34)
	v_fmac_f64_e32 v[98:99], v[24:25], v[54:55]
	v_fma_f64 v[34:35], v[34:35], v[42:43], -v[36:37]
	s_waitcnt vmcnt(32)
	v_mul_f64 v[96:97], v[26:27], v[56:57]
	v_mul_f64 v[24:25], v[24:25], v[52:53]
	s_waitcnt vmcnt(30) lgkmcnt(4)
	v_mul_f64 v[100:101], v[18:19], v[62:63]
	v_fma_f64 v[22:23], v[22:23], v[54:55], -v[24:25]
	s_waitcnt vmcnt(28) lgkmcnt(1)
	v_mul_f64 v[124:125], v[2:3], v[64:65]
	s_waitcnt vmcnt(25)
	v_mul_f64 v[104:105], v[6:7], v[68:69]
	s_waitcnt vmcnt(23)
	;; [unrolled: 2-line block ×3, first 2 shown]
	v_fmac_f64_e32 v[102:103], v[12:13], v[72:73]
	v_mul_f64 v[12:13], v[12:13], v[70:71]
	s_waitcnt vmcnt(19)
	v_fmac_f64_e32 v[94:95], v[32:33], v[80:81]
	v_add_f64 v[90:91], v[90:91], v[94:95]
	s_waitcnt vmcnt(17)
	v_fmac_f64_e32 v[96:97], v[28:29], v[78:79]
	v_add_f64 v[90:91], v[90:91], v[96:97]
	;; [unrolled: 3-line block ×3, first 2 shown]
	v_add_f64 v[90:91], v[90:91], v[100:101]
	s_waitcnt vmcnt(13)
	v_fmac_f64_e32 v[104:105], v[8:9], v[74:75]
	v_add_f64 v[90:91], v[90:91], v[102:103]
	v_add_f64 v[126:127], v[90:91], v[104:105]
	buffer_load_dword v91, off, s[0:3], 0 offset:316
	buffer_load_dword v90, off, s[0:3], 0 offset:312
	buffer_load_dword v93, off, s[0:3], 0 offset:308
	buffer_load_dword v92, off, s[0:3], 0 offset:304
	buffer_load_dword v95, off, s[0:3], 0 offset:300
	buffer_load_dword v94, off, s[0:3], 0 offset:296
	buffer_load_dword v97, off, s[0:3], 0 offset:292
	buffer_load_dword v96, off, s[0:3], 0 offset:288
	buffer_load_dword v99, off, s[0:3], 0 offset:348
	buffer_load_dword v98, off, s[0:3], 0 offset:344
	buffer_load_dword v101, off, s[0:3], 0 offset:340
	buffer_load_dword v100, off, s[0:3], 0 offset:336
	buffer_load_dword v103, off, s[0:3], 0 offset:332
	buffer_load_dword v102, off, s[0:3], 0 offset:328
	buffer_load_dword v105, off, s[0:3], 0 offset:324
	buffer_load_dword v104, off, s[0:3], 0 offset:320
	buffer_load_dword v107, off, s[0:3], 0 offset:380
	buffer_load_dword v106, off, s[0:3], 0 offset:376
	buffer_load_dword v109, off, s[0:3], 0 offset:372
	buffer_load_dword v108, off, s[0:3], 0 offset:368
	buffer_load_dword v111, off, s[0:3], 0 offset:364
	buffer_load_dword v110, off, s[0:3], 0 offset:360
	buffer_load_dword v113, off, s[0:3], 0 offset:356
	buffer_load_dword v112, off, s[0:3], 0 offset:352
	buffer_load_dword v115, off, s[0:3], 0 offset:412
	buffer_load_dword v114, off, s[0:3], 0 offset:408
	buffer_load_dword v117, off, s[0:3], 0 offset:404
	buffer_load_dword v116, off, s[0:3], 0 offset:400
	buffer_load_dword v119, off, s[0:3], 0 offset:396
	buffer_load_dword v118, off, s[0:3], 0 offset:392
	buffer_load_dword v123, off, s[0:3], 0 offset:388
	buffer_load_dword v122, off, s[0:3], 0 offset:384
	buffer_load_dword v129, off, s[0:3], 0 offset:444
	buffer_load_dword v128, off, s[0:3], 0 offset:440
	buffer_load_dword v131, off, s[0:3], 0 offset:436
	buffer_load_dword v130, off, s[0:3], 0 offset:432
	buffer_load_dword v133, off, s[0:3], 0 offset:428
	buffer_load_dword v132, off, s[0:3], 0 offset:424
	buffer_load_dword v135, off, s[0:3], 0 offset:420
	buffer_load_dword v134, off, s[0:3], 0 offset:416
	buffer_load_dword v137, off, s[0:3], 0 offset:476
	buffer_load_dword v136, off, s[0:3], 0 offset:472
	buffer_load_dword v139, off, s[0:3], 0 offset:468
	buffer_load_dword v138, off, s[0:3], 0 offset:464
	buffer_load_dword v141, off, s[0:3], 0 offset:460
	buffer_load_dword v140, off, s[0:3], 0 offset:456
	buffer_load_dword v143, off, s[0:3], 0 offset:452
	buffer_load_dword v142, off, s[0:3], 0 offset:448
	buffer_load_dword v145, off, s[0:3], 0 offset:508
	buffer_load_dword v144, off, s[0:3], 0 offset:504
	buffer_load_dword v147, off, s[0:3], 0 offset:500
	buffer_load_dword v146, off, s[0:3], 0 offset:496
	buffer_load_dword v149, off, s[0:3], 0 offset:492
	buffer_load_dword v148, off, s[0:3], 0 offset:488
	buffer_load_dword v151, off, s[0:3], 0 offset:484
	buffer_load_dword v150, off, s[0:3], 0 offset:480
	buffer_load_dword v183, off, s[0:3], 0 offset:540
	buffer_load_dword v182, off, s[0:3], 0 offset:536
	buffer_load_dword v185, off, s[0:3], 0 offset:532
	buffer_load_dword v184, off, s[0:3], 0 offset:528
	buffer_load_dword v231, off, s[0:3], 0 offset:524
	buffer_load_dword v230, off, s[0:3], 0 offset:520
	buffer_load_dword v233, off, s[0:3], 0 offset:516
	buffer_load_dword v232, off, s[0:3], 0 offset:512
	buffer_load_dword v235, off, s[0:3], 0 offset:572
	buffer_load_dword v234, off, s[0:3], 0 offset:568
	buffer_load_dword v237, off, s[0:3], 0 offset:564
	buffer_load_dword v236, off, s[0:3], 0 offset:560
	buffer_load_dword v239, off, s[0:3], 0 offset:556
	buffer_load_dword v238, off, s[0:3], 0 offset:552
	buffer_load_dword v241, off, s[0:3], 0 offset:548
	buffer_load_dword v240, off, s[0:3], 0 offset:544
	s_waitcnt vmcnt(62)
	v_fmac_f64_e32 v[124:125], v[4:5], v[66:67]
	v_add_f64 v[154:155], v[126:127], v[124:125]
	ds_read_b128 v[124:127], v152 offset:832
	buffer_load_dword v243, off, s[0:3], 0 offset:588
	buffer_load_dword v242, off, s[0:3], 0 offset:584
	;; [unrolled: 1-line block ×4, first 2 shown]
	s_waitcnt lgkmcnt(1)
	v_mul_f64 v[156:157], v[14:15], v[86:87]
	v_fmac_f64_e32 v[156:157], v[16:17], v[88:89]
	v_add_f64 v[158:159], v[154:155], v[156:157]
	ds_read_b128 v[154:157], v152 offset:848
	s_waitcnt lgkmcnt(1)
	v_mul_f64 v[160:161], v[124:125], v[82:83]
	v_fmac_f64_e32 v[160:161], v[126:127], v[84:85]
	v_add_f64 v[162:163], v[158:159], v[160:161]
	ds_read_b128 v[158:161], v152 offset:864
	v_mul_f64 v[32:33], v[32:33], v[46:47]
	s_waitcnt lgkmcnt(1)
	v_mul_f64 v[164:165], v[154:155], v[94:95]
	v_fma_f64 v[30:31], v[30:31], v[80:81], -v[32:33]
	v_fmac_f64_e32 v[164:165], v[156:157], v[96:97]
	v_add_f64 v[166:167], v[162:163], v[164:165]
	ds_read_b128 v[162:165], v152 offset:880
	s_waitcnt lgkmcnt(1)
	v_mul_f64 v[168:169], v[158:159], v[90:91]
	v_fmac_f64_e32 v[168:169], v[160:161], v[92:93]
	v_add_f64 v[170:171], v[166:167], v[168:169]
	ds_read_b128 v[166:169], v152 offset:896
	s_waitcnt vmcnt(62) lgkmcnt(1)
	v_mul_f64 v[172:173], v[162:163], v[102:103]
	s_waitcnt vmcnt(60)
	v_fmac_f64_e32 v[172:173], v[164:165], v[104:105]
	v_add_f64 v[174:175], v[170:171], v[172:173]
	ds_read_b128 v[170:173], v152 offset:912
	s_waitcnt lgkmcnt(1)
	v_mul_f64 v[176:177], v[166:167], v[98:99]
	v_fmac_f64_e32 v[176:177], v[168:169], v[100:101]
	v_add_f64 v[178:179], v[174:175], v[176:177]
	ds_read_b128 v[174:177], v152 offset:928
	s_waitcnt vmcnt(54) lgkmcnt(1)
	v_mul_f64 v[180:181], v[170:171], v[110:111]
	s_waitcnt vmcnt(52)
	;; [unrolled: 11-line block ×7, first 2 shown]
	v_fmac_f64_e32 v[228:229], v[220:221], v[232:233]
	v_add_f64 v[246:247], v[226:227], v[228:229]
	ds_read_b128 v[226:229], v152 offset:1104
	s_waitcnt lgkmcnt(1)
	v_mul_f64 v[248:249], v[222:223], v[182:183]
	v_fmac_f64_e32 v[248:249], v[224:225], v[184:185]
	v_add_f64 v[246:247], v[246:247], v[248:249]
	v_fma_f64 v[248:249], v[38:39], v[48:49], -v[40:41]
	ds_read_b128 v[38:41], v152 offset:1120
	ds_read_b128 v[48:51], v152 offset:1136
	s_waitcnt vmcnt(6) lgkmcnt(2)
	v_mul_f64 v[250:251], v[226:227], v[238:239]
	s_waitcnt vmcnt(4)
	v_fmac_f64_e32 v[250:251], v[228:229], v[240:241]
	v_add_f64 v[152:153], v[246:247], v[250:251]
	s_waitcnt lgkmcnt(1)
	v_mul_f64 v[246:247], v[38:39], v[234:235]
	v_fmac_f64_e32 v[246:247], v[40:41], v[236:237]
	v_add_f64 v[152:153], v[152:153], v[246:247]
	s_waitcnt vmcnt(2) lgkmcnt(0)
	v_mul_f64 v[246:247], v[48:49], v[242:243]
	s_waitcnt vmcnt(0)
	v_fmac_f64_e32 v[246:247], v[50:51], v[244:245]
	v_add_f64 v[152:153], v[152:153], v[246:247]
	v_add_f64 v[246:247], v[248:249], 0
	;; [unrolled: 1-line block ×3, first 2 shown]
	v_mul_f64 v[28:29], v[28:29], v[56:57]
	v_add_f64 v[30:31], v[34:35], v[30:31]
	v_fma_f64 v[26:27], v[26:27], v[78:79], -v[28:29]
	v_add_f64 v[26:27], v[30:31], v[26:27]
	v_mul_f64 v[20:21], v[20:21], v[62:63]
	v_add_f64 v[22:23], v[26:27], v[22:23]
	v_fma_f64 v[18:19], v[18:19], v[76:77], -v[20:21]
	v_add_f64 v[18:19], v[22:23], v[18:19]
	v_fma_f64 v[10:11], v[10:11], v[72:73], -v[12:13]
	v_mul_f64 v[8:9], v[8:9], v[68:69]
	v_add_f64 v[10:11], v[18:19], v[10:11]
	v_fma_f64 v[6:7], v[6:7], v[74:75], -v[8:9]
	v_mul_f64 v[4:5], v[4:5], v[64:65]
	;; [unrolled: 3-line block ×3, first 2 shown]
	v_add_f64 v[2:3], v[6:7], v[2:3]
	v_fma_f64 v[4:5], v[14:15], v[88:89], -v[4:5]
	v_add_f64 v[2:3], v[2:3], v[4:5]
	v_mul_f64 v[4:5], v[126:127], v[82:83]
	v_fma_f64 v[4:5], v[124:125], v[84:85], -v[4:5]
	v_add_f64 v[2:3], v[2:3], v[4:5]
	v_mul_f64 v[4:5], v[156:157], v[94:95]
	;; [unrolled: 3-line block ×20, first 2 shown]
	v_fma_f64 v[4:5], v[48:49], v[244:245], -v[4:5]
	v_add_f64 v[2:3], v[2:3], v[4:5]
	v_add_f64 v[2:3], v[60:61], -v[2:3]
	v_add_f64 v[4:5], v[58:59], -v[152:153]
	buffer_store_dword v3, off, s[0:3], 0 offset:100
	buffer_store_dword v2, off, s[0:3], 0 offset:96
	;; [unrolled: 1-line block ×4, first 2 shown]
	s_and_saveexec_b64 s[4:5], vcc
	s_cbranch_execz .LBB35_221
; %bb.220:
	v_accvgpr_read_b32 v5, a98
	buffer_load_dword v2, v5, s[0:3], 0 offen
	buffer_load_dword v3, v5, s[0:3], 0 offen offset:4
	buffer_load_dword v4, v5, s[0:3], 0 offen offset:8
	s_nop 0
	buffer_load_dword v5, v5, s[0:3], 0 offen offset:12
	v_mov_b32_e32 v6, 0
	buffer_store_dword v6, off, s[0:3], 0 offset:80
	buffer_store_dword v6, off, s[0:3], 0 offset:84
	;; [unrolled: 1-line block ×4, first 2 shown]
	s_waitcnt vmcnt(4)
	ds_write_b128 v1, v[2:5]
.LBB35_221:
	s_or_b64 exec, exec, s[4:5]
	s_waitcnt lgkmcnt(0)
	; wave barrier
	s_waitcnt lgkmcnt(0)
	buffer_load_dword v106, off, s[0:3], 0 offset:96
	buffer_load_dword v107, off, s[0:3], 0 offset:100
	;; [unrolled: 1-line block ×49, first 2 shown]
	v_mov_b32_e32 v180, 0
	ds_read_b128 v[110:113], v180 offset:656
	ds_read_b128 v[182:185], v180 offset:672
	;; [unrolled: 1-line block ×10, first 2 shown]
	buffer_load_dword v152, off, s[0:3], 0 offset:288
	buffer_load_dword v167, off, s[0:3], 0 offset:284
	buffer_load_dword v166, off, s[0:3], 0 offset:280
	buffer_load_dword v171, off, s[0:3], 0 offset:276
	buffer_load_dword v170, off, s[0:3], 0 offset:272
	buffer_load_dword v155, off, s[0:3], 0 offset:332
	buffer_load_dword v154, off, s[0:3], 0 offset:328
	buffer_load_dword v157, off, s[0:3], 0 offset:324
	buffer_load_dword v156, off, s[0:3], 0 offset:320
	buffer_load_dword v201, off, s[0:3], 0 offset:316
	buffer_load_dword v200, off, s[0:3], 0 offset:312
	buffer_load_dword v205, off, s[0:3], 0 offset:308
	buffer_load_dword v204, off, s[0:3], 0 offset:304
	buffer_load_dword v159, off, s[0:3], 0 offset:364
	buffer_load_dword v158, off, s[0:3], 0 offset:360
	buffer_load_dword v161, off, s[0:3], 0 offset:356
	buffer_load_dword v160, off, s[0:3], 0 offset:352
	buffer_load_dword v209, off, s[0:3], 0 offset:348
	buffer_load_dword v208, off, s[0:3], 0 offset:344
	buffer_load_dword v213, off, s[0:3], 0 offset:340
	buffer_load_dword v212, off, s[0:3], 0 offset:336
	buffer_load_dword v163, off, s[0:3], 0 offset:396
	buffer_load_dword v162, off, s[0:3], 0 offset:392
	buffer_load_dword v165, off, s[0:3], 0 offset:388
	buffer_load_dword v164, off, s[0:3], 0 offset:384
	buffer_load_dword v217, off, s[0:3], 0 offset:380
	buffer_load_dword v216, off, s[0:3], 0 offset:376
	buffer_load_dword v221, off, s[0:3], 0 offset:372
	buffer_load_dword v220, off, s[0:3], 0 offset:368
	buffer_load_dword v169, off, s[0:3], 0 offset:428
	buffer_load_dword v168, off, s[0:3], 0 offset:424
	buffer_load_dword v199, off, s[0:3], 0 offset:420
	buffer_load_dword v198, off, s[0:3], 0 offset:416
	buffer_load_dword v225, off, s[0:3], 0 offset:412
	buffer_load_dword v224, off, s[0:3], 0 offset:408
	buffer_load_dword v229, off, s[0:3], 0 offset:404
	buffer_load_dword v228, off, s[0:3], 0 offset:400
	buffer_load_dword v203, off, s[0:3], 0 offset:460
	buffer_load_dword v202, off, s[0:3], 0 offset:456
	buffer_load_dword v207, off, s[0:3], 0 offset:452
	buffer_load_dword v206, off, s[0:3], 0 offset:448
	buffer_load_dword v233, off, s[0:3], 0 offset:444
	buffer_load_dword v232, off, s[0:3], 0 offset:440
	buffer_load_dword v235, off, s[0:3], 0 offset:436
	buffer_load_dword v234, off, s[0:3], 0 offset:432
	buffer_load_dword v211, off, s[0:3], 0 offset:492
	buffer_load_dword v210, off, s[0:3], 0 offset:488
	buffer_load_dword v215, off, s[0:3], 0 offset:484
	buffer_load_dword v214, off, s[0:3], 0 offset:480
	buffer_load_dword v237, off, s[0:3], 0 offset:476
	buffer_load_dword v236, off, s[0:3], 0 offset:472
	buffer_load_dword v239, off, s[0:3], 0 offset:468
	buffer_load_dword v238, off, s[0:3], 0 offset:464
	buffer_load_dword v219, off, s[0:3], 0 offset:524
	buffer_load_dword v218, off, s[0:3], 0 offset:520
	buffer_load_dword v223, off, s[0:3], 0 offset:516
	buffer_load_dword v222, off, s[0:3], 0 offset:512
	buffer_load_dword v243, off, s[0:3], 0 offset:508
	buffer_load_dword v242, off, s[0:3], 0 offset:504
	buffer_load_dword v247, off, s[0:3], 0 offset:500
	buffer_load_dword v246, off, s[0:3], 0 offset:496
	buffer_load_dword v227, off, s[0:3], 0 offset:556
	buffer_load_dword v226, off, s[0:3], 0 offset:552
	buffer_load_dword v231, off, s[0:3], 0 offset:548
	buffer_load_dword v230, off, s[0:3], 0 offset:544
	buffer_load_dword v249, off, s[0:3], 0 offset:540
	buffer_load_dword v248, off, s[0:3], 0 offset:536
	buffer_load_dword v251, off, s[0:3], 0 offset:532
	buffer_load_dword v250, off, s[0:3], 0 offset:528
	v_cmp_lt_u32_e32 vcc, 3, v0
	s_waitcnt vmcnt(62) lgkmcnt(9)
	v_mul_f64 v[34:35], v[110:111], v[108:109]
	v_fmac_f64_e32 v[34:35], v[112:113], v[106:107]
	v_add_f64 v[34:35], v[34:35], 0
	v_mul_f64 v[108:109], v[112:113], v[108:109]
	s_waitcnt lgkmcnt(8)
	v_mul_f64 v[36:37], v[182:183], v[116:117]
	v_fmac_f64_e32 v[36:37], v[184:185], v[114:115]
	s_waitcnt lgkmcnt(7)
	v_mul_f64 v[38:39], v[30:31], v[190:191]
	v_add_f64 v[34:35], v[34:35], v[36:37]
	s_waitcnt lgkmcnt(5)
	v_mul_f64 v[42:43], v[22:23], v[192:193]
	v_mul_f64 v[116:117], v[184:185], v[116:117]
	v_fmac_f64_e32 v[42:43], v[24:25], v[194:195]
	v_fma_f64 v[254:255], v[182:183], v[114:115], -v[116:117]
	v_mul_f64 v[40:41], v[26:27], v[196:197]
	v_mul_f64 v[24:25], v[24:25], v[192:193]
	s_waitcnt lgkmcnt(3)
	v_mul_f64 v[46:47], v[14:15], v[118:119]
	v_fma_f64 v[22:23], v[22:23], v[194:195], -v[24:25]
	v_fmac_f64_e32 v[46:47], v[16:17], v[122:123]
	v_mul_f64 v[16:17], v[16:17], v[118:119]
	v_mul_f64 v[44:45], v[18:19], v[124:125]
	v_fma_f64 v[14:15], v[14:15], v[122:123], -v[16:17]
	s_waitcnt lgkmcnt(1)
	v_mul_f64 v[50:51], v[6:7], v[126:127]
	v_fmac_f64_e32 v[50:51], v[8:9], v[128:129]
	v_mul_f64 v[8:9], v[8:9], v[126:127]
	v_mul_f64 v[48:49], v[10:11], v[134:135]
	v_fma_f64 v[6:7], v[6:7], v[128:129], -v[8:9]
	s_waitcnt lgkmcnt(0)
	v_mul_f64 v[52:53], v[2:3], v[130:131]
	v_fmac_f64_e32 v[38:39], v[32:33], v[146:147]
	v_add_f64 v[34:35], v[34:35], v[38:39]
	v_fmac_f64_e32 v[40:41], v[28:29], v[144:145]
	v_add_f64 v[34:35], v[34:35], v[40:41]
	;; [unrolled: 2-line block ×3, first 2 shown]
	v_add_f64 v[34:35], v[34:35], v[44:45]
	v_fmac_f64_e32 v[48:49], v[12:13], v[140:141]
	v_add_f64 v[34:35], v[34:35], v[46:47]
	v_add_f64 v[34:35], v[34:35], v[48:49]
	v_fmac_f64_e32 v[52:53], v[4:5], v[138:139]
	v_add_f64 v[34:35], v[34:35], v[50:51]
	v_add_f64 v[42:43], v[34:35], v[52:53]
	ds_read_b128 v[38:41], v180 offset:816
	ds_read_b128 v[34:37], v180 offset:832
	buffer_load_dword v241, off, s[0:3], 0 offset:588
	buffer_load_dword v240, off, s[0:3], 0 offset:584
	;; [unrolled: 1-line block ×8, first 2 shown]
	ds_read_b128 v[114:117], v180 offset:1136
	v_mul_f64 v[32:33], v[32:33], v[190:191]
	s_waitcnt lgkmcnt(2)
	v_mul_f64 v[44:45], v[38:39], v[136:137]
	v_fmac_f64_e32 v[44:45], v[40:41], v[148:149]
	v_add_f64 v[46:47], v[42:43], v[44:45]
	ds_read_b128 v[42:45], v180 offset:848
	s_waitcnt lgkmcnt(2)
	v_mul_f64 v[48:49], v[34:35], v[166:167]
	v_fmac_f64_e32 v[48:49], v[36:37], v[170:171]
	v_add_f64 v[50:51], v[46:47], v[48:49]
	ds_read_b128 v[46:49], v180 offset:864
	;; [unrolled: 5-line block ×3, first 2 shown]
	s_waitcnt vmcnt(62) lgkmcnt(1)
	v_mul_f64 v[56:57], v[46:47], v[200:201]
	v_fmac_f64_e32 v[56:57], v[48:49], v[204:205]
	v_add_f64 v[58:59], v[54:55], v[56:57]
	ds_read_b128 v[54:57], v180 offset:896
	s_waitcnt lgkmcnt(1)
	v_mul_f64 v[60:61], v[50:51], v[154:155]
	v_fmac_f64_e32 v[60:61], v[52:53], v[156:157]
	v_add_f64 v[62:63], v[58:59], v[60:61]
	ds_read_b128 v[58:61], v180 offset:912
	s_waitcnt vmcnt(58) lgkmcnt(1)
	v_mul_f64 v[64:65], v[54:55], v[208:209]
	s_waitcnt vmcnt(56)
	v_fmac_f64_e32 v[64:65], v[56:57], v[212:213]
	v_add_f64 v[66:67], v[62:63], v[64:65]
	ds_read_b128 v[62:65], v180 offset:928
	s_waitcnt lgkmcnt(1)
	v_mul_f64 v[68:69], v[58:59], v[158:159]
	v_fmac_f64_e32 v[68:69], v[60:61], v[160:161]
	v_add_f64 v[70:71], v[66:67], v[68:69]
	ds_read_b128 v[66:69], v180 offset:944
	s_waitcnt vmcnt(50) lgkmcnt(1)
	v_mul_f64 v[72:73], v[62:63], v[216:217]
	s_waitcnt vmcnt(48)
	;; [unrolled: 11-line block ×5, first 2 shown]
	v_fmac_f64_e32 v[96:97], v[88:89], v[238:239]
	v_add_f64 v[98:99], v[94:95], v[96:97]
	ds_read_b128 v[94:97], v180 offset:1056
	s_waitcnt lgkmcnt(1)
	v_mul_f64 v[100:101], v[90:91], v[210:211]
	v_fmac_f64_e32 v[100:101], v[92:93], v[214:215]
	v_add_f64 v[174:175], v[98:99], v[100:101]
	ds_read_b128 v[98:101], v180 offset:1072
	ds_read_b128 v[102:105], v180 offset:1088
	s_waitcnt vmcnt(18) lgkmcnt(2)
	v_mul_f64 v[176:177], v[94:95], v[242:243]
	s_waitcnt vmcnt(16)
	v_fmac_f64_e32 v[176:177], v[96:97], v[246:247]
	v_add_f64 v[174:175], v[174:175], v[176:177]
	s_waitcnt lgkmcnt(1)
	v_mul_f64 v[176:177], v[98:99], v[218:219]
	v_fmac_f64_e32 v[176:177], v[100:101], v[222:223]
	v_add_f64 v[174:175], v[174:175], v[176:177]
	v_fma_f64 v[176:177], v[110:111], v[106:107], -v[108:109]
	ds_read_b128 v[110:113], v180 offset:1104
	ds_read_b128 v[106:109], v180 offset:1120
	s_waitcnt vmcnt(10) lgkmcnt(2)
	v_mul_f64 v[178:179], v[102:103], v[248:249]
	s_waitcnt vmcnt(8)
	v_fmac_f64_e32 v[178:179], v[104:105], v[250:251]
	v_add_f64 v[174:175], v[174:175], v[178:179]
	s_waitcnt lgkmcnt(1)
	v_mul_f64 v[178:179], v[110:111], v[226:227]
	v_fmac_f64_e32 v[178:179], v[112:113], v[230:231]
	v_add_f64 v[174:175], v[174:175], v[178:179]
	s_waitcnt vmcnt(2) lgkmcnt(0)
	v_mul_f64 v[178:179], v[106:107], v[172:173]
	s_waitcnt vmcnt(0)
	v_fmac_f64_e32 v[178:179], v[108:109], v[252:253]
	v_add_f64 v[174:175], v[174:175], v[178:179]
	v_mul_f64 v[178:179], v[114:115], v[240:241]
	v_fmac_f64_e32 v[178:179], v[116:117], v[244:245]
	v_add_f64 v[174:175], v[174:175], v[178:179]
	buffer_load_dword v178, off, s[0:3], 0 offset:88
	buffer_load_dword v179, off, s[0:3], 0 offset:92
	v_add_f64 v[176:177], v[176:177], 0
	v_add_f64 v[176:177], v[176:177], v[254:255]
	v_fma_f64 v[30:31], v[30:31], v[146:147], -v[32:33]
	v_mul_f64 v[28:29], v[28:29], v[196:197]
	v_add_f64 v[30:31], v[176:177], v[30:31]
	v_fma_f64 v[26:27], v[26:27], v[144:145], -v[28:29]
	v_add_f64 v[26:27], v[30:31], v[26:27]
	v_mul_f64 v[20:21], v[20:21], v[124:125]
	v_add_f64 v[22:23], v[26:27], v[22:23]
	v_fma_f64 v[18:19], v[18:19], v[142:143], -v[20:21]
	v_add_f64 v[18:19], v[22:23], v[18:19]
	;; [unrolled: 4-line block ×3, first 2 shown]
	v_mul_f64 v[4:5], v[4:5], v[130:131]
	v_add_f64 v[6:7], v[10:11], v[6:7]
	v_fma_f64 v[2:3], v[2:3], v[138:139], -v[4:5]
	v_mul_f64 v[4:5], v[40:41], v[136:137]
	v_add_f64 v[2:3], v[6:7], v[2:3]
	v_fma_f64 v[4:5], v[38:39], v[148:149], -v[4:5]
	v_add_f64 v[2:3], v[2:3], v[4:5]
	v_mul_f64 v[4:5], v[36:37], v[166:167]
	v_fma_f64 v[4:5], v[34:35], v[170:171], -v[4:5]
	v_add_f64 v[2:3], v[2:3], v[4:5]
	v_mul_f64 v[4:5], v[44:45], v[150:151]
	v_fma_f64 v[4:5], v[42:43], v[152:153], -v[4:5]
	v_add_f64 v[2:3], v[2:3], v[4:5]
	v_mul_f64 v[4:5], v[48:49], v[200:201]
	v_fma_f64 v[4:5], v[46:47], v[204:205], -v[4:5]
	v_add_f64 v[2:3], v[2:3], v[4:5]
	v_mul_f64 v[4:5], v[52:53], v[154:155]
	v_fma_f64 v[4:5], v[50:51], v[156:157], -v[4:5]
	v_add_f64 v[2:3], v[2:3], v[4:5]
	v_mul_f64 v[4:5], v[56:57], v[208:209]
	v_fma_f64 v[4:5], v[54:55], v[212:213], -v[4:5]
	v_add_f64 v[2:3], v[2:3], v[4:5]
	v_mul_f64 v[4:5], v[60:61], v[158:159]
	v_fma_f64 v[4:5], v[58:59], v[160:161], -v[4:5]
	v_add_f64 v[2:3], v[2:3], v[4:5]
	v_mul_f64 v[4:5], v[64:65], v[216:217]
	v_fma_f64 v[4:5], v[62:63], v[220:221], -v[4:5]
	v_add_f64 v[2:3], v[2:3], v[4:5]
	v_mul_f64 v[4:5], v[68:69], v[162:163]
	v_fma_f64 v[4:5], v[66:67], v[164:165], -v[4:5]
	v_add_f64 v[2:3], v[2:3], v[4:5]
	v_mul_f64 v[4:5], v[72:73], v[224:225]
	v_fma_f64 v[4:5], v[70:71], v[228:229], -v[4:5]
	v_add_f64 v[2:3], v[2:3], v[4:5]
	v_mul_f64 v[4:5], v[76:77], v[168:169]
	v_fma_f64 v[4:5], v[74:75], v[198:199], -v[4:5]
	v_add_f64 v[2:3], v[2:3], v[4:5]
	v_mul_f64 v[4:5], v[80:81], v[232:233]
	v_fma_f64 v[4:5], v[78:79], v[234:235], -v[4:5]
	v_add_f64 v[2:3], v[2:3], v[4:5]
	v_mul_f64 v[4:5], v[84:85], v[202:203]
	v_fma_f64 v[4:5], v[82:83], v[206:207], -v[4:5]
	v_add_f64 v[2:3], v[2:3], v[4:5]
	v_mul_f64 v[4:5], v[88:89], v[236:237]
	v_fma_f64 v[4:5], v[86:87], v[238:239], -v[4:5]
	v_add_f64 v[2:3], v[2:3], v[4:5]
	v_mul_f64 v[4:5], v[92:93], v[210:211]
	v_fma_f64 v[4:5], v[90:91], v[214:215], -v[4:5]
	v_add_f64 v[2:3], v[2:3], v[4:5]
	v_mul_f64 v[4:5], v[96:97], v[242:243]
	v_fma_f64 v[4:5], v[94:95], v[246:247], -v[4:5]
	v_add_f64 v[2:3], v[2:3], v[4:5]
	v_mul_f64 v[4:5], v[100:101], v[218:219]
	v_fma_f64 v[4:5], v[98:99], v[222:223], -v[4:5]
	v_add_f64 v[2:3], v[2:3], v[4:5]
	v_mul_f64 v[4:5], v[104:105], v[248:249]
	v_fma_f64 v[4:5], v[102:103], v[250:251], -v[4:5]
	v_add_f64 v[2:3], v[2:3], v[4:5]
	v_mul_f64 v[4:5], v[112:113], v[226:227]
	v_fma_f64 v[4:5], v[110:111], v[230:231], -v[4:5]
	v_add_f64 v[2:3], v[2:3], v[4:5]
	v_mul_f64 v[4:5], v[108:109], v[172:173]
	v_fma_f64 v[4:5], v[106:107], v[252:253], -v[4:5]
	v_add_f64 v[2:3], v[2:3], v[4:5]
	v_mul_f64 v[4:5], v[116:117], v[240:241]
	v_fma_f64 v[4:5], v[114:115], v[244:245], -v[4:5]
	v_add_f64 v[2:3], v[2:3], v[4:5]
	v_add_f64 v[2:3], v[132:133], -v[2:3]
	s_waitcnt vmcnt(0)
	v_add_f64 v[4:5], v[178:179], -v[174:175]
	buffer_store_dword v3, off, s[0:3], 0 offset:84
	buffer_store_dword v2, off, s[0:3], 0 offset:80
	;; [unrolled: 1-line block ×4, first 2 shown]
	s_and_saveexec_b64 s[4:5], vcc
	s_cbranch_execz .LBB35_223
; %bb.222:
	v_accvgpr_read_b32 v5, a100
	buffer_load_dword v2, v5, s[0:3], 0 offen
	buffer_load_dword v3, v5, s[0:3], 0 offen offset:4
	buffer_load_dword v4, v5, s[0:3], 0 offen offset:8
	s_nop 0
	buffer_load_dword v5, v5, s[0:3], 0 offen offset:12
	s_nop 0
	buffer_store_dword v180, off, s[0:3], 0 offset:64
	buffer_store_dword v180, off, s[0:3], 0 offset:68
	;; [unrolled: 1-line block ×4, first 2 shown]
	s_waitcnt vmcnt(4)
	ds_write_b128 v1, v[2:5]
.LBB35_223:
	s_or_b64 exec, exec, s[4:5]
	s_waitcnt lgkmcnt(0)
	; wave barrier
	s_waitcnt lgkmcnt(0)
	buffer_load_dword v112, off, s[0:3], 0 offset:80
	buffer_load_dword v113, off, s[0:3], 0 offset:84
	;; [unrolled: 1-line block ×36, first 2 shown]
	ds_read_b128 v[102:105], v180 offset:640
	ds_read_b128 v[106:109], v180 offset:656
	;; [unrolled: 1-line block ×9, first 2 shown]
	buffer_load_dword v123, off, s[0:3], 0 offset:252
	buffer_load_dword v122, off, s[0:3], 0 offset:248
	;; [unrolled: 1-line block ×78, first 2 shown]
	v_cmp_lt_u32_e32 vcc, 2, v0
	s_waitcnt vmcnt(62) lgkmcnt(8)
	v_mul_f64 v[26:27], v[102:103], v[174:175]
	v_fmac_f64_e32 v[26:27], v[104:105], v[112:113]
	v_add_f64 v[26:27], v[26:27], 0
	v_mul_f64 v[104:105], v[104:105], v[174:175]
	s_waitcnt lgkmcnt(7)
	v_mul_f64 v[28:29], v[106:107], v[176:177]
	v_fmac_f64_e32 v[28:29], v[108:109], v[110:111]
	s_waitcnt lgkmcnt(6)
	v_mul_f64 v[30:31], v[114:115], v[172:173]
	v_add_f64 v[26:27], v[26:27], v[28:29]
	s_waitcnt lgkmcnt(4)
	v_mul_f64 v[34:35], v[18:19], v[190:191]
	v_fma_f64 v[174:175], v[102:103], v[112:113], -v[104:105]
	v_fmac_f64_e32 v[34:35], v[20:21], v[192:193]
	v_mul_f64 v[108:109], v[108:109], v[176:177]
	v_mul_f64 v[32:33], v[22:23], v[194:195]
	v_fma_f64 v[176:177], v[106:107], v[110:111], -v[108:109]
	s_waitcnt lgkmcnt(2)
	v_mul_f64 v[38:39], v[10:11], v[196:197]
	v_add_f64 v[174:175], v[174:175], 0
	v_fmac_f64_e32 v[38:39], v[12:13], v[198:199]
	v_add_f64 v[174:175], v[174:175], v[176:177]
	v_mul_f64 v[36:37], v[14:15], v[202:203]
	v_mul_f64 v[20:21], v[20:21], v[190:191]
	s_waitcnt lgkmcnt(1)
	v_mul_f64 v[40:41], v[6:7], v[200:201]
	v_fma_f64 v[18:19], v[18:19], v[192:193], -v[20:21]
	v_fmac_f64_e32 v[30:31], v[116:117], v[254:255]
	v_add_f64 v[26:27], v[26:27], v[30:31]
	v_fmac_f64_e32 v[32:33], v[24:25], v[210:211]
	v_add_f64 v[26:27], v[26:27], v[32:33]
	;; [unrolled: 2-line block ×3, first 2 shown]
	v_add_f64 v[26:27], v[26:27], v[36:37]
	v_fmac_f64_e32 v[40:41], v[8:9], v[206:207]
	v_add_f64 v[30:31], v[26:27], v[38:39]
	ds_read_b128 v[26:29], v180 offset:784
	s_waitcnt lgkmcnt(1)
	v_mul_f64 v[32:33], v[2:3], v[204:205]
	v_add_f64 v[30:31], v[30:31], v[40:41]
	v_fmac_f64_e32 v[32:33], v[4:5], v[118:119]
	v_add_f64 v[34:35], v[30:31], v[32:33]
	ds_read_b128 v[30:33], v180 offset:800
	s_waitcnt lgkmcnt(1)
	v_mul_f64 v[36:37], v[26:27], v[126:127]
	buffer_load_dword v241, off, s[0:3], 0 offset:516
	buffer_load_dword v240, off, s[0:3], 0 offset:512
	v_fmac_f64_e32 v[36:37], v[28:29], v[128:129]
	v_add_f64 v[38:39], v[34:35], v[36:37]
	s_waitcnt lgkmcnt(0)
	v_mul_f64 v[40:41], v[30:31], v[122:123]
	ds_read_b128 v[34:37], v180 offset:816
	v_fmac_f64_e32 v[40:41], v[32:33], v[124:125]
	v_add_f64 v[42:43], v[38:39], v[40:41]
	ds_read_b128 v[38:41], v180 offset:832
	v_mul_f64 v[116:117], v[116:117], v[172:173]
	s_waitcnt lgkmcnt(1)
	v_mul_f64 v[44:45], v[34:35], v[138:139]
	v_fmac_f64_e32 v[44:45], v[36:37], v[140:141]
	v_add_f64 v[46:47], v[42:43], v[44:45]
	s_waitcnt lgkmcnt(0)
	v_mul_f64 v[48:49], v[38:39], v[130:131]
	v_fmac_f64_e32 v[48:49], v[40:41], v[132:133]
	ds_read_b128 v[42:45], v180 offset:848
	v_add_f64 v[50:51], v[46:47], v[48:49]
	ds_read_b128 v[46:49], v180 offset:864
	buffer_load_dword v243, off, s[0:3], 0 offset:572
	buffer_load_dword v245, off, s[0:3], 0 offset:556
	;; [unrolled: 1-line block ×12, first 2 shown]
	ds_read_b128 v[106:109], v180 offset:1104
	s_waitcnt vmcnt(62) lgkmcnt(2)
	v_mul_f64 v[52:53], v[42:43], v[154:155]
	v_fmac_f64_e32 v[52:53], v[44:45], v[158:159]
	v_add_f64 v[54:55], v[50:51], v[52:53]
	ds_read_b128 v[50:53], v180 offset:880
	s_waitcnt lgkmcnt(2)
	v_mul_f64 v[56:57], v[46:47], v[134:135]
	v_fmac_f64_e32 v[56:57], v[48:49], v[136:137]
	v_add_f64 v[58:59], v[54:55], v[56:57]
	ds_read_b128 v[54:57], v180 offset:896
	s_waitcnt lgkmcnt(1)
	v_mul_f64 v[60:61], v[50:51], v[162:163]
	s_waitcnt vmcnt(60)
	v_fmac_f64_e32 v[60:61], v[52:53], v[166:167]
	v_add_f64 v[62:63], v[58:59], v[60:61]
	ds_read_b128 v[58:61], v180 offset:912
	s_waitcnt lgkmcnt(1)
	v_mul_f64 v[64:65], v[54:55], v[142:143]
	v_fmac_f64_e32 v[64:65], v[56:57], v[144:145]
	v_add_f64 v[66:67], v[62:63], v[64:65]
	ds_read_b128 v[62:65], v180 offset:928
	s_waitcnt vmcnt(54) lgkmcnt(1)
	v_mul_f64 v[68:69], v[58:59], v[170:171]
	s_waitcnt vmcnt(52)
	v_fmac_f64_e32 v[68:69], v[60:61], v[214:215]
	v_add_f64 v[70:71], v[66:67], v[68:69]
	ds_read_b128 v[66:69], v180 offset:944
	s_waitcnt lgkmcnt(1)
	v_mul_f64 v[72:73], v[62:63], v[146:147]
	v_fmac_f64_e32 v[72:73], v[64:65], v[148:149]
	v_add_f64 v[74:75], v[70:71], v[72:73]
	ds_read_b128 v[70:73], v180 offset:960
	s_waitcnt vmcnt(46) lgkmcnt(1)
	;; [unrolled: 11-line block ×4, first 2 shown]
	v_mul_f64 v[92:93], v[82:83], v[230:231]
	s_waitcnt vmcnt(28)
	v_fmac_f64_e32 v[92:93], v[84:85], v[232:233]
	v_add_f64 v[98:99], v[90:91], v[92:93]
	ds_read_b128 v[90:93], v180 offset:1040
	ds_read_b128 v[94:97], v180 offset:1056
	s_waitcnt lgkmcnt(2)
	v_mul_f64 v[100:101], v[86:87], v[164:165]
	v_fmac_f64_e32 v[100:101], v[88:89], v[168:169]
	v_add_f64 v[98:99], v[98:99], v[100:101]
	s_waitcnt vmcnt(22) lgkmcnt(1)
	v_mul_f64 v[100:101], v[90:91], v[234:235]
	s_waitcnt vmcnt(20)
	v_fmac_f64_e32 v[100:101], v[92:93], v[236:237]
	v_add_f64 v[98:99], v[98:99], v[100:101]
	s_waitcnt lgkmcnt(0)
	v_mul_f64 v[100:101], v[94:95], v[212:213]
	v_fmac_f64_e32 v[100:101], v[96:97], v[216:217]
	v_add_f64 v[178:179], v[98:99], v[100:101]
	ds_read_b128 v[98:101], v180 offset:1072
	ds_read_b128 v[102:105], v180 offset:1088
	v_fma_f64 v[254:255], v[114:115], v[254:255], -v[116:117]
	ds_read_b128 v[114:117], v180 offset:1136
	v_mul_f64 v[24:25], v[24:25], v[194:195]
	s_waitcnt vmcnt(14) lgkmcnt(2)
	v_mul_f64 v[112:113], v[98:99], v[238:239]
	s_waitcnt lgkmcnt(1)
	v_mul_f64 v[110:111], v[102:103], v[220:221]
	s_waitcnt vmcnt(12)
	v_fmac_f64_e32 v[112:113], v[100:101], v[240:241]
	v_add_f64 v[112:113], v[178:179], v[112:113]
	v_fmac_f64_e32 v[110:111], v[104:105], v[224:225]
	v_add_f64 v[178:179], v[112:113], v[110:111]
	ds_read_b128 v[110:113], v180 offset:1120
	v_add_f64 v[174:175], v[174:175], v[254:255]
	v_fma_f64 v[22:23], v[22:23], v[210:211], -v[24:25]
	v_add_f64 v[22:23], v[174:175], v[22:23]
	s_waitcnt vmcnt(9)
	v_mul_f64 v[172:173], v[106:107], v[244:245]
	v_mul_f64 v[16:17], v[16:17], v[202:203]
	s_waitcnt vmcnt(7)
	v_fmac_f64_e32 v[172:173], v[108:109], v[250:251]
	v_add_f64 v[172:173], v[178:179], v[172:173]
	s_waitcnt vmcnt(6) lgkmcnt(0)
	v_mul_f64 v[178:179], v[110:111], v[242:243]
	s_waitcnt vmcnt(4)
	v_fmac_f64_e32 v[178:179], v[112:113], v[248:249]
	v_add_f64 v[172:173], v[172:173], v[178:179]
	s_waitcnt vmcnt(2)
	v_mul_f64 v[178:179], v[114:115], v[246:247]
	v_add_f64 v[18:19], v[22:23], v[18:19]
	s_waitcnt vmcnt(0)
	v_fmac_f64_e32 v[178:179], v[116:117], v[252:253]
	v_add_f64 v[172:173], v[172:173], v[178:179]
	buffer_load_dword v180, off, s[0:3], 0 offset:64
	buffer_load_dword v181, off, s[0:3], 0 offset:68
	;; [unrolled: 1-line block ×4, first 2 shown]
	v_fma_f64 v[14:15], v[14:15], v[208:209], -v[16:17]
	v_mul_f64 v[12:13], v[12:13], v[196:197]
	v_add_f64 v[14:15], v[18:19], v[14:15]
	v_fma_f64 v[10:11], v[10:11], v[198:199], -v[12:13]
	v_mul_f64 v[8:9], v[8:9], v[200:201]
	v_add_f64 v[10:11], v[14:15], v[10:11]
	;; [unrolled: 3-line block ×4, first 2 shown]
	v_fma_f64 v[4:5], v[26:27], v[128:129], -v[4:5]
	v_add_f64 v[2:3], v[2:3], v[4:5]
	v_mul_f64 v[4:5], v[32:33], v[122:123]
	v_fma_f64 v[4:5], v[30:31], v[124:125], -v[4:5]
	v_add_f64 v[2:3], v[2:3], v[4:5]
	v_mul_f64 v[4:5], v[36:37], v[138:139]
	;; [unrolled: 3-line block ×22, first 2 shown]
	v_fma_f64 v[4:5], v[114:115], v[252:253], -v[4:5]
	v_add_f64 v[2:3], v[2:3], v[4:5]
	s_waitcnt vmcnt(2)
	v_add_f64 v[2:3], v[180:181], -v[2:3]
	s_waitcnt vmcnt(0)
	v_add_f64 v[4:5], v[178:179], -v[172:173]
	buffer_store_dword v3, off, s[0:3], 0 offset:68
	buffer_store_dword v2, off, s[0:3], 0 offset:64
	;; [unrolled: 1-line block ×4, first 2 shown]
	s_and_saveexec_b64 s[4:5], vcc
	s_cbranch_execz .LBB35_225
; %bb.224:
	v_accvgpr_read_b32 v5, a101
	buffer_load_dword v2, v5, s[0:3], 0 offen
	buffer_load_dword v3, v5, s[0:3], 0 offen offset:4
	buffer_load_dword v4, v5, s[0:3], 0 offen offset:8
	s_nop 0
	buffer_load_dword v5, v5, s[0:3], 0 offen offset:12
	v_mov_b32_e32 v6, 0
	buffer_store_dword v6, off, s[0:3], 0 offset:48
	buffer_store_dword v6, off, s[0:3], 0 offset:52
	;; [unrolled: 1-line block ×4, first 2 shown]
	s_waitcnt vmcnt(4)
	ds_write_b128 v1, v[2:5]
.LBB35_225:
	s_or_b64 exec, exec, s[4:5]
	s_waitcnt lgkmcnt(0)
	; wave barrier
	s_waitcnt lgkmcnt(0)
	buffer_load_dword v94, off, s[0:3], 0 offset:64
	buffer_load_dword v95, off, s[0:3], 0 offset:68
	;; [unrolled: 1-line block ×52, first 2 shown]
	v_mov_b32_e32 v180, 0
	ds_read_b128 v[102:105], v180 offset:624
	ds_read_b128 v[114:117], v180 offset:640
	;; [unrolled: 1-line block ×10, first 2 shown]
	v_cmp_lt_u32_e32 vcc, 1, v0
	s_waitcnt vmcnt(48) lgkmcnt(9)
	v_mul_f64 v[26:27], v[102:103], v[96:97]
	v_fmac_f64_e32 v[26:27], v[104:105], v[94:95]
	v_add_f64 v[26:27], v[26:27], 0
	v_mul_f64 v[96:97], v[104:105], v[96:97]
	s_waitcnt vmcnt(44) lgkmcnt(8)
	v_mul_f64 v[28:29], v[114:115], v[100:101]
	v_fmac_f64_e32 v[28:29], v[116:117], v[98:99]
	s_waitcnt vmcnt(42) lgkmcnt(7)
	v_mul_f64 v[30:31], v[172:173], v[106:107]
	v_add_f64 v[26:27], v[26:27], v[28:29]
	s_waitcnt vmcnt(40) lgkmcnt(5)
	v_mul_f64 v[34:35], v[22:23], v[192:193]
	v_fma_f64 v[178:179], v[102:103], v[94:95], -v[96:97]
	s_waitcnt vmcnt(38)
	v_fmac_f64_e32 v[34:35], v[24:25], v[196:197]
	v_mul_f64 v[100:101], v[116:117], v[100:101]
	s_waitcnt vmcnt(36)
	v_mul_f64 v[32:33], v[182:183], v[110:111]
	v_fma_f64 v[254:255], v[114:115], v[98:99], -v[100:101]
	s_waitcnt vmcnt(34) lgkmcnt(3)
	v_mul_f64 v[38:39], v[14:15], v[190:191]
	v_mul_f64 v[106:107], v[174:175], v[106:107]
	s_waitcnt vmcnt(32)
	v_fmac_f64_e32 v[38:39], v[16:17], v[194:195]
	v_mul_f64 v[110:111], v[184:185], v[110:111]
	s_waitcnt vmcnt(30)
	v_mul_f64 v[36:37], v[18:19], v[202:203]
	v_add_f64 v[178:179], v[178:179], 0
	v_add_f64 v[254:255], v[178:179], v[254:255]
	s_waitcnt vmcnt(27) lgkmcnt(2)
	v_mul_f64 v[40:41], v[10:11], v[200:201]
	s_waitcnt vmcnt(26) lgkmcnt(1)
	v_mul_f64 v[42:43], v[6:7], v[198:199]
	v_mul_f64 v[24:25], v[24:25], v[192:193]
	s_waitcnt vmcnt(24)
	v_fmac_f64_e32 v[30:31], v[174:175], v[108:109]
	v_add_f64 v[26:27], v[26:27], v[30:31]
	s_waitcnt vmcnt(22)
	v_fmac_f64_e32 v[32:33], v[184:185], v[112:113]
	v_add_f64 v[26:27], v[26:27], v[32:33]
	;; [unrolled: 3-line block ×3, first 2 shown]
	v_add_f64 v[26:27], v[26:27], v[36:37]
	s_waitcnt vmcnt(18)
	v_fmac_f64_e32 v[40:41], v[12:13], v[204:205]
	v_add_f64 v[26:27], v[26:27], v[38:39]
	v_add_f64 v[26:27], v[26:27], v[40:41]
	s_waitcnt vmcnt(16)
	v_fmac_f64_e32 v[42:43], v[8:9], v[210:211]
	v_add_f64 v[34:35], v[26:27], v[42:43]
	ds_read_b128 v[26:29], v180 offset:784
	ds_read_b128 v[30:33], v180 offset:800
	buffer_load_dword v129, off, s[0:3], 0 offset:300
	buffer_load_dword v128, off, s[0:3], 0 offset:296
	;; [unrolled: 1-line block ×56, first 2 shown]
	s_waitcnt vmcnt(62) lgkmcnt(2)
	v_mul_f64 v[36:37], v[2:3], v[214:215]
	v_fmac_f64_e32 v[36:37], v[4:5], v[216:217]
	v_add_f64 v[34:35], v[34:35], v[36:37]
	s_waitcnt lgkmcnt(1)
	v_mul_f64 v[36:37], v[26:27], v[208:209]
	v_fmac_f64_e32 v[36:37], v[28:29], v[212:213]
	v_add_f64 v[34:35], v[34:35], v[36:37]
	s_waitcnt lgkmcnt(0)
	v_mul_f64 v[36:37], v[30:31], v[118:119]
	s_waitcnt vmcnt(60)
	v_fmac_f64_e32 v[36:37], v[32:33], v[124:125]
	v_add_f64 v[42:43], v[34:35], v[36:37]
	ds_read_b128 v[34:37], v180 offset:816
	buffer_load_dword v219, off, s[0:3], 0 offset:524
	buffer_load_dword v218, off, s[0:3], 0 offset:520
	;; [unrolled: 1-line block ×16, first 2 shown]
	ds_read_b128 v[38:41], v180 offset:832
	buffer_load_dword v241, off, s[0:3], 0 offset:588
	buffer_load_dword v240, off, s[0:3], 0 offset:584
	;; [unrolled: 1-line block ×8, first 2 shown]
	ds_read_b128 v[98:101], v180 offset:1072
	s_waitcnt vmcnt(62) lgkmcnt(2)
	v_mul_f64 v[44:45], v[34:35], v[122:123]
	v_fmac_f64_e32 v[44:45], v[36:37], v[126:127]
	v_add_f64 v[46:47], v[42:43], v[44:45]
	ds_read_b128 v[42:45], v180 offset:848
	v_fma_f64 v[174:175], v[182:183], v[112:113], -v[110:111]
	v_fma_f64 v[22:23], v[22:23], v[196:197], -v[24:25]
	v_mul_f64 v[20:21], v[20:21], v[202:203]
	v_fma_f64 v[18:19], v[18:19], v[206:207], -v[20:21]
	v_mul_f64 v[16:17], v[16:17], v[190:191]
	v_fma_f64 v[14:15], v[14:15], v[194:195], -v[16:17]
	v_mul_f64 v[12:13], v[12:13], v[200:201]
	v_fma_f64 v[10:11], v[10:11], v[204:205], -v[12:13]
	v_mul_f64 v[8:9], v[8:9], v[198:199]
	v_fma_f64 v[6:7], v[6:7], v[210:211], -v[8:9]
	v_mul_f64 v[4:5], v[4:5], v[214:215]
	s_waitcnt lgkmcnt(2)
	v_mul_f64 v[48:49], v[38:39], v[144:145]
	v_fma_f64 v[2:3], v[2:3], v[216:217], -v[4:5]
	v_fmac_f64_e32 v[48:49], v[40:41], v[148:149]
	v_add_f64 v[50:51], v[46:47], v[48:49]
	ds_read_b128 v[46:49], v180 offset:864
	s_waitcnt lgkmcnt(1)
	v_mul_f64 v[52:53], v[42:43], v[128:129]
	v_fmac_f64_e32 v[52:53], v[44:45], v[130:131]
	v_add_f64 v[54:55], v[50:51], v[52:53]
	ds_read_b128 v[50:53], v180 offset:880
	s_waitcnt lgkmcnt(1)
	v_mul_f64 v[56:57], v[46:47], v[152:153]
	;; [unrolled: 5-line block ×3, first 2 shown]
	v_fmac_f64_e32 v[60:61], v[52:53], v[134:135]
	v_add_f64 v[62:63], v[58:59], v[60:61]
	ds_read_b128 v[58:61], v180 offset:912
	s_waitcnt vmcnt(58) lgkmcnt(1)
	v_mul_f64 v[64:65], v[54:55], v[160:161]
	s_waitcnt vmcnt(56)
	v_fmac_f64_e32 v[64:65], v[56:57], v[164:165]
	v_add_f64 v[66:67], v[62:63], v[64:65]
	ds_read_b128 v[62:65], v180 offset:928
	s_waitcnt lgkmcnt(1)
	v_mul_f64 v[68:69], v[58:59], v[136:137]
	v_fmac_f64_e32 v[68:69], v[60:61], v[138:139]
	v_add_f64 v[70:71], v[66:67], v[68:69]
	ds_read_b128 v[66:69], v180 offset:944
	s_waitcnt vmcnt(50) lgkmcnt(1)
	v_mul_f64 v[72:73], v[62:63], v[168:169]
	s_waitcnt vmcnt(48)
	v_fmac_f64_e32 v[72:73], v[64:65], v[170:171]
	v_add_f64 v[74:75], v[70:71], v[72:73]
	ds_read_b128 v[70:73], v180 offset:960
	s_waitcnt lgkmcnt(1)
	v_mul_f64 v[76:77], v[66:67], v[140:141]
	;; [unrolled: 11-line block ×3, first 2 shown]
	v_fmac_f64_e32 v[84:85], v[76:77], v[150:151]
	v_add_f64 v[90:91], v[82:83], v[84:85]
	ds_read_b128 v[82:85], v180 offset:1008
	ds_read_b128 v[86:89], v180 offset:1024
	s_waitcnt vmcnt(34) lgkmcnt(2)
	v_mul_f64 v[92:93], v[78:79], v[228:229]
	s_waitcnt vmcnt(32)
	v_fmac_f64_e32 v[92:93], v[80:81], v[234:235]
	v_add_f64 v[90:91], v[90:91], v[92:93]
	s_waitcnt lgkmcnt(1)
	v_mul_f64 v[92:93], v[82:83], v[154:155]
	v_fmac_f64_e32 v[92:93], v[84:85], v[158:159]
	v_add_f64 v[90:91], v[90:91], v[92:93]
	s_waitcnt vmcnt(27) lgkmcnt(0)
	v_mul_f64 v[92:93], v[86:87], v[232:233]
	s_waitcnt vmcnt(25)
	v_fmac_f64_e32 v[92:93], v[88:89], v[236:237]
	v_add_f64 v[176:177], v[90:91], v[92:93]
	ds_read_b128 v[90:93], v180 offset:1040
	ds_read_b128 v[94:97], v180 offset:1056
	;; [unrolled: 1-line block ×3, first 2 shown]
	v_mul_f64 v[4:5], v[28:29], v[208:209]
	v_fma_f64 v[4:5], v[26:27], v[212:213], -v[4:5]
	s_waitcnt lgkmcnt(2)
	v_mul_f64 v[102:103], v[90:91], v[162:163]
	s_waitcnt vmcnt(24)
	v_fmac_f64_e32 v[102:103], v[92:93], v[166:167]
	s_waitcnt vmcnt(18) lgkmcnt(1)
	v_mul_f64 v[104:105], v[94:95], v[238:239]
	v_add_f64 v[102:103], v[176:177], v[102:103]
	s_waitcnt vmcnt(16)
	v_fmac_f64_e32 v[104:105], v[96:97], v[242:243]
	v_add_f64 v[102:103], v[102:103], v[104:105]
	v_fma_f64 v[176:177], v[172:173], v[108:109], -v[106:107]
	ds_read_b128 v[106:109], v180 offset:1104
	v_mul_f64 v[104:105], v[98:99], v[218:219]
	v_fmac_f64_e32 v[104:105], v[100:101], v[222:223]
	v_add_f64 v[114:115], v[102:103], v[104:105]
	ds_read_b128 v[102:105], v180 offset:1088
	s_waitcnt vmcnt(10) lgkmcnt(0)
	v_mul_f64 v[116:117], v[102:103], v[246:247]
	s_waitcnt vmcnt(8)
	v_fmac_f64_e32 v[116:117], v[104:105], v[248:249]
	v_add_f64 v[114:115], v[114:115], v[116:117]
	v_mul_f64 v[116:117], v[106:107], v[226:227]
	v_fmac_f64_e32 v[116:117], v[108:109], v[230:231]
	v_add_f64 v[114:115], v[114:115], v[116:117]
	s_waitcnt vmcnt(2)
	v_mul_f64 v[116:117], v[110:111], v[250:251]
	s_waitcnt vmcnt(0)
	v_fmac_f64_e32 v[116:117], v[112:113], v[252:253]
	v_add_f64 v[172:173], v[114:115], v[116:117]
	ds_read_b128 v[114:117], v180 offset:1136
	buffer_load_dword v178, off, s[0:3], 0 offset:48
	buffer_load_dword v179, off, s[0:3], 0 offset:52
	s_waitcnt lgkmcnt(0)
	v_mul_f64 v[182:183], v[114:115], v[240:241]
	v_fmac_f64_e32 v[182:183], v[116:117], v[244:245]
	v_add_f64 v[172:173], v[172:173], v[182:183]
	v_add_f64 v[182:183], v[254:255], v[176:177]
	buffer_load_dword v176, off, s[0:3], 0 offset:56
	buffer_load_dword v177, off, s[0:3], 0 offset:60
	v_add_f64 v[174:175], v[182:183], v[174:175]
	v_add_f64 v[22:23], v[174:175], v[22:23]
	;; [unrolled: 1-line block ×8, first 2 shown]
	v_mul_f64 v[4:5], v[32:33], v[118:119]
	v_fma_f64 v[4:5], v[30:31], v[124:125], -v[4:5]
	v_add_f64 v[2:3], v[2:3], v[4:5]
	v_mul_f64 v[4:5], v[36:37], v[122:123]
	v_fma_f64 v[4:5], v[34:35], v[126:127], -v[4:5]
	v_add_f64 v[2:3], v[2:3], v[4:5]
	;; [unrolled: 3-line block ×22, first 2 shown]
	s_waitcnt vmcnt(2)
	v_add_f64 v[2:3], v[178:179], -v[2:3]
	s_waitcnt vmcnt(0)
	v_add_f64 v[4:5], v[176:177], -v[172:173]
	buffer_store_dword v3, off, s[0:3], 0 offset:52
	buffer_store_dword v2, off, s[0:3], 0 offset:48
	buffer_store_dword v5, off, s[0:3], 0 offset:60
	buffer_store_dword v4, off, s[0:3], 0 offset:56
	s_and_saveexec_b64 s[4:5], vcc
	s_cbranch_execz .LBB35_227
; %bb.226:
	v_accvgpr_read_b32 v5, a99
	buffer_load_dword v2, v5, s[0:3], 0 offen
	buffer_load_dword v3, v5, s[0:3], 0 offen offset:4
	buffer_load_dword v4, v5, s[0:3], 0 offen offset:8
	s_nop 0
	buffer_load_dword v5, v5, s[0:3], 0 offen offset:12
	s_nop 0
	buffer_store_dword v180, off, s[0:3], 0 offset:32
	buffer_store_dword v180, off, s[0:3], 0 offset:36
	;; [unrolled: 1-line block ×4, first 2 shown]
	s_waitcnt vmcnt(4)
	ds_write_b128 v1, v[2:5]
.LBB35_227:
	s_or_b64 exec, exec, s[4:5]
	s_waitcnt lgkmcnt(0)
	; wave barrier
	s_waitcnt lgkmcnt(0)
	buffer_load_dword v86, off, s[0:3], 0 offset:48
	buffer_load_dword v87, off, s[0:3], 0 offset:52
	;; [unrolled: 1-line block ×42, first 2 shown]
	ds_read_b128 v[94:97], v180 offset:608
	ds_read_b128 v[106:109], v180 offset:624
	;; [unrolled: 1-line block ×10, first 2 shown]
	buffer_load_dword v217, off, s[0:3], 0 offset:196
	buffer_load_dword v216, off, s[0:3], 0 offset:192
	ds_read_b128 v[6:9], v180 offset:768
	buffer_load_dword v213, off, s[0:3], 0 offset:252
	buffer_load_dword v212, off, s[0:3], 0 offset:248
	;; [unrolled: 1-line block ×80, first 2 shown]
	v_cmp_ne_u32_e32 vcc, 0, v0
	s_waitcnt vmcnt(62) lgkmcnt(10)
	v_mul_f64 v[26:27], v[94:95], v[88:89]
	v_fmac_f64_e32 v[26:27], v[96:97], v[86:87]
	v_add_f64 v[26:27], v[26:27], 0
	v_mul_f64 v[88:89], v[96:97], v[88:89]
	s_waitcnt lgkmcnt(9)
	v_mul_f64 v[28:29], v[106:107], v[92:93]
	v_fmac_f64_e32 v[28:29], v[108:109], v[90:91]
	s_waitcnt lgkmcnt(8)
	v_mul_f64 v[30:31], v[114:115], v[98:99]
	v_add_f64 v[26:27], v[26:27], v[28:29]
	s_waitcnt lgkmcnt(6)
	v_mul_f64 v[34:35], v[174:175], v[110:111]
	v_fma_f64 v[182:183], v[94:95], v[86:87], -v[88:89]
	v_fmac_f64_e32 v[34:35], v[176:177], v[112:113]
	v_mul_f64 v[92:93], v[108:109], v[92:93]
	v_mul_f64 v[32:33], v[170:171], v[102:103]
	;; [unrolled: 1-line block ×3, first 2 shown]
	s_waitcnt lgkmcnt(4)
	v_mul_f64 v[38:39], v[18:19], v[190:191]
	v_mul_f64 v[102:103], v[172:173], v[102:103]
	v_fmac_f64_e32 v[38:39], v[20:21], v[192:193]
	v_mul_f64 v[110:111], v[176:177], v[110:111]
	v_mul_f64 v[36:37], v[22:23], v[194:195]
	v_fma_f64 v[174:175], v[174:175], v[112:113], -v[110:111]
	s_waitcnt lgkmcnt(2)
	v_mul_f64 v[42:43], v[10:11], v[196:197]
	v_mul_f64 v[20:21], v[20:21], v[190:191]
	v_fma_f64 v[18:19], v[18:19], v[192:193], -v[20:21]
	v_mul_f64 v[40:41], v[14:15], v[202:203]
	s_waitcnt lgkmcnt(1)
	v_mul_f64 v[44:45], v[2:3], v[200:201]
	v_fmac_f64_e32 v[30:31], v[116:117], v[100:101]
	v_add_f64 v[26:27], v[26:27], v[30:31]
	v_fmac_f64_e32 v[32:33], v[172:173], v[104:105]
	v_add_f64 v[26:27], v[26:27], v[32:33]
	;; [unrolled: 2-line block ×3, first 2 shown]
	v_add_f64 v[26:27], v[26:27], v[36:37]
	v_fmac_f64_e32 v[40:41], v[16:17], v[204:205]
	v_add_f64 v[26:27], v[26:27], v[38:39]
	v_fmac_f64_e32 v[42:43], v[12:13], v[198:199]
	v_add_f64 v[26:27], v[26:27], v[40:41]
	v_add_f64 v[26:27], v[26:27], v[42:43]
	s_waitcnt lgkmcnt(0)
	v_mul_f64 v[32:33], v[6:7], v[208:209]
	v_fmac_f64_e32 v[44:45], v[4:5], v[216:217]
	v_add_f64 v[30:31], v[26:27], v[44:45]
	ds_read_b128 v[26:29], v180 offset:784
	v_fmac_f64_e32 v[32:33], v[8:9], v[210:211]
	v_add_f64 v[34:35], v[30:31], v[32:33]
	ds_read_b128 v[30:33], v180 offset:800
	v_fma_f64 v[184:185], v[114:115], v[100:101], -v[98:99]
	s_waitcnt lgkmcnt(1)
	v_mul_f64 v[36:37], v[26:27], v[218:219]
	v_fmac_f64_e32 v[36:37], v[28:29], v[134:135]
	v_add_f64 v[38:39], v[34:35], v[36:37]
	ds_read_b128 v[34:37], v180 offset:816
	s_waitcnt lgkmcnt(1)
	v_mul_f64 v[40:41], v[30:31], v[212:213]
	v_fmac_f64_e32 v[40:41], v[32:33], v[214:215]
	v_add_f64 v[42:43], v[38:39], v[40:41]
	ds_read_b128 v[38:41], v180 offset:832
	;; [unrolled: 5-line block ×4, first 2 shown]
	s_waitcnt vmcnt(58) lgkmcnt(1)
	v_mul_f64 v[52:53], v[42:43], v[222:223]
	s_waitcnt vmcnt(56)
	v_fmac_f64_e32 v[52:53], v[44:45], v[226:227]
	v_add_f64 v[54:55], v[50:51], v[52:53]
	ds_read_b128 v[50:53], v180 offset:880
	buffer_load_dword v158, off, s[0:3], 0 offset:568
	buffer_load_dword v163, off, s[0:3], 0 offset:556
	;; [unrolled: 1-line block ×8, first 2 shown]
	s_waitcnt lgkmcnt(1)
	v_mul_f64 v[56:57], v[46:47], v[124:125]
	v_fmac_f64_e32 v[56:57], v[48:49], v[126:127]
	v_add_f64 v[58:59], v[54:55], v[56:57]
	ds_read_b128 v[54:57], v180 offset:896
	buffer_load_dword v167, off, s[0:3], 0 offset:588
	buffer_load_dword v166, off, s[0:3], 0 offset:584
	;; [unrolled: 1-line block ×4, first 2 shown]
	s_waitcnt vmcnt(62) lgkmcnt(1)
	v_mul_f64 v[60:61], v[50:51], v[230:231]
	s_waitcnt vmcnt(60)
	v_fmac_f64_e32 v[60:61], v[52:53], v[234:235]
	v_add_f64 v[62:63], v[58:59], v[60:61]
	ds_read_b128 v[58:61], v180 offset:912
	s_waitcnt lgkmcnt(1)
	v_mul_f64 v[64:65], v[54:55], v[128:129]
	v_fmac_f64_e32 v[64:65], v[56:57], v[130:131]
	v_add_f64 v[66:67], v[62:63], v[64:65]
	ds_read_b128 v[62:65], v180 offset:928
	s_waitcnt vmcnt(54) lgkmcnt(1)
	v_mul_f64 v[68:69], v[58:59], v[238:239]
	s_waitcnt vmcnt(52)
	v_fmac_f64_e32 v[68:69], v[60:61], v[242:243]
	v_add_f64 v[70:71], v[66:67], v[68:69]
	ds_read_b128 v[66:69], v180 offset:944
	s_waitcnt lgkmcnt(1)
	v_mul_f64 v[72:73], v[62:63], v[132:133]
	v_fmac_f64_e32 v[72:73], v[64:65], v[136:137]
	v_add_f64 v[74:75], v[70:71], v[72:73]
	ds_read_b128 v[70:73], v180 offset:960
	s_waitcnt vmcnt(46) lgkmcnt(1)
	v_mul_f64 v[76:77], v[66:67], v[246:247]
	s_waitcnt vmcnt(44)
	v_fmac_f64_e32 v[76:77], v[68:69], v[250:251]
	v_add_f64 v[82:83], v[74:75], v[76:77]
	ds_read_b128 v[74:77], v180 offset:976
	ds_read_b128 v[78:81], v180 offset:992
	s_waitcnt lgkmcnt(2)
	v_mul_f64 v[84:85], v[70:71], v[140:141]
	v_fmac_f64_e32 v[84:85], v[72:73], v[220:221]
	v_add_f64 v[82:83], v[82:83], v[84:85]
	s_waitcnt vmcnt(38) lgkmcnt(1)
	v_mul_f64 v[84:85], v[74:75], v[254:255]
	s_waitcnt vmcnt(36)
	v_fmac_f64_e32 v[84:85], v[76:77], v[144:145]
	v_add_f64 v[82:83], v[82:83], v[84:85]
	s_waitcnt lgkmcnt(0)
	v_mul_f64 v[84:85], v[78:79], v[224:225]
	v_fmac_f64_e32 v[84:85], v[80:81], v[228:229]
	v_add_f64 v[178:179], v[82:83], v[84:85]
	ds_read_b128 v[82:85], v180 offset:1008
	ds_read_b128 v[86:89], v180 offset:1024
	;; [unrolled: 1-line block ×3, first 2 shown]
	v_fma_f64 v[172:173], v[170:171], v[104:105], -v[102:103]
	ds_read_b128 v[102:105], v180 offset:1104
	ds_read_b128 v[110:113], v180 offset:1120
	s_waitcnt vmcnt(30) lgkmcnt(4)
	v_mul_f64 v[94:95], v[82:83], v[146:147]
	s_waitcnt vmcnt(28)
	v_fmac_f64_e32 v[94:95], v[84:85], v[148:149]
	v_add_f64 v[94:95], v[178:179], v[94:95]
	v_fma_f64 v[178:179], v[106:107], v[90:91], -v[92:93]
	ds_read_b128 v[90:93], v180 offset:1040
	s_waitcnt lgkmcnt(4)
	v_mul_f64 v[96:97], v[86:87], v[232:233]
	v_fmac_f64_e32 v[96:97], v[88:89], v[236:237]
	v_add_f64 v[106:107], v[94:95], v[96:97]
	ds_read_b128 v[94:97], v180 offset:1056
	s_waitcnt vmcnt(22) lgkmcnt(1)
	v_mul_f64 v[108:109], v[90:91], v[150:151]
	s_waitcnt vmcnt(20)
	v_fmac_f64_e32 v[108:109], v[92:93], v[152:153]
	v_add_f64 v[106:107], v[106:107], v[108:109]
	v_mul_f64 v[24:25], v[24:25], v[194:195]
	s_waitcnt lgkmcnt(0)
	v_mul_f64 v[108:109], v[94:95], v[240:241]
	v_fmac_f64_e32 v[108:109], v[96:97], v[244:245]
	v_add_f64 v[114:115], v[106:107], v[108:109]
	ds_read_b128 v[106:109], v180 offset:1088
	s_waitcnt vmcnt(14)
	v_mul_f64 v[116:117], v[98:99], v[154:155]
	s_waitcnt vmcnt(12)
	v_fmac_f64_e32 v[116:117], v[100:101], v[156:157]
	v_add_f64 v[114:115], v[114:115], v[116:117]
	v_fma_f64 v[22:23], v[22:23], v[206:207], -v[24:25]
	s_waitcnt lgkmcnt(0)
	v_mul_f64 v[116:117], v[106:107], v[248:249]
	v_fmac_f64_e32 v[116:117], v[108:109], v[252:253]
	v_add_f64 v[114:115], v[114:115], v[116:117]
	v_mul_f64 v[16:17], v[16:17], v[202:203]
	v_fma_f64 v[14:15], v[14:15], v[204:205], -v[16:17]
	v_mul_f64 v[12:13], v[12:13], v[196:197]
	v_fma_f64 v[10:11], v[10:11], v[198:199], -v[12:13]
	;; [unrolled: 2-line block ×4, first 2 shown]
	s_waitcnt vmcnt(9)
	v_mul_f64 v[116:117], v[102:103], v[162:163]
	s_waitcnt vmcnt(7)
	v_fmac_f64_e32 v[116:117], v[104:105], v[164:165]
	v_add_f64 v[114:115], v[114:115], v[116:117]
	s_waitcnt vmcnt(5)
	v_mul_f64 v[116:117], v[110:111], v[158:159]
	s_waitcnt vmcnt(4)
	v_fmac_f64_e32 v[116:117], v[112:113], v[160:161]
	v_add_f64 v[170:171], v[114:115], v[116:117]
	ds_read_b128 v[114:117], v180 offset:1136
	s_waitcnt vmcnt(2) lgkmcnt(0)
	v_mul_f64 v[176:177], v[114:115], v[166:167]
	s_waitcnt vmcnt(0)
	v_fmac_f64_e32 v[176:177], v[116:117], v[168:169]
	v_add_f64 v[170:171], v[170:171], v[176:177]
	v_add_f64 v[176:177], v[182:183], 0
	;; [unrolled: 1-line block ×3, first 2 shown]
	buffer_load_dword v180, off, s[0:3], 0 offset:32
	buffer_load_dword v181, off, s[0:3], 0 offset:36
	;; [unrolled: 1-line block ×4, first 2 shown]
	v_add_f64 v[176:177], v[176:177], v[184:185]
	v_add_f64 v[172:173], v[176:177], v[172:173]
	;; [unrolled: 1-line block ×9, first 2 shown]
	v_mul_f64 v[4:5], v[28:29], v[218:219]
	v_fma_f64 v[4:5], v[26:27], v[134:135], -v[4:5]
	v_add_f64 v[2:3], v[2:3], v[4:5]
	v_mul_f64 v[4:5], v[32:33], v[212:213]
	v_fma_f64 v[4:5], v[30:31], v[214:215], -v[4:5]
	v_add_f64 v[2:3], v[2:3], v[4:5]
	;; [unrolled: 3-line block ×23, first 2 shown]
	s_waitcnt vmcnt(2)
	v_add_f64 v[2:3], v[180:181], -v[2:3]
	s_waitcnt vmcnt(0)
	v_add_f64 v[4:5], v[178:179], -v[170:171]
	buffer_store_dword v3, off, s[0:3], 0 offset:36
	buffer_store_dword v2, off, s[0:3], 0 offset:32
	;; [unrolled: 1-line block ×4, first 2 shown]
	s_and_saveexec_b64 s[4:5], vcc
	s_cbranch_execz .LBB35_229
; %bb.228:
	buffer_load_dword v2, off, s[0:3], 0 offset:16
	buffer_load_dword v3, off, s[0:3], 0 offset:20
	;; [unrolled: 1-line block ×4, first 2 shown]
	v_mov_b32_e32 v0, 0
	buffer_store_dword v0, off, s[0:3], 0 offset:16
	buffer_store_dword v0, off, s[0:3], 0 offset:20
	;; [unrolled: 1-line block ×4, first 2 shown]
	s_waitcnt vmcnt(4)
	ds_write_b128 v1, v[2:5]
.LBB35_229:
	s_or_b64 exec, exec, s[4:5]
	s_waitcnt lgkmcnt(0)
	; wave barrier
	s_waitcnt lgkmcnt(0)
	buffer_load_dword v76, off, s[0:3], 0 offset:32
	buffer_load_dword v77, off, s[0:3], 0 offset:36
	;; [unrolled: 1-line block ×54, first 2 shown]
	v_mov_b32_e32 v186, 0
	ds_read_b128 v[80:83], v186 offset:592
	ds_read_b128 v[92:95], v186 offset:608
	;; [unrolled: 1-line block ×9, first 2 shown]
	buffer_load_dword v219, off, s[0:3], 0 offset:260
	buffer_load_dword v218, off, s[0:3], 0 offset:256
	;; [unrolled: 1-line block ×62, first 2 shown]
	s_and_b64 vcc, exec, s[20:21]
	s_waitcnt vmcnt(62) lgkmcnt(8)
	v_mul_f64 v[12:13], v[80:81], v[78:79]
	v_fmac_f64_e32 v[12:13], v[82:83], v[76:77]
	v_add_f64 v[12:13], v[12:13], 0
	v_mul_f64 v[78:79], v[82:83], v[78:79]
	s_waitcnt lgkmcnt(7)
	v_mul_f64 v[14:15], v[92:93], v[86:87]
	v_fmac_f64_e32 v[14:15], v[94:95], v[84:85]
	s_waitcnt lgkmcnt(6)
	v_mul_f64 v[16:17], v[104:105], v[88:89]
	v_add_f64 v[12:13], v[12:13], v[14:15]
	s_waitcnt lgkmcnt(4)
	v_mul_f64 v[20:21], v[168:169], v[100:101]
	v_fma_f64 v[180:181], v[80:81], v[76:77], -v[78:79]
	v_fmac_f64_e32 v[20:21], v[170:171], v[102:103]
	v_mul_f64 v[86:87], v[94:95], v[86:87]
	v_mul_f64 v[18:19], v[112:113], v[96:97]
	v_fma_f64 v[182:183], v[92:93], v[84:85], -v[86:87]
	s_waitcnt lgkmcnt(2)
	v_mul_f64 v[24:25], v[8:9], v[116:117]
	v_mul_f64 v[88:89], v[106:107], v[88:89]
	v_fmac_f64_e32 v[24:25], v[10:11], v[190:191]
	v_mul_f64 v[96:97], v[114:115], v[96:97]
	v_mul_f64 v[22:23], v[176:177], v[108:109]
	;; [unrolled: 1-line block ×3, first 2 shown]
	s_waitcnt lgkmcnt(1)
	v_mul_f64 v[26:27], v[4:5], v[192:193]
	v_fma_f64 v[170:171], v[168:169], v[102:103], -v[100:101]
	v_fmac_f64_e32 v[16:17], v[106:107], v[90:91]
	v_add_f64 v[12:13], v[12:13], v[16:17]
	v_fmac_f64_e32 v[18:19], v[114:115], v[98:99]
	v_add_f64 v[12:13], v[12:13], v[18:19]
	v_fmac_f64_e32 v[22:23], v[178:179], v[110:111]
	v_add_f64 v[12:13], v[12:13], v[20:21]
	v_add_f64 v[12:13], v[12:13], v[22:23]
	v_fmac_f64_e32 v[26:27], v[6:7], v[196:197]
	v_add_f64 v[12:13], v[12:13], v[24:25]
	v_add_f64 v[16:17], v[12:13], v[26:27]
	s_waitcnt lgkmcnt(0)
	v_mul_f64 v[18:19], v[0:1], v[194:195]
	ds_read_b128 v[12:15], v186 offset:736
	v_fmac_f64_e32 v[18:19], v[2:3], v[198:199]
	v_add_f64 v[20:21], v[16:17], v[18:19]
	ds_read_b128 v[16:19], v186 offset:752
	v_fma_f64 v[184:185], v[104:105], v[90:91], -v[88:89]
	s_waitcnt lgkmcnt(1)
	v_mul_f64 v[22:23], v[12:13], v[204:205]
	v_fmac_f64_e32 v[22:23], v[14:15], v[206:207]
	v_add_f64 v[24:25], v[20:21], v[22:23]
	s_waitcnt lgkmcnt(0)
	v_mul_f64 v[26:27], v[16:17], v[200:201]
	ds_read_b128 v[20:23], v186 offset:768
	v_fmac_f64_e32 v[26:27], v[18:19], v[202:203]
	v_add_f64 v[28:29], v[24:25], v[26:27]
	ds_read_b128 v[24:27], v186 offset:784
	v_mul_f64 v[108:109], v[178:179], v[108:109]
	s_waitcnt lgkmcnt(1)
	v_mul_f64 v[30:31], v[20:21], v[214:215]
	v_fmac_f64_e32 v[30:31], v[22:23], v[216:217]
	v_add_f64 v[32:33], v[28:29], v[30:31]
	s_waitcnt lgkmcnt(0)
	v_mul_f64 v[34:35], v[24:25], v[208:209]
	ds_read_b128 v[28:31], v186 offset:800
	v_fmac_f64_e32 v[34:35], v[26:27], v[210:211]
	v_add_f64 v[36:37], v[32:33], v[34:35]
	ds_read_b128 v[32:35], v186 offset:816
	v_mul_f64 v[10:11], v[10:11], v[116:117]
	s_waitcnt vmcnt(58) lgkmcnt(1)
	v_mul_f64 v[38:39], v[28:29], v[232:233]
	s_waitcnt vmcnt(56)
	v_fmac_f64_e32 v[38:39], v[30:31], v[236:237]
	v_add_f64 v[40:41], v[36:37], v[38:39]
	s_waitcnt lgkmcnt(0)
	v_mul_f64 v[42:43], v[32:33], v[212:213]
	ds_read_b128 v[36:39], v186 offset:832
	v_fmac_f64_e32 v[42:43], v[34:35], v[218:219]
	v_add_f64 v[44:45], v[40:41], v[42:43]
	ds_read_b128 v[40:43], v186 offset:848
	v_fma_f64 v[8:9], v[8:9], v[190:191], -v[10:11]
	s_waitcnt vmcnt(50) lgkmcnt(1)
	v_mul_f64 v[46:47], v[36:37], v[240:241]
	s_waitcnt vmcnt(48)
	v_fmac_f64_e32 v[46:47], v[38:39], v[244:245]
	v_add_f64 v[48:49], v[44:45], v[46:47]
	s_waitcnt lgkmcnt(0)
	v_mul_f64 v[50:51], v[40:41], v[220:221]
	v_fmac_f64_e32 v[50:51], v[42:43], v[222:223]
	ds_read_b128 v[44:47], v186 offset:864
	v_add_f64 v[52:53], v[48:49], v[50:51]
	ds_read_b128 v[48:51], v186 offset:880
	buffer_load_dword v145, off, s[0:3], 0 offset:508
	buffer_load_dword v144, off, s[0:3], 0 offset:504
	;; [unrolled: 1-line block ×8, first 2 shown]
	s_waitcnt vmcnt(50) lgkmcnt(1)
	v_mul_f64 v[54:55], v[44:45], v[248:249]
	s_waitcnt vmcnt(48)
	v_fmac_f64_e32 v[54:55], v[46:47], v[252:253]
	v_add_f64 v[56:57], v[52:53], v[54:55]
	ds_read_b128 v[52:55], v186 offset:896
	buffer_load_dword v149, off, s[0:3], 0 offset:556
	buffer_load_dword v155, off, s[0:3], 0 offset:540
	;; [unrolled: 1-line block ×12, first 2 shown]
	s_waitcnt lgkmcnt(1)
	v_mul_f64 v[58:59], v[48:49], v[224:225]
	v_fmac_f64_e32 v[58:59], v[50:51], v[226:227]
	v_add_f64 v[60:61], v[56:57], v[58:59]
	ds_read_b128 v[56:59], v186 offset:912
	buffer_load_dword v164, off, s[0:3], 0 offset:584
	buffer_load_dword v166, off, s[0:3], 0 offset:576
	buffer_load_dword v165, off, s[0:3], 0 offset:588
	buffer_load_dword v167, off, s[0:3], 0 offset:580
	s_waitcnt vmcnt(58) lgkmcnt(1)
	v_mul_f64 v[62:63], v[52:53], v[118:119]
	s_waitcnt vmcnt(56)
	v_fmac_f64_e32 v[62:63], v[54:55], v[124:125]
	v_add_f64 v[64:65], v[60:61], v[62:63]
	s_waitcnt lgkmcnt(0)
	v_mul_f64 v[66:67], v[56:57], v[228:229]
	ds_read_b128 v[60:63], v186 offset:928
	v_fmac_f64_e32 v[66:67], v[58:59], v[230:231]
	v_add_f64 v[68:69], v[64:65], v[66:67]
	ds_read_b128 v[64:67], v186 offset:944
	ds_read_b128 v[76:79], v186 offset:992
	ds_read_b128 v[84:87], v186 offset:1024
	s_waitcnt vmcnt(50) lgkmcnt(3)
	v_mul_f64 v[70:71], v[60:61], v[128:129]
	s_waitcnt vmcnt(48)
	v_fmac_f64_e32 v[70:71], v[62:63], v[130:131]
	s_waitcnt lgkmcnt(2)
	v_mul_f64 v[74:75], v[64:65], v[234:235]
	v_add_f64 v[72:73], v[68:69], v[70:71]
	ds_read_b128 v[68:71], v186 offset:960
	v_fmac_f64_e32 v[74:75], v[66:67], v[238:239]
	v_add_f64 v[172:173], v[72:73], v[74:75]
	ds_read_b128 v[72:75], v186 offset:976
	ds_read_b128 v[88:91], v186 offset:1040
	s_waitcnt vmcnt(42) lgkmcnt(2)
	v_mul_f64 v[174:175], v[68:69], v[132:133]
	s_waitcnt vmcnt(40)
	v_fmac_f64_e32 v[174:175], v[70:71], v[134:135]
	v_add_f64 v[80:81], v[172:173], v[174:175]
	s_waitcnt lgkmcnt(1)
	v_mul_f64 v[82:83], v[72:73], v[242:243]
	v_fmac_f64_e32 v[82:83], v[74:75], v[246:247]
	v_add_f64 v[80:81], v[80:81], v[82:83]
	s_waitcnt vmcnt(34)
	v_mul_f64 v[82:83], v[76:77], v[136:137]
	s_waitcnt vmcnt(32)
	v_fmac_f64_e32 v[82:83], v[78:79], v[138:139]
	v_add_f64 v[172:173], v[80:81], v[82:83]
	ds_read_b128 v[80:83], v186 offset:1008
	s_waitcnt vmcnt(26)
	v_mul_f64 v[94:95], v[84:85], v[140:141]
	s_waitcnt vmcnt(24)
	v_fmac_f64_e32 v[94:95], v[86:87], v[142:143]
	v_fma_f64 v[174:175], v[112:113], v[98:99], -v[96:97]
	ds_read_b128 v[96:99], v186 offset:1072
	s_waitcnt lgkmcnt(1)
	v_mul_f64 v[92:93], v[80:81], v[250:251]
	v_fmac_f64_e32 v[92:93], v[82:83], v[254:255]
	v_add_f64 v[92:93], v[172:173], v[92:93]
	v_add_f64 v[92:93], v[92:93], v[94:95]
	v_mul_f64 v[94:95], v[88:89], v[122:123]
	v_fmac_f64_e32 v[94:95], v[90:91], v[126:127]
	v_add_f64 v[104:105], v[92:93], v[94:95]
	ds_read_b128 v[92:95], v186 offset:1056
	ds_read_b128 v[100:103], v186 offset:1088
	v_fma_f64 v[172:173], v[176:177], v[110:111], -v[108:109]
	ds_read_b128 v[108:111], v186 offset:1120
	v_mul_f64 v[6:7], v[6:7], v[192:193]
	v_fma_f64 v[4:5], v[4:5], v[196:197], -v[6:7]
	v_mul_f64 v[2:3], v[2:3], v[194:195]
	v_fma_f64 v[0:1], v[0:1], v[198:199], -v[2:3]
	;; [unrolled: 2-line block ×3, first 2 shown]
	s_waitcnt vmcnt(22) lgkmcnt(2)
	v_mul_f64 v[106:107], v[92:93], v[144:145]
	s_waitcnt vmcnt(20)
	v_fmac_f64_e32 v[106:107], v[94:95], v[146:147]
	v_add_f64 v[104:105], v[104:105], v[106:107]
	s_waitcnt vmcnt(18)
	v_mul_f64 v[106:107], v[96:97], v[150:151]
	s_waitcnt vmcnt(16)
	v_fmac_f64_e32 v[106:107], v[98:99], v[152:153]
	v_add_f64 v[112:113], v[104:105], v[106:107]
	ds_read_b128 v[104:107], v186 offset:1104
	s_waitcnt vmcnt(13) lgkmcnt(2)
	v_mul_f64 v[114:115], v[100:101], v[154:155]
	s_waitcnt vmcnt(11)
	v_fmac_f64_e32 v[114:115], v[102:103], v[160:161]
	v_add_f64 v[112:113], v[112:113], v[114:115]
	s_waitcnt vmcnt(10) lgkmcnt(0)
	v_mul_f64 v[114:115], v[104:105], v[148:149]
	s_waitcnt vmcnt(8)
	v_fmac_f64_e32 v[114:115], v[106:107], v[158:159]
	v_add_f64 v[112:113], v[112:113], v[114:115]
	s_waitcnt vmcnt(6)
	v_mul_f64 v[114:115], v[108:109], v[156:157]
	s_waitcnt vmcnt(4)
	v_fmac_f64_e32 v[114:115], v[110:111], v[162:163]
	v_add_f64 v[168:169], v[112:113], v[114:115]
	ds_read_b128 v[112:115], v186 offset:1136
	buffer_load_dword v178, off, s[0:3], 0 offset:16
	buffer_load_dword v179, off, s[0:3], 0 offset:20
	s_waitcnt vmcnt(3) lgkmcnt(0)
	v_mul_f64 v[176:177], v[112:113], v[164:165]
	s_waitcnt vmcnt(2)
	v_fmac_f64_e32 v[176:177], v[114:115], v[166:167]
	v_add_f64 v[168:169], v[168:169], v[176:177]
	v_add_f64 v[176:177], v[180:181], 0
	;; [unrolled: 1-line block ×5, first 2 shown]
	buffer_load_dword v174, off, s[0:3], 0 offset:24
	buffer_load_dword v175, off, s[0:3], 0 offset:28
	v_add_f64 v[170:171], v[176:177], v[170:171]
	v_add_f64 v[170:171], v[170:171], v[172:173]
	;; [unrolled: 1-line block ×6, first 2 shown]
	v_mul_f64 v[2:3], v[18:19], v[200:201]
	v_fma_f64 v[2:3], v[16:17], v[202:203], -v[2:3]
	v_add_f64 v[0:1], v[0:1], v[2:3]
	v_mul_f64 v[2:3], v[22:23], v[214:215]
	v_fma_f64 v[2:3], v[20:21], v[216:217], -v[2:3]
	v_add_f64 v[0:1], v[0:1], v[2:3]
	;; [unrolled: 3-line block ×25, first 2 shown]
	s_waitcnt vmcnt(2)
	v_add_f64 v[0:1], v[178:179], -v[0:1]
	s_waitcnt vmcnt(0)
	v_add_f64 v[2:3], v[174:175], -v[168:169]
	buffer_store_dword v1, off, s[0:3], 0 offset:20
	buffer_store_dword v0, off, s[0:3], 0 offset:16
	;; [unrolled: 1-line block ×4, first 2 shown]
	s_cbranch_vccz .LBB35_301
; %bb.230:
	v_pk_mov_b32 v[0:1], s[10:11], s[10:11] op_sel:[0,1]
	flat_load_dword v0, v[0:1] offset:136
	s_waitcnt vmcnt(0) lgkmcnt(0)
	v_add_u32_e32 v0, -1, v0
	v_cmp_ne_u32_e32 vcc, 34, v0
	s_and_saveexec_b64 s[4:5], vcc
	s_cbranch_execz .LBB35_232
; %bb.231:
	v_mov_b32_e32 v1, 16
	v_accvgpr_read_b32 v9, a68
	v_lshl_add_u32 v0, v0, 4, v1
	buffer_load_dword v1, v9, s[0:3], 0 offen offset:4
	buffer_load_dword v2, v9, s[0:3], 0 offen offset:8
	buffer_load_dword v3, v9, s[0:3], 0 offen offset:12
	buffer_load_dword v4, v0, s[0:3], 0 offen
	buffer_load_dword v5, v0, s[0:3], 0 offen offset:4
	buffer_load_dword v6, v0, s[0:3], 0 offen offset:8
	buffer_load_dword v7, v0, s[0:3], 0 offen offset:12
	buffer_load_dword v8, v9, s[0:3], 0 offen
	s_waitcnt vmcnt(4)
	buffer_store_dword v4, v9, s[0:3], 0 offen
	s_waitcnt vmcnt(4)
	buffer_store_dword v5, v9, s[0:3], 0 offen offset:4
	s_waitcnt vmcnt(4)
	buffer_store_dword v6, v9, s[0:3], 0 offen offset:8
	s_waitcnt vmcnt(4)
	buffer_store_dword v7, v9, s[0:3], 0 offen offset:12
	buffer_store_dword v3, v0, s[0:3], 0 offen offset:12
	buffer_store_dword v2, v0, s[0:3], 0 offen offset:8
	buffer_store_dword v1, v0, s[0:3], 0 offen offset:4
	s_waitcnt vmcnt(7)
	buffer_store_dword v8, v0, s[0:3], 0 offen
.LBB35_232:
	s_or_b64 exec, exec, s[4:5]
	v_pk_mov_b32 v[0:1], s[10:11], s[10:11] op_sel:[0,1]
	flat_load_dword v0, v[0:1] offset:132
	s_waitcnt vmcnt(0) lgkmcnt(0)
	v_add_u32_e32 v0, -1, v0
	v_cmp_ne_u32_e32 vcc, 33, v0
	s_and_saveexec_b64 s[4:5], vcc
	s_cbranch_execz .LBB35_234
; %bb.233:
	v_mov_b32_e32 v1, 16
	v_accvgpr_read_b32 v9, a69
	v_lshl_add_u32 v0, v0, 4, v1
	buffer_load_dword v1, v9, s[0:3], 0 offen offset:4
	buffer_load_dword v2, v9, s[0:3], 0 offen offset:8
	buffer_load_dword v3, v9, s[0:3], 0 offen offset:12
	buffer_load_dword v4, v0, s[0:3], 0 offen
	buffer_load_dword v5, v0, s[0:3], 0 offen offset:4
	buffer_load_dword v6, v0, s[0:3], 0 offen offset:8
	buffer_load_dword v7, v0, s[0:3], 0 offen offset:12
	buffer_load_dword v8, v9, s[0:3], 0 offen
	s_waitcnt vmcnt(4)
	buffer_store_dword v4, v9, s[0:3], 0 offen
	s_waitcnt vmcnt(4)
	buffer_store_dword v5, v9, s[0:3], 0 offen offset:4
	s_waitcnt vmcnt(4)
	buffer_store_dword v6, v9, s[0:3], 0 offen offset:8
	s_waitcnt vmcnt(4)
	buffer_store_dword v7, v9, s[0:3], 0 offen offset:12
	buffer_store_dword v3, v0, s[0:3], 0 offen offset:12
	buffer_store_dword v2, v0, s[0:3], 0 offen offset:8
	buffer_store_dword v1, v0, s[0:3], 0 offen offset:4
	s_waitcnt vmcnt(7)
	buffer_store_dword v8, v0, s[0:3], 0 offen
.LBB35_234:
	s_or_b64 exec, exec, s[4:5]
	;; [unrolled: 34-line block ×34, first 2 shown]
	v_pk_mov_b32 v[0:1], s[10:11], s[10:11] op_sel:[0,1]
	flat_load_dword v0, v[0:1]
	s_waitcnt vmcnt(0) lgkmcnt(0)
	v_add_u32_e32 v0, -1, v0
	v_cmp_ne_u32_e32 vcc, 0, v0
	s_and_saveexec_b64 s[4:5], vcc
	s_cbranch_execz .LBB35_300
; %bb.299:
	v_mov_b32_e32 v1, 16
	v_lshl_add_u32 v0, v0, 4, v1
	buffer_load_dword v1, v0, s[0:3], 0 offen
	buffer_load_dword v2, v0, s[0:3], 0 offen offset:4
	buffer_load_dword v3, v0, s[0:3], 0 offen offset:8
	buffer_load_dword v4, v0, s[0:3], 0 offen offset:12
	buffer_load_dword v5, off, s[0:3], 0 offset:28
	buffer_load_dword v6, off, s[0:3], 0 offset:24
	;; [unrolled: 1-line block ×4, first 2 shown]
	s_waitcnt vmcnt(7)
	buffer_store_dword v1, off, s[0:3], 0 offset:16
	s_waitcnt vmcnt(7)
	buffer_store_dword v2, off, s[0:3], 0 offset:20
	;; [unrolled: 2-line block ×4, first 2 shown]
	s_waitcnt vmcnt(7)
	buffer_store_dword v5, v0, s[0:3], 0 offen offset:12
	s_waitcnt vmcnt(7)
	buffer_store_dword v6, v0, s[0:3], 0 offen offset:8
	;; [unrolled: 2-line block ×3, first 2 shown]
	s_waitcnt vmcnt(7)
	buffer_store_dword v8, v0, s[0:3], 0 offen
.LBB35_300:
	s_or_b64 exec, exec, s[4:5]
.LBB35_301:
	buffer_load_dword v0, off, s[0:3], 0 offset:16
	buffer_load_dword v1, off, s[0:3], 0 offset:20
	;; [unrolled: 1-line block ×4, first 2 shown]
	v_accvgpr_read_b32 v19, a99
	buffer_load_dword v5, v19, s[0:3], 0 offen offset:4
	buffer_load_dword v6, v19, s[0:3], 0 offen offset:8
	;; [unrolled: 1-line block ×3, first 2 shown]
	v_accvgpr_read_b32 v21, a101
	buffer_load_dword v8, v21, s[0:3], 0 offen
	buffer_load_dword v9, v21, s[0:3], 0 offen offset:4
	buffer_load_dword v10, v21, s[0:3], 0 offen offset:8
	buffer_load_dword v4, v19, s[0:3], 0 offen
	buffer_load_dword v11, v21, s[0:3], 0 offen offset:12
	v_accvgpr_read_b32 v20, a100
	buffer_load_dword v13, v20, s[0:3], 0 offen offset:4
	buffer_load_dword v14, v20, s[0:3], 0 offen offset:8
	;; [unrolled: 1-line block ×3, first 2 shown]
	v_accvgpr_read_b32 v25, a98
	buffer_load_dword v16, v25, s[0:3], 0 offen
	buffer_load_dword v17, v25, s[0:3], 0 offen offset:4
	buffer_load_dword v18, v25, s[0:3], 0 offen offset:8
	buffer_load_dword v12, v20, s[0:3], 0 offen
                                        ; kill: killed $vgpr21
                                        ; kill: killed $vgpr19
                                        ; kill: killed $vgpr20
	buffer_load_dword v19, v25, s[0:3], 0 offen offset:12
	v_accvgpr_read_b32 v20, a97
	buffer_load_dword v21, v20, s[0:3], 0 offen offset:4
	buffer_load_dword v22, v20, s[0:3], 0 offen offset:8
	;; [unrolled: 1-line block ×3, first 2 shown]
	v_accvgpr_read_b32 v27, a96
	buffer_load_dword v24, v27, s[0:3], 0 offen
                                        ; kill: killed $vgpr25
	buffer_load_dword v25, v27, s[0:3], 0 offen offset:4
	buffer_load_dword v26, v27, s[0:3], 0 offen offset:8
	s_nop 0
	buffer_load_dword v20, v20, s[0:3], 0 offen
	s_nop 0
	buffer_load_dword v27, v27, s[0:3], 0 offen offset:12
	v_accvgpr_read_b32 v28, a95
	buffer_load_dword v29, v28, s[0:3], 0 offen offset:4
	buffer_load_dword v30, v28, s[0:3], 0 offen offset:8
	buffer_load_dword v31, v28, s[0:3], 0 offen offset:12
	v_accvgpr_read_b32 v35, a94
	buffer_load_dword v32, v35, s[0:3], 0 offen
	buffer_load_dword v33, v35, s[0:3], 0 offen offset:4
	buffer_load_dword v34, v35, s[0:3], 0 offen offset:8
	s_nop 0
	buffer_load_dword v28, v28, s[0:3], 0 offen
	s_nop 0
	buffer_load_dword v35, v35, s[0:3], 0 offen offset:12
	v_accvgpr_read_b32 v36, a93
	buffer_load_dword v37, v36, s[0:3], 0 offen offset:4
	buffer_load_dword v38, v36, s[0:3], 0 offen offset:8
	buffer_load_dword v39, v36, s[0:3], 0 offen offset:12
	v_accvgpr_read_b32 v43, a92
	buffer_load_dword v40, v43, s[0:3], 0 offen
	;; [unrolled: 12-line block ×14, first 2 shown]
	buffer_load_dword v139, v141, s[0:3], 0 offen offset:4
	buffer_load_dword v140, v141, s[0:3], 0 offen offset:8
	s_nop 0
	buffer_load_dword v134, v134, s[0:3], 0 offen
	s_nop 0
	buffer_load_dword v141, v141, s[0:3], 0 offen offset:12
	s_nop 0
	buffer_load_dword v142, v187, s[0:3], 0 offen
	buffer_load_dword v143, v187, s[0:3], 0 offen offset:4
	buffer_load_dword v144, v187, s[0:3], 0 offen offset:8
	;; [unrolled: 1-line block ×3, first 2 shown]
	s_waitcnt vmcnt(62)
	global_store_dwordx4 v[120:121], v[0:3], off
	s_nop 0
	v_accvgpr_read_b32 v0, a2
	v_accvgpr_read_b32 v1, a3
	global_store_dwordx4 v[0:1], v[4:7], off
	v_accvgpr_read_b32 v0, a0
	v_accvgpr_read_b32 v1, a1
	global_store_dwordx4 v[0:1], v[8:11], off
	v_accvgpr_read_b32 v0, a4
	v_accvgpr_read_b32 v1, a5
	global_store_dwordx4 v[0:1], v[12:15], off
	v_accvgpr_read_b32 v0, a6
	v_accvgpr_read_b32 v1, a7
	global_store_dwordx4 v[0:1], v[16:19], off
	v_accvgpr_read_b32 v0, a8
	v_accvgpr_read_b32 v1, a9
	global_store_dwordx4 v[0:1], v[20:23], off
	v_accvgpr_read_b32 v0, a10
	v_accvgpr_read_b32 v1, a11
	global_store_dwordx4 v[0:1], v[24:27], off
	v_accvgpr_read_b32 v0, a12
	v_accvgpr_read_b32 v1, a13
	global_store_dwordx4 v[0:1], v[28:31], off
	v_accvgpr_read_b32 v0, a14
	v_accvgpr_read_b32 v1, a15
	global_store_dwordx4 v[0:1], v[32:35], off
	v_accvgpr_read_b32 v0, a16
	v_accvgpr_read_b32 v1, a17
	global_store_dwordx4 v[0:1], v[36:39], off
	v_accvgpr_read_b32 v0, a18
	v_accvgpr_read_b32 v1, a19
	global_store_dwordx4 v[0:1], v[40:43], off
	v_accvgpr_read_b32 v0, a20
	v_accvgpr_read_b32 v1, a21
	global_store_dwordx4 v[0:1], v[44:47], off
	v_accvgpr_read_b32 v0, a22
	v_accvgpr_read_b32 v1, a23
	global_store_dwordx4 v[0:1], v[48:51], off
	v_accvgpr_read_b32 v0, a24
	v_accvgpr_read_b32 v1, a25
	global_store_dwordx4 v[0:1], v[52:55], off
	v_accvgpr_read_b32 v0, a28
	v_accvgpr_read_b32 v1, a29
	global_store_dwordx4 v[0:1], v[56:59], off
	v_accvgpr_read_b32 v0, a30
	v_accvgpr_read_b32 v1, a31
	global_store_dwordx4 v[0:1], v[60:63], off
	v_accvgpr_read_b32 v0, a32
	v_accvgpr_read_b32 v1, a33
	global_store_dwordx4 v[0:1], v[64:67], off
	v_accvgpr_read_b32 v0, a34
	v_accvgpr_read_b32 v1, a35
	global_store_dwordx4 v[0:1], v[68:71], off
	v_accvgpr_read_b32 v0, a36
	v_accvgpr_read_b32 v1, a37
	global_store_dwordx4 v[0:1], v[72:75], off
	v_accvgpr_read_b32 v0, a38
	v_accvgpr_read_b32 v1, a39
	s_waitcnt vmcnt(62)
	global_store_dwordx4 v[0:1], v[76:79], off
	v_accvgpr_read_b32 v0, a40
	v_accvgpr_read_b32 v1, a41
	global_store_dwordx4 v[0:1], v[80:83], off
	v_accvgpr_read_b32 v0, a42
	v_accvgpr_read_b32 v1, a43
	;; [unrolled: 3-line block ×6, first 2 shown]
	s_waitcnt vmcnt(62)
	global_store_dwordx4 v[0:1], v[100:103], off
	v_accvgpr_read_b32 v0, a52
	v_accvgpr_read_b32 v1, a53
	s_waitcnt vmcnt(62)
	global_store_dwordx4 v[0:1], v[104:107], off
	v_accvgpr_read_b32 v0, a54
	v_accvgpr_read_b32 v1, a55
	s_waitcnt vmcnt(56)
	global_store_dwordx4 v[0:1], v[108:111], off
	v_accvgpr_read_b32 v0, a56
	v_accvgpr_read_b32 v1, a57
	s_waitcnt vmcnt(56)
	global_store_dwordx4 v[0:1], v[112:115], off
	v_accvgpr_read_b32 v0, a58
	v_accvgpr_read_b32 v1, a59
	s_waitcnt vmcnt(50)
	global_store_dwordx4 v[0:1], v[116:119], off
	v_accvgpr_read_b32 v0, a60
	v_accvgpr_read_b32 v1, a61
	s_waitcnt vmcnt(50)
	global_store_dwordx4 v[0:1], v[122:125], off
	v_accvgpr_read_b32 v0, a62
	v_accvgpr_read_b32 v1, a63
	s_waitcnt vmcnt(44)
	global_store_dwordx4 v[0:1], v[126:129], off
	v_accvgpr_read_b32 v0, a64
	v_accvgpr_read_b32 v1, a65
	s_waitcnt vmcnt(44)
	global_store_dwordx4 v[0:1], v[130:133], off
	v_accvgpr_read_b32 v0, a66
	v_accvgpr_read_b32 v1, a67
	s_waitcnt vmcnt(38)
	global_store_dwordx4 v[0:1], v[134:137], off
	s_waitcnt vmcnt(38)
	global_store_dwordx4 v[188:189], v[138:141], off
	v_accvgpr_read_b32 v0, a26
	v_accvgpr_read_b32 v1, a27
	s_waitcnt vmcnt(35)
	global_store_dwordx4 v[0:1], v[142:145], off
	s_endpgm
	.section	.rodata,"a",@progbits
	.p2align	6, 0x0
	.amdhsa_kernel _ZN9rocsolver6v33100L18getri_kernel_smallILi36E19rocblas_complex_numIdEPS3_EEvT1_iilPiilS6_bb
		.amdhsa_group_segment_fixed_size 1160
		.amdhsa_private_segment_fixed_size 608
		.amdhsa_kernarg_size 60
		.amdhsa_user_sgpr_count 8
		.amdhsa_user_sgpr_private_segment_buffer 1
		.amdhsa_user_sgpr_dispatch_ptr 0
		.amdhsa_user_sgpr_queue_ptr 0
		.amdhsa_user_sgpr_kernarg_segment_ptr 1
		.amdhsa_user_sgpr_dispatch_id 0
		.amdhsa_user_sgpr_flat_scratch_init 1
		.amdhsa_user_sgpr_kernarg_preload_length 0
		.amdhsa_user_sgpr_kernarg_preload_offset 0
		.amdhsa_user_sgpr_private_segment_size 0
		.amdhsa_uses_dynamic_stack 0
		.amdhsa_system_sgpr_private_segment_wavefront_offset 1
		.amdhsa_system_sgpr_workgroup_id_x 1
		.amdhsa_system_sgpr_workgroup_id_y 0
		.amdhsa_system_sgpr_workgroup_id_z 0
		.amdhsa_system_sgpr_workgroup_info 0
		.amdhsa_system_vgpr_workitem_id 0
		.amdhsa_next_free_vgpr 358
		.amdhsa_next_free_sgpr 23
		.amdhsa_accum_offset 256
		.amdhsa_reserve_vcc 1
		.amdhsa_reserve_flat_scratch 1
		.amdhsa_float_round_mode_32 0
		.amdhsa_float_round_mode_16_64 0
		.amdhsa_float_denorm_mode_32 3
		.amdhsa_float_denorm_mode_16_64 3
		.amdhsa_dx10_clamp 1
		.amdhsa_ieee_mode 1
		.amdhsa_fp16_overflow 0
		.amdhsa_tg_split 0
		.amdhsa_exception_fp_ieee_invalid_op 0
		.amdhsa_exception_fp_denorm_src 0
		.amdhsa_exception_fp_ieee_div_zero 0
		.amdhsa_exception_fp_ieee_overflow 0
		.amdhsa_exception_fp_ieee_underflow 0
		.amdhsa_exception_fp_ieee_inexact 0
		.amdhsa_exception_int_div_zero 0
	.end_amdhsa_kernel
	.section	.text._ZN9rocsolver6v33100L18getri_kernel_smallILi36E19rocblas_complex_numIdEPS3_EEvT1_iilPiilS6_bb,"axG",@progbits,_ZN9rocsolver6v33100L18getri_kernel_smallILi36E19rocblas_complex_numIdEPS3_EEvT1_iilPiilS6_bb,comdat
.Lfunc_end35:
	.size	_ZN9rocsolver6v33100L18getri_kernel_smallILi36E19rocblas_complex_numIdEPS3_EEvT1_iilPiilS6_bb, .Lfunc_end35-_ZN9rocsolver6v33100L18getri_kernel_smallILi36E19rocblas_complex_numIdEPS3_EEvT1_iilPiilS6_bb
                                        ; -- End function
	.section	.AMDGPU.csdata,"",@progbits
; Kernel info:
; codeLenInByte = 89172
; NumSgprs: 29
; NumVgprs: 256
; NumAgprs: 102
; TotalNumVgprs: 358
; ScratchSize: 608
; MemoryBound: 0
; FloatMode: 240
; IeeeMode: 1
; LDSByteSize: 1160 bytes/workgroup (compile time only)
; SGPRBlocks: 3
; VGPRBlocks: 44
; NumSGPRsForWavesPerEU: 29
; NumVGPRsForWavesPerEU: 358
; AccumOffset: 256
; Occupancy: 1
; WaveLimiterHint : 1
; COMPUTE_PGM_RSRC2:SCRATCH_EN: 1
; COMPUTE_PGM_RSRC2:USER_SGPR: 8
; COMPUTE_PGM_RSRC2:TRAP_HANDLER: 0
; COMPUTE_PGM_RSRC2:TGID_X_EN: 1
; COMPUTE_PGM_RSRC2:TGID_Y_EN: 0
; COMPUTE_PGM_RSRC2:TGID_Z_EN: 0
; COMPUTE_PGM_RSRC2:TIDIG_COMP_CNT: 0
; COMPUTE_PGM_RSRC3_GFX90A:ACCUM_OFFSET: 63
; COMPUTE_PGM_RSRC3_GFX90A:TG_SPLIT: 0
	.section	.text._ZN9rocsolver6v33100L18getri_kernel_smallILi37E19rocblas_complex_numIdEPS3_EEvT1_iilPiilS6_bb,"axG",@progbits,_ZN9rocsolver6v33100L18getri_kernel_smallILi37E19rocblas_complex_numIdEPS3_EEvT1_iilPiilS6_bb,comdat
	.globl	_ZN9rocsolver6v33100L18getri_kernel_smallILi37E19rocblas_complex_numIdEPS3_EEvT1_iilPiilS6_bb ; -- Begin function _ZN9rocsolver6v33100L18getri_kernel_smallILi37E19rocblas_complex_numIdEPS3_EEvT1_iilPiilS6_bb
	.p2align	8
	.type	_ZN9rocsolver6v33100L18getri_kernel_smallILi37E19rocblas_complex_numIdEPS3_EEvT1_iilPiilS6_bb,@function
_ZN9rocsolver6v33100L18getri_kernel_smallILi37E19rocblas_complex_numIdEPS3_EEvT1_iilPiilS6_bb: ; @_ZN9rocsolver6v33100L18getri_kernel_smallILi37E19rocblas_complex_numIdEPS3_EEvT1_iilPiilS6_bb
; %bb.0:
	s_add_u32 flat_scratch_lo, s6, s9
	s_addc_u32 flat_scratch_hi, s7, 0
	s_add_u32 s0, s0, s9
	s_addc_u32 s1, s1, 0
	v_cmp_gt_u32_e32 vcc, 37, v0
	s_and_saveexec_b64 s[6:7], vcc
	s_cbranch_execz .LBB36_162
; %bb.1:
	s_load_dword s22, s[4:5], 0x38
	s_load_dwordx4 s[16:19], s[4:5], 0x10
	s_load_dwordx4 s[12:15], s[4:5], 0x28
                                        ; implicit-def: $sgpr10_sgpr11
	s_waitcnt lgkmcnt(0)
	s_bitcmp1_b32 s22, 8
	s_cselect_b64 s[20:21], -1, 0
	s_ashr_i32 s9, s8, 31
	s_bfe_u32 s6, s22, 0x10008
	s_cmp_eq_u32 s6, 0
	s_cbranch_scc1 .LBB36_3
; %bb.2:
	s_load_dword s6, s[4:5], 0x20
	s_mul_i32 s7, s8, s13
	s_mul_hi_u32 s10, s8, s12
	s_mul_i32 s11, s9, s12
	s_add_i32 s10, s10, s7
	s_add_i32 s11, s10, s11
	s_mul_i32 s10, s8, s12
	s_waitcnt lgkmcnt(0)
	s_ashr_i32 s7, s6, 31
	s_lshl_b64 s[10:11], s[10:11], 2
	s_add_u32 s10, s18, s10
	s_addc_u32 s11, s19, s11
	s_lshl_b64 s[6:7], s[6:7], 2
	s_add_u32 s10, s10, s6
	s_addc_u32 s11, s11, s7
.LBB36_3:
	s_load_dwordx4 s[4:7], s[4:5], 0x0
	s_mul_i32 s12, s8, s17
	s_mul_hi_u32 s13, s8, s16
	s_add_i32 s17, s13, s12
	v_lshlrev_b32_e32 v1, 4, v0
	s_waitcnt lgkmcnt(0)
	s_ashr_i32 s13, s6, 31
	s_mov_b32 s12, s6
	s_mul_i32 s6, s9, s16
	s_add_i32 s17, s17, s6
	s_mul_i32 s16, s8, s16
	s_lshl_b64 s[16:17], s[16:17], 4
	s_add_u32 s6, s4, s16
	s_addc_u32 s16, s5, s17
	s_lshl_b64 s[4:5], s[12:13], 4
	s_add_u32 s4, s6, s4
	s_addc_u32 s5, s16, s5
	v_mov_b32_e32 v2, s5
	v_add_co_u32_e32 v118, vcc, s4, v1
	s_ashr_i32 s13, s7, 31
	s_mov_b32 s12, s7
	v_addc_co_u32_e32 v119, vcc, 0, v2, vcc
	s_lshl_b64 s[12:13], s[12:13], 4
	v_mov_b32_e32 v2, s13
	v_add_co_u32_e32 v10, vcc, s12, v118
	s_add_i32 s6, s7, s7
	v_addc_co_u32_e32 v11, vcc, v119, v2, vcc
	v_add_u32_e32 v2, s6, v0
	v_ashrrev_i32_e32 v3, 31, v2
	v_lshlrev_b64 v[4:5], 4, v[2:3]
	v_mov_b32_e32 v3, s5
	v_add_co_u32_e32 v4, vcc, s4, v4
	v_add_u32_e32 v2, s7, v2
	v_addc_co_u32_e32 v5, vcc, v3, v5, vcc
	v_accvgpr_write_b32 a0, v10
	v_accvgpr_write_b32 a2, v4
	v_ashrrev_i32_e32 v3, 31, v2
	v_accvgpr_write_b32 a1, v11
	global_load_dwordx4 v[10:13], v[10:11], off
	v_accvgpr_write_b32 a3, v5
	global_load_dwordx4 v[14:17], v[4:5], off
	v_lshlrev_b64 v[4:5], 4, v[2:3]
	v_mov_b32_e32 v3, s5
	v_add_co_u32_e32 v20, vcc, s4, v4
	v_add_u32_e32 v2, s7, v2
	v_addc_co_u32_e32 v21, vcc, v3, v5, vcc
	v_ashrrev_i32_e32 v3, 31, v2
	v_add_u32_e32 v4, s7, v2
	v_lshlrev_b64 v[2:3], 4, v[2:3]
	v_mov_b32_e32 v18, s5
	v_ashrrev_i32_e32 v5, 31, v4
	v_add_co_u32_e32 v22, vcc, s4, v2
	v_add_u32_e32 v26, s7, v4
	v_addc_co_u32_e32 v23, vcc, v18, v3, vcc
	v_lshlrev_b64 v[2:3], 4, v[4:5]
	v_mov_b32_e32 v28, s5
	v_ashrrev_i32_e32 v27, 31, v26
	v_add_co_u32_e32 v30, vcc, s4, v2
	v_add_u32_e32 v4, s7, v26
	v_addc_co_u32_e32 v31, vcc, v28, v3, vcc
	v_lshlrev_b64 v[2:3], 4, v[26:27]
	v_mov_b32_e32 v29, s5
	v_ashrrev_i32_e32 v5, 31, v4
	v_add_co_u32_e32 v32, vcc, s4, v2
	v_addc_co_u32_e32 v33, vcc, v29, v3, vcc
	v_lshlrev_b64 v[2:3], 4, v[4:5]
	v_mov_b32_e32 v5, s5
	v_add_co_u32_e32 v34, vcc, s4, v2
	v_add_u32_e32 v2, s7, v4
	v_addc_co_u32_e32 v35, vcc, v5, v3, vcc
	v_ashrrev_i32_e32 v3, 31, v2
	v_lshlrev_b64 v[4:5], 4, v[2:3]
	v_mov_b32_e32 v3, s5
	v_add_co_u32_e32 v4, vcc, s4, v4
	v_addc_co_u32_e32 v5, vcc, v3, v5, vcc
	v_add_u32_e32 v2, s7, v2
	v_accvgpr_write_b32 a4, v20
	v_accvgpr_write_b32 a15, v5
	v_ashrrev_i32_e32 v3, 31, v2
	v_accvgpr_write_b32 a5, v21
	global_load_dwordx4 v[18:21], v[20:21], off
	v_accvgpr_write_b32 a14, v4
	global_load_dwordx4 v[38:41], v[4:5], off
	v_lshlrev_b64 v[4:5], 4, v[2:3]
	v_mov_b32_e32 v3, s5
	v_add_co_u32_e32 v42, vcc, s4, v4
	v_add_u32_e32 v2, s7, v2
	v_addc_co_u32_e32 v43, vcc, v3, v5, vcc
	v_ashrrev_i32_e32 v3, 31, v2
	v_lshlrev_b64 v[4:5], 4, v[2:3]
	v_mov_b32_e32 v3, s5
	v_add_co_u32_e32 v4, vcc, s4, v4
	v_addc_co_u32_e32 v5, vcc, v3, v5, vcc
	v_add_u32_e32 v2, s7, v2
	v_accvgpr_write_b32 a6, v22
	v_accvgpr_write_b32 a19, v5
	v_ashrrev_i32_e32 v3, 31, v2
	v_accvgpr_write_b32 a7, v23
	global_load_dwordx4 v[22:25], v[22:23], off
	v_accvgpr_write_b32 a18, v4
	global_load_dwordx4 v[46:49], v[4:5], off
	v_lshlrev_b64 v[4:5], 4, v[2:3]
	v_mov_b32_e32 v3, s5
	v_add_co_u32_e32 v50, vcc, s4, v4
	v_add_u32_e32 v2, s7, v2
	v_addc_co_u32_e32 v51, vcc, v3, v5, vcc
	v_ashrrev_i32_e32 v3, 31, v2
	v_lshlrev_b64 v[4:5], 4, v[2:3]
	v_mov_b32_e32 v3, s5
	v_add_co_u32_e32 v4, vcc, s4, v4
	global_load_dwordx4 v[6:9], v1, s[4:5]
	v_addc_co_u32_e32 v5, vcc, v3, v5, vcc
	v_add_u32_e32 v2, s7, v2
	v_accvgpr_write_b32 a23, v5
	v_ashrrev_i32_e32 v3, 31, v2
	global_load_dwordx4 v[26:29], v[30:31], off
	global_load_dwordx4 v[54:57], v[4:5], off
	v_accvgpr_write_b32 a22, v4
	v_lshlrev_b64 v[4:5], 4, v[2:3]
	v_mov_b32_e32 v3, s5
	v_add_co_u32_e32 v58, vcc, s4, v4
	v_addc_co_u32_e32 v59, vcc, v3, v5, vcc
	v_add_u32_e32 v2, s7, v2
	v_accvgpr_write_b32 a24, v58
	v_ashrrev_i32_e32 v3, 31, v2
	v_accvgpr_write_b32 a25, v59
	global_load_dwordx4 v[58:61], v[58:59], off
	v_lshlrev_b64 v[4:5], 4, v[2:3]
	v_mov_b32_e32 v3, s5
	v_add_co_u32_e32 v4, vcc, s4, v4
	v_accvgpr_write_b32 a8, v30
	v_accvgpr_write_b32 a10, v32
	v_addc_co_u32_e32 v5, vcc, v3, v5, vcc
	v_add_u32_e32 v2, s7, v2
	v_accvgpr_write_b32 a9, v31
	v_accvgpr_write_b32 a11, v33
	global_load_dwordx4 v[30:33], v[32:33], off
	v_accvgpr_write_b32 a27, v5
	global_load_dwordx4 v[62:65], v[4:5], off
	v_ashrrev_i32_e32 v3, 31, v2
	v_accvgpr_write_b32 a26, v4
	v_lshlrev_b64 v[4:5], 4, v[2:3]
	v_mov_b32_e32 v3, s5
	v_add_co_u32_e32 v4, vcc, s4, v4
	v_add_u32_e32 v70, s7, v2
	v_accvgpr_write_b32 a12, v34
	v_addc_co_u32_e32 v5, vcc, v3, v5, vcc
	v_ashrrev_i32_e32 v71, 31, v70
	v_accvgpr_write_b32 a13, v35
	global_load_dwordx4 v[34:37], v[34:35], off
	v_accvgpr_write_b32 a29, v5
	global_load_dwordx4 v[66:69], v[4:5], off
	v_lshlrev_b64 v[2:3], 4, v[70:71]
	v_accvgpr_write_b32 a28, v4
	v_mov_b32_e32 v4, s5
	v_add_co_u32_e32 v2, vcc, s4, v2
	v_addc_co_u32_e32 v3, vcc, v4, v3, vcc
	v_accvgpr_write_b32 a31, v3
	v_accvgpr_write_b32 a30, v2
	global_load_dwordx4 v[2:5], v[2:3], off
	v_accvgpr_write_b32 a16, v42
	v_accvgpr_write_b32 a17, v43
	global_load_dwordx4 v[42:45], v[42:43], off
	;; [unrolled: 3-line block ×3, first 2 shown]
	s_waitcnt vmcnt(10)
	buffer_store_dword v9, off, s[0:3], 0 offset:28
	buffer_store_dword v8, off, s[0:3], 0 offset:24
	;; [unrolled: 1-line block ×20, first 2 shown]
	s_waitcnt vmcnt(29)
	buffer_store_dword v29, off, s[0:3], 0 offset:108
	buffer_store_dword v28, off, s[0:3], 0 offset:104
	buffer_store_dword v27, off, s[0:3], 0 offset:100
	buffer_store_dword v26, off, s[0:3], 0 offset:96
	s_waitcnt vmcnt(30)
	buffer_store_dword v33, off, s[0:3], 0 offset:124
	buffer_store_dword v32, off, s[0:3], 0 offset:120
	buffer_store_dword v31, off, s[0:3], 0 offset:116
	buffer_store_dword v30, off, s[0:3], 0 offset:112
	;; [unrolled: 5-line block ×3, first 2 shown]
	buffer_store_dword v41, off, s[0:3], 0 offset:156
	buffer_store_dword v40, off, s[0:3], 0 offset:152
	;; [unrolled: 1-line block ×4, first 2 shown]
	s_waitcnt vmcnt(37)
	buffer_store_dword v42, off, s[0:3], 0 offset:160
	buffer_store_dword v43, off, s[0:3], 0 offset:164
	;; [unrolled: 1-line block ×8, first 2 shown]
	s_waitcnt vmcnt(44)
	buffer_store_dword v50, off, s[0:3], 0 offset:192
	buffer_store_dword v51, off, s[0:3], 0 offset:196
	;; [unrolled: 1-line block ×8, first 2 shown]
	v_add_u32_e32 v6, s7, v70
	v_ashrrev_i32_e32 v7, 31, v6
	v_lshlrev_b64 v[8:9], 4, v[6:7]
	v_add_u32_e32 v14, s7, v6
	v_mov_b32_e32 v7, s5
	v_add_co_u32_e32 v8, vcc, s4, v8
	v_ashrrev_i32_e32 v15, 31, v14
	v_addc_co_u32_e32 v9, vcc, v7, v9, vcc
	v_lshlrev_b64 v[6:7], 4, v[14:15]
	buffer_store_dword v61, off, s[0:3], 0 offset:236
	buffer_store_dword v60, off, s[0:3], 0 offset:232
	;; [unrolled: 1-line block ×13, first 2 shown]
	v_mov_b32_e32 v5, s5
	v_add_co_u32_e32 v10, vcc, s4, v6
	v_accvgpr_write_b32 a33, v9
	v_addc_co_u32_e32 v11, vcc, v5, v7, vcc
	v_accvgpr_write_b32 a32, v8
	global_load_dwordx4 v[6:9], v[8:9], off
	v_add_u32_e32 v14, s7, v14
	v_accvgpr_write_b32 a35, v11
	v_ashrrev_i32_e32 v15, 31, v14
	v_accvgpr_write_b32 a34, v10
	global_load_dwordx4 v[10:13], v[10:11], off
	v_lshlrev_b64 v[16:17], 4, v[14:15]
	v_add_u32_e32 v22, s7, v14
	v_add_co_u32_e32 v16, vcc, s4, v16
	v_ashrrev_i32_e32 v23, 31, v22
	v_addc_co_u32_e32 v17, vcc, v5, v17, vcc
	v_lshlrev_b64 v[14:15], 4, v[22:23]
	v_add_co_u32_e32 v18, vcc, s4, v14
	v_accvgpr_write_b32 a37, v17
	v_addc_co_u32_e32 v19, vcc, v5, v15, vcc
	v_accvgpr_write_b32 a36, v16
	global_load_dwordx4 v[14:17], v[16:17], off
	v_add_u32_e32 v22, s7, v22
	v_accvgpr_write_b32 a39, v19
	v_ashrrev_i32_e32 v23, 31, v22
	v_accvgpr_write_b32 a38, v18
	global_load_dwordx4 v[18:21], v[18:19], off
	v_lshlrev_b64 v[24:25], 4, v[22:23]
	v_add_u32_e32 v30, s7, v22
	v_add_co_u32_e32 v24, vcc, s4, v24
	v_ashrrev_i32_e32 v31, 31, v30
	v_addc_co_u32_e32 v25, vcc, v5, v25, vcc
	v_lshlrev_b64 v[22:23], 4, v[30:31]
	;; [unrolled: 16-line block ×8, first 2 shown]
	v_add_co_u32_e32 v74, vcc, s4, v70
	v_accvgpr_write_b32 a64, v72
	v_addc_co_u32_e32 v75, vcc, v5, v71, vcc
	v_accvgpr_write_b32 a65, v73
	global_load_dwordx4 v[70:73], v[72:73], off
	v_accvgpr_write_b32 a66, v74
	v_add_u32_e32 v78, s7, v78
	v_accvgpr_write_b32 a67, v75
	global_load_dwordx4 v[74:77], v[74:75], off
	v_ashrrev_i32_e32 v79, 31, v78
	v_lshlrev_b64 v[80:81], 4, v[78:79]
	v_add_co_u32_e32 v80, vcc, s4, v80
	v_add_u32_e32 v78, s7, v78
	v_addc_co_u32_e32 v81, vcc, v5, v81, vcc
	v_ashrrev_i32_e32 v79, 31, v78
	v_accvgpr_write_b32 a68, v80
	v_lshlrev_b64 v[82:83], 4, v[78:79]
	v_accvgpr_write_b32 a69, v81
	global_load_dwordx4 v[78:81], v[80:81], off
	v_add_co_u32_e32 v82, vcc, s4, v82
	v_addc_co_u32_e32 v83, vcc, v5, v83, vcc
	v_accvgpr_write_b32 a70, v82
	v_accvgpr_write_b32 a71, v83
	global_load_dwordx4 v[82:85], v[82:83], off
	s_nop 0
	buffer_store_dword v4, off, s[0:3], 0 offset:280
	buffer_store_dword v3, off, s[0:3], 0 offset:276
	buffer_store_dword v2, off, s[0:3], 0 offset:272
	s_waitcnt vmcnt(22)
	buffer_store_dword v9, off, s[0:3], 0 offset:300
	buffer_store_dword v8, off, s[0:3], 0 offset:296
	buffer_store_dword v7, off, s[0:3], 0 offset:292
	buffer_store_dword v6, off, s[0:3], 0 offset:288
	s_waitcnt vmcnt(25)
	buffer_store_dword v13, off, s[0:3], 0 offset:316
	;; [unrolled: 5-line block ×15, first 2 shown]
	buffer_store_dword v64, off, s[0:3], 0 offset:520
	buffer_store_dword v63, off, s[0:3], 0 offset:516
	;; [unrolled: 1-line block ×11, first 2 shown]
	s_waitcnt vmcnt(62)
	buffer_store_dword v77, off, s[0:3], 0 offset:572
	buffer_store_dword v76, off, s[0:3], 0 offset:568
	;; [unrolled: 1-line block ×12, first 2 shown]
	v_mov_b32_e32 v2, 16
	v_add_u32_e32 v3, 16, v2
	v_accvgpr_write_b32 a105, v3
	v_add_u32_e32 v3, 32, v2
	v_accvgpr_write_b32 a107, v3
	v_add_u32_e32 v3, 48, v2
	v_accvgpr_write_b32 a106, v3
	v_add_u32_e32 v3, 64, v2
	v_accvgpr_write_b32 a104, v3
	v_add_u32_e32 v3, 0x50, v2
	v_accvgpr_write_b32 a103, v3
	v_add_u32_e32 v3, 0x60, v2
	v_accvgpr_write_b32 a102, v3
	v_add_u32_e32 v3, 0x70, v2
	v_accvgpr_write_b32 a101, v3
	v_add_u32_e32 v3, 0x80, v2
	v_accvgpr_write_b32 a100, v3
	v_add_u32_e32 v3, 0x90, v2
	v_accvgpr_write_b32 a99, v3
	v_add_u32_e32 v3, 0xa0, v2
	v_accvgpr_write_b32 a98, v3
	v_add_u32_e32 v3, 0xb0, v2
	v_accvgpr_write_b32 a97, v3
	v_add_u32_e32 v3, 0xc0, v2
	v_accvgpr_write_b32 a96, v3
	v_add_u32_e32 v3, 0xd0, v2
	v_accvgpr_write_b32 a95, v3
	v_add_u32_e32 v3, 0xe0, v2
	v_accvgpr_write_b32 a94, v3
	v_add_u32_e32 v3, 0xf0, v2
	v_accvgpr_write_b32 a93, v3
	v_add_u32_e32 v3, 0x100, v2
	v_accvgpr_write_b32 a92, v3
	v_add_u32_e32 v3, 0x110, v2
	v_accvgpr_write_b32 a91, v3
	v_add_u32_e32 v3, 0x120, v2
	v_accvgpr_write_b32 a90, v3
	v_add_u32_e32 v3, 0x130, v2
	v_accvgpr_write_b32 a89, v3
	v_add_u32_e32 v3, 0x140, v2
	v_accvgpr_write_b32 a88, v3
	v_add_u32_e32 v3, 0x150, v2
	v_accvgpr_write_b32 a87, v3
	v_add_u32_e32 v3, 0x160, v2
	v_accvgpr_write_b32 a86, v3
	v_add_u32_e32 v3, 0x170, v2
	v_accvgpr_write_b32 a85, v3
	v_add_u32_e32 v3, 0x180, v2
	v_accvgpr_write_b32 a84, v3
	v_add_u32_e32 v3, 0x190, v2
	v_accvgpr_write_b32 a83, v3
	v_add_u32_e32 v3, 0x1a0, v2
	v_accvgpr_write_b32 a82, v3
	v_add_u32_e32 v3, 0x1b0, v2
	v_accvgpr_write_b32 a81, v3
	v_add_u32_e32 v3, 0x1c0, v2
	v_accvgpr_write_b32 a80, v3
	v_add_u32_e32 v3, 0x1d0, v2
	v_accvgpr_write_b32 a79, v3
	v_add_u32_e32 v3, 0x1e0, v2
	v_accvgpr_write_b32 a78, v3
	v_add_u32_e32 v3, 0x1f0, v2
	v_accvgpr_write_b32 a77, v3
	v_add_u32_e32 v3, 0x200, v2
	v_accvgpr_write_b32 a76, v3
	v_add_u32_e32 v3, 0x210, v2
	v_accvgpr_write_b32 a75, v3
	v_add_u32_e32 v3, 0x220, v2
	v_accvgpr_write_b32 a74, v3
	v_add_u32_e32 v3, 0x230, v2
	v_add_u32_e32 v2, 0x240, v2
	v_accvgpr_write_b32 a73, v3
	v_accvgpr_write_b32 a72, v2
	s_bitcmp0_b32 s22, 0
	s_mov_b64 s[6:7], -1
	s_cbranch_scc1 .LBB36_160
; %bb.4:
	v_cmp_eq_u32_e64 s[4:5], 0, v0
	s_and_saveexec_b64 s[6:7], s[4:5]
	s_cbranch_execz .LBB36_6
; %bb.5:
	v_mov_b32_e32 v2, 0
	ds_write_b32 v2, v2 offset:1184
.LBB36_6:
	s_or_b64 exec, exec, s[6:7]
	v_mov_b32_e32 v2, 16
	v_lshl_add_u32 v12, v0, 4, v2
	s_waitcnt lgkmcnt(0)
	; wave barrier
	s_waitcnt lgkmcnt(0)
	buffer_load_dword v2, v12, s[0:3], 0 offen
	buffer_load_dword v3, v12, s[0:3], 0 offen offset:4
	buffer_load_dword v4, v12, s[0:3], 0 offen offset:8
	;; [unrolled: 1-line block ×3, first 2 shown]
	s_waitcnt vmcnt(2)
	v_cmp_eq_f64_e32 vcc, 0, v[2:3]
	s_waitcnt vmcnt(0)
	v_cmp_eq_f64_e64 s[6:7], 0, v[4:5]
	s_and_b64 s[6:7], vcc, s[6:7]
	s_and_saveexec_b64 s[12:13], s[6:7]
	s_cbranch_execz .LBB36_10
; %bb.7:
	v_mov_b32_e32 v2, 0
	ds_read_b32 v4, v2 offset:1184
	v_add_u32_e32 v3, 1, v0
	s_waitcnt lgkmcnt(0)
	v_readfirstlane_b32 s6, v4
	s_cmp_eq_u32 s6, 0
	s_cselect_b64 s[16:17], -1, 0
	v_cmp_gt_i32_e32 vcc, s6, v3
	s_or_b64 s[16:17], s[16:17], vcc
	s_and_b64 exec, exec, s[16:17]
	s_cbranch_execz .LBB36_10
; %bb.8:
	s_mov_b64 s[16:17], 0
	v_mov_b32_e32 v4, s6
.LBB36_9:                               ; =>This Inner Loop Header: Depth=1
	ds_cmpst_rtn_b32 v4, v2, v4, v3 offset:1184
	s_waitcnt lgkmcnt(0)
	v_cmp_ne_u32_e32 vcc, 0, v4
	v_cmp_le_i32_e64 s[6:7], v4, v3
	s_and_b64 s[6:7], vcc, s[6:7]
	s_and_b64 s[6:7], exec, s[6:7]
	s_or_b64 s[16:17], s[6:7], s[16:17]
	s_andn2_b64 exec, exec, s[16:17]
	s_cbranch_execnz .LBB36_9
.LBB36_10:
	s_or_b64 exec, exec, s[12:13]
	v_mov_b32_e32 v3, 0
	s_waitcnt lgkmcnt(0)
	; wave barrier
	ds_read_b32 v2, v3 offset:1184
	s_and_saveexec_b64 s[6:7], s[4:5]
	s_cbranch_execz .LBB36_12
; %bb.11:
	s_lshl_b64 s[12:13], s[8:9], 2
	s_add_u32 s12, s14, s12
	s_addc_u32 s13, s15, s13
	s_waitcnt lgkmcnt(0)
	global_store_dword v3, v2, s[12:13]
.LBB36_12:
	s_or_b64 exec, exec, s[6:7]
	s_waitcnt lgkmcnt(0)
	v_cmp_ne_u32_e32 vcc, 0, v2
	s_mov_b64 s[6:7], 0
	s_cbranch_vccnz .LBB36_160
; %bb.13:
	buffer_load_dword v7, v12, s[0:3], 0 offen offset:4
	buffer_load_dword v6, v12, s[0:3], 0 offen
	buffer_load_dword v9, v12, s[0:3], 0 offen offset:12
	buffer_load_dword v8, v12, s[0:3], 0 offen offset:8
                                        ; implicit-def: $vgpr10_vgpr11
	s_waitcnt vmcnt(3)
	v_xor_b32_e32 v3, 0x80000000, v7
	s_waitcnt vmcnt(2)
	v_cmp_gt_f64_e32 vcc, 0, v[6:7]
	s_waitcnt vmcnt(1)
	v_xor_b32_e32 v4, 0x80000000, v9
	v_cndmask_b32_e32 v3, v7, v3, vcc
	s_waitcnt vmcnt(0)
	v_cmp_gt_f64_e32 vcc, 0, v[8:9]
	v_mov_b32_e32 v2, v6
	v_cndmask_b32_e32 v5, v9, v4, vcc
	v_mov_b32_e32 v4, v8
	v_cmp_ngt_f64_e32 vcc, v[2:3], v[4:5]
                                        ; implicit-def: $vgpr4_vgpr5
	s_and_saveexec_b64 s[6:7], vcc
	s_xor_b64 s[6:7], exec, s[6:7]
	s_cbranch_execz .LBB36_15
; %bb.14:
	v_div_scale_f64 v[2:3], s[12:13], v[8:9], v[8:9], v[6:7]
	v_rcp_f64_e32 v[4:5], v[2:3]
	v_div_scale_f64 v[10:11], vcc, v[6:7], v[8:9], v[6:7]
	v_fma_f64 v[14:15], -v[2:3], v[4:5], 1.0
	v_fmac_f64_e32 v[4:5], v[4:5], v[14:15]
	v_fma_f64 v[14:15], -v[2:3], v[4:5], 1.0
	v_fmac_f64_e32 v[4:5], v[4:5], v[14:15]
	v_mul_f64 v[14:15], v[10:11], v[4:5]
	v_fma_f64 v[2:3], -v[2:3], v[14:15], v[10:11]
	v_div_fmas_f64 v[2:3], v[2:3], v[4:5], v[14:15]
	v_div_fixup_f64 v[2:3], v[2:3], v[8:9], v[6:7]
	v_fmac_f64_e32 v[8:9], v[6:7], v[2:3]
	v_div_scale_f64 v[4:5], s[12:13], v[8:9], v[8:9], 1.0
	v_rcp_f64_e32 v[6:7], v[4:5]
	v_fma_f64 v[10:11], -v[4:5], v[6:7], 1.0
	v_fmac_f64_e32 v[6:7], v[6:7], v[10:11]
	v_fma_f64 v[10:11], -v[4:5], v[6:7], 1.0
	v_fmac_f64_e32 v[6:7], v[6:7], v[10:11]
	v_div_scale_f64 v[10:11], vcc, 1.0, v[8:9], 1.0
	v_mul_f64 v[14:15], v[10:11], v[6:7]
	v_fma_f64 v[4:5], -v[4:5], v[14:15], v[10:11]
	s_nop 1
	v_div_fmas_f64 v[4:5], v[4:5], v[6:7], v[14:15]
	v_div_fixup_f64 v[4:5], v[4:5], v[8:9], 1.0
	v_mul_f64 v[10:11], v[2:3], v[4:5]
	v_xor_b32_e32 v5, 0x80000000, v5
	v_xor_b32_e32 v3, 0x80000000, v11
	v_mov_b32_e32 v2, v10
                                        ; implicit-def: $vgpr6_vgpr7
                                        ; implicit-def: $vgpr8_vgpr9
.LBB36_15:
	s_andn2_saveexec_b64 s[6:7], s[6:7]
	s_cbranch_execz .LBB36_17
; %bb.16:
	v_div_scale_f64 v[2:3], s[12:13], v[6:7], v[6:7], v[8:9]
	v_rcp_f64_e32 v[4:5], v[2:3]
	v_div_scale_f64 v[10:11], vcc, v[8:9], v[6:7], v[8:9]
	v_fma_f64 v[14:15], -v[2:3], v[4:5], 1.0
	v_fmac_f64_e32 v[4:5], v[4:5], v[14:15]
	v_fma_f64 v[14:15], -v[2:3], v[4:5], 1.0
	v_fmac_f64_e32 v[4:5], v[4:5], v[14:15]
	v_mul_f64 v[14:15], v[10:11], v[4:5]
	v_fma_f64 v[2:3], -v[2:3], v[14:15], v[10:11]
	v_div_fmas_f64 v[2:3], v[2:3], v[4:5], v[14:15]
	v_div_fixup_f64 v[4:5], v[2:3], v[6:7], v[8:9]
	v_fmac_f64_e32 v[6:7], v[8:9], v[4:5]
	v_div_scale_f64 v[2:3], s[12:13], v[6:7], v[6:7], 1.0
	v_rcp_f64_e32 v[8:9], v[2:3]
	v_fma_f64 v[10:11], -v[2:3], v[8:9], 1.0
	v_fmac_f64_e32 v[8:9], v[8:9], v[10:11]
	v_fma_f64 v[10:11], -v[2:3], v[8:9], 1.0
	v_fmac_f64_e32 v[8:9], v[8:9], v[10:11]
	v_div_scale_f64 v[10:11], vcc, 1.0, v[6:7], 1.0
	v_mul_f64 v[14:15], v[10:11], v[8:9]
	v_fma_f64 v[2:3], -v[2:3], v[14:15], v[10:11]
	s_nop 1
	v_div_fmas_f64 v[2:3], v[2:3], v[8:9], v[14:15]
	v_div_fixup_f64 v[10:11], v[2:3], v[6:7], 1.0
	v_xor_b32_e32 v3, 0x80000000, v11
	v_mov_b32_e32 v2, v10
	v_mul_f64 v[4:5], v[4:5], -v[10:11]
.LBB36_17:
	s_or_b64 exec, exec, s[6:7]
	buffer_store_dword v11, v12, s[0:3], 0 offen offset:4
	buffer_store_dword v10, v12, s[0:3], 0 offen
	buffer_store_dword v5, v12, s[0:3], 0 offen offset:12
	buffer_store_dword v4, v12, s[0:3], 0 offen offset:8
	v_accvgpr_read_b32 v6, a105
	buffer_load_dword v11, v6, s[0:3], 0 offen offset:12
	buffer_load_dword v10, v6, s[0:3], 0 offen offset:8
	;; [unrolled: 1-line block ×3, first 2 shown]
	buffer_load_dword v8, v6, s[0:3], 0 offen
	v_xor_b32_e32 v5, 0x80000000, v5
	v_add_u32_e32 v6, 0x250, v1
	ds_write_b128 v1, v[2:5]
	s_waitcnt vmcnt(0)
	ds_write_b128 v1, v[8:11] offset:592
	s_waitcnt lgkmcnt(0)
	; wave barrier
	s_waitcnt lgkmcnt(0)
	s_and_saveexec_b64 s[6:7], s[4:5]
	s_cbranch_execz .LBB36_19
; %bb.18:
	ds_read_b128 v[2:5], v6
	buffer_load_dword v8, v12, s[0:3], 0 offen
	buffer_load_dword v9, v12, s[0:3], 0 offen offset:4
	buffer_load_dword v10, v12, s[0:3], 0 offen offset:8
	;; [unrolled: 1-line block ×3, first 2 shown]
	s_waitcnt vmcnt(0) lgkmcnt(0)
	v_mul_f64 v[14:15], v[4:5], v[10:11]
	v_fma_f64 v[14:15], v[2:3], v[8:9], -v[14:15]
	v_mul_f64 v[2:3], v[2:3], v[10:11]
	v_fmac_f64_e32 v[2:3], v[4:5], v[8:9]
	v_add_f64 v[10:11], v[2:3], 0
	v_mov_b32_e32 v2, 0
	ds_read_b128 v[2:5], v2 offset:16
	v_add_f64 v[8:9], v[14:15], 0
	s_waitcnt lgkmcnt(0)
	v_mul_f64 v[14:15], v[10:11], v[4:5]
	v_fma_f64 v[14:15], v[8:9], v[2:3], -v[14:15]
	v_mul_f64 v[4:5], v[8:9], v[4:5]
	v_fmac_f64_e32 v[4:5], v[10:11], v[2:3]
	buffer_store_dword v14, off, s[0:3], 0 offset:32
	buffer_store_dword v15, off, s[0:3], 0 offset:36
	;; [unrolled: 1-line block ×4, first 2 shown]
.LBB36_19:
	s_or_b64 exec, exec, s[6:7]
	v_accvgpr_read_b32 v5, a107
	s_waitcnt lgkmcnt(0)
	; wave barrier
	buffer_load_dword v2, v5, s[0:3], 0 offen
	buffer_load_dword v3, v5, s[0:3], 0 offen offset:4
	buffer_load_dword v4, v5, s[0:3], 0 offen offset:8
	s_nop 0
	buffer_load_dword v5, v5, s[0:3], 0 offen offset:12
	v_cmp_gt_u32_e32 vcc, 2, v0
	s_waitcnt vmcnt(0)
	ds_write_b128 v6, v[2:5]
	s_waitcnt lgkmcnt(0)
	; wave barrier
	s_waitcnt lgkmcnt(0)
	s_and_saveexec_b64 s[6:7], vcc
	s_cbranch_execz .LBB36_23
; %bb.20:
	buffer_load_dword v8, v12, s[0:3], 0 offen offset:8
	buffer_load_dword v9, v12, s[0:3], 0 offen offset:12
	buffer_load_dword v10, v12, s[0:3], 0 offen
	buffer_load_dword v11, v12, s[0:3], 0 offen offset:4
	ds_read_b128 v[2:5], v6
	s_waitcnt vmcnt(2) lgkmcnt(0)
	v_mul_f64 v[12:13], v[4:5], v[8:9]
	v_mul_f64 v[8:9], v[2:3], v[8:9]
	s_waitcnt vmcnt(0)
	v_fma_f64 v[2:3], v[2:3], v[10:11], -v[12:13]
	v_fmac_f64_e32 v[8:9], v[4:5], v[10:11]
	v_add_f64 v[4:5], v[2:3], 0
	v_add_f64 v[2:3], v[8:9], 0
	s_and_saveexec_b64 s[12:13], s[4:5]
	s_cbranch_execz .LBB36_22
; %bb.21:
	v_mov_b32_e32 v7, 0
	ds_read_b128 v[8:11], v7 offset:608
	buffer_load_dword v12, off, s[0:3], 0 offset:32
	buffer_load_dword v13, off, s[0:3], 0 offset:36
	buffer_load_dword v14, off, s[0:3], 0 offset:40
	buffer_load_dword v15, off, s[0:3], 0 offset:44
	s_waitcnt vmcnt(0) lgkmcnt(0)
	v_mul_f64 v[16:17], v[8:9], v[14:15]
	v_fmac_f64_e32 v[16:17], v[10:11], v[12:13]
	v_mul_f64 v[10:11], v[10:11], v[14:15]
	v_fma_f64 v[8:9], v[8:9], v[12:13], -v[10:11]
	v_add_f64 v[2:3], v[2:3], v[16:17]
	v_add_f64 v[4:5], v[4:5], v[8:9]
.LBB36_22:
	s_or_b64 exec, exec, s[12:13]
	v_mov_b32_e32 v7, 0
	ds_read_b128 v[8:11], v7 offset:32
	s_waitcnt lgkmcnt(0)
	v_mul_f64 v[12:13], v[2:3], v[10:11]
	v_mul_f64 v[10:11], v[4:5], v[10:11]
	v_fma_f64 v[4:5], v[4:5], v[8:9], -v[12:13]
	v_fmac_f64_e32 v[10:11], v[2:3], v[8:9]
	buffer_store_dword v5, off, s[0:3], 0 offset:52
	buffer_store_dword v4, off, s[0:3], 0 offset:48
	;; [unrolled: 1-line block ×4, first 2 shown]
.LBB36_23:
	s_or_b64 exec, exec, s[6:7]
	v_accvgpr_read_b32 v5, a106
	s_waitcnt lgkmcnt(0)
	; wave barrier
	buffer_load_dword v2, v5, s[0:3], 0 offen
	buffer_load_dword v3, v5, s[0:3], 0 offen offset:4
	buffer_load_dword v4, v5, s[0:3], 0 offen offset:8
	s_nop 0
	buffer_load_dword v5, v5, s[0:3], 0 offen offset:12
	v_cmp_gt_u32_e32 vcc, 3, v0
	v_add_u32_e32 v7, -1, v0
	s_waitcnt vmcnt(0)
	ds_write_b128 v6, v[2:5]
	s_waitcnt lgkmcnt(0)
	; wave barrier
	s_waitcnt lgkmcnt(0)
	s_and_saveexec_b64 s[4:5], vcc
	s_cbranch_execz .LBB36_27
; %bb.24:
	v_pk_mov_b32 v[2:3], 0, 0
	v_add_u32_e32 v8, -1, v0
	v_add_u32_e32 v9, 0x250, v1
	v_add_u32_e32 v10, 16, v1
	s_mov_b64 s[6:7], 0
	v_pk_mov_b32 v[4:5], v[2:3], v[2:3] op_sel:[0,1]
.LBB36_25:                              ; =>This Inner Loop Header: Depth=1
	buffer_load_dword v16, v10, s[0:3], 0 offen offset:8
	buffer_load_dword v17, v10, s[0:3], 0 offen offset:12
	buffer_load_dword v18, v10, s[0:3], 0 offen
	buffer_load_dword v19, v10, s[0:3], 0 offen offset:4
	ds_read_b128 v[12:15], v9
	v_add_u32_e32 v8, 1, v8
	v_cmp_lt_u32_e32 vcc, 1, v8
	v_add_u32_e32 v9, 16, v9
	v_add_u32_e32 v10, 16, v10
	s_or_b64 s[6:7], vcc, s[6:7]
	s_waitcnt vmcnt(2) lgkmcnt(0)
	v_mul_f64 v[20:21], v[14:15], v[16:17]
	v_mul_f64 v[16:17], v[12:13], v[16:17]
	s_waitcnt vmcnt(0)
	v_fma_f64 v[12:13], v[12:13], v[18:19], -v[20:21]
	v_fmac_f64_e32 v[16:17], v[14:15], v[18:19]
	v_add_f64 v[4:5], v[4:5], v[12:13]
	v_add_f64 v[2:3], v[2:3], v[16:17]
	s_andn2_b64 exec, exec, s[6:7]
	s_cbranch_execnz .LBB36_25
; %bb.26:
	s_or_b64 exec, exec, s[6:7]
	v_mov_b32_e32 v8, 0
	ds_read_b128 v[8:11], v8 offset:48
	s_waitcnt lgkmcnt(0)
	v_mul_f64 v[12:13], v[2:3], v[10:11]
	v_mul_f64 v[10:11], v[4:5], v[10:11]
	v_fma_f64 v[4:5], v[4:5], v[8:9], -v[12:13]
	v_fmac_f64_e32 v[10:11], v[2:3], v[8:9]
	buffer_store_dword v5, off, s[0:3], 0 offset:68
	buffer_store_dword v4, off, s[0:3], 0 offset:64
	buffer_store_dword v11, off, s[0:3], 0 offset:76
	buffer_store_dword v10, off, s[0:3], 0 offset:72
.LBB36_27:
	s_or_b64 exec, exec, s[4:5]
	v_accvgpr_read_b32 v5, a104
	s_waitcnt lgkmcnt(0)
	; wave barrier
	buffer_load_dword v2, v5, s[0:3], 0 offen
	buffer_load_dword v3, v5, s[0:3], 0 offen offset:4
	buffer_load_dword v4, v5, s[0:3], 0 offen offset:8
	s_nop 0
	buffer_load_dword v5, v5, s[0:3], 0 offen offset:12
	v_cmp_gt_u32_e32 vcc, 4, v0
	s_waitcnt vmcnt(0)
	ds_write_b128 v6, v[2:5]
	s_waitcnt lgkmcnt(0)
	; wave barrier
	s_waitcnt lgkmcnt(0)
	s_and_saveexec_b64 s[4:5], vcc
	s_cbranch_execz .LBB36_31
; %bb.28:
	v_pk_mov_b32 v[2:3], 0, 0
	v_add_u32_e32 v8, -1, v0
	v_add_u32_e32 v9, 0x250, v1
	v_add_u32_e32 v10, 16, v1
	s_mov_b64 s[6:7], 0
	v_pk_mov_b32 v[4:5], v[2:3], v[2:3] op_sel:[0,1]
.LBB36_29:                              ; =>This Inner Loop Header: Depth=1
	buffer_load_dword v16, v10, s[0:3], 0 offen offset:8
	buffer_load_dword v17, v10, s[0:3], 0 offen offset:12
	buffer_load_dword v18, v10, s[0:3], 0 offen
	buffer_load_dword v19, v10, s[0:3], 0 offen offset:4
	ds_read_b128 v[12:15], v9
	v_add_u32_e32 v8, 1, v8
	v_cmp_lt_u32_e32 vcc, 2, v8
	v_add_u32_e32 v9, 16, v9
	v_add_u32_e32 v10, 16, v10
	s_or_b64 s[6:7], vcc, s[6:7]
	s_waitcnt vmcnt(2) lgkmcnt(0)
	v_mul_f64 v[20:21], v[14:15], v[16:17]
	v_mul_f64 v[16:17], v[12:13], v[16:17]
	s_waitcnt vmcnt(0)
	v_fma_f64 v[12:13], v[12:13], v[18:19], -v[20:21]
	v_fmac_f64_e32 v[16:17], v[14:15], v[18:19]
	v_add_f64 v[4:5], v[4:5], v[12:13]
	v_add_f64 v[2:3], v[2:3], v[16:17]
	s_andn2_b64 exec, exec, s[6:7]
	s_cbranch_execnz .LBB36_29
; %bb.30:
	s_or_b64 exec, exec, s[6:7]
	v_mov_b32_e32 v8, 0
	ds_read_b128 v[8:11], v8 offset:64
	s_waitcnt lgkmcnt(0)
	v_mul_f64 v[12:13], v[2:3], v[10:11]
	v_mul_f64 v[10:11], v[4:5], v[10:11]
	v_fma_f64 v[4:5], v[4:5], v[8:9], -v[12:13]
	v_fmac_f64_e32 v[10:11], v[2:3], v[8:9]
	buffer_store_dword v5, off, s[0:3], 0 offset:84
	buffer_store_dword v4, off, s[0:3], 0 offset:80
	buffer_store_dword v11, off, s[0:3], 0 offset:92
	buffer_store_dword v10, off, s[0:3], 0 offset:88
.LBB36_31:
	s_or_b64 exec, exec, s[4:5]
	v_accvgpr_read_b32 v5, a103
	s_waitcnt lgkmcnt(0)
	; wave barrier
	buffer_load_dword v2, v5, s[0:3], 0 offen
	buffer_load_dword v3, v5, s[0:3], 0 offen offset:4
	buffer_load_dword v4, v5, s[0:3], 0 offen offset:8
	s_nop 0
	buffer_load_dword v5, v5, s[0:3], 0 offen offset:12
	v_cmp_gt_u32_e32 vcc, 5, v0
	s_waitcnt vmcnt(0)
	ds_write_b128 v6, v[2:5]
	s_waitcnt lgkmcnt(0)
	; wave barrier
	s_waitcnt lgkmcnt(0)
	s_and_saveexec_b64 s[4:5], vcc
	s_cbranch_execz .LBB36_35
; %bb.32:
	v_pk_mov_b32 v[2:3], 0, 0
	v_add_u32_e32 v8, -1, v0
	v_add_u32_e32 v9, 0x250, v1
	v_add_u32_e32 v10, 16, v1
	s_mov_b64 s[6:7], 0
	v_pk_mov_b32 v[4:5], v[2:3], v[2:3] op_sel:[0,1]
.LBB36_33:                              ; =>This Inner Loop Header: Depth=1
	buffer_load_dword v16, v10, s[0:3], 0 offen offset:8
	buffer_load_dword v17, v10, s[0:3], 0 offen offset:12
	buffer_load_dword v18, v10, s[0:3], 0 offen
	buffer_load_dword v19, v10, s[0:3], 0 offen offset:4
	ds_read_b128 v[12:15], v9
	v_add_u32_e32 v8, 1, v8
	v_cmp_lt_u32_e32 vcc, 3, v8
	v_add_u32_e32 v9, 16, v9
	v_add_u32_e32 v10, 16, v10
	s_or_b64 s[6:7], vcc, s[6:7]
	s_waitcnt vmcnt(2) lgkmcnt(0)
	v_mul_f64 v[20:21], v[14:15], v[16:17]
	v_mul_f64 v[16:17], v[12:13], v[16:17]
	s_waitcnt vmcnt(0)
	v_fma_f64 v[12:13], v[12:13], v[18:19], -v[20:21]
	v_fmac_f64_e32 v[16:17], v[14:15], v[18:19]
	v_add_f64 v[4:5], v[4:5], v[12:13]
	v_add_f64 v[2:3], v[2:3], v[16:17]
	s_andn2_b64 exec, exec, s[6:7]
	s_cbranch_execnz .LBB36_33
; %bb.34:
	s_or_b64 exec, exec, s[6:7]
	v_mov_b32_e32 v8, 0
	ds_read_b128 v[8:11], v8 offset:80
	s_waitcnt lgkmcnt(0)
	v_mul_f64 v[12:13], v[2:3], v[10:11]
	v_mul_f64 v[10:11], v[4:5], v[10:11]
	v_fma_f64 v[4:5], v[4:5], v[8:9], -v[12:13]
	v_fmac_f64_e32 v[10:11], v[2:3], v[8:9]
	buffer_store_dword v5, off, s[0:3], 0 offset:100
	buffer_store_dword v4, off, s[0:3], 0 offset:96
	buffer_store_dword v11, off, s[0:3], 0 offset:108
	buffer_store_dword v10, off, s[0:3], 0 offset:104
.LBB36_35:
	s_or_b64 exec, exec, s[4:5]
	v_accvgpr_read_b32 v5, a102
	s_waitcnt lgkmcnt(0)
	; wave barrier
	buffer_load_dword v2, v5, s[0:3], 0 offen
	buffer_load_dword v3, v5, s[0:3], 0 offen offset:4
	buffer_load_dword v4, v5, s[0:3], 0 offen offset:8
	s_nop 0
	buffer_load_dword v5, v5, s[0:3], 0 offen offset:12
	v_cmp_gt_u32_e32 vcc, 6, v0
	s_waitcnt vmcnt(0)
	ds_write_b128 v6, v[2:5]
	s_waitcnt lgkmcnt(0)
	; wave barrier
	s_waitcnt lgkmcnt(0)
	s_and_saveexec_b64 s[4:5], vcc
	s_cbranch_execz .LBB36_39
; %bb.36:
	v_pk_mov_b32 v[2:3], 0, 0
	v_add_u32_e32 v8, -1, v0
	v_add_u32_e32 v9, 0x250, v1
	v_add_u32_e32 v10, 16, v1
	s_mov_b64 s[6:7], 0
	v_pk_mov_b32 v[4:5], v[2:3], v[2:3] op_sel:[0,1]
.LBB36_37:                              ; =>This Inner Loop Header: Depth=1
	buffer_load_dword v16, v10, s[0:3], 0 offen offset:8
	buffer_load_dword v17, v10, s[0:3], 0 offen offset:12
	buffer_load_dword v18, v10, s[0:3], 0 offen
	buffer_load_dword v19, v10, s[0:3], 0 offen offset:4
	ds_read_b128 v[12:15], v9
	v_add_u32_e32 v8, 1, v8
	v_cmp_lt_u32_e32 vcc, 4, v8
	v_add_u32_e32 v9, 16, v9
	v_add_u32_e32 v10, 16, v10
	s_or_b64 s[6:7], vcc, s[6:7]
	s_waitcnt vmcnt(2) lgkmcnt(0)
	v_mul_f64 v[20:21], v[14:15], v[16:17]
	v_mul_f64 v[16:17], v[12:13], v[16:17]
	s_waitcnt vmcnt(0)
	v_fma_f64 v[12:13], v[12:13], v[18:19], -v[20:21]
	v_fmac_f64_e32 v[16:17], v[14:15], v[18:19]
	v_add_f64 v[4:5], v[4:5], v[12:13]
	v_add_f64 v[2:3], v[2:3], v[16:17]
	s_andn2_b64 exec, exec, s[6:7]
	s_cbranch_execnz .LBB36_37
; %bb.38:
	s_or_b64 exec, exec, s[6:7]
	v_mov_b32_e32 v8, 0
	ds_read_b128 v[8:11], v8 offset:96
	s_waitcnt lgkmcnt(0)
	v_mul_f64 v[12:13], v[2:3], v[10:11]
	v_mul_f64 v[10:11], v[4:5], v[10:11]
	v_fma_f64 v[4:5], v[4:5], v[8:9], -v[12:13]
	v_fmac_f64_e32 v[10:11], v[2:3], v[8:9]
	buffer_store_dword v5, off, s[0:3], 0 offset:116
	buffer_store_dword v4, off, s[0:3], 0 offset:112
	buffer_store_dword v11, off, s[0:3], 0 offset:124
	buffer_store_dword v10, off, s[0:3], 0 offset:120
.LBB36_39:
	s_or_b64 exec, exec, s[4:5]
	v_accvgpr_read_b32 v5, a101
	s_waitcnt lgkmcnt(0)
	; wave barrier
	buffer_load_dword v2, v5, s[0:3], 0 offen
	buffer_load_dword v3, v5, s[0:3], 0 offen offset:4
	buffer_load_dword v4, v5, s[0:3], 0 offen offset:8
	s_nop 0
	buffer_load_dword v5, v5, s[0:3], 0 offen offset:12
	v_cmp_gt_u32_e32 vcc, 7, v0
	s_waitcnt vmcnt(0)
	ds_write_b128 v6, v[2:5]
	s_waitcnt lgkmcnt(0)
	; wave barrier
	s_waitcnt lgkmcnt(0)
	s_and_saveexec_b64 s[4:5], vcc
	s_cbranch_execz .LBB36_43
; %bb.40:
	v_pk_mov_b32 v[2:3], 0, 0
	v_add_u32_e32 v8, -1, v0
	v_add_u32_e32 v9, 0x250, v1
	v_add_u32_e32 v10, 16, v1
	s_mov_b64 s[6:7], 0
	v_pk_mov_b32 v[4:5], v[2:3], v[2:3] op_sel:[0,1]
.LBB36_41:                              ; =>This Inner Loop Header: Depth=1
	buffer_load_dword v16, v10, s[0:3], 0 offen offset:8
	buffer_load_dword v17, v10, s[0:3], 0 offen offset:12
	buffer_load_dword v18, v10, s[0:3], 0 offen
	buffer_load_dword v19, v10, s[0:3], 0 offen offset:4
	ds_read_b128 v[12:15], v9
	v_add_u32_e32 v8, 1, v8
	v_cmp_lt_u32_e32 vcc, 5, v8
	v_add_u32_e32 v9, 16, v9
	v_add_u32_e32 v10, 16, v10
	s_or_b64 s[6:7], vcc, s[6:7]
	s_waitcnt vmcnt(2) lgkmcnt(0)
	v_mul_f64 v[20:21], v[14:15], v[16:17]
	v_mul_f64 v[16:17], v[12:13], v[16:17]
	s_waitcnt vmcnt(0)
	v_fma_f64 v[12:13], v[12:13], v[18:19], -v[20:21]
	v_fmac_f64_e32 v[16:17], v[14:15], v[18:19]
	v_add_f64 v[4:5], v[4:5], v[12:13]
	v_add_f64 v[2:3], v[2:3], v[16:17]
	s_andn2_b64 exec, exec, s[6:7]
	s_cbranch_execnz .LBB36_41
; %bb.42:
	s_or_b64 exec, exec, s[6:7]
	v_mov_b32_e32 v8, 0
	ds_read_b128 v[8:11], v8 offset:112
	s_waitcnt lgkmcnt(0)
	v_mul_f64 v[12:13], v[2:3], v[10:11]
	v_mul_f64 v[10:11], v[4:5], v[10:11]
	v_fma_f64 v[4:5], v[4:5], v[8:9], -v[12:13]
	v_fmac_f64_e32 v[10:11], v[2:3], v[8:9]
	buffer_store_dword v5, off, s[0:3], 0 offset:132
	buffer_store_dword v4, off, s[0:3], 0 offset:128
	buffer_store_dword v11, off, s[0:3], 0 offset:140
	buffer_store_dword v10, off, s[0:3], 0 offset:136
.LBB36_43:
	s_or_b64 exec, exec, s[4:5]
	v_accvgpr_read_b32 v5, a100
	s_waitcnt lgkmcnt(0)
	; wave barrier
	buffer_load_dword v2, v5, s[0:3], 0 offen
	buffer_load_dword v3, v5, s[0:3], 0 offen offset:4
	buffer_load_dword v4, v5, s[0:3], 0 offen offset:8
	s_nop 0
	buffer_load_dword v5, v5, s[0:3], 0 offen offset:12
	v_cmp_gt_u32_e32 vcc, 8, v0
	s_waitcnt vmcnt(0)
	ds_write_b128 v6, v[2:5]
	s_waitcnt lgkmcnt(0)
	; wave barrier
	s_waitcnt lgkmcnt(0)
	s_and_saveexec_b64 s[4:5], vcc
	s_cbranch_execz .LBB36_47
; %bb.44:
	v_pk_mov_b32 v[2:3], 0, 0
	v_add_u32_e32 v8, -1, v0
	v_add_u32_e32 v9, 0x250, v1
	v_add_u32_e32 v10, 16, v1
	s_mov_b64 s[6:7], 0
	v_pk_mov_b32 v[4:5], v[2:3], v[2:3] op_sel:[0,1]
.LBB36_45:                              ; =>This Inner Loop Header: Depth=1
	buffer_load_dword v16, v10, s[0:3], 0 offen offset:8
	buffer_load_dword v17, v10, s[0:3], 0 offen offset:12
	buffer_load_dword v18, v10, s[0:3], 0 offen
	buffer_load_dword v19, v10, s[0:3], 0 offen offset:4
	ds_read_b128 v[12:15], v9
	v_add_u32_e32 v8, 1, v8
	v_cmp_lt_u32_e32 vcc, 6, v8
	v_add_u32_e32 v9, 16, v9
	v_add_u32_e32 v10, 16, v10
	s_or_b64 s[6:7], vcc, s[6:7]
	s_waitcnt vmcnt(2) lgkmcnt(0)
	v_mul_f64 v[20:21], v[14:15], v[16:17]
	v_mul_f64 v[16:17], v[12:13], v[16:17]
	s_waitcnt vmcnt(0)
	v_fma_f64 v[12:13], v[12:13], v[18:19], -v[20:21]
	v_fmac_f64_e32 v[16:17], v[14:15], v[18:19]
	v_add_f64 v[4:5], v[4:5], v[12:13]
	v_add_f64 v[2:3], v[2:3], v[16:17]
	s_andn2_b64 exec, exec, s[6:7]
	s_cbranch_execnz .LBB36_45
; %bb.46:
	s_or_b64 exec, exec, s[6:7]
	v_mov_b32_e32 v8, 0
	ds_read_b128 v[8:11], v8 offset:128
	s_waitcnt lgkmcnt(0)
	v_mul_f64 v[12:13], v[2:3], v[10:11]
	v_mul_f64 v[10:11], v[4:5], v[10:11]
	v_fma_f64 v[4:5], v[4:5], v[8:9], -v[12:13]
	v_fmac_f64_e32 v[10:11], v[2:3], v[8:9]
	buffer_store_dword v5, off, s[0:3], 0 offset:148
	buffer_store_dword v4, off, s[0:3], 0 offset:144
	buffer_store_dword v11, off, s[0:3], 0 offset:156
	buffer_store_dword v10, off, s[0:3], 0 offset:152
.LBB36_47:
	s_or_b64 exec, exec, s[4:5]
	v_accvgpr_read_b32 v5, a99
	s_waitcnt lgkmcnt(0)
	; wave barrier
	buffer_load_dword v2, v5, s[0:3], 0 offen
	buffer_load_dword v3, v5, s[0:3], 0 offen offset:4
	buffer_load_dword v4, v5, s[0:3], 0 offen offset:8
	s_nop 0
	buffer_load_dword v5, v5, s[0:3], 0 offen offset:12
	v_cmp_gt_u32_e32 vcc, 9, v0
	s_waitcnt vmcnt(0)
	ds_write_b128 v6, v[2:5]
	s_waitcnt lgkmcnt(0)
	; wave barrier
	s_waitcnt lgkmcnt(0)
	s_and_saveexec_b64 s[4:5], vcc
	s_cbranch_execz .LBB36_51
; %bb.48:
	v_pk_mov_b32 v[2:3], 0, 0
	v_add_u32_e32 v8, -1, v0
	v_add_u32_e32 v9, 0x250, v1
	v_add_u32_e32 v10, 16, v1
	s_mov_b64 s[6:7], 0
	v_pk_mov_b32 v[4:5], v[2:3], v[2:3] op_sel:[0,1]
.LBB36_49:                              ; =>This Inner Loop Header: Depth=1
	buffer_load_dword v16, v10, s[0:3], 0 offen offset:8
	buffer_load_dword v17, v10, s[0:3], 0 offen offset:12
	buffer_load_dword v18, v10, s[0:3], 0 offen
	buffer_load_dword v19, v10, s[0:3], 0 offen offset:4
	ds_read_b128 v[12:15], v9
	v_add_u32_e32 v8, 1, v8
	v_cmp_lt_u32_e32 vcc, 7, v8
	v_add_u32_e32 v9, 16, v9
	v_add_u32_e32 v10, 16, v10
	s_or_b64 s[6:7], vcc, s[6:7]
	s_waitcnt vmcnt(2) lgkmcnt(0)
	v_mul_f64 v[20:21], v[14:15], v[16:17]
	v_mul_f64 v[16:17], v[12:13], v[16:17]
	s_waitcnt vmcnt(0)
	v_fma_f64 v[12:13], v[12:13], v[18:19], -v[20:21]
	v_fmac_f64_e32 v[16:17], v[14:15], v[18:19]
	v_add_f64 v[4:5], v[4:5], v[12:13]
	v_add_f64 v[2:3], v[2:3], v[16:17]
	s_andn2_b64 exec, exec, s[6:7]
	s_cbranch_execnz .LBB36_49
; %bb.50:
	s_or_b64 exec, exec, s[6:7]
	v_mov_b32_e32 v8, 0
	ds_read_b128 v[8:11], v8 offset:144
	s_waitcnt lgkmcnt(0)
	v_mul_f64 v[12:13], v[2:3], v[10:11]
	v_mul_f64 v[10:11], v[4:5], v[10:11]
	v_fma_f64 v[4:5], v[4:5], v[8:9], -v[12:13]
	v_fmac_f64_e32 v[10:11], v[2:3], v[8:9]
	buffer_store_dword v5, off, s[0:3], 0 offset:164
	buffer_store_dword v4, off, s[0:3], 0 offset:160
	buffer_store_dword v11, off, s[0:3], 0 offset:172
	buffer_store_dword v10, off, s[0:3], 0 offset:168
.LBB36_51:
	s_or_b64 exec, exec, s[4:5]
	v_accvgpr_read_b32 v5, a98
	s_waitcnt lgkmcnt(0)
	; wave barrier
	buffer_load_dword v2, v5, s[0:3], 0 offen
	buffer_load_dword v3, v5, s[0:3], 0 offen offset:4
	buffer_load_dword v4, v5, s[0:3], 0 offen offset:8
	s_nop 0
	buffer_load_dword v5, v5, s[0:3], 0 offen offset:12
	v_cmp_gt_u32_e32 vcc, 10, v0
	s_waitcnt vmcnt(0)
	ds_write_b128 v6, v[2:5]
	s_waitcnt lgkmcnt(0)
	; wave barrier
	s_waitcnt lgkmcnt(0)
	s_and_saveexec_b64 s[4:5], vcc
	s_cbranch_execz .LBB36_55
; %bb.52:
	v_pk_mov_b32 v[2:3], 0, 0
	v_add_u32_e32 v8, -1, v0
	v_add_u32_e32 v9, 0x250, v1
	v_add_u32_e32 v10, 16, v1
	s_mov_b64 s[6:7], 0
	v_pk_mov_b32 v[4:5], v[2:3], v[2:3] op_sel:[0,1]
.LBB36_53:                              ; =>This Inner Loop Header: Depth=1
	buffer_load_dword v16, v10, s[0:3], 0 offen offset:8
	buffer_load_dword v17, v10, s[0:3], 0 offen offset:12
	buffer_load_dword v18, v10, s[0:3], 0 offen
	buffer_load_dword v19, v10, s[0:3], 0 offen offset:4
	ds_read_b128 v[12:15], v9
	v_add_u32_e32 v8, 1, v8
	v_cmp_lt_u32_e32 vcc, 8, v8
	v_add_u32_e32 v9, 16, v9
	v_add_u32_e32 v10, 16, v10
	s_or_b64 s[6:7], vcc, s[6:7]
	s_waitcnt vmcnt(2) lgkmcnt(0)
	v_mul_f64 v[20:21], v[14:15], v[16:17]
	v_mul_f64 v[16:17], v[12:13], v[16:17]
	s_waitcnt vmcnt(0)
	v_fma_f64 v[12:13], v[12:13], v[18:19], -v[20:21]
	v_fmac_f64_e32 v[16:17], v[14:15], v[18:19]
	v_add_f64 v[4:5], v[4:5], v[12:13]
	v_add_f64 v[2:3], v[2:3], v[16:17]
	s_andn2_b64 exec, exec, s[6:7]
	s_cbranch_execnz .LBB36_53
; %bb.54:
	s_or_b64 exec, exec, s[6:7]
	v_mov_b32_e32 v8, 0
	ds_read_b128 v[8:11], v8 offset:160
	s_waitcnt lgkmcnt(0)
	v_mul_f64 v[12:13], v[2:3], v[10:11]
	v_mul_f64 v[10:11], v[4:5], v[10:11]
	v_fma_f64 v[4:5], v[4:5], v[8:9], -v[12:13]
	v_fmac_f64_e32 v[10:11], v[2:3], v[8:9]
	buffer_store_dword v5, off, s[0:3], 0 offset:180
	buffer_store_dword v4, off, s[0:3], 0 offset:176
	buffer_store_dword v11, off, s[0:3], 0 offset:188
	buffer_store_dword v10, off, s[0:3], 0 offset:184
.LBB36_55:
	s_or_b64 exec, exec, s[4:5]
	v_accvgpr_read_b32 v5, a97
	s_waitcnt lgkmcnt(0)
	; wave barrier
	buffer_load_dword v2, v5, s[0:3], 0 offen
	buffer_load_dword v3, v5, s[0:3], 0 offen offset:4
	buffer_load_dword v4, v5, s[0:3], 0 offen offset:8
	s_nop 0
	buffer_load_dword v5, v5, s[0:3], 0 offen offset:12
	v_cmp_gt_u32_e32 vcc, 11, v0
	s_waitcnt vmcnt(0)
	ds_write_b128 v6, v[2:5]
	s_waitcnt lgkmcnt(0)
	; wave barrier
	s_waitcnt lgkmcnt(0)
	s_and_saveexec_b64 s[4:5], vcc
	s_cbranch_execz .LBB36_59
; %bb.56:
	v_pk_mov_b32 v[2:3], 0, 0
	v_add_u32_e32 v8, -1, v0
	v_add_u32_e32 v9, 0x250, v1
	v_add_u32_e32 v10, 16, v1
	s_mov_b64 s[6:7], 0
	v_pk_mov_b32 v[4:5], v[2:3], v[2:3] op_sel:[0,1]
.LBB36_57:                              ; =>This Inner Loop Header: Depth=1
	buffer_load_dword v16, v10, s[0:3], 0 offen offset:8
	buffer_load_dword v17, v10, s[0:3], 0 offen offset:12
	buffer_load_dword v18, v10, s[0:3], 0 offen
	buffer_load_dword v19, v10, s[0:3], 0 offen offset:4
	ds_read_b128 v[12:15], v9
	v_add_u32_e32 v8, 1, v8
	v_cmp_lt_u32_e32 vcc, 9, v8
	v_add_u32_e32 v9, 16, v9
	v_add_u32_e32 v10, 16, v10
	s_or_b64 s[6:7], vcc, s[6:7]
	s_waitcnt vmcnt(2) lgkmcnt(0)
	v_mul_f64 v[20:21], v[14:15], v[16:17]
	v_mul_f64 v[16:17], v[12:13], v[16:17]
	s_waitcnt vmcnt(0)
	v_fma_f64 v[12:13], v[12:13], v[18:19], -v[20:21]
	v_fmac_f64_e32 v[16:17], v[14:15], v[18:19]
	v_add_f64 v[4:5], v[4:5], v[12:13]
	v_add_f64 v[2:3], v[2:3], v[16:17]
	s_andn2_b64 exec, exec, s[6:7]
	s_cbranch_execnz .LBB36_57
; %bb.58:
	s_or_b64 exec, exec, s[6:7]
	v_mov_b32_e32 v8, 0
	ds_read_b128 v[8:11], v8 offset:176
	s_waitcnt lgkmcnt(0)
	v_mul_f64 v[12:13], v[2:3], v[10:11]
	v_mul_f64 v[10:11], v[4:5], v[10:11]
	v_fma_f64 v[4:5], v[4:5], v[8:9], -v[12:13]
	v_fmac_f64_e32 v[10:11], v[2:3], v[8:9]
	buffer_store_dword v5, off, s[0:3], 0 offset:196
	buffer_store_dword v4, off, s[0:3], 0 offset:192
	buffer_store_dword v11, off, s[0:3], 0 offset:204
	buffer_store_dword v10, off, s[0:3], 0 offset:200
.LBB36_59:
	s_or_b64 exec, exec, s[4:5]
	v_accvgpr_read_b32 v5, a96
	s_waitcnt lgkmcnt(0)
	; wave barrier
	buffer_load_dword v2, v5, s[0:3], 0 offen
	buffer_load_dword v3, v5, s[0:3], 0 offen offset:4
	buffer_load_dword v4, v5, s[0:3], 0 offen offset:8
	s_nop 0
	buffer_load_dword v5, v5, s[0:3], 0 offen offset:12
	v_cmp_gt_u32_e32 vcc, 12, v0
	s_waitcnt vmcnt(0)
	ds_write_b128 v6, v[2:5]
	s_waitcnt lgkmcnt(0)
	; wave barrier
	s_waitcnt lgkmcnt(0)
	s_and_saveexec_b64 s[4:5], vcc
	s_cbranch_execz .LBB36_63
; %bb.60:
	v_pk_mov_b32 v[2:3], 0, 0
	v_add_u32_e32 v8, -1, v0
	v_add_u32_e32 v9, 0x250, v1
	v_add_u32_e32 v10, 16, v1
	s_mov_b64 s[6:7], 0
	v_pk_mov_b32 v[4:5], v[2:3], v[2:3] op_sel:[0,1]
.LBB36_61:                              ; =>This Inner Loop Header: Depth=1
	buffer_load_dword v16, v10, s[0:3], 0 offen offset:8
	buffer_load_dword v17, v10, s[0:3], 0 offen offset:12
	buffer_load_dword v18, v10, s[0:3], 0 offen
	buffer_load_dword v19, v10, s[0:3], 0 offen offset:4
	ds_read_b128 v[12:15], v9
	v_add_u32_e32 v8, 1, v8
	v_cmp_lt_u32_e32 vcc, 10, v8
	v_add_u32_e32 v9, 16, v9
	v_add_u32_e32 v10, 16, v10
	s_or_b64 s[6:7], vcc, s[6:7]
	s_waitcnt vmcnt(2) lgkmcnt(0)
	v_mul_f64 v[20:21], v[14:15], v[16:17]
	v_mul_f64 v[16:17], v[12:13], v[16:17]
	s_waitcnt vmcnt(0)
	v_fma_f64 v[12:13], v[12:13], v[18:19], -v[20:21]
	v_fmac_f64_e32 v[16:17], v[14:15], v[18:19]
	v_add_f64 v[4:5], v[4:5], v[12:13]
	v_add_f64 v[2:3], v[2:3], v[16:17]
	s_andn2_b64 exec, exec, s[6:7]
	s_cbranch_execnz .LBB36_61
; %bb.62:
	s_or_b64 exec, exec, s[6:7]
	v_mov_b32_e32 v8, 0
	ds_read_b128 v[8:11], v8 offset:192
	s_waitcnt lgkmcnt(0)
	v_mul_f64 v[12:13], v[2:3], v[10:11]
	v_mul_f64 v[10:11], v[4:5], v[10:11]
	v_fma_f64 v[4:5], v[4:5], v[8:9], -v[12:13]
	v_fmac_f64_e32 v[10:11], v[2:3], v[8:9]
	buffer_store_dword v5, off, s[0:3], 0 offset:212
	buffer_store_dword v4, off, s[0:3], 0 offset:208
	buffer_store_dword v11, off, s[0:3], 0 offset:220
	buffer_store_dword v10, off, s[0:3], 0 offset:216
.LBB36_63:
	s_or_b64 exec, exec, s[4:5]
	v_accvgpr_read_b32 v5, a95
	s_waitcnt lgkmcnt(0)
	; wave barrier
	buffer_load_dword v2, v5, s[0:3], 0 offen
	buffer_load_dword v3, v5, s[0:3], 0 offen offset:4
	buffer_load_dword v4, v5, s[0:3], 0 offen offset:8
	s_nop 0
	buffer_load_dword v5, v5, s[0:3], 0 offen offset:12
	v_cmp_gt_u32_e32 vcc, 13, v0
	s_waitcnt vmcnt(0)
	ds_write_b128 v6, v[2:5]
	s_waitcnt lgkmcnt(0)
	; wave barrier
	s_waitcnt lgkmcnt(0)
	s_and_saveexec_b64 s[4:5], vcc
	s_cbranch_execz .LBB36_67
; %bb.64:
	v_pk_mov_b32 v[2:3], 0, 0
	v_add_u32_e32 v8, -1, v0
	v_add_u32_e32 v9, 0x250, v1
	v_add_u32_e32 v10, 16, v1
	s_mov_b64 s[6:7], 0
	v_pk_mov_b32 v[4:5], v[2:3], v[2:3] op_sel:[0,1]
.LBB36_65:                              ; =>This Inner Loop Header: Depth=1
	buffer_load_dword v16, v10, s[0:3], 0 offen offset:8
	buffer_load_dword v17, v10, s[0:3], 0 offen offset:12
	buffer_load_dword v18, v10, s[0:3], 0 offen
	buffer_load_dword v19, v10, s[0:3], 0 offen offset:4
	ds_read_b128 v[12:15], v9
	v_add_u32_e32 v8, 1, v8
	v_cmp_lt_u32_e32 vcc, 11, v8
	v_add_u32_e32 v9, 16, v9
	v_add_u32_e32 v10, 16, v10
	s_or_b64 s[6:7], vcc, s[6:7]
	s_waitcnt vmcnt(2) lgkmcnt(0)
	v_mul_f64 v[20:21], v[14:15], v[16:17]
	v_mul_f64 v[16:17], v[12:13], v[16:17]
	s_waitcnt vmcnt(0)
	v_fma_f64 v[12:13], v[12:13], v[18:19], -v[20:21]
	v_fmac_f64_e32 v[16:17], v[14:15], v[18:19]
	v_add_f64 v[4:5], v[4:5], v[12:13]
	v_add_f64 v[2:3], v[2:3], v[16:17]
	s_andn2_b64 exec, exec, s[6:7]
	s_cbranch_execnz .LBB36_65
; %bb.66:
	s_or_b64 exec, exec, s[6:7]
	v_mov_b32_e32 v8, 0
	ds_read_b128 v[8:11], v8 offset:208
	s_waitcnt lgkmcnt(0)
	v_mul_f64 v[12:13], v[2:3], v[10:11]
	v_mul_f64 v[10:11], v[4:5], v[10:11]
	v_fma_f64 v[4:5], v[4:5], v[8:9], -v[12:13]
	v_fmac_f64_e32 v[10:11], v[2:3], v[8:9]
	buffer_store_dword v5, off, s[0:3], 0 offset:228
	buffer_store_dword v4, off, s[0:3], 0 offset:224
	buffer_store_dword v11, off, s[0:3], 0 offset:236
	buffer_store_dword v10, off, s[0:3], 0 offset:232
.LBB36_67:
	s_or_b64 exec, exec, s[4:5]
	v_accvgpr_read_b32 v5, a94
	s_waitcnt lgkmcnt(0)
	; wave barrier
	buffer_load_dword v2, v5, s[0:3], 0 offen
	buffer_load_dword v3, v5, s[0:3], 0 offen offset:4
	buffer_load_dword v4, v5, s[0:3], 0 offen offset:8
	s_nop 0
	buffer_load_dword v5, v5, s[0:3], 0 offen offset:12
	v_cmp_gt_u32_e32 vcc, 14, v0
	s_waitcnt vmcnt(0)
	ds_write_b128 v6, v[2:5]
	s_waitcnt lgkmcnt(0)
	; wave barrier
	s_waitcnt lgkmcnt(0)
	s_and_saveexec_b64 s[4:5], vcc
	s_cbranch_execz .LBB36_71
; %bb.68:
	v_pk_mov_b32 v[2:3], 0, 0
	v_add_u32_e32 v8, -1, v0
	v_add_u32_e32 v9, 0x250, v1
	v_add_u32_e32 v10, 16, v1
	s_mov_b64 s[6:7], 0
	v_pk_mov_b32 v[4:5], v[2:3], v[2:3] op_sel:[0,1]
.LBB36_69:                              ; =>This Inner Loop Header: Depth=1
	buffer_load_dword v16, v10, s[0:3], 0 offen offset:8
	buffer_load_dword v17, v10, s[0:3], 0 offen offset:12
	buffer_load_dword v18, v10, s[0:3], 0 offen
	buffer_load_dword v19, v10, s[0:3], 0 offen offset:4
	ds_read_b128 v[12:15], v9
	v_add_u32_e32 v8, 1, v8
	v_cmp_lt_u32_e32 vcc, 12, v8
	v_add_u32_e32 v9, 16, v9
	v_add_u32_e32 v10, 16, v10
	s_or_b64 s[6:7], vcc, s[6:7]
	s_waitcnt vmcnt(2) lgkmcnt(0)
	v_mul_f64 v[20:21], v[14:15], v[16:17]
	v_mul_f64 v[16:17], v[12:13], v[16:17]
	s_waitcnt vmcnt(0)
	v_fma_f64 v[12:13], v[12:13], v[18:19], -v[20:21]
	v_fmac_f64_e32 v[16:17], v[14:15], v[18:19]
	v_add_f64 v[4:5], v[4:5], v[12:13]
	v_add_f64 v[2:3], v[2:3], v[16:17]
	s_andn2_b64 exec, exec, s[6:7]
	s_cbranch_execnz .LBB36_69
; %bb.70:
	s_or_b64 exec, exec, s[6:7]
	v_mov_b32_e32 v8, 0
	ds_read_b128 v[8:11], v8 offset:224
	s_waitcnt lgkmcnt(0)
	v_mul_f64 v[12:13], v[2:3], v[10:11]
	v_mul_f64 v[10:11], v[4:5], v[10:11]
	v_fma_f64 v[4:5], v[4:5], v[8:9], -v[12:13]
	v_fmac_f64_e32 v[10:11], v[2:3], v[8:9]
	buffer_store_dword v5, off, s[0:3], 0 offset:244
	buffer_store_dword v4, off, s[0:3], 0 offset:240
	buffer_store_dword v11, off, s[0:3], 0 offset:252
	buffer_store_dword v10, off, s[0:3], 0 offset:248
.LBB36_71:
	s_or_b64 exec, exec, s[4:5]
	v_accvgpr_read_b32 v5, a93
	s_waitcnt lgkmcnt(0)
	; wave barrier
	buffer_load_dword v2, v5, s[0:3], 0 offen
	buffer_load_dword v3, v5, s[0:3], 0 offen offset:4
	buffer_load_dword v4, v5, s[0:3], 0 offen offset:8
	s_nop 0
	buffer_load_dword v5, v5, s[0:3], 0 offen offset:12
	v_cmp_gt_u32_e32 vcc, 15, v0
	s_waitcnt vmcnt(0)
	ds_write_b128 v6, v[2:5]
	s_waitcnt lgkmcnt(0)
	; wave barrier
	s_waitcnt lgkmcnt(0)
	s_and_saveexec_b64 s[4:5], vcc
	s_cbranch_execz .LBB36_75
; %bb.72:
	v_pk_mov_b32 v[2:3], 0, 0
	v_add_u32_e32 v8, -1, v0
	v_add_u32_e32 v9, 0x250, v1
	v_add_u32_e32 v10, 16, v1
	s_mov_b64 s[6:7], 0
	v_pk_mov_b32 v[4:5], v[2:3], v[2:3] op_sel:[0,1]
.LBB36_73:                              ; =>This Inner Loop Header: Depth=1
	buffer_load_dword v16, v10, s[0:3], 0 offen offset:8
	buffer_load_dword v17, v10, s[0:3], 0 offen offset:12
	buffer_load_dword v18, v10, s[0:3], 0 offen
	buffer_load_dword v19, v10, s[0:3], 0 offen offset:4
	ds_read_b128 v[12:15], v9
	v_add_u32_e32 v8, 1, v8
	v_cmp_lt_u32_e32 vcc, 13, v8
	v_add_u32_e32 v9, 16, v9
	v_add_u32_e32 v10, 16, v10
	s_or_b64 s[6:7], vcc, s[6:7]
	s_waitcnt vmcnt(2) lgkmcnt(0)
	v_mul_f64 v[20:21], v[14:15], v[16:17]
	v_mul_f64 v[16:17], v[12:13], v[16:17]
	s_waitcnt vmcnt(0)
	v_fma_f64 v[12:13], v[12:13], v[18:19], -v[20:21]
	v_fmac_f64_e32 v[16:17], v[14:15], v[18:19]
	v_add_f64 v[4:5], v[4:5], v[12:13]
	v_add_f64 v[2:3], v[2:3], v[16:17]
	s_andn2_b64 exec, exec, s[6:7]
	s_cbranch_execnz .LBB36_73
; %bb.74:
	s_or_b64 exec, exec, s[6:7]
	v_mov_b32_e32 v8, 0
	ds_read_b128 v[8:11], v8 offset:240
	s_waitcnt lgkmcnt(0)
	v_mul_f64 v[12:13], v[2:3], v[10:11]
	v_mul_f64 v[10:11], v[4:5], v[10:11]
	v_fma_f64 v[4:5], v[4:5], v[8:9], -v[12:13]
	v_fmac_f64_e32 v[10:11], v[2:3], v[8:9]
	buffer_store_dword v5, off, s[0:3], 0 offset:260
	buffer_store_dword v4, off, s[0:3], 0 offset:256
	buffer_store_dword v11, off, s[0:3], 0 offset:268
	buffer_store_dword v10, off, s[0:3], 0 offset:264
.LBB36_75:
	s_or_b64 exec, exec, s[4:5]
	v_accvgpr_read_b32 v5, a92
	s_waitcnt lgkmcnt(0)
	; wave barrier
	buffer_load_dword v2, v5, s[0:3], 0 offen
	buffer_load_dword v3, v5, s[0:3], 0 offen offset:4
	buffer_load_dword v4, v5, s[0:3], 0 offen offset:8
	s_nop 0
	buffer_load_dword v5, v5, s[0:3], 0 offen offset:12
	v_cmp_gt_u32_e32 vcc, 16, v0
	s_waitcnt vmcnt(0)
	ds_write_b128 v6, v[2:5]
	s_waitcnt lgkmcnt(0)
	; wave barrier
	s_waitcnt lgkmcnt(0)
	s_and_saveexec_b64 s[4:5], vcc
	s_cbranch_execz .LBB36_79
; %bb.76:
	v_pk_mov_b32 v[2:3], 0, 0
	v_add_u32_e32 v8, -1, v0
	v_add_u32_e32 v9, 0x250, v1
	v_add_u32_e32 v10, 16, v1
	s_mov_b64 s[6:7], 0
	v_pk_mov_b32 v[4:5], v[2:3], v[2:3] op_sel:[0,1]
.LBB36_77:                              ; =>This Inner Loop Header: Depth=1
	buffer_load_dword v16, v10, s[0:3], 0 offen offset:8
	buffer_load_dword v17, v10, s[0:3], 0 offen offset:12
	buffer_load_dword v18, v10, s[0:3], 0 offen
	buffer_load_dword v19, v10, s[0:3], 0 offen offset:4
	ds_read_b128 v[12:15], v9
	v_add_u32_e32 v8, 1, v8
	v_cmp_lt_u32_e32 vcc, 14, v8
	v_add_u32_e32 v9, 16, v9
	v_add_u32_e32 v10, 16, v10
	s_or_b64 s[6:7], vcc, s[6:7]
	s_waitcnt vmcnt(2) lgkmcnt(0)
	v_mul_f64 v[20:21], v[14:15], v[16:17]
	v_mul_f64 v[16:17], v[12:13], v[16:17]
	s_waitcnt vmcnt(0)
	v_fma_f64 v[12:13], v[12:13], v[18:19], -v[20:21]
	v_fmac_f64_e32 v[16:17], v[14:15], v[18:19]
	v_add_f64 v[4:5], v[4:5], v[12:13]
	v_add_f64 v[2:3], v[2:3], v[16:17]
	s_andn2_b64 exec, exec, s[6:7]
	s_cbranch_execnz .LBB36_77
; %bb.78:
	s_or_b64 exec, exec, s[6:7]
	v_mov_b32_e32 v8, 0
	ds_read_b128 v[8:11], v8 offset:256
	s_waitcnt lgkmcnt(0)
	v_mul_f64 v[12:13], v[2:3], v[10:11]
	v_mul_f64 v[10:11], v[4:5], v[10:11]
	v_fma_f64 v[4:5], v[4:5], v[8:9], -v[12:13]
	v_fmac_f64_e32 v[10:11], v[2:3], v[8:9]
	buffer_store_dword v5, off, s[0:3], 0 offset:276
	buffer_store_dword v4, off, s[0:3], 0 offset:272
	buffer_store_dword v11, off, s[0:3], 0 offset:284
	buffer_store_dword v10, off, s[0:3], 0 offset:280
.LBB36_79:
	s_or_b64 exec, exec, s[4:5]
	v_accvgpr_read_b32 v5, a91
	s_waitcnt lgkmcnt(0)
	; wave barrier
	buffer_load_dword v2, v5, s[0:3], 0 offen
	buffer_load_dword v3, v5, s[0:3], 0 offen offset:4
	buffer_load_dword v4, v5, s[0:3], 0 offen offset:8
	s_nop 0
	buffer_load_dword v5, v5, s[0:3], 0 offen offset:12
	v_cmp_gt_u32_e32 vcc, 17, v0
	s_waitcnt vmcnt(0)
	ds_write_b128 v6, v[2:5]
	s_waitcnt lgkmcnt(0)
	; wave barrier
	s_waitcnt lgkmcnt(0)
	s_and_saveexec_b64 s[4:5], vcc
	s_cbranch_execz .LBB36_83
; %bb.80:
	v_pk_mov_b32 v[2:3], 0, 0
	v_add_u32_e32 v8, -1, v0
	v_add_u32_e32 v9, 0x250, v1
	v_add_u32_e32 v10, 16, v1
	s_mov_b64 s[6:7], 0
	v_pk_mov_b32 v[4:5], v[2:3], v[2:3] op_sel:[0,1]
.LBB36_81:                              ; =>This Inner Loop Header: Depth=1
	buffer_load_dword v16, v10, s[0:3], 0 offen offset:8
	buffer_load_dword v17, v10, s[0:3], 0 offen offset:12
	buffer_load_dword v18, v10, s[0:3], 0 offen
	buffer_load_dword v19, v10, s[0:3], 0 offen offset:4
	ds_read_b128 v[12:15], v9
	v_add_u32_e32 v8, 1, v8
	v_cmp_lt_u32_e32 vcc, 15, v8
	v_add_u32_e32 v9, 16, v9
	v_add_u32_e32 v10, 16, v10
	s_or_b64 s[6:7], vcc, s[6:7]
	s_waitcnt vmcnt(2) lgkmcnt(0)
	v_mul_f64 v[20:21], v[14:15], v[16:17]
	v_mul_f64 v[16:17], v[12:13], v[16:17]
	s_waitcnt vmcnt(0)
	v_fma_f64 v[12:13], v[12:13], v[18:19], -v[20:21]
	v_fmac_f64_e32 v[16:17], v[14:15], v[18:19]
	v_add_f64 v[4:5], v[4:5], v[12:13]
	v_add_f64 v[2:3], v[2:3], v[16:17]
	s_andn2_b64 exec, exec, s[6:7]
	s_cbranch_execnz .LBB36_81
; %bb.82:
	s_or_b64 exec, exec, s[6:7]
	v_mov_b32_e32 v8, 0
	ds_read_b128 v[8:11], v8 offset:272
	s_waitcnt lgkmcnt(0)
	v_mul_f64 v[12:13], v[2:3], v[10:11]
	v_mul_f64 v[10:11], v[4:5], v[10:11]
	v_fma_f64 v[4:5], v[4:5], v[8:9], -v[12:13]
	v_fmac_f64_e32 v[10:11], v[2:3], v[8:9]
	buffer_store_dword v5, off, s[0:3], 0 offset:292
	buffer_store_dword v4, off, s[0:3], 0 offset:288
	buffer_store_dword v11, off, s[0:3], 0 offset:300
	buffer_store_dword v10, off, s[0:3], 0 offset:296
.LBB36_83:
	s_or_b64 exec, exec, s[4:5]
	v_accvgpr_read_b32 v5, a90
	s_waitcnt lgkmcnt(0)
	; wave barrier
	buffer_load_dword v2, v5, s[0:3], 0 offen
	buffer_load_dword v3, v5, s[0:3], 0 offen offset:4
	buffer_load_dword v4, v5, s[0:3], 0 offen offset:8
	s_nop 0
	buffer_load_dword v5, v5, s[0:3], 0 offen offset:12
	v_cmp_gt_u32_e32 vcc, 18, v0
	s_waitcnt vmcnt(0)
	ds_write_b128 v6, v[2:5]
	s_waitcnt lgkmcnt(0)
	; wave barrier
	s_waitcnt lgkmcnt(0)
	s_and_saveexec_b64 s[4:5], vcc
	s_cbranch_execz .LBB36_87
; %bb.84:
	v_pk_mov_b32 v[2:3], 0, 0
	v_add_u32_e32 v8, -1, v0
	v_add_u32_e32 v9, 0x250, v1
	v_add_u32_e32 v10, 16, v1
	s_mov_b64 s[6:7], 0
	v_pk_mov_b32 v[4:5], v[2:3], v[2:3] op_sel:[0,1]
.LBB36_85:                              ; =>This Inner Loop Header: Depth=1
	buffer_load_dword v16, v10, s[0:3], 0 offen offset:8
	buffer_load_dword v17, v10, s[0:3], 0 offen offset:12
	buffer_load_dword v18, v10, s[0:3], 0 offen
	buffer_load_dword v19, v10, s[0:3], 0 offen offset:4
	ds_read_b128 v[12:15], v9
	v_add_u32_e32 v8, 1, v8
	v_cmp_lt_u32_e32 vcc, 16, v8
	v_add_u32_e32 v9, 16, v9
	v_add_u32_e32 v10, 16, v10
	s_or_b64 s[6:7], vcc, s[6:7]
	s_waitcnt vmcnt(2) lgkmcnt(0)
	v_mul_f64 v[20:21], v[14:15], v[16:17]
	v_mul_f64 v[16:17], v[12:13], v[16:17]
	s_waitcnt vmcnt(0)
	v_fma_f64 v[12:13], v[12:13], v[18:19], -v[20:21]
	v_fmac_f64_e32 v[16:17], v[14:15], v[18:19]
	v_add_f64 v[4:5], v[4:5], v[12:13]
	v_add_f64 v[2:3], v[2:3], v[16:17]
	s_andn2_b64 exec, exec, s[6:7]
	s_cbranch_execnz .LBB36_85
; %bb.86:
	s_or_b64 exec, exec, s[6:7]
	v_mov_b32_e32 v8, 0
	ds_read_b128 v[8:11], v8 offset:288
	s_waitcnt lgkmcnt(0)
	v_mul_f64 v[12:13], v[2:3], v[10:11]
	v_mul_f64 v[10:11], v[4:5], v[10:11]
	v_fma_f64 v[4:5], v[4:5], v[8:9], -v[12:13]
	v_fmac_f64_e32 v[10:11], v[2:3], v[8:9]
	buffer_store_dword v5, off, s[0:3], 0 offset:308
	buffer_store_dword v4, off, s[0:3], 0 offset:304
	buffer_store_dword v11, off, s[0:3], 0 offset:316
	buffer_store_dword v10, off, s[0:3], 0 offset:312
.LBB36_87:
	s_or_b64 exec, exec, s[4:5]
	v_accvgpr_read_b32 v5, a89
	s_waitcnt lgkmcnt(0)
	; wave barrier
	buffer_load_dword v2, v5, s[0:3], 0 offen
	buffer_load_dword v3, v5, s[0:3], 0 offen offset:4
	buffer_load_dword v4, v5, s[0:3], 0 offen offset:8
	s_nop 0
	buffer_load_dword v5, v5, s[0:3], 0 offen offset:12
	v_cmp_gt_u32_e32 vcc, 19, v0
	s_waitcnt vmcnt(0)
	ds_write_b128 v6, v[2:5]
	s_waitcnt lgkmcnt(0)
	; wave barrier
	s_waitcnt lgkmcnt(0)
	s_and_saveexec_b64 s[4:5], vcc
	s_cbranch_execz .LBB36_91
; %bb.88:
	v_pk_mov_b32 v[2:3], 0, 0
	v_add_u32_e32 v8, -1, v0
	v_add_u32_e32 v9, 0x250, v1
	v_add_u32_e32 v10, 16, v1
	s_mov_b64 s[6:7], 0
	v_pk_mov_b32 v[4:5], v[2:3], v[2:3] op_sel:[0,1]
.LBB36_89:                              ; =>This Inner Loop Header: Depth=1
	buffer_load_dword v16, v10, s[0:3], 0 offen offset:8
	buffer_load_dword v17, v10, s[0:3], 0 offen offset:12
	buffer_load_dword v18, v10, s[0:3], 0 offen
	buffer_load_dword v19, v10, s[0:3], 0 offen offset:4
	ds_read_b128 v[12:15], v9
	v_add_u32_e32 v8, 1, v8
	v_cmp_lt_u32_e32 vcc, 17, v8
	v_add_u32_e32 v9, 16, v9
	v_add_u32_e32 v10, 16, v10
	s_or_b64 s[6:7], vcc, s[6:7]
	s_waitcnt vmcnt(2) lgkmcnt(0)
	v_mul_f64 v[20:21], v[14:15], v[16:17]
	v_mul_f64 v[16:17], v[12:13], v[16:17]
	s_waitcnt vmcnt(0)
	v_fma_f64 v[12:13], v[12:13], v[18:19], -v[20:21]
	v_fmac_f64_e32 v[16:17], v[14:15], v[18:19]
	v_add_f64 v[4:5], v[4:5], v[12:13]
	v_add_f64 v[2:3], v[2:3], v[16:17]
	s_andn2_b64 exec, exec, s[6:7]
	s_cbranch_execnz .LBB36_89
; %bb.90:
	s_or_b64 exec, exec, s[6:7]
	v_mov_b32_e32 v8, 0
	ds_read_b128 v[8:11], v8 offset:304
	s_waitcnt lgkmcnt(0)
	v_mul_f64 v[12:13], v[2:3], v[10:11]
	v_mul_f64 v[10:11], v[4:5], v[10:11]
	v_fma_f64 v[4:5], v[4:5], v[8:9], -v[12:13]
	v_fmac_f64_e32 v[10:11], v[2:3], v[8:9]
	buffer_store_dword v5, off, s[0:3], 0 offset:324
	buffer_store_dword v4, off, s[0:3], 0 offset:320
	buffer_store_dword v11, off, s[0:3], 0 offset:332
	buffer_store_dword v10, off, s[0:3], 0 offset:328
.LBB36_91:
	s_or_b64 exec, exec, s[4:5]
	v_accvgpr_read_b32 v5, a88
	s_waitcnt lgkmcnt(0)
	; wave barrier
	buffer_load_dword v2, v5, s[0:3], 0 offen
	buffer_load_dword v3, v5, s[0:3], 0 offen offset:4
	buffer_load_dword v4, v5, s[0:3], 0 offen offset:8
	s_nop 0
	buffer_load_dword v5, v5, s[0:3], 0 offen offset:12
	v_cmp_gt_u32_e32 vcc, 20, v0
	s_waitcnt vmcnt(0)
	ds_write_b128 v6, v[2:5]
	s_waitcnt lgkmcnt(0)
	; wave barrier
	s_waitcnt lgkmcnt(0)
	s_and_saveexec_b64 s[4:5], vcc
	s_cbranch_execz .LBB36_95
; %bb.92:
	v_pk_mov_b32 v[2:3], 0, 0
	v_add_u32_e32 v8, -1, v0
	v_add_u32_e32 v9, 0x250, v1
	v_add_u32_e32 v10, 16, v1
	s_mov_b64 s[6:7], 0
	v_pk_mov_b32 v[4:5], v[2:3], v[2:3] op_sel:[0,1]
.LBB36_93:                              ; =>This Inner Loop Header: Depth=1
	buffer_load_dword v16, v10, s[0:3], 0 offen offset:8
	buffer_load_dword v17, v10, s[0:3], 0 offen offset:12
	buffer_load_dword v18, v10, s[0:3], 0 offen
	buffer_load_dword v19, v10, s[0:3], 0 offen offset:4
	ds_read_b128 v[12:15], v9
	v_add_u32_e32 v8, 1, v8
	v_cmp_lt_u32_e32 vcc, 18, v8
	v_add_u32_e32 v9, 16, v9
	v_add_u32_e32 v10, 16, v10
	s_or_b64 s[6:7], vcc, s[6:7]
	s_waitcnt vmcnt(2) lgkmcnt(0)
	v_mul_f64 v[20:21], v[14:15], v[16:17]
	v_mul_f64 v[16:17], v[12:13], v[16:17]
	s_waitcnt vmcnt(0)
	v_fma_f64 v[12:13], v[12:13], v[18:19], -v[20:21]
	v_fmac_f64_e32 v[16:17], v[14:15], v[18:19]
	v_add_f64 v[4:5], v[4:5], v[12:13]
	v_add_f64 v[2:3], v[2:3], v[16:17]
	s_andn2_b64 exec, exec, s[6:7]
	s_cbranch_execnz .LBB36_93
; %bb.94:
	s_or_b64 exec, exec, s[6:7]
	v_mov_b32_e32 v8, 0
	ds_read_b128 v[8:11], v8 offset:320
	s_waitcnt lgkmcnt(0)
	v_mul_f64 v[12:13], v[2:3], v[10:11]
	v_mul_f64 v[10:11], v[4:5], v[10:11]
	v_fma_f64 v[4:5], v[4:5], v[8:9], -v[12:13]
	v_fmac_f64_e32 v[10:11], v[2:3], v[8:9]
	buffer_store_dword v5, off, s[0:3], 0 offset:340
	buffer_store_dword v4, off, s[0:3], 0 offset:336
	buffer_store_dword v11, off, s[0:3], 0 offset:348
	buffer_store_dword v10, off, s[0:3], 0 offset:344
.LBB36_95:
	s_or_b64 exec, exec, s[4:5]
	v_accvgpr_read_b32 v5, a87
	s_waitcnt lgkmcnt(0)
	; wave barrier
	buffer_load_dword v2, v5, s[0:3], 0 offen
	buffer_load_dword v3, v5, s[0:3], 0 offen offset:4
	buffer_load_dword v4, v5, s[0:3], 0 offen offset:8
	s_nop 0
	buffer_load_dword v5, v5, s[0:3], 0 offen offset:12
	v_cmp_gt_u32_e32 vcc, 21, v0
	s_waitcnt vmcnt(0)
	ds_write_b128 v6, v[2:5]
	s_waitcnt lgkmcnt(0)
	; wave barrier
	s_waitcnt lgkmcnt(0)
	s_and_saveexec_b64 s[4:5], vcc
	s_cbranch_execz .LBB36_99
; %bb.96:
	v_pk_mov_b32 v[2:3], 0, 0
	v_add_u32_e32 v8, -1, v0
	v_add_u32_e32 v9, 0x250, v1
	v_add_u32_e32 v10, 16, v1
	s_mov_b64 s[6:7], 0
	v_pk_mov_b32 v[4:5], v[2:3], v[2:3] op_sel:[0,1]
.LBB36_97:                              ; =>This Inner Loop Header: Depth=1
	buffer_load_dword v16, v10, s[0:3], 0 offen offset:8
	buffer_load_dword v17, v10, s[0:3], 0 offen offset:12
	buffer_load_dword v18, v10, s[0:3], 0 offen
	buffer_load_dword v19, v10, s[0:3], 0 offen offset:4
	ds_read_b128 v[12:15], v9
	v_add_u32_e32 v8, 1, v8
	v_cmp_lt_u32_e32 vcc, 19, v8
	v_add_u32_e32 v9, 16, v9
	v_add_u32_e32 v10, 16, v10
	s_or_b64 s[6:7], vcc, s[6:7]
	s_waitcnt vmcnt(2) lgkmcnt(0)
	v_mul_f64 v[20:21], v[14:15], v[16:17]
	v_mul_f64 v[16:17], v[12:13], v[16:17]
	s_waitcnt vmcnt(0)
	v_fma_f64 v[12:13], v[12:13], v[18:19], -v[20:21]
	v_fmac_f64_e32 v[16:17], v[14:15], v[18:19]
	v_add_f64 v[4:5], v[4:5], v[12:13]
	v_add_f64 v[2:3], v[2:3], v[16:17]
	s_andn2_b64 exec, exec, s[6:7]
	s_cbranch_execnz .LBB36_97
; %bb.98:
	s_or_b64 exec, exec, s[6:7]
	v_mov_b32_e32 v8, 0
	ds_read_b128 v[8:11], v8 offset:336
	s_waitcnt lgkmcnt(0)
	v_mul_f64 v[12:13], v[2:3], v[10:11]
	v_mul_f64 v[10:11], v[4:5], v[10:11]
	v_fma_f64 v[4:5], v[4:5], v[8:9], -v[12:13]
	v_fmac_f64_e32 v[10:11], v[2:3], v[8:9]
	buffer_store_dword v5, off, s[0:3], 0 offset:356
	buffer_store_dword v4, off, s[0:3], 0 offset:352
	buffer_store_dword v11, off, s[0:3], 0 offset:364
	buffer_store_dword v10, off, s[0:3], 0 offset:360
.LBB36_99:
	s_or_b64 exec, exec, s[4:5]
	v_accvgpr_read_b32 v5, a86
	s_waitcnt lgkmcnt(0)
	; wave barrier
	buffer_load_dword v2, v5, s[0:3], 0 offen
	buffer_load_dword v3, v5, s[0:3], 0 offen offset:4
	buffer_load_dword v4, v5, s[0:3], 0 offen offset:8
	s_nop 0
	buffer_load_dword v5, v5, s[0:3], 0 offen offset:12
	v_cmp_gt_u32_e32 vcc, 22, v0
	s_waitcnt vmcnt(0)
	ds_write_b128 v6, v[2:5]
	s_waitcnt lgkmcnt(0)
	; wave barrier
	s_waitcnt lgkmcnt(0)
	s_and_saveexec_b64 s[4:5], vcc
	s_cbranch_execz .LBB36_103
; %bb.100:
	v_pk_mov_b32 v[2:3], 0, 0
	v_add_u32_e32 v8, -1, v0
	v_add_u32_e32 v9, 0x250, v1
	v_add_u32_e32 v10, 16, v1
	s_mov_b64 s[6:7], 0
	v_pk_mov_b32 v[4:5], v[2:3], v[2:3] op_sel:[0,1]
.LBB36_101:                             ; =>This Inner Loop Header: Depth=1
	buffer_load_dword v16, v10, s[0:3], 0 offen offset:8
	buffer_load_dword v17, v10, s[0:3], 0 offen offset:12
	buffer_load_dword v18, v10, s[0:3], 0 offen
	buffer_load_dword v19, v10, s[0:3], 0 offen offset:4
	ds_read_b128 v[12:15], v9
	v_add_u32_e32 v8, 1, v8
	v_cmp_lt_u32_e32 vcc, 20, v8
	v_add_u32_e32 v9, 16, v9
	v_add_u32_e32 v10, 16, v10
	s_or_b64 s[6:7], vcc, s[6:7]
	s_waitcnt vmcnt(2) lgkmcnt(0)
	v_mul_f64 v[20:21], v[14:15], v[16:17]
	v_mul_f64 v[16:17], v[12:13], v[16:17]
	s_waitcnt vmcnt(0)
	v_fma_f64 v[12:13], v[12:13], v[18:19], -v[20:21]
	v_fmac_f64_e32 v[16:17], v[14:15], v[18:19]
	v_add_f64 v[4:5], v[4:5], v[12:13]
	v_add_f64 v[2:3], v[2:3], v[16:17]
	s_andn2_b64 exec, exec, s[6:7]
	s_cbranch_execnz .LBB36_101
; %bb.102:
	s_or_b64 exec, exec, s[6:7]
	v_mov_b32_e32 v8, 0
	ds_read_b128 v[8:11], v8 offset:352
	s_waitcnt lgkmcnt(0)
	v_mul_f64 v[12:13], v[2:3], v[10:11]
	v_mul_f64 v[10:11], v[4:5], v[10:11]
	v_fma_f64 v[4:5], v[4:5], v[8:9], -v[12:13]
	v_fmac_f64_e32 v[10:11], v[2:3], v[8:9]
	buffer_store_dword v5, off, s[0:3], 0 offset:372
	buffer_store_dword v4, off, s[0:3], 0 offset:368
	buffer_store_dword v11, off, s[0:3], 0 offset:380
	buffer_store_dword v10, off, s[0:3], 0 offset:376
.LBB36_103:
	s_or_b64 exec, exec, s[4:5]
	v_accvgpr_read_b32 v5, a85
	s_waitcnt lgkmcnt(0)
	; wave barrier
	buffer_load_dword v2, v5, s[0:3], 0 offen
	buffer_load_dword v3, v5, s[0:3], 0 offen offset:4
	buffer_load_dword v4, v5, s[0:3], 0 offen offset:8
	s_nop 0
	buffer_load_dword v5, v5, s[0:3], 0 offen offset:12
	v_cmp_gt_u32_e32 vcc, 23, v0
	s_waitcnt vmcnt(0)
	ds_write_b128 v6, v[2:5]
	s_waitcnt lgkmcnt(0)
	; wave barrier
	s_waitcnt lgkmcnt(0)
	s_and_saveexec_b64 s[4:5], vcc
	s_cbranch_execz .LBB36_107
; %bb.104:
	v_pk_mov_b32 v[2:3], 0, 0
	v_add_u32_e32 v8, -1, v0
	v_add_u32_e32 v9, 0x250, v1
	v_add_u32_e32 v10, 16, v1
	s_mov_b64 s[6:7], 0
	v_pk_mov_b32 v[4:5], v[2:3], v[2:3] op_sel:[0,1]
.LBB36_105:                             ; =>This Inner Loop Header: Depth=1
	buffer_load_dword v16, v10, s[0:3], 0 offen offset:8
	buffer_load_dword v17, v10, s[0:3], 0 offen offset:12
	buffer_load_dword v18, v10, s[0:3], 0 offen
	buffer_load_dword v19, v10, s[0:3], 0 offen offset:4
	ds_read_b128 v[12:15], v9
	v_add_u32_e32 v8, 1, v8
	v_cmp_lt_u32_e32 vcc, 21, v8
	v_add_u32_e32 v9, 16, v9
	v_add_u32_e32 v10, 16, v10
	s_or_b64 s[6:7], vcc, s[6:7]
	s_waitcnt vmcnt(2) lgkmcnt(0)
	v_mul_f64 v[20:21], v[14:15], v[16:17]
	v_mul_f64 v[16:17], v[12:13], v[16:17]
	s_waitcnt vmcnt(0)
	v_fma_f64 v[12:13], v[12:13], v[18:19], -v[20:21]
	v_fmac_f64_e32 v[16:17], v[14:15], v[18:19]
	v_add_f64 v[4:5], v[4:5], v[12:13]
	v_add_f64 v[2:3], v[2:3], v[16:17]
	s_andn2_b64 exec, exec, s[6:7]
	s_cbranch_execnz .LBB36_105
; %bb.106:
	s_or_b64 exec, exec, s[6:7]
	v_mov_b32_e32 v8, 0
	ds_read_b128 v[8:11], v8 offset:368
	s_waitcnt lgkmcnt(0)
	v_mul_f64 v[12:13], v[2:3], v[10:11]
	v_mul_f64 v[10:11], v[4:5], v[10:11]
	v_fma_f64 v[4:5], v[4:5], v[8:9], -v[12:13]
	v_fmac_f64_e32 v[10:11], v[2:3], v[8:9]
	buffer_store_dword v5, off, s[0:3], 0 offset:388
	buffer_store_dword v4, off, s[0:3], 0 offset:384
	buffer_store_dword v11, off, s[0:3], 0 offset:396
	buffer_store_dword v10, off, s[0:3], 0 offset:392
.LBB36_107:
	s_or_b64 exec, exec, s[4:5]
	v_accvgpr_read_b32 v5, a84
	s_waitcnt lgkmcnt(0)
	; wave barrier
	buffer_load_dword v2, v5, s[0:3], 0 offen
	buffer_load_dword v3, v5, s[0:3], 0 offen offset:4
	buffer_load_dword v4, v5, s[0:3], 0 offen offset:8
	s_nop 0
	buffer_load_dword v5, v5, s[0:3], 0 offen offset:12
	v_cmp_gt_u32_e32 vcc, 24, v0
	;; [unrolled: 59-line block ×13, first 2 shown]
	s_waitcnt vmcnt(0)
	ds_write_b128 v6, v[2:5]
	s_waitcnt lgkmcnt(0)
	; wave barrier
	s_waitcnt lgkmcnt(0)
	s_and_saveexec_b64 s[4:5], vcc
	s_cbranch_execz .LBB36_155
; %bb.152:
	v_pk_mov_b32 v[2:3], 0, 0
	v_add_u32_e32 v8, -1, v0
	v_add_u32_e32 v9, 0x250, v1
	v_add_u32_e32 v10, 16, v1
	s_mov_b64 s[6:7], 0
	v_pk_mov_b32 v[4:5], v[2:3], v[2:3] op_sel:[0,1]
.LBB36_153:                             ; =>This Inner Loop Header: Depth=1
	buffer_load_dword v16, v10, s[0:3], 0 offen offset:8
	buffer_load_dword v17, v10, s[0:3], 0 offen offset:12
	buffer_load_dword v18, v10, s[0:3], 0 offen
	buffer_load_dword v19, v10, s[0:3], 0 offen offset:4
	ds_read_b128 v[12:15], v9
	v_add_u32_e32 v8, 1, v8
	v_cmp_lt_u32_e32 vcc, 33, v8
	v_add_u32_e32 v9, 16, v9
	v_add_u32_e32 v10, 16, v10
	s_or_b64 s[6:7], vcc, s[6:7]
	s_waitcnt vmcnt(2) lgkmcnt(0)
	v_mul_f64 v[20:21], v[14:15], v[16:17]
	v_mul_f64 v[16:17], v[12:13], v[16:17]
	s_waitcnt vmcnt(0)
	v_fma_f64 v[12:13], v[12:13], v[18:19], -v[20:21]
	v_fmac_f64_e32 v[16:17], v[14:15], v[18:19]
	v_add_f64 v[4:5], v[4:5], v[12:13]
	v_add_f64 v[2:3], v[2:3], v[16:17]
	s_andn2_b64 exec, exec, s[6:7]
	s_cbranch_execnz .LBB36_153
; %bb.154:
	s_or_b64 exec, exec, s[6:7]
	v_mov_b32_e32 v8, 0
	ds_read_b128 v[8:11], v8 offset:560
	s_waitcnt lgkmcnt(0)
	v_mul_f64 v[12:13], v[2:3], v[10:11]
	v_mul_f64 v[10:11], v[4:5], v[10:11]
	v_fma_f64 v[4:5], v[4:5], v[8:9], -v[12:13]
	v_fmac_f64_e32 v[10:11], v[2:3], v[8:9]
	buffer_store_dword v5, off, s[0:3], 0 offset:580
	buffer_store_dword v4, off, s[0:3], 0 offset:576
	;; [unrolled: 1-line block ×4, first 2 shown]
.LBB36_155:
	s_or_b64 exec, exec, s[4:5]
	v_accvgpr_read_b32 v5, a72
	s_waitcnt lgkmcnt(0)
	; wave barrier
	buffer_load_dword v2, v5, s[0:3], 0 offen
	buffer_load_dword v3, v5, s[0:3], 0 offen offset:4
	buffer_load_dword v4, v5, s[0:3], 0 offen offset:8
	s_nop 0
	buffer_load_dword v5, v5, s[0:3], 0 offen offset:12
	v_cmp_ne_u32_e32 vcc, 36, v0
	s_waitcnt vmcnt(0)
	ds_write_b128 v6, v[2:5]
	s_waitcnt lgkmcnt(0)
	; wave barrier
	s_waitcnt lgkmcnt(0)
	s_and_saveexec_b64 s[4:5], vcc
	s_cbranch_execz .LBB36_159
; %bb.156:
	v_pk_mov_b32 v[2:3], 0, 0
	v_add_u32_e32 v6, 0x250, v1
	v_add_u32_e32 v1, 16, v1
	s_mov_b64 s[6:7], 0
	v_pk_mov_b32 v[4:5], v[2:3], v[2:3] op_sel:[0,1]
.LBB36_157:                             ; =>This Inner Loop Header: Depth=1
	buffer_load_dword v12, v1, s[0:3], 0 offen offset:8
	buffer_load_dword v13, v1, s[0:3], 0 offen offset:12
	buffer_load_dword v14, v1, s[0:3], 0 offen
	buffer_load_dword v15, v1, s[0:3], 0 offen offset:4
	ds_read_b128 v[8:11], v6
	v_add_u32_e32 v7, 1, v7
	v_cmp_lt_u32_e32 vcc, 34, v7
	v_add_u32_e32 v6, 16, v6
	v_add_u32_e32 v1, 16, v1
	s_or_b64 s[6:7], vcc, s[6:7]
	s_waitcnt vmcnt(2) lgkmcnt(0)
	v_mul_f64 v[16:17], v[10:11], v[12:13]
	v_mul_f64 v[12:13], v[8:9], v[12:13]
	s_waitcnt vmcnt(0)
	v_fma_f64 v[8:9], v[8:9], v[14:15], -v[16:17]
	v_fmac_f64_e32 v[12:13], v[10:11], v[14:15]
	v_add_f64 v[4:5], v[4:5], v[8:9]
	v_add_f64 v[2:3], v[2:3], v[12:13]
	s_andn2_b64 exec, exec, s[6:7]
	s_cbranch_execnz .LBB36_157
; %bb.158:
	s_or_b64 exec, exec, s[6:7]
	v_mov_b32_e32 v1, 0
	ds_read_b128 v[6:9], v1 offset:576
	s_waitcnt lgkmcnt(0)
	v_mul_f64 v[10:11], v[2:3], v[8:9]
	v_mul_f64 v[8:9], v[4:5], v[8:9]
	v_fma_f64 v[4:5], v[4:5], v[6:7], -v[10:11]
	v_fmac_f64_e32 v[8:9], v[2:3], v[6:7]
	buffer_store_dword v5, off, s[0:3], 0 offset:596
	buffer_store_dword v4, off, s[0:3], 0 offset:592
	;; [unrolled: 1-line block ×4, first 2 shown]
.LBB36_159:
	s_or_b64 exec, exec, s[4:5]
	s_mov_b64 s[6:7], -1
	s_waitcnt lgkmcnt(0)
	; wave barrier
.LBB36_160:
	s_and_b64 vcc, exec, s[6:7]
	s_cbranch_vccz .LBB36_162
; %bb.161:
	s_lshl_b64 s[4:5], s[8:9], 2
	s_add_u32 s4, s14, s4
	s_addc_u32 s5, s15, s5
	v_mov_b32_e32 v1, 0
	global_load_dword v1, v1, s[4:5]
	s_waitcnt vmcnt(0)
	v_cmp_ne_u32_e32 vcc, 0, v1
	s_cbranch_vccz .LBB36_163
.LBB36_162:
	s_endpgm
.LBB36_163:
	v_mov_b32_e32 v1, 0x250
	v_lshl_add_u32 v1, v0, 4, v1
	v_accvgpr_write_b32 a108, v1
	v_cmp_eq_u32_e32 vcc, 36, v0
	s_and_saveexec_b64 s[4:5], vcc
	s_cbranch_execz .LBB36_165
; %bb.164:
	v_accvgpr_read_b32 v1, a73
	buffer_load_dword v2, v1, s[0:3], 0 offen
	buffer_load_dword v3, v1, s[0:3], 0 offen offset:4
	buffer_load_dword v4, v1, s[0:3], 0 offen offset:8
	;; [unrolled: 1-line block ×3, first 2 shown]
	v_mov_b32_e32 v1, 0
	v_accvgpr_read_b32 v6, a108
	buffer_store_dword v1, off, s[0:3], 0 offset:576
	buffer_store_dword v1, off, s[0:3], 0 offset:580
	;; [unrolled: 1-line block ×4, first 2 shown]
	s_waitcnt vmcnt(4)
	ds_write_b128 v6, v[2:5]
.LBB36_165:
	s_or_b64 exec, exec, s[4:5]
	s_waitcnt lgkmcnt(0)
	; wave barrier
	s_waitcnt lgkmcnt(0)
	buffer_load_dword v6, off, s[0:3], 0 offset:600
	buffer_load_dword v7, off, s[0:3], 0 offset:604
	;; [unrolled: 1-line block ×8, first 2 shown]
	v_mov_b32_e32 v1, 0
	ds_read_b128 v[2:5], v1 offset:1168
	v_cmp_lt_u32_e32 vcc, 34, v0
	s_waitcnt vmcnt(6) lgkmcnt(0)
	v_mul_f64 v[14:15], v[2:3], v[6:7]
	v_mul_f64 v[6:7], v[4:5], v[6:7]
	s_waitcnt vmcnt(4)
	v_fma_f64 v[2:3], v[2:3], v[8:9], -v[6:7]
	v_fmac_f64_e32 v[14:15], v[4:5], v[8:9]
	v_add_f64 v[2:3], v[2:3], 0
	v_add_f64 v[4:5], v[14:15], 0
	s_waitcnt vmcnt(2)
	v_add_f64 v[2:3], v[10:11], -v[2:3]
	s_waitcnt vmcnt(0)
	v_add_f64 v[4:5], v[12:13], -v[4:5]
	buffer_store_dword v2, off, s[0:3], 0 offset:576
	buffer_store_dword v3, off, s[0:3], 0 offset:580
	;; [unrolled: 1-line block ×4, first 2 shown]
	s_and_saveexec_b64 s[4:5], vcc
	s_cbranch_execz .LBB36_167
; %bb.166:
	v_accvgpr_read_b32 v5, a74
	buffer_load_dword v2, v5, s[0:3], 0 offen
	buffer_load_dword v3, v5, s[0:3], 0 offen offset:4
	buffer_load_dword v4, v5, s[0:3], 0 offen offset:8
	s_nop 0
	buffer_load_dword v5, v5, s[0:3], 0 offen offset:12
	v_accvgpr_read_b32 v6, a108
	buffer_store_dword v1, off, s[0:3], 0 offset:560
	buffer_store_dword v1, off, s[0:3], 0 offset:564
	;; [unrolled: 1-line block ×4, first 2 shown]
	s_waitcnt vmcnt(4)
	ds_write_b128 v6, v[2:5]
.LBB36_167:
	s_or_b64 exec, exec, s[4:5]
	s_waitcnt lgkmcnt(0)
	; wave barrier
	s_waitcnt lgkmcnt(0)
	buffer_load_dword v10, off, s[0:3], 0 offset:584
	buffer_load_dword v11, off, s[0:3], 0 offset:588
	;; [unrolled: 1-line block ×12, first 2 shown]
	ds_read_b128 v[2:5], v1 offset:1152
	ds_read_b128 v[6:9], v1 offset:1168
	v_cmp_lt_u32_e32 vcc, 33, v0
	s_waitcnt vmcnt(10) lgkmcnt(1)
	v_mul_f64 v[22:23], v[2:3], v[10:11]
	v_mul_f64 v[10:11], v[4:5], v[10:11]
	s_waitcnt vmcnt(8) lgkmcnt(0)
	v_mul_f64 v[24:25], v[6:7], v[12:13]
	v_mul_f64 v[12:13], v[8:9], v[12:13]
	s_waitcnt vmcnt(6)
	v_fma_f64 v[2:3], v[2:3], v[14:15], -v[10:11]
	v_fmac_f64_e32 v[22:23], v[4:5], v[14:15]
	s_waitcnt vmcnt(4)
	v_fma_f64 v[4:5], v[6:7], v[16:17], -v[12:13]
	v_add_f64 v[2:3], v[2:3], 0
	v_fmac_f64_e32 v[24:25], v[8:9], v[16:17]
	v_add_f64 v[6:7], v[22:23], 0
	v_add_f64 v[2:3], v[2:3], v[4:5]
	;; [unrolled: 1-line block ×3, first 2 shown]
	s_waitcnt vmcnt(2)
	v_add_f64 v[2:3], v[18:19], -v[2:3]
	s_waitcnt vmcnt(0)
	v_add_f64 v[4:5], v[20:21], -v[6:7]
	buffer_store_dword v2, off, s[0:3], 0 offset:560
	buffer_store_dword v3, off, s[0:3], 0 offset:564
	;; [unrolled: 1-line block ×4, first 2 shown]
	s_and_saveexec_b64 s[4:5], vcc
	s_cbranch_execz .LBB36_169
; %bb.168:
	v_accvgpr_read_b32 v1, a75
	buffer_load_dword v2, v1, s[0:3], 0 offen
	buffer_load_dword v3, v1, s[0:3], 0 offen offset:4
	buffer_load_dword v4, v1, s[0:3], 0 offen offset:8
	;; [unrolled: 1-line block ×3, first 2 shown]
	v_mov_b32_e32 v1, 0
	v_accvgpr_read_b32 v6, a108
	buffer_store_dword v1, off, s[0:3], 0 offset:544
	buffer_store_dword v1, off, s[0:3], 0 offset:548
	;; [unrolled: 1-line block ×4, first 2 shown]
	s_waitcnt vmcnt(4)
	ds_write_b128 v6, v[2:5]
.LBB36_169:
	s_or_b64 exec, exec, s[4:5]
	s_waitcnt lgkmcnt(0)
	; wave barrier
	s_waitcnt lgkmcnt(0)
	buffer_load_dword v14, off, s[0:3], 0 offset:568
	buffer_load_dword v15, off, s[0:3], 0 offset:572
	;; [unrolled: 1-line block ×16, first 2 shown]
	v_mov_b32_e32 v1, 0
	ds_read_b128 v[2:5], v1 offset:1136
	ds_read_b128 v[6:9], v1 offset:1152
	;; [unrolled: 1-line block ×3, first 2 shown]
	v_cmp_lt_u32_e32 vcc, 32, v0
	s_waitcnt vmcnt(14) lgkmcnt(2)
	v_mul_f64 v[30:31], v[2:3], v[14:15]
	v_mul_f64 v[14:15], v[4:5], v[14:15]
	s_waitcnt vmcnt(12) lgkmcnt(1)
	v_mul_f64 v[32:33], v[6:7], v[16:17]
	v_mul_f64 v[16:17], v[8:9], v[16:17]
	;; [unrolled: 3-line block ×3, first 2 shown]
	s_waitcnt vmcnt(8)
	v_fma_f64 v[2:3], v[2:3], v[20:21], -v[14:15]
	v_fmac_f64_e32 v[30:31], v[4:5], v[20:21]
	s_waitcnt vmcnt(6)
	v_fma_f64 v[4:5], v[6:7], v[22:23], -v[16:17]
	v_add_f64 v[2:3], v[2:3], 0
	v_fmac_f64_e32 v[32:33], v[8:9], v[22:23]
	s_waitcnt vmcnt(4)
	v_fma_f64 v[6:7], v[10:11], v[24:25], -v[18:19]
	v_add_f64 v[8:9], v[30:31], 0
	v_add_f64 v[2:3], v[2:3], v[4:5]
	v_fmac_f64_e32 v[34:35], v[12:13], v[24:25]
	v_add_f64 v[8:9], v[8:9], v[32:33]
	v_add_f64 v[2:3], v[2:3], v[6:7]
	;; [unrolled: 1-line block ×3, first 2 shown]
	s_waitcnt vmcnt(2)
	v_add_f64 v[2:3], v[26:27], -v[2:3]
	s_waitcnt vmcnt(0)
	v_add_f64 v[4:5], v[28:29], -v[4:5]
	buffer_store_dword v2, off, s[0:3], 0 offset:544
	buffer_store_dword v3, off, s[0:3], 0 offset:548
	;; [unrolled: 1-line block ×4, first 2 shown]
	s_and_saveexec_b64 s[4:5], vcc
	s_cbranch_execz .LBB36_171
; %bb.170:
	v_accvgpr_read_b32 v5, a76
	buffer_load_dword v2, v5, s[0:3], 0 offen
	buffer_load_dword v3, v5, s[0:3], 0 offen offset:4
	buffer_load_dword v4, v5, s[0:3], 0 offen offset:8
	s_nop 0
	buffer_load_dword v5, v5, s[0:3], 0 offen offset:12
	v_accvgpr_read_b32 v6, a108
	buffer_store_dword v1, off, s[0:3], 0 offset:528
	buffer_store_dword v1, off, s[0:3], 0 offset:532
	;; [unrolled: 1-line block ×4, first 2 shown]
	s_waitcnt vmcnt(4)
	ds_write_b128 v6, v[2:5]
.LBB36_171:
	s_or_b64 exec, exec, s[4:5]
	s_waitcnt lgkmcnt(0)
	; wave barrier
	s_waitcnt lgkmcnt(0)
	buffer_load_dword v18, off, s[0:3], 0 offset:552
	buffer_load_dword v19, off, s[0:3], 0 offset:556
	;; [unrolled: 1-line block ×20, first 2 shown]
	ds_read_b128 v[2:5], v1 offset:1120
	ds_read_b128 v[6:9], v1 offset:1136
	;; [unrolled: 1-line block ×4, first 2 shown]
	v_cmp_lt_u32_e32 vcc, 31, v0
	s_waitcnt vmcnt(18) lgkmcnt(3)
	v_mul_f64 v[38:39], v[2:3], v[18:19]
	v_mul_f64 v[18:19], v[4:5], v[18:19]
	s_waitcnt vmcnt(16) lgkmcnt(2)
	v_mul_f64 v[40:41], v[6:7], v[20:21]
	v_mul_f64 v[20:21], v[8:9], v[20:21]
	;; [unrolled: 3-line block ×4, first 2 shown]
	s_waitcnt vmcnt(10)
	v_fma_f64 v[2:3], v[2:3], v[26:27], -v[18:19]
	v_fmac_f64_e32 v[38:39], v[4:5], v[26:27]
	s_waitcnt vmcnt(8)
	v_fma_f64 v[4:5], v[6:7], v[28:29], -v[20:21]
	v_add_f64 v[2:3], v[2:3], 0
	v_fmac_f64_e32 v[40:41], v[8:9], v[28:29]
	s_waitcnt vmcnt(6)
	v_fma_f64 v[6:7], v[10:11], v[30:31], -v[22:23]
	v_add_f64 v[10:11], v[38:39], 0
	v_add_f64 v[2:3], v[2:3], v[4:5]
	v_fmac_f64_e32 v[42:43], v[12:13], v[30:31]
	s_waitcnt vmcnt(4)
	v_fma_f64 v[8:9], v[14:15], v[32:33], -v[24:25]
	v_add_f64 v[10:11], v[10:11], v[40:41]
	v_add_f64 v[2:3], v[2:3], v[6:7]
	v_fmac_f64_e32 v[44:45], v[16:17], v[32:33]
	v_add_f64 v[4:5], v[10:11], v[42:43]
	v_add_f64 v[2:3], v[2:3], v[8:9]
	;; [unrolled: 1-line block ×3, first 2 shown]
	s_waitcnt vmcnt(2)
	v_add_f64 v[2:3], v[34:35], -v[2:3]
	s_waitcnt vmcnt(0)
	v_add_f64 v[4:5], v[36:37], -v[4:5]
	buffer_store_dword v2, off, s[0:3], 0 offset:528
	buffer_store_dword v3, off, s[0:3], 0 offset:532
	buffer_store_dword v4, off, s[0:3], 0 offset:536
	buffer_store_dword v5, off, s[0:3], 0 offset:540
	s_and_saveexec_b64 s[4:5], vcc
	s_cbranch_execz .LBB36_173
; %bb.172:
	v_accvgpr_read_b32 v1, a77
	buffer_load_dword v2, v1, s[0:3], 0 offen
	buffer_load_dword v3, v1, s[0:3], 0 offen offset:4
	buffer_load_dword v4, v1, s[0:3], 0 offen offset:8
	;; [unrolled: 1-line block ×3, first 2 shown]
	v_mov_b32_e32 v1, 0
	v_accvgpr_read_b32 v6, a108
	buffer_store_dword v1, off, s[0:3], 0 offset:512
	buffer_store_dword v1, off, s[0:3], 0 offset:516
	buffer_store_dword v1, off, s[0:3], 0 offset:520
	buffer_store_dword v1, off, s[0:3], 0 offset:524
	s_waitcnt vmcnt(4)
	ds_write_b128 v6, v[2:5]
.LBB36_173:
	s_or_b64 exec, exec, s[4:5]
	v_mov_b32_e32 v1, 0
	s_waitcnt lgkmcnt(0)
	; wave barrier
	s_waitcnt lgkmcnt(0)
	ds_read_b128 v[2:5], v1 offset:1104
	ds_read_b128 v[6:9], v1 offset:1120
	;; [unrolled: 1-line block ×4, first 2 shown]
	buffer_load_dword v22, off, s[0:3], 0 offset:512
	buffer_load_dword v23, off, s[0:3], 0 offset:516
	;; [unrolled: 1-line block ×20, first 2 shown]
	v_cmp_lt_u32_e32 vcc, 30, v0
	s_waitcnt vmcnt(12) lgkmcnt(3)
	v_mul_f64 v[18:19], v[2:3], v[28:29]
	v_fmac_f64_e32 v[18:19], v[4:5], v[26:27]
	v_add_f64 v[18:19], v[18:19], 0
	v_mul_f64 v[4:5], v[4:5], v[28:29]
	s_waitcnt vmcnt(8) lgkmcnt(2)
	v_mul_f64 v[20:21], v[6:7], v[32:33]
	v_fmac_f64_e32 v[20:21], v[8:9], v[30:31]
	v_add_f64 v[18:19], v[18:19], v[20:21]
	v_fma_f64 v[2:3], v[2:3], v[26:27], -v[4:5]
	s_waitcnt vmcnt(4) lgkmcnt(1)
	v_mul_f64 v[20:21], v[10:11], v[36:37]
	v_fmac_f64_e32 v[20:21], v[12:13], v[34:35]
	v_add_f64 v[18:19], v[18:19], v[20:21]
	s_waitcnt vmcnt(0) lgkmcnt(0)
	v_mul_f64 v[20:21], v[14:15], v[40:41]
	v_fmac_f64_e32 v[20:21], v[16:17], v[38:39]
	v_add_f64 v[42:43], v[18:19], v[20:21]
	ds_read_b128 v[18:21], v1 offset:1168
	buffer_load_dword v45, off, s[0:3], 0 offset:596
	buffer_load_dword v44, off, s[0:3], 0 offset:592
	;; [unrolled: 1-line block ×4, first 2 shown]
	v_mul_f64 v[4:5], v[8:9], v[32:33]
	v_add_f64 v[2:3], v[2:3], 0
	v_fma_f64 v[4:5], v[6:7], v[30:31], -v[4:5]
	v_add_f64 v[2:3], v[2:3], v[4:5]
	v_mul_f64 v[4:5], v[12:13], v[36:37]
	v_fma_f64 v[4:5], v[10:11], v[34:35], -v[4:5]
	v_add_f64 v[2:3], v[2:3], v[4:5]
	v_mul_f64 v[4:5], v[16:17], v[40:41]
	v_fma_f64 v[4:5], v[14:15], v[38:39], -v[4:5]
	v_add_f64 v[2:3], v[2:3], v[4:5]
	s_waitcnt vmcnt(0) lgkmcnt(0)
	v_mul_f64 v[4:5], v[20:21], v[46:47]
	v_mul_f64 v[48:49], v[18:19], v[46:47]
	v_fma_f64 v[4:5], v[18:19], v[44:45], -v[4:5]
	v_fmac_f64_e32 v[48:49], v[20:21], v[44:45]
	v_add_f64 v[2:3], v[2:3], v[4:5]
	v_add_f64 v[42:43], v[42:43], v[48:49]
	v_add_f64 v[2:3], v[22:23], -v[2:3]
	v_add_f64 v[4:5], v[24:25], -v[42:43]
	buffer_store_dword v3, off, s[0:3], 0 offset:516
	buffer_store_dword v2, off, s[0:3], 0 offset:512
	;; [unrolled: 1-line block ×4, first 2 shown]
	s_and_saveexec_b64 s[4:5], vcc
	s_cbranch_execz .LBB36_175
; %bb.174:
	v_accvgpr_read_b32 v5, a78
	buffer_load_dword v2, v5, s[0:3], 0 offen
	buffer_load_dword v3, v5, s[0:3], 0 offen offset:4
	buffer_load_dword v4, v5, s[0:3], 0 offen offset:8
	s_nop 0
	buffer_load_dword v5, v5, s[0:3], 0 offen offset:12
	v_accvgpr_read_b32 v6, a108
	buffer_store_dword v1, off, s[0:3], 0 offset:496
	buffer_store_dword v1, off, s[0:3], 0 offset:500
	;; [unrolled: 1-line block ×4, first 2 shown]
	s_waitcnt vmcnt(4)
	ds_write_b128 v6, v[2:5]
.LBB36_175:
	s_or_b64 exec, exec, s[4:5]
	s_waitcnt lgkmcnt(0)
	; wave barrier
	s_waitcnt lgkmcnt(0)
	buffer_load_dword v26, off, s[0:3], 0 offset:520
	buffer_load_dword v27, off, s[0:3], 0 offset:524
	;; [unrolled: 1-line block ×28, first 2 shown]
	ds_read_b128 v[2:5], v1 offset:1088
	ds_read_b128 v[6:9], v1 offset:1104
	;; [unrolled: 1-line block ×6, first 2 shown]
	v_cmp_lt_u32_e32 vcc, 29, v0
	s_waitcnt vmcnt(26) lgkmcnt(5)
	v_mul_f64 v[54:55], v[2:3], v[26:27]
	v_mul_f64 v[26:27], v[4:5], v[26:27]
	s_waitcnt vmcnt(24) lgkmcnt(4)
	v_mul_f64 v[56:57], v[6:7], v[28:29]
	v_mul_f64 v[28:29], v[8:9], v[28:29]
	;; [unrolled: 3-line block ×4, first 2 shown]
	s_waitcnt vmcnt(17)
	v_mul_f64 v[60:61], v[14:15], v[36:37]
	v_mul_f64 v[36:37], v[16:17], v[36:37]
	s_waitcnt vmcnt(15) lgkmcnt(0)
	v_mul_f64 v[64:65], v[22:23], v[38:39]
	v_mul_f64 v[38:39], v[24:25], v[38:39]
	s_waitcnt vmcnt(14)
	v_fmac_f64_e32 v[62:63], v[20:21], v[34:35]
	s_waitcnt vmcnt(12)
	v_fma_f64 v[2:3], v[2:3], v[40:41], -v[26:27]
	v_fmac_f64_e32 v[54:55], v[4:5], v[40:41]
	s_waitcnt vmcnt(10)
	v_fma_f64 v[4:5], v[6:7], v[42:43], -v[28:29]
	v_add_f64 v[2:3], v[2:3], 0
	v_fmac_f64_e32 v[56:57], v[8:9], v[42:43]
	s_waitcnt vmcnt(8)
	v_fma_f64 v[6:7], v[10:11], v[44:45], -v[30:31]
	s_waitcnt vmcnt(6)
	v_fma_f64 v[8:9], v[14:15], v[46:47], -v[36:37]
	v_add_f64 v[14:15], v[54:55], 0
	v_add_f64 v[2:3], v[2:3], v[4:5]
	v_fmac_f64_e32 v[58:59], v[12:13], v[44:45]
	v_add_f64 v[14:15], v[14:15], v[56:57]
	v_add_f64 v[2:3], v[2:3], v[6:7]
	v_fmac_f64_e32 v[60:61], v[16:17], v[46:47]
	v_fma_f64 v[10:11], v[18:19], v[34:35], -v[32:33]
	v_add_f64 v[4:5], v[14:15], v[58:59]
	v_add_f64 v[2:3], v[2:3], v[8:9]
	s_waitcnt vmcnt(4)
	v_fma_f64 v[12:13], v[22:23], v[48:49], -v[38:39]
	v_add_f64 v[4:5], v[4:5], v[60:61]
	v_add_f64 v[2:3], v[2:3], v[10:11]
	v_fmac_f64_e32 v[64:65], v[24:25], v[48:49]
	v_add_f64 v[4:5], v[4:5], v[62:63]
	v_add_f64 v[2:3], v[2:3], v[12:13]
	;; [unrolled: 1-line block ×3, first 2 shown]
	s_waitcnt vmcnt(2)
	v_add_f64 v[2:3], v[50:51], -v[2:3]
	s_waitcnt vmcnt(0)
	v_add_f64 v[4:5], v[52:53], -v[4:5]
	buffer_store_dword v3, off, s[0:3], 0 offset:500
	buffer_store_dword v2, off, s[0:3], 0 offset:496
	;; [unrolled: 1-line block ×4, first 2 shown]
	s_and_saveexec_b64 s[4:5], vcc
	s_cbranch_execz .LBB36_177
; %bb.176:
	v_accvgpr_read_b32 v1, a79
	buffer_load_dword v2, v1, s[0:3], 0 offen
	buffer_load_dword v3, v1, s[0:3], 0 offen offset:4
	buffer_load_dword v4, v1, s[0:3], 0 offen offset:8
	;; [unrolled: 1-line block ×3, first 2 shown]
	v_mov_b32_e32 v1, 0
	v_accvgpr_read_b32 v6, a108
	buffer_store_dword v1, off, s[0:3], 0 offset:480
	buffer_store_dword v1, off, s[0:3], 0 offset:484
	;; [unrolled: 1-line block ×4, first 2 shown]
	s_waitcnt vmcnt(4)
	ds_write_b128 v6, v[2:5]
.LBB36_177:
	s_or_b64 exec, exec, s[4:5]
	s_waitcnt lgkmcnt(0)
	; wave barrier
	s_waitcnt lgkmcnt(0)
	buffer_load_dword v30, off, s[0:3], 0 offset:504
	buffer_load_dword v31, off, s[0:3], 0 offset:508
	;; [unrolled: 1-line block ×32, first 2 shown]
	v_mov_b32_e32 v1, 0
	ds_read_b128 v[2:5], v1 offset:1072
	ds_read_b128 v[6:9], v1 offset:1088
	;; [unrolled: 1-line block ×7, first 2 shown]
	v_cmp_lt_u32_e32 vcc, 28, v0
	s_waitcnt vmcnt(30) lgkmcnt(6)
	v_mul_f64 v[62:63], v[2:3], v[30:31]
	v_mul_f64 v[30:31], v[4:5], v[30:31]
	s_waitcnt vmcnt(28) lgkmcnt(5)
	v_mul_f64 v[64:65], v[6:7], v[32:33]
	v_mul_f64 v[32:33], v[8:9], v[32:33]
	;; [unrolled: 3-line block ×4, first 2 shown]
	s_waitcnt vmcnt(21)
	v_mul_f64 v[68:69], v[14:15], v[40:41]
	v_mul_f64 v[40:41], v[16:17], v[40:41]
	s_waitcnt vmcnt(17) lgkmcnt(1)
	v_mul_f64 v[72:73], v[22:23], v[46:47]
	v_mul_f64 v[46:47], v[24:25], v[46:47]
	s_waitcnt vmcnt(16) lgkmcnt(0)
	v_mul_f64 v[74:75], v[26:27], v[42:43]
	v_mul_f64 v[42:43], v[28:29], v[42:43]
	s_waitcnt vmcnt(13)
	v_fma_f64 v[2:3], v[2:3], v[48:49], -v[30:31]
	v_fmac_f64_e32 v[62:63], v[4:5], v[48:49]
	s_waitcnt vmcnt(11)
	v_fma_f64 v[4:5], v[6:7], v[50:51], -v[32:33]
	v_add_f64 v[2:3], v[2:3], 0
	v_fmac_f64_e32 v[64:65], v[8:9], v[50:51]
	s_waitcnt vmcnt(9)
	v_fma_f64 v[6:7], v[10:11], v[52:53], -v[34:35]
	s_waitcnt vmcnt(7)
	v_fmac_f64_e32 v[68:69], v[16:17], v[54:55]
	v_add_f64 v[16:17], v[62:63], 0
	v_add_f64 v[2:3], v[2:3], v[4:5]
	v_fmac_f64_e32 v[66:67], v[12:13], v[52:53]
	v_fma_f64 v[8:9], v[14:15], v[54:55], -v[40:41]
	v_add_f64 v[16:17], v[16:17], v[64:65]
	v_add_f64 v[2:3], v[2:3], v[6:7]
	v_fma_f64 v[10:11], v[18:19], v[38:39], -v[36:37]
	v_add_f64 v[4:5], v[16:17], v[66:67]
	v_add_f64 v[2:3], v[2:3], v[8:9]
	v_fmac_f64_e32 v[70:71], v[20:21], v[38:39]
	s_waitcnt vmcnt(5)
	v_fma_f64 v[12:13], v[22:23], v[56:57], -v[46:47]
	v_add_f64 v[4:5], v[4:5], v[68:69]
	v_add_f64 v[2:3], v[2:3], v[10:11]
	v_fmac_f64_e32 v[72:73], v[24:25], v[56:57]
	s_waitcnt vmcnt(4)
	v_fma_f64 v[14:15], v[26:27], v[44:45], -v[42:43]
	v_add_f64 v[4:5], v[4:5], v[70:71]
	v_add_f64 v[2:3], v[2:3], v[12:13]
	v_fmac_f64_e32 v[74:75], v[28:29], v[44:45]
	v_add_f64 v[4:5], v[4:5], v[72:73]
	v_add_f64 v[2:3], v[2:3], v[14:15]
	v_add_f64 v[4:5], v[4:5], v[74:75]
	s_waitcnt vmcnt(2)
	v_add_f64 v[2:3], v[58:59], -v[2:3]
	s_waitcnt vmcnt(0)
	v_add_f64 v[4:5], v[60:61], -v[4:5]
	buffer_store_dword v3, off, s[0:3], 0 offset:484
	buffer_store_dword v2, off, s[0:3], 0 offset:480
	;; [unrolled: 1-line block ×4, first 2 shown]
	s_and_saveexec_b64 s[4:5], vcc
	s_cbranch_execz .LBB36_179
; %bb.178:
	v_accvgpr_read_b32 v5, a80
	buffer_load_dword v2, v5, s[0:3], 0 offen
	buffer_load_dword v3, v5, s[0:3], 0 offen offset:4
	buffer_load_dword v4, v5, s[0:3], 0 offen offset:8
	s_nop 0
	buffer_load_dword v5, v5, s[0:3], 0 offen offset:12
	v_accvgpr_read_b32 v6, a108
	buffer_store_dword v1, off, s[0:3], 0 offset:464
	buffer_store_dword v1, off, s[0:3], 0 offset:468
	;; [unrolled: 1-line block ×4, first 2 shown]
	s_waitcnt vmcnt(4)
	ds_write_b128 v6, v[2:5]
.LBB36_179:
	s_or_b64 exec, exec, s[4:5]
	s_waitcnt lgkmcnt(0)
	; wave barrier
	s_waitcnt lgkmcnt(0)
	buffer_load_dword v34, off, s[0:3], 0 offset:488
	buffer_load_dword v35, off, s[0:3], 0 offset:492
	;; [unrolled: 1-line block ×36, first 2 shown]
	ds_read_b128 v[2:5], v1 offset:1056
	ds_read_b128 v[6:9], v1 offset:1072
	;; [unrolled: 1-line block ×8, first 2 shown]
	v_cmp_lt_u32_e32 vcc, 27, v0
	s_waitcnt vmcnt(34) lgkmcnt(7)
	v_mul_f64 v[70:71], v[2:3], v[34:35]
	v_mul_f64 v[34:35], v[4:5], v[34:35]
	s_waitcnt vmcnt(32) lgkmcnt(6)
	v_mul_f64 v[72:73], v[6:7], v[36:37]
	v_mul_f64 v[36:37], v[8:9], v[36:37]
	;; [unrolled: 3-line block ×4, first 2 shown]
	s_waitcnt vmcnt(25)
	v_mul_f64 v[76:77], v[14:15], v[44:45]
	v_mul_f64 v[44:45], v[16:17], v[44:45]
	s_waitcnt vmcnt(23) lgkmcnt(1)
	v_mul_f64 v[82:83], v[26:27], v[46:47]
	v_mul_f64 v[46:47], v[28:29], v[46:47]
	s_waitcnt vmcnt(20)
	v_mul_f64 v[80:81], v[22:23], v[50:51]
	v_mul_f64 v[50:51], v[24:25], v[50:51]
	s_waitcnt vmcnt(18) lgkmcnt(0)
	v_mul_f64 v[84:85], v[30:31], v[52:53]
	s_waitcnt vmcnt(17)
	v_fmac_f64_e32 v[78:79], v[20:21], v[42:43]
	s_waitcnt vmcnt(16)
	v_fmac_f64_e32 v[82:83], v[28:29], v[48:49]
	s_waitcnt vmcnt(14)
	v_fma_f64 v[2:3], v[2:3], v[54:55], -v[34:35]
	v_fmac_f64_e32 v[70:71], v[4:5], v[54:55]
	s_waitcnt vmcnt(12)
	v_fma_f64 v[4:5], v[6:7], v[56:57], -v[36:37]
	v_add_f64 v[2:3], v[2:3], 0
	v_fmac_f64_e32 v[72:73], v[8:9], v[56:57]
	s_waitcnt vmcnt(10)
	v_fma_f64 v[6:7], v[10:11], v[58:59], -v[38:39]
	s_waitcnt vmcnt(8)
	v_fmac_f64_e32 v[76:77], v[16:17], v[60:61]
	v_add_f64 v[16:17], v[70:71], 0
	v_add_f64 v[2:3], v[2:3], v[4:5]
	v_fmac_f64_e32 v[74:75], v[12:13], v[58:59]
	v_fma_f64 v[8:9], v[14:15], v[60:61], -v[44:45]
	v_add_f64 v[16:17], v[16:17], v[72:73]
	v_add_f64 v[2:3], v[2:3], v[6:7]
	v_fma_f64 v[10:11], v[18:19], v[42:43], -v[40:41]
	v_add_f64 v[4:5], v[16:17], v[74:75]
	v_add_f64 v[2:3], v[2:3], v[8:9]
	s_waitcnt vmcnt(6)
	v_fma_f64 v[12:13], v[22:23], v[62:63], -v[50:51]
	v_add_f64 v[4:5], v[4:5], v[76:77]
	v_add_f64 v[2:3], v[2:3], v[10:11]
	v_fmac_f64_e32 v[80:81], v[24:25], v[62:63]
	v_fma_f64 v[14:15], v[26:27], v[48:49], -v[46:47]
	v_add_f64 v[4:5], v[4:5], v[78:79]
	v_add_f64 v[2:3], v[2:3], v[12:13]
	v_mul_f64 v[6:7], v[32:33], v[52:53]
	v_add_f64 v[4:5], v[4:5], v[80:81]
	v_add_f64 v[2:3], v[2:3], v[14:15]
	s_waitcnt vmcnt(4)
	v_fma_f64 v[6:7], v[30:31], v[64:65], -v[6:7]
	v_fmac_f64_e32 v[84:85], v[32:33], v[64:65]
	v_add_f64 v[4:5], v[4:5], v[82:83]
	v_add_f64 v[2:3], v[2:3], v[6:7]
	;; [unrolled: 1-line block ×3, first 2 shown]
	s_waitcnt vmcnt(2)
	v_add_f64 v[2:3], v[66:67], -v[2:3]
	s_waitcnt vmcnt(0)
	v_add_f64 v[4:5], v[68:69], -v[4:5]
	buffer_store_dword v3, off, s[0:3], 0 offset:468
	buffer_store_dword v2, off, s[0:3], 0 offset:464
	;; [unrolled: 1-line block ×4, first 2 shown]
	s_and_saveexec_b64 s[4:5], vcc
	s_cbranch_execz .LBB36_181
; %bb.180:
	v_accvgpr_read_b32 v1, a81
	buffer_load_dword v2, v1, s[0:3], 0 offen
	buffer_load_dword v3, v1, s[0:3], 0 offen offset:4
	buffer_load_dword v4, v1, s[0:3], 0 offen offset:8
	;; [unrolled: 1-line block ×3, first 2 shown]
	v_mov_b32_e32 v1, 0
	v_accvgpr_read_b32 v6, a108
	buffer_store_dword v1, off, s[0:3], 0 offset:448
	buffer_store_dword v1, off, s[0:3], 0 offset:452
	;; [unrolled: 1-line block ×4, first 2 shown]
	s_waitcnt vmcnt(4)
	ds_write_b128 v6, v[2:5]
.LBB36_181:
	s_or_b64 exec, exec, s[4:5]
	s_waitcnt lgkmcnt(0)
	; wave barrier
	s_waitcnt lgkmcnt(0)
	buffer_load_dword v38, off, s[0:3], 0 offset:472
	buffer_load_dword v39, off, s[0:3], 0 offset:476
	;; [unrolled: 1-line block ×40, first 2 shown]
	v_mov_b32_e32 v1, 0
	ds_read_b128 v[2:5], v1 offset:1040
	ds_read_b128 v[6:9], v1 offset:1056
	;; [unrolled: 1-line block ×9, first 2 shown]
	v_cmp_lt_u32_e32 vcc, 26, v0
	s_waitcnt vmcnt(38) lgkmcnt(8)
	v_mul_f64 v[78:79], v[2:3], v[38:39]
	v_mul_f64 v[38:39], v[4:5], v[38:39]
	s_waitcnt vmcnt(36) lgkmcnt(7)
	v_mul_f64 v[80:81], v[6:7], v[40:41]
	v_mul_f64 v[40:41], v[8:9], v[40:41]
	;; [unrolled: 3-line block ×3, first 2 shown]
	s_waitcnt vmcnt(32) lgkmcnt(4)
	v_mul_f64 v[86:87], v[18:19], v[44:45]
	s_waitcnt vmcnt(30)
	v_fmac_f64_e32 v[86:87], v[20:21], v[46:47]
	s_waitcnt vmcnt(28)
	v_mul_f64 v[84:85], v[14:15], v[48:49]
	v_mul_f64 v[48:49], v[16:17], v[48:49]
	s_waitcnt vmcnt(26) lgkmcnt(2)
	v_mul_f64 v[90:91], v[26:27], v[50:51]
	s_waitcnt vmcnt(24)
	v_fmac_f64_e32 v[90:91], v[28:29], v[52:53]
	s_waitcnt vmcnt(22)
	v_mul_f64 v[88:89], v[22:23], v[54:55]
	s_waitcnt vmcnt(18) lgkmcnt(1)
	v_mul_f64 v[92:93], v[30:31], v[60:61]
	s_waitcnt vmcnt(17) lgkmcnt(0)
	v_mul_f64 v[94:95], v[34:35], v[56:57]
	s_waitcnt vmcnt(15)
	v_fma_f64 v[2:3], v[2:3], v[62:63], -v[38:39]
	v_fmac_f64_e32 v[78:79], v[4:5], v[62:63]
	s_waitcnt vmcnt(13)
	v_fma_f64 v[4:5], v[6:7], v[64:65], -v[40:41]
	v_add_f64 v[2:3], v[2:3], 0
	s_waitcnt vmcnt(11)
	v_fma_f64 v[6:7], v[10:11], v[66:67], -v[42:43]
	v_add_f64 v[2:3], v[2:3], v[4:5]
	v_fmac_f64_e32 v[80:81], v[8:9], v[64:65]
	s_waitcnt vmcnt(9)
	v_fma_f64 v[8:9], v[14:15], v[68:69], -v[48:49]
	v_add_f64 v[2:3], v[2:3], v[6:7]
	v_mul_f64 v[6:7], v[20:21], v[44:45]
	v_add_f64 v[2:3], v[2:3], v[8:9]
	v_fma_f64 v[6:7], v[18:19], v[46:47], -v[6:7]
	v_add_f64 v[2:3], v[2:3], v[6:7]
	v_mul_f64 v[6:7], v[24:25], v[54:55]
	v_add_f64 v[10:11], v[78:79], 0
	s_waitcnt vmcnt(7)
	v_fma_f64 v[6:7], v[22:23], v[70:71], -v[6:7]
	v_fmac_f64_e32 v[82:83], v[12:13], v[66:67]
	v_add_f64 v[10:11], v[10:11], v[80:81]
	v_add_f64 v[2:3], v[2:3], v[6:7]
	v_mul_f64 v[6:7], v[28:29], v[50:51]
	v_fmac_f64_e32 v[84:85], v[16:17], v[68:69]
	v_add_f64 v[4:5], v[10:11], v[82:83]
	v_fma_f64 v[6:7], v[26:27], v[52:53], -v[6:7]
	v_add_f64 v[4:5], v[4:5], v[84:85]
	v_add_f64 v[2:3], v[2:3], v[6:7]
	v_mul_f64 v[6:7], v[32:33], v[60:61]
	v_fmac_f64_e32 v[88:89], v[24:25], v[70:71]
	v_add_f64 v[4:5], v[4:5], v[86:87]
	s_waitcnt vmcnt(5)
	v_fma_f64 v[6:7], v[30:31], v[72:73], -v[6:7]
	v_add_f64 v[4:5], v[4:5], v[88:89]
	v_add_f64 v[2:3], v[2:3], v[6:7]
	v_mul_f64 v[6:7], v[36:37], v[56:57]
	v_fmac_f64_e32 v[92:93], v[32:33], v[72:73]
	v_add_f64 v[4:5], v[4:5], v[90:91]
	s_waitcnt vmcnt(4)
	v_fma_f64 v[6:7], v[34:35], v[58:59], -v[6:7]
	v_fmac_f64_e32 v[94:95], v[36:37], v[58:59]
	v_add_f64 v[4:5], v[4:5], v[92:93]
	v_add_f64 v[2:3], v[2:3], v[6:7]
	;; [unrolled: 1-line block ×3, first 2 shown]
	s_waitcnt vmcnt(2)
	v_add_f64 v[2:3], v[74:75], -v[2:3]
	s_waitcnt vmcnt(0)
	v_add_f64 v[4:5], v[76:77], -v[4:5]
	buffer_store_dword v3, off, s[0:3], 0 offset:452
	buffer_store_dword v2, off, s[0:3], 0 offset:448
	;; [unrolled: 1-line block ×4, first 2 shown]
	s_and_saveexec_b64 s[4:5], vcc
	s_cbranch_execz .LBB36_183
; %bb.182:
	v_accvgpr_read_b32 v5, a82
	buffer_load_dword v2, v5, s[0:3], 0 offen
	buffer_load_dword v3, v5, s[0:3], 0 offen offset:4
	buffer_load_dword v4, v5, s[0:3], 0 offen offset:8
	s_nop 0
	buffer_load_dword v5, v5, s[0:3], 0 offen offset:12
	v_accvgpr_read_b32 v6, a108
	buffer_store_dword v1, off, s[0:3], 0 offset:432
	buffer_store_dword v1, off, s[0:3], 0 offset:436
	;; [unrolled: 1-line block ×4, first 2 shown]
	s_waitcnt vmcnt(4)
	ds_write_b128 v6, v[2:5]
.LBB36_183:
	s_or_b64 exec, exec, s[4:5]
	s_waitcnt lgkmcnt(0)
	; wave barrier
	s_waitcnt lgkmcnt(0)
	buffer_load_dword v4, off, s[0:3], 0 offset:448
	buffer_load_dword v5, off, s[0:3], 0 offset:452
	;; [unrolled: 1-line block ×44, first 2 shown]
	ds_read_b128 v[6:9], v1 offset:1024
	ds_read_b128 v[10:13], v1 offset:1040
	ds_read_b128 v[14:17], v1 offset:1056
	ds_read_b128 v[18:21], v1 offset:1072
	ds_read_b128 v[22:25], v1 offset:1088
	ds_read_b128 v[26:29], v1 offset:1104
	ds_read_b128 v[30:33], v1 offset:1120
	ds_read_b128 v[34:37], v1 offset:1136
	ds_read_b128 v[38:41], v1 offset:1152
	ds_read_b128 v[42:45], v1 offset:1168
	v_cmp_lt_u32_e32 vcc, 25, v0
	s_waitcnt vmcnt(40) lgkmcnt(9)
	v_mul_f64 v[86:87], v[6:7], v[46:47]
	v_mul_f64 v[46:47], v[8:9], v[46:47]
	s_waitcnt vmcnt(38) lgkmcnt(8)
	v_mul_f64 v[88:89], v[10:11], v[48:49]
	v_mul_f64 v[48:49], v[12:13], v[48:49]
	v_fmac_f64_e32 v[86:87], v[8:9], v[4:5]
	v_fma_f64 v[4:5], v[6:7], v[4:5], -v[46:47]
	s_waitcnt vmcnt(36) lgkmcnt(7)
	v_mul_f64 v[90:91], v[14:15], v[2:3]
	v_add_f64 v[4:5], v[4:5], 0
	v_mul_f64 v[2:3], v[16:17], v[2:3]
	v_add_f64 v[8:9], v[86:87], 0
	s_waitcnt vmcnt(30) lgkmcnt(6)
	v_mul_f64 v[92:93], v[18:19], v[54:55]
	s_waitcnt lgkmcnt(5)
	v_mul_f64 v[94:95], v[22:23], v[50:51]
	v_fmac_f64_e32 v[94:95], v[24:25], v[52:53]
	s_waitcnt vmcnt(28) lgkmcnt(3)
	v_mul_f64 v[98:99], v[30:31], v[56:57]
	s_waitcnt vmcnt(26)
	v_fmac_f64_e32 v[98:99], v[32:33], v[58:59]
	s_waitcnt vmcnt(24)
	v_mul_f64 v[96:97], v[26:27], v[60:61]
	s_waitcnt vmcnt(22) lgkmcnt(1)
	v_mul_f64 v[102:103], v[38:39], v[62:63]
	s_waitcnt vmcnt(20)
	v_fmac_f64_e32 v[102:103], v[40:41], v[64:65]
	s_waitcnt vmcnt(18)
	v_mul_f64 v[100:101], v[34:35], v[66:67]
	s_waitcnt vmcnt(16) lgkmcnt(0)
	v_mul_f64 v[104:105], v[42:43], v[68:69]
	s_waitcnt vmcnt(14)
	v_fma_f64 v[6:7], v[10:11], v[70:71], -v[48:49]
	v_add_f64 v[4:5], v[4:5], v[6:7]
	s_waitcnt vmcnt(12)
	v_fma_f64 v[2:3], v[14:15], v[72:73], -v[2:3]
	v_add_f64 v[2:3], v[4:5], v[2:3]
	v_mul_f64 v[4:5], v[20:21], v[54:55]
	s_waitcnt vmcnt(10)
	v_fma_f64 v[4:5], v[18:19], v[74:75], -v[4:5]
	v_add_f64 v[2:3], v[2:3], v[4:5]
	v_mul_f64 v[4:5], v[24:25], v[50:51]
	v_fma_f64 v[4:5], v[22:23], v[52:53], -v[4:5]
	v_add_f64 v[2:3], v[2:3], v[4:5]
	v_mul_f64 v[4:5], v[28:29], v[60:61]
	s_waitcnt vmcnt(8)
	v_fma_f64 v[4:5], v[26:27], v[76:77], -v[4:5]
	v_fmac_f64_e32 v[88:89], v[12:13], v[70:71]
	v_add_f64 v[2:3], v[2:3], v[4:5]
	v_mul_f64 v[4:5], v[32:33], v[56:57]
	v_fmac_f64_e32 v[90:91], v[16:17], v[72:73]
	v_add_f64 v[8:9], v[8:9], v[88:89]
	v_fma_f64 v[4:5], v[30:31], v[58:59], -v[4:5]
	v_fmac_f64_e32 v[92:93], v[20:21], v[74:75]
	v_add_f64 v[6:7], v[8:9], v[90:91]
	v_add_f64 v[2:3], v[2:3], v[4:5]
	v_mul_f64 v[4:5], v[36:37], v[66:67]
	v_add_f64 v[6:7], v[6:7], v[92:93]
	s_waitcnt vmcnt(6)
	v_fma_f64 v[4:5], v[34:35], v[78:79], -v[4:5]
	v_fmac_f64_e32 v[96:97], v[28:29], v[76:77]
	v_add_f64 v[6:7], v[6:7], v[94:95]
	v_add_f64 v[2:3], v[2:3], v[4:5]
	v_mul_f64 v[4:5], v[40:41], v[62:63]
	v_add_f64 v[6:7], v[6:7], v[96:97]
	v_fma_f64 v[4:5], v[38:39], v[64:65], -v[4:5]
	v_fmac_f64_e32 v[100:101], v[36:37], v[78:79]
	v_add_f64 v[6:7], v[6:7], v[98:99]
	v_add_f64 v[2:3], v[2:3], v[4:5]
	v_mul_f64 v[4:5], v[44:45], v[68:69]
	v_add_f64 v[6:7], v[6:7], v[100:101]
	s_waitcnt vmcnt(4)
	v_fma_f64 v[4:5], v[42:43], v[80:81], -v[4:5]
	v_fmac_f64_e32 v[104:105], v[44:45], v[80:81]
	v_add_f64 v[6:7], v[6:7], v[102:103]
	v_add_f64 v[2:3], v[2:3], v[4:5]
	;; [unrolled: 1-line block ×3, first 2 shown]
	s_waitcnt vmcnt(2)
	v_add_f64 v[2:3], v[82:83], -v[2:3]
	s_waitcnt vmcnt(0)
	v_add_f64 v[4:5], v[84:85], -v[6:7]
	buffer_store_dword v3, off, s[0:3], 0 offset:436
	buffer_store_dword v2, off, s[0:3], 0 offset:432
	;; [unrolled: 1-line block ×4, first 2 shown]
	s_and_saveexec_b64 s[4:5], vcc
	s_cbranch_execz .LBB36_185
; %bb.184:
	v_accvgpr_read_b32 v1, a83
	buffer_load_dword v2, v1, s[0:3], 0 offen
	buffer_load_dword v3, v1, s[0:3], 0 offen offset:4
	buffer_load_dword v4, v1, s[0:3], 0 offen offset:8
	;; [unrolled: 1-line block ×3, first 2 shown]
	v_mov_b32_e32 v1, 0
	v_accvgpr_read_b32 v6, a108
	buffer_store_dword v1, off, s[0:3], 0 offset:416
	buffer_store_dword v1, off, s[0:3], 0 offset:420
	buffer_store_dword v1, off, s[0:3], 0 offset:424
	buffer_store_dword v1, off, s[0:3], 0 offset:428
	s_waitcnt vmcnt(4)
	ds_write_b128 v6, v[2:5]
.LBB36_185:
	s_or_b64 exec, exec, s[4:5]
	s_waitcnt lgkmcnt(0)
	; wave barrier
	s_waitcnt lgkmcnt(0)
	buffer_load_dword v2, off, s[0:3], 0 offset:432
	buffer_load_dword v3, off, s[0:3], 0 offset:436
	;; [unrolled: 1-line block ×48, first 2 shown]
	v_mov_b32_e32 v1, 0
	ds_read_b128 v[12:15], v1 offset:1008
	ds_read_b128 v[16:19], v1 offset:1024
	;; [unrolled: 1-line block ×11, first 2 shown]
	v_cmp_lt_u32_e32 vcc, 24, v0
	s_waitcnt vmcnt(44) lgkmcnt(10)
	v_mul_f64 v[94:95], v[12:13], v[6:7]
	v_mul_f64 v[6:7], v[14:15], v[6:7]
	v_fmac_f64_e32 v[94:95], v[14:15], v[2:3]
	v_fma_f64 v[2:3], v[12:13], v[2:3], -v[6:7]
	s_waitcnt vmcnt(40) lgkmcnt(9)
	v_mul_f64 v[96:97], v[16:17], v[8:9]
	v_mul_f64 v[6:7], v[18:19], v[8:9]
	v_fmac_f64_e32 v[96:97], v[18:19], v[4:5]
	v_add_f64 v[2:3], v[2:3], 0
	v_fma_f64 v[4:5], v[16:17], v[4:5], -v[6:7]
	v_add_f64 v[2:3], v[2:3], v[4:5]
	s_waitcnt vmcnt(38) lgkmcnt(8)
	v_mul_f64 v[4:5], v[22:23], v[10:11]
	v_mul_f64 v[98:99], v[20:21], v[10:11]
	v_add_f64 v[94:95], v[94:95], 0
	s_waitcnt vmcnt(32) lgkmcnt(7)
	v_mul_f64 v[100:101], v[24:25], v[60:61]
	v_add_f64 v[94:95], v[94:95], v[96:97]
	s_waitcnt lgkmcnt(6)
	v_mul_f64 v[102:103], v[28:29], v[56:57]
	v_fmac_f64_e32 v[102:103], v[30:31], v[58:59]
	s_waitcnt vmcnt(30) lgkmcnt(4)
	v_mul_f64 v[106:107], v[36:37], v[62:63]
	s_waitcnt vmcnt(26)
	v_mul_f64 v[104:105], v[32:33], v[66:67]
	v_fmac_f64_e32 v[106:107], v[38:39], v[64:65]
	s_waitcnt vmcnt(24) lgkmcnt(2)
	v_mul_f64 v[110:111], v[44:45], v[68:69]
	s_waitcnt vmcnt(22)
	v_fmac_f64_e32 v[110:111], v[46:47], v[70:71]
	s_waitcnt vmcnt(20)
	v_mul_f64 v[108:109], v[40:41], v[72:73]
	s_waitcnt vmcnt(16) lgkmcnt(1)
	v_mul_f64 v[112:113], v[48:49], v[78:79]
	s_waitcnt vmcnt(14)
	v_fma_f64 v[4:5], v[20:21], v[80:81], -v[4:5]
	v_add_f64 v[2:3], v[2:3], v[4:5]
	v_mul_f64 v[4:5], v[26:27], v[60:61]
	s_waitcnt vmcnt(12)
	v_fma_f64 v[4:5], v[24:25], v[82:83], -v[4:5]
	v_add_f64 v[2:3], v[2:3], v[4:5]
	v_mul_f64 v[4:5], v[30:31], v[56:57]
	v_fma_f64 v[4:5], v[28:29], v[58:59], -v[4:5]
	v_add_f64 v[2:3], v[2:3], v[4:5]
	v_mul_f64 v[4:5], v[34:35], v[66:67]
	s_waitcnt vmcnt(10)
	v_fma_f64 v[4:5], v[32:33], v[84:85], -v[4:5]
	v_add_f64 v[2:3], v[2:3], v[4:5]
	v_mul_f64 v[4:5], v[38:39], v[62:63]
	v_fma_f64 v[4:5], v[36:37], v[64:65], -v[4:5]
	v_fmac_f64_e32 v[98:99], v[22:23], v[80:81]
	v_add_f64 v[2:3], v[2:3], v[4:5]
	v_mul_f64 v[4:5], v[42:43], v[72:73]
	v_fmac_f64_e32 v[100:101], v[26:27], v[82:83]
	v_add_f64 v[94:95], v[94:95], v[98:99]
	s_waitcnt vmcnt(8)
	v_fma_f64 v[4:5], v[40:41], v[86:87], -v[4:5]
	v_add_f64 v[94:95], v[94:95], v[100:101]
	v_add_f64 v[2:3], v[2:3], v[4:5]
	v_mul_f64 v[4:5], v[46:47], v[68:69]
	v_fmac_f64_e32 v[104:105], v[34:35], v[84:85]
	v_add_f64 v[94:95], v[94:95], v[102:103]
	v_fma_f64 v[4:5], v[44:45], v[70:71], -v[4:5]
	v_add_f64 v[94:95], v[94:95], v[104:105]
	v_add_f64 v[2:3], v[2:3], v[4:5]
	v_mul_f64 v[4:5], v[50:51], v[78:79]
	v_fmac_f64_e32 v[108:109], v[42:43], v[86:87]
	v_add_f64 v[94:95], v[94:95], v[106:107]
	s_waitcnt vmcnt(6)
	v_fma_f64 v[4:5], v[48:49], v[88:89], -v[4:5]
	v_add_f64 v[94:95], v[94:95], v[108:109]
	v_add_f64 v[2:3], v[2:3], v[4:5]
	s_waitcnt vmcnt(5) lgkmcnt(0)
	v_mul_f64 v[4:5], v[54:55], v[74:75]
	v_fmac_f64_e32 v[112:113], v[50:51], v[88:89]
	v_add_f64 v[94:95], v[94:95], v[110:111]
	v_mul_f64 v[96:97], v[52:53], v[74:75]
	s_waitcnt vmcnt(4)
	v_fma_f64 v[4:5], v[52:53], v[76:77], -v[4:5]
	v_add_f64 v[94:95], v[94:95], v[112:113]
	v_fmac_f64_e32 v[96:97], v[54:55], v[76:77]
	v_add_f64 v[2:3], v[2:3], v[4:5]
	v_add_f64 v[94:95], v[94:95], v[96:97]
	s_waitcnt vmcnt(2)
	v_add_f64 v[2:3], v[90:91], -v[2:3]
	s_waitcnt vmcnt(0)
	v_add_f64 v[4:5], v[92:93], -v[94:95]
	buffer_store_dword v3, off, s[0:3], 0 offset:420
	buffer_store_dword v2, off, s[0:3], 0 offset:416
	;; [unrolled: 1-line block ×4, first 2 shown]
	s_and_saveexec_b64 s[4:5], vcc
	s_cbranch_execz .LBB36_187
; %bb.186:
	v_accvgpr_read_b32 v5, a84
	buffer_load_dword v2, v5, s[0:3], 0 offen
	buffer_load_dword v3, v5, s[0:3], 0 offen offset:4
	buffer_load_dword v4, v5, s[0:3], 0 offen offset:8
	s_nop 0
	buffer_load_dword v5, v5, s[0:3], 0 offen offset:12
	v_accvgpr_read_b32 v6, a108
	buffer_store_dword v1, off, s[0:3], 0 offset:400
	buffer_store_dword v1, off, s[0:3], 0 offset:404
	;; [unrolled: 1-line block ×4, first 2 shown]
	s_waitcnt vmcnt(4)
	ds_write_b128 v6, v[2:5]
.LBB36_187:
	s_or_b64 exec, exec, s[4:5]
	s_waitcnt lgkmcnt(0)
	; wave barrier
	s_waitcnt lgkmcnt(0)
	buffer_load_dword v2, off, s[0:3], 0 offset:416
	buffer_load_dword v3, off, s[0:3], 0 offset:420
	;; [unrolled: 1-line block ×52, first 2 shown]
	ds_read_b128 v[12:15], v1 offset:992
	ds_read_b128 v[16:19], v1 offset:1008
	;; [unrolled: 1-line block ×10, first 2 shown]
	v_cmp_lt_u32_e32 vcc, 23, v0
	s_waitcnt vmcnt(48) lgkmcnt(9)
	v_mul_f64 v[52:53], v[12:13], v[6:7]
	v_mul_f64 v[6:7], v[14:15], v[6:7]
	v_fmac_f64_e32 v[52:53], v[14:15], v[2:3]
	v_fma_f64 v[2:3], v[12:13], v[2:3], -v[6:7]
	s_waitcnt vmcnt(44) lgkmcnt(8)
	v_mul_f64 v[54:55], v[16:17], v[8:9]
	v_mul_f64 v[6:7], v[18:19], v[8:9]
	v_fmac_f64_e32 v[54:55], v[18:19], v[4:5]
	v_add_f64 v[2:3], v[2:3], 0
	v_fma_f64 v[4:5], v[16:17], v[4:5], -v[6:7]
	v_add_f64 v[2:3], v[2:3], v[4:5]
	s_waitcnt vmcnt(42) lgkmcnt(7)
	v_mul_f64 v[4:5], v[22:23], v[10:11]
	v_mul_f64 v[56:57], v[20:21], v[10:11]
	v_add_f64 v[52:53], v[52:53], 0
	s_waitcnt vmcnt(36) lgkmcnt(6)
	v_mul_f64 v[58:59], v[24:25], v[64:65]
	v_add_f64 v[52:53], v[52:53], v[54:55]
	s_waitcnt lgkmcnt(5)
	v_mul_f64 v[102:103], v[28:29], v[60:61]
	v_fmac_f64_e32 v[102:103], v[30:31], v[62:63]
	s_waitcnt vmcnt(34) lgkmcnt(3)
	v_mul_f64 v[106:107], v[36:37], v[66:67]
	s_waitcnt vmcnt(30)
	v_mul_f64 v[104:105], v[32:33], v[70:71]
	v_fmac_f64_e32 v[106:107], v[38:39], v[68:69]
	s_waitcnt vmcnt(26) lgkmcnt(2)
	v_mul_f64 v[108:109], v[40:41], v[76:77]
	s_waitcnt vmcnt(25) lgkmcnt(1)
	v_mul_f64 v[110:111], v[44:45], v[72:73]
	s_waitcnt vmcnt(23)
	v_fma_f64 v[4:5], v[20:21], v[78:79], -v[4:5]
	v_add_f64 v[2:3], v[2:3], v[4:5]
	v_mul_f64 v[4:5], v[26:27], v[64:65]
	s_waitcnt vmcnt(21)
	v_fma_f64 v[4:5], v[24:25], v[80:81], -v[4:5]
	v_fmac_f64_e32 v[56:57], v[22:23], v[78:79]
	v_add_f64 v[2:3], v[2:3], v[4:5]
	v_mul_f64 v[4:5], v[30:31], v[60:61]
	v_fmac_f64_e32 v[58:59], v[26:27], v[80:81]
	v_add_f64 v[52:53], v[52:53], v[56:57]
	v_fma_f64 v[4:5], v[28:29], v[62:63], -v[4:5]
	v_add_f64 v[52:53], v[52:53], v[58:59]
	v_add_f64 v[2:3], v[2:3], v[4:5]
	v_mul_f64 v[4:5], v[34:35], v[70:71]
	s_waitcnt vmcnt(19)
	v_fmac_f64_e32 v[104:105], v[34:35], v[82:83]
	v_add_f64 v[52:53], v[52:53], v[102:103]
	v_fma_f64 v[4:5], v[32:33], v[82:83], -v[4:5]
	v_add_f64 v[52:53], v[52:53], v[104:105]
	v_add_f64 v[2:3], v[2:3], v[4:5]
	v_mul_f64 v[4:5], v[38:39], v[66:67]
	s_waitcnt vmcnt(17)
	v_fmac_f64_e32 v[108:109], v[42:43], v[84:85]
	v_add_f64 v[52:53], v[52:53], v[106:107]
	v_fma_f64 v[4:5], v[36:37], v[68:69], -v[4:5]
	s_waitcnt vmcnt(16)
	v_fmac_f64_e32 v[110:111], v[46:47], v[74:75]
	v_add_f64 v[52:53], v[52:53], v[108:109]
	v_add_f64 v[2:3], v[2:3], v[4:5]
	v_mul_f64 v[4:5], v[42:43], v[76:77]
	v_add_f64 v[102:103], v[52:53], v[110:111]
	ds_read_b128 v[52:55], v1 offset:1152
	ds_read_b128 v[56:59], v1 offset:1168
	v_fma_f64 v[4:5], v[40:41], v[84:85], -v[4:5]
	v_add_f64 v[2:3], v[2:3], v[4:5]
	v_mul_f64 v[4:5], v[46:47], v[72:73]
	v_fma_f64 v[4:5], v[44:45], v[74:75], -v[4:5]
	v_add_f64 v[2:3], v[2:3], v[4:5]
	s_waitcnt vmcnt(12) lgkmcnt(2)
	v_mul_f64 v[4:5], v[50:51], v[90:91]
	v_mul_f64 v[104:105], v[48:49], v[90:91]
	s_waitcnt vmcnt(10)
	v_fma_f64 v[4:5], v[48:49], v[92:93], -v[4:5]
	v_fmac_f64_e32 v[104:105], v[50:51], v[92:93]
	v_add_f64 v[2:3], v[2:3], v[4:5]
	s_waitcnt vmcnt(8) lgkmcnt(1)
	v_mul_f64 v[4:5], v[54:55], v[86:87]
	v_add_f64 v[102:103], v[102:103], v[104:105]
	v_mul_f64 v[104:105], v[52:53], v[86:87]
	v_fma_f64 v[4:5], v[52:53], v[88:89], -v[4:5]
	v_fmac_f64_e32 v[104:105], v[54:55], v[88:89]
	v_add_f64 v[2:3], v[2:3], v[4:5]
	s_waitcnt vmcnt(6) lgkmcnt(0)
	v_mul_f64 v[4:5], v[58:59], v[94:95]
	v_add_f64 v[102:103], v[102:103], v[104:105]
	v_mul_f64 v[104:105], v[56:57], v[94:95]
	s_waitcnt vmcnt(4)
	v_fma_f64 v[4:5], v[56:57], v[96:97], -v[4:5]
	v_fmac_f64_e32 v[104:105], v[58:59], v[96:97]
	v_add_f64 v[2:3], v[2:3], v[4:5]
	v_add_f64 v[102:103], v[102:103], v[104:105]
	s_waitcnt vmcnt(2)
	v_add_f64 v[2:3], v[98:99], -v[2:3]
	s_waitcnt vmcnt(0)
	v_add_f64 v[4:5], v[100:101], -v[102:103]
	buffer_store_dword v3, off, s[0:3], 0 offset:404
	buffer_store_dword v2, off, s[0:3], 0 offset:400
	;; [unrolled: 1-line block ×4, first 2 shown]
	s_and_saveexec_b64 s[4:5], vcc
	s_cbranch_execz .LBB36_189
; %bb.188:
	v_accvgpr_read_b32 v1, a85
	buffer_load_dword v2, v1, s[0:3], 0 offen
	buffer_load_dword v3, v1, s[0:3], 0 offen offset:4
	buffer_load_dword v4, v1, s[0:3], 0 offen offset:8
	;; [unrolled: 1-line block ×3, first 2 shown]
	v_mov_b32_e32 v1, 0
	v_accvgpr_read_b32 v6, a108
	buffer_store_dword v1, off, s[0:3], 0 offset:384
	buffer_store_dword v1, off, s[0:3], 0 offset:388
	;; [unrolled: 1-line block ×4, first 2 shown]
	s_waitcnt vmcnt(4)
	ds_write_b128 v6, v[2:5]
.LBB36_189:
	s_or_b64 exec, exec, s[4:5]
	s_waitcnt lgkmcnt(0)
	; wave barrier
	s_waitcnt lgkmcnt(0)
	buffer_load_dword v2, off, s[0:3], 0 offset:400
	buffer_load_dword v3, off, s[0:3], 0 offset:404
	;; [unrolled: 1-line block ×56, first 2 shown]
	v_mov_b32_e32 v1, 0
	ds_read_b128 v[18:21], v1 offset:976
	ds_read_b128 v[22:25], v1 offset:992
	;; [unrolled: 1-line block ×9, first 2 shown]
	v_cmp_lt_u32_e32 vcc, 22, v0
	s_waitcnt vmcnt(52) lgkmcnt(8)
	v_mul_f64 v[50:51], v[18:19], v[6:7]
	v_fmac_f64_e32 v[50:51], v[20:21], v[2:3]
	v_mul_f64 v[6:7], v[20:21], v[6:7]
	v_add_f64 v[50:51], v[50:51], 0
	s_waitcnt vmcnt(48) lgkmcnt(7)
	v_mul_f64 v[52:53], v[22:23], v[8:9]
	v_fmac_f64_e32 v[52:53], v[24:25], v[4:5]
	s_waitcnt vmcnt(46) lgkmcnt(6)
	v_mul_f64 v[54:55], v[26:27], v[10:11]
	v_fma_f64 v[2:3], v[18:19], v[2:3], -v[6:7]
	v_mul_f64 v[6:7], v[24:25], v[8:9]
	v_add_f64 v[50:51], v[50:51], v[52:53]
	v_add_f64 v[2:3], v[2:3], 0
	v_fma_f64 v[4:5], v[22:23], v[4:5], -v[6:7]
	s_waitcnt vmcnt(40) lgkmcnt(5)
	v_mul_f64 v[56:57], v[30:31], v[16:17]
	s_waitcnt lgkmcnt(4)
	v_mul_f64 v[58:59], v[34:35], v[12:13]
	v_add_f64 v[2:3], v[2:3], v[4:5]
	v_mul_f64 v[4:5], v[28:29], v[10:11]
	s_waitcnt vmcnt(36) lgkmcnt(3)
	v_mul_f64 v[60:61], v[38:39], v[74:75]
	v_fmac_f64_e32 v[58:59], v[36:37], v[14:15]
	s_waitcnt vmcnt(35) lgkmcnt(2)
	v_mul_f64 v[62:63], v[42:43], v[70:71]
	s_waitcnt vmcnt(33)
	v_fmac_f64_e32 v[54:55], v[28:29], v[76:77]
	v_add_f64 v[50:51], v[50:51], v[54:55]
	s_waitcnt vmcnt(31)
	v_fmac_f64_e32 v[56:57], v[32:33], v[78:79]
	v_add_f64 v[50:51], v[50:51], v[56:57]
	v_fma_f64 v[4:5], v[26:27], v[76:77], -v[4:5]
	s_waitcnt vmcnt(29)
	v_fmac_f64_e32 v[60:61], v[40:41], v[80:81]
	v_add_f64 v[50:51], v[50:51], v[58:59]
	v_add_f64 v[2:3], v[2:3], v[4:5]
	v_mul_f64 v[4:5], v[32:33], v[16:17]
	s_waitcnt vmcnt(28)
	v_fmac_f64_e32 v[62:63], v[44:45], v[72:73]
	v_add_f64 v[50:51], v[50:51], v[60:61]
	v_fma_f64 v[4:5], v[30:31], v[78:79], -v[4:5]
	v_add_f64 v[54:55], v[50:51], v[62:63]
	ds_read_b128 v[50:53], v1 offset:1104
	s_waitcnt vmcnt(24) lgkmcnt(2)
	v_mul_f64 v[56:57], v[46:47], v[86:87]
	v_add_f64 v[2:3], v[2:3], v[4:5]
	v_mul_f64 v[4:5], v[36:37], v[12:13]
	s_waitcnt vmcnt(22)
	v_fmac_f64_e32 v[56:57], v[48:49], v[88:89]
	v_fma_f64 v[4:5], v[34:35], v[14:15], -v[4:5]
	v_add_f64 v[58:59], v[54:55], v[56:57]
	ds_read_b128 v[54:57], v1 offset:1120
	v_add_f64 v[2:3], v[2:3], v[4:5]
	v_mul_f64 v[4:5], v[40:41], v[74:75]
	v_fma_f64 v[4:5], v[38:39], v[80:81], -v[4:5]
	v_add_f64 v[2:3], v[2:3], v[4:5]
	v_mul_f64 v[4:5], v[44:45], v[70:71]
	s_waitcnt vmcnt(20) lgkmcnt(1)
	v_mul_f64 v[60:61], v[50:51], v[82:83]
	v_fma_f64 v[4:5], v[42:43], v[72:73], -v[4:5]
	v_fmac_f64_e32 v[60:61], v[52:53], v[84:85]
	v_add_f64 v[2:3], v[2:3], v[4:5]
	v_mul_f64 v[4:5], v[48:49], v[86:87]
	v_add_f64 v[62:63], v[58:59], v[60:61]
	ds_read_b128 v[58:61], v1 offset:1136
	s_waitcnt vmcnt(16) lgkmcnt(1)
	v_mul_f64 v[64:65], v[54:55], v[94:95]
	v_fma_f64 v[4:5], v[46:47], v[88:89], -v[4:5]
	s_waitcnt vmcnt(14)
	v_fmac_f64_e32 v[64:65], v[56:57], v[96:97]
	v_add_f64 v[2:3], v[2:3], v[4:5]
	v_mul_f64 v[4:5], v[52:53], v[82:83]
	v_add_f64 v[110:111], v[62:63], v[64:65]
	ds_read_b128 v[62:65], v1 offset:1152
	v_fma_f64 v[4:5], v[50:51], v[84:85], -v[4:5]
	v_add_f64 v[2:3], v[2:3], v[4:5]
	v_mul_f64 v[4:5], v[56:57], v[94:95]
	v_fma_f64 v[4:5], v[54:55], v[96:97], -v[4:5]
	v_add_f64 v[2:3], v[2:3], v[4:5]
	s_waitcnt vmcnt(12) lgkmcnt(1)
	v_mul_f64 v[4:5], v[60:61], v[90:91]
	v_mul_f64 v[112:113], v[58:59], v[90:91]
	v_fma_f64 v[4:5], v[58:59], v[92:93], -v[4:5]
	v_fmac_f64_e32 v[112:113], v[60:61], v[92:93]
	v_add_f64 v[2:3], v[2:3], v[4:5]
	s_waitcnt vmcnt(8) lgkmcnt(0)
	v_mul_f64 v[4:5], v[64:65], v[102:103]
	v_add_f64 v[110:111], v[110:111], v[112:113]
	v_mul_f64 v[112:113], v[62:63], v[102:103]
	s_waitcnt vmcnt(6)
	v_fma_f64 v[4:5], v[62:63], v[104:105], -v[4:5]
	v_fmac_f64_e32 v[112:113], v[64:65], v[104:105]
	v_add_f64 v[2:3], v[2:3], v[4:5]
	s_waitcnt vmcnt(5)
	v_mul_f64 v[4:5], v[68:69], v[98:99]
	v_add_f64 v[110:111], v[110:111], v[112:113]
	v_mul_f64 v[112:113], v[66:67], v[98:99]
	s_waitcnt vmcnt(4)
	v_fma_f64 v[4:5], v[66:67], v[100:101], -v[4:5]
	v_fmac_f64_e32 v[112:113], v[68:69], v[100:101]
	v_add_f64 v[2:3], v[2:3], v[4:5]
	v_add_f64 v[110:111], v[110:111], v[112:113]
	s_waitcnt vmcnt(2)
	v_add_f64 v[2:3], v[106:107], -v[2:3]
	s_waitcnt vmcnt(0)
	v_add_f64 v[4:5], v[108:109], -v[110:111]
	buffer_store_dword v3, off, s[0:3], 0 offset:388
	buffer_store_dword v2, off, s[0:3], 0 offset:384
	;; [unrolled: 1-line block ×4, first 2 shown]
	s_and_saveexec_b64 s[4:5], vcc
	s_cbranch_execz .LBB36_191
; %bb.190:
	v_accvgpr_read_b32 v5, a86
	buffer_load_dword v2, v5, s[0:3], 0 offen
	buffer_load_dword v3, v5, s[0:3], 0 offen offset:4
	buffer_load_dword v4, v5, s[0:3], 0 offen offset:8
	s_nop 0
	buffer_load_dword v5, v5, s[0:3], 0 offen offset:12
	v_accvgpr_read_b32 v6, a108
	buffer_store_dword v1, off, s[0:3], 0 offset:368
	buffer_store_dword v1, off, s[0:3], 0 offset:372
	;; [unrolled: 1-line block ×4, first 2 shown]
	s_waitcnt vmcnt(4)
	ds_write_b128 v6, v[2:5]
.LBB36_191:
	s_or_b64 exec, exec, s[4:5]
	s_waitcnt lgkmcnt(0)
	; wave barrier
	s_waitcnt lgkmcnt(0)
	buffer_load_dword v2, off, s[0:3], 0 offset:384
	buffer_load_dword v3, off, s[0:3], 0 offset:388
	;; [unrolled: 1-line block ×60, first 2 shown]
	ds_read_b128 v[24:27], v1 offset:960
	ds_read_b128 v[28:31], v1 offset:976
	;; [unrolled: 1-line block ×8, first 2 shown]
	v_cmp_lt_u32_e32 vcc, 21, v0
	ds_read_b128 v[76:79], v1 offset:1168
	s_waitcnt vmcnt(56) lgkmcnt(8)
	v_mul_f64 v[56:57], v[24:25], v[6:7]
	v_fmac_f64_e32 v[56:57], v[26:27], v[2:3]
	v_add_f64 v[56:57], v[56:57], 0
	v_mul_f64 v[6:7], v[26:27], v[6:7]
	s_waitcnt vmcnt(52) lgkmcnt(7)
	v_mul_f64 v[58:59], v[28:29], v[8:9]
	v_fmac_f64_e32 v[58:59], v[30:31], v[4:5]
	s_waitcnt vmcnt(50) lgkmcnt(6)
	v_mul_f64 v[60:61], v[32:33], v[10:11]
	v_add_f64 v[56:57], v[56:57], v[58:59]
	s_waitcnt vmcnt(48) lgkmcnt(4)
	v_mul_f64 v[64:65], v[40:41], v[12:13]
	v_fma_f64 v[2:3], v[24:25], v[2:3], -v[6:7]
	s_waitcnt vmcnt(46)
	v_fmac_f64_e32 v[64:65], v[42:43], v[14:15]
	v_mul_f64 v[6:7], v[30:31], v[8:9]
	s_waitcnt vmcnt(44)
	v_mul_f64 v[62:63], v[36:37], v[16:17]
	v_add_f64 v[2:3], v[2:3], 0
	v_fma_f64 v[4:5], v[28:29], v[4:5], -v[6:7]
	v_add_f64 v[2:3], v[2:3], v[4:5]
	s_waitcnt vmcnt(40) lgkmcnt(3)
	v_mul_f64 v[66:67], v[44:45], v[22:23]
	v_mul_f64 v[4:5], v[34:35], v[10:11]
	s_waitcnt vmcnt(38)
	v_fmac_f64_e32 v[60:61], v[34:35], v[80:81]
	v_add_f64 v[56:57], v[56:57], v[60:61]
	s_waitcnt vmcnt(36)
	v_fmac_f64_e32 v[62:63], v[38:39], v[82:83]
	v_add_f64 v[56:57], v[56:57], v[62:63]
	;; [unrolled: 3-line block ×3, first 2 shown]
	s_waitcnt vmcnt(32) lgkmcnt(2)
	v_mul_f64 v[58:59], v[48:49], v[18:19]
	v_add_f64 v[56:57], v[56:57], v[66:67]
	v_fmac_f64_e32 v[58:59], v[50:51], v[20:21]
	v_add_f64 v[60:61], v[56:57], v[58:59]
	ds_read_b128 v[56:59], v1 offset:1088
	v_fma_f64 v[4:5], v[32:33], v[80:81], -v[4:5]
	v_add_f64 v[2:3], v[2:3], v[4:5]
	v_mul_f64 v[4:5], v[38:39], v[16:17]
	v_fma_f64 v[4:5], v[36:37], v[82:83], -v[4:5]
	s_waitcnt vmcnt(28) lgkmcnt(2)
	v_mul_f64 v[62:63], v[52:53], v[90:91]
	v_add_f64 v[2:3], v[2:3], v[4:5]
	v_mul_f64 v[4:5], v[42:43], v[12:13]
	s_waitcnt vmcnt(26)
	v_fmac_f64_e32 v[62:63], v[54:55], v[92:93]
	v_fma_f64 v[4:5], v[40:41], v[14:15], -v[4:5]
	v_add_f64 v[64:65], v[60:61], v[62:63]
	ds_read_b128 v[60:63], v1 offset:1104
	s_waitcnt vmcnt(24) lgkmcnt(1)
	v_mul_f64 v[66:67], v[56:57], v[86:87]
	v_add_f64 v[2:3], v[2:3], v[4:5]
	v_mul_f64 v[4:5], v[46:47], v[22:23]
	v_fmac_f64_e32 v[66:67], v[58:59], v[88:89]
	v_fma_f64 v[4:5], v[44:45], v[84:85], -v[4:5]
	v_add_f64 v[68:69], v[64:65], v[66:67]
	ds_read_b128 v[64:67], v1 offset:1120
	v_add_f64 v[2:3], v[2:3], v[4:5]
	v_mul_f64 v[4:5], v[50:51], v[18:19]
	v_fma_f64 v[4:5], v[48:49], v[20:21], -v[4:5]
	v_add_f64 v[2:3], v[2:3], v[4:5]
	v_mul_f64 v[4:5], v[54:55], v[90:91]
	s_waitcnt vmcnt(20) lgkmcnt(1)
	v_mul_f64 v[70:71], v[60:61], v[98:99]
	v_fma_f64 v[4:5], v[52:53], v[92:93], -v[4:5]
	s_waitcnt vmcnt(18)
	v_fmac_f64_e32 v[70:71], v[62:63], v[100:101]
	v_add_f64 v[2:3], v[2:3], v[4:5]
	v_mul_f64 v[4:5], v[58:59], v[86:87]
	v_add_f64 v[72:73], v[68:69], v[70:71]
	ds_read_b128 v[68:71], v1 offset:1136
	s_waitcnt vmcnt(16) lgkmcnt(1)
	v_mul_f64 v[74:75], v[64:65], v[94:95]
	v_fma_f64 v[4:5], v[56:57], v[88:89], -v[4:5]
	v_fmac_f64_e32 v[74:75], v[66:67], v[96:97]
	v_add_f64 v[2:3], v[2:3], v[4:5]
	v_mul_f64 v[4:5], v[62:63], v[98:99]
	v_add_f64 v[120:121], v[72:73], v[74:75]
	ds_read_b128 v[72:75], v1 offset:1152
	v_fma_f64 v[4:5], v[60:61], v[100:101], -v[4:5]
	v_add_f64 v[2:3], v[2:3], v[4:5]
	v_mul_f64 v[4:5], v[66:67], v[94:95]
	v_fma_f64 v[4:5], v[64:65], v[96:97], -v[4:5]
	v_add_f64 v[2:3], v[2:3], v[4:5]
	s_waitcnt vmcnt(12) lgkmcnt(1)
	v_mul_f64 v[4:5], v[70:71], v[106:107]
	v_mul_f64 v[122:123], v[68:69], v[106:107]
	s_waitcnt vmcnt(10)
	v_fma_f64 v[4:5], v[68:69], v[108:109], -v[4:5]
	v_fmac_f64_e32 v[122:123], v[70:71], v[108:109]
	v_add_f64 v[2:3], v[2:3], v[4:5]
	s_waitcnt vmcnt(8) lgkmcnt(0)
	v_mul_f64 v[4:5], v[74:75], v[102:103]
	v_add_f64 v[120:121], v[120:121], v[122:123]
	v_mul_f64 v[122:123], v[72:73], v[102:103]
	v_fma_f64 v[4:5], v[72:73], v[104:105], -v[4:5]
	v_fmac_f64_e32 v[122:123], v[74:75], v[104:105]
	v_add_f64 v[2:3], v[2:3], v[4:5]
	s_waitcnt vmcnt(6)
	v_mul_f64 v[4:5], v[78:79], v[110:111]
	v_add_f64 v[120:121], v[120:121], v[122:123]
	v_mul_f64 v[122:123], v[76:77], v[110:111]
	s_waitcnt vmcnt(4)
	v_fma_f64 v[4:5], v[76:77], v[112:113], -v[4:5]
	v_fmac_f64_e32 v[122:123], v[78:79], v[112:113]
	v_add_f64 v[2:3], v[2:3], v[4:5]
	v_add_f64 v[120:121], v[120:121], v[122:123]
	s_waitcnt vmcnt(2)
	v_add_f64 v[2:3], v[114:115], -v[2:3]
	s_waitcnt vmcnt(0)
	v_add_f64 v[4:5], v[116:117], -v[120:121]
	buffer_store_dword v3, off, s[0:3], 0 offset:372
	buffer_store_dword v2, off, s[0:3], 0 offset:368
	;; [unrolled: 1-line block ×4, first 2 shown]
	s_and_saveexec_b64 s[4:5], vcc
	s_cbranch_execz .LBB36_193
; %bb.192:
	v_accvgpr_read_b32 v1, a87
	buffer_load_dword v2, v1, s[0:3], 0 offen
	buffer_load_dword v3, v1, s[0:3], 0 offen offset:4
	buffer_load_dword v4, v1, s[0:3], 0 offen offset:8
	;; [unrolled: 1-line block ×3, first 2 shown]
	v_mov_b32_e32 v1, 0
	v_accvgpr_read_b32 v6, a108
	buffer_store_dword v1, off, s[0:3], 0 offset:352
	buffer_store_dword v1, off, s[0:3], 0 offset:356
	;; [unrolled: 1-line block ×4, first 2 shown]
	s_waitcnt vmcnt(4)
	ds_write_b128 v6, v[2:5]
.LBB36_193:
	s_or_b64 exec, exec, s[4:5]
	s_waitcnt lgkmcnt(0)
	; wave barrier
	s_waitcnt lgkmcnt(0)
	buffer_load_dword v2, off, s[0:3], 0 offset:368
	buffer_load_dword v3, off, s[0:3], 0 offset:372
	;; [unrolled: 1-line block ×64, first 2 shown]
	v_mov_b32_e32 v1, 0
	ds_read_b128 v[30:33], v1 offset:944
	ds_read_b128 v[34:37], v1 offset:960
	;; [unrolled: 1-line block ×7, first 2 shown]
	v_cmp_lt_u32_e32 vcc, 20, v0
	s_waitcnt vmcnt(60) lgkmcnt(6)
	v_mul_f64 v[54:55], v[30:31], v[6:7]
	v_fmac_f64_e32 v[54:55], v[32:33], v[2:3]
	v_add_f64 v[54:55], v[54:55], 0
	v_mul_f64 v[6:7], v[32:33], v[6:7]
	s_waitcnt vmcnt(56) lgkmcnt(5)
	v_mul_f64 v[56:57], v[34:35], v[8:9]
	v_fmac_f64_e32 v[56:57], v[36:37], v[4:5]
	s_waitcnt vmcnt(54) lgkmcnt(4)
	v_mul_f64 v[58:59], v[38:39], v[10:11]
	v_add_f64 v[54:55], v[54:55], v[56:57]
	v_fma_f64 v[2:3], v[30:31], v[2:3], -v[6:7]
	v_mul_f64 v[6:7], v[36:37], v[8:9]
	s_waitcnt vmcnt(50) lgkmcnt(3)
	v_mul_f64 v[60:61], v[42:43], v[16:17]
	s_waitcnt vmcnt(49) lgkmcnt(2)
	v_mul_f64 v[62:63], v[46:47], v[12:13]
	v_add_f64 v[2:3], v[2:3], 0
	s_waitcnt vmcnt(47)
	v_fmac_f64_e32 v[58:59], v[40:41], v[20:21]
	v_add_f64 v[54:55], v[54:55], v[58:59]
	s_waitcnt vmcnt(45)
	v_fmac_f64_e32 v[60:61], v[44:45], v[18:19]
	;; [unrolled: 3-line block ×3, first 2 shown]
	v_add_f64 v[58:59], v[54:55], v[62:63]
	ds_read_b128 v[54:57], v1 offset:1040
	s_waitcnt vmcnt(40) lgkmcnt(2)
	v_mul_f64 v[60:61], v[50:51], v[26:27]
	v_fma_f64 v[4:5], v[34:35], v[4:5], -v[6:7]
	s_waitcnt vmcnt(38)
	v_fmac_f64_e32 v[60:61], v[52:53], v[28:29]
	v_add_f64 v[62:63], v[58:59], v[60:61]
	ds_read_b128 v[58:61], v1 offset:1056
	s_waitcnt vmcnt(36) lgkmcnt(1)
	v_mul_f64 v[64:65], v[54:55], v[22:23]
	v_fmac_f64_e32 v[64:65], v[56:57], v[24:25]
	v_add_f64 v[2:3], v[2:3], v[4:5]
	v_mul_f64 v[4:5], v[40:41], v[10:11]
	v_add_f64 v[66:67], v[62:63], v[64:65]
	ds_read_b128 v[62:65], v1 offset:1072
	s_waitcnt vmcnt(32) lgkmcnt(1)
	v_mul_f64 v[68:69], v[58:59], v[94:95]
	v_fma_f64 v[4:5], v[38:39], v[20:21], -v[4:5]
	s_waitcnt vmcnt(30)
	v_fmac_f64_e32 v[68:69], v[60:61], v[96:97]
	v_add_f64 v[2:3], v[2:3], v[4:5]
	v_mul_f64 v[4:5], v[44:45], v[16:17]
	v_add_f64 v[70:71], v[66:67], v[68:69]
	ds_read_b128 v[66:69], v1 offset:1088
	v_fma_f64 v[4:5], v[42:43], v[18:19], -v[4:5]
	v_add_f64 v[2:3], v[2:3], v[4:5]
	v_mul_f64 v[4:5], v[48:49], v[12:13]
	v_fma_f64 v[4:5], v[46:47], v[14:15], -v[4:5]
	s_waitcnt vmcnt(28) lgkmcnt(1)
	v_mul_f64 v[72:73], v[62:63], v[90:91]
	v_add_f64 v[2:3], v[2:3], v[4:5]
	v_mul_f64 v[4:5], v[52:53], v[26:27]
	v_fmac_f64_e32 v[72:73], v[64:65], v[92:93]
	v_fma_f64 v[4:5], v[50:51], v[28:29], -v[4:5]
	v_add_f64 v[74:75], v[70:71], v[72:73]
	ds_read_b128 v[70:73], v1 offset:1104
	s_waitcnt vmcnt(24) lgkmcnt(1)
	v_mul_f64 v[76:77], v[66:67], v[102:103]
	v_add_f64 v[2:3], v[2:3], v[4:5]
	v_mul_f64 v[4:5], v[56:57], v[22:23]
	s_waitcnt vmcnt(22)
	v_fmac_f64_e32 v[76:77], v[68:69], v[104:105]
	v_fma_f64 v[4:5], v[54:55], v[24:25], -v[4:5]
	v_add_f64 v[78:79], v[74:75], v[76:77]
	ds_read_b128 v[74:77], v1 offset:1120
	v_add_f64 v[2:3], v[2:3], v[4:5]
	v_mul_f64 v[4:5], v[60:61], v[94:95]
	v_fma_f64 v[4:5], v[58:59], v[96:97], -v[4:5]
	v_add_f64 v[2:3], v[2:3], v[4:5]
	v_mul_f64 v[4:5], v[64:65], v[90:91]
	s_waitcnt vmcnt(20) lgkmcnt(1)
	v_mul_f64 v[80:81], v[70:71], v[98:99]
	v_fma_f64 v[4:5], v[62:63], v[92:93], -v[4:5]
	v_fmac_f64_e32 v[80:81], v[72:73], v[100:101]
	v_add_f64 v[2:3], v[2:3], v[4:5]
	v_mul_f64 v[4:5], v[68:69], v[102:103]
	v_add_f64 v[82:83], v[78:79], v[80:81]
	ds_read_b128 v[78:81], v1 offset:1136
	s_waitcnt vmcnt(16) lgkmcnt(1)
	v_mul_f64 v[84:85], v[74:75], v[110:111]
	v_fma_f64 v[4:5], v[66:67], v[104:105], -v[4:5]
	s_waitcnt vmcnt(14)
	v_fmac_f64_e32 v[84:85], v[76:77], v[112:113]
	v_add_f64 v[2:3], v[2:3], v[4:5]
	v_mul_f64 v[4:5], v[72:73], v[98:99]
	v_add_f64 v[128:129], v[82:83], v[84:85]
	ds_read_b128 v[82:85], v1 offset:1152
	v_fma_f64 v[4:5], v[70:71], v[100:101], -v[4:5]
	v_add_f64 v[2:3], v[2:3], v[4:5]
	v_mul_f64 v[4:5], v[76:77], v[110:111]
	v_fma_f64 v[4:5], v[74:75], v[112:113], -v[4:5]
	v_add_f64 v[2:3], v[2:3], v[4:5]
	s_waitcnt vmcnt(12) lgkmcnt(1)
	v_mul_f64 v[4:5], v[80:81], v[106:107]
	v_mul_f64 v[130:131], v[78:79], v[106:107]
	v_fma_f64 v[4:5], v[78:79], v[108:109], -v[4:5]
	v_fmac_f64_e32 v[130:131], v[80:81], v[108:109]
	v_add_f64 v[2:3], v[2:3], v[4:5]
	s_waitcnt vmcnt(8) lgkmcnt(0)
	v_mul_f64 v[4:5], v[84:85], v[120:121]
	v_add_f64 v[128:129], v[128:129], v[130:131]
	v_mul_f64 v[130:131], v[82:83], v[120:121]
	s_waitcnt vmcnt(6)
	v_fma_f64 v[4:5], v[82:83], v[122:123], -v[4:5]
	v_fmac_f64_e32 v[130:131], v[84:85], v[122:123]
	v_add_f64 v[2:3], v[2:3], v[4:5]
	s_waitcnt vmcnt(5)
	v_mul_f64 v[4:5], v[88:89], v[114:115]
	v_add_f64 v[128:129], v[128:129], v[130:131]
	v_mul_f64 v[130:131], v[86:87], v[114:115]
	s_waitcnt vmcnt(4)
	v_fma_f64 v[4:5], v[86:87], v[116:117], -v[4:5]
	v_fmac_f64_e32 v[130:131], v[88:89], v[116:117]
	v_add_f64 v[2:3], v[2:3], v[4:5]
	v_add_f64 v[128:129], v[128:129], v[130:131]
	s_waitcnt vmcnt(2)
	v_add_f64 v[2:3], v[124:125], -v[2:3]
	s_waitcnt vmcnt(0)
	v_add_f64 v[4:5], v[126:127], -v[128:129]
	buffer_store_dword v3, off, s[0:3], 0 offset:356
	buffer_store_dword v2, off, s[0:3], 0 offset:352
	;; [unrolled: 1-line block ×4, first 2 shown]
	s_and_saveexec_b64 s[4:5], vcc
	s_cbranch_execz .LBB36_195
; %bb.194:
	v_accvgpr_read_b32 v5, a88
	buffer_load_dword v2, v5, s[0:3], 0 offen
	buffer_load_dword v3, v5, s[0:3], 0 offen offset:4
	buffer_load_dword v4, v5, s[0:3], 0 offen offset:8
	s_nop 0
	buffer_load_dword v5, v5, s[0:3], 0 offen offset:12
	v_accvgpr_read_b32 v6, a108
	buffer_store_dword v1, off, s[0:3], 0 offset:336
	buffer_store_dword v1, off, s[0:3], 0 offset:340
	;; [unrolled: 1-line block ×4, first 2 shown]
	s_waitcnt vmcnt(4)
	ds_write_b128 v6, v[2:5]
.LBB36_195:
	s_or_b64 exec, exec, s[4:5]
	s_waitcnt lgkmcnt(0)
	; wave barrier
	s_waitcnt lgkmcnt(0)
	buffer_load_dword v2, off, s[0:3], 0 offset:352
	buffer_load_dword v3, off, s[0:3], 0 offset:356
	;; [unrolled: 1-line block ×64, first 2 shown]
	ds_read_b128 v[38:41], v1 offset:928
	ds_read_b128 v[42:45], v1 offset:944
	;; [unrolled: 1-line block ×4, first 2 shown]
	buffer_load_dword v132, off, s[0:3], 0 offset:336
	buffer_load_dword v133, off, s[0:3], 0 offset:340
	;; [unrolled: 1-line block ×4, first 2 shown]
	v_cmp_lt_u32_e32 vcc, 19, v0
	ds_read_b128 v[98:101], v1 offset:1168
	s_waitcnt vmcnt(62) lgkmcnt(4)
	v_mul_f64 v[54:55], v[38:39], v[4:5]
	v_fmac_f64_e32 v[54:55], v[40:41], v[2:3]
	s_waitcnt lgkmcnt(3)
	v_mul_f64 v[56:57], v[42:43], v[6:7]
	v_add_f64 v[54:55], v[54:55], 0
	s_waitcnt vmcnt(60) lgkmcnt(2)
	v_mul_f64 v[58:59], v[46:47], v[8:9]
	v_mul_f64 v[4:5], v[40:41], v[4:5]
	v_fma_f64 v[2:3], v[38:39], v[2:3], -v[4:5]
	v_mul_f64 v[4:5], v[44:45], v[6:7]
	s_waitcnt vmcnt(56) lgkmcnt(1)
	v_mul_f64 v[60:61], v[50:51], v[14:15]
	v_add_f64 v[2:3], v[2:3], 0
	s_waitcnt vmcnt(54)
	v_fmac_f64_e32 v[56:57], v[44:45], v[20:21]
	v_add_f64 v[62:63], v[54:55], v[56:57]
	ds_read_b128 v[54:57], v1 offset:992
	s_waitcnt vmcnt(52)
	v_fmac_f64_e32 v[58:59], v[48:49], v[18:19]
	v_add_f64 v[58:59], v[62:63], v[58:59]
	s_waitcnt vmcnt(50)
	v_fmac_f64_e32 v[60:61], v[52:53], v[16:17]
	v_add_f64 v[62:63], v[58:59], v[60:61]
	ds_read_b128 v[58:61], v1 offset:1008
	s_waitcnt vmcnt(48) lgkmcnt(1)
	v_mul_f64 v[64:65], v[54:55], v[10:11]
	v_fmac_f64_e32 v[64:65], v[56:57], v[12:13]
	v_add_f64 v[66:67], v[62:63], v[64:65]
	ds_read_b128 v[62:65], v1 offset:1024
	s_waitcnt vmcnt(44) lgkmcnt(1)
	v_mul_f64 v[68:69], v[58:59], v[26:27]
	s_waitcnt vmcnt(42)
	v_fmac_f64_e32 v[68:69], v[60:61], v[28:29]
	v_add_f64 v[70:71], v[66:67], v[68:69]
	ds_read_b128 v[66:69], v1 offset:1040
	s_waitcnt vmcnt(40) lgkmcnt(1)
	v_mul_f64 v[72:73], v[62:63], v[22:23]
	v_fmac_f64_e32 v[72:73], v[64:65], v[24:25]
	v_add_f64 v[74:75], v[70:71], v[72:73]
	ds_read_b128 v[70:73], v1 offset:1056
	v_fma_f64 v[4:5], v[42:43], v[20:21], -v[4:5]
	v_add_f64 v[2:3], v[2:3], v[4:5]
	v_mul_f64 v[4:5], v[48:49], v[8:9]
	s_waitcnt vmcnt(36) lgkmcnt(1)
	v_mul_f64 v[76:77], v[66:67], v[34:35]
	v_fma_f64 v[4:5], v[46:47], v[18:19], -v[4:5]
	s_waitcnt vmcnt(34)
	v_fmac_f64_e32 v[76:77], v[68:69], v[36:37]
	v_add_f64 v[2:3], v[2:3], v[4:5]
	v_mul_f64 v[4:5], v[52:53], v[14:15]
	v_add_f64 v[78:79], v[74:75], v[76:77]
	ds_read_b128 v[74:77], v1 offset:1072
	s_waitcnt vmcnt(32) lgkmcnt(1)
	v_mul_f64 v[80:81], v[70:71], v[30:31]
	v_fma_f64 v[4:5], v[50:51], v[16:17], -v[4:5]
	v_fmac_f64_e32 v[80:81], v[72:73], v[32:33]
	v_add_f64 v[2:3], v[2:3], v[4:5]
	v_mul_f64 v[4:5], v[56:57], v[10:11]
	v_add_f64 v[82:83], v[78:79], v[80:81]
	ds_read_b128 v[78:81], v1 offset:1088
	v_fma_f64 v[4:5], v[54:55], v[12:13], -v[4:5]
	v_add_f64 v[2:3], v[2:3], v[4:5]
	v_mul_f64 v[4:5], v[60:61], v[26:27]
	v_fma_f64 v[4:5], v[58:59], v[28:29], -v[4:5]
	s_waitcnt vmcnt(28) lgkmcnt(1)
	v_mul_f64 v[84:85], v[74:75], v[106:107]
	v_add_f64 v[2:3], v[2:3], v[4:5]
	v_mul_f64 v[4:5], v[64:65], v[22:23]
	s_waitcnt vmcnt(26)
	v_fmac_f64_e32 v[84:85], v[76:77], v[108:109]
	v_fma_f64 v[4:5], v[62:63], v[24:25], -v[4:5]
	v_add_f64 v[86:87], v[82:83], v[84:85]
	ds_read_b128 v[82:85], v1 offset:1104
	s_waitcnt vmcnt(24) lgkmcnt(1)
	v_mul_f64 v[88:89], v[78:79], v[102:103]
	v_add_f64 v[2:3], v[2:3], v[4:5]
	v_mul_f64 v[4:5], v[68:69], v[34:35]
	v_fmac_f64_e32 v[88:89], v[80:81], v[104:105]
	v_fma_f64 v[4:5], v[66:67], v[36:37], -v[4:5]
	v_add_f64 v[90:91], v[86:87], v[88:89]
	ds_read_b128 v[86:89], v1 offset:1120
	v_add_f64 v[2:3], v[2:3], v[4:5]
	v_mul_f64 v[4:5], v[72:73], v[30:31]
	v_fma_f64 v[4:5], v[70:71], v[32:33], -v[4:5]
	v_add_f64 v[2:3], v[2:3], v[4:5]
	v_mul_f64 v[4:5], v[76:77], v[106:107]
	s_waitcnt vmcnt(20) lgkmcnt(1)
	v_mul_f64 v[92:93], v[82:83], v[114:115]
	v_fma_f64 v[4:5], v[74:75], v[108:109], -v[4:5]
	s_waitcnt vmcnt(18)
	v_fmac_f64_e32 v[92:93], v[84:85], v[116:117]
	v_add_f64 v[2:3], v[2:3], v[4:5]
	v_mul_f64 v[4:5], v[80:81], v[102:103]
	v_add_f64 v[94:95], v[90:91], v[92:93]
	ds_read_b128 v[90:93], v1 offset:1136
	s_waitcnt vmcnt(16) lgkmcnt(1)
	v_mul_f64 v[96:97], v[86:87], v[110:111]
	v_fma_f64 v[4:5], v[78:79], v[104:105], -v[4:5]
	v_fmac_f64_e32 v[96:97], v[88:89], v[112:113]
	v_add_f64 v[2:3], v[2:3], v[4:5]
	v_mul_f64 v[4:5], v[84:85], v[114:115]
	v_add_f64 v[136:137], v[94:95], v[96:97]
	ds_read_b128 v[94:97], v1 offset:1152
	v_fma_f64 v[4:5], v[82:83], v[116:117], -v[4:5]
	v_add_f64 v[2:3], v[2:3], v[4:5]
	v_mul_f64 v[4:5], v[88:89], v[110:111]
	v_fma_f64 v[4:5], v[86:87], v[112:113], -v[4:5]
	v_add_f64 v[2:3], v[2:3], v[4:5]
	s_waitcnt vmcnt(12) lgkmcnt(1)
	v_mul_f64 v[4:5], v[92:93], v[124:125]
	v_mul_f64 v[138:139], v[90:91], v[124:125]
	s_waitcnt vmcnt(10)
	v_fma_f64 v[4:5], v[90:91], v[126:127], -v[4:5]
	v_fmac_f64_e32 v[138:139], v[92:93], v[126:127]
	v_add_f64 v[2:3], v[2:3], v[4:5]
	s_waitcnt vmcnt(8) lgkmcnt(0)
	v_mul_f64 v[4:5], v[96:97], v[120:121]
	v_add_f64 v[136:137], v[136:137], v[138:139]
	v_mul_f64 v[138:139], v[94:95], v[120:121]
	v_fma_f64 v[4:5], v[94:95], v[122:123], -v[4:5]
	v_fmac_f64_e32 v[138:139], v[96:97], v[122:123]
	v_add_f64 v[2:3], v[2:3], v[4:5]
	s_waitcnt vmcnt(6)
	v_mul_f64 v[4:5], v[100:101], v[128:129]
	v_add_f64 v[136:137], v[136:137], v[138:139]
	v_mul_f64 v[138:139], v[98:99], v[128:129]
	s_waitcnt vmcnt(4)
	v_fma_f64 v[4:5], v[98:99], v[130:131], -v[4:5]
	v_fmac_f64_e32 v[138:139], v[100:101], v[130:131]
	v_add_f64 v[2:3], v[2:3], v[4:5]
	v_add_f64 v[136:137], v[136:137], v[138:139]
	s_waitcnt vmcnt(2)
	v_add_f64 v[2:3], v[132:133], -v[2:3]
	s_waitcnt vmcnt(0)
	v_add_f64 v[4:5], v[134:135], -v[136:137]
	buffer_store_dword v3, off, s[0:3], 0 offset:340
	buffer_store_dword v2, off, s[0:3], 0 offset:336
	;; [unrolled: 1-line block ×4, first 2 shown]
	s_and_saveexec_b64 s[4:5], vcc
	s_cbranch_execz .LBB36_197
; %bb.196:
	v_accvgpr_read_b32 v1, a89
	buffer_load_dword v2, v1, s[0:3], 0 offen
	buffer_load_dword v3, v1, s[0:3], 0 offen offset:4
	buffer_load_dword v4, v1, s[0:3], 0 offen offset:8
	;; [unrolled: 1-line block ×3, first 2 shown]
	v_mov_b32_e32 v1, 0
	v_accvgpr_read_b32 v6, a108
	buffer_store_dword v1, off, s[0:3], 0 offset:320
	buffer_store_dword v1, off, s[0:3], 0 offset:324
	;; [unrolled: 1-line block ×4, first 2 shown]
	s_waitcnt vmcnt(4)
	ds_write_b128 v6, v[2:5]
.LBB36_197:
	s_or_b64 exec, exec, s[4:5]
	s_waitcnt lgkmcnt(0)
	; wave barrier
	s_waitcnt lgkmcnt(0)
	buffer_load_dword v2, off, s[0:3], 0 offset:336
	buffer_load_dword v3, off, s[0:3], 0 offset:340
	;; [unrolled: 1-line block ×68, first 2 shown]
	v_mov_b32_e32 v1, 0
	buffer_load_dword v140, off, s[0:3], 0 offset:320
	buffer_load_dword v141, off, s[0:3], 0 offset:324
	;; [unrolled: 1-line block ×3, first 2 shown]
	ds_read_b128 v[46:49], v1 offset:912
	ds_read_b128 v[50:53], v1 offset:928
	buffer_load_dword v143, off, s[0:3], 0 offset:332
	ds_read_b128 v[54:57], v1 offset:944
	ds_read_b128 v[58:61], v1 offset:960
	;; [unrolled: 1-line block ×3, first 2 shown]
	v_cmp_lt_u32_e32 vcc, 18, v0
	s_waitcnt vmcnt(62) lgkmcnt(4)
	v_mul_f64 v[62:63], v[46:47], v[6:7]
	v_fmac_f64_e32 v[62:63], v[48:49], v[2:3]
	v_add_f64 v[62:63], v[62:63], 0
	v_mul_f64 v[6:7], v[48:49], v[6:7]
	s_waitcnt lgkmcnt(3)
	v_mul_f64 v[64:65], v[50:51], v[10:11]
	v_fmac_f64_e32 v[64:65], v[52:53], v[4:5]
	v_add_f64 v[62:63], v[62:63], v[64:65]
	v_fma_f64 v[2:3], v[46:47], v[2:3], -v[6:7]
	s_waitcnt vmcnt(60) lgkmcnt(2)
	v_mul_f64 v[64:65], v[54:55], v[12:13]
	v_fmac_f64_e32 v[64:65], v[56:57], v[8:9]
	v_add_f64 v[66:67], v[62:63], v[64:65]
	ds_read_b128 v[62:65], v1 offset:976
	s_waitcnt vmcnt(56) lgkmcnt(2)
	v_mul_f64 v[68:69], v[58:59], v[18:19]
	v_mul_f64 v[6:7], v[52:53], v[10:11]
	s_waitcnt vmcnt(54)
	v_fmac_f64_e32 v[68:69], v[60:61], v[20:21]
	v_add_f64 v[70:71], v[66:67], v[68:69]
	ds_read_b128 v[66:69], v1 offset:992
	s_waitcnt vmcnt(53) lgkmcnt(1)
	v_mul_f64 v[72:73], v[62:63], v[14:15]
	s_waitcnt vmcnt(52)
	v_fmac_f64_e32 v[72:73], v[64:65], v[16:17]
	v_add_f64 v[74:75], v[70:71], v[72:73]
	ds_read_b128 v[70:73], v1 offset:1008
	s_waitcnt vmcnt(48) lgkmcnt(1)
	v_mul_f64 v[76:77], v[66:67], v[26:27]
	s_waitcnt vmcnt(46)
	v_fmac_f64_e32 v[76:77], v[68:69], v[28:29]
	v_add_f64 v[78:79], v[74:75], v[76:77]
	ds_read_b128 v[74:77], v1 offset:1024
	s_waitcnt vmcnt(45) lgkmcnt(1)
	v_mul_f64 v[80:81], v[70:71], v[22:23]
	s_waitcnt vmcnt(44)
	v_fmac_f64_e32 v[80:81], v[72:73], v[24:25]
	v_add_f64 v[82:83], v[78:79], v[80:81]
	ds_read_b128 v[78:81], v1 offset:1040
	s_waitcnt vmcnt(40) lgkmcnt(1)
	v_mul_f64 v[84:85], v[74:75], v[34:35]
	s_waitcnt vmcnt(38)
	v_fmac_f64_e32 v[84:85], v[76:77], v[36:37]
	v_add_f64 v[2:3], v[2:3], 0
	v_fma_f64 v[4:5], v[50:51], v[4:5], -v[6:7]
	v_add_f64 v[86:87], v[82:83], v[84:85]
	ds_read_b128 v[82:85], v1 offset:1056
	v_add_f64 v[2:3], v[2:3], v[4:5]
	v_mul_f64 v[4:5], v[56:57], v[12:13]
	v_fma_f64 v[4:5], v[54:55], v[8:9], -v[4:5]
	v_add_f64 v[2:3], v[2:3], v[4:5]
	v_mul_f64 v[4:5], v[60:61], v[18:19]
	s_waitcnt vmcnt(37) lgkmcnt(1)
	v_mul_f64 v[88:89], v[78:79], v[30:31]
	v_fma_f64 v[4:5], v[58:59], v[20:21], -v[4:5]
	s_waitcnt vmcnt(36)
	v_fmac_f64_e32 v[88:89], v[80:81], v[32:33]
	v_add_f64 v[2:3], v[2:3], v[4:5]
	v_mul_f64 v[4:5], v[64:65], v[14:15]
	v_add_f64 v[90:91], v[86:87], v[88:89]
	ds_read_b128 v[86:89], v1 offset:1072
	s_waitcnt vmcnt(32) lgkmcnt(1)
	v_mul_f64 v[92:93], v[82:83], v[42:43]
	v_fma_f64 v[4:5], v[62:63], v[16:17], -v[4:5]
	s_waitcnt vmcnt(30)
	v_fmac_f64_e32 v[92:93], v[84:85], v[44:45]
	v_add_f64 v[2:3], v[2:3], v[4:5]
	v_mul_f64 v[4:5], v[68:69], v[26:27]
	v_add_f64 v[94:95], v[90:91], v[92:93]
	ds_read_b128 v[90:93], v1 offset:1088
	v_fma_f64 v[4:5], v[66:67], v[28:29], -v[4:5]
	v_add_f64 v[2:3], v[2:3], v[4:5]
	v_mul_f64 v[4:5], v[72:73], v[22:23]
	v_fma_f64 v[4:5], v[70:71], v[24:25], -v[4:5]
	s_waitcnt vmcnt(29) lgkmcnt(1)
	v_mul_f64 v[96:97], v[86:87], v[38:39]
	v_add_f64 v[2:3], v[2:3], v[4:5]
	v_mul_f64 v[4:5], v[76:77], v[34:35]
	s_waitcnt vmcnt(28)
	v_fmac_f64_e32 v[96:97], v[88:89], v[40:41]
	v_fma_f64 v[4:5], v[74:75], v[36:37], -v[4:5]
	v_add_f64 v[98:99], v[94:95], v[96:97]
	ds_read_b128 v[94:97], v1 offset:1104
	s_waitcnt vmcnt(24) lgkmcnt(1)
	v_mul_f64 v[100:101], v[90:91], v[120:121]
	v_add_f64 v[2:3], v[2:3], v[4:5]
	v_mul_f64 v[4:5], v[80:81], v[30:31]
	s_waitcnt vmcnt(22)
	v_fmac_f64_e32 v[100:101], v[92:93], v[122:123]
	v_fma_f64 v[4:5], v[78:79], v[32:33], -v[4:5]
	v_add_f64 v[102:103], v[98:99], v[100:101]
	ds_read_b128 v[98:101], v1 offset:1120
	v_add_f64 v[2:3], v[2:3], v[4:5]
	v_mul_f64 v[4:5], v[84:85], v[42:43]
	v_fma_f64 v[4:5], v[82:83], v[44:45], -v[4:5]
	v_add_f64 v[2:3], v[2:3], v[4:5]
	v_mul_f64 v[4:5], v[88:89], v[38:39]
	s_waitcnt vmcnt(21) lgkmcnt(1)
	v_mul_f64 v[104:105], v[94:95], v[114:115]
	v_fma_f64 v[4:5], v[86:87], v[40:41], -v[4:5]
	s_waitcnt vmcnt(20)
	v_fmac_f64_e32 v[104:105], v[96:97], v[116:117]
	v_add_f64 v[2:3], v[2:3], v[4:5]
	v_mul_f64 v[4:5], v[92:93], v[120:121]
	v_add_f64 v[106:107], v[102:103], v[104:105]
	ds_read_b128 v[102:105], v1 offset:1136
	s_waitcnt vmcnt(16) lgkmcnt(1)
	v_mul_f64 v[108:109], v[98:99], v[128:129]
	v_fma_f64 v[4:5], v[90:91], v[122:123], -v[4:5]
	s_waitcnt vmcnt(14)
	v_fmac_f64_e32 v[108:109], v[100:101], v[130:131]
	v_add_f64 v[2:3], v[2:3], v[4:5]
	v_mul_f64 v[4:5], v[96:97], v[114:115]
	v_add_f64 v[144:145], v[106:107], v[108:109]
	ds_read_b128 v[106:109], v1 offset:1152
	v_fma_f64 v[4:5], v[94:95], v[116:117], -v[4:5]
	v_add_f64 v[2:3], v[2:3], v[4:5]
	v_mul_f64 v[4:5], v[100:101], v[128:129]
	v_fma_f64 v[4:5], v[98:99], v[130:131], -v[4:5]
	v_add_f64 v[2:3], v[2:3], v[4:5]
	s_waitcnt vmcnt(13) lgkmcnt(1)
	v_mul_f64 v[4:5], v[104:105], v[124:125]
	v_mul_f64 v[146:147], v[102:103], v[124:125]
	s_waitcnt vmcnt(12)
	v_fma_f64 v[4:5], v[102:103], v[126:127], -v[4:5]
	v_fmac_f64_e32 v[146:147], v[104:105], v[126:127]
	v_add_f64 v[2:3], v[2:3], v[4:5]
	s_waitcnt vmcnt(8) lgkmcnt(0)
	v_mul_f64 v[4:5], v[108:109], v[136:137]
	v_add_f64 v[144:145], v[144:145], v[146:147]
	v_mul_f64 v[146:147], v[106:107], v[136:137]
	s_waitcnt vmcnt(6)
	v_fma_f64 v[4:5], v[106:107], v[138:139], -v[4:5]
	v_fmac_f64_e32 v[146:147], v[108:109], v[138:139]
	v_add_f64 v[2:3], v[2:3], v[4:5]
	s_waitcnt vmcnt(5)
	v_mul_f64 v[4:5], v[112:113], v[132:133]
	v_add_f64 v[144:145], v[144:145], v[146:147]
	v_mul_f64 v[146:147], v[110:111], v[132:133]
	s_waitcnt vmcnt(4)
	v_fma_f64 v[4:5], v[110:111], v[134:135], -v[4:5]
	v_fmac_f64_e32 v[146:147], v[112:113], v[134:135]
	v_add_f64 v[2:3], v[2:3], v[4:5]
	v_add_f64 v[144:145], v[144:145], v[146:147]
	s_waitcnt vmcnt(2)
	v_add_f64 v[2:3], v[140:141], -v[2:3]
	s_waitcnt vmcnt(0)
	v_add_f64 v[4:5], v[142:143], -v[144:145]
	buffer_store_dword v3, off, s[0:3], 0 offset:324
	buffer_store_dword v2, off, s[0:3], 0 offset:320
	;; [unrolled: 1-line block ×4, first 2 shown]
	s_and_saveexec_b64 s[4:5], vcc
	s_cbranch_execz .LBB36_199
; %bb.198:
	v_accvgpr_read_b32 v5, a90
	buffer_load_dword v2, v5, s[0:3], 0 offen
	buffer_load_dword v3, v5, s[0:3], 0 offen offset:4
	buffer_load_dword v4, v5, s[0:3], 0 offen offset:8
	s_nop 0
	buffer_load_dword v5, v5, s[0:3], 0 offen offset:12
	v_accvgpr_read_b32 v6, a108
	buffer_store_dword v1, off, s[0:3], 0 offset:304
	buffer_store_dword v1, off, s[0:3], 0 offset:308
	buffer_store_dword v1, off, s[0:3], 0 offset:312
	buffer_store_dword v1, off, s[0:3], 0 offset:316
	s_waitcnt vmcnt(4)
	ds_write_b128 v6, v[2:5]
.LBB36_199:
	s_or_b64 exec, exec, s[4:5]
	s_waitcnt lgkmcnt(0)
	; wave barrier
	s_waitcnt lgkmcnt(0)
	buffer_load_dword v2, off, s[0:3], 0 offset:320
	buffer_load_dword v3, off, s[0:3], 0 offset:324
	;; [unrolled: 1-line block ×72, first 2 shown]
	ds_read_b128 v[52:55], v1 offset:896
	buffer_load_dword v148, off, s[0:3], 0 offset:304
	buffer_load_dword v149, off, s[0:3], 0 offset:308
	buffer_load_dword v150, off, s[0:3], 0 offset:312
	buffer_load_dword v151, off, s[0:3], 0 offset:316
	ds_read_b128 v[56:59], v1 offset:912
	ds_read_b128 v[60:63], v1 offset:928
	;; [unrolled: 1-line block ×3, first 2 shown]
	v_cmp_lt_u32_e32 vcc, 17, v0
	ds_read_b128 v[124:127], v1 offset:1168
	s_waitcnt vmcnt(62) lgkmcnt(4)
	v_mul_f64 v[68:69], v[52:53], v[8:9]
	v_fmac_f64_e32 v[68:69], v[54:55], v[2:3]
	v_add_f64 v[68:69], v[68:69], 0
	v_mul_f64 v[8:9], v[54:55], v[8:9]
	s_waitcnt lgkmcnt(3)
	v_mul_f64 v[70:71], v[56:57], v[10:11]
	v_fmac_f64_e32 v[70:71], v[58:59], v[4:5]
	v_add_f64 v[68:69], v[68:69], v[70:71]
	v_fma_f64 v[2:3], v[52:53], v[2:3], -v[8:9]
	s_waitcnt lgkmcnt(2)
	v_mul_f64 v[70:71], v[60:61], v[12:13]
	v_fmac_f64_e32 v[70:71], v[62:63], v[6:7]
	v_add_f64 v[72:73], v[68:69], v[70:71]
	ds_read_b128 v[68:71], v1 offset:960
	s_waitcnt vmcnt(60) lgkmcnt(2)
	v_mul_f64 v[74:75], v[64:65], v[18:19]
	v_mul_f64 v[8:9], v[58:59], v[10:11]
	s_waitcnt vmcnt(58)
	v_fmac_f64_e32 v[74:75], v[66:67], v[20:21]
	v_add_f64 v[76:77], v[72:73], v[74:75]
	ds_read_b128 v[72:75], v1 offset:976
	s_waitcnt vmcnt(57) lgkmcnt(1)
	v_mul_f64 v[78:79], v[68:69], v[14:15]
	s_waitcnt vmcnt(56)
	v_fmac_f64_e32 v[78:79], v[70:71], v[16:17]
	v_add_f64 v[80:81], v[76:77], v[78:79]
	ds_read_b128 v[76:79], v1 offset:992
	s_waitcnt vmcnt(52) lgkmcnt(1)
	;; [unrolled: 6-line block ×4, first 2 shown]
	v_mul_f64 v[90:91], v[80:81], v[34:35]
	s_waitcnt vmcnt(42)
	v_fmac_f64_e32 v[90:91], v[82:83], v[36:37]
	v_add_f64 v[2:3], v[2:3], 0
	v_fma_f64 v[4:5], v[56:57], v[4:5], -v[8:9]
	v_add_f64 v[92:93], v[88:89], v[90:91]
	ds_read_b128 v[88:91], v1 offset:1040
	s_waitcnt vmcnt(41) lgkmcnt(1)
	v_mul_f64 v[94:95], v[84:85], v[30:31]
	v_add_f64 v[2:3], v[2:3], v[4:5]
	v_mul_f64 v[4:5], v[62:63], v[12:13]
	s_waitcnt vmcnt(40)
	v_fmac_f64_e32 v[94:95], v[86:87], v[32:33]
	v_fma_f64 v[4:5], v[60:61], v[6:7], -v[4:5]
	v_add_f64 v[96:97], v[92:93], v[94:95]
	ds_read_b128 v[92:95], v1 offset:1056
	v_add_f64 v[2:3], v[2:3], v[4:5]
	v_mul_f64 v[4:5], v[66:67], v[18:19]
	v_fma_f64 v[4:5], v[64:65], v[20:21], -v[4:5]
	v_add_f64 v[2:3], v[2:3], v[4:5]
	v_mul_f64 v[4:5], v[70:71], v[14:15]
	s_waitcnt vmcnt(36) lgkmcnt(1)
	v_mul_f64 v[98:99], v[88:89], v[42:43]
	v_fma_f64 v[4:5], v[68:69], v[16:17], -v[4:5]
	s_waitcnt vmcnt(34)
	v_fmac_f64_e32 v[98:99], v[90:91], v[44:45]
	v_add_f64 v[2:3], v[2:3], v[4:5]
	v_mul_f64 v[4:5], v[74:75], v[26:27]
	v_add_f64 v[100:101], v[96:97], v[98:99]
	ds_read_b128 v[96:99], v1 offset:1072
	s_waitcnt vmcnt(33) lgkmcnt(1)
	v_mul_f64 v[102:103], v[92:93], v[38:39]
	v_fma_f64 v[4:5], v[72:73], v[28:29], -v[4:5]
	s_waitcnt vmcnt(32)
	v_fmac_f64_e32 v[102:103], v[94:95], v[40:41]
	v_add_f64 v[2:3], v[2:3], v[4:5]
	v_mul_f64 v[4:5], v[78:79], v[22:23]
	v_add_f64 v[104:105], v[100:101], v[102:103]
	ds_read_b128 v[100:103], v1 offset:1088
	v_fma_f64 v[4:5], v[76:77], v[24:25], -v[4:5]
	v_add_f64 v[2:3], v[2:3], v[4:5]
	v_mul_f64 v[4:5], v[82:83], v[34:35]
	v_fma_f64 v[4:5], v[80:81], v[36:37], -v[4:5]
	s_waitcnt vmcnt(28) lgkmcnt(1)
	v_mul_f64 v[106:107], v[96:97], v[50:51]
	v_add_f64 v[2:3], v[2:3], v[4:5]
	v_mul_f64 v[4:5], v[86:87], v[30:31]
	s_waitcnt vmcnt(26)
	v_fmac_f64_e32 v[106:107], v[98:99], v[116:117]
	v_fma_f64 v[4:5], v[84:85], v[32:33], -v[4:5]
	v_add_f64 v[108:109], v[104:105], v[106:107]
	ds_read_b128 v[104:107], v1 offset:1104
	s_waitcnt vmcnt(25) lgkmcnt(1)
	v_mul_f64 v[110:111], v[100:101], v[46:47]
	v_add_f64 v[2:3], v[2:3], v[4:5]
	v_mul_f64 v[4:5], v[90:91], v[42:43]
	s_waitcnt vmcnt(24)
	v_fmac_f64_e32 v[110:111], v[102:103], v[48:49]
	v_fma_f64 v[4:5], v[88:89], v[44:45], -v[4:5]
	v_add_f64 v[112:113], v[108:109], v[110:111]
	ds_read_b128 v[108:111], v1 offset:1120
	v_add_f64 v[2:3], v[2:3], v[4:5]
	v_mul_f64 v[4:5], v[94:95], v[38:39]
	v_fma_f64 v[4:5], v[92:93], v[40:41], -v[4:5]
	v_add_f64 v[2:3], v[2:3], v[4:5]
	v_mul_f64 v[4:5], v[98:99], v[50:51]
	s_waitcnt vmcnt(20) lgkmcnt(1)
	v_mul_f64 v[114:115], v[104:105], v[132:133]
	v_fma_f64 v[4:5], v[96:97], v[116:117], -v[4:5]
	s_waitcnt vmcnt(18)
	v_fmac_f64_e32 v[114:115], v[106:107], v[134:135]
	v_add_f64 v[2:3], v[2:3], v[4:5]
	v_mul_f64 v[4:5], v[102:103], v[46:47]
	v_add_f64 v[120:121], v[112:113], v[114:115]
	ds_read_b128 v[112:115], v1 offset:1136
	s_waitcnt vmcnt(17) lgkmcnt(1)
	v_mul_f64 v[122:123], v[108:109], v[128:129]
	v_fma_f64 v[4:5], v[100:101], v[48:49], -v[4:5]
	s_waitcnt vmcnt(16)
	v_fmac_f64_e32 v[122:123], v[110:111], v[130:131]
	v_add_f64 v[2:3], v[2:3], v[4:5]
	v_mul_f64 v[4:5], v[106:107], v[132:133]
	v_add_f64 v[152:153], v[120:121], v[122:123]
	ds_read_b128 v[120:123], v1 offset:1152
	v_fma_f64 v[4:5], v[104:105], v[134:135], -v[4:5]
	v_add_f64 v[2:3], v[2:3], v[4:5]
	v_mul_f64 v[4:5], v[110:111], v[128:129]
	v_fma_f64 v[4:5], v[108:109], v[130:131], -v[4:5]
	v_add_f64 v[2:3], v[2:3], v[4:5]
	s_waitcnt vmcnt(12) lgkmcnt(1)
	v_mul_f64 v[4:5], v[114:115], v[140:141]
	v_mul_f64 v[154:155], v[112:113], v[140:141]
	s_waitcnt vmcnt(10)
	v_fma_f64 v[4:5], v[112:113], v[142:143], -v[4:5]
	v_fmac_f64_e32 v[154:155], v[114:115], v[142:143]
	v_add_f64 v[2:3], v[2:3], v[4:5]
	s_waitcnt vmcnt(9) lgkmcnt(0)
	v_mul_f64 v[4:5], v[122:123], v[136:137]
	v_add_f64 v[152:153], v[152:153], v[154:155]
	v_mul_f64 v[154:155], v[120:121], v[136:137]
	s_waitcnt vmcnt(8)
	v_fma_f64 v[4:5], v[120:121], v[138:139], -v[4:5]
	v_fmac_f64_e32 v[154:155], v[122:123], v[138:139]
	v_add_f64 v[2:3], v[2:3], v[4:5]
	s_waitcnt vmcnt(6)
	v_mul_f64 v[4:5], v[126:127], v[144:145]
	v_add_f64 v[152:153], v[152:153], v[154:155]
	v_mul_f64 v[154:155], v[124:125], v[144:145]
	s_waitcnt vmcnt(4)
	v_fma_f64 v[4:5], v[124:125], v[146:147], -v[4:5]
	v_fmac_f64_e32 v[154:155], v[126:127], v[146:147]
	v_add_f64 v[2:3], v[2:3], v[4:5]
	v_add_f64 v[152:153], v[152:153], v[154:155]
	s_waitcnt vmcnt(2)
	v_add_f64 v[2:3], v[148:149], -v[2:3]
	s_waitcnt vmcnt(0)
	v_add_f64 v[4:5], v[150:151], -v[152:153]
	buffer_store_dword v3, off, s[0:3], 0 offset:308
	buffer_store_dword v2, off, s[0:3], 0 offset:304
	;; [unrolled: 1-line block ×4, first 2 shown]
	s_and_saveexec_b64 s[4:5], vcc
	s_cbranch_execz .LBB36_201
; %bb.200:
	v_accvgpr_read_b32 v1, a91
	buffer_load_dword v2, v1, s[0:3], 0 offen
	buffer_load_dword v3, v1, s[0:3], 0 offen offset:4
	buffer_load_dword v4, v1, s[0:3], 0 offen offset:8
	;; [unrolled: 1-line block ×3, first 2 shown]
	v_mov_b32_e32 v1, 0
	v_accvgpr_read_b32 v6, a108
	buffer_store_dword v1, off, s[0:3], 0 offset:288
	buffer_store_dword v1, off, s[0:3], 0 offset:292
	;; [unrolled: 1-line block ×4, first 2 shown]
	s_waitcnt vmcnt(4)
	ds_write_b128 v6, v[2:5]
.LBB36_201:
	s_or_b64 exec, exec, s[4:5]
	s_waitcnt lgkmcnt(0)
	; wave barrier
	s_waitcnt lgkmcnt(0)
	buffer_load_dword v2, off, s[0:3], 0 offset:304
	buffer_load_dword v3, off, s[0:3], 0 offset:308
	;; [unrolled: 1-line block ×76, first 2 shown]
	v_mov_b32_e32 v1, 0
	ds_read_b128 v[54:57], v1 offset:880
	buffer_load_dword v156, off, s[0:3], 0 offset:288
	buffer_load_dword v157, off, s[0:3], 0 offset:292
	;; [unrolled: 1-line block ×4, first 2 shown]
	ds_read_b128 v[58:61], v1 offset:896
	ds_read_b128 v[62:65], v1 offset:912
	;; [unrolled: 1-line block ×4, first 2 shown]
	v_cmp_lt_u32_e32 vcc, 16, v0
	s_waitcnt vmcnt(62) lgkmcnt(4)
	v_mul_f64 v[70:71], v[54:55], v[8:9]
	v_fmac_f64_e32 v[70:71], v[56:57], v[2:3]
	v_add_f64 v[70:71], v[70:71], 0
	v_mul_f64 v[8:9], v[56:57], v[8:9]
	s_waitcnt lgkmcnt(3)
	v_mul_f64 v[72:73], v[58:59], v[10:11]
	v_fmac_f64_e32 v[72:73], v[60:61], v[4:5]
	v_add_f64 v[70:71], v[70:71], v[72:73]
	v_fma_f64 v[2:3], v[54:55], v[2:3], -v[8:9]
	s_waitcnt lgkmcnt(2)
	v_mul_f64 v[72:73], v[62:63], v[12:13]
	v_fmac_f64_e32 v[72:73], v[64:65], v[6:7]
	v_add_f64 v[74:75], v[70:71], v[72:73]
	ds_read_b128 v[70:73], v1 offset:944
	s_waitcnt lgkmcnt(2)
	v_mul_f64 v[76:77], v[66:67], v[18:19]
	v_mul_f64 v[8:9], v[60:61], v[10:11]
	v_fmac_f64_e32 v[76:77], v[68:69], v[20:21]
	v_add_f64 v[78:79], v[74:75], v[76:77]
	ds_read_b128 v[74:77], v1 offset:960
	s_waitcnt vmcnt(61) lgkmcnt(1)
	v_mul_f64 v[80:81], v[70:71], v[14:15]
	s_waitcnt vmcnt(60)
	v_fmac_f64_e32 v[80:81], v[72:73], v[16:17]
	v_add_f64 v[82:83], v[78:79], v[80:81]
	ds_read_b128 v[78:81], v1 offset:976
	s_waitcnt vmcnt(56) lgkmcnt(1)
	v_mul_f64 v[84:85], v[74:75], v[26:27]
	s_waitcnt vmcnt(54)
	;; [unrolled: 6-line block ×4, first 2 shown]
	v_fmac_f64_e32 v[92:93], v[84:85], v[36:37]
	v_add_f64 v[94:95], v[90:91], v[92:93]
	ds_read_b128 v[90:93], v1 offset:1024
	v_add_f64 v[2:3], v[2:3], 0
	v_fma_f64 v[4:5], v[58:59], v[4:5], -v[8:9]
	s_waitcnt vmcnt(45) lgkmcnt(1)
	v_mul_f64 v[96:97], v[86:87], v[30:31]
	v_add_f64 v[2:3], v[2:3], v[4:5]
	v_mul_f64 v[4:5], v[64:65], v[12:13]
	s_waitcnt vmcnt(44)
	v_fmac_f64_e32 v[96:97], v[88:89], v[32:33]
	v_fma_f64 v[4:5], v[62:63], v[6:7], -v[4:5]
	v_add_f64 v[98:99], v[94:95], v[96:97]
	ds_read_b128 v[94:97], v1 offset:1040
	s_waitcnt vmcnt(40) lgkmcnt(1)
	v_mul_f64 v[100:101], v[90:91], v[42:43]
	v_add_f64 v[2:3], v[2:3], v[4:5]
	v_mul_f64 v[4:5], v[68:69], v[18:19]
	s_waitcnt vmcnt(38)
	v_fmac_f64_e32 v[100:101], v[92:93], v[44:45]
	v_fma_f64 v[4:5], v[66:67], v[20:21], -v[4:5]
	v_add_f64 v[102:103], v[98:99], v[100:101]
	ds_read_b128 v[98:101], v1 offset:1056
	v_add_f64 v[2:3], v[2:3], v[4:5]
	v_mul_f64 v[4:5], v[72:73], v[14:15]
	v_fma_f64 v[4:5], v[70:71], v[16:17], -v[4:5]
	v_add_f64 v[2:3], v[2:3], v[4:5]
	v_mul_f64 v[4:5], v[76:77], v[26:27]
	s_waitcnt vmcnt(37) lgkmcnt(1)
	v_mul_f64 v[104:105], v[94:95], v[38:39]
	v_fma_f64 v[4:5], v[74:75], v[28:29], -v[4:5]
	s_waitcnt vmcnt(36)
	v_fmac_f64_e32 v[104:105], v[96:97], v[40:41]
	v_add_f64 v[2:3], v[2:3], v[4:5]
	v_mul_f64 v[4:5], v[80:81], v[22:23]
	v_add_f64 v[106:107], v[102:103], v[104:105]
	ds_read_b128 v[102:105], v1 offset:1072
	s_waitcnt vmcnt(32) lgkmcnt(1)
	v_mul_f64 v[108:109], v[98:99], v[50:51]
	v_fma_f64 v[4:5], v[78:79], v[24:25], -v[4:5]
	s_waitcnt vmcnt(30)
	v_fmac_f64_e32 v[108:109], v[100:101], v[52:53]
	v_add_f64 v[2:3], v[2:3], v[4:5]
	v_mul_f64 v[4:5], v[84:85], v[34:35]
	v_add_f64 v[110:111], v[106:107], v[108:109]
	ds_read_b128 v[106:109], v1 offset:1088
	v_fma_f64 v[4:5], v[82:83], v[36:37], -v[4:5]
	v_add_f64 v[2:3], v[2:3], v[4:5]
	v_mul_f64 v[4:5], v[88:89], v[30:31]
	v_fma_f64 v[4:5], v[86:87], v[32:33], -v[4:5]
	s_waitcnt vmcnt(29) lgkmcnt(1)
	v_mul_f64 v[112:113], v[102:103], v[46:47]
	v_add_f64 v[2:3], v[2:3], v[4:5]
	v_mul_f64 v[4:5], v[92:93], v[42:43]
	s_waitcnt vmcnt(28)
	v_fmac_f64_e32 v[112:113], v[104:105], v[48:49]
	v_fma_f64 v[4:5], v[90:91], v[44:45], -v[4:5]
	v_add_f64 v[114:115], v[110:111], v[112:113]
	ds_read_b128 v[110:113], v1 offset:1104
	s_waitcnt vmcnt(24) lgkmcnt(1)
	v_mul_f64 v[116:117], v[106:107], v[136:137]
	v_add_f64 v[2:3], v[2:3], v[4:5]
	v_mul_f64 v[4:5], v[96:97], v[38:39]
	s_waitcnt vmcnt(22)
	v_fmac_f64_e32 v[116:117], v[108:109], v[138:139]
	v_fma_f64 v[4:5], v[94:95], v[40:41], -v[4:5]
	v_add_f64 v[120:121], v[114:115], v[116:117]
	ds_read_b128 v[114:117], v1 offset:1120
	v_add_f64 v[2:3], v[2:3], v[4:5]
	v_mul_f64 v[4:5], v[100:101], v[50:51]
	v_fma_f64 v[4:5], v[98:99], v[52:53], -v[4:5]
	v_add_f64 v[2:3], v[2:3], v[4:5]
	v_mul_f64 v[4:5], v[104:105], v[46:47]
	s_waitcnt vmcnt(21) lgkmcnt(1)
	v_mul_f64 v[122:123], v[110:111], v[132:133]
	v_fma_f64 v[4:5], v[102:103], v[48:49], -v[4:5]
	s_waitcnt vmcnt(20)
	v_fmac_f64_e32 v[122:123], v[112:113], v[134:135]
	v_add_f64 v[2:3], v[2:3], v[4:5]
	v_mul_f64 v[4:5], v[108:109], v[136:137]
	v_add_f64 v[124:125], v[120:121], v[122:123]
	ds_read_b128 v[120:123], v1 offset:1136
	s_waitcnt vmcnt(16) lgkmcnt(1)
	v_mul_f64 v[126:127], v[114:115], v[144:145]
	v_fma_f64 v[4:5], v[106:107], v[138:139], -v[4:5]
	s_waitcnt vmcnt(14)
	v_fmac_f64_e32 v[126:127], v[116:117], v[146:147]
	v_add_f64 v[2:3], v[2:3], v[4:5]
	v_mul_f64 v[4:5], v[112:113], v[132:133]
	v_add_f64 v[160:161], v[124:125], v[126:127]
	ds_read_b128 v[124:127], v1 offset:1152
	v_fma_f64 v[4:5], v[110:111], v[134:135], -v[4:5]
	v_add_f64 v[2:3], v[2:3], v[4:5]
	v_mul_f64 v[4:5], v[116:117], v[144:145]
	v_fma_f64 v[4:5], v[114:115], v[146:147], -v[4:5]
	v_add_f64 v[2:3], v[2:3], v[4:5]
	s_waitcnt vmcnt(13) lgkmcnt(1)
	v_mul_f64 v[4:5], v[122:123], v[140:141]
	v_mul_f64 v[162:163], v[120:121], v[140:141]
	s_waitcnt vmcnt(12)
	v_fma_f64 v[4:5], v[120:121], v[142:143], -v[4:5]
	v_fmac_f64_e32 v[162:163], v[122:123], v[142:143]
	v_add_f64 v[2:3], v[2:3], v[4:5]
	s_waitcnt vmcnt(8) lgkmcnt(0)
	v_mul_f64 v[4:5], v[126:127], v[152:153]
	v_add_f64 v[160:161], v[160:161], v[162:163]
	v_mul_f64 v[162:163], v[124:125], v[152:153]
	s_waitcnt vmcnt(6)
	v_fma_f64 v[4:5], v[124:125], v[154:155], -v[4:5]
	v_fmac_f64_e32 v[162:163], v[126:127], v[154:155]
	v_add_f64 v[2:3], v[2:3], v[4:5]
	s_waitcnt vmcnt(5)
	v_mul_f64 v[4:5], v[130:131], v[148:149]
	v_add_f64 v[160:161], v[160:161], v[162:163]
	v_mul_f64 v[162:163], v[128:129], v[148:149]
	s_waitcnt vmcnt(4)
	v_fma_f64 v[4:5], v[128:129], v[150:151], -v[4:5]
	v_fmac_f64_e32 v[162:163], v[130:131], v[150:151]
	v_add_f64 v[2:3], v[2:3], v[4:5]
	v_add_f64 v[160:161], v[160:161], v[162:163]
	s_waitcnt vmcnt(2)
	v_add_f64 v[2:3], v[156:157], -v[2:3]
	s_waitcnt vmcnt(0)
	v_add_f64 v[4:5], v[158:159], -v[160:161]
	buffer_store_dword v3, off, s[0:3], 0 offset:292
	buffer_store_dword v2, off, s[0:3], 0 offset:288
	;; [unrolled: 1-line block ×4, first 2 shown]
	s_and_saveexec_b64 s[4:5], vcc
	s_cbranch_execz .LBB36_203
; %bb.202:
	v_accvgpr_read_b32 v5, a92
	buffer_load_dword v2, v5, s[0:3], 0 offen
	buffer_load_dword v3, v5, s[0:3], 0 offen offset:4
	buffer_load_dword v4, v5, s[0:3], 0 offen offset:8
	s_nop 0
	buffer_load_dword v5, v5, s[0:3], 0 offen offset:12
	v_accvgpr_read_b32 v6, a108
	buffer_store_dword v1, off, s[0:3], 0 offset:272
	buffer_store_dword v1, off, s[0:3], 0 offset:276
	;; [unrolled: 1-line block ×4, first 2 shown]
	s_waitcnt vmcnt(4)
	ds_write_b128 v6, v[2:5]
.LBB36_203:
	s_or_b64 exec, exec, s[4:5]
	s_waitcnt lgkmcnt(0)
	; wave barrier
	s_waitcnt lgkmcnt(0)
	buffer_load_dword v2, off, s[0:3], 0 offset:288
	buffer_load_dword v3, off, s[0:3], 0 offset:292
	;; [unrolled: 1-line block ×76, first 2 shown]
	ds_read_b128 v[54:57], v1 offset:864
	buffer_load_dword v161, off, s[0:3], 0 offset:604
	buffer_load_dword v160, off, s[0:3], 0 offset:600
	;; [unrolled: 1-line block ×8, first 2 shown]
	ds_read_b128 v[58:61], v1 offset:880
	ds_read_b128 v[62:65], v1 offset:896
	;; [unrolled: 1-line block ×3, first 2 shown]
	v_cmp_lt_u32_e32 vcc, 15, v0
	ds_read_b128 v[132:135], v1 offset:1168
	s_waitcnt vmcnt(62) lgkmcnt(4)
	v_mul_f64 v[70:71], v[54:55], v[8:9]
	v_fmac_f64_e32 v[70:71], v[56:57], v[2:3]
	v_add_f64 v[70:71], v[70:71], 0
	v_mul_f64 v[8:9], v[56:57], v[8:9]
	s_waitcnt lgkmcnt(3)
	v_mul_f64 v[72:73], v[58:59], v[10:11]
	v_fmac_f64_e32 v[72:73], v[60:61], v[4:5]
	v_add_f64 v[70:71], v[70:71], v[72:73]
	v_fma_f64 v[2:3], v[54:55], v[2:3], -v[8:9]
	s_waitcnt lgkmcnt(2)
	v_mul_f64 v[72:73], v[62:63], v[12:13]
	v_fmac_f64_e32 v[72:73], v[64:65], v[6:7]
	v_add_f64 v[74:75], v[70:71], v[72:73]
	ds_read_b128 v[70:73], v1 offset:928
	v_mul_f64 v[8:9], v[60:61], v[10:11]
	v_add_f64 v[2:3], v[2:3], 0
	s_waitcnt lgkmcnt(2)
	v_mul_f64 v[76:77], v[66:67], v[18:19]
	v_fma_f64 v[4:5], v[58:59], v[4:5], -v[8:9]
	v_fmac_f64_e32 v[76:77], v[68:69], v[20:21]
	v_add_f64 v[78:79], v[74:75], v[76:77]
	ds_read_b128 v[74:77], v1 offset:944
	s_waitcnt lgkmcnt(1)
	v_mul_f64 v[80:81], v[70:71], v[14:15]
	v_fmac_f64_e32 v[80:81], v[72:73], v[16:17]
	v_add_f64 v[82:83], v[78:79], v[80:81]
	ds_read_b128 v[78:81], v1 offset:960
	s_waitcnt vmcnt(58) lgkmcnt(1)
	v_mul_f64 v[84:85], v[74:75], v[26:27]
	s_waitcnt vmcnt(56)
	v_fmac_f64_e32 v[84:85], v[76:77], v[28:29]
	v_add_f64 v[86:87], v[82:83], v[84:85]
	ds_read_b128 v[82:85], v1 offset:976
	s_waitcnt lgkmcnt(1)
	v_mul_f64 v[88:89], v[78:79], v[22:23]
	v_fmac_f64_e32 v[88:89], v[80:81], v[24:25]
	v_add_f64 v[90:91], v[86:87], v[88:89]
	ds_read_b128 v[86:89], v1 offset:992
	s_waitcnt vmcnt(50) lgkmcnt(1)
	v_mul_f64 v[92:93], v[82:83], v[34:35]
	s_waitcnt vmcnt(48)
	v_fmac_f64_e32 v[92:93], v[84:85], v[36:37]
	v_add_f64 v[94:95], v[90:91], v[92:93]
	ds_read_b128 v[90:93], v1 offset:1008
	s_waitcnt lgkmcnt(1)
	v_mul_f64 v[96:97], v[86:87], v[30:31]
	v_fmac_f64_e32 v[96:97], v[88:89], v[32:33]
	v_add_f64 v[98:99], v[94:95], v[96:97]
	ds_read_b128 v[94:97], v1 offset:1024
	v_add_f64 v[2:3], v[2:3], v[4:5]
	v_mul_f64 v[4:5], v[64:65], v[12:13]
	v_fma_f64 v[4:5], v[62:63], v[6:7], -v[4:5]
	s_waitcnt vmcnt(42) lgkmcnt(1)
	v_mul_f64 v[100:101], v[90:91], v[42:43]
	v_add_f64 v[2:3], v[2:3], v[4:5]
	v_mul_f64 v[4:5], v[68:69], v[18:19]
	s_waitcnt vmcnt(40)
	v_fmac_f64_e32 v[100:101], v[92:93], v[44:45]
	v_fma_f64 v[4:5], v[66:67], v[20:21], -v[4:5]
	v_add_f64 v[102:103], v[98:99], v[100:101]
	ds_read_b128 v[98:101], v1 offset:1040
	s_waitcnt lgkmcnt(1)
	v_mul_f64 v[104:105], v[94:95], v[38:39]
	v_add_f64 v[2:3], v[2:3], v[4:5]
	v_mul_f64 v[4:5], v[72:73], v[14:15]
	v_fmac_f64_e32 v[104:105], v[96:97], v[40:41]
	v_fma_f64 v[4:5], v[70:71], v[16:17], -v[4:5]
	v_add_f64 v[106:107], v[102:103], v[104:105]
	ds_read_b128 v[102:105], v1 offset:1056
	v_add_f64 v[2:3], v[2:3], v[4:5]
	v_mul_f64 v[4:5], v[76:77], v[26:27]
	v_fma_f64 v[4:5], v[74:75], v[28:29], -v[4:5]
	v_add_f64 v[2:3], v[2:3], v[4:5]
	v_mul_f64 v[4:5], v[80:81], v[22:23]
	s_waitcnt vmcnt(34) lgkmcnt(1)
	v_mul_f64 v[108:109], v[98:99], v[50:51]
	v_fma_f64 v[4:5], v[78:79], v[24:25], -v[4:5]
	s_waitcnt vmcnt(32)
	v_fmac_f64_e32 v[108:109], v[100:101], v[52:53]
	v_add_f64 v[2:3], v[2:3], v[4:5]
	v_mul_f64 v[4:5], v[84:85], v[34:35]
	v_add_f64 v[110:111], v[106:107], v[108:109]
	ds_read_b128 v[106:109], v1 offset:1072
	s_waitcnt lgkmcnt(1)
	v_mul_f64 v[112:113], v[102:103], v[46:47]
	v_fma_f64 v[4:5], v[82:83], v[36:37], -v[4:5]
	v_fmac_f64_e32 v[112:113], v[104:105], v[48:49]
	v_add_f64 v[2:3], v[2:3], v[4:5]
	v_mul_f64 v[4:5], v[88:89], v[30:31]
	v_add_f64 v[114:115], v[110:111], v[112:113]
	ds_read_b128 v[110:113], v1 offset:1088
	v_fma_f64 v[4:5], v[86:87], v[32:33], -v[4:5]
	v_add_f64 v[2:3], v[2:3], v[4:5]
	v_mul_f64 v[4:5], v[92:93], v[42:43]
	v_fma_f64 v[4:5], v[90:91], v[44:45], -v[4:5]
	s_waitcnt vmcnt(26) lgkmcnt(1)
	v_mul_f64 v[116:117], v[106:107], v[140:141]
	v_add_f64 v[2:3], v[2:3], v[4:5]
	v_mul_f64 v[4:5], v[96:97], v[38:39]
	s_waitcnt vmcnt(24)
	v_fmac_f64_e32 v[116:117], v[108:109], v[142:143]
	v_fma_f64 v[4:5], v[94:95], v[40:41], -v[4:5]
	v_add_f64 v[120:121], v[114:115], v[116:117]
	ds_read_b128 v[114:117], v1 offset:1104
	s_waitcnt lgkmcnt(1)
	v_mul_f64 v[122:123], v[110:111], v[136:137]
	v_add_f64 v[2:3], v[2:3], v[4:5]
	v_mul_f64 v[4:5], v[100:101], v[50:51]
	v_fmac_f64_e32 v[122:123], v[112:113], v[138:139]
	v_fma_f64 v[4:5], v[98:99], v[52:53], -v[4:5]
	v_add_f64 v[124:125], v[120:121], v[122:123]
	ds_read_b128 v[120:123], v1 offset:1120
	v_add_f64 v[2:3], v[2:3], v[4:5]
	v_mul_f64 v[4:5], v[104:105], v[46:47]
	v_fma_f64 v[4:5], v[102:103], v[48:49], -v[4:5]
	v_add_f64 v[2:3], v[2:3], v[4:5]
	v_mul_f64 v[4:5], v[108:109], v[140:141]
	s_waitcnt vmcnt(18) lgkmcnt(1)
	v_mul_f64 v[126:127], v[114:115], v[148:149]
	v_fma_f64 v[4:5], v[106:107], v[142:143], -v[4:5]
	s_waitcnt vmcnt(16)
	v_fmac_f64_e32 v[126:127], v[116:117], v[150:151]
	v_add_f64 v[2:3], v[2:3], v[4:5]
	v_mul_f64 v[4:5], v[112:113], v[136:137]
	v_add_f64 v[128:129], v[124:125], v[126:127]
	ds_read_b128 v[124:127], v1 offset:1136
	s_waitcnt lgkmcnt(1)
	v_mul_f64 v[130:131], v[120:121], v[144:145]
	v_fma_f64 v[4:5], v[110:111], v[138:139], -v[4:5]
	v_fmac_f64_e32 v[130:131], v[122:123], v[146:147]
	v_add_f64 v[2:3], v[2:3], v[4:5]
	v_mul_f64 v[4:5], v[116:117], v[148:149]
	v_add_f64 v[168:169], v[128:129], v[130:131]
	ds_read_b128 v[128:131], v1 offset:1152
	v_fma_f64 v[4:5], v[114:115], v[150:151], -v[4:5]
	v_add_f64 v[2:3], v[2:3], v[4:5]
	v_mul_f64 v[4:5], v[122:123], v[144:145]
	v_fma_f64 v[4:5], v[120:121], v[146:147], -v[4:5]
	v_add_f64 v[2:3], v[2:3], v[4:5]
	s_waitcnt vmcnt(10) lgkmcnt(1)
	v_mul_f64 v[4:5], v[126:127], v[156:157]
	v_mul_f64 v[170:171], v[124:125], v[156:157]
	s_waitcnt vmcnt(8)
	v_fma_f64 v[4:5], v[124:125], v[158:159], -v[4:5]
	v_fmac_f64_e32 v[170:171], v[126:127], v[158:159]
	v_add_f64 v[2:3], v[2:3], v[4:5]
	s_waitcnt lgkmcnt(0)
	v_mul_f64 v[4:5], v[130:131], v[152:153]
	v_add_f64 v[168:169], v[168:169], v[170:171]
	v_mul_f64 v[170:171], v[128:129], v[152:153]
	v_fma_f64 v[4:5], v[128:129], v[154:155], -v[4:5]
	v_fmac_f64_e32 v[170:171], v[130:131], v[154:155]
	v_add_f64 v[2:3], v[2:3], v[4:5]
	s_waitcnt vmcnt(6)
	v_mul_f64 v[4:5], v[134:135], v[160:161]
	v_add_f64 v[168:169], v[168:169], v[170:171]
	v_mul_f64 v[170:171], v[132:133], v[160:161]
	s_waitcnt vmcnt(4)
	v_fma_f64 v[4:5], v[132:133], v[162:163], -v[4:5]
	v_fmac_f64_e32 v[170:171], v[134:135], v[162:163]
	v_add_f64 v[2:3], v[2:3], v[4:5]
	v_add_f64 v[168:169], v[168:169], v[170:171]
	s_waitcnt vmcnt(2)
	v_add_f64 v[2:3], v[164:165], -v[2:3]
	s_waitcnt vmcnt(0)
	v_add_f64 v[4:5], v[166:167], -v[168:169]
	buffer_store_dword v3, off, s[0:3], 0 offset:276
	buffer_store_dword v2, off, s[0:3], 0 offset:272
	;; [unrolled: 1-line block ×4, first 2 shown]
	s_and_saveexec_b64 s[4:5], vcc
	s_cbranch_execz .LBB36_205
; %bb.204:
	v_accvgpr_read_b32 v1, a93
	buffer_load_dword v2, v1, s[0:3], 0 offen
	buffer_load_dword v3, v1, s[0:3], 0 offen offset:4
	buffer_load_dword v4, v1, s[0:3], 0 offen offset:8
	;; [unrolled: 1-line block ×3, first 2 shown]
	v_mov_b32_e32 v1, 0
	v_accvgpr_read_b32 v6, a108
	buffer_store_dword v1, off, s[0:3], 0 offset:256
	buffer_store_dword v1, off, s[0:3], 0 offset:260
	;; [unrolled: 1-line block ×4, first 2 shown]
	s_waitcnt vmcnt(4)
	ds_write_b128 v6, v[2:5]
.LBB36_205:
	s_or_b64 exec, exec, s[4:5]
	s_waitcnt lgkmcnt(0)
	; wave barrier
	s_waitcnt lgkmcnt(0)
	buffer_load_dword v4, off, s[0:3], 0 offset:256
	buffer_load_dword v5, off, s[0:3], 0 offset:260
	;; [unrolled: 1-line block ×84, first 2 shown]
	v_mov_b32_e32 v1, 0
	ds_read_b128 v[66:69], v1 offset:848
	buffer_load_dword v173, off, s[0:3], 0 offset:604
	buffer_load_dword v172, off, s[0:3], 0 offset:600
	buffer_load_dword v175, off, s[0:3], 0 offset:596
	buffer_load_dword v174, off, s[0:3], 0 offset:592
	ds_read_b128 v[70:73], v1 offset:864
	ds_read_b128 v[74:77], v1 offset:880
	;; [unrolled: 1-line block ×4, first 2 shown]
	v_cmp_lt_u32_e32 vcc, 14, v0
	s_waitcnt vmcnt(62) lgkmcnt(4)
	v_mul_f64 v[82:83], v[66:67], v[12:13]
	v_fmac_f64_e32 v[82:83], v[68:69], v[6:7]
	s_waitcnt lgkmcnt(3)
	v_mul_f64 v[84:85], v[70:71], v[14:15]
	v_add_f64 v[82:83], v[82:83], 0
	v_fmac_f64_e32 v[84:85], v[72:73], v[8:9]
	v_add_f64 v[82:83], v[82:83], v[84:85]
	s_waitcnt lgkmcnt(2)
	v_mul_f64 v[84:85], v[74:75], v[16:17]
	v_fmac_f64_e32 v[84:85], v[76:77], v[10:11]
	v_add_f64 v[86:87], v[82:83], v[84:85]
	ds_read_b128 v[82:85], v1 offset:912
	v_mul_f64 v[12:13], v[68:69], v[12:13]
	s_waitcnt lgkmcnt(2)
	v_mul_f64 v[88:89], v[78:79], v[22:23]
	v_fma_f64 v[6:7], v[66:67], v[6:7], -v[12:13]
	v_fmac_f64_e32 v[88:89], v[80:81], v[24:25]
	v_add_f64 v[90:91], v[86:87], v[88:89]
	ds_read_b128 v[86:89], v1 offset:928
	s_waitcnt lgkmcnt(1)
	v_mul_f64 v[92:93], v[82:83], v[18:19]
	v_fmac_f64_e32 v[92:93], v[84:85], v[20:21]
	v_add_f64 v[94:95], v[90:91], v[92:93]
	ds_read_b128 v[90:93], v1 offset:944
	s_waitcnt vmcnt(58) lgkmcnt(1)
	v_mul_f64 v[96:97], v[86:87], v[30:31]
	s_waitcnt vmcnt(56)
	v_fmac_f64_e32 v[96:97], v[88:89], v[32:33]
	v_add_f64 v[98:99], v[94:95], v[96:97]
	ds_read_b128 v[94:97], v1 offset:960
	s_waitcnt lgkmcnt(1)
	v_mul_f64 v[100:101], v[90:91], v[26:27]
	v_fmac_f64_e32 v[100:101], v[92:93], v[28:29]
	v_add_f64 v[102:103], v[98:99], v[100:101]
	ds_read_b128 v[98:101], v1 offset:976
	s_waitcnt vmcnt(50) lgkmcnt(1)
	v_mul_f64 v[104:105], v[94:95], v[38:39]
	s_waitcnt vmcnt(48)
	v_fmac_f64_e32 v[104:105], v[96:97], v[40:41]
	v_add_f64 v[106:107], v[102:103], v[104:105]
	ds_read_b128 v[102:105], v1 offset:992
	s_waitcnt lgkmcnt(1)
	v_mul_f64 v[108:109], v[98:99], v[34:35]
	v_fmac_f64_e32 v[108:109], v[100:101], v[36:37]
	v_mul_f64 v[12:13], v[72:73], v[14:15]
	v_add_f64 v[110:111], v[106:107], v[108:109]
	ds_read_b128 v[106:109], v1 offset:1008
	s_waitcnt vmcnt(42) lgkmcnt(1)
	v_mul_f64 v[112:113], v[102:103], v[46:47]
	v_add_f64 v[6:7], v[6:7], 0
	v_fma_f64 v[8:9], v[70:71], v[8:9], -v[12:13]
	s_waitcnt vmcnt(40)
	v_fmac_f64_e32 v[112:113], v[104:105], v[48:49]
	v_add_f64 v[6:7], v[6:7], v[8:9]
	v_mul_f64 v[8:9], v[76:77], v[16:17]
	v_add_f64 v[114:115], v[110:111], v[112:113]
	ds_read_b128 v[110:113], v1 offset:1024
	v_fma_f64 v[8:9], v[74:75], v[10:11], -v[8:9]
	v_add_f64 v[6:7], v[6:7], v[8:9]
	v_mul_f64 v[8:9], v[80:81], v[22:23]
	v_fma_f64 v[8:9], v[78:79], v[24:25], -v[8:9]
	s_waitcnt lgkmcnt(1)
	v_mul_f64 v[116:117], v[106:107], v[42:43]
	v_add_f64 v[6:7], v[6:7], v[8:9]
	v_mul_f64 v[8:9], v[84:85], v[18:19]
	v_fmac_f64_e32 v[116:117], v[108:109], v[44:45]
	v_fma_f64 v[8:9], v[82:83], v[20:21], -v[8:9]
	v_add_f64 v[120:121], v[114:115], v[116:117]
	ds_read_b128 v[114:117], v1 offset:1040
	s_waitcnt vmcnt(34) lgkmcnt(1)
	v_mul_f64 v[122:123], v[110:111], v[54:55]
	v_add_f64 v[6:7], v[6:7], v[8:9]
	v_mul_f64 v[8:9], v[88:89], v[30:31]
	s_waitcnt vmcnt(32)
	v_fmac_f64_e32 v[122:123], v[112:113], v[56:57]
	v_fma_f64 v[8:9], v[86:87], v[32:33], -v[8:9]
	v_add_f64 v[124:125], v[120:121], v[122:123]
	ds_read_b128 v[120:123], v1 offset:1056
	v_add_f64 v[6:7], v[6:7], v[8:9]
	v_mul_f64 v[8:9], v[92:93], v[26:27]
	v_fma_f64 v[8:9], v[90:91], v[28:29], -v[8:9]
	v_add_f64 v[6:7], v[6:7], v[8:9]
	v_mul_f64 v[8:9], v[96:97], v[38:39]
	s_waitcnt lgkmcnt(1)
	v_mul_f64 v[126:127], v[114:115], v[50:51]
	v_fma_f64 v[8:9], v[94:95], v[40:41], -v[8:9]
	v_fmac_f64_e32 v[126:127], v[116:117], v[52:53]
	v_add_f64 v[6:7], v[6:7], v[8:9]
	v_mul_f64 v[8:9], v[100:101], v[34:35]
	v_add_f64 v[128:129], v[124:125], v[126:127]
	ds_read_b128 v[124:127], v1 offset:1072
	s_waitcnt vmcnt(26) lgkmcnt(1)
	v_mul_f64 v[130:131], v[120:121], v[62:63]
	v_fma_f64 v[8:9], v[98:99], v[36:37], -v[8:9]
	s_waitcnt vmcnt(24)
	v_fmac_f64_e32 v[130:131], v[122:123], v[64:65]
	v_add_f64 v[6:7], v[6:7], v[8:9]
	v_mul_f64 v[8:9], v[104:105], v[46:47]
	v_add_f64 v[132:133], v[128:129], v[130:131]
	ds_read_b128 v[128:131], v1 offset:1088
	v_fma_f64 v[8:9], v[102:103], v[48:49], -v[8:9]
	v_add_f64 v[6:7], v[6:7], v[8:9]
	v_mul_f64 v[8:9], v[108:109], v[42:43]
	v_fma_f64 v[8:9], v[106:107], v[44:45], -v[8:9]
	s_waitcnt lgkmcnt(1)
	v_mul_f64 v[134:135], v[124:125], v[58:59]
	v_add_f64 v[6:7], v[6:7], v[8:9]
	v_mul_f64 v[8:9], v[112:113], v[54:55]
	v_fmac_f64_e32 v[134:135], v[126:127], v[60:61]
	v_fma_f64 v[8:9], v[110:111], v[56:57], -v[8:9]
	v_add_f64 v[136:137], v[132:133], v[134:135]
	ds_read_b128 v[132:135], v1 offset:1104
	s_waitcnt vmcnt(18) lgkmcnt(1)
	v_mul_f64 v[138:139], v[128:129], v[156:157]
	v_add_f64 v[6:7], v[6:7], v[8:9]
	v_mul_f64 v[8:9], v[116:117], v[50:51]
	s_waitcnt vmcnt(16)
	v_fmac_f64_e32 v[138:139], v[130:131], v[158:159]
	v_fma_f64 v[8:9], v[114:115], v[52:53], -v[8:9]
	v_add_f64 v[140:141], v[136:137], v[138:139]
	ds_read_b128 v[136:139], v1 offset:1120
	v_add_f64 v[6:7], v[6:7], v[8:9]
	v_mul_f64 v[8:9], v[122:123], v[62:63]
	v_fma_f64 v[8:9], v[120:121], v[64:65], -v[8:9]
	v_add_f64 v[6:7], v[6:7], v[8:9]
	v_mul_f64 v[8:9], v[126:127], v[58:59]
	s_waitcnt lgkmcnt(1)
	v_mul_f64 v[142:143], v[132:133], v[152:153]
	v_fma_f64 v[8:9], v[124:125], v[60:61], -v[8:9]
	v_fmac_f64_e32 v[142:143], v[134:135], v[154:155]
	v_add_f64 v[6:7], v[6:7], v[8:9]
	v_mul_f64 v[8:9], v[130:131], v[156:157]
	v_add_f64 v[144:145], v[140:141], v[142:143]
	ds_read_b128 v[140:143], v1 offset:1136
	s_waitcnt vmcnt(10) lgkmcnt(1)
	v_mul_f64 v[146:147], v[136:137], v[164:165]
	v_fma_f64 v[8:9], v[128:129], v[158:159], -v[8:9]
	s_waitcnt vmcnt(8)
	v_fmac_f64_e32 v[146:147], v[138:139], v[166:167]
	v_add_f64 v[6:7], v[6:7], v[8:9]
	v_mul_f64 v[8:9], v[134:135], v[152:153]
	v_add_f64 v[176:177], v[144:145], v[146:147]
	ds_read_b128 v[144:147], v1 offset:1152
	v_fma_f64 v[8:9], v[132:133], v[154:155], -v[8:9]
	v_add_f64 v[6:7], v[6:7], v[8:9]
	v_mul_f64 v[8:9], v[138:139], v[164:165]
	v_fma_f64 v[8:9], v[136:137], v[166:167], -v[8:9]
	v_add_f64 v[6:7], v[6:7], v[8:9]
	s_waitcnt lgkmcnt(1)
	v_mul_f64 v[8:9], v[142:143], v[160:161]
	v_mul_f64 v[178:179], v[140:141], v[160:161]
	v_fma_f64 v[8:9], v[140:141], v[162:163], -v[8:9]
	v_fmac_f64_e32 v[178:179], v[142:143], v[162:163]
	v_add_f64 v[6:7], v[6:7], v[8:9]
	s_waitcnt vmcnt(6) lgkmcnt(0)
	v_mul_f64 v[8:9], v[146:147], v[168:169]
	v_add_f64 v[176:177], v[176:177], v[178:179]
	v_mul_f64 v[178:179], v[144:145], v[168:169]
	s_waitcnt vmcnt(4)
	v_fma_f64 v[8:9], v[144:145], v[170:171], -v[8:9]
	v_fmac_f64_e32 v[178:179], v[146:147], v[170:171]
	v_add_f64 v[6:7], v[6:7], v[8:9]
	s_waitcnt vmcnt(2)
	v_mul_f64 v[8:9], v[150:151], v[172:173]
	v_add_f64 v[176:177], v[176:177], v[178:179]
	v_mul_f64 v[178:179], v[148:149], v[172:173]
	s_waitcnt vmcnt(0)
	v_fma_f64 v[8:9], v[148:149], v[174:175], -v[8:9]
	v_fmac_f64_e32 v[178:179], v[150:151], v[174:175]
	v_add_f64 v[6:7], v[6:7], v[8:9]
	v_add_f64 v[176:177], v[176:177], v[178:179]
	v_add_f64 v[4:5], v[4:5], -v[6:7]
	v_add_f64 v[2:3], v[2:3], -v[176:177]
	buffer_store_dword v5, off, s[0:3], 0 offset:260
	buffer_store_dword v4, off, s[0:3], 0 offset:256
	;; [unrolled: 1-line block ×4, first 2 shown]
	s_and_saveexec_b64 s[4:5], vcc
	s_cbranch_execz .LBB36_207
; %bb.206:
	v_accvgpr_read_b32 v5, a94
	buffer_load_dword v2, v5, s[0:3], 0 offen
	buffer_load_dword v3, v5, s[0:3], 0 offen offset:4
	buffer_load_dword v4, v5, s[0:3], 0 offen offset:8
	s_nop 0
	buffer_load_dword v5, v5, s[0:3], 0 offen offset:12
	v_accvgpr_read_b32 v6, a108
	buffer_store_dword v1, off, s[0:3], 0 offset:240
	buffer_store_dword v1, off, s[0:3], 0 offset:244
	;; [unrolled: 1-line block ×4, first 2 shown]
	s_waitcnt vmcnt(4)
	ds_write_b128 v6, v[2:5]
.LBB36_207:
	s_or_b64 exec, exec, s[4:5]
	s_waitcnt lgkmcnt(0)
	; wave barrier
	s_waitcnt lgkmcnt(0)
	ds_read_b128 v[14:17], v1 offset:832
	ds_read_b128 v[10:13], v1 offset:848
	;; [unrolled: 1-line block ×4, first 2 shown]
	buffer_load_dword v20, off, s[0:3], 0 offset:240
	buffer_load_dword v21, off, s[0:3], 0 offset:244
	;; [unrolled: 1-line block ×92, first 2 shown]
	s_waitcnt vmcnt(62) lgkmcnt(3)
	v_mul_f64 v[86:87], v[14:15], v[28:29]
	v_fmac_f64_e32 v[86:87], v[16:17], v[22:23]
	s_waitcnt lgkmcnt(2)
	v_mul_f64 v[88:89], v[10:11], v[30:31]
	v_add_f64 v[86:87], v[86:87], 0
	v_fmac_f64_e32 v[88:89], v[12:13], v[24:25]
	v_add_f64 v[86:87], v[86:87], v[88:89]
	s_waitcnt lgkmcnt(1)
	v_mul_f64 v[88:89], v[6:7], v[32:33]
	v_fmac_f64_e32 v[88:89], v[8:9], v[26:27]
	v_add_f64 v[90:91], v[86:87], v[88:89]
	ds_read_b128 v[86:89], v1 offset:896
	v_mul_f64 v[16:17], v[16:17], v[28:29]
	v_fma_f64 v[14:15], v[14:15], v[22:23], -v[16:17]
	s_waitcnt lgkmcnt(1)
	v_mul_f64 v[92:93], v[2:3], v[38:39]
	v_mul_f64 v[12:13], v[12:13], v[30:31]
	v_fmac_f64_e32 v[92:93], v[4:5], v[40:41]
	v_add_f64 v[94:95], v[90:91], v[92:93]
	ds_read_b128 v[90:93], v1 offset:912
	s_waitcnt lgkmcnt(1)
	v_mul_f64 v[96:97], v[86:87], v[34:35]
	v_fmac_f64_e32 v[96:97], v[88:89], v[36:37]
	v_add_f64 v[98:99], v[94:95], v[96:97]
	ds_read_b128 v[94:97], v1 offset:928
	s_waitcnt lgkmcnt(1)
	v_mul_f64 v[100:101], v[90:91], v[46:47]
	s_waitcnt vmcnt(60)
	v_fmac_f64_e32 v[100:101], v[92:93], v[48:49]
	v_add_f64 v[102:103], v[98:99], v[100:101]
	ds_read_b128 v[98:101], v1 offset:944
	s_waitcnt lgkmcnt(1)
	v_mul_f64 v[104:105], v[94:95], v[42:43]
	v_fmac_f64_e32 v[104:105], v[96:97], v[44:45]
	v_add_f64 v[106:107], v[102:103], v[104:105]
	ds_read_b128 v[102:105], v1 offset:960
	s_waitcnt vmcnt(54) lgkmcnt(1)
	v_mul_f64 v[108:109], v[98:99], v[54:55]
	s_waitcnt vmcnt(52)
	v_fmac_f64_e32 v[108:109], v[100:101], v[56:57]
	v_add_f64 v[110:111], v[106:107], v[108:109]
	ds_read_b128 v[106:109], v1 offset:976
	s_waitcnt lgkmcnt(1)
	v_mul_f64 v[112:113], v[102:103], v[50:51]
	v_fmac_f64_e32 v[112:113], v[104:105], v[52:53]
	v_add_f64 v[114:115], v[110:111], v[112:113]
	ds_read_b128 v[110:113], v1 offset:992
	s_waitcnt vmcnt(46) lgkmcnt(1)
	v_mul_f64 v[116:117], v[106:107], v[62:63]
	s_waitcnt vmcnt(44)
	v_fmac_f64_e32 v[116:117], v[108:109], v[64:65]
	v_add_f64 v[120:121], v[114:115], v[116:117]
	ds_read_b128 v[114:117], v1 offset:1008
	s_waitcnt lgkmcnt(1)
	v_mul_f64 v[122:123], v[110:111], v[58:59]
	v_fmac_f64_e32 v[122:123], v[112:113], v[60:61]
	v_add_f64 v[14:15], v[14:15], 0
	v_fma_f64 v[10:11], v[10:11], v[24:25], -v[12:13]
	v_mul_f64 v[8:9], v[8:9], v[32:33]
	v_add_f64 v[124:125], v[120:121], v[122:123]
	ds_read_b128 v[120:123], v1 offset:1024
	v_add_f64 v[10:11], v[14:15], v[10:11]
	v_fma_f64 v[6:7], v[6:7], v[26:27], -v[8:9]
	v_mul_f64 v[4:5], v[4:5], v[38:39]
	v_add_f64 v[6:7], v[10:11], v[6:7]
	v_fma_f64 v[2:3], v[2:3], v[40:41], -v[4:5]
	v_mul_f64 v[4:5], v[88:89], v[34:35]
	v_add_f64 v[2:3], v[6:7], v[2:3]
	v_fma_f64 v[4:5], v[86:87], v[36:37], -v[4:5]
	s_waitcnt vmcnt(38) lgkmcnt(1)
	v_mul_f64 v[126:127], v[114:115], v[70:71]
	v_add_f64 v[2:3], v[2:3], v[4:5]
	v_mul_f64 v[4:5], v[92:93], v[46:47]
	s_waitcnt vmcnt(36)
	v_fmac_f64_e32 v[126:127], v[116:117], v[72:73]
	v_fma_f64 v[4:5], v[90:91], v[48:49], -v[4:5]
	v_add_f64 v[128:129], v[124:125], v[126:127]
	ds_read_b128 v[124:127], v1 offset:1040
	s_waitcnt lgkmcnt(1)
	v_mul_f64 v[130:131], v[120:121], v[66:67]
	v_add_f64 v[2:3], v[2:3], v[4:5]
	v_mul_f64 v[4:5], v[96:97], v[42:43]
	v_fmac_f64_e32 v[130:131], v[122:123], v[68:69]
	v_fma_f64 v[4:5], v[94:95], v[44:45], -v[4:5]
	v_add_f64 v[132:133], v[128:129], v[130:131]
	ds_read_b128 v[128:131], v1 offset:1056
	v_add_f64 v[2:3], v[2:3], v[4:5]
	v_mul_f64 v[4:5], v[100:101], v[54:55]
	v_fma_f64 v[4:5], v[98:99], v[56:57], -v[4:5]
	v_add_f64 v[2:3], v[2:3], v[4:5]
	v_mul_f64 v[4:5], v[104:105], v[50:51]
	s_waitcnt vmcnt(30) lgkmcnt(1)
	v_mul_f64 v[134:135], v[124:125], v[78:79]
	v_fma_f64 v[4:5], v[102:103], v[52:53], -v[4:5]
	s_waitcnt vmcnt(28)
	v_fmac_f64_e32 v[134:135], v[126:127], v[80:81]
	v_add_f64 v[2:3], v[2:3], v[4:5]
	v_mul_f64 v[4:5], v[108:109], v[62:63]
	v_add_f64 v[136:137], v[132:133], v[134:135]
	ds_read_b128 v[132:135], v1 offset:1072
	s_waitcnt lgkmcnt(1)
	v_mul_f64 v[138:139], v[128:129], v[74:75]
	v_fma_f64 v[4:5], v[106:107], v[64:65], -v[4:5]
	v_fmac_f64_e32 v[138:139], v[130:131], v[76:77]
	v_add_f64 v[2:3], v[2:3], v[4:5]
	v_mul_f64 v[4:5], v[112:113], v[58:59]
	v_add_f64 v[140:141], v[136:137], v[138:139]
	ds_read_b128 v[136:139], v1 offset:1088
	v_fma_f64 v[4:5], v[110:111], v[60:61], -v[4:5]
	v_add_f64 v[2:3], v[2:3], v[4:5]
	v_mul_f64 v[4:5], v[116:117], v[70:71]
	v_fma_f64 v[4:5], v[114:115], v[72:73], -v[4:5]
	s_waitcnt vmcnt(22) lgkmcnt(1)
	v_mul_f64 v[142:143], v[132:133], v[160:161]
	v_add_f64 v[2:3], v[2:3], v[4:5]
	v_mul_f64 v[4:5], v[122:123], v[66:67]
	s_waitcnt vmcnt(20)
	v_fmac_f64_e32 v[142:143], v[134:135], v[162:163]
	v_fma_f64 v[4:5], v[120:121], v[68:69], -v[4:5]
	v_add_f64 v[144:145], v[140:141], v[142:143]
	ds_read_b128 v[140:143], v1 offset:1104
	s_waitcnt lgkmcnt(1)
	v_mul_f64 v[146:147], v[136:137], v[82:83]
	v_add_f64 v[2:3], v[2:3], v[4:5]
	v_mul_f64 v[4:5], v[126:127], v[78:79]
	v_fmac_f64_e32 v[146:147], v[138:139], v[84:85]
	v_fma_f64 v[4:5], v[124:125], v[80:81], -v[4:5]
	v_add_f64 v[148:149], v[144:145], v[146:147]
	ds_read_b128 v[144:147], v1 offset:1120
	v_add_f64 v[2:3], v[2:3], v[4:5]
	v_mul_f64 v[4:5], v[130:131], v[74:75]
	v_fma_f64 v[4:5], v[128:129], v[76:77], -v[4:5]
	v_add_f64 v[2:3], v[2:3], v[4:5]
	v_mul_f64 v[4:5], v[134:135], v[160:161]
	s_waitcnt vmcnt(14) lgkmcnt(1)
	v_mul_f64 v[150:151], v[140:141], v[168:169]
	v_fma_f64 v[4:5], v[132:133], v[162:163], -v[4:5]
	s_waitcnt vmcnt(12)
	v_fmac_f64_e32 v[150:151], v[142:143], v[170:171]
	v_add_f64 v[2:3], v[2:3], v[4:5]
	v_mul_f64 v[4:5], v[138:139], v[82:83]
	v_add_f64 v[152:153], v[148:149], v[150:151]
	ds_read_b128 v[148:151], v1 offset:1136
	s_waitcnt lgkmcnt(1)
	v_mul_f64 v[154:155], v[144:145], v[164:165]
	v_fma_f64 v[4:5], v[136:137], v[84:85], -v[4:5]
	v_fmac_f64_e32 v[154:155], v[146:147], v[166:167]
	v_add_f64 v[2:3], v[2:3], v[4:5]
	v_mul_f64 v[4:5], v[142:143], v[168:169]
	v_add_f64 v[192:193], v[152:153], v[154:155]
	ds_read_b128 v[152:155], v1 offset:1152
	ds_read_b128 v[156:159], v1 offset:1168
	v_fma_f64 v[4:5], v[140:141], v[170:171], -v[4:5]
	v_add_f64 v[2:3], v[2:3], v[4:5]
	v_mul_f64 v[4:5], v[146:147], v[164:165]
	v_fma_f64 v[4:5], v[144:145], v[166:167], -v[4:5]
	v_add_f64 v[2:3], v[2:3], v[4:5]
	s_waitcnt vmcnt(6) lgkmcnt(2)
	v_mul_f64 v[4:5], v[150:151], v[176:177]
	v_mul_f64 v[194:195], v[148:149], v[176:177]
	s_waitcnt vmcnt(4)
	v_fma_f64 v[4:5], v[148:149], v[178:179], -v[4:5]
	v_fmac_f64_e32 v[194:195], v[150:151], v[178:179]
	v_add_f64 v[2:3], v[2:3], v[4:5]
	s_waitcnt lgkmcnt(1)
	v_mul_f64 v[4:5], v[154:155], v[172:173]
	v_add_f64 v[192:193], v[192:193], v[194:195]
	v_mul_f64 v[194:195], v[152:153], v[172:173]
	v_fma_f64 v[4:5], v[152:153], v[174:175], -v[4:5]
	v_fmac_f64_e32 v[194:195], v[154:155], v[174:175]
	v_add_f64 v[2:3], v[2:3], v[4:5]
	s_waitcnt vmcnt(2) lgkmcnt(0)
	v_mul_f64 v[4:5], v[158:159], v[180:181]
	v_add_f64 v[192:193], v[192:193], v[194:195]
	v_mul_f64 v[194:195], v[156:157], v[180:181]
	s_waitcnt vmcnt(0)
	v_fma_f64 v[4:5], v[156:157], v[182:183], -v[4:5]
	v_fmac_f64_e32 v[194:195], v[158:159], v[182:183]
	v_add_f64 v[2:3], v[2:3], v[4:5]
	v_add_f64 v[192:193], v[192:193], v[194:195]
	v_add_f64 v[2:3], v[20:21], -v[2:3]
	v_cmp_lt_u32_e32 vcc, 13, v0
	v_add_f64 v[4:5], v[18:19], -v[192:193]
	buffer_store_dword v3, off, s[0:3], 0 offset:244
	buffer_store_dword v2, off, s[0:3], 0 offset:240
	;; [unrolled: 1-line block ×4, first 2 shown]
	s_and_saveexec_b64 s[4:5], vcc
	s_cbranch_execz .LBB36_209
; %bb.208:
	v_accvgpr_read_b32 v1, a95
	buffer_load_dword v2, v1, s[0:3], 0 offen
	buffer_load_dword v3, v1, s[0:3], 0 offen offset:4
	buffer_load_dword v4, v1, s[0:3], 0 offen offset:8
	;; [unrolled: 1-line block ×3, first 2 shown]
	v_mov_b32_e32 v1, 0
	v_accvgpr_read_b32 v6, a108
	buffer_store_dword v1, off, s[0:3], 0 offset:224
	buffer_store_dword v1, off, s[0:3], 0 offset:228
	buffer_store_dword v1, off, s[0:3], 0 offset:232
	buffer_store_dword v1, off, s[0:3], 0 offset:236
	s_waitcnt vmcnt(4)
	ds_write_b128 v6, v[2:5]
.LBB36_209:
	s_or_b64 exec, exec, s[4:5]
	s_waitcnt lgkmcnt(0)
	; wave barrier
	s_waitcnt lgkmcnt(0)
	buffer_load_dword v9, off, s[0:3], 0 offset:252
	buffer_load_dword v6, off, s[0:3], 0 offset:264
	buffer_load_dword v7, off, s[0:3], 0 offset:268
	buffer_load_dword v8, off, s[0:3], 0 offset:248
	buffer_load_dword v10, off, s[0:3], 0 offset:240
	buffer_load_dword v11, off, s[0:3], 0 offset:244
	buffer_load_dword v4, off, s[0:3], 0 offset:224
	buffer_load_dword v5, off, s[0:3], 0 offset:228
	buffer_load_dword v2, off, s[0:3], 0 offset:232
	buffer_load_dword v3, off, s[0:3], 0 offset:236
	buffer_load_dword v14, off, s[0:3], 0 offset:256
	buffer_load_dword v12, off, s[0:3], 0 offset:272
	buffer_load_dword v13, off, s[0:3], 0 offset:276
	buffer_load_dword v16, off, s[0:3], 0 offset:280
	buffer_load_dword v17, off, s[0:3], 0 offset:284
	buffer_load_dword v15, off, s[0:3], 0 offset:260
	buffer_load_dword v19, off, s[0:3], 0 offset:316
	buffer_load_dword v18, off, s[0:3], 0 offset:312
	buffer_load_dword v21, off, s[0:3], 0 offset:308
	buffer_load_dword v20, off, s[0:3], 0 offset:304
	buffer_load_dword v23, off, s[0:3], 0 offset:300
	buffer_load_dword v22, off, s[0:3], 0 offset:296
	buffer_load_dword v25, off, s[0:3], 0 offset:292
	buffer_load_dword v24, off, s[0:3], 0 offset:288
	buffer_load_dword v27, off, s[0:3], 0 offset:348
	buffer_load_dword v26, off, s[0:3], 0 offset:344
	buffer_load_dword v29, off, s[0:3], 0 offset:340
	buffer_load_dword v28, off, s[0:3], 0 offset:336
	buffer_load_dword v31, off, s[0:3], 0 offset:332
	buffer_load_dword v30, off, s[0:3], 0 offset:328
	buffer_load_dword v33, off, s[0:3], 0 offset:324
	buffer_load_dword v32, off, s[0:3], 0 offset:320
	buffer_load_dword v35, off, s[0:3], 0 offset:380
	buffer_load_dword v34, off, s[0:3], 0 offset:376
	buffer_load_dword v37, off, s[0:3], 0 offset:372
	buffer_load_dword v36, off, s[0:3], 0 offset:368
	buffer_load_dword v39, off, s[0:3], 0 offset:364
	buffer_load_dword v38, off, s[0:3], 0 offset:360
	buffer_load_dword v41, off, s[0:3], 0 offset:356
	buffer_load_dword v40, off, s[0:3], 0 offset:352
	buffer_load_dword v43, off, s[0:3], 0 offset:412
	buffer_load_dword v42, off, s[0:3], 0 offset:408
	buffer_load_dword v45, off, s[0:3], 0 offset:404
	buffer_load_dword v44, off, s[0:3], 0 offset:400
	buffer_load_dword v47, off, s[0:3], 0 offset:396
	buffer_load_dword v46, off, s[0:3], 0 offset:392
	buffer_load_dword v49, off, s[0:3], 0 offset:388
	buffer_load_dword v48, off, s[0:3], 0 offset:384
	buffer_load_dword v51, off, s[0:3], 0 offset:444
	buffer_load_dword v50, off, s[0:3], 0 offset:440
	buffer_load_dword v53, off, s[0:3], 0 offset:436
	buffer_load_dword v52, off, s[0:3], 0 offset:432
	buffer_load_dword v55, off, s[0:3], 0 offset:428
	buffer_load_dword v54, off, s[0:3], 0 offset:424
	buffer_load_dword v57, off, s[0:3], 0 offset:420
	buffer_load_dword v56, off, s[0:3], 0 offset:416
	buffer_load_dword v59, off, s[0:3], 0 offset:476
	buffer_load_dword v58, off, s[0:3], 0 offset:472
	buffer_load_dword v61, off, s[0:3], 0 offset:468
	buffer_load_dword v60, off, s[0:3], 0 offset:464
	buffer_load_dword v63, off, s[0:3], 0 offset:460
	buffer_load_dword v62, off, s[0:3], 0 offset:456
	buffer_load_dword v65, off, s[0:3], 0 offset:452
	buffer_load_dword v64, off, s[0:3], 0 offset:448
	v_mov_b32_e32 v1, 0
	ds_read_b128 v[74:77], v1 offset:816
	ds_read_b128 v[78:81], v1 offset:832
	buffer_load_dword v67, off, s[0:3], 0 offset:508
	buffer_load_dword v66, off, s[0:3], 0 offset:504
	;; [unrolled: 1-line block ×8, first 2 shown]
	ds_read_b128 v[82:85], v1 offset:848
	ds_read_b128 v[86:89], v1 offset:864
	buffer_load_dword v169, off, s[0:3], 0 offset:540
	buffer_load_dword v168, off, s[0:3], 0 offset:536
	;; [unrolled: 1-line block ×24, first 2 shown]
	ds_read_b128 v[164:167], v1 offset:1168
	v_cmp_lt_u32_e32 vcc, 12, v0
	s_waitcnt vmcnt(62) lgkmcnt(1)
	v_mul_f64 v[96:97], v[86:87], v[22:23]
	v_fmac_f64_e32 v[96:97], v[88:89], v[24:25]
	v_mul_f64 v[92:93], v[78:79], v[6:7]
	v_mul_f64 v[90:91], v[74:75], v[8:9]
	v_mul_f64 v[8:9], v[76:77], v[8:9]
	v_fmac_f64_e32 v[90:91], v[76:77], v[10:11]
	v_add_f64 v[90:91], v[90:91], 0
	v_fma_f64 v[8:9], v[74:75], v[10:11], -v[8:9]
	v_mul_f64 v[6:7], v[80:81], v[6:7]
	v_add_f64 v[8:9], v[8:9], 0
	v_fmac_f64_e32 v[92:93], v[80:81], v[14:15]
	v_add_f64 v[90:91], v[90:91], v[92:93]
	v_mul_f64 v[92:93], v[82:83], v[16:17]
	v_fmac_f64_e32 v[92:93], v[84:85], v[12:13]
	v_add_f64 v[94:95], v[90:91], v[92:93]
	ds_read_b128 v[90:93], v1 offset:880
	v_add_f64 v[98:99], v[94:95], v[96:97]
	ds_read_b128 v[94:97], v1 offset:896
	v_fma_f64 v[6:7], v[78:79], v[14:15], -v[6:7]
	v_add_f64 v[6:7], v[8:9], v[6:7]
	s_waitcnt lgkmcnt(1)
	v_mul_f64 v[100:101], v[90:91], v[18:19]
	v_fmac_f64_e32 v[100:101], v[92:93], v[20:21]
	v_add_f64 v[102:103], v[98:99], v[100:101]
	ds_read_b128 v[98:101], v1 offset:912
	s_waitcnt lgkmcnt(1)
	v_mul_f64 v[104:105], v[94:95], v[30:31]
	v_fmac_f64_e32 v[104:105], v[96:97], v[32:33]
	v_add_f64 v[106:107], v[102:103], v[104:105]
	ds_read_b128 v[102:105], v1 offset:928
	;; [unrolled: 5-line block ×3, first 2 shown]
	s_waitcnt vmcnt(58) lgkmcnt(1)
	v_mul_f64 v[112:113], v[102:103], v[38:39]
	s_waitcnt vmcnt(56)
	v_fmac_f64_e32 v[112:113], v[104:105], v[40:41]
	v_add_f64 v[114:115], v[110:111], v[112:113]
	ds_read_b128 v[110:113], v1 offset:960
	s_waitcnt lgkmcnt(1)
	v_mul_f64 v[116:117], v[106:107], v[34:35]
	v_fmac_f64_e32 v[116:117], v[108:109], v[36:37]
	v_add_f64 v[120:121], v[114:115], v[116:117]
	ds_read_b128 v[114:117], v1 offset:976
	s_waitcnt vmcnt(50) lgkmcnt(1)
	v_mul_f64 v[122:123], v[110:111], v[46:47]
	s_waitcnt vmcnt(48)
	v_fmac_f64_e32 v[122:123], v[112:113], v[48:49]
	v_add_f64 v[124:125], v[120:121], v[122:123]
	ds_read_b128 v[120:123], v1 offset:992
	v_mul_f64 v[8:9], v[84:85], v[16:17]
	s_waitcnt lgkmcnt(1)
	v_mul_f64 v[126:127], v[114:115], v[42:43]
	v_fma_f64 v[8:9], v[82:83], v[12:13], -v[8:9]
	v_fmac_f64_e32 v[126:127], v[116:117], v[44:45]
	v_add_f64 v[6:7], v[6:7], v[8:9]
	v_mul_f64 v[8:9], v[88:89], v[22:23]
	v_add_f64 v[128:129], v[124:125], v[126:127]
	ds_read_b128 v[124:127], v1 offset:1008
	s_waitcnt vmcnt(42) lgkmcnt(1)
	v_mul_f64 v[130:131], v[120:121], v[54:55]
	v_fma_f64 v[8:9], v[86:87], v[24:25], -v[8:9]
	s_waitcnt vmcnt(40)
	v_fmac_f64_e32 v[130:131], v[122:123], v[56:57]
	v_add_f64 v[6:7], v[6:7], v[8:9]
	v_mul_f64 v[8:9], v[92:93], v[18:19]
	v_add_f64 v[132:133], v[128:129], v[130:131]
	ds_read_b128 v[128:131], v1 offset:1024
	v_fma_f64 v[8:9], v[90:91], v[20:21], -v[8:9]
	v_add_f64 v[6:7], v[6:7], v[8:9]
	v_mul_f64 v[8:9], v[96:97], v[30:31]
	v_fma_f64 v[8:9], v[94:95], v[32:33], -v[8:9]
	s_waitcnt lgkmcnt(1)
	v_mul_f64 v[134:135], v[124:125], v[50:51]
	v_add_f64 v[6:7], v[6:7], v[8:9]
	v_mul_f64 v[8:9], v[100:101], v[26:27]
	v_fmac_f64_e32 v[134:135], v[126:127], v[52:53]
	v_fma_f64 v[8:9], v[98:99], v[28:29], -v[8:9]
	v_add_f64 v[136:137], v[132:133], v[134:135]
	ds_read_b128 v[132:135], v1 offset:1040
	s_waitcnt vmcnt(34) lgkmcnt(1)
	v_mul_f64 v[138:139], v[128:129], v[62:63]
	v_add_f64 v[6:7], v[6:7], v[8:9]
	v_mul_f64 v[8:9], v[104:105], v[38:39]
	s_waitcnt vmcnt(32)
	v_fmac_f64_e32 v[138:139], v[130:131], v[64:65]
	v_fma_f64 v[8:9], v[102:103], v[40:41], -v[8:9]
	v_add_f64 v[140:141], v[136:137], v[138:139]
	ds_read_b128 v[136:139], v1 offset:1056
	v_add_f64 v[6:7], v[6:7], v[8:9]
	v_mul_f64 v[8:9], v[108:109], v[34:35]
	v_fma_f64 v[8:9], v[106:107], v[36:37], -v[8:9]
	v_add_f64 v[6:7], v[6:7], v[8:9]
	v_mul_f64 v[8:9], v[112:113], v[46:47]
	s_waitcnt lgkmcnt(1)
	v_mul_f64 v[142:143], v[132:133], v[58:59]
	v_fma_f64 v[8:9], v[110:111], v[48:49], -v[8:9]
	v_fmac_f64_e32 v[142:143], v[134:135], v[60:61]
	v_add_f64 v[6:7], v[6:7], v[8:9]
	v_mul_f64 v[8:9], v[116:117], v[42:43]
	v_add_f64 v[144:145], v[140:141], v[142:143]
	ds_read_b128 v[140:143], v1 offset:1072
	s_waitcnt vmcnt(26) lgkmcnt(1)
	v_mul_f64 v[146:147], v[136:137], v[70:71]
	v_fma_f64 v[8:9], v[114:115], v[44:45], -v[8:9]
	s_waitcnt vmcnt(24)
	v_fmac_f64_e32 v[146:147], v[138:139], v[72:73]
	v_add_f64 v[6:7], v[6:7], v[8:9]
	v_mul_f64 v[8:9], v[122:123], v[54:55]
	v_add_f64 v[148:149], v[144:145], v[146:147]
	ds_read_b128 v[144:147], v1 offset:1088
	v_fma_f64 v[8:9], v[120:121], v[56:57], -v[8:9]
	v_add_f64 v[6:7], v[6:7], v[8:9]
	v_mul_f64 v[8:9], v[126:127], v[50:51]
	v_fma_f64 v[8:9], v[124:125], v[52:53], -v[8:9]
	s_waitcnt lgkmcnt(1)
	v_mul_f64 v[150:151], v[140:141], v[66:67]
	v_add_f64 v[6:7], v[6:7], v[8:9]
	v_mul_f64 v[8:9], v[130:131], v[62:63]
	v_fmac_f64_e32 v[150:151], v[142:143], v[68:69]
	v_fma_f64 v[8:9], v[128:129], v[64:65], -v[8:9]
	v_add_f64 v[152:153], v[148:149], v[150:151]
	ds_read_b128 v[148:151], v1 offset:1104
	s_waitcnt vmcnt(18) lgkmcnt(1)
	v_mul_f64 v[154:155], v[144:145], v[172:173]
	v_add_f64 v[6:7], v[6:7], v[8:9]
	v_mul_f64 v[8:9], v[134:135], v[58:59]
	s_waitcnt vmcnt(16)
	v_fmac_f64_e32 v[154:155], v[146:147], v[174:175]
	v_fma_f64 v[8:9], v[132:133], v[60:61], -v[8:9]
	v_add_f64 v[156:157], v[152:153], v[154:155]
	ds_read_b128 v[152:155], v1 offset:1120
	v_add_f64 v[6:7], v[6:7], v[8:9]
	v_mul_f64 v[8:9], v[138:139], v[70:71]
	v_fma_f64 v[8:9], v[136:137], v[72:73], -v[8:9]
	v_add_f64 v[6:7], v[6:7], v[8:9]
	v_mul_f64 v[8:9], v[142:143], v[66:67]
	s_waitcnt lgkmcnt(1)
	v_mul_f64 v[158:159], v[148:149], v[168:169]
	v_fma_f64 v[8:9], v[140:141], v[68:69], -v[8:9]
	v_fmac_f64_e32 v[158:159], v[150:151], v[170:171]
	v_add_f64 v[6:7], v[6:7], v[8:9]
	v_mul_f64 v[8:9], v[146:147], v[172:173]
	v_add_f64 v[160:161], v[156:157], v[158:159]
	ds_read_b128 v[156:159], v1 offset:1136
	s_waitcnt vmcnt(10) lgkmcnt(1)
	v_mul_f64 v[162:163], v[152:153], v[180:181]
	v_fma_f64 v[8:9], v[144:145], v[174:175], -v[8:9]
	s_waitcnt vmcnt(8)
	v_fmac_f64_e32 v[162:163], v[154:155], v[182:183]
	v_add_f64 v[6:7], v[6:7], v[8:9]
	v_mul_f64 v[8:9], v[150:151], v[168:169]
	v_add_f64 v[200:201], v[160:161], v[162:163]
	ds_read_b128 v[160:163], v1 offset:1152
	v_fma_f64 v[8:9], v[148:149], v[170:171], -v[8:9]
	v_add_f64 v[6:7], v[6:7], v[8:9]
	v_mul_f64 v[8:9], v[154:155], v[180:181]
	v_fma_f64 v[8:9], v[152:153], v[182:183], -v[8:9]
	v_add_f64 v[6:7], v[6:7], v[8:9]
	s_waitcnt lgkmcnt(1)
	v_mul_f64 v[8:9], v[158:159], v[176:177]
	v_mul_f64 v[202:203], v[156:157], v[176:177]
	v_fma_f64 v[8:9], v[156:157], v[178:179], -v[8:9]
	v_fmac_f64_e32 v[202:203], v[158:159], v[178:179]
	v_add_f64 v[6:7], v[6:7], v[8:9]
	s_waitcnt vmcnt(2) lgkmcnt(0)
	v_mul_f64 v[8:9], v[162:163], v[196:197]
	v_add_f64 v[200:201], v[200:201], v[202:203]
	v_mul_f64 v[202:203], v[160:161], v[196:197]
	s_waitcnt vmcnt(0)
	v_fma_f64 v[8:9], v[160:161], v[198:199], -v[8:9]
	v_fmac_f64_e32 v[202:203], v[162:163], v[198:199]
	v_add_f64 v[6:7], v[6:7], v[8:9]
	v_mul_f64 v[8:9], v[166:167], v[192:193]
	v_add_f64 v[200:201], v[200:201], v[202:203]
	v_mul_f64 v[202:203], v[164:165], v[192:193]
	v_fma_f64 v[8:9], v[164:165], v[194:195], -v[8:9]
	v_fmac_f64_e32 v[202:203], v[166:167], v[194:195]
	v_add_f64 v[6:7], v[6:7], v[8:9]
	v_add_f64 v[200:201], v[200:201], v[202:203]
	v_add_f64 v[4:5], v[4:5], -v[6:7]
	v_add_f64 v[2:3], v[2:3], -v[200:201]
	buffer_store_dword v5, off, s[0:3], 0 offset:228
	buffer_store_dword v4, off, s[0:3], 0 offset:224
	buffer_store_dword v3, off, s[0:3], 0 offset:236
	buffer_store_dword v2, off, s[0:3], 0 offset:232
	s_and_saveexec_b64 s[4:5], vcc
	s_cbranch_execz .LBB36_211
; %bb.210:
	v_accvgpr_read_b32 v5, a96
	buffer_load_dword v2, v5, s[0:3], 0 offen
	buffer_load_dword v3, v5, s[0:3], 0 offen offset:4
	buffer_load_dword v4, v5, s[0:3], 0 offen offset:8
	s_nop 0
	buffer_load_dword v5, v5, s[0:3], 0 offen offset:12
	v_accvgpr_read_b32 v6, a108
	buffer_store_dword v1, off, s[0:3], 0 offset:208
	buffer_store_dword v1, off, s[0:3], 0 offset:212
	;; [unrolled: 1-line block ×4, first 2 shown]
	s_waitcnt vmcnt(4)
	ds_write_b128 v6, v[2:5]
.LBB36_211:
	s_or_b64 exec, exec, s[4:5]
	s_waitcnt lgkmcnt(0)
	; wave barrier
	s_waitcnt lgkmcnt(0)
	buffer_load_dword v22, off, s[0:3], 0 offset:224
	buffer_load_dword v23, off, s[0:3], 0 offset:228
	;; [unrolled: 1-line block ×16, first 2 shown]
	ds_read_b128 v[2:5], v1 offset:800
	ds_read_b128 v[6:9], v1 offset:816
	;; [unrolled: 1-line block ×4, first 2 shown]
	buffer_load_dword v35, off, s[0:3], 0 offset:300
	buffer_load_dword v34, off, s[0:3], 0 offset:296
	;; [unrolled: 1-line block ×48, first 2 shown]
	v_cmp_lt_u32_e32 vcc, 11, v0
	s_waitcnt vmcnt(42) lgkmcnt(0)
	v_mul_f64 v[104:105], v[14:15], v[38:39]
	s_waitcnt vmcnt(40)
	v_fmac_f64_e32 v[104:105], v[16:17], v[40:41]
	v_mul_f64 v[82:83], v[2:3], v[24:25]
	v_fmac_f64_e32 v[82:83], v[4:5], v[22:23]
	v_add_f64 v[82:83], v[82:83], 0
	v_mul_f64 v[4:5], v[4:5], v[24:25]
	v_mul_f64 v[84:85], v[6:7], v[32:33]
	v_fma_f64 v[2:3], v[2:3], v[22:23], -v[4:5]
	v_mul_f64 v[98:99], v[10:11], v[26:27]
	v_fmac_f64_e32 v[98:99], v[12:13], v[30:31]
	v_fmac_f64_e32 v[84:85], v[8:9], v[28:29]
	v_add_f64 v[100:101], v[82:83], v[84:85]
	buffer_load_dword v83, off, s[0:3], 0 offset:492
	buffer_load_dword v82, off, s[0:3], 0 offset:488
	;; [unrolled: 1-line block ×32, first 2 shown]
	v_add_f64 v[102:103], v[100:101], v[98:99]
	ds_read_b128 v[98:101], v1 offset:864
	buffer_load_dword v205, off, s[0:3], 0 offset:604
	buffer_load_dword v204, off, s[0:3], 0 offset:600
	buffer_load_dword v207, off, s[0:3], 0 offset:596
	buffer_load_dword v206, off, s[0:3], 0 offset:592
	v_add_f64 v[106:107], v[102:103], v[104:105]
	ds_read_b128 v[102:105], v1 offset:880
	v_mul_f64 v[4:5], v[8:9], v[32:33]
	s_waitcnt lgkmcnt(1)
	v_mul_f64 v[108:109], v[98:99], v[34:35]
	v_fmac_f64_e32 v[108:109], v[100:101], v[36:37]
	v_add_f64 v[110:111], v[106:107], v[108:109]
	ds_read_b128 v[106:109], v1 offset:896
	s_waitcnt vmcnt(62) lgkmcnt(1)
	v_mul_f64 v[112:113], v[102:103], v[46:47]
	v_fmac_f64_e32 v[112:113], v[104:105], v[48:49]
	v_add_f64 v[114:115], v[110:111], v[112:113]
	ds_read_b128 v[110:113], v1 offset:912
	s_waitcnt lgkmcnt(1)
	v_mul_f64 v[116:117], v[106:107], v[42:43]
	v_fmac_f64_e32 v[116:117], v[108:109], v[44:45]
	v_add_f64 v[120:121], v[114:115], v[116:117]
	ds_read_b128 v[114:117], v1 offset:928
	s_waitcnt lgkmcnt(1)
	v_mul_f64 v[122:123], v[110:111], v[54:55]
	s_waitcnt vmcnt(60)
	v_fmac_f64_e32 v[122:123], v[112:113], v[56:57]
	v_add_f64 v[124:125], v[120:121], v[122:123]
	ds_read_b128 v[120:123], v1 offset:944
	s_waitcnt lgkmcnt(1)
	v_mul_f64 v[126:127], v[114:115], v[50:51]
	v_fmac_f64_e32 v[126:127], v[116:117], v[52:53]
	v_add_f64 v[128:129], v[124:125], v[126:127]
	ds_read_b128 v[124:127], v1 offset:960
	s_waitcnt vmcnt(54) lgkmcnt(1)
	v_mul_f64 v[130:131], v[120:121], v[62:63]
	s_waitcnt vmcnt(52)
	v_fmac_f64_e32 v[130:131], v[122:123], v[64:65]
	v_add_f64 v[132:133], v[128:129], v[130:131]
	ds_read_b128 v[128:131], v1 offset:976
	s_waitcnt lgkmcnt(1)
	v_mul_f64 v[134:135], v[124:125], v[58:59]
	v_fmac_f64_e32 v[134:135], v[126:127], v[60:61]
	v_add_f64 v[2:3], v[2:3], 0
	v_fma_f64 v[4:5], v[6:7], v[28:29], -v[4:5]
	v_add_f64 v[136:137], v[132:133], v[134:135]
	ds_read_b128 v[132:135], v1 offset:992
	v_add_f64 v[2:3], v[2:3], v[4:5]
	v_mul_f64 v[4:5], v[12:13], v[26:27]
	v_fma_f64 v[4:5], v[10:11], v[30:31], -v[4:5]
	v_add_f64 v[2:3], v[2:3], v[4:5]
	v_mul_f64 v[4:5], v[16:17], v[38:39]
	s_waitcnt vmcnt(46) lgkmcnt(1)
	v_mul_f64 v[138:139], v[128:129], v[70:71]
	v_fma_f64 v[4:5], v[14:15], v[40:41], -v[4:5]
	s_waitcnt vmcnt(44)
	v_fmac_f64_e32 v[138:139], v[130:131], v[72:73]
	v_add_f64 v[2:3], v[2:3], v[4:5]
	v_mul_f64 v[4:5], v[100:101], v[34:35]
	v_add_f64 v[140:141], v[136:137], v[138:139]
	ds_read_b128 v[136:139], v1 offset:1008
	s_waitcnt lgkmcnt(1)
	v_mul_f64 v[142:143], v[132:133], v[66:67]
	v_fma_f64 v[4:5], v[98:99], v[36:37], -v[4:5]
	v_fmac_f64_e32 v[142:143], v[134:135], v[68:69]
	v_add_f64 v[2:3], v[2:3], v[4:5]
	v_mul_f64 v[4:5], v[104:105], v[46:47]
	v_add_f64 v[144:145], v[140:141], v[142:143]
	ds_read_b128 v[140:143], v1 offset:1024
	v_fma_f64 v[4:5], v[102:103], v[48:49], -v[4:5]
	v_add_f64 v[2:3], v[2:3], v[4:5]
	v_mul_f64 v[4:5], v[108:109], v[42:43]
	v_fma_f64 v[4:5], v[106:107], v[44:45], -v[4:5]
	s_waitcnt vmcnt(38) lgkmcnt(1)
	v_mul_f64 v[146:147], v[136:137], v[78:79]
	v_add_f64 v[2:3], v[2:3], v[4:5]
	v_mul_f64 v[4:5], v[112:113], v[54:55]
	s_waitcnt vmcnt(36)
	v_fmac_f64_e32 v[146:147], v[138:139], v[80:81]
	v_fma_f64 v[4:5], v[110:111], v[56:57], -v[4:5]
	v_add_f64 v[148:149], v[144:145], v[146:147]
	ds_read_b128 v[144:147], v1 offset:1040
	s_waitcnt lgkmcnt(1)
	v_mul_f64 v[150:151], v[140:141], v[74:75]
	v_add_f64 v[2:3], v[2:3], v[4:5]
	v_mul_f64 v[4:5], v[116:117], v[50:51]
	v_fmac_f64_e32 v[150:151], v[142:143], v[76:77]
	v_fma_f64 v[4:5], v[114:115], v[52:53], -v[4:5]
	v_add_f64 v[152:153], v[148:149], v[150:151]
	ds_read_b128 v[148:151], v1 offset:1056
	v_add_f64 v[2:3], v[2:3], v[4:5]
	v_mul_f64 v[4:5], v[122:123], v[62:63]
	v_fma_f64 v[4:5], v[120:121], v[64:65], -v[4:5]
	v_add_f64 v[2:3], v[2:3], v[4:5]
	v_mul_f64 v[4:5], v[126:127], v[58:59]
	s_waitcnt vmcnt(30) lgkmcnt(1)
	v_mul_f64 v[154:155], v[144:145], v[86:87]
	v_fma_f64 v[4:5], v[124:125], v[60:61], -v[4:5]
	s_waitcnt vmcnt(28)
	v_fmac_f64_e32 v[154:155], v[146:147], v[88:89]
	v_add_f64 v[2:3], v[2:3], v[4:5]
	v_mul_f64 v[4:5], v[130:131], v[70:71]
	v_add_f64 v[156:157], v[152:153], v[154:155]
	ds_read_b128 v[152:155], v1 offset:1072
	s_waitcnt lgkmcnt(1)
	v_mul_f64 v[158:159], v[148:149], v[82:83]
	v_fma_f64 v[4:5], v[128:129], v[72:73], -v[4:5]
	v_fmac_f64_e32 v[158:159], v[150:151], v[84:85]
	v_add_f64 v[2:3], v[2:3], v[4:5]
	v_mul_f64 v[4:5], v[134:135], v[66:67]
	v_add_f64 v[160:161], v[156:157], v[158:159]
	ds_read_b128 v[156:159], v1 offset:1088
	v_fma_f64 v[4:5], v[132:133], v[68:69], -v[4:5]
	v_add_f64 v[2:3], v[2:3], v[4:5]
	v_mul_f64 v[4:5], v[138:139], v[78:79]
	v_fma_f64 v[4:5], v[136:137], v[80:81], -v[4:5]
	s_waitcnt vmcnt(22) lgkmcnt(1)
	v_mul_f64 v[162:163], v[152:153], v[94:95]
	v_add_f64 v[2:3], v[2:3], v[4:5]
	v_mul_f64 v[4:5], v[142:143], v[74:75]
	s_waitcnt vmcnt(20)
	v_fmac_f64_e32 v[162:163], v[154:155], v[96:97]
	v_fma_f64 v[4:5], v[140:141], v[76:77], -v[4:5]
	v_add_f64 v[164:165], v[160:161], v[162:163]
	ds_read_b128 v[160:163], v1 offset:1104
	s_waitcnt lgkmcnt(1)
	v_mul_f64 v[166:167], v[156:157], v[90:91]
	v_add_f64 v[2:3], v[2:3], v[4:5]
	v_mul_f64 v[4:5], v[146:147], v[86:87]
	v_fmac_f64_e32 v[166:167], v[158:159], v[92:93]
	v_fma_f64 v[4:5], v[144:145], v[88:89], -v[4:5]
	v_add_f64 v[168:169], v[164:165], v[166:167]
	ds_read_b128 v[164:167], v1 offset:1120
	v_add_f64 v[2:3], v[2:3], v[4:5]
	v_mul_f64 v[4:5], v[150:151], v[82:83]
	v_fma_f64 v[4:5], v[148:149], v[84:85], -v[4:5]
	v_add_f64 v[2:3], v[2:3], v[4:5]
	v_mul_f64 v[4:5], v[154:155], v[94:95]
	s_waitcnt vmcnt(14) lgkmcnt(1)
	v_mul_f64 v[170:171], v[160:161], v[192:193]
	v_fma_f64 v[4:5], v[152:153], v[96:97], -v[4:5]
	s_waitcnt vmcnt(12)
	v_fmac_f64_e32 v[170:171], v[162:163], v[194:195]
	v_add_f64 v[2:3], v[2:3], v[4:5]
	v_mul_f64 v[4:5], v[158:159], v[90:91]
	v_add_f64 v[172:173], v[168:169], v[170:171]
	ds_read_b128 v[168:171], v1 offset:1136
	s_waitcnt lgkmcnt(1)
	v_mul_f64 v[174:175], v[164:165], v[180:181]
	v_fma_f64 v[4:5], v[156:157], v[92:93], -v[4:5]
	v_fmac_f64_e32 v[174:175], v[166:167], v[182:183]
	v_add_f64 v[2:3], v[2:3], v[4:5]
	v_mul_f64 v[4:5], v[162:163], v[192:193]
	v_add_f64 v[208:209], v[172:173], v[174:175]
	ds_read_b128 v[172:175], v1 offset:1152
	v_fma_f64 v[4:5], v[160:161], v[194:195], -v[4:5]
	v_add_f64 v[2:3], v[2:3], v[4:5]
	v_mul_f64 v[4:5], v[166:167], v[180:181]
	ds_read_b128 v[176:179], v1 offset:1168
	v_fma_f64 v[4:5], v[164:165], v[182:183], -v[4:5]
	v_add_f64 v[2:3], v[2:3], v[4:5]
	s_waitcnt vmcnt(6) lgkmcnt(2)
	v_mul_f64 v[4:5], v[170:171], v[200:201]
	v_mul_f64 v[210:211], v[168:169], v[200:201]
	s_waitcnt vmcnt(4)
	v_fma_f64 v[4:5], v[168:169], v[202:203], -v[4:5]
	v_fmac_f64_e32 v[210:211], v[170:171], v[202:203]
	v_add_f64 v[2:3], v[2:3], v[4:5]
	s_waitcnt lgkmcnt(1)
	v_mul_f64 v[4:5], v[174:175], v[196:197]
	v_add_f64 v[208:209], v[208:209], v[210:211]
	v_mul_f64 v[210:211], v[172:173], v[196:197]
	v_fma_f64 v[4:5], v[172:173], v[198:199], -v[4:5]
	v_fmac_f64_e32 v[210:211], v[174:175], v[198:199]
	v_add_f64 v[2:3], v[2:3], v[4:5]
	s_waitcnt vmcnt(2) lgkmcnt(0)
	v_mul_f64 v[4:5], v[178:179], v[204:205]
	v_add_f64 v[208:209], v[208:209], v[210:211]
	v_mul_f64 v[210:211], v[176:177], v[204:205]
	s_waitcnt vmcnt(0)
	v_fma_f64 v[4:5], v[176:177], v[206:207], -v[4:5]
	v_fmac_f64_e32 v[210:211], v[178:179], v[206:207]
	v_add_f64 v[2:3], v[2:3], v[4:5]
	v_add_f64 v[208:209], v[208:209], v[210:211]
	v_add_f64 v[2:3], v[20:21], -v[2:3]
	v_add_f64 v[4:5], v[18:19], -v[208:209]
	buffer_store_dword v3, off, s[0:3], 0 offset:212
	buffer_store_dword v2, off, s[0:3], 0 offset:208
	;; [unrolled: 1-line block ×4, first 2 shown]
	s_and_saveexec_b64 s[4:5], vcc
	s_cbranch_execz .LBB36_213
; %bb.212:
	v_accvgpr_read_b32 v1, a97
	buffer_load_dword v2, v1, s[0:3], 0 offen
	buffer_load_dword v3, v1, s[0:3], 0 offen offset:4
	buffer_load_dword v4, v1, s[0:3], 0 offen offset:8
	;; [unrolled: 1-line block ×3, first 2 shown]
	v_mov_b32_e32 v1, 0
	v_accvgpr_read_b32 v6, a108
	buffer_store_dword v1, off, s[0:3], 0 offset:192
	buffer_store_dword v1, off, s[0:3], 0 offset:196
	;; [unrolled: 1-line block ×4, first 2 shown]
	s_waitcnt vmcnt(4)
	ds_write_b128 v6, v[2:5]
.LBB36_213:
	s_or_b64 exec, exec, s[4:5]
	s_waitcnt lgkmcnt(0)
	; wave barrier
	s_waitcnt lgkmcnt(0)
	buffer_load_dword v22, off, s[0:3], 0 offset:208
	buffer_load_dword v23, off, s[0:3], 0 offset:212
	;; [unrolled: 1-line block ×64, first 2 shown]
	v_mov_b32_e32 v1, 0
	ds_read_b128 v[18:21], v1 offset:784
	ds_read_b128 v[14:17], v1 offset:800
	;; [unrolled: 1-line block ×5, first 2 shown]
	v_cmp_lt_u32_e32 vcc, 10, v0
	s_waitcnt vmcnt(60) lgkmcnt(4)
	v_mul_f64 v[86:87], v[18:19], v[26:27]
	v_fmac_f64_e32 v[86:87], v[20:21], v[22:23]
	v_add_f64 v[86:87], v[86:87], 0
	v_mul_f64 v[20:21], v[20:21], v[26:27]
	s_waitcnt vmcnt(56) lgkmcnt(3)
	v_mul_f64 v[88:89], v[14:15], v[28:29]
	v_fmac_f64_e32 v[88:89], v[16:17], v[24:25]
	s_waitcnt vmcnt(54) lgkmcnt(2)
	v_mul_f64 v[90:91], v[10:11], v[30:31]
	v_add_f64 v[86:87], v[86:87], v[88:89]
	v_fma_f64 v[18:19], v[18:19], v[22:23], -v[20:21]
	v_mul_f64 v[16:17], v[16:17], v[28:29]
	s_waitcnt vmcnt(50) lgkmcnt(1)
	v_mul_f64 v[102:103], v[6:7], v[40:41]
	v_add_f64 v[18:19], v[18:19], 0
	s_waitcnt vmcnt(48)
	v_fmac_f64_e32 v[90:91], v[12:13], v[44:45]
	v_add_f64 v[104:105], v[86:87], v[90:91]
	buffer_load_dword v87, off, s[0:3], 0 offset:476
	buffer_load_dword v86, off, s[0:3], 0 offset:472
	;; [unrolled: 1-line block ×40, first 2 shown]
	s_waitcnt vmcnt(62)
	v_fmac_f64_e32 v[102:103], v[8:9], v[42:43]
	v_add_f64 v[106:107], v[104:105], v[102:103]
	ds_read_b128 v[102:105], v1 offset:864
	s_waitcnt lgkmcnt(1)
	v_mul_f64 v[108:109], v[2:3], v[36:37]
	v_fmac_f64_e32 v[108:109], v[4:5], v[38:39]
	v_add_f64 v[110:111], v[106:107], v[108:109]
	ds_read_b128 v[106:109], v1 offset:880
	s_waitcnt lgkmcnt(1)
	v_mul_f64 v[112:113], v[102:103], v[50:51]
	v_fmac_f64_e32 v[112:113], v[104:105], v[52:53]
	v_add_f64 v[114:115], v[110:111], v[112:113]
	ds_read_b128 v[110:113], v1 offset:896
	s_waitcnt lgkmcnt(1)
	v_mul_f64 v[116:117], v[106:107], v[46:47]
	v_fmac_f64_e32 v[116:117], v[108:109], v[48:49]
	v_add_f64 v[120:121], v[114:115], v[116:117]
	ds_read_b128 v[114:117], v1 offset:912
	s_waitcnt lgkmcnt(1)
	v_mul_f64 v[122:123], v[110:111], v[58:59]
	v_fmac_f64_e32 v[122:123], v[112:113], v[60:61]
	v_add_f64 v[124:125], v[120:121], v[122:123]
	ds_read_b128 v[120:123], v1 offset:928
	s_waitcnt lgkmcnt(1)
	v_mul_f64 v[126:127], v[114:115], v[54:55]
	v_fmac_f64_e32 v[126:127], v[116:117], v[56:57]
	v_add_f64 v[128:129], v[124:125], v[126:127]
	ds_read_b128 v[124:127], v1 offset:944
	s_waitcnt vmcnt(58) lgkmcnt(1)
	v_mul_f64 v[130:131], v[120:121], v[66:67]
	s_waitcnt vmcnt(56)
	v_fmac_f64_e32 v[130:131], v[122:123], v[68:69]
	v_add_f64 v[132:133], v[128:129], v[130:131]
	ds_read_b128 v[128:131], v1 offset:960
	s_waitcnt lgkmcnt(1)
	v_mul_f64 v[134:135], v[124:125], v[62:63]
	v_fmac_f64_e32 v[134:135], v[126:127], v[64:65]
	v_add_f64 v[136:137], v[132:133], v[134:135]
	ds_read_b128 v[132:135], v1 offset:976
	s_waitcnt vmcnt(50) lgkmcnt(1)
	v_mul_f64 v[138:139], v[128:129], v[74:75]
	s_waitcnt vmcnt(48)
	v_fmac_f64_e32 v[138:139], v[130:131], v[76:77]
	v_add_f64 v[140:141], v[136:137], v[138:139]
	ds_read_b128 v[136:139], v1 offset:992
	v_fma_f64 v[14:15], v[14:15], v[24:25], -v[16:17]
	v_mul_f64 v[12:13], v[12:13], v[30:31]
	v_add_f64 v[14:15], v[18:19], v[14:15]
	v_fma_f64 v[10:11], v[10:11], v[44:45], -v[12:13]
	v_mul_f64 v[8:9], v[8:9], v[40:41]
	s_waitcnt lgkmcnt(1)
	v_mul_f64 v[142:143], v[132:133], v[70:71]
	v_add_f64 v[10:11], v[14:15], v[10:11]
	v_fma_f64 v[6:7], v[6:7], v[42:43], -v[8:9]
	v_mul_f64 v[4:5], v[4:5], v[36:37]
	v_fmac_f64_e32 v[142:143], v[134:135], v[72:73]
	v_add_f64 v[6:7], v[10:11], v[6:7]
	v_fma_f64 v[2:3], v[2:3], v[38:39], -v[4:5]
	v_mul_f64 v[4:5], v[104:105], v[50:51]
	v_add_f64 v[144:145], v[140:141], v[142:143]
	ds_read_b128 v[140:143], v1 offset:1008
	s_waitcnt vmcnt(42) lgkmcnt(1)
	v_mul_f64 v[146:147], v[136:137], v[82:83]
	v_add_f64 v[2:3], v[6:7], v[2:3]
	v_fma_f64 v[4:5], v[102:103], v[52:53], -v[4:5]
	s_waitcnt vmcnt(40)
	v_fmac_f64_e32 v[146:147], v[138:139], v[84:85]
	v_add_f64 v[2:3], v[2:3], v[4:5]
	v_mul_f64 v[4:5], v[108:109], v[46:47]
	v_add_f64 v[148:149], v[144:145], v[146:147]
	ds_read_b128 v[144:147], v1 offset:1024
	v_fma_f64 v[4:5], v[106:107], v[48:49], -v[4:5]
	v_add_f64 v[2:3], v[2:3], v[4:5]
	v_mul_f64 v[4:5], v[112:113], v[58:59]
	v_fma_f64 v[4:5], v[110:111], v[60:61], -v[4:5]
	s_waitcnt lgkmcnt(1)
	v_mul_f64 v[150:151], v[140:141], v[78:79]
	v_add_f64 v[2:3], v[2:3], v[4:5]
	v_mul_f64 v[4:5], v[116:117], v[54:55]
	v_fmac_f64_e32 v[150:151], v[142:143], v[80:81]
	v_fma_f64 v[4:5], v[114:115], v[56:57], -v[4:5]
	v_add_f64 v[152:153], v[148:149], v[150:151]
	ds_read_b128 v[148:151], v1 offset:1040
	s_waitcnt vmcnt(34) lgkmcnt(1)
	v_mul_f64 v[154:155], v[144:145], v[90:91]
	v_add_f64 v[2:3], v[2:3], v[4:5]
	v_mul_f64 v[4:5], v[122:123], v[66:67]
	s_waitcnt vmcnt(32)
	v_fmac_f64_e32 v[154:155], v[146:147], v[92:93]
	v_fma_f64 v[4:5], v[120:121], v[68:69], -v[4:5]
	v_add_f64 v[156:157], v[152:153], v[154:155]
	ds_read_b128 v[152:155], v1 offset:1056
	v_add_f64 v[2:3], v[2:3], v[4:5]
	v_mul_f64 v[4:5], v[126:127], v[62:63]
	v_fma_f64 v[4:5], v[124:125], v[64:65], -v[4:5]
	v_add_f64 v[2:3], v[2:3], v[4:5]
	v_mul_f64 v[4:5], v[130:131], v[74:75]
	s_waitcnt lgkmcnt(1)
	v_mul_f64 v[158:159], v[148:149], v[86:87]
	v_fma_f64 v[4:5], v[128:129], v[76:77], -v[4:5]
	v_fmac_f64_e32 v[158:159], v[150:151], v[88:89]
	v_add_f64 v[2:3], v[2:3], v[4:5]
	v_mul_f64 v[4:5], v[134:135], v[70:71]
	v_add_f64 v[160:161], v[156:157], v[158:159]
	ds_read_b128 v[156:159], v1 offset:1072
	s_waitcnt vmcnt(26) lgkmcnt(1)
	v_mul_f64 v[162:163], v[152:153], v[98:99]
	v_fma_f64 v[4:5], v[132:133], v[72:73], -v[4:5]
	s_waitcnt vmcnt(24)
	v_fmac_f64_e32 v[162:163], v[154:155], v[100:101]
	v_add_f64 v[2:3], v[2:3], v[4:5]
	v_mul_f64 v[4:5], v[138:139], v[82:83]
	v_add_f64 v[164:165], v[160:161], v[162:163]
	ds_read_b128 v[160:163], v1 offset:1088
	v_fma_f64 v[4:5], v[136:137], v[84:85], -v[4:5]
	v_add_f64 v[2:3], v[2:3], v[4:5]
	v_mul_f64 v[4:5], v[142:143], v[78:79]
	v_fma_f64 v[4:5], v[140:141], v[80:81], -v[4:5]
	s_waitcnt lgkmcnt(1)
	v_mul_f64 v[166:167], v[156:157], v[94:95]
	v_add_f64 v[2:3], v[2:3], v[4:5]
	v_mul_f64 v[4:5], v[146:147], v[90:91]
	v_fmac_f64_e32 v[166:167], v[158:159], v[96:97]
	v_fma_f64 v[4:5], v[144:145], v[92:93], -v[4:5]
	v_add_f64 v[168:169], v[164:165], v[166:167]
	ds_read_b128 v[164:167], v1 offset:1104
	s_waitcnt vmcnt(18) lgkmcnt(1)
	v_mul_f64 v[170:171], v[160:161], v[196:197]
	v_add_f64 v[2:3], v[2:3], v[4:5]
	v_mul_f64 v[4:5], v[150:151], v[86:87]
	s_waitcnt vmcnt(16)
	v_fmac_f64_e32 v[170:171], v[162:163], v[198:199]
	v_fma_f64 v[4:5], v[148:149], v[88:89], -v[4:5]
	v_add_f64 v[172:173], v[168:169], v[170:171]
	ds_read_b128 v[168:171], v1 offset:1120
	v_add_f64 v[2:3], v[2:3], v[4:5]
	v_mul_f64 v[4:5], v[154:155], v[98:99]
	v_fma_f64 v[4:5], v[152:153], v[100:101], -v[4:5]
	v_add_f64 v[2:3], v[2:3], v[4:5]
	v_mul_f64 v[4:5], v[158:159], v[94:95]
	s_waitcnt lgkmcnt(1)
	v_mul_f64 v[174:175], v[164:165], v[192:193]
	v_fma_f64 v[4:5], v[156:157], v[96:97], -v[4:5]
	v_fmac_f64_e32 v[174:175], v[166:167], v[194:195]
	v_add_f64 v[2:3], v[2:3], v[4:5]
	v_mul_f64 v[4:5], v[162:163], v[196:197]
	v_add_f64 v[176:177], v[172:173], v[174:175]
	ds_read_b128 v[172:175], v1 offset:1136
	s_waitcnt vmcnt(10) lgkmcnt(1)
	v_mul_f64 v[178:179], v[168:169], v[204:205]
	v_fma_f64 v[4:5], v[160:161], v[198:199], -v[4:5]
	s_waitcnt vmcnt(8)
	v_fmac_f64_e32 v[178:179], v[170:171], v[206:207]
	v_add_f64 v[2:3], v[2:3], v[4:5]
	v_mul_f64 v[4:5], v[166:167], v[192:193]
	v_add_f64 v[216:217], v[176:177], v[178:179]
	ds_read_b128 v[176:179], v1 offset:1152
	ds_read_b128 v[180:183], v1 offset:1168
	v_fma_f64 v[4:5], v[164:165], v[194:195], -v[4:5]
	v_add_f64 v[2:3], v[2:3], v[4:5]
	v_mul_f64 v[4:5], v[170:171], v[204:205]
	v_fma_f64 v[4:5], v[168:169], v[206:207], -v[4:5]
	v_add_f64 v[2:3], v[2:3], v[4:5]
	s_waitcnt lgkmcnt(2)
	v_mul_f64 v[4:5], v[174:175], v[200:201]
	v_mul_f64 v[218:219], v[172:173], v[200:201]
	v_fma_f64 v[4:5], v[172:173], v[202:203], -v[4:5]
	v_fmac_f64_e32 v[218:219], v[174:175], v[202:203]
	v_add_f64 v[2:3], v[2:3], v[4:5]
	s_waitcnt vmcnt(2) lgkmcnt(1)
	v_mul_f64 v[4:5], v[178:179], v[212:213]
	v_add_f64 v[216:217], v[216:217], v[218:219]
	v_mul_f64 v[218:219], v[176:177], v[212:213]
	s_waitcnt vmcnt(0)
	v_fma_f64 v[4:5], v[176:177], v[214:215], -v[4:5]
	v_fmac_f64_e32 v[218:219], v[178:179], v[214:215]
	v_add_f64 v[2:3], v[2:3], v[4:5]
	s_waitcnt lgkmcnt(0)
	v_mul_f64 v[4:5], v[182:183], v[208:209]
	v_add_f64 v[216:217], v[216:217], v[218:219]
	v_mul_f64 v[218:219], v[180:181], v[208:209]
	v_fma_f64 v[4:5], v[180:181], v[210:211], -v[4:5]
	v_fmac_f64_e32 v[218:219], v[182:183], v[210:211]
	v_add_f64 v[2:3], v[2:3], v[4:5]
	v_add_f64 v[216:217], v[216:217], v[218:219]
	v_add_f64 v[2:3], v[34:35], -v[2:3]
	v_add_f64 v[4:5], v[32:33], -v[216:217]
	buffer_store_dword v3, off, s[0:3], 0 offset:196
	buffer_store_dword v2, off, s[0:3], 0 offset:192
	;; [unrolled: 1-line block ×4, first 2 shown]
	s_and_saveexec_b64 s[4:5], vcc
	s_cbranch_execz .LBB36_215
; %bb.214:
	v_accvgpr_read_b32 v5, a98
	buffer_load_dword v2, v5, s[0:3], 0 offen
	buffer_load_dword v3, v5, s[0:3], 0 offen offset:4
	buffer_load_dword v4, v5, s[0:3], 0 offen offset:8
	s_nop 0
	buffer_load_dword v5, v5, s[0:3], 0 offen offset:12
	v_accvgpr_read_b32 v6, a108
	buffer_store_dword v1, off, s[0:3], 0 offset:176
	buffer_store_dword v1, off, s[0:3], 0 offset:180
	;; [unrolled: 1-line block ×4, first 2 shown]
	s_waitcnt vmcnt(4)
	ds_write_b128 v6, v[2:5]
.LBB36_215:
	s_or_b64 exec, exec, s[4:5]
	s_waitcnt lgkmcnt(0)
	; wave barrier
	s_waitcnt lgkmcnt(0)
	buffer_load_dword v26, off, s[0:3], 0 offset:192
	buffer_load_dword v27, off, s[0:3], 0 offset:196
	;; [unrolled: 1-line block ×24, first 2 shown]
	ds_read_b128 v[22:25], v1 offset:768
	ds_read_b128 v[18:21], v1 offset:784
	ds_read_b128 v[10:13], v1 offset:800
	ds_read_b128 v[6:9], v1 offset:816
	ds_read_b128 v[2:5], v1 offset:832
	ds_read_b128 v[14:17], v1 offset:848
	buffer_load_dword v51, off, s[0:3], 0 offset:300
	buffer_load_dword v50, off, s[0:3], 0 offset:296
	buffer_load_dword v53, off, s[0:3], 0 offset:292
	buffer_load_dword v52, off, s[0:3], 0 offset:288
	buffer_load_dword v55, off, s[0:3], 0 offset:284
	buffer_load_dword v54, off, s[0:3], 0 offset:280
	buffer_load_dword v57, off, s[0:3], 0 offset:276
	buffer_load_dword v56, off, s[0:3], 0 offset:272
	buffer_load_dword v59, off, s[0:3], 0 offset:332
	buffer_load_dword v58, off, s[0:3], 0 offset:328
	buffer_load_dword v61, off, s[0:3], 0 offset:324
	buffer_load_dword v60, off, s[0:3], 0 offset:320
	buffer_load_dword v63, off, s[0:3], 0 offset:316
	buffer_load_dword v62, off, s[0:3], 0 offset:312
	buffer_load_dword v65, off, s[0:3], 0 offset:308
	buffer_load_dword v64, off, s[0:3], 0 offset:304
	buffer_load_dword v67, off, s[0:3], 0 offset:364
	buffer_load_dword v66, off, s[0:3], 0 offset:360
	buffer_load_dword v69, off, s[0:3], 0 offset:356
	buffer_load_dword v68, off, s[0:3], 0 offset:352
	buffer_load_dword v71, off, s[0:3], 0 offset:348
	buffer_load_dword v70, off, s[0:3], 0 offset:344
	buffer_load_dword v73, off, s[0:3], 0 offset:340
	buffer_load_dword v72, off, s[0:3], 0 offset:336
	buffer_load_dword v75, off, s[0:3], 0 offset:396
	buffer_load_dword v74, off, s[0:3], 0 offset:392
	buffer_load_dword v77, off, s[0:3], 0 offset:388
	buffer_load_dword v76, off, s[0:3], 0 offset:384
	buffer_load_dword v79, off, s[0:3], 0 offset:380
	buffer_load_dword v78, off, s[0:3], 0 offset:376
	buffer_load_dword v81, off, s[0:3], 0 offset:372
	buffer_load_dword v80, off, s[0:3], 0 offset:368
	buffer_load_dword v83, off, s[0:3], 0 offset:428
	buffer_load_dword v82, off, s[0:3], 0 offset:424
	buffer_load_dword v85, off, s[0:3], 0 offset:420
	buffer_load_dword v84, off, s[0:3], 0 offset:416
	buffer_load_dword v87, off, s[0:3], 0 offset:412
	buffer_load_dword v86, off, s[0:3], 0 offset:408
	buffer_load_dword v89, off, s[0:3], 0 offset:404
	buffer_load_dword v88, off, s[0:3], 0 offset:400
	v_cmp_lt_u32_e32 vcc, 9, v0
	s_waitcnt vmcnt(34) lgkmcnt(0)
	v_mul_f64 v[122:123], v[14:15], v[54:55]
	s_waitcnt vmcnt(32)
	v_fmac_f64_e32 v[122:123], v[16:17], v[56:57]
	v_mul_f64 v[90:91], v[22:23], v[28:29]
	v_fmac_f64_e32 v[90:91], v[24:25], v[26:27]
	v_mul_f64 v[92:93], v[18:19], v[30:31]
	v_add_f64 v[90:91], v[90:91], 0
	v_mul_f64 v[94:95], v[10:11], v[32:33]
	v_mul_f64 v[24:25], v[24:25], v[28:29]
	;; [unrolled: 1-line block ×3, first 2 shown]
	v_fma_f64 v[22:23], v[22:23], v[26:27], -v[24:25]
	v_add_f64 v[22:23], v[22:23], 0
	v_mul_f64 v[96:97], v[6:7], v[42:43]
	v_fmac_f64_e32 v[92:93], v[20:21], v[48:49]
	v_add_f64 v[90:91], v[90:91], v[92:93]
	v_fmac_f64_e32 v[94:95], v[12:13], v[46:47]
	v_add_f64 v[90:91], v[90:91], v[94:95]
	;; [unrolled: 2-line block ×3, first 2 shown]
	buffer_load_dword v91, off, s[0:3], 0 offset:460
	buffer_load_dword v90, off, s[0:3], 0 offset:456
	;; [unrolled: 1-line block ×40, first 2 shown]
	v_fmac_f64_e32 v[114:115], v[4:5], v[40:41]
	v_add_f64 v[120:121], v[116:117], v[114:115]
	ds_read_b128 v[114:117], v1 offset:864
	buffer_load_dword v221, off, s[0:3], 0 offset:604
	buffer_load_dword v220, off, s[0:3], 0 offset:600
	;; [unrolled: 1-line block ×4, first 2 shown]
	v_add_f64 v[124:125], v[120:121], v[122:123]
	ds_read_b128 v[120:123], v1 offset:880
	v_mul_f64 v[20:21], v[20:21], v[30:31]
	s_waitcnt lgkmcnt(1)
	v_mul_f64 v[126:127], v[114:115], v[50:51]
	v_fmac_f64_e32 v[126:127], v[116:117], v[52:53]
	v_add_f64 v[128:129], v[124:125], v[126:127]
	ds_read_b128 v[124:127], v1 offset:896
	s_waitcnt vmcnt(62) lgkmcnt(1)
	v_mul_f64 v[130:131], v[120:121], v[62:63]
	v_fmac_f64_e32 v[130:131], v[122:123], v[64:65]
	v_add_f64 v[132:133], v[128:129], v[130:131]
	ds_read_b128 v[128:131], v1 offset:912
	s_waitcnt lgkmcnt(1)
	v_mul_f64 v[134:135], v[124:125], v[58:59]
	v_fmac_f64_e32 v[134:135], v[126:127], v[60:61]
	v_add_f64 v[136:137], v[132:133], v[134:135]
	ds_read_b128 v[132:135], v1 offset:928
	s_waitcnt lgkmcnt(1)
	v_mul_f64 v[138:139], v[128:129], v[70:71]
	s_waitcnt vmcnt(60)
	v_fmac_f64_e32 v[138:139], v[130:131], v[72:73]
	v_add_f64 v[140:141], v[136:137], v[138:139]
	ds_read_b128 v[136:139], v1 offset:944
	s_waitcnt lgkmcnt(1)
	v_mul_f64 v[142:143], v[132:133], v[66:67]
	v_fmac_f64_e32 v[142:143], v[134:135], v[68:69]
	v_add_f64 v[144:145], v[140:141], v[142:143]
	ds_read_b128 v[140:143], v1 offset:960
	s_waitcnt vmcnt(54) lgkmcnt(1)
	v_mul_f64 v[146:147], v[136:137], v[78:79]
	s_waitcnt vmcnt(52)
	v_fmac_f64_e32 v[146:147], v[138:139], v[80:81]
	v_add_f64 v[148:149], v[144:145], v[146:147]
	ds_read_b128 v[144:147], v1 offset:976
	s_waitcnt lgkmcnt(1)
	v_mul_f64 v[150:151], v[140:141], v[74:75]
	v_fmac_f64_e32 v[150:151], v[142:143], v[76:77]
	v_fma_f64 v[18:19], v[18:19], v[48:49], -v[20:21]
	v_mul_f64 v[12:13], v[12:13], v[32:33]
	v_add_f64 v[152:153], v[148:149], v[150:151]
	ds_read_b128 v[148:151], v1 offset:992
	v_add_f64 v[18:19], v[22:23], v[18:19]
	v_fma_f64 v[10:11], v[10:11], v[46:47], -v[12:13]
	v_mul_f64 v[8:9], v[8:9], v[42:43]
	v_add_f64 v[10:11], v[18:19], v[10:11]
	v_fma_f64 v[6:7], v[6:7], v[44:45], -v[8:9]
	v_mul_f64 v[4:5], v[4:5], v[38:39]
	;; [unrolled: 3-line block ×3, first 2 shown]
	s_waitcnt vmcnt(46) lgkmcnt(1)
	v_mul_f64 v[154:155], v[144:145], v[86:87]
	v_add_f64 v[2:3], v[6:7], v[2:3]
	v_fma_f64 v[4:5], v[14:15], v[56:57], -v[4:5]
	s_waitcnt vmcnt(44)
	v_fmac_f64_e32 v[154:155], v[146:147], v[88:89]
	v_add_f64 v[2:3], v[2:3], v[4:5]
	v_mul_f64 v[4:5], v[116:117], v[50:51]
	v_add_f64 v[156:157], v[152:153], v[154:155]
	ds_read_b128 v[152:155], v1 offset:1008
	s_waitcnt lgkmcnt(1)
	v_mul_f64 v[158:159], v[148:149], v[82:83]
	v_fma_f64 v[4:5], v[114:115], v[52:53], -v[4:5]
	v_fmac_f64_e32 v[158:159], v[150:151], v[84:85]
	v_add_f64 v[2:3], v[2:3], v[4:5]
	v_mul_f64 v[4:5], v[122:123], v[62:63]
	v_add_f64 v[160:161], v[156:157], v[158:159]
	ds_read_b128 v[156:159], v1 offset:1024
	v_fma_f64 v[4:5], v[120:121], v[64:65], -v[4:5]
	v_add_f64 v[2:3], v[2:3], v[4:5]
	v_mul_f64 v[4:5], v[126:127], v[58:59]
	v_fma_f64 v[4:5], v[124:125], v[60:61], -v[4:5]
	s_waitcnt vmcnt(38) lgkmcnt(1)
	v_mul_f64 v[162:163], v[152:153], v[94:95]
	v_add_f64 v[2:3], v[2:3], v[4:5]
	v_mul_f64 v[4:5], v[130:131], v[70:71]
	s_waitcnt vmcnt(36)
	v_fmac_f64_e32 v[162:163], v[154:155], v[96:97]
	v_fma_f64 v[4:5], v[128:129], v[72:73], -v[4:5]
	v_add_f64 v[164:165], v[160:161], v[162:163]
	ds_read_b128 v[160:163], v1 offset:1040
	s_waitcnt lgkmcnt(1)
	v_mul_f64 v[166:167], v[156:157], v[90:91]
	v_add_f64 v[2:3], v[2:3], v[4:5]
	v_mul_f64 v[4:5], v[134:135], v[66:67]
	v_fmac_f64_e32 v[166:167], v[158:159], v[92:93]
	v_fma_f64 v[4:5], v[132:133], v[68:69], -v[4:5]
	v_add_f64 v[168:169], v[164:165], v[166:167]
	ds_read_b128 v[164:167], v1 offset:1056
	v_add_f64 v[2:3], v[2:3], v[4:5]
	v_mul_f64 v[4:5], v[138:139], v[78:79]
	v_fma_f64 v[4:5], v[136:137], v[80:81], -v[4:5]
	v_add_f64 v[2:3], v[2:3], v[4:5]
	v_mul_f64 v[4:5], v[142:143], v[74:75]
	s_waitcnt vmcnt(30) lgkmcnt(1)
	v_mul_f64 v[170:171], v[160:161], v[102:103]
	v_fma_f64 v[4:5], v[140:141], v[76:77], -v[4:5]
	s_waitcnt vmcnt(28)
	v_fmac_f64_e32 v[170:171], v[162:163], v[104:105]
	v_add_f64 v[2:3], v[2:3], v[4:5]
	v_mul_f64 v[4:5], v[146:147], v[86:87]
	v_add_f64 v[172:173], v[168:169], v[170:171]
	ds_read_b128 v[168:171], v1 offset:1072
	s_waitcnt lgkmcnt(1)
	v_mul_f64 v[174:175], v[164:165], v[98:99]
	v_fma_f64 v[4:5], v[144:145], v[88:89], -v[4:5]
	v_fmac_f64_e32 v[174:175], v[166:167], v[100:101]
	v_add_f64 v[2:3], v[2:3], v[4:5]
	v_mul_f64 v[4:5], v[150:151], v[82:83]
	v_add_f64 v[176:177], v[172:173], v[174:175]
	ds_read_b128 v[172:175], v1 offset:1088
	v_fma_f64 v[4:5], v[148:149], v[84:85], -v[4:5]
	v_add_f64 v[2:3], v[2:3], v[4:5]
	v_mul_f64 v[4:5], v[154:155], v[94:95]
	v_fma_f64 v[4:5], v[152:153], v[96:97], -v[4:5]
	s_waitcnt vmcnt(22) lgkmcnt(1)
	v_mul_f64 v[178:179], v[168:169], v[110:111]
	v_add_f64 v[2:3], v[2:3], v[4:5]
	v_mul_f64 v[4:5], v[158:159], v[90:91]
	s_waitcnt vmcnt(20)
	v_fmac_f64_e32 v[178:179], v[170:171], v[112:113]
	v_fma_f64 v[4:5], v[156:157], v[92:93], -v[4:5]
	v_add_f64 v[180:181], v[176:177], v[178:179]
	ds_read_b128 v[176:179], v1 offset:1104
	s_waitcnt lgkmcnt(1)
	v_mul_f64 v[182:183], v[172:173], v[106:107]
	v_add_f64 v[2:3], v[2:3], v[4:5]
	v_mul_f64 v[4:5], v[162:163], v[102:103]
	v_fmac_f64_e32 v[182:183], v[174:175], v[108:109]
	v_fma_f64 v[4:5], v[160:161], v[104:105], -v[4:5]
	v_add_f64 v[192:193], v[180:181], v[182:183]
	ds_read_b128 v[180:183], v1 offset:1120
	v_add_f64 v[2:3], v[2:3], v[4:5]
	v_mul_f64 v[4:5], v[166:167], v[98:99]
	v_fma_f64 v[4:5], v[164:165], v[100:101], -v[4:5]
	v_add_f64 v[2:3], v[2:3], v[4:5]
	v_mul_f64 v[4:5], v[170:171], v[110:111]
	s_waitcnt vmcnt(14) lgkmcnt(1)
	v_mul_f64 v[194:195], v[176:177], v[208:209]
	v_fma_f64 v[4:5], v[168:169], v[112:113], -v[4:5]
	s_waitcnt vmcnt(12)
	v_fmac_f64_e32 v[194:195], v[178:179], v[210:211]
	v_add_f64 v[2:3], v[2:3], v[4:5]
	v_mul_f64 v[4:5], v[174:175], v[106:107]
	v_add_f64 v[196:197], v[192:193], v[194:195]
	ds_read_b128 v[192:195], v1 offset:1136
	s_waitcnt lgkmcnt(1)
	v_mul_f64 v[198:199], v[180:181], v[204:205]
	v_fma_f64 v[4:5], v[172:173], v[108:109], -v[4:5]
	v_fmac_f64_e32 v[198:199], v[182:183], v[206:207]
	v_add_f64 v[2:3], v[2:3], v[4:5]
	v_mul_f64 v[4:5], v[178:179], v[208:209]
	v_add_f64 v[224:225], v[196:197], v[198:199]
	ds_read_b128 v[196:199], v1 offset:1152
	v_fma_f64 v[4:5], v[176:177], v[210:211], -v[4:5]
	v_add_f64 v[2:3], v[2:3], v[4:5]
	v_mul_f64 v[4:5], v[182:183], v[204:205]
	ds_read_b128 v[200:203], v1 offset:1168
	v_fma_f64 v[4:5], v[180:181], v[206:207], -v[4:5]
	v_add_f64 v[2:3], v[2:3], v[4:5]
	s_waitcnt vmcnt(6) lgkmcnt(2)
	v_mul_f64 v[4:5], v[194:195], v[216:217]
	v_mul_f64 v[226:227], v[192:193], v[216:217]
	s_waitcnt vmcnt(4)
	v_fma_f64 v[4:5], v[192:193], v[218:219], -v[4:5]
	v_fmac_f64_e32 v[226:227], v[194:195], v[218:219]
	v_add_f64 v[2:3], v[2:3], v[4:5]
	s_waitcnt lgkmcnt(1)
	v_mul_f64 v[4:5], v[198:199], v[212:213]
	v_add_f64 v[224:225], v[224:225], v[226:227]
	v_mul_f64 v[226:227], v[196:197], v[212:213]
	v_fma_f64 v[4:5], v[196:197], v[214:215], -v[4:5]
	v_fmac_f64_e32 v[226:227], v[198:199], v[214:215]
	v_add_f64 v[2:3], v[2:3], v[4:5]
	s_waitcnt vmcnt(2) lgkmcnt(0)
	v_mul_f64 v[4:5], v[202:203], v[220:221]
	v_add_f64 v[224:225], v[224:225], v[226:227]
	v_mul_f64 v[226:227], v[200:201], v[220:221]
	s_waitcnt vmcnt(0)
	v_fma_f64 v[4:5], v[200:201], v[222:223], -v[4:5]
	v_fmac_f64_e32 v[226:227], v[202:203], v[222:223]
	v_add_f64 v[2:3], v[2:3], v[4:5]
	v_add_f64 v[224:225], v[224:225], v[226:227]
	v_add_f64 v[2:3], v[36:37], -v[2:3]
	v_add_f64 v[4:5], v[34:35], -v[224:225]
	buffer_store_dword v3, off, s[0:3], 0 offset:180
	buffer_store_dword v2, off, s[0:3], 0 offset:176
	;; [unrolled: 1-line block ×4, first 2 shown]
	s_and_saveexec_b64 s[4:5], vcc
	s_cbranch_execz .LBB36_217
; %bb.216:
	v_accvgpr_read_b32 v1, a99
	buffer_load_dword v2, v1, s[0:3], 0 offen
	buffer_load_dword v3, v1, s[0:3], 0 offen offset:4
	buffer_load_dword v4, v1, s[0:3], 0 offen offset:8
	;; [unrolled: 1-line block ×3, first 2 shown]
	v_mov_b32_e32 v1, 0
	v_accvgpr_read_b32 v6, a108
	buffer_store_dword v1, off, s[0:3], 0 offset:160
	buffer_store_dword v1, off, s[0:3], 0 offset:164
	;; [unrolled: 1-line block ×4, first 2 shown]
	s_waitcnt vmcnt(4)
	ds_write_b128 v6, v[2:5]
.LBB36_217:
	s_or_b64 exec, exec, s[4:5]
	s_waitcnt lgkmcnt(0)
	; wave barrier
	s_waitcnt lgkmcnt(0)
	buffer_load_dword v30, off, s[0:3], 0 offset:176
	buffer_load_dword v31, off, s[0:3], 0 offset:180
	;; [unrolled: 1-line block ×56, first 2 shown]
	v_mov_b32_e32 v1, 0
	ds_read_b128 v[26:29], v1 offset:752
	ds_read_b128 v[22:25], v1 offset:768
	;; [unrolled: 1-line block ×7, first 2 shown]
	v_cmp_lt_u32_e32 vcc, 8, v0
	s_waitcnt vmcnt(52) lgkmcnt(6)
	v_mul_f64 v[86:87], v[26:27], v[34:35]
	v_fmac_f64_e32 v[86:87], v[28:29], v[30:31]
	v_add_f64 v[86:87], v[86:87], 0
	v_mul_f64 v[28:29], v[28:29], v[34:35]
	s_waitcnt vmcnt(48) lgkmcnt(5)
	v_mul_f64 v[88:89], v[22:23], v[36:37]
	v_fmac_f64_e32 v[88:89], v[24:25], v[32:33]
	s_waitcnt vmcnt(46) lgkmcnt(4)
	v_mul_f64 v[90:91], v[18:19], v[38:39]
	v_add_f64 v[86:87], v[86:87], v[88:89]
	s_waitcnt vmcnt(44) lgkmcnt(2)
	v_mul_f64 v[94:95], v[10:11], v[40:41]
	v_fma_f64 v[26:27], v[26:27], v[30:31], -v[28:29]
	s_waitcnt vmcnt(42)
	v_fmac_f64_e32 v[94:95], v[12:13], v[42:43]
	v_mul_f64 v[24:25], v[24:25], v[36:37]
	s_waitcnt vmcnt(40)
	v_mul_f64 v[92:93], v[14:15], v[48:49]
	v_add_f64 v[26:27], v[26:27], 0
	v_fma_f64 v[22:23], v[22:23], v[32:33], -v[24:25]
	v_add_f64 v[22:23], v[26:27], v[22:23]
	s_waitcnt vmcnt(36) lgkmcnt(1)
	v_mul_f64 v[110:111], v[6:7], v[54:55]
	v_mul_f64 v[12:13], v[12:13], v[40:41]
	s_waitcnt vmcnt(34)
	v_fmac_f64_e32 v[90:91], v[20:21], v[60:61]
	v_add_f64 v[86:87], v[86:87], v[90:91]
	s_waitcnt vmcnt(32)
	v_fmac_f64_e32 v[92:93], v[16:17], v[58:59]
	v_add_f64 v[86:87], v[86:87], v[92:93]
	v_add_f64 v[116:117], v[86:87], v[94:95]
	buffer_load_dword v87, off, s[0:3], 0 offset:412
	buffer_load_dword v86, off, s[0:3], 0 offset:408
	;; [unrolled: 1-line block ×56, first 2 shown]
	ds_read_b128 v[126:129], v1 offset:864
	ds_read_b128 v[130:133], v1 offset:880
	v_mul_f64 v[20:21], v[20:21], v[38:39]
	v_fma_f64 v[18:19], v[18:19], v[60:61], -v[20:21]
	v_mul_f64 v[16:17], v[16:17], v[48:49]
	s_waitcnt vmcnt(62)
	v_fmac_f64_e32 v[110:111], v[8:9], v[56:57]
	v_add_f64 v[18:19], v[22:23], v[18:19]
	v_fma_f64 v[14:15], v[14:15], v[58:59], -v[16:17]
	v_add_f64 v[110:111], v[116:117], v[110:111]
	s_waitcnt lgkmcnt(2)
	v_mul_f64 v[116:117], v[2:3], v[50:51]
	v_add_f64 v[14:15], v[18:19], v[14:15]
	v_fma_f64 v[10:11], v[10:11], v[42:43], -v[12:13]
	v_mul_f64 v[8:9], v[8:9], v[54:55]
	v_fmac_f64_e32 v[116:117], v[4:5], v[52:53]
	ds_read_b128 v[134:137], v1 offset:896
	ds_read_b128 v[138:141], v1 offset:912
	v_add_f64 v[10:11], v[14:15], v[10:11]
	v_fma_f64 v[6:7], v[6:7], v[56:57], -v[8:9]
	v_mul_f64 v[4:5], v[4:5], v[50:51]
	v_add_f64 v[6:7], v[10:11], v[6:7]
	v_fma_f64 v[2:3], v[2:3], v[52:53], -v[4:5]
	s_waitcnt lgkmcnt(3)
	v_mul_f64 v[4:5], v[128:129], v[66:67]
	v_add_f64 v[110:111], v[110:111], v[116:117]
	v_mul_f64 v[116:117], v[126:127], v[66:67]
	v_add_f64 v[2:3], v[6:7], v[2:3]
	v_fma_f64 v[4:5], v[126:127], v[68:69], -v[4:5]
	v_fmac_f64_e32 v[116:117], v[128:129], v[68:69]
	v_add_f64 v[2:3], v[2:3], v[4:5]
	s_waitcnt lgkmcnt(2)
	v_mul_f64 v[4:5], v[132:133], v[62:63]
	v_add_f64 v[110:111], v[110:111], v[116:117]
	v_mul_f64 v[116:117], v[130:131], v[62:63]
	ds_read_b128 v[142:145], v1 offset:928
	ds_read_b128 v[146:149], v1 offset:944
	v_fma_f64 v[4:5], v[130:131], v[64:65], -v[4:5]
	v_fmac_f64_e32 v[116:117], v[132:133], v[64:65]
	v_add_f64 v[2:3], v[2:3], v[4:5]
	s_waitcnt lgkmcnt(3)
	v_mul_f64 v[4:5], v[136:137], v[74:75]
	v_add_f64 v[110:111], v[110:111], v[116:117]
	v_mul_f64 v[116:117], v[134:135], v[74:75]
	v_fma_f64 v[4:5], v[134:135], v[76:77], -v[4:5]
	v_fmac_f64_e32 v[116:117], v[136:137], v[76:77]
	v_add_f64 v[2:3], v[2:3], v[4:5]
	s_waitcnt lgkmcnt(2)
	v_mul_f64 v[4:5], v[140:141], v[70:71]
	v_add_f64 v[110:111], v[110:111], v[116:117]
	v_mul_f64 v[116:117], v[138:139], v[70:71]
	ds_read_b128 v[150:153], v1 offset:960
	ds_read_b128 v[154:157], v1 offset:976
	v_fma_f64 v[4:5], v[138:139], v[72:73], -v[4:5]
	v_fmac_f64_e32 v[116:117], v[140:141], v[72:73]
	v_add_f64 v[2:3], v[2:3], v[4:5]
	s_waitcnt vmcnt(58) lgkmcnt(3)
	v_mul_f64 v[4:5], v[144:145], v[82:83]
	v_add_f64 v[110:111], v[110:111], v[116:117]
	v_mul_f64 v[116:117], v[142:143], v[82:83]
	s_waitcnt vmcnt(56)
	v_fma_f64 v[4:5], v[142:143], v[84:85], -v[4:5]
	v_fmac_f64_e32 v[116:117], v[144:145], v[84:85]
	v_add_f64 v[2:3], v[2:3], v[4:5]
	s_waitcnt lgkmcnt(2)
	v_mul_f64 v[4:5], v[148:149], v[78:79]
	v_add_f64 v[110:111], v[110:111], v[116:117]
	v_mul_f64 v[116:117], v[146:147], v[78:79]
	ds_read_b128 v[158:161], v1 offset:992
	ds_read_b128 v[162:165], v1 offset:1008
	v_fma_f64 v[4:5], v[146:147], v[80:81], -v[4:5]
	v_fmac_f64_e32 v[116:117], v[148:149], v[80:81]
	v_add_f64 v[2:3], v[2:3], v[4:5]
	s_waitcnt vmcnt(50) lgkmcnt(3)
	v_mul_f64 v[4:5], v[152:153], v[90:91]
	v_add_f64 v[110:111], v[110:111], v[116:117]
	v_mul_f64 v[116:117], v[150:151], v[90:91]
	s_waitcnt vmcnt(48)
	;; [unrolled: 17-line block ×7, first 2 shown]
	v_fma_f64 v[4:5], v[200:201], v[226:227], -v[4:5]
	v_fmac_f64_e32 v[116:117], v[202:203], v[226:227]
	v_add_f64 v[2:3], v[2:3], v[4:5]
	s_waitcnt lgkmcnt(2)
	v_mul_f64 v[4:5], v[206:207], v[220:221]
	v_add_f64 v[110:111], v[110:111], v[116:117]
	v_mul_f64 v[116:117], v[204:205], v[220:221]
	v_fma_f64 v[4:5], v[204:205], v[222:223], -v[4:5]
	v_fmac_f64_e32 v[116:117], v[206:207], v[222:223]
	v_add_f64 v[2:3], v[2:3], v[4:5]
	s_waitcnt vmcnt(2) lgkmcnt(1)
	v_mul_f64 v[4:5], v[210:211], v[232:233]
	v_add_f64 v[110:111], v[110:111], v[116:117]
	v_mul_f64 v[116:117], v[208:209], v[232:233]
	s_waitcnt vmcnt(0)
	v_fma_f64 v[4:5], v[208:209], v[234:235], -v[4:5]
	v_fmac_f64_e32 v[116:117], v[210:211], v[234:235]
	v_add_f64 v[2:3], v[2:3], v[4:5]
	s_waitcnt lgkmcnt(0)
	v_mul_f64 v[4:5], v[214:215], v[228:229]
	v_add_f64 v[110:111], v[110:111], v[116:117]
	v_mul_f64 v[116:117], v[212:213], v[228:229]
	v_fma_f64 v[4:5], v[212:213], v[230:231], -v[4:5]
	v_fmac_f64_e32 v[116:117], v[214:215], v[230:231]
	v_add_f64 v[2:3], v[2:3], v[4:5]
	v_add_f64 v[110:111], v[110:111], v[116:117]
	v_add_f64 v[2:3], v[46:47], -v[2:3]
	v_add_f64 v[4:5], v[44:45], -v[110:111]
	buffer_store_dword v3, off, s[0:3], 0 offset:164
	buffer_store_dword v2, off, s[0:3], 0 offset:160
	;; [unrolled: 1-line block ×4, first 2 shown]
	s_and_saveexec_b64 s[4:5], vcc
	s_cbranch_execz .LBB36_219
; %bb.218:
	v_accvgpr_read_b32 v5, a100
	buffer_load_dword v2, v5, s[0:3], 0 offen
	buffer_load_dword v3, v5, s[0:3], 0 offen offset:4
	buffer_load_dword v4, v5, s[0:3], 0 offen offset:8
	s_nop 0
	buffer_load_dword v5, v5, s[0:3], 0 offen offset:12
	v_accvgpr_read_b32 v6, a108
	buffer_store_dword v1, off, s[0:3], 0 offset:144
	buffer_store_dword v1, off, s[0:3], 0 offset:148
	;; [unrolled: 1-line block ×4, first 2 shown]
	s_waitcnt vmcnt(4)
	ds_write_b128 v6, v[2:5]
.LBB36_219:
	s_or_b64 exec, exec, s[4:5]
	s_waitcnt lgkmcnt(0)
	; wave barrier
	s_waitcnt lgkmcnt(0)
	buffer_load_dword v34, off, s[0:3], 0 offset:160
	buffer_load_dword v35, off, s[0:3], 0 offset:164
	;; [unrolled: 1-line block ×32, first 2 shown]
	ds_read_b128 v[30:33], v1 offset:736
	ds_read_b128 v[26:29], v1 offset:752
	ds_read_b128 v[22:25], v1 offset:768
	ds_read_b128 v[18:21], v1 offset:784
	ds_read_b128 v[10:13], v1 offset:800
	ds_read_b128 v[6:9], v1 offset:816
	ds_read_b128 v[2:5], v1 offset:832
	ds_read_b128 v[14:17], v1 offset:848
	buffer_load_dword v67, off, s[0:3], 0 offset:300
	buffer_load_dword v66, off, s[0:3], 0 offset:296
	;; [unrolled: 1-line block ×24, first 2 shown]
	v_cmp_lt_u32_e32 vcc, 7, v0
	s_waitcnt vmcnt(52) lgkmcnt(7)
	v_mul_f64 v[90:91], v[30:31], v[38:39]
	v_fmac_f64_e32 v[90:91], v[32:33], v[34:35]
	v_add_f64 v[90:91], v[90:91], 0
	v_mul_f64 v[32:33], v[32:33], v[38:39]
	s_waitcnt vmcnt(48) lgkmcnt(6)
	v_mul_f64 v[92:93], v[26:27], v[40:41]
	v_fmac_f64_e32 v[92:93], v[28:29], v[36:37]
	s_waitcnt vmcnt(46) lgkmcnt(5)
	v_mul_f64 v[94:95], v[22:23], v[42:43]
	v_add_f64 v[90:91], v[90:91], v[92:93]
	s_waitcnt vmcnt(44) lgkmcnt(4)
	v_mul_f64 v[96:97], v[18:19], v[48:49]
	v_fma_f64 v[30:31], v[30:31], v[34:35], -v[32:33]
	s_waitcnt vmcnt(42) lgkmcnt(1)
	v_mul_f64 v[124:125], v[2:3], v[50:51]
	v_mul_f64 v[28:29], v[28:29], v[40:41]
	s_waitcnt vmcnt(18) lgkmcnt(0)
	v_mul_f64 v[138:139], v[14:15], v[70:71]
	v_mul_f64 v[100:101], v[6:7], v[54:55]
	s_waitcnt vmcnt(16)
	v_fmac_f64_e32 v[138:139], v[16:17], v[72:73]
	v_mul_f64 v[98:99], v[10:11], v[56:57]
	v_add_f64 v[30:31], v[30:31], 0
	v_fmac_f64_e32 v[98:99], v[12:13], v[58:59]
	v_fma_f64 v[26:27], v[26:27], v[36:37], -v[28:29]
	v_fmac_f64_e32 v[94:95], v[24:25], v[64:65]
	v_add_f64 v[90:91], v[90:91], v[94:95]
	v_fmac_f64_e32 v[96:97], v[20:21], v[62:63]
	v_add_f64 v[90:91], v[90:91], v[96:97]
	;; [unrolled: 2-line block ×3, first 2 shown]
	v_add_f64 v[126:127], v[90:91], v[100:101]
	buffer_load_dword v91, off, s[0:3], 0 offset:396
	buffer_load_dword v90, off, s[0:3], 0 offset:392
	;; [unrolled: 1-line block ×56, first 2 shown]
	v_fmac_f64_e32 v[124:125], v[4:5], v[52:53]
	v_add_f64 v[136:137], v[126:127], v[124:125]
	ds_read_b128 v[124:127], v1 offset:864
	buffer_load_dword v237, off, s[0:3], 0 offset:604
	buffer_load_dword v236, off, s[0:3], 0 offset:600
	;; [unrolled: 1-line block ×4, first 2 shown]
	v_add_f64 v[140:141], v[136:137], v[138:139]
	ds_read_b128 v[136:139], v1 offset:880
	v_mul_f64 v[24:25], v[24:25], v[42:43]
	s_waitcnt lgkmcnt(1)
	v_mul_f64 v[142:143], v[124:125], v[66:67]
	v_fmac_f64_e32 v[142:143], v[126:127], v[68:69]
	v_add_f64 v[144:145], v[140:141], v[142:143]
	ds_read_b128 v[140:143], v1 offset:896
	s_waitcnt vmcnt(62) lgkmcnt(1)
	v_mul_f64 v[146:147], v[136:137], v[78:79]
	v_fmac_f64_e32 v[146:147], v[138:139], v[80:81]
	v_add_f64 v[148:149], v[144:145], v[146:147]
	ds_read_b128 v[144:147], v1 offset:912
	s_waitcnt lgkmcnt(1)
	v_mul_f64 v[150:151], v[140:141], v[74:75]
	v_fmac_f64_e32 v[150:151], v[142:143], v[76:77]
	v_add_f64 v[152:153], v[148:149], v[150:151]
	ds_read_b128 v[148:151], v1 offset:928
	s_waitcnt lgkmcnt(1)
	v_mul_f64 v[154:155], v[144:145], v[86:87]
	s_waitcnt vmcnt(60)
	v_fmac_f64_e32 v[154:155], v[146:147], v[88:89]
	v_add_f64 v[156:157], v[152:153], v[154:155]
	ds_read_b128 v[152:155], v1 offset:944
	s_waitcnt lgkmcnt(1)
	v_mul_f64 v[158:159], v[148:149], v[82:83]
	v_fmac_f64_e32 v[158:159], v[150:151], v[84:85]
	v_add_f64 v[160:161], v[156:157], v[158:159]
	ds_read_b128 v[156:159], v1 offset:960
	v_add_f64 v[26:27], v[30:31], v[26:27]
	v_fma_f64 v[22:23], v[22:23], v[64:65], -v[24:25]
	s_waitcnt vmcnt(54) lgkmcnt(1)
	v_mul_f64 v[162:163], v[152:153], v[94:95]
	v_mul_f64 v[20:21], v[20:21], v[48:49]
	s_waitcnt vmcnt(52)
	v_fmac_f64_e32 v[162:163], v[154:155], v[96:97]
	v_add_f64 v[164:165], v[160:161], v[162:163]
	ds_read_b128 v[160:163], v1 offset:976
	s_waitcnt lgkmcnt(1)
	v_mul_f64 v[166:167], v[156:157], v[90:91]
	v_fmac_f64_e32 v[166:167], v[158:159], v[92:93]
	v_add_f64 v[22:23], v[26:27], v[22:23]
	v_fma_f64 v[18:19], v[18:19], v[62:63], -v[20:21]
	v_mul_f64 v[12:13], v[12:13], v[56:57]
	v_add_f64 v[168:169], v[164:165], v[166:167]
	ds_read_b128 v[164:167], v1 offset:992
	v_add_f64 v[18:19], v[22:23], v[18:19]
	v_fma_f64 v[10:11], v[10:11], v[58:59], -v[12:13]
	v_mul_f64 v[8:9], v[8:9], v[54:55]
	v_add_f64 v[10:11], v[18:19], v[10:11]
	v_fma_f64 v[6:7], v[6:7], v[60:61], -v[8:9]
	v_mul_f64 v[4:5], v[4:5], v[50:51]
	v_add_f64 v[6:7], v[10:11], v[6:7]
	v_fma_f64 v[2:3], v[2:3], v[52:53], -v[4:5]
	v_mul_f64 v[4:5], v[16:17], v[70:71]
	s_waitcnt vmcnt(46) lgkmcnt(1)
	v_mul_f64 v[170:171], v[160:161], v[102:103]
	v_add_f64 v[2:3], v[6:7], v[2:3]
	v_fma_f64 v[4:5], v[14:15], v[72:73], -v[4:5]
	s_waitcnt vmcnt(44)
	v_fmac_f64_e32 v[170:171], v[162:163], v[104:105]
	v_add_f64 v[2:3], v[2:3], v[4:5]
	v_mul_f64 v[4:5], v[126:127], v[66:67]
	v_add_f64 v[172:173], v[168:169], v[170:171]
	ds_read_b128 v[168:171], v1 offset:1008
	s_waitcnt lgkmcnt(1)
	v_mul_f64 v[174:175], v[164:165], v[98:99]
	v_fma_f64 v[4:5], v[124:125], v[68:69], -v[4:5]
	v_fmac_f64_e32 v[174:175], v[166:167], v[100:101]
	v_add_f64 v[2:3], v[2:3], v[4:5]
	v_mul_f64 v[4:5], v[138:139], v[78:79]
	v_add_f64 v[176:177], v[172:173], v[174:175]
	ds_read_b128 v[172:175], v1 offset:1024
	v_fma_f64 v[4:5], v[136:137], v[80:81], -v[4:5]
	v_add_f64 v[2:3], v[2:3], v[4:5]
	v_mul_f64 v[4:5], v[142:143], v[74:75]
	v_fma_f64 v[4:5], v[140:141], v[76:77], -v[4:5]
	s_waitcnt vmcnt(38) lgkmcnt(1)
	v_mul_f64 v[178:179], v[168:169], v[110:111]
	v_add_f64 v[2:3], v[2:3], v[4:5]
	v_mul_f64 v[4:5], v[146:147], v[86:87]
	s_waitcnt vmcnt(36)
	v_fmac_f64_e32 v[178:179], v[170:171], v[112:113]
	v_fma_f64 v[4:5], v[144:145], v[88:89], -v[4:5]
	v_add_f64 v[180:181], v[176:177], v[178:179]
	ds_read_b128 v[176:179], v1 offset:1040
	s_waitcnt lgkmcnt(1)
	v_mul_f64 v[182:183], v[172:173], v[106:107]
	v_add_f64 v[2:3], v[2:3], v[4:5]
	v_mul_f64 v[4:5], v[150:151], v[82:83]
	v_fmac_f64_e32 v[182:183], v[174:175], v[108:109]
	v_fma_f64 v[4:5], v[148:149], v[84:85], -v[4:5]
	v_add_f64 v[192:193], v[180:181], v[182:183]
	ds_read_b128 v[180:183], v1 offset:1056
	v_add_f64 v[2:3], v[2:3], v[4:5]
	v_mul_f64 v[4:5], v[154:155], v[94:95]
	v_fma_f64 v[4:5], v[152:153], v[96:97], -v[4:5]
	v_add_f64 v[2:3], v[2:3], v[4:5]
	v_mul_f64 v[4:5], v[158:159], v[90:91]
	s_waitcnt vmcnt(30) lgkmcnt(1)
	v_mul_f64 v[194:195], v[176:177], v[120:121]
	v_fma_f64 v[4:5], v[156:157], v[92:93], -v[4:5]
	s_waitcnt vmcnt(28)
	v_fmac_f64_e32 v[194:195], v[178:179], v[122:123]
	v_add_f64 v[2:3], v[2:3], v[4:5]
	v_mul_f64 v[4:5], v[162:163], v[102:103]
	v_add_f64 v[196:197], v[192:193], v[194:195]
	ds_read_b128 v[192:195], v1 offset:1072
	s_waitcnt lgkmcnt(1)
	v_mul_f64 v[198:199], v[180:181], v[114:115]
	v_fma_f64 v[4:5], v[160:161], v[104:105], -v[4:5]
	v_fmac_f64_e32 v[198:199], v[182:183], v[116:117]
	v_add_f64 v[2:3], v[2:3], v[4:5]
	v_mul_f64 v[4:5], v[166:167], v[98:99]
	v_add_f64 v[200:201], v[196:197], v[198:199]
	ds_read_b128 v[196:199], v1 offset:1088
	v_fma_f64 v[4:5], v[164:165], v[100:101], -v[4:5]
	v_add_f64 v[2:3], v[2:3], v[4:5]
	v_mul_f64 v[4:5], v[170:171], v[110:111]
	v_fma_f64 v[4:5], v[168:169], v[112:113], -v[4:5]
	s_waitcnt vmcnt(22) lgkmcnt(1)
	v_mul_f64 v[202:203], v[192:193], v[132:133]
	v_add_f64 v[2:3], v[2:3], v[4:5]
	v_mul_f64 v[4:5], v[174:175], v[106:107]
	s_waitcnt vmcnt(20)
	v_fmac_f64_e32 v[202:203], v[194:195], v[134:135]
	v_fma_f64 v[4:5], v[172:173], v[108:109], -v[4:5]
	v_add_f64 v[204:205], v[200:201], v[202:203]
	ds_read_b128 v[200:203], v1 offset:1104
	s_waitcnt lgkmcnt(1)
	v_mul_f64 v[206:207], v[196:197], v[128:129]
	v_add_f64 v[2:3], v[2:3], v[4:5]
	v_mul_f64 v[4:5], v[178:179], v[120:121]
	v_fmac_f64_e32 v[206:207], v[198:199], v[130:131]
	v_fma_f64 v[4:5], v[176:177], v[122:123], -v[4:5]
	v_add_f64 v[208:209], v[204:205], v[206:207]
	ds_read_b128 v[204:207], v1 offset:1120
	v_add_f64 v[2:3], v[2:3], v[4:5]
	v_mul_f64 v[4:5], v[182:183], v[114:115]
	v_fma_f64 v[4:5], v[180:181], v[116:117], -v[4:5]
	v_add_f64 v[2:3], v[2:3], v[4:5]
	v_mul_f64 v[4:5], v[194:195], v[132:133]
	s_waitcnt vmcnt(14) lgkmcnt(1)
	v_mul_f64 v[210:211], v[200:201], v[224:225]
	v_fma_f64 v[4:5], v[192:193], v[134:135], -v[4:5]
	s_waitcnt vmcnt(12)
	v_fmac_f64_e32 v[210:211], v[202:203], v[226:227]
	v_add_f64 v[2:3], v[2:3], v[4:5]
	v_mul_f64 v[4:5], v[198:199], v[128:129]
	v_add_f64 v[212:213], v[208:209], v[210:211]
	ds_read_b128 v[208:211], v1 offset:1136
	s_waitcnt lgkmcnt(1)
	v_mul_f64 v[214:215], v[204:205], v[220:221]
	v_fma_f64 v[4:5], v[196:197], v[130:131], -v[4:5]
	v_fmac_f64_e32 v[214:215], v[206:207], v[222:223]
	v_add_f64 v[2:3], v[2:3], v[4:5]
	v_mul_f64 v[4:5], v[202:203], v[224:225]
	v_add_f64 v[240:241], v[212:213], v[214:215]
	ds_read_b128 v[212:215], v1 offset:1152
	v_fma_f64 v[4:5], v[200:201], v[226:227], -v[4:5]
	v_add_f64 v[2:3], v[2:3], v[4:5]
	v_mul_f64 v[4:5], v[206:207], v[220:221]
	ds_read_b128 v[216:219], v1 offset:1168
	v_fma_f64 v[4:5], v[204:205], v[222:223], -v[4:5]
	v_add_f64 v[2:3], v[2:3], v[4:5]
	s_waitcnt vmcnt(6) lgkmcnt(2)
	v_mul_f64 v[4:5], v[210:211], v[232:233]
	v_mul_f64 v[242:243], v[208:209], v[232:233]
	s_waitcnt vmcnt(4)
	v_fma_f64 v[4:5], v[208:209], v[234:235], -v[4:5]
	v_fmac_f64_e32 v[242:243], v[210:211], v[234:235]
	v_add_f64 v[2:3], v[2:3], v[4:5]
	s_waitcnt lgkmcnt(1)
	v_mul_f64 v[4:5], v[214:215], v[228:229]
	v_add_f64 v[240:241], v[240:241], v[242:243]
	v_mul_f64 v[242:243], v[212:213], v[228:229]
	v_fma_f64 v[4:5], v[212:213], v[230:231], -v[4:5]
	v_fmac_f64_e32 v[242:243], v[214:215], v[230:231]
	v_add_f64 v[2:3], v[2:3], v[4:5]
	s_waitcnt vmcnt(2) lgkmcnt(0)
	v_mul_f64 v[4:5], v[218:219], v[236:237]
	v_add_f64 v[240:241], v[240:241], v[242:243]
	v_mul_f64 v[242:243], v[216:217], v[236:237]
	s_waitcnt vmcnt(0)
	v_fma_f64 v[4:5], v[216:217], v[238:239], -v[4:5]
	v_fmac_f64_e32 v[242:243], v[218:219], v[238:239]
	v_add_f64 v[2:3], v[2:3], v[4:5]
	v_add_f64 v[240:241], v[240:241], v[242:243]
	v_add_f64 v[2:3], v[46:47], -v[2:3]
	v_add_f64 v[4:5], v[44:45], -v[240:241]
	buffer_store_dword v3, off, s[0:3], 0 offset:148
	buffer_store_dword v2, off, s[0:3], 0 offset:144
	;; [unrolled: 1-line block ×4, first 2 shown]
	s_and_saveexec_b64 s[4:5], vcc
	s_cbranch_execz .LBB36_221
; %bb.220:
	v_accvgpr_read_b32 v1, a101
	buffer_load_dword v2, v1, s[0:3], 0 offen
	buffer_load_dword v3, v1, s[0:3], 0 offen offset:4
	buffer_load_dword v4, v1, s[0:3], 0 offen offset:8
	;; [unrolled: 1-line block ×3, first 2 shown]
	v_mov_b32_e32 v1, 0
	v_accvgpr_read_b32 v6, a108
	buffer_store_dword v1, off, s[0:3], 0 offset:128
	buffer_store_dword v1, off, s[0:3], 0 offset:132
	;; [unrolled: 1-line block ×4, first 2 shown]
	s_waitcnt vmcnt(4)
	ds_write_b128 v6, v[2:5]
.LBB36_221:
	s_or_b64 exec, exec, s[4:5]
	s_waitcnt lgkmcnt(0)
	; wave barrier
	s_waitcnt lgkmcnt(0)
	buffer_load_dword v38, off, s[0:3], 0 offset:144
	buffer_load_dword v39, off, s[0:3], 0 offset:148
	buffer_load_dword v42, off, s[0:3], 0 offset:152
	buffer_load_dword v43, off, s[0:3], 0 offset:156
	buffer_load_dword v40, off, s[0:3], 0 offset:160
	buffer_load_dword v41, off, s[0:3], 0 offset:164
	buffer_load_dword v44, off, s[0:3], 0 offset:168
	buffer_load_dword v45, off, s[0:3], 0 offset:172
	buffer_load_dword v46, off, s[0:3], 0 offset:184
	buffer_load_dword v47, off, s[0:3], 0 offset:188
	buffer_load_dword v49, off, s[0:3], 0 offset:220
	buffer_load_dword v48, off, s[0:3], 0 offset:216
	buffer_load_dword v51, off, s[0:3], 0 offset:212
	buffer_load_dword v50, off, s[0:3], 0 offset:208
	buffer_load_dword v53, off, s[0:3], 0 offset:204
	buffer_load_dword v52, off, s[0:3], 0 offset:200
	buffer_load_dword v55, off, s[0:3], 0 offset:252
	buffer_load_dword v54, off, s[0:3], 0 offset:248
	buffer_load_dword v57, off, s[0:3], 0 offset:244
	buffer_load_dword v56, off, s[0:3], 0 offset:240
	buffer_load_dword v59, off, s[0:3], 0 offset:236
	buffer_load_dword v58, off, s[0:3], 0 offset:232
	buffer_load_dword v65, off, s[0:3], 0 offset:284
	buffer_load_dword v67, off, s[0:3], 0 offset:276
	buffer_load_dword v69, off, s[0:3], 0 offset:268
	buffer_load_dword v68, off, s[0:3], 0 offset:264
	buffer_load_dword v76, off, s[0:3], 0 offset:176
	buffer_load_dword v77, off, s[0:3], 0 offset:180
	buffer_load_dword v75, off, s[0:3], 0 offset:196
	buffer_load_dword v74, off, s[0:3], 0 offset:192
	buffer_load_dword v73, off, s[0:3], 0 offset:228
	buffer_load_dword v72, off, s[0:3], 0 offset:224
	buffer_load_dword v71, off, s[0:3], 0 offset:260
	buffer_load_dword v70, off, s[0:3], 0 offset:256
	buffer_load_dword v64, off, s[0:3], 0 offset:280
	buffer_load_dword v66, off, s[0:3], 0 offset:272
	buffer_load_dword v62, off, s[0:3], 0 offset:128
	buffer_load_dword v63, off, s[0:3], 0 offset:132
	buffer_load_dword v60, off, s[0:3], 0 offset:136
	buffer_load_dword v61, off, s[0:3], 0 offset:140
	buffer_load_dword v79, off, s[0:3], 0 offset:316
	buffer_load_dword v78, off, s[0:3], 0 offset:312
	buffer_load_dword v81, off, s[0:3], 0 offset:308
	buffer_load_dword v80, off, s[0:3], 0 offset:304
	buffer_load_dword v83, off, s[0:3], 0 offset:300
	buffer_load_dword v82, off, s[0:3], 0 offset:296
	buffer_load_dword v85, off, s[0:3], 0 offset:292
	buffer_load_dword v84, off, s[0:3], 0 offset:288
	v_mov_b32_e32 v1, 0
	ds_read_b128 v[34:37], v1 offset:720
	ds_read_b128 v[30:33], v1 offset:736
	;; [unrolled: 1-line block ×9, first 2 shown]
	v_cmp_lt_u32_e32 vcc, 6, v0
	s_waitcnt vmcnt(44) lgkmcnt(8)
	v_mul_f64 v[86:87], v[34:35], v[42:43]
	v_fmac_f64_e32 v[86:87], v[36:37], v[38:39]
	v_add_f64 v[86:87], v[86:87], 0
	v_mul_f64 v[36:37], v[36:37], v[42:43]
	s_waitcnt vmcnt(40) lgkmcnt(7)
	v_mul_f64 v[88:89], v[30:31], v[44:45]
	v_fmac_f64_e32 v[88:89], v[32:33], v[40:41]
	s_waitcnt vmcnt(38) lgkmcnt(6)
	v_mul_f64 v[90:91], v[26:27], v[46:47]
	v_add_f64 v[86:87], v[86:87], v[88:89]
	s_waitcnt vmcnt(36) lgkmcnt(4)
	v_mul_f64 v[94:95], v[18:19], v[48:49]
	v_fma_f64 v[34:35], v[34:35], v[38:39], -v[36:37]
	s_waitcnt vmcnt(34)
	v_fmac_f64_e32 v[94:95], v[20:21], v[50:51]
	v_mul_f64 v[32:33], v[32:33], v[44:45]
	s_waitcnt vmcnt(32)
	v_mul_f64 v[92:93], v[22:23], v[52:53]
	v_add_f64 v[34:35], v[34:35], 0
	s_waitcnt vmcnt(30) lgkmcnt(2)
	v_mul_f64 v[98:99], v[10:11], v[54:55]
	v_fma_f64 v[30:31], v[30:31], v[40:41], -v[32:33]
	s_waitcnt vmcnt(28)
	v_fmac_f64_e32 v[98:99], v[12:13], v[56:57]
	v_add_f64 v[30:31], v[34:35], v[30:31]
	s_waitcnt vmcnt(26)
	v_mul_f64 v[96:97], v[14:15], v[58:59]
	v_mul_f64 v[20:21], v[20:21], v[48:49]
	v_fma_f64 v[18:19], v[18:19], v[50:51], -v[20:21]
	v_mul_f64 v[12:13], v[12:13], v[54:55]
	s_waitcnt vmcnt(22) lgkmcnt(1)
	v_mul_f64 v[110:111], v[6:7], v[68:69]
	v_fma_f64 v[10:11], v[10:11], v[56:57], -v[12:13]
	s_waitcnt vmcnt(20)
	v_fmac_f64_e32 v[90:91], v[28:29], v[76:77]
	v_add_f64 v[86:87], v[86:87], v[90:91]
	s_waitcnt vmcnt(18)
	v_fmac_f64_e32 v[92:93], v[24:25], v[74:75]
	v_add_f64 v[86:87], v[86:87], v[92:93]
	;; [unrolled: 3-line block ×3, first 2 shown]
	v_add_f64 v[86:87], v[86:87], v[96:97]
	v_add_f64 v[112:113], v[86:87], v[98:99]
	buffer_load_dword v87, off, s[0:3], 0 offset:348
	buffer_load_dword v86, off, s[0:3], 0 offset:344
	;; [unrolled: 1-line block ×72, first 2 shown]
	s_waitcnt vmcnt(62)
	v_fmac_f64_e32 v[110:111], v[8:9], v[70:71]
	v_add_f64 v[144:145], v[112:113], v[110:111]
	ds_read_b128 v[110:113], v1 offset:864
	s_waitcnt lgkmcnt(1)
	v_mul_f64 v[146:147], v[2:3], v[64:65]
	v_fmac_f64_e32 v[146:147], v[4:5], v[66:67]
	v_add_f64 v[148:149], v[144:145], v[146:147]
	ds_read_b128 v[144:147], v1 offset:880
	s_waitcnt lgkmcnt(1)
	v_mul_f64 v[150:151], v[110:111], v[82:83]
	;; [unrolled: 5-line block ×5, first 2 shown]
	v_fmac_f64_e32 v[162:163], v[154:155], v[88:89]
	v_add_f64 v[164:165], v[160:161], v[162:163]
	ds_read_b128 v[160:163], v1 offset:944
	s_waitcnt vmcnt(58) lgkmcnt(1)
	v_mul_f64 v[166:167], v[156:157], v[98:99]
	s_waitcnt vmcnt(56)
	v_fmac_f64_e32 v[166:167], v[158:159], v[100:101]
	v_add_f64 v[168:169], v[164:165], v[166:167]
	ds_read_b128 v[164:167], v1 offset:960
	s_waitcnt lgkmcnt(1)
	v_mul_f64 v[170:171], v[160:161], v[94:95]
	v_fmac_f64_e32 v[170:171], v[162:163], v[96:97]
	v_mul_f64 v[28:29], v[28:29], v[46:47]
	v_add_f64 v[172:173], v[168:169], v[170:171]
	ds_read_b128 v[168:171], v1 offset:976
	s_waitcnt vmcnt(50) lgkmcnt(1)
	v_mul_f64 v[174:175], v[164:165], v[106:107]
	v_fma_f64 v[26:27], v[26:27], v[76:77], -v[28:29]
	v_mul_f64 v[24:25], v[24:25], v[52:53]
	s_waitcnt vmcnt(48)
	v_fmac_f64_e32 v[174:175], v[166:167], v[108:109]
	v_add_f64 v[26:27], v[30:31], v[26:27]
	v_fma_f64 v[22:23], v[22:23], v[74:75], -v[24:25]
	v_add_f64 v[176:177], v[172:173], v[174:175]
	ds_read_b128 v[172:175], v1 offset:992
	v_add_f64 v[22:23], v[26:27], v[22:23]
	v_mul_f64 v[16:17], v[16:17], v[58:59]
	v_add_f64 v[18:19], v[22:23], v[18:19]
	v_fma_f64 v[14:15], v[14:15], v[72:73], -v[16:17]
	v_add_f64 v[14:15], v[18:19], v[14:15]
	v_mul_f64 v[8:9], v[8:9], v[68:69]
	s_waitcnt lgkmcnt(1)
	v_mul_f64 v[178:179], v[168:169], v[102:103]
	v_add_f64 v[10:11], v[14:15], v[10:11]
	v_fma_f64 v[6:7], v[6:7], v[70:71], -v[8:9]
	v_mul_f64 v[4:5], v[4:5], v[64:65]
	v_fmac_f64_e32 v[178:179], v[170:171], v[104:105]
	v_add_f64 v[6:7], v[10:11], v[6:7]
	v_fma_f64 v[2:3], v[2:3], v[66:67], -v[4:5]
	v_mul_f64 v[4:5], v[112:113], v[82:83]
	v_add_f64 v[180:181], v[176:177], v[178:179]
	ds_read_b128 v[176:179], v1 offset:1008
	s_waitcnt vmcnt(42) lgkmcnt(1)
	v_mul_f64 v[182:183], v[172:173], v[120:121]
	v_add_f64 v[2:3], v[6:7], v[2:3]
	v_fma_f64 v[4:5], v[110:111], v[84:85], -v[4:5]
	s_waitcnt vmcnt(40)
	v_fmac_f64_e32 v[182:183], v[174:175], v[122:123]
	v_add_f64 v[2:3], v[2:3], v[4:5]
	v_mul_f64 v[4:5], v[146:147], v[78:79]
	v_add_f64 v[192:193], v[180:181], v[182:183]
	ds_read_b128 v[180:183], v1 offset:1024
	v_fma_f64 v[4:5], v[144:145], v[80:81], -v[4:5]
	v_add_f64 v[2:3], v[2:3], v[4:5]
	v_mul_f64 v[4:5], v[150:151], v[90:91]
	v_fma_f64 v[4:5], v[148:149], v[92:93], -v[4:5]
	s_waitcnt lgkmcnt(1)
	v_mul_f64 v[194:195], v[176:177], v[114:115]
	v_add_f64 v[2:3], v[2:3], v[4:5]
	v_mul_f64 v[4:5], v[154:155], v[86:87]
	v_fmac_f64_e32 v[194:195], v[178:179], v[116:117]
	v_fma_f64 v[4:5], v[152:153], v[88:89], -v[4:5]
	v_add_f64 v[196:197], v[192:193], v[194:195]
	ds_read_b128 v[192:195], v1 offset:1040
	s_waitcnt vmcnt(34) lgkmcnt(1)
	v_mul_f64 v[198:199], v[180:181], v[128:129]
	v_add_f64 v[2:3], v[2:3], v[4:5]
	v_mul_f64 v[4:5], v[158:159], v[98:99]
	s_waitcnt vmcnt(32)
	v_fmac_f64_e32 v[198:199], v[182:183], v[130:131]
	v_fma_f64 v[4:5], v[156:157], v[100:101], -v[4:5]
	v_add_f64 v[200:201], v[196:197], v[198:199]
	ds_read_b128 v[196:199], v1 offset:1056
	v_add_f64 v[2:3], v[2:3], v[4:5]
	v_mul_f64 v[4:5], v[162:163], v[94:95]
	v_fma_f64 v[4:5], v[160:161], v[96:97], -v[4:5]
	v_add_f64 v[2:3], v[2:3], v[4:5]
	v_mul_f64 v[4:5], v[166:167], v[106:107]
	s_waitcnt lgkmcnt(1)
	v_mul_f64 v[202:203], v[192:193], v[124:125]
	v_fma_f64 v[4:5], v[164:165], v[108:109], -v[4:5]
	v_fmac_f64_e32 v[202:203], v[194:195], v[126:127]
	v_add_f64 v[2:3], v[2:3], v[4:5]
	v_mul_f64 v[4:5], v[170:171], v[102:103]
	v_add_f64 v[204:205], v[200:201], v[202:203]
	ds_read_b128 v[200:203], v1 offset:1072
	s_waitcnt vmcnt(26) lgkmcnt(1)
	v_mul_f64 v[206:207], v[196:197], v[136:137]
	v_fma_f64 v[4:5], v[168:169], v[104:105], -v[4:5]
	s_waitcnt vmcnt(24)
	v_fmac_f64_e32 v[206:207], v[198:199], v[138:139]
	v_add_f64 v[2:3], v[2:3], v[4:5]
	v_mul_f64 v[4:5], v[174:175], v[120:121]
	v_add_f64 v[208:209], v[204:205], v[206:207]
	ds_read_b128 v[204:207], v1 offset:1088
	v_fma_f64 v[4:5], v[172:173], v[122:123], -v[4:5]
	v_add_f64 v[2:3], v[2:3], v[4:5]
	v_mul_f64 v[4:5], v[178:179], v[114:115]
	v_fma_f64 v[4:5], v[176:177], v[116:117], -v[4:5]
	s_waitcnt lgkmcnt(1)
	v_mul_f64 v[210:211], v[200:201], v[132:133]
	v_add_f64 v[2:3], v[2:3], v[4:5]
	v_mul_f64 v[4:5], v[182:183], v[128:129]
	v_fmac_f64_e32 v[210:211], v[202:203], v[134:135]
	v_fma_f64 v[4:5], v[180:181], v[130:131], -v[4:5]
	v_add_f64 v[212:213], v[208:209], v[210:211]
	ds_read_b128 v[208:211], v1 offset:1104
	s_waitcnt vmcnt(18) lgkmcnt(1)
	v_mul_f64 v[214:215], v[204:205], v[228:229]
	v_add_f64 v[2:3], v[2:3], v[4:5]
	v_mul_f64 v[4:5], v[194:195], v[124:125]
	s_waitcnt vmcnt(16)
	v_fmac_f64_e32 v[214:215], v[206:207], v[230:231]
	v_fma_f64 v[4:5], v[192:193], v[126:127], -v[4:5]
	v_add_f64 v[216:217], v[212:213], v[214:215]
	ds_read_b128 v[212:215], v1 offset:1120
	v_add_f64 v[2:3], v[2:3], v[4:5]
	v_mul_f64 v[4:5], v[198:199], v[136:137]
	v_fma_f64 v[4:5], v[196:197], v[138:139], -v[4:5]
	v_add_f64 v[2:3], v[2:3], v[4:5]
	v_mul_f64 v[4:5], v[202:203], v[132:133]
	s_waitcnt lgkmcnt(1)
	v_mul_f64 v[218:219], v[208:209], v[140:141]
	v_fma_f64 v[4:5], v[200:201], v[134:135], -v[4:5]
	v_fmac_f64_e32 v[218:219], v[210:211], v[142:143]
	v_add_f64 v[2:3], v[2:3], v[4:5]
	v_mul_f64 v[4:5], v[206:207], v[228:229]
	v_add_f64 v[220:221], v[216:217], v[218:219]
	ds_read_b128 v[216:219], v1 offset:1136
	s_waitcnt vmcnt(10) lgkmcnt(1)
	v_mul_f64 v[222:223], v[212:213], v[236:237]
	v_fma_f64 v[4:5], v[204:205], v[230:231], -v[4:5]
	s_waitcnt vmcnt(8)
	v_fmac_f64_e32 v[222:223], v[214:215], v[238:239]
	v_add_f64 v[2:3], v[2:3], v[4:5]
	v_mul_f64 v[4:5], v[210:211], v[140:141]
	v_add_f64 v[248:249], v[220:221], v[222:223]
	ds_read_b128 v[220:223], v1 offset:1152
	ds_read_b128 v[224:227], v1 offset:1168
	v_fma_f64 v[4:5], v[208:209], v[142:143], -v[4:5]
	v_add_f64 v[2:3], v[2:3], v[4:5]
	v_mul_f64 v[4:5], v[214:215], v[236:237]
	v_fma_f64 v[4:5], v[212:213], v[238:239], -v[4:5]
	v_add_f64 v[2:3], v[2:3], v[4:5]
	s_waitcnt lgkmcnt(2)
	v_mul_f64 v[4:5], v[218:219], v[232:233]
	v_mul_f64 v[250:251], v[216:217], v[232:233]
	v_fma_f64 v[4:5], v[216:217], v[234:235], -v[4:5]
	v_fmac_f64_e32 v[250:251], v[218:219], v[234:235]
	v_add_f64 v[2:3], v[2:3], v[4:5]
	s_waitcnt vmcnt(2) lgkmcnt(1)
	v_mul_f64 v[4:5], v[222:223], v[244:245]
	v_add_f64 v[248:249], v[248:249], v[250:251]
	v_mul_f64 v[250:251], v[220:221], v[244:245]
	s_waitcnt vmcnt(0)
	v_fma_f64 v[4:5], v[220:221], v[246:247], -v[4:5]
	v_fmac_f64_e32 v[250:251], v[222:223], v[246:247]
	v_add_f64 v[2:3], v[2:3], v[4:5]
	s_waitcnt lgkmcnt(0)
	v_mul_f64 v[4:5], v[226:227], v[240:241]
	v_add_f64 v[248:249], v[248:249], v[250:251]
	v_mul_f64 v[250:251], v[224:225], v[240:241]
	v_fma_f64 v[4:5], v[224:225], v[242:243], -v[4:5]
	v_fmac_f64_e32 v[250:251], v[226:227], v[242:243]
	v_add_f64 v[2:3], v[2:3], v[4:5]
	v_add_f64 v[248:249], v[248:249], v[250:251]
	v_add_f64 v[2:3], v[62:63], -v[2:3]
	v_add_f64 v[4:5], v[60:61], -v[248:249]
	buffer_store_dword v3, off, s[0:3], 0 offset:132
	buffer_store_dword v2, off, s[0:3], 0 offset:128
	;; [unrolled: 1-line block ×4, first 2 shown]
	s_and_saveexec_b64 s[4:5], vcc
	s_cbranch_execz .LBB36_223
; %bb.222:
	v_accvgpr_read_b32 v5, a102
	buffer_load_dword v2, v5, s[0:3], 0 offen
	buffer_load_dword v3, v5, s[0:3], 0 offen offset:4
	buffer_load_dword v4, v5, s[0:3], 0 offen offset:8
	s_nop 0
	buffer_load_dword v5, v5, s[0:3], 0 offen offset:12
	v_accvgpr_read_b32 v6, a108
	buffer_store_dword v1, off, s[0:3], 0 offset:112
	buffer_store_dword v1, off, s[0:3], 0 offset:116
	buffer_store_dword v1, off, s[0:3], 0 offset:120
	buffer_store_dword v1, off, s[0:3], 0 offset:124
	s_waitcnt vmcnt(4)
	ds_write_b128 v6, v[2:5]
.LBB36_223:
	s_or_b64 exec, exec, s[4:5]
	s_waitcnt lgkmcnt(0)
	; wave barrier
	s_waitcnt lgkmcnt(0)
	buffer_load_dword v48, off, s[0:3], 0 offset:128
	buffer_load_dword v49, off, s[0:3], 0 offset:132
	;; [unrolled: 1-line block ×40, first 2 shown]
	ds_read_b128 v[38:41], v1 offset:704
	ds_read_b128 v[34:37], v1 offset:720
	;; [unrolled: 1-line block ×10, first 2 shown]
	buffer_load_dword v83, off, s[0:3], 0 offset:300
	buffer_load_dword v82, off, s[0:3], 0 offset:296
	;; [unrolled: 1-line block ×8, first 2 shown]
	v_cmp_lt_u32_e32 vcc, 5, v0
	s_waitcnt vmcnt(44) lgkmcnt(9)
	v_mul_f64 v[90:91], v[38:39], v[50:51]
	v_fmac_f64_e32 v[90:91], v[40:41], v[48:49]
	v_add_f64 v[90:91], v[90:91], 0
	v_mul_f64 v[40:41], v[40:41], v[50:51]
	s_waitcnt vmcnt(40) lgkmcnt(8)
	v_mul_f64 v[92:93], v[34:35], v[44:45]
	v_fmac_f64_e32 v[92:93], v[36:37], v[42:43]
	s_waitcnt vmcnt(38) lgkmcnt(7)
	v_mul_f64 v[94:95], v[30:31], v[46:47]
	v_add_f64 v[90:91], v[90:91], v[92:93]
	s_waitcnt vmcnt(36) lgkmcnt(5)
	v_mul_f64 v[98:99], v[22:23], v[52:53]
	v_mul_f64 v[36:37], v[36:37], v[44:45]
	s_waitcnt vmcnt(34)
	v_fmac_f64_e32 v[98:99], v[24:25], v[54:55]
	v_fma_f64 v[34:35], v[34:35], v[42:43], -v[36:37]
	s_waitcnt vmcnt(32)
	v_mul_f64 v[96:97], v[26:27], v[56:57]
	v_mul_f64 v[24:25], v[24:25], v[52:53]
	s_waitcnt vmcnt(30) lgkmcnt(4)
	v_mul_f64 v[100:101], v[18:19], v[62:63]
	v_fma_f64 v[22:23], v[22:23], v[54:55], -v[24:25]
	s_waitcnt vmcnt(28) lgkmcnt(1)
	v_mul_f64 v[124:125], v[2:3], v[64:65]
	s_waitcnt vmcnt(25)
	v_mul_f64 v[104:105], v[6:7], v[68:69]
	s_waitcnt vmcnt(23)
	;; [unrolled: 2-line block ×3, first 2 shown]
	v_fmac_f64_e32 v[102:103], v[12:13], v[72:73]
	v_mul_f64 v[12:13], v[12:13], v[70:71]
	s_waitcnt vmcnt(19)
	v_fmac_f64_e32 v[94:95], v[32:33], v[80:81]
	v_add_f64 v[90:91], v[90:91], v[94:95]
	s_waitcnt vmcnt(17)
	v_fmac_f64_e32 v[96:97], v[28:29], v[78:79]
	v_add_f64 v[90:91], v[90:91], v[96:97]
	;; [unrolled: 3-line block ×3, first 2 shown]
	v_add_f64 v[90:91], v[90:91], v[100:101]
	s_waitcnt vmcnt(13)
	v_fmac_f64_e32 v[104:105], v[8:9], v[74:75]
	v_add_f64 v[90:91], v[90:91], v[102:103]
	v_add_f64 v[126:127], v[90:91], v[104:105]
	buffer_load_dword v91, off, s[0:3], 0 offset:332
	buffer_load_dword v90, off, s[0:3], 0 offset:328
	;; [unrolled: 1-line block ×72, first 2 shown]
	s_waitcnt vmcnt(62)
	v_fmac_f64_e32 v[124:125], v[4:5], v[66:67]
	v_add_f64 v[152:153], v[126:127], v[124:125]
	ds_read_b128 v[124:127], v1 offset:864
	s_waitcnt lgkmcnt(1)
	v_mul_f64 v[154:155], v[14:15], v[86:87]
	v_fmac_f64_e32 v[154:155], v[16:17], v[88:89]
	buffer_load_dword v245, off, s[0:3], 0 offset:604
	buffer_load_dword v244, off, s[0:3], 0 offset:600
	;; [unrolled: 1-line block ×4, first 2 shown]
	v_add_f64 v[156:157], v[152:153], v[154:155]
	s_waitcnt lgkmcnt(0)
	v_mul_f64 v[158:159], v[124:125], v[82:83]
	ds_read_b128 v[152:155], v1 offset:880
	v_fmac_f64_e32 v[158:159], v[126:127], v[84:85]
	v_add_f64 v[160:161], v[156:157], v[158:159]
	ds_read_b128 v[156:159], v1 offset:896
	v_mul_f64 v[32:33], v[32:33], v[46:47]
	s_waitcnt lgkmcnt(1)
	v_mul_f64 v[162:163], v[152:153], v[94:95]
	v_fma_f64 v[30:31], v[30:31], v[80:81], -v[32:33]
	v_fmac_f64_e32 v[162:163], v[154:155], v[96:97]
	s_waitcnt lgkmcnt(0)
	v_mul_f64 v[166:167], v[156:157], v[90:91]
	v_add_f64 v[164:165], v[160:161], v[162:163]
	ds_read_b128 v[160:163], v1 offset:912
	v_fmac_f64_e32 v[166:167], v[158:159], v[92:93]
	v_add_f64 v[168:169], v[164:165], v[166:167]
	ds_read_b128 v[164:167], v1 offset:928
	v_mul_f64 v[28:29], v[28:29], v[56:57]
	s_waitcnt vmcnt(62) lgkmcnt(1)
	v_mul_f64 v[170:171], v[160:161], v[102:103]
	s_waitcnt vmcnt(60)
	v_fmac_f64_e32 v[170:171], v[162:163], v[104:105]
	v_add_f64 v[172:173], v[168:169], v[170:171]
	s_waitcnt lgkmcnt(0)
	v_mul_f64 v[174:175], v[164:165], v[98:99]
	ds_read_b128 v[168:171], v1 offset:944
	v_fmac_f64_e32 v[174:175], v[166:167], v[100:101]
	v_add_f64 v[176:177], v[172:173], v[174:175]
	ds_read_b128 v[172:175], v1 offset:960
	v_fma_f64 v[26:27], v[26:27], v[78:79], -v[28:29]
	s_waitcnt vmcnt(54) lgkmcnt(1)
	v_mul_f64 v[178:179], v[168:169], v[110:111]
	s_waitcnt vmcnt(52)
	v_fmac_f64_e32 v[178:179], v[170:171], v[112:113]
	v_add_f64 v[180:181], v[176:177], v[178:179]
	s_waitcnt lgkmcnt(0)
	v_mul_f64 v[182:183], v[172:173], v[106:107]
	ds_read_b128 v[176:179], v1 offset:976
	v_fmac_f64_e32 v[182:183], v[174:175], v[108:109]
	v_add_f64 v[192:193], v[180:181], v[182:183]
	ds_read_b128 v[180:183], v1 offset:992
	v_mul_f64 v[20:21], v[20:21], v[62:63]
	s_waitcnt vmcnt(46) lgkmcnt(1)
	v_mul_f64 v[194:195], v[176:177], v[120:121]
	s_waitcnt vmcnt(44)
	v_fmac_f64_e32 v[194:195], v[178:179], v[122:123]
	v_add_f64 v[196:197], v[192:193], v[194:195]
	s_waitcnt lgkmcnt(0)
	v_mul_f64 v[198:199], v[180:181], v[114:115]
	ds_read_b128 v[192:195], v1 offset:1008
	v_fmac_f64_e32 v[198:199], v[182:183], v[116:117]
	v_add_f64 v[200:201], v[196:197], v[198:199]
	ds_read_b128 v[196:199], v1 offset:1024
	v_fma_f64 v[18:19], v[18:19], v[76:77], -v[20:21]
	s_waitcnt vmcnt(38) lgkmcnt(1)
	v_mul_f64 v[202:203], v[192:193], v[132:133]
	s_waitcnt vmcnt(36)
	v_fmac_f64_e32 v[202:203], v[194:195], v[134:135]
	v_add_f64 v[204:205], v[200:201], v[202:203]
	s_waitcnt lgkmcnt(0)
	v_mul_f64 v[206:207], v[196:197], v[128:129]
	ds_read_b128 v[200:203], v1 offset:1040
	v_fmac_f64_e32 v[206:207], v[198:199], v[130:131]
	v_add_f64 v[208:209], v[204:205], v[206:207]
	ds_read_b128 v[204:207], v1 offset:1056
	v_fma_f64 v[10:11], v[10:11], v[72:73], -v[12:13]
	s_waitcnt vmcnt(30) lgkmcnt(1)
	v_mul_f64 v[210:211], v[200:201], v[140:141]
	s_waitcnt vmcnt(28)
	v_fmac_f64_e32 v[210:211], v[202:203], v[142:143]
	v_add_f64 v[212:213], v[208:209], v[210:211]
	s_waitcnt lgkmcnt(0)
	v_mul_f64 v[214:215], v[204:205], v[136:137]
	ds_read_b128 v[208:211], v1 offset:1072
	v_fmac_f64_e32 v[214:215], v[206:207], v[138:139]
	v_add_f64 v[216:217], v[212:213], v[214:215]
	ds_read_b128 v[212:215], v1 offset:1088
	v_mul_f64 v[8:9], v[8:9], v[68:69]
	s_waitcnt vmcnt(22) lgkmcnt(1)
	v_mul_f64 v[218:219], v[208:209], v[148:149]
	s_waitcnt vmcnt(20)
	v_fmac_f64_e32 v[218:219], v[210:211], v[150:151]
	v_add_f64 v[220:221], v[216:217], v[218:219]
	s_waitcnt lgkmcnt(0)
	v_mul_f64 v[222:223], v[212:213], v[144:145]
	ds_read_b128 v[216:219], v1 offset:1104
	v_fmac_f64_e32 v[222:223], v[214:215], v[146:147]
	v_add_f64 v[224:225], v[220:221], v[222:223]
	ds_read_b128 v[220:223], v1 offset:1120
	v_fma_f64 v[6:7], v[6:7], v[74:75], -v[8:9]
	s_waitcnt vmcnt(14) lgkmcnt(1)
	v_mul_f64 v[226:227], v[216:217], v[232:233]
	s_waitcnt vmcnt(12)
	v_fmac_f64_e32 v[226:227], v[218:219], v[234:235]
	v_add_f64 v[248:249], v[224:225], v[226:227]
	s_waitcnt lgkmcnt(0)
	v_mul_f64 v[250:251], v[220:221], v[228:229]
	v_fmac_f64_e32 v[250:251], v[222:223], v[230:231]
	v_add_f64 v[248:249], v[248:249], v[250:251]
	v_fma_f64 v[250:251], v[38:39], v[48:49], -v[40:41]
	v_add_f64 v[250:251], v[250:251], 0
	v_add_f64 v[34:35], v[250:251], v[34:35]
	;; [unrolled: 1-line block ×7, first 2 shown]
	v_mul_f64 v[4:5], v[4:5], v[64:65]
	v_add_f64 v[6:7], v[10:11], v[6:7]
	v_fma_f64 v[2:3], v[2:3], v[66:67], -v[4:5]
	v_mul_f64 v[4:5], v[16:17], v[86:87]
	v_add_f64 v[2:3], v[6:7], v[2:3]
	v_fma_f64 v[4:5], v[14:15], v[88:89], -v[4:5]
	v_add_f64 v[2:3], v[2:3], v[4:5]
	v_mul_f64 v[4:5], v[126:127], v[82:83]
	v_fma_f64 v[4:5], v[124:125], v[84:85], -v[4:5]
	v_add_f64 v[2:3], v[2:3], v[4:5]
	v_mul_f64 v[4:5], v[154:155], v[94:95]
	;; [unrolled: 3-line block ×15, first 2 shown]
	ds_read_b128 v[224:227], v1 offset:1136
	ds_read_b128 v[38:41], v1 offset:1152
	v_fma_f64 v[4:5], v[212:213], v[146:147], -v[4:5]
	v_add_f64 v[2:3], v[2:3], v[4:5]
	v_mul_f64 v[4:5], v[218:219], v[232:233]
	v_fma_f64 v[4:5], v[216:217], v[234:235], -v[4:5]
	v_add_f64 v[2:3], v[2:3], v[4:5]
	v_mul_f64 v[4:5], v[222:223], v[228:229]
	ds_read_b128 v[48:51], v1 offset:1168
	v_fma_f64 v[4:5], v[220:221], v[230:231], -v[4:5]
	v_add_f64 v[2:3], v[2:3], v[4:5]
	s_waitcnt vmcnt(6) lgkmcnt(2)
	v_mul_f64 v[4:5], v[226:227], v[240:241]
	v_mul_f64 v[252:253], v[224:225], v[240:241]
	s_waitcnt vmcnt(4)
	v_fma_f64 v[4:5], v[224:225], v[242:243], -v[4:5]
	v_fmac_f64_e32 v[252:253], v[226:227], v[242:243]
	v_add_f64 v[2:3], v[2:3], v[4:5]
	s_waitcnt lgkmcnt(1)
	v_mul_f64 v[4:5], v[40:41], v[236:237]
	v_add_f64 v[248:249], v[248:249], v[252:253]
	v_mul_f64 v[252:253], v[38:39], v[236:237]
	v_fma_f64 v[4:5], v[38:39], v[238:239], -v[4:5]
	v_fmac_f64_e32 v[252:253], v[40:41], v[238:239]
	v_add_f64 v[2:3], v[2:3], v[4:5]
	s_waitcnt vmcnt(2) lgkmcnt(0)
	v_mul_f64 v[4:5], v[50:51], v[244:245]
	v_add_f64 v[248:249], v[248:249], v[252:253]
	v_mul_f64 v[252:253], v[48:49], v[244:245]
	s_waitcnt vmcnt(0)
	v_fma_f64 v[4:5], v[48:49], v[246:247], -v[4:5]
	v_fmac_f64_e32 v[252:253], v[50:51], v[246:247]
	v_add_f64 v[2:3], v[2:3], v[4:5]
	v_add_f64 v[248:249], v[248:249], v[252:253]
	v_add_f64 v[2:3], v[60:61], -v[2:3]
	v_add_f64 v[4:5], v[58:59], -v[248:249]
	buffer_store_dword v3, off, s[0:3], 0 offset:116
	buffer_store_dword v2, off, s[0:3], 0 offset:112
	;; [unrolled: 1-line block ×4, first 2 shown]
	s_and_saveexec_b64 s[4:5], vcc
	s_cbranch_execz .LBB36_225
; %bb.224:
	v_accvgpr_read_b32 v1, a103
	buffer_load_dword v2, v1, s[0:3], 0 offen
	buffer_load_dword v3, v1, s[0:3], 0 offen offset:4
	buffer_load_dword v4, v1, s[0:3], 0 offen offset:8
	;; [unrolled: 1-line block ×3, first 2 shown]
	v_mov_b32_e32 v1, 0
	v_accvgpr_read_b32 v6, a108
	buffer_store_dword v1, off, s[0:3], 0 offset:96
	buffer_store_dword v1, off, s[0:3], 0 offset:100
	;; [unrolled: 1-line block ×4, first 2 shown]
	s_waitcnt vmcnt(4)
	ds_write_b128 v6, v[2:5]
.LBB36_225:
	s_or_b64 exec, exec, s[4:5]
	s_waitcnt lgkmcnt(0)
	; wave barrier
	s_waitcnt lgkmcnt(0)
	buffer_load_dword v106, off, s[0:3], 0 offset:112
	buffer_load_dword v107, off, s[0:3], 0 offset:116
	;; [unrolled: 1-line block ×49, first 2 shown]
	v_mov_b32_e32 v1, 0
	ds_read_b128 v[110:113], v1 offset:688
	ds_read_b128 v[252:255], v1 offset:704
	;; [unrolled: 1-line block ×10, first 2 shown]
	buffer_load_dword v158, off, s[0:3], 0 offset:304
	buffer_load_dword v173, off, s[0:3], 0 offset:300
	;; [unrolled: 1-line block ×69, first 2 shown]
	v_cmp_lt_u32_e32 vcc, 4, v0
	s_waitcnt vmcnt(62) lgkmcnt(9)
	v_mul_f64 v[34:35], v[110:111], v[108:109]
	v_fmac_f64_e32 v[34:35], v[112:113], v[106:107]
	v_add_f64 v[34:35], v[34:35], 0
	v_mul_f64 v[108:109], v[112:113], v[108:109]
	s_waitcnt lgkmcnt(8)
	v_mul_f64 v[36:37], v[252:253], v[116:117]
	v_fmac_f64_e32 v[36:37], v[254:255], v[114:115]
	s_waitcnt lgkmcnt(7)
	v_mul_f64 v[38:39], v[30:31], v[192:193]
	v_add_f64 v[34:35], v[34:35], v[36:37]
	s_waitcnt lgkmcnt(5)
	v_mul_f64 v[42:43], v[22:23], v[120:121]
	v_fma_f64 v[250:251], v[110:111], v[106:107], -v[108:109]
	v_fmac_f64_e32 v[42:43], v[24:25], v[122:123]
	v_mul_f64 v[116:117], v[254:255], v[116:117]
	v_mul_f64 v[40:41], v[26:27], v[124:125]
	v_fma_f64 v[252:253], v[252:253], v[114:115], -v[116:117]
	s_waitcnt lgkmcnt(3)
	v_mul_f64 v[46:47], v[14:15], v[126:127]
	v_add_f64 v[250:251], v[250:251], 0
	v_fmac_f64_e32 v[46:47], v[16:17], v[128:129]
	v_add_f64 v[250:251], v[250:251], v[252:253]
	v_mul_f64 v[44:45], v[18:19], v[130:131]
	v_mul_f64 v[24:25], v[24:25], v[120:121]
	s_waitcnt lgkmcnt(1)
	v_mul_f64 v[50:51], v[6:7], v[132:133]
	v_fma_f64 v[22:23], v[22:23], v[122:123], -v[24:25]
	v_fmac_f64_e32 v[50:51], v[8:9], v[134:135]
	v_mul_f64 v[16:17], v[16:17], v[126:127]
	v_mul_f64 v[48:49], v[10:11], v[140:141]
	v_fma_f64 v[14:15], v[14:15], v[128:129], -v[16:17]
	s_waitcnt lgkmcnt(0)
	v_mul_f64 v[52:53], v[2:3], v[136:137]
	v_mul_f64 v[8:9], v[8:9], v[132:133]
	v_fmac_f64_e32 v[38:39], v[32:33], v[152:153]
	v_add_f64 v[34:35], v[34:35], v[38:39]
	v_fmac_f64_e32 v[40:41], v[28:29], v[150:151]
	v_add_f64 v[34:35], v[34:35], v[40:41]
	;; [unrolled: 2-line block ×3, first 2 shown]
	v_add_f64 v[34:35], v[34:35], v[44:45]
	v_fmac_f64_e32 v[48:49], v[12:13], v[146:147]
	v_add_f64 v[34:35], v[34:35], v[46:47]
	v_add_f64 v[34:35], v[34:35], v[48:49]
	v_fmac_f64_e32 v[52:53], v[4:5], v[144:145]
	v_add_f64 v[34:35], v[34:35], v[50:51]
	v_add_f64 v[42:43], v[34:35], v[52:53]
	ds_read_b128 v[38:41], v1 offset:848
	ds_read_b128 v[34:37], v1 offset:864
	buffer_load_dword v233, off, s[0:3], 0 offset:604
	buffer_load_dword v232, off, s[0:3], 0 offset:600
	buffer_load_dword v237, off, s[0:3], 0 offset:596
	buffer_load_dword v236, off, s[0:3], 0 offset:592
	buffer_load_dword v245, off, s[0:3], 0 offset:588
	buffer_load_dword v244, off, s[0:3], 0 offset:584
	buffer_load_dword v247, off, s[0:3], 0 offset:580
	buffer_load_dword v246, off, s[0:3], 0 offset:576
	ds_read_b128 v[110:113], v1 offset:1136
	ds_read_b128 v[106:109], v1 offset:1152
	s_waitcnt lgkmcnt(3)
	v_mul_f64 v[44:45], v[38:39], v[142:143]
	v_fmac_f64_e32 v[44:45], v[40:41], v[154:155]
	v_add_f64 v[46:47], v[42:43], v[44:45]
	ds_read_b128 v[42:45], v1 offset:880
	s_waitcnt lgkmcnt(3)
	v_mul_f64 v[48:49], v[34:35], v[172:173]
	v_fmac_f64_e32 v[48:49], v[36:37], v[176:177]
	v_add_f64 v[50:51], v[46:47], v[48:49]
	;; [unrolled: 5-line block ×3, first 2 shown]
	ds_read_b128 v[50:53], v1 offset:912
	s_waitcnt vmcnt(62) lgkmcnt(1)
	v_mul_f64 v[56:57], v[46:47], v[180:181]
	v_fmac_f64_e32 v[56:57], v[48:49], v[196:197]
	v_add_f64 v[58:59], v[54:55], v[56:57]
	ds_read_b128 v[54:57], v1 offset:928
	s_waitcnt lgkmcnt(1)
	v_mul_f64 v[60:61], v[50:51], v[160:161]
	v_fmac_f64_e32 v[60:61], v[52:53], v[162:163]
	v_add_f64 v[62:63], v[58:59], v[60:61]
	ds_read_b128 v[58:61], v1 offset:944
	s_waitcnt vmcnt(58) lgkmcnt(1)
	v_mul_f64 v[64:65], v[54:55], v[200:201]
	s_waitcnt vmcnt(56)
	v_fmac_f64_e32 v[64:65], v[56:57], v[204:205]
	v_add_f64 v[66:67], v[62:63], v[64:65]
	ds_read_b128 v[62:65], v1 offset:960
	s_waitcnt lgkmcnt(1)
	v_mul_f64 v[68:69], v[58:59], v[164:165]
	v_fmac_f64_e32 v[68:69], v[60:61], v[166:167]
	v_add_f64 v[70:71], v[66:67], v[68:69]
	ds_read_b128 v[66:69], v1 offset:976
	s_waitcnt vmcnt(50) lgkmcnt(1)
	v_mul_f64 v[72:73], v[62:63], v[208:209]
	s_waitcnt vmcnt(48)
	;; [unrolled: 11-line block ×5, first 2 shown]
	v_fmac_f64_e32 v[96:97], v[88:89], v[230:231]
	v_add_f64 v[98:99], v[94:95], v[96:97]
	ds_read_b128 v[94:97], v1 offset:1088
	s_waitcnt lgkmcnt(1)
	v_mul_f64 v[100:101], v[90:91], v[202:203]
	v_fmac_f64_e32 v[100:101], v[92:93], v[206:207]
	v_add_f64 v[182:183], v[98:99], v[100:101]
	ds_read_b128 v[98:101], v1 offset:1104
	ds_read_b128 v[102:105], v1 offset:1120
	s_waitcnt vmcnt(18) lgkmcnt(2)
	v_mul_f64 v[248:249], v[94:95], v[234:235]
	s_waitcnt vmcnt(16)
	v_fmac_f64_e32 v[248:249], v[96:97], v[238:239]
	v_add_f64 v[182:183], v[182:183], v[248:249]
	s_waitcnt lgkmcnt(1)
	v_mul_f64 v[248:249], v[98:99], v[210:211]
	v_fmac_f64_e32 v[248:249], v[100:101], v[214:215]
	v_add_f64 v[182:183], v[182:183], v[248:249]
	s_waitcnt vmcnt(10) lgkmcnt(0)
	v_mul_f64 v[248:249], v[102:103], v[240:241]
	s_waitcnt vmcnt(8)
	v_fmac_f64_e32 v[248:249], v[104:105], v[242:243]
	ds_read_b128 v[114:117], v1 offset:1168
	v_add_f64 v[182:183], v[182:183], v[248:249]
	v_mul_f64 v[248:249], v[110:111], v[218:219]
	v_fmac_f64_e32 v[248:249], v[112:113], v[222:223]
	v_add_f64 v[182:183], v[182:183], v[248:249]
	v_mul_f64 v[32:33], v[32:33], v[192:193]
	s_waitcnt vmcnt(2)
	v_mul_f64 v[248:249], v[106:107], v[244:245]
	v_fma_f64 v[30:31], v[30:31], v[152:153], -v[32:33]
	s_waitcnt vmcnt(0)
	v_fmac_f64_e32 v[248:249], v[108:109], v[246:247]
	v_add_f64 v[182:183], v[182:183], v[248:249]
	s_waitcnt lgkmcnt(0)
	v_mul_f64 v[248:249], v[114:115], v[232:233]
	v_fmac_f64_e32 v[248:249], v[116:117], v[236:237]
	v_add_f64 v[248:249], v[182:183], v[248:249]
	buffer_load_dword v182, off, s[0:3], 0 offset:104
	buffer_load_dword v183, off, s[0:3], 0 offset:108
	v_mul_f64 v[28:29], v[28:29], v[124:125]
	v_add_f64 v[30:31], v[250:251], v[30:31]
	v_fma_f64 v[26:27], v[26:27], v[150:151], -v[28:29]
	v_add_f64 v[26:27], v[30:31], v[26:27]
	v_mul_f64 v[20:21], v[20:21], v[130:131]
	v_add_f64 v[22:23], v[26:27], v[22:23]
	v_fma_f64 v[18:19], v[18:19], v[148:149], -v[20:21]
	v_add_f64 v[18:19], v[22:23], v[18:19]
	;; [unrolled: 4-line block ×3, first 2 shown]
	v_fma_f64 v[6:7], v[6:7], v[134:135], -v[8:9]
	v_mul_f64 v[4:5], v[4:5], v[136:137]
	v_add_f64 v[6:7], v[10:11], v[6:7]
	v_fma_f64 v[2:3], v[2:3], v[144:145], -v[4:5]
	v_mul_f64 v[4:5], v[40:41], v[142:143]
	v_add_f64 v[2:3], v[6:7], v[2:3]
	v_fma_f64 v[4:5], v[38:39], v[154:155], -v[4:5]
	v_add_f64 v[2:3], v[2:3], v[4:5]
	v_mul_f64 v[4:5], v[36:37], v[172:173]
	v_fma_f64 v[4:5], v[34:35], v[176:177], -v[4:5]
	v_add_f64 v[2:3], v[2:3], v[4:5]
	v_mul_f64 v[4:5], v[44:45], v[156:157]
	;; [unrolled: 3-line block ×20, first 2 shown]
	v_fma_f64 v[4:5], v[114:115], v[236:237], -v[4:5]
	v_add_f64 v[2:3], v[2:3], v[4:5]
	v_add_f64 v[2:3], v[138:139], -v[2:3]
	s_waitcnt vmcnt(0)
	v_add_f64 v[4:5], v[182:183], -v[248:249]
	buffer_store_dword v3, off, s[0:3], 0 offset:100
	buffer_store_dword v2, off, s[0:3], 0 offset:96
	;; [unrolled: 1-line block ×4, first 2 shown]
	s_and_saveexec_b64 s[4:5], vcc
	s_cbranch_execz .LBB36_227
; %bb.226:
	v_accvgpr_read_b32 v5, a104
	buffer_load_dword v2, v5, s[0:3], 0 offen
	buffer_load_dword v3, v5, s[0:3], 0 offen offset:4
	buffer_load_dword v4, v5, s[0:3], 0 offen offset:8
	s_nop 0
	buffer_load_dword v5, v5, s[0:3], 0 offen offset:12
	v_accvgpr_read_b32 v6, a108
	buffer_store_dword v1, off, s[0:3], 0 offset:80
	buffer_store_dword v1, off, s[0:3], 0 offset:84
	;; [unrolled: 1-line block ×4, first 2 shown]
	s_waitcnt vmcnt(4)
	ds_write_b128 v6, v[2:5]
.LBB36_227:
	s_or_b64 exec, exec, s[4:5]
	s_waitcnt lgkmcnt(0)
	; wave barrier
	s_waitcnt lgkmcnt(0)
	buffer_load_dword v112, off, s[0:3], 0 offset:96
	buffer_load_dword v113, off, s[0:3], 0 offset:100
	;; [unrolled: 1-line block ×36, first 2 shown]
	ds_read_b128 v[102:105], v1 offset:672
	ds_read_b128 v[106:109], v1 offset:688
	;; [unrolled: 1-line block ×9, first 2 shown]
	buffer_load_dword v139, off, s[0:3], 0 offset:268
	buffer_load_dword v138, off, s[0:3], 0 offset:264
	;; [unrolled: 1-line block ×78, first 2 shown]
	v_cmp_lt_u32_e32 vcc, 3, v0
	s_waitcnt vmcnt(62) lgkmcnt(8)
	v_mul_f64 v[26:27], v[102:103], v[248:249]
	v_fmac_f64_e32 v[26:27], v[104:105], v[112:113]
	v_add_f64 v[26:27], v[26:27], 0
	v_mul_f64 v[104:105], v[104:105], v[248:249]
	s_waitcnt lgkmcnt(7)
	v_mul_f64 v[28:29], v[106:107], v[250:251]
	v_fmac_f64_e32 v[28:29], v[108:109], v[110:111]
	s_waitcnt lgkmcnt(6)
	v_mul_f64 v[30:31], v[114:115], v[246:247]
	v_add_f64 v[26:27], v[26:27], v[28:29]
	s_waitcnt lgkmcnt(4)
	v_mul_f64 v[34:35], v[18:19], v[192:193]
	v_fma_f64 v[248:249], v[102:103], v[112:113], -v[104:105]
	v_fmac_f64_e32 v[34:35], v[20:21], v[194:195]
	v_mul_f64 v[108:109], v[108:109], v[250:251]
	v_mul_f64 v[32:33], v[22:23], v[196:197]
	v_fma_f64 v[250:251], v[106:107], v[110:111], -v[108:109]
	s_waitcnt lgkmcnt(2)
	v_mul_f64 v[38:39], v[10:11], v[120:121]
	v_add_f64 v[248:249], v[248:249], 0
	v_fmac_f64_e32 v[38:39], v[12:13], v[122:123]
	v_add_f64 v[248:249], v[248:249], v[250:251]
	v_mul_f64 v[36:37], v[14:15], v[126:127]
	v_mul_f64 v[20:21], v[20:21], v[192:193]
	s_waitcnt lgkmcnt(1)
	v_mul_f64 v[40:41], v[6:7], v[124:125]
	v_fma_f64 v[18:19], v[18:19], v[194:195], -v[20:21]
	v_fmac_f64_e32 v[30:31], v[116:117], v[252:253]
	v_add_f64 v[26:27], v[26:27], v[30:31]
	v_fmac_f64_e32 v[32:33], v[24:25], v[134:135]
	v_add_f64 v[26:27], v[26:27], v[32:33]
	;; [unrolled: 2-line block ×3, first 2 shown]
	v_add_f64 v[26:27], v[26:27], v[36:37]
	v_fmac_f64_e32 v[40:41], v[8:9], v[130:131]
	v_add_f64 v[30:31], v[26:27], v[38:39]
	ds_read_b128 v[26:29], v1 offset:816
	s_waitcnt lgkmcnt(1)
	v_mul_f64 v[32:33], v[2:3], v[128:129]
	v_add_f64 v[30:31], v[30:31], v[40:41]
	v_fmac_f64_e32 v[32:33], v[4:5], v[136:137]
	v_add_f64 v[34:35], v[30:31], v[32:33]
	ds_read_b128 v[30:33], v1 offset:832
	s_waitcnt lgkmcnt(1)
	v_mul_f64 v[36:37], v[26:27], v[142:143]
	buffer_load_dword v235, off, s[0:3], 0 offset:532
	buffer_load_dword v234, off, s[0:3], 0 offset:528
	v_fmac_f64_e32 v[36:37], v[28:29], v[144:145]
	v_add_f64 v[38:39], v[34:35], v[36:37]
	s_waitcnt lgkmcnt(0)
	v_mul_f64 v[40:41], v[30:31], v[138:139]
	ds_read_b128 v[34:37], v1 offset:848
	v_fmac_f64_e32 v[40:41], v[32:33], v[140:141]
	v_add_f64 v[42:43], v[38:39], v[40:41]
	ds_read_b128 v[38:41], v1 offset:864
	v_mul_f64 v[116:117], v[116:117], v[246:247]
	s_waitcnt lgkmcnt(1)
	v_mul_f64 v[44:45], v[34:35], v[154:155]
	v_fmac_f64_e32 v[44:45], v[36:37], v[156:157]
	v_add_f64 v[46:47], v[42:43], v[44:45]
	s_waitcnt lgkmcnt(0)
	v_mul_f64 v[48:49], v[38:39], v[146:147]
	v_fmac_f64_e32 v[48:49], v[40:41], v[148:149]
	ds_read_b128 v[42:45], v1 offset:880
	v_add_f64 v[50:51], v[46:47], v[48:49]
	ds_read_b128 v[46:49], v1 offset:896
	buffer_load_dword v181, off, s[0:3], 0 offset:588
	buffer_load_dword v237, off, s[0:3], 0 offset:572
	buffer_load_dword v236, off, s[0:3], 0 offset:568
	buffer_load_dword v243, off, s[0:3], 0 offset:564
	buffer_load_dword v242, off, s[0:3], 0 offset:560
	buffer_load_dword v180, off, s[0:3], 0 offset:584
	buffer_load_dword v241, off, s[0:3], 0 offset:580
	buffer_load_dword v240, off, s[0:3], 0 offset:576
	buffer_load_dword v239, off, s[0:3], 0 offset:604
	buffer_load_dword v238, off, s[0:3], 0 offset:600
	buffer_load_dword v245, off, s[0:3], 0 offset:596
	buffer_load_dword v244, off, s[0:3], 0 offset:592
	ds_read_b128 v[106:109], v1 offset:1136
	s_waitcnt vmcnt(62) lgkmcnt(2)
	v_mul_f64 v[52:53], v[42:43], v[170:171]
	v_fmac_f64_e32 v[52:53], v[44:45], v[174:175]
	v_add_f64 v[54:55], v[50:51], v[52:53]
	ds_read_b128 v[50:53], v1 offset:912
	s_waitcnt lgkmcnt(2)
	v_mul_f64 v[56:57], v[46:47], v[150:151]
	v_fmac_f64_e32 v[56:57], v[48:49], v[152:153]
	v_add_f64 v[58:59], v[54:55], v[56:57]
	ds_read_b128 v[54:57], v1 offset:928
	s_waitcnt lgkmcnt(1)
	v_mul_f64 v[60:61], v[50:51], v[198:199]
	s_waitcnt vmcnt(60)
	v_fmac_f64_e32 v[60:61], v[52:53], v[200:201]
	v_add_f64 v[62:63], v[58:59], v[60:61]
	ds_read_b128 v[58:61], v1 offset:944
	s_waitcnt lgkmcnt(1)
	v_mul_f64 v[64:65], v[54:55], v[158:159]
	v_fmac_f64_e32 v[64:65], v[56:57], v[160:161]
	v_add_f64 v[66:67], v[62:63], v[64:65]
	ds_read_b128 v[62:65], v1 offset:960
	s_waitcnt vmcnt(54) lgkmcnt(1)
	v_mul_f64 v[68:69], v[58:59], v[204:205]
	s_waitcnt vmcnt(52)
	v_fmac_f64_e32 v[68:69], v[60:61], v[208:209]
	v_add_f64 v[70:71], v[66:67], v[68:69]
	ds_read_b128 v[66:69], v1 offset:976
	s_waitcnt lgkmcnt(1)
	v_mul_f64 v[72:73], v[62:63], v[162:163]
	v_fmac_f64_e32 v[72:73], v[64:65], v[164:165]
	v_add_f64 v[74:75], v[70:71], v[72:73]
	ds_read_b128 v[70:73], v1 offset:992
	s_waitcnt vmcnt(46) lgkmcnt(1)
	;; [unrolled: 11-line block ×4, first 2 shown]
	v_mul_f64 v[92:93], v[82:83], v[224:225]
	s_waitcnt vmcnt(28)
	v_fmac_f64_e32 v[92:93], v[84:85], v[226:227]
	v_add_f64 v[98:99], v[90:91], v[92:93]
	ds_read_b128 v[90:93], v1 offset:1072
	ds_read_b128 v[94:97], v1 offset:1088
	s_waitcnt lgkmcnt(2)
	v_mul_f64 v[100:101], v[86:87], v[178:179]
	v_fmac_f64_e32 v[100:101], v[88:89], v[202:203]
	v_add_f64 v[98:99], v[98:99], v[100:101]
	s_waitcnt vmcnt(22) lgkmcnt(1)
	v_mul_f64 v[100:101], v[90:91], v[228:229]
	s_waitcnt vmcnt(20)
	v_fmac_f64_e32 v[100:101], v[92:93], v[230:231]
	v_add_f64 v[98:99], v[98:99], v[100:101]
	s_waitcnt lgkmcnt(0)
	v_mul_f64 v[100:101], v[94:95], v[206:207]
	v_fmac_f64_e32 v[100:101], v[96:97], v[210:211]
	v_add_f64 v[182:183], v[98:99], v[100:101]
	ds_read_b128 v[98:101], v1 offset:1104
	ds_read_b128 v[102:105], v1 offset:1120
	v_fma_f64 v[252:253], v[114:115], v[252:253], -v[116:117]
	ds_read_b128 v[114:117], v1 offset:1168
	v_mul_f64 v[24:25], v[24:25], v[196:197]
	s_waitcnt vmcnt(14) lgkmcnt(2)
	v_mul_f64 v[112:113], v[98:99], v[232:233]
	s_waitcnt lgkmcnt(1)
	v_mul_f64 v[110:111], v[102:103], v[214:215]
	s_waitcnt vmcnt(12)
	v_fmac_f64_e32 v[112:113], v[100:101], v[234:235]
	v_add_f64 v[112:113], v[182:183], v[112:113]
	v_fmac_f64_e32 v[110:111], v[104:105], v[218:219]
	v_add_f64 v[182:183], v[112:113], v[110:111]
	ds_read_b128 v[110:113], v1 offset:1152
	v_add_f64 v[248:249], v[248:249], v[252:253]
	v_fma_f64 v[22:23], v[22:23], v[134:135], -v[24:25]
	v_add_f64 v[22:23], v[248:249], v[22:23]
	s_waitcnt vmcnt(9)
	v_mul_f64 v[246:247], v[106:107], v[236:237]
	v_mul_f64 v[16:17], v[16:17], v[126:127]
	s_waitcnt vmcnt(7)
	v_fmac_f64_e32 v[246:247], v[108:109], v[242:243]
	v_add_f64 v[182:183], v[182:183], v[246:247]
	s_waitcnt vmcnt(6) lgkmcnt(0)
	v_mul_f64 v[246:247], v[110:111], v[180:181]
	s_waitcnt vmcnt(4)
	v_fmac_f64_e32 v[246:247], v[112:113], v[240:241]
	v_add_f64 v[182:183], v[182:183], v[246:247]
	s_waitcnt vmcnt(2)
	v_mul_f64 v[246:247], v[114:115], v[238:239]
	v_add_f64 v[18:19], v[22:23], v[18:19]
	s_waitcnt vmcnt(0)
	v_fmac_f64_e32 v[246:247], v[116:117], v[244:245]
	v_add_f64 v[246:247], v[182:183], v[246:247]
	buffer_load_dword v254, off, s[0:3], 0 offset:80
	buffer_load_dword v255, off, s[0:3], 0 offset:84
	;; [unrolled: 1-line block ×4, first 2 shown]
	v_fma_f64 v[14:15], v[14:15], v[132:133], -v[16:17]
	v_mul_f64 v[12:13], v[12:13], v[120:121]
	v_add_f64 v[14:15], v[18:19], v[14:15]
	v_fma_f64 v[10:11], v[10:11], v[122:123], -v[12:13]
	v_mul_f64 v[8:9], v[8:9], v[124:125]
	v_add_f64 v[10:11], v[14:15], v[10:11]
	;; [unrolled: 3-line block ×4, first 2 shown]
	v_fma_f64 v[4:5], v[26:27], v[144:145], -v[4:5]
	v_add_f64 v[2:3], v[2:3], v[4:5]
	v_mul_f64 v[4:5], v[32:33], v[138:139]
	v_fma_f64 v[4:5], v[30:31], v[140:141], -v[4:5]
	v_add_f64 v[2:3], v[2:3], v[4:5]
	v_mul_f64 v[4:5], v[36:37], v[154:155]
	;; [unrolled: 3-line block ×22, first 2 shown]
	v_fma_f64 v[4:5], v[114:115], v[244:245], -v[4:5]
	v_add_f64 v[2:3], v[2:3], v[4:5]
	s_waitcnt vmcnt(2)
	v_add_f64 v[2:3], v[254:255], -v[2:3]
	s_waitcnt vmcnt(0)
	v_add_f64 v[4:5], v[182:183], -v[246:247]
	buffer_store_dword v3, off, s[0:3], 0 offset:84
	buffer_store_dword v2, off, s[0:3], 0 offset:80
	;; [unrolled: 1-line block ×4, first 2 shown]
	s_and_saveexec_b64 s[4:5], vcc
	s_cbranch_execz .LBB36_229
; %bb.228:
	v_accvgpr_read_b32 v1, a106
	buffer_load_dword v2, v1, s[0:3], 0 offen
	buffer_load_dword v3, v1, s[0:3], 0 offen offset:4
	buffer_load_dword v4, v1, s[0:3], 0 offen offset:8
	;; [unrolled: 1-line block ×3, first 2 shown]
	v_mov_b32_e32 v1, 0
	v_accvgpr_read_b32 v6, a108
	buffer_store_dword v1, off, s[0:3], 0 offset:64
	buffer_store_dword v1, off, s[0:3], 0 offset:68
	;; [unrolled: 1-line block ×4, first 2 shown]
	s_waitcnt vmcnt(4)
	ds_write_b128 v6, v[2:5]
.LBB36_229:
	s_or_b64 exec, exec, s[4:5]
	s_waitcnt lgkmcnt(0)
	; wave barrier
	s_waitcnt lgkmcnt(0)
	buffer_load_dword v94, off, s[0:3], 0 offset:80
	buffer_load_dword v95, off, s[0:3], 0 offset:84
	;; [unrolled: 1-line block ×52, first 2 shown]
	v_mov_b32_e32 v1, 0
	ds_read_b128 v[102:105], v1 offset:656
	ds_read_b128 v[114:117], v1 offset:672
	;; [unrolled: 1-line block ×10, first 2 shown]
	v_cmp_lt_u32_e32 vcc, 2, v0
	s_waitcnt vmcnt(48) lgkmcnt(9)
	v_mul_f64 v[26:27], v[102:103], v[96:97]
	v_fmac_f64_e32 v[26:27], v[104:105], v[94:95]
	v_add_f64 v[26:27], v[26:27], 0
	v_mul_f64 v[96:97], v[104:105], v[96:97]
	s_waitcnt vmcnt(44) lgkmcnt(8)
	v_mul_f64 v[28:29], v[114:115], v[100:101]
	v_fmac_f64_e32 v[28:29], v[116:117], v[98:99]
	s_waitcnt vmcnt(42) lgkmcnt(7)
	v_mul_f64 v[30:31], v[246:247], v[106:107]
	v_add_f64 v[26:27], v[26:27], v[28:29]
	s_waitcnt vmcnt(40) lgkmcnt(5)
	v_mul_f64 v[34:35], v[22:23], v[194:195]
	v_fma_f64 v[184:185], v[102:103], v[94:95], -v[96:97]
	s_waitcnt vmcnt(38)
	v_fmac_f64_e32 v[34:35], v[24:25], v[198:199]
	v_mul_f64 v[100:101], v[116:117], v[100:101]
	s_waitcnt vmcnt(36)
	v_mul_f64 v[32:33], v[252:253], v[110:111]
	v_fma_f64 v[186:187], v[114:115], v[98:99], -v[100:101]
	s_waitcnt vmcnt(34) lgkmcnt(3)
	v_mul_f64 v[38:39], v[14:15], v[192:193]
	v_mul_f64 v[106:107], v[248:249], v[106:107]
	s_waitcnt vmcnt(32)
	v_fmac_f64_e32 v[38:39], v[16:17], v[196:197]
	v_mul_f64 v[110:111], v[254:255], v[110:111]
	s_waitcnt vmcnt(30)
	v_mul_f64 v[36:37], v[18:19], v[204:205]
	v_mul_f64 v[24:25], v[24:25], v[194:195]
	v_fma_f64 v[22:23], v[22:23], v[198:199], -v[24:25]
	s_waitcnt vmcnt(27) lgkmcnt(2)
	v_mul_f64 v[40:41], v[10:11], v[202:203]
	s_waitcnt vmcnt(26) lgkmcnt(1)
	v_mul_f64 v[42:43], v[6:7], v[200:201]
	v_mul_f64 v[16:17], v[16:17], v[192:193]
	s_waitcnt vmcnt(24)
	v_fmac_f64_e32 v[30:31], v[248:249], v[108:109]
	v_add_f64 v[26:27], v[26:27], v[30:31]
	s_waitcnt vmcnt(22)
	v_fmac_f64_e32 v[32:33], v[254:255], v[112:113]
	v_add_f64 v[26:27], v[26:27], v[32:33]
	;; [unrolled: 3-line block ×3, first 2 shown]
	v_add_f64 v[26:27], v[26:27], v[36:37]
	s_waitcnt vmcnt(18)
	v_fmac_f64_e32 v[40:41], v[12:13], v[120:121]
	v_add_f64 v[26:27], v[26:27], v[38:39]
	v_add_f64 v[26:27], v[26:27], v[40:41]
	s_waitcnt vmcnt(16)
	v_fmac_f64_e32 v[42:43], v[8:9], v[126:127]
	v_add_f64 v[34:35], v[26:27], v[42:43]
	ds_read_b128 v[26:29], v1 offset:816
	ds_read_b128 v[30:33], v1 offset:832
	buffer_load_dword v143, off, s[0:3], 0 offset:316
	buffer_load_dword v142, off, s[0:3], 0 offset:312
	buffer_load_dword v145, off, s[0:3], 0 offset:308
	buffer_load_dword v144, off, s[0:3], 0 offset:304
	buffer_load_dword v159, off, s[0:3], 0 offset:300
	buffer_load_dword v158, off, s[0:3], 0 offset:296
	buffer_load_dword v163, off, s[0:3], 0 offset:292
	buffer_load_dword v162, off, s[0:3], 0 offset:288
	buffer_load_dword v147, off, s[0:3], 0 offset:348
	buffer_load_dword v146, off, s[0:3], 0 offset:344
	buffer_load_dword v149, off, s[0:3], 0 offset:340
	buffer_load_dword v148, off, s[0:3], 0 offset:336
	buffer_load_dword v167, off, s[0:3], 0 offset:332
	buffer_load_dword v166, off, s[0:3], 0 offset:328
	buffer_load_dword v171, off, s[0:3], 0 offset:324
	buffer_load_dword v170, off, s[0:3], 0 offset:320
	buffer_load_dword v151, off, s[0:3], 0 offset:380
	buffer_load_dword v150, off, s[0:3], 0 offset:376
	buffer_load_dword v153, off, s[0:3], 0 offset:372
	buffer_load_dword v152, off, s[0:3], 0 offset:368
	buffer_load_dword v175, off, s[0:3], 0 offset:364
	buffer_load_dword v174, off, s[0:3], 0 offset:360
	buffer_load_dword v179, off, s[0:3], 0 offset:356
	buffer_load_dword v178, off, s[0:3], 0 offset:352
	buffer_load_dword v155, off, s[0:3], 0 offset:412
	buffer_load_dword v154, off, s[0:3], 0 offset:408
	buffer_load_dword v157, off, s[0:3], 0 offset:404
	buffer_load_dword v156, off, s[0:3], 0 offset:400
	buffer_load_dword v209, off, s[0:3], 0 offset:396
	buffer_load_dword v208, off, s[0:3], 0 offset:392
	buffer_load_dword v211, off, s[0:3], 0 offset:388
	buffer_load_dword v210, off, s[0:3], 0 offset:384
	buffer_load_dword v161, off, s[0:3], 0 offset:444
	buffer_load_dword v160, off, s[0:3], 0 offset:440
	buffer_load_dword v165, off, s[0:3], 0 offset:436
	buffer_load_dword v164, off, s[0:3], 0 offset:432
	buffer_load_dword v215, off, s[0:3], 0 offset:428
	buffer_load_dword v214, off, s[0:3], 0 offset:424
	buffer_load_dword v219, off, s[0:3], 0 offset:420
	buffer_load_dword v218, off, s[0:3], 0 offset:416
	buffer_load_dword v169, off, s[0:3], 0 offset:476
	buffer_load_dword v168, off, s[0:3], 0 offset:472
	buffer_load_dword v173, off, s[0:3], 0 offset:468
	buffer_load_dword v172, off, s[0:3], 0 offset:464
	buffer_load_dword v223, off, s[0:3], 0 offset:460
	buffer_load_dword v222, off, s[0:3], 0 offset:456
	buffer_load_dword v229, off, s[0:3], 0 offset:452
	buffer_load_dword v228, off, s[0:3], 0 offset:448
	buffer_load_dword v177, off, s[0:3], 0 offset:508
	buffer_load_dword v176, off, s[0:3], 0 offset:504
	buffer_load_dword v207, off, s[0:3], 0 offset:500
	buffer_load_dword v227, off, s[0:3], 0 offset:492
	buffer_load_dword v226, off, s[0:3], 0 offset:488
	buffer_load_dword v231, off, s[0:3], 0 offset:484
	buffer_load_dword v230, off, s[0:3], 0 offset:480
	buffer_load_dword v206, off, s[0:3], 0 offset:496
	s_waitcnt vmcnt(62) lgkmcnt(2)
	v_mul_f64 v[36:37], v[2:3], v[130:131]
	v_fmac_f64_e32 v[36:37], v[4:5], v[132:133]
	v_add_f64 v[34:35], v[34:35], v[36:37]
	s_waitcnt lgkmcnt(1)
	v_mul_f64 v[36:37], v[26:27], v[124:125]
	v_fmac_f64_e32 v[36:37], v[28:29], v[128:129]
	v_add_f64 v[34:35], v[34:35], v[36:37]
	s_waitcnt lgkmcnt(0)
	v_mul_f64 v[36:37], v[30:31], v[134:135]
	s_waitcnt vmcnt(60)
	v_fmac_f64_e32 v[36:37], v[32:33], v[138:139]
	v_add_f64 v[42:43], v[34:35], v[36:37]
	ds_read_b128 v[34:37], v1 offset:848
	buffer_load_dword v213, off, s[0:3], 0 offset:540
	buffer_load_dword v212, off, s[0:3], 0 offset:536
	;; [unrolled: 1-line block ×16, first 2 shown]
	ds_read_b128 v[38:41], v1 offset:864
	buffer_load_dword v235, off, s[0:3], 0 offset:604
	buffer_load_dword v234, off, s[0:3], 0 offset:600
	;; [unrolled: 1-line block ×8, first 2 shown]
	ds_read_b128 v[98:101], v1 offset:1104
	s_waitcnt vmcnt(62) lgkmcnt(2)
	v_mul_f64 v[44:45], v[34:35], v[136:137]
	v_fmac_f64_e32 v[44:45], v[36:37], v[140:141]
	v_add_f64 v[46:47], v[42:43], v[44:45]
	ds_read_b128 v[42:45], v1 offset:880
	v_fma_f64 v[250:251], v[246:247], v[108:109], -v[106:107]
	ds_read_b128 v[106:109], v1 offset:1136
	v_fma_f64 v[248:249], v[252:253], v[112:113], -v[110:111]
	v_mul_f64 v[20:21], v[20:21], v[204:205]
	v_fma_f64 v[18:19], v[18:19], v[122:123], -v[20:21]
	v_fma_f64 v[14:15], v[14:15], v[196:197], -v[16:17]
	v_mul_f64 v[12:13], v[12:13], v[202:203]
	v_fma_f64 v[10:11], v[10:11], v[120:121], -v[12:13]
	v_mul_f64 v[8:9], v[8:9], v[200:201]
	;; [unrolled: 2-line block ×3, first 2 shown]
	s_waitcnt lgkmcnt(3)
	v_mul_f64 v[48:49], v[38:39], v[158:159]
	v_fma_f64 v[2:3], v[2:3], v[132:133], -v[4:5]
	v_fmac_f64_e32 v[48:49], v[40:41], v[162:163]
	v_add_f64 v[50:51], v[46:47], v[48:49]
	ds_read_b128 v[46:49], v1 offset:896
	s_waitcnt lgkmcnt(2)
	v_mul_f64 v[52:53], v[42:43], v[142:143]
	v_fmac_f64_e32 v[52:53], v[44:45], v[144:145]
	v_add_f64 v[54:55], v[50:51], v[52:53]
	ds_read_b128 v[50:53], v1 offset:912
	s_waitcnt lgkmcnt(1)
	v_mul_f64 v[56:57], v[46:47], v[166:167]
	;; [unrolled: 5-line block ×3, first 2 shown]
	v_fmac_f64_e32 v[60:61], v[52:53], v[148:149]
	v_add_f64 v[62:63], v[58:59], v[60:61]
	ds_read_b128 v[58:61], v1 offset:944
	s_waitcnt vmcnt(58) lgkmcnt(1)
	v_mul_f64 v[64:65], v[54:55], v[174:175]
	s_waitcnt vmcnt(56)
	v_fmac_f64_e32 v[64:65], v[56:57], v[178:179]
	v_add_f64 v[66:67], v[62:63], v[64:65]
	ds_read_b128 v[62:65], v1 offset:960
	s_waitcnt lgkmcnt(1)
	v_mul_f64 v[68:69], v[58:59], v[150:151]
	v_fmac_f64_e32 v[68:69], v[60:61], v[152:153]
	v_add_f64 v[70:71], v[66:67], v[68:69]
	ds_read_b128 v[66:69], v1 offset:976
	s_waitcnt vmcnt(50) lgkmcnt(1)
	v_mul_f64 v[72:73], v[62:63], v[208:209]
	s_waitcnt vmcnt(48)
	v_fmac_f64_e32 v[72:73], v[64:65], v[210:211]
	v_add_f64 v[74:75], v[70:71], v[72:73]
	ds_read_b128 v[70:73], v1 offset:992
	s_waitcnt lgkmcnt(1)
	v_mul_f64 v[76:77], v[66:67], v[154:155]
	;; [unrolled: 11-line block ×3, first 2 shown]
	v_fmac_f64_e32 v[84:85], v[76:77], v[164:165]
	v_add_f64 v[90:91], v[82:83], v[84:85]
	ds_read_b128 v[82:85], v1 offset:1040
	ds_read_b128 v[86:89], v1 offset:1056
	s_waitcnt vmcnt(34) lgkmcnt(2)
	v_mul_f64 v[92:93], v[78:79], v[222:223]
	s_waitcnt vmcnt(32)
	v_fmac_f64_e32 v[92:93], v[80:81], v[228:229]
	v_add_f64 v[90:91], v[90:91], v[92:93]
	s_waitcnt lgkmcnt(1)
	v_mul_f64 v[92:93], v[82:83], v[168:169]
	v_fmac_f64_e32 v[92:93], v[84:85], v[172:173]
	v_add_f64 v[90:91], v[90:91], v[92:93]
	s_waitcnt vmcnt(27) lgkmcnt(0)
	v_mul_f64 v[92:93], v[86:87], v[226:227]
	s_waitcnt vmcnt(25)
	v_fmac_f64_e32 v[92:93], v[88:89], v[230:231]
	v_add_f64 v[182:183], v[90:91], v[92:93]
	ds_read_b128 v[90:93], v1 offset:1072
	ds_read_b128 v[94:97], v1 offset:1088
	;; [unrolled: 1-line block ×3, first 2 shown]
	v_mul_f64 v[4:5], v[28:29], v[124:125]
	v_fma_f64 v[4:5], v[26:27], v[128:129], -v[4:5]
	s_waitcnt lgkmcnt(2)
	v_mul_f64 v[102:103], v[90:91], v[176:177]
	s_waitcnt vmcnt(24)
	v_fmac_f64_e32 v[102:103], v[92:93], v[206:207]
	s_waitcnt vmcnt(18) lgkmcnt(1)
	v_mul_f64 v[104:105], v[94:95], v[232:233]
	v_add_f64 v[102:103], v[182:183], v[102:103]
	s_waitcnt vmcnt(16)
	v_fmac_f64_e32 v[104:105], v[96:97], v[236:237]
	v_add_f64 v[102:103], v[102:103], v[104:105]
	v_mul_f64 v[104:105], v[98:99], v[212:213]
	v_fmac_f64_e32 v[104:105], v[100:101], v[216:217]
	v_add_f64 v[114:115], v[102:103], v[104:105]
	ds_read_b128 v[102:105], v1 offset:1120
	s_waitcnt vmcnt(10) lgkmcnt(0)
	v_mul_f64 v[116:117], v[102:103], v[238:239]
	s_waitcnt vmcnt(8)
	v_fmac_f64_e32 v[116:117], v[104:105], v[240:241]
	v_add_f64 v[114:115], v[114:115], v[116:117]
	v_mul_f64 v[116:117], v[106:107], v[220:221]
	v_fmac_f64_e32 v[116:117], v[108:109], v[224:225]
	v_add_f64 v[114:115], v[114:115], v[116:117]
	s_waitcnt vmcnt(2)
	v_mul_f64 v[116:117], v[110:111], v[242:243]
	s_waitcnt vmcnt(0)
	v_fmac_f64_e32 v[116:117], v[112:113], v[244:245]
	v_add_f64 v[182:183], v[114:115], v[116:117]
	ds_read_b128 v[114:117], v1 offset:1168
	s_waitcnt lgkmcnt(0)
	v_mul_f64 v[246:247], v[114:115], v[234:235]
	v_fmac_f64_e32 v[246:247], v[116:117], v[180:181]
	v_add_f64 v[246:247], v[182:183], v[246:247]
	v_add_f64 v[182:183], v[184:185], 0
	;; [unrolled: 1-line block ×3, first 2 shown]
	buffer_load_dword v182, off, s[0:3], 0 offset:64
	buffer_load_dword v183, off, s[0:3], 0 offset:68
	v_add_f64 v[184:185], v[252:253], v[250:251]
	buffer_load_dword v250, off, s[0:3], 0 offset:72
	buffer_load_dword v251, off, s[0:3], 0 offset:76
	v_add_f64 v[184:185], v[184:185], v[248:249]
	v_add_f64 v[22:23], v[184:185], v[22:23]
	;; [unrolled: 1-line block ×8, first 2 shown]
	v_mul_f64 v[4:5], v[32:33], v[134:135]
	v_fma_f64 v[4:5], v[30:31], v[138:139], -v[4:5]
	v_add_f64 v[2:3], v[2:3], v[4:5]
	v_mul_f64 v[4:5], v[36:37], v[136:137]
	v_fma_f64 v[4:5], v[34:35], v[140:141], -v[4:5]
	v_add_f64 v[2:3], v[2:3], v[4:5]
	;; [unrolled: 3-line block ×22, first 2 shown]
	s_waitcnt vmcnt(2)
	v_add_f64 v[2:3], v[182:183], -v[2:3]
	s_waitcnt vmcnt(0)
	v_add_f64 v[4:5], v[250:251], -v[246:247]
	buffer_store_dword v3, off, s[0:3], 0 offset:68
	buffer_store_dword v2, off, s[0:3], 0 offset:64
	buffer_store_dword v5, off, s[0:3], 0 offset:76
	buffer_store_dword v4, off, s[0:3], 0 offset:72
	s_and_saveexec_b64 s[4:5], vcc
	s_cbranch_execz .LBB36_231
; %bb.230:
	v_accvgpr_read_b32 v5, a107
	buffer_load_dword v2, v5, s[0:3], 0 offen
	buffer_load_dword v3, v5, s[0:3], 0 offen offset:4
	buffer_load_dword v4, v5, s[0:3], 0 offen offset:8
	s_nop 0
	buffer_load_dword v5, v5, s[0:3], 0 offen offset:12
	v_accvgpr_read_b32 v6, a108
	buffer_store_dword v1, off, s[0:3], 0 offset:48
	buffer_store_dword v1, off, s[0:3], 0 offset:52
	;; [unrolled: 1-line block ×4, first 2 shown]
	s_waitcnt vmcnt(4)
	ds_write_b128 v6, v[2:5]
.LBB36_231:
	s_or_b64 exec, exec, s[4:5]
	s_waitcnt lgkmcnt(0)
	; wave barrier
	s_waitcnt lgkmcnt(0)
	buffer_load_dword v86, off, s[0:3], 0 offset:64
	buffer_load_dword v87, off, s[0:3], 0 offset:68
	;; [unrolled: 1-line block ×42, first 2 shown]
	ds_read_b128 v[94:97], v1 offset:640
	ds_read_b128 v[106:109], v1 offset:656
	;; [unrolled: 1-line block ×10, first 2 shown]
	buffer_load_dword v129, off, s[0:3], 0 offset:212
	buffer_load_dword v128, off, s[0:3], 0 offset:208
	ds_read_b128 v[6:9], v1 offset:800
	buffer_load_dword v125, off, s[0:3], 0 offset:268
	buffer_load_dword v124, off, s[0:3], 0 offset:264
	;; [unrolled: 1-line block ×80, first 2 shown]
	v_cmp_lt_u32_e32 vcc, 1, v0
	s_waitcnt vmcnt(62) lgkmcnt(10)
	v_mul_f64 v[26:27], v[94:95], v[88:89]
	v_fmac_f64_e32 v[26:27], v[96:97], v[86:87]
	v_add_f64 v[26:27], v[26:27], 0
	v_mul_f64 v[88:89], v[96:97], v[88:89]
	s_waitcnt lgkmcnt(9)
	v_mul_f64 v[28:29], v[106:107], v[92:93]
	v_fmac_f64_e32 v[28:29], v[108:109], v[90:91]
	s_waitcnt lgkmcnt(8)
	v_mul_f64 v[30:31], v[114:115], v[98:99]
	v_add_f64 v[26:27], v[26:27], v[28:29]
	s_waitcnt lgkmcnt(6)
	v_mul_f64 v[34:35], v[176:177], v[110:111]
	v_fma_f64 v[182:183], v[94:95], v[86:87], -v[88:89]
	v_fmac_f64_e32 v[34:35], v[178:179], v[112:113]
	v_mul_f64 v[92:93], v[108:109], v[92:93]
	v_mul_f64 v[32:33], v[172:173], v[102:103]
	;; [unrolled: 1-line block ×3, first 2 shown]
	s_waitcnt lgkmcnt(4)
	v_mul_f64 v[38:39], v[18:19], v[192:193]
	v_mul_f64 v[102:103], v[174:175], v[102:103]
	v_fmac_f64_e32 v[38:39], v[20:21], v[194:195]
	v_mul_f64 v[110:111], v[178:179], v[110:111]
	v_mul_f64 v[36:37], v[22:23], v[196:197]
	v_fma_f64 v[176:177], v[176:177], v[112:113], -v[110:111]
	s_waitcnt lgkmcnt(2)
	v_mul_f64 v[42:43], v[10:11], v[198:199]
	v_mul_f64 v[20:21], v[20:21], v[192:193]
	v_fma_f64 v[18:19], v[18:19], v[194:195], -v[20:21]
	v_mul_f64 v[40:41], v[14:15], v[204:205]
	s_waitcnt lgkmcnt(1)
	v_mul_f64 v[44:45], v[2:3], v[202:203]
	v_fmac_f64_e32 v[30:31], v[116:117], v[100:101]
	v_add_f64 v[26:27], v[26:27], v[30:31]
	v_fmac_f64_e32 v[32:33], v[174:175], v[104:105]
	v_add_f64 v[26:27], v[26:27], v[32:33]
	;; [unrolled: 2-line block ×3, first 2 shown]
	v_add_f64 v[26:27], v[26:27], v[36:37]
	v_fmac_f64_e32 v[40:41], v[16:17], v[206:207]
	v_add_f64 v[26:27], v[26:27], v[38:39]
	v_fmac_f64_e32 v[42:43], v[12:13], v[200:201]
	v_add_f64 v[26:27], v[26:27], v[40:41]
	v_add_f64 v[26:27], v[26:27], v[42:43]
	s_waitcnt lgkmcnt(0)
	v_mul_f64 v[32:33], v[6:7], v[120:121]
	v_fmac_f64_e32 v[44:45], v[4:5], v[128:129]
	v_add_f64 v[30:31], v[26:27], v[44:45]
	ds_read_b128 v[26:29], v1 offset:816
	v_fmac_f64_e32 v[32:33], v[8:9], v[122:123]
	v_add_f64 v[34:35], v[30:31], v[32:33]
	ds_read_b128 v[30:33], v1 offset:832
	v_fma_f64 v[184:185], v[114:115], v[100:101], -v[98:99]
	s_waitcnt lgkmcnt(1)
	v_mul_f64 v[36:37], v[26:27], v[130:131]
	v_fmac_f64_e32 v[36:37], v[28:29], v[146:147]
	v_add_f64 v[38:39], v[34:35], v[36:37]
	ds_read_b128 v[34:37], v1 offset:848
	s_waitcnt lgkmcnt(1)
	v_mul_f64 v[40:41], v[30:31], v[124:125]
	v_fmac_f64_e32 v[40:41], v[32:33], v[126:127]
	v_add_f64 v[42:43], v[38:39], v[40:41]
	ds_read_b128 v[38:41], v1 offset:864
	;; [unrolled: 5-line block ×4, first 2 shown]
	s_waitcnt vmcnt(58) lgkmcnt(1)
	v_mul_f64 v[52:53], v[42:43], v[158:159]
	s_waitcnt vmcnt(56)
	v_fmac_f64_e32 v[52:53], v[44:45], v[162:163]
	v_add_f64 v[54:55], v[50:51], v[52:53]
	ds_read_b128 v[50:53], v1 offset:912
	buffer_load_dword v248, off, s[0:3], 0 offset:584
	buffer_load_dword v253, off, s[0:3], 0 offset:572
	;; [unrolled: 1-line block ×8, first 2 shown]
	s_waitcnt lgkmcnt(1)
	v_mul_f64 v[56:57], v[46:47], v[136:137]
	v_fmac_f64_e32 v[56:57], v[48:49], v[138:139]
	v_add_f64 v[58:59], v[54:55], v[56:57]
	ds_read_b128 v[54:57], v1 offset:928
	buffer_load_dword v169, off, s[0:3], 0 offset:604
	buffer_load_dword v168, off, s[0:3], 0 offset:600
	;; [unrolled: 1-line block ×4, first 2 shown]
	s_waitcnt vmcnt(62) lgkmcnt(1)
	v_mul_f64 v[60:61], v[50:51], v[210:211]
	s_waitcnt vmcnt(60)
	v_fmac_f64_e32 v[60:61], v[52:53], v[214:215]
	v_add_f64 v[62:63], v[58:59], v[60:61]
	ds_read_b128 v[58:61], v1 offset:944
	s_waitcnt lgkmcnt(1)
	v_mul_f64 v[64:65], v[54:55], v[140:141]
	v_fmac_f64_e32 v[64:65], v[56:57], v[142:143]
	v_add_f64 v[66:67], v[62:63], v[64:65]
	ds_read_b128 v[62:65], v1 offset:960
	s_waitcnt vmcnt(54) lgkmcnt(1)
	v_mul_f64 v[68:69], v[58:59], v[218:219]
	s_waitcnt vmcnt(52)
	v_fmac_f64_e32 v[68:69], v[60:61], v[222:223]
	v_add_f64 v[70:71], v[66:67], v[68:69]
	ds_read_b128 v[66:69], v1 offset:976
	s_waitcnt lgkmcnt(1)
	v_mul_f64 v[72:73], v[62:63], v[144:145]
	v_fmac_f64_e32 v[72:73], v[64:65], v[148:149]
	v_add_f64 v[74:75], v[70:71], v[72:73]
	ds_read_b128 v[70:73], v1 offset:992
	s_waitcnt vmcnt(46) lgkmcnt(1)
	v_mul_f64 v[76:77], v[66:67], v[226:227]
	s_waitcnt vmcnt(44)
	v_fmac_f64_e32 v[76:77], v[68:69], v[230:231]
	v_add_f64 v[82:83], v[74:75], v[76:77]
	ds_read_b128 v[74:77], v1 offset:1008
	ds_read_b128 v[78:81], v1 offset:1024
	s_waitcnt lgkmcnt(2)
	v_mul_f64 v[84:85], v[70:71], v[152:153]
	v_fmac_f64_e32 v[84:85], v[72:73], v[156:157]
	v_add_f64 v[82:83], v[82:83], v[84:85]
	s_waitcnt vmcnt(38) lgkmcnt(1)
	v_mul_f64 v[84:85], v[74:75], v[234:235]
	s_waitcnt vmcnt(36)
	v_fmac_f64_e32 v[84:85], v[76:77], v[236:237]
	v_add_f64 v[82:83], v[82:83], v[84:85]
	s_waitcnt lgkmcnt(0)
	v_mul_f64 v[84:85], v[78:79], v[160:161]
	v_fmac_f64_e32 v[84:85], v[80:81], v[164:165]
	v_add_f64 v[180:181], v[82:83], v[84:85]
	ds_read_b128 v[82:85], v1 offset:1040
	ds_read_b128 v[86:89], v1 offset:1056
	;; [unrolled: 1-line block ×3, first 2 shown]
	v_fma_f64 v[174:175], v[172:173], v[104:105], -v[102:103]
	ds_read_b128 v[102:105], v1 offset:1136
	ds_read_b128 v[110:113], v1 offset:1152
	s_waitcnt vmcnt(30) lgkmcnt(4)
	v_mul_f64 v[94:95], v[82:83], v[238:239]
	s_waitcnt vmcnt(28)
	v_fmac_f64_e32 v[94:95], v[84:85], v[240:241]
	v_add_f64 v[94:95], v[180:181], v[94:95]
	v_fma_f64 v[180:181], v[106:107], v[90:91], -v[92:93]
	ds_read_b128 v[90:93], v1 offset:1072
	s_waitcnt lgkmcnt(4)
	v_mul_f64 v[96:97], v[86:87], v[212:213]
	v_fmac_f64_e32 v[96:97], v[88:89], v[216:217]
	v_add_f64 v[106:107], v[94:95], v[96:97]
	ds_read_b128 v[94:97], v1 offset:1088
	s_waitcnt vmcnt(22) lgkmcnt(1)
	v_mul_f64 v[108:109], v[90:91], v[242:243]
	s_waitcnt vmcnt(20)
	v_fmac_f64_e32 v[108:109], v[92:93], v[166:167]
	v_add_f64 v[106:107], v[106:107], v[108:109]
	v_mul_f64 v[24:25], v[24:25], v[196:197]
	s_waitcnt lgkmcnt(0)
	v_mul_f64 v[108:109], v[94:95], v[220:221]
	v_fmac_f64_e32 v[108:109], v[96:97], v[224:225]
	v_add_f64 v[114:115], v[106:107], v[108:109]
	ds_read_b128 v[106:109], v1 offset:1120
	s_waitcnt vmcnt(14)
	v_mul_f64 v[116:117], v[98:99], v[244:245]
	s_waitcnt vmcnt(12)
	v_fmac_f64_e32 v[116:117], v[100:101], v[246:247]
	v_add_f64 v[114:115], v[114:115], v[116:117]
	v_fma_f64 v[22:23], v[22:23], v[208:209], -v[24:25]
	s_waitcnt lgkmcnt(0)
	v_mul_f64 v[116:117], v[106:107], v[228:229]
	v_fmac_f64_e32 v[116:117], v[108:109], v[232:233]
	v_add_f64 v[114:115], v[114:115], v[116:117]
	v_mul_f64 v[16:17], v[16:17], v[204:205]
	v_fma_f64 v[14:15], v[14:15], v[206:207], -v[16:17]
	v_mul_f64 v[12:13], v[12:13], v[198:199]
	v_fma_f64 v[10:11], v[10:11], v[200:201], -v[12:13]
	;; [unrolled: 2-line block ×4, first 2 shown]
	s_waitcnt vmcnt(9)
	v_mul_f64 v[116:117], v[102:103], v[252:253]
	s_waitcnt vmcnt(7)
	v_fmac_f64_e32 v[116:117], v[104:105], v[254:255]
	v_add_f64 v[114:115], v[114:115], v[116:117]
	s_waitcnt vmcnt(5)
	v_mul_f64 v[116:117], v[110:111], v[248:249]
	s_waitcnt vmcnt(4)
	v_fmac_f64_e32 v[116:117], v[112:113], v[250:251]
	v_add_f64 v[172:173], v[114:115], v[116:117]
	ds_read_b128 v[114:117], v1 offset:1168
	s_waitcnt vmcnt(2) lgkmcnt(0)
	v_mul_f64 v[178:179], v[114:115], v[168:169]
	s_waitcnt vmcnt(0)
	v_fmac_f64_e32 v[178:179], v[116:117], v[170:171]
	v_add_f64 v[172:173], v[172:173], v[178:179]
	v_add_f64 v[178:179], v[182:183], 0
	;; [unrolled: 1-line block ×3, first 2 shown]
	buffer_load_dword v182, off, s[0:3], 0 offset:48
	buffer_load_dword v183, off, s[0:3], 0 offset:52
	;; [unrolled: 1-line block ×4, first 2 shown]
	v_add_f64 v[178:179], v[178:179], v[184:185]
	v_add_f64 v[174:175], v[178:179], v[174:175]
	;; [unrolled: 1-line block ×9, first 2 shown]
	v_mul_f64 v[4:5], v[28:29], v[130:131]
	v_fma_f64 v[4:5], v[26:27], v[146:147], -v[4:5]
	v_add_f64 v[2:3], v[2:3], v[4:5]
	v_mul_f64 v[4:5], v[32:33], v[124:125]
	v_fma_f64 v[4:5], v[30:31], v[126:127], -v[4:5]
	v_add_f64 v[2:3], v[2:3], v[4:5]
	;; [unrolled: 3-line block ×23, first 2 shown]
	s_waitcnt vmcnt(2)
	v_add_f64 v[2:3], v[182:183], -v[2:3]
	s_waitcnt vmcnt(0)
	v_add_f64 v[4:5], v[180:181], -v[172:173]
	buffer_store_dword v3, off, s[0:3], 0 offset:52
	buffer_store_dword v2, off, s[0:3], 0 offset:48
	;; [unrolled: 1-line block ×4, first 2 shown]
	s_and_saveexec_b64 s[4:5], vcc
	s_cbranch_execz .LBB36_233
; %bb.232:
	v_accvgpr_read_b32 v1, a105
	buffer_load_dword v2, v1, s[0:3], 0 offen
	buffer_load_dword v3, v1, s[0:3], 0 offen offset:4
	buffer_load_dword v4, v1, s[0:3], 0 offen offset:8
	;; [unrolled: 1-line block ×3, first 2 shown]
	v_mov_b32_e32 v1, 0
	v_accvgpr_read_b32 v6, a108
	buffer_store_dword v1, off, s[0:3], 0 offset:32
	buffer_store_dword v1, off, s[0:3], 0 offset:36
	buffer_store_dword v1, off, s[0:3], 0 offset:40
	buffer_store_dword v1, off, s[0:3], 0 offset:44
	s_waitcnt vmcnt(4)
	ds_write_b128 v6, v[2:5]
.LBB36_233:
	s_or_b64 exec, exec, s[4:5]
	s_waitcnt lgkmcnt(0)
	; wave barrier
	s_waitcnt lgkmcnt(0)
	buffer_load_dword v82, off, s[0:3], 0 offset:48
	buffer_load_dword v83, off, s[0:3], 0 offset:52
	;; [unrolled: 1-line block ×54, first 2 shown]
	v_mov_b32_e32 v182, 0
	ds_read_b128 v[90:93], v182 offset:624
	ds_read_b128 v[106:109], v182 offset:640
	;; [unrolled: 1-line block ×9, first 2 shown]
	buffer_load_dword v121, off, s[0:3], 0 offset:276
	buffer_load_dword v120, off, s[0:3], 0 offset:272
	;; [unrolled: 1-line block ×62, first 2 shown]
	v_cmp_ne_u32_e32 vcc, 0, v0
	s_waitcnt vmcnt(62) lgkmcnt(8)
	v_mul_f64 v[14:15], v[90:91], v[84:85]
	v_fmac_f64_e32 v[14:15], v[92:93], v[82:83]
	v_add_f64 v[14:15], v[14:15], 0
	v_mul_f64 v[84:85], v[92:93], v[84:85]
	s_waitcnt lgkmcnt(7)
	v_mul_f64 v[16:17], v[106:107], v[88:89]
	v_fmac_f64_e32 v[16:17], v[108:109], v[86:87]
	s_waitcnt lgkmcnt(6)
	v_mul_f64 v[18:19], v[114:115], v[94:95]
	v_add_f64 v[14:15], v[14:15], v[16:17]
	s_waitcnt lgkmcnt(4)
	v_mul_f64 v[22:23], v[174:175], v[102:103]
	v_fma_f64 v[184:185], v[90:91], v[82:83], -v[84:85]
	v_fmac_f64_e32 v[22:23], v[176:177], v[104:105]
	v_mul_f64 v[88:89], v[108:109], v[88:89]
	v_mul_f64 v[20:21], v[170:171], v[98:99]
	v_fma_f64 v[186:187], v[106:107], v[86:87], -v[88:89]
	s_waitcnt lgkmcnt(2)
	v_mul_f64 v[26:27], v[10:11], v[192:193]
	v_mul_f64 v[94:95], v[116:117], v[94:95]
	v_fmac_f64_e32 v[26:27], v[12:13], v[194:195]
	v_mul_f64 v[98:99], v[172:173], v[98:99]
	v_mul_f64 v[24:25], v[178:179], v[110:111]
	;; [unrolled: 1-line block ×3, first 2 shown]
	s_waitcnt lgkmcnt(1)
	v_mul_f64 v[28:29], v[6:7], v[196:197]
	v_mul_f64 v[110:111], v[180:181], v[110:111]
	v_fmac_f64_e32 v[18:19], v[116:117], v[96:97]
	v_add_f64 v[14:15], v[14:15], v[18:19]
	v_fmac_f64_e32 v[20:21], v[172:173], v[100:101]
	v_add_f64 v[14:15], v[14:15], v[20:21]
	;; [unrolled: 2-line block ×3, first 2 shown]
	v_add_f64 v[14:15], v[14:15], v[24:25]
	v_fmac_f64_e32 v[28:29], v[8:9], v[200:201]
	v_add_f64 v[14:15], v[14:15], v[26:27]
	v_add_f64 v[18:19], v[14:15], v[28:29]
	ds_read_b128 v[14:17], v182 offset:768
	s_waitcnt lgkmcnt(1)
	v_mul_f64 v[20:21], v[2:3], v[198:199]
	v_fmac_f64_e32 v[20:21], v[4:5], v[202:203]
	v_add_f64 v[22:23], v[18:19], v[20:21]
	ds_read_b128 v[18:21], v182 offset:784
	s_waitcnt lgkmcnt(1)
	v_mul_f64 v[24:25], v[14:15], v[208:209]
	v_fmac_f64_e32 v[24:25], v[16:17], v[210:211]
	;; [unrolled: 5-line block ×5, first 2 shown]
	v_add_f64 v[38:39], v[34:35], v[36:37]
	ds_read_b128 v[34:37], v182 offset:848
	s_waitcnt vmcnt(58) lgkmcnt(1)
	v_mul_f64 v[40:41], v[30:31], v[134:135]
	s_waitcnt vmcnt(56)
	v_fmac_f64_e32 v[40:41], v[32:33], v[138:139]
	v_add_f64 v[42:43], v[38:39], v[40:41]
	ds_read_b128 v[38:41], v182 offset:864
	s_waitcnt lgkmcnt(1)
	v_mul_f64 v[44:45], v[34:35], v[216:217]
	v_fmac_f64_e32 v[44:45], v[36:37], v[120:121]
	v_add_f64 v[46:47], v[42:43], v[44:45]
	ds_read_b128 v[42:45], v182 offset:880
	s_waitcnt vmcnt(50) lgkmcnt(1)
	v_mul_f64 v[48:49], v[38:39], v[222:223]
	s_waitcnt vmcnt(48)
	v_fmac_f64_e32 v[48:49], v[40:41], v[226:227]
	v_add_f64 v[50:51], v[46:47], v[48:49]
	ds_read_b128 v[46:49], v182 offset:896
	buffer_load_dword v151, off, s[0:3], 0 offset:524
	buffer_load_dword v150, off, s[0:3], 0 offset:520
	;; [unrolled: 1-line block ×8, first 2 shown]
	s_waitcnt lgkmcnt(1)
	v_mul_f64 v[52:53], v[42:43], v[122:123]
	v_fmac_f64_e32 v[52:53], v[44:45], v[124:125]
	v_add_f64 v[54:55], v[50:51], v[52:53]
	ds_read_b128 v[50:53], v182 offset:912
	s_waitcnt vmcnt(50) lgkmcnt(1)
	v_mul_f64 v[56:57], v[46:47], v[230:231]
	s_waitcnt vmcnt(48)
	v_fmac_f64_e32 v[56:57], v[48:49], v[234:235]
	buffer_load_dword v155, off, s[0:3], 0 offset:572
	buffer_load_dword v161, off, s[0:3], 0 offset:556
	;; [unrolled: 1-line block ×12, first 2 shown]
	v_add_f64 v[58:59], v[54:55], v[56:57]
	ds_read_b128 v[54:57], v182 offset:928
	s_waitcnt lgkmcnt(1)
	v_mul_f64 v[60:61], v[50:51], v[126:127]
	v_fmac_f64_e32 v[60:61], v[52:53], v[128:129]
	v_add_f64 v[62:63], v[58:59], v[60:61]
	ds_read_b128 v[58:61], v182 offset:944
	s_waitcnt vmcnt(54) lgkmcnt(1)
	v_mul_f64 v[64:65], v[54:55], v[238:239]
	s_waitcnt vmcnt(52)
	v_fmac_f64_e32 v[64:65], v[56:57], v[242:243]
	v_add_f64 v[66:67], v[62:63], v[64:65]
	ds_read_b128 v[62:65], v182 offset:960
	s_waitcnt lgkmcnt(1)
	v_mul_f64 v[68:69], v[58:59], v[130:131]
	v_fmac_f64_e32 v[68:69], v[60:61], v[132:133]
	v_add_f64 v[70:71], v[66:67], v[68:69]
	ds_read_b128 v[66:69], v182 offset:976
	s_waitcnt vmcnt(46) lgkmcnt(1)
	v_mul_f64 v[72:73], v[62:63], v[246:247]
	s_waitcnt vmcnt(44)
	v_fmac_f64_e32 v[72:73], v[64:65], v[248:249]
	v_add_f64 v[78:79], v[70:71], v[72:73]
	ds_read_b128 v[70:73], v182 offset:992
	ds_read_b128 v[74:77], v182 offset:1008
	s_waitcnt lgkmcnt(2)
	v_mul_f64 v[80:81], v[66:67], v[136:137]
	v_fmac_f64_e32 v[80:81], v[68:69], v[140:141]
	v_add_f64 v[78:79], v[78:79], v[80:81]
	s_waitcnt vmcnt(38) lgkmcnt(1)
	v_mul_f64 v[80:81], v[70:71], v[250:251]
	s_waitcnt vmcnt(36)
	v_fmac_f64_e32 v[80:81], v[72:73], v[142:143]
	v_add_f64 v[78:79], v[78:79], v[80:81]
	s_waitcnt lgkmcnt(0)
	v_mul_f64 v[80:81], v[74:75], v[224:225]
	v_fmac_f64_e32 v[80:81], v[76:77], v[228:229]
	v_add_f64 v[168:169], v[78:79], v[80:81]
	ds_read_b128 v[78:81], v182 offset:1024
	ds_read_b128 v[82:85], v182 offset:1040
	;; [unrolled: 1-line block ×3, first 2 shown]
	v_fma_f64 v[188:189], v[114:115], v[96:97], -v[94:95]
	ds_read_b128 v[94:97], v182 offset:1088
	s_waitcnt vmcnt(30) lgkmcnt(3)
	v_mul_f64 v[90:91], v[78:79], v[144:145]
	s_waitcnt vmcnt(28)
	v_fmac_f64_e32 v[90:91], v[80:81], v[252:253]
	s_waitcnt lgkmcnt(2)
	v_mul_f64 v[92:93], v[82:83], v[232:233]
	v_add_f64 v[90:91], v[168:169], v[90:91]
	v_fmac_f64_e32 v[92:93], v[84:85], v[236:237]
	v_add_f64 v[90:91], v[90:91], v[92:93]
	s_waitcnt vmcnt(22) lgkmcnt(1)
	v_mul_f64 v[92:93], v[86:87], v[146:147]
	s_waitcnt vmcnt(20)
	v_fmac_f64_e32 v[92:93], v[88:89], v[148:149]
	v_add_f64 v[106:107], v[90:91], v[92:93]
	ds_read_b128 v[90:93], v182 offset:1072
	v_fma_f64 v[190:191], v[170:171], v[100:101], -v[98:99]
	ds_read_b128 v[98:101], v182 offset:1104
	buffer_load_dword v168, off, s[0:3], 0 offset:600
	v_fma_f64 v[174:175], v[174:175], v[104:105], -v[102:103]
	s_waitcnt lgkmcnt(1)
	v_mul_f64 v[108:109], v[90:91], v[240:241]
	v_fmac_f64_e32 v[108:109], v[92:93], v[244:245]
	v_add_f64 v[106:107], v[106:107], v[108:109]
	ds_read_b128 v[102:105], v182 offset:1120
	v_fma_f64 v[178:179], v[178:179], v[112:113], -v[110:111]
	ds_read_b128 v[110:113], v182 offset:1152
	v_mul_f64 v[12:13], v[12:13], v[192:193]
	v_fma_f64 v[10:11], v[10:11], v[194:195], -v[12:13]
	v_mul_f64 v[8:9], v[8:9], v[196:197]
	v_fma_f64 v[6:7], v[6:7], v[200:201], -v[8:9]
	;; [unrolled: 2-line block ×4, first 2 shown]
	s_waitcnt vmcnt(19)
	v_mul_f64 v[108:109], v[94:95], v[150:151]
	s_waitcnt vmcnt(17)
	v_fmac_f64_e32 v[108:109], v[96:97], v[152:153]
	v_add_f64 v[106:107], v[106:107], v[108:109]
	s_waitcnt vmcnt(15) lgkmcnt(2)
	v_mul_f64 v[108:109], v[98:99], v[156:157]
	s_waitcnt vmcnt(13)
	v_fmac_f64_e32 v[108:109], v[100:101], v[158:159]
	v_add_f64 v[114:115], v[106:107], v[108:109]
	ds_read_b128 v[106:109], v182 offset:1136
	buffer_load_dword v172, off, s[0:3], 0 offset:592
	buffer_load_dword v169, off, s[0:3], 0 offset:604
	;; [unrolled: 1-line block ×3, first 2 shown]
	s_waitcnt vmcnt(13) lgkmcnt(2)
	v_mul_f64 v[116:117], v[102:103], v[160:161]
	s_waitcnt vmcnt(11)
	v_fmac_f64_e32 v[116:117], v[104:105], v[254:255]
	v_add_f64 v[114:115], v[114:115], v[116:117]
	s_waitcnt vmcnt(10) lgkmcnt(0)
	v_mul_f64 v[116:117], v[106:107], v[154:155]
	s_waitcnt vmcnt(8)
	v_fmac_f64_e32 v[116:117], v[108:109], v[164:165]
	v_add_f64 v[114:115], v[114:115], v[116:117]
	s_waitcnt vmcnt(6)
	v_mul_f64 v[116:117], v[110:111], v[162:163]
	s_waitcnt vmcnt(4)
	v_fmac_f64_e32 v[116:117], v[112:113], v[166:167]
	v_add_f64 v[170:171], v[114:115], v[116:117]
	ds_read_b128 v[114:117], v182 offset:1168
	s_waitcnt vmcnt(1) lgkmcnt(0)
	v_mul_f64 v[176:177], v[114:115], v[168:169]
	s_waitcnt vmcnt(0)
	v_fmac_f64_e32 v[176:177], v[116:117], v[172:173]
	v_add_f64 v[170:171], v[170:171], v[176:177]
	v_add_f64 v[176:177], v[184:185], 0
	;; [unrolled: 1-line block ×5, first 2 shown]
	buffer_load_dword v176, off, s[0:3], 0 offset:32
	buffer_load_dword v177, off, s[0:3], 0 offset:36
	v_add_f64 v[180:181], v[180:181], v[174:175]
	buffer_load_dword v174, off, s[0:3], 0 offset:40
	buffer_load_dword v175, off, s[0:3], 0 offset:44
	v_add_f64 v[178:179], v[180:181], v[178:179]
	v_add_f64 v[10:11], v[178:179], v[10:11]
	;; [unrolled: 1-line block ×5, first 2 shown]
	v_mul_f64 v[4:5], v[20:21], v[204:205]
	v_fma_f64 v[4:5], v[18:19], v[206:207], -v[4:5]
	v_add_f64 v[2:3], v[2:3], v[4:5]
	v_mul_f64 v[4:5], v[24:25], v[218:219]
	v_fma_f64 v[4:5], v[22:23], v[220:221], -v[4:5]
	v_add_f64 v[2:3], v[2:3], v[4:5]
	;; [unrolled: 3-line block ×25, first 2 shown]
	s_waitcnt vmcnt(2)
	v_add_f64 v[2:3], v[176:177], -v[2:3]
	s_waitcnt vmcnt(0)
	v_add_f64 v[4:5], v[174:175], -v[170:171]
	buffer_store_dword v3, off, s[0:3], 0 offset:36
	buffer_store_dword v2, off, s[0:3], 0 offset:32
	buffer_store_dword v5, off, s[0:3], 0 offset:44
	buffer_store_dword v4, off, s[0:3], 0 offset:40
	s_and_saveexec_b64 s[4:5], vcc
	s_cbranch_execz .LBB36_235
; %bb.234:
	buffer_load_dword v0, off, s[0:3], 0 offset:16
	buffer_load_dword v1, off, s[0:3], 0 offset:20
	;; [unrolled: 1-line block ×4, first 2 shown]
	v_accvgpr_read_b32 v4, a108
	buffer_store_dword v182, off, s[0:3], 0 offset:16
	buffer_store_dword v182, off, s[0:3], 0 offset:20
	;; [unrolled: 1-line block ×4, first 2 shown]
	s_waitcnt vmcnt(4)
	ds_write_b128 v4, v[0:3]
.LBB36_235:
	s_or_b64 exec, exec, s[4:5]
	s_waitcnt lgkmcnt(0)
	; wave barrier
	s_waitcnt lgkmcnt(0)
	buffer_load_dword v76, off, s[0:3], 0 offset:32
	buffer_load_dword v77, off, s[0:3], 0 offset:36
	;; [unrolled: 1-line block ×34, first 2 shown]
	ds_read_b128 v[72:75], v182 offset:608
	ds_read_b128 v[80:83], v182 offset:624
	ds_read_b128 v[84:87], v182 offset:640
	ds_read_b128 v[92:95], v182 offset:656
	ds_read_b128 v[96:99], v182 offset:672
	ds_read_b128 v[104:107], v182 offset:688
	ds_read_b128 v[108:111], v182 offset:704
	ds_read_b128 v[0:3], v182 offset:720
	buffer_load_dword v197, off, s[0:3], 0 offset:148
	buffer_load_dword v196, off, s[0:3], 0 offset:144
	ds_read_b128 v[4:7], v182 offset:736
	buffer_load_dword v199, off, s[0:3], 0 offset:204
	buffer_load_dword v198, off, s[0:3], 0 offset:200
	;; [unrolled: 1-line block ×80, first 2 shown]
	s_and_b64 vcc, exec, s[20:21]
	s_waitcnt vmcnt(62) lgkmcnt(8)
	v_mul_f64 v[8:9], v[72:73], v[78:79]
	v_fmac_f64_e32 v[8:9], v[74:75], v[76:77]
	v_add_f64 v[8:9], v[8:9], 0
	v_mul_f64 v[74:75], v[74:75], v[78:79]
	s_waitcnt lgkmcnt(7)
	v_mul_f64 v[10:11], v[80:81], v[100:101]
	v_fmac_f64_e32 v[10:11], v[82:83], v[90:91]
	s_waitcnt lgkmcnt(6)
	v_mul_f64 v[12:13], v[84:85], v[88:89]
	v_add_f64 v[8:9], v[8:9], v[10:11]
	s_waitcnt lgkmcnt(4)
	v_mul_f64 v[16:17], v[96:97], v[102:103]
	v_mul_f64 v[82:83], v[82:83], v[100:101]
	v_fmac_f64_e32 v[16:17], v[98:99], v[112:113]
	v_fma_f64 v[184:185], v[80:81], v[90:91], -v[82:83]
	v_mul_f64 v[14:15], v[92:93], v[114:115]
	v_mul_f64 v[98:99], v[98:99], v[102:103]
	s_waitcnt lgkmcnt(2)
	v_mul_f64 v[20:21], v[108:109], v[166:167]
	v_fma_f64 v[188:189], v[96:97], v[112:113], -v[98:99]
	v_mul_f64 v[18:19], v[104:105], v[170:171]
	s_waitcnt lgkmcnt(1)
	v_mul_f64 v[22:23], v[0:1], v[116:117]
	v_fmac_f64_e32 v[12:13], v[86:87], v[176:177]
	v_add_f64 v[8:9], v[8:9], v[12:13]
	v_fmac_f64_e32 v[14:15], v[94:95], v[174:175]
	v_add_f64 v[8:9], v[8:9], v[14:15]
	;; [unrolled: 2-line block ×4, first 2 shown]
	v_add_f64 v[8:9], v[8:9], v[20:21]
	s_waitcnt lgkmcnt(0)
	v_mul_f64 v[14:15], v[4:5], v[192:193]
	v_fmac_f64_e32 v[14:15], v[6:7], v[194:195]
	v_fmac_f64_e32 v[22:23], v[2:3], v[196:197]
	v_add_f64 v[12:13], v[8:9], v[22:23]
	ds_read_b128 v[8:11], v182 offset:752
	v_add_f64 v[16:17], v[12:13], v[14:15]
	ds_read_b128 v[12:15], v182 offset:768
	v_mul_f64 v[86:87], v[86:87], v[88:89]
	v_fma_f64 v[186:187], v[84:85], v[176:177], -v[86:87]
	s_waitcnt lgkmcnt(1)
	v_mul_f64 v[18:19], v[8:9], v[202:203]
	v_fmac_f64_e32 v[18:19], v[10:11], v[204:205]
	v_add_f64 v[20:21], v[16:17], v[18:19]
	ds_read_b128 v[16:19], v182 offset:784
	s_waitcnt lgkmcnt(1)
	v_mul_f64 v[22:23], v[12:13], v[198:199]
	v_fmac_f64_e32 v[22:23], v[14:15], v[200:201]
	v_add_f64 v[24:25], v[20:21], v[22:23]
	ds_read_b128 v[20:23], v182 offset:800
	;; [unrolled: 5-line block ×4, first 2 shown]
	s_waitcnt vmcnt(58) lgkmcnt(1)
	v_mul_f64 v[34:35], v[24:25], v[230:231]
	s_waitcnt vmcnt(56)
	v_fmac_f64_e32 v[34:35], v[26:27], v[234:235]
	v_add_f64 v[36:37], v[32:33], v[34:35]
	ds_read_b128 v[32:35], v182 offset:848
	s_waitcnt lgkmcnt(1)
	v_mul_f64 v[38:39], v[28:29], v[210:211]
	v_fmac_f64_e32 v[38:39], v[30:31], v[212:213]
	v_add_f64 v[40:41], v[36:37], v[38:39]
	ds_read_b128 v[36:39], v182 offset:864
	s_waitcnt vmcnt(50) lgkmcnt(1)
	v_mul_f64 v[42:43], v[32:33], v[238:239]
	s_waitcnt vmcnt(48)
	v_fmac_f64_e32 v[42:43], v[34:35], v[242:243]
	v_add_f64 v[44:45], v[40:41], v[42:43]
	ds_read_b128 v[40:43], v182 offset:880
	buffer_load_dword v143, off, s[0:3], 0 offset:508
	buffer_load_dword v142, off, s[0:3], 0 offset:504
	;; [unrolled: 1-line block ×4, first 2 shown]
	s_waitcnt lgkmcnt(1)
	v_mul_f64 v[46:47], v[36:37], v[218:219]
	v_fmac_f64_e32 v[46:47], v[38:39], v[220:221]
	v_add_f64 v[48:49], v[44:45], v[46:47]
	ds_read_b128 v[44:47], v182 offset:896
	buffer_load_dword v147, off, s[0:3], 0 offset:524
	buffer_load_dword v146, off, s[0:3], 0 offset:520
	;; [unrolled: 1-line block ×8, first 2 shown]
	s_waitcnt vmcnt(54) lgkmcnt(1)
	v_mul_f64 v[50:51], v[40:41], v[246:247]
	s_waitcnt vmcnt(52)
	v_fmac_f64_e32 v[50:51], v[42:43], v[250:251]
	v_add_f64 v[52:53], v[48:49], v[50:51]
	ds_read_b128 v[48:51], v182 offset:912
	s_waitcnt lgkmcnt(1)
	v_mul_f64 v[54:55], v[44:45], v[222:223]
	v_fmac_f64_e32 v[54:55], v[46:47], v[224:225]
	buffer_load_dword v157, off, s[0:3], 0 offset:556
	buffer_load_dword v156, off, s[0:3], 0 offset:552
	buffer_load_dword v159, off, s[0:3], 0 offset:548
	buffer_load_dword v158, off, s[0:3], 0 offset:544
	buffer_load_dword v154, off, s[0:3], 0 offset:584
	buffer_load_dword v163, off, s[0:3], 0 offset:572
	buffer_load_dword v162, off, s[0:3], 0 offset:568
	buffer_load_dword v165, off, s[0:3], 0 offset:564
	buffer_load_dword v164, off, s[0:3], 0 offset:560
	buffer_load_dword v160, off, s[0:3], 0 offset:576
	buffer_load_dword v155, off, s[0:3], 0 offset:588
	buffer_load_dword v161, off, s[0:3], 0 offset:580
	v_add_f64 v[56:57], v[52:53], v[54:55]
	ds_read_b128 v[52:55], v182 offset:928
	s_waitcnt vmcnt(58) lgkmcnt(1)
	v_mul_f64 v[58:59], v[48:49], v[254:255]
	s_waitcnt vmcnt(56)
	v_fmac_f64_e32 v[58:59], v[50:51], v[122:123]
	v_add_f64 v[60:61], v[56:57], v[58:59]
	ds_read_b128 v[56:59], v182 offset:944
	s_waitcnt lgkmcnt(1)
	v_mul_f64 v[62:63], v[52:53], v[226:227]
	v_fmac_f64_e32 v[62:63], v[54:55], v[228:229]
	v_add_f64 v[64:65], v[60:61], v[62:63]
	ds_read_b128 v[60:63], v182 offset:960
	s_waitcnt vmcnt(50) lgkmcnt(1)
	v_mul_f64 v[66:67], v[56:57], v[126:127]
	s_waitcnt vmcnt(48)
	v_fmac_f64_e32 v[66:67], v[58:59], v[128:129]
	v_add_f64 v[68:69], v[64:65], v[66:67]
	ds_read_b128 v[64:67], v182 offset:976
	s_waitcnt lgkmcnt(1)
	v_mul_f64 v[70:71], v[60:61], v[232:233]
	v_fmac_f64_e32 v[70:71], v[62:63], v[236:237]
	v_add_f64 v[178:179], v[68:69], v[70:71]
	ds_read_b128 v[68:71], v182 offset:992
	s_waitcnt vmcnt(42) lgkmcnt(1)
	v_mul_f64 v[180:181], v[64:65], v[130:131]
	s_waitcnt vmcnt(40)
	v_fmac_f64_e32 v[180:181], v[66:67], v[132:133]
	v_add_f64 v[178:179], v[178:179], v[180:181]
	v_fma_f64 v[180:181], v[72:73], v[76:77], -v[74:75]
	ds_read_b128 v[72:75], v182 offset:1008
	s_waitcnt lgkmcnt(1)
	v_mul_f64 v[76:77], v[68:69], v[240:241]
	v_fmac_f64_e32 v[76:77], v[70:71], v[244:245]
	v_add_f64 v[178:179], v[178:179], v[76:77]
	ds_read_b128 v[76:79], v182 offset:1024
	ds_read_b128 v[80:83], v182 offset:1040
	s_waitcnt vmcnt(34) lgkmcnt(2)
	v_mul_f64 v[90:91], v[72:73], v[134:135]
	ds_read_b128 v[84:87], v182 offset:1056
	s_waitcnt vmcnt(32)
	v_fmac_f64_e32 v[90:91], v[74:75], v[136:137]
	s_waitcnt lgkmcnt(2)
	v_mul_f64 v[100:101], v[76:77], v[248:249]
	v_add_f64 v[90:91], v[178:179], v[90:91]
	v_fmac_f64_e32 v[100:101], v[78:79], v[252:253]
	v_add_f64 v[88:89], v[90:91], v[100:101]
	s_waitcnt vmcnt(26) lgkmcnt(1)
	v_mul_f64 v[90:91], v[80:81], v[138:139]
	s_waitcnt vmcnt(24)
	v_fmac_f64_e32 v[90:91], v[82:83], v[140:141]
	v_mul_f64 v[94:95], v[94:95], v[114:115]
	v_add_f64 v[88:89], v[88:89], v[90:91]
	v_fma_f64 v[174:175], v[92:93], v[174:175], -v[94:95]
	ds_read_b128 v[92:95], v182 offset:1088
	s_waitcnt lgkmcnt(1)
	v_mul_f64 v[90:91], v[84:85], v[120:121]
	v_fmac_f64_e32 v[90:91], v[86:87], v[124:125]
	v_add_f64 v[100:101], v[88:89], v[90:91]
	ds_read_b128 v[88:91], v182 offset:1072
	ds_read_b128 v[96:99], v182 offset:1104
	v_mul_f64 v[106:107], v[106:107], v[170:171]
	v_mul_f64 v[110:111], v[110:111], v[166:167]
	v_fma_f64 v[176:177], v[104:105], v[172:173], -v[106:107]
	v_fma_f64 v[178:179], v[108:109], v[168:169], -v[110:111]
	ds_read_b128 v[108:111], v182 offset:1152
	v_mul_f64 v[2:3], v[2:3], v[116:117]
	v_fma_f64 v[0:1], v[0:1], v[196:197], -v[2:3]
	v_mul_f64 v[2:3], v[6:7], v[192:193]
	v_fma_f64 v[2:3], v[4:5], v[194:195], -v[2:3]
	ds_read_b128 v[104:107], v182 offset:1136
	s_waitcnt vmcnt(22) lgkmcnt(3)
	v_mul_f64 v[114:115], v[88:89], v[142:143]
	s_waitcnt vmcnt(18)
	v_mul_f64 v[102:103], v[92:93], v[146:147]
	v_fmac_f64_e32 v[114:115], v[90:91], v[144:145]
	v_add_f64 v[100:101], v[100:101], v[114:115]
	s_waitcnt vmcnt(16)
	v_fmac_f64_e32 v[102:103], v[94:95], v[150:151]
	v_add_f64 v[100:101], v[100:101], v[102:103]
	s_waitcnt vmcnt(14) lgkmcnt(2)
	v_mul_f64 v[102:103], v[96:97], v[148:149]
	s_waitcnt vmcnt(12)
	v_fmac_f64_e32 v[102:103], v[98:99], v[152:153]
	v_add_f64 v[112:113], v[100:101], v[102:103]
	ds_read_b128 v[100:103], v182 offset:1120
	buffer_load_dword v169, off, s[0:3], 0 offset:604
	buffer_load_dword v168, off, s[0:3], 0 offset:600
	;; [unrolled: 1-line block ×4, first 2 shown]
	s_waitcnt vmcnt(14) lgkmcnt(0)
	v_mul_f64 v[114:115], v[100:101], v[156:157]
	s_waitcnt vmcnt(12)
	v_fmac_f64_e32 v[114:115], v[102:103], v[158:159]
	v_add_f64 v[112:113], v[112:113], v[114:115]
	s_waitcnt vmcnt(9)
	v_mul_f64 v[114:115], v[104:105], v[162:163]
	s_waitcnt vmcnt(7)
	v_fmac_f64_e32 v[114:115], v[106:107], v[164:165]
	v_add_f64 v[112:113], v[112:113], v[114:115]
	s_waitcnt vmcnt(5)
	v_mul_f64 v[114:115], v[108:109], v[154:155]
	s_waitcnt vmcnt(4)
	v_fmac_f64_e32 v[114:115], v[110:111], v[160:161]
	v_add_f64 v[166:167], v[112:113], v[114:115]
	ds_read_b128 v[112:115], v182 offset:1168
	s_waitcnt vmcnt(2) lgkmcnt(0)
	v_mul_f64 v[172:173], v[112:113], v[168:169]
	s_waitcnt vmcnt(0)
	v_fmac_f64_e32 v[172:173], v[114:115], v[170:171]
	v_add_f64 v[166:167], v[166:167], v[172:173]
	v_add_f64 v[172:173], v[180:181], 0
	;; [unrolled: 1-line block ×5, first 2 shown]
	buffer_load_dword v174, off, s[0:3], 0 offset:16
	buffer_load_dword v175, off, s[0:3], 0 offset:20
	v_add_f64 v[180:181], v[172:173], v[188:189]
	buffer_load_dword v172, off, s[0:3], 0 offset:24
	buffer_load_dword v173, off, s[0:3], 0 offset:28
	v_add_f64 v[176:177], v[180:181], v[176:177]
	v_add_f64 v[176:177], v[176:177], v[178:179]
	;; [unrolled: 1-line block ×4, first 2 shown]
	v_mul_f64 v[2:3], v[10:11], v[202:203]
	v_fma_f64 v[2:3], v[8:9], v[204:205], -v[2:3]
	v_add_f64 v[0:1], v[0:1], v[2:3]
	v_mul_f64 v[2:3], v[14:15], v[198:199]
	v_fma_f64 v[2:3], v[12:13], v[200:201], -v[2:3]
	v_add_f64 v[0:1], v[0:1], v[2:3]
	v_mul_f64 v[2:3], v[18:19], v[214:215]
	v_fma_f64 v[2:3], v[16:17], v[216:217], -v[2:3]
	v_add_f64 v[0:1], v[0:1], v[2:3]
	v_mul_f64 v[2:3], v[22:23], v[206:207]
	v_fma_f64 v[2:3], v[20:21], v[208:209], -v[2:3]
	v_add_f64 v[0:1], v[0:1], v[2:3]
	v_mul_f64 v[2:3], v[26:27], v[230:231]
	v_fma_f64 v[2:3], v[24:25], v[234:235], -v[2:3]
	v_add_f64 v[0:1], v[0:1], v[2:3]
	v_mul_f64 v[2:3], v[30:31], v[210:211]
	v_fma_f64 v[2:3], v[28:29], v[212:213], -v[2:3]
	v_add_f64 v[0:1], v[0:1], v[2:3]
	v_mul_f64 v[2:3], v[34:35], v[238:239]
	v_fma_f64 v[2:3], v[32:33], v[242:243], -v[2:3]
	v_add_f64 v[0:1], v[0:1], v[2:3]
	v_mul_f64 v[2:3], v[38:39], v[218:219]
	v_fma_f64 v[2:3], v[36:37], v[220:221], -v[2:3]
	v_add_f64 v[0:1], v[0:1], v[2:3]
	v_mul_f64 v[2:3], v[42:43], v[246:247]
	v_fma_f64 v[2:3], v[40:41], v[250:251], -v[2:3]
	v_add_f64 v[0:1], v[0:1], v[2:3]
	v_mul_f64 v[2:3], v[46:47], v[222:223]
	v_fma_f64 v[2:3], v[44:45], v[224:225], -v[2:3]
	v_add_f64 v[0:1], v[0:1], v[2:3]
	v_mul_f64 v[2:3], v[50:51], v[254:255]
	v_fma_f64 v[2:3], v[48:49], v[122:123], -v[2:3]
	v_add_f64 v[0:1], v[0:1], v[2:3]
	v_mul_f64 v[2:3], v[54:55], v[226:227]
	v_fma_f64 v[2:3], v[52:53], v[228:229], -v[2:3]
	v_add_f64 v[0:1], v[0:1], v[2:3]
	v_mul_f64 v[2:3], v[58:59], v[126:127]
	v_fma_f64 v[2:3], v[56:57], v[128:129], -v[2:3]
	v_add_f64 v[0:1], v[0:1], v[2:3]
	v_mul_f64 v[2:3], v[62:63], v[232:233]
	v_fma_f64 v[2:3], v[60:61], v[236:237], -v[2:3]
	v_add_f64 v[0:1], v[0:1], v[2:3]
	v_mul_f64 v[2:3], v[66:67], v[130:131]
	v_fma_f64 v[2:3], v[64:65], v[132:133], -v[2:3]
	v_add_f64 v[0:1], v[0:1], v[2:3]
	v_mul_f64 v[2:3], v[70:71], v[240:241]
	v_fma_f64 v[2:3], v[68:69], v[244:245], -v[2:3]
	v_add_f64 v[0:1], v[0:1], v[2:3]
	v_mul_f64 v[2:3], v[74:75], v[134:135]
	v_fma_f64 v[2:3], v[72:73], v[136:137], -v[2:3]
	v_add_f64 v[0:1], v[0:1], v[2:3]
	v_mul_f64 v[2:3], v[78:79], v[248:249]
	v_fma_f64 v[2:3], v[76:77], v[252:253], -v[2:3]
	v_add_f64 v[0:1], v[0:1], v[2:3]
	v_mul_f64 v[2:3], v[82:83], v[138:139]
	v_fma_f64 v[2:3], v[80:81], v[140:141], -v[2:3]
	v_add_f64 v[0:1], v[0:1], v[2:3]
	v_mul_f64 v[2:3], v[86:87], v[120:121]
	v_fma_f64 v[2:3], v[84:85], v[124:125], -v[2:3]
	v_add_f64 v[0:1], v[0:1], v[2:3]
	v_mul_f64 v[2:3], v[90:91], v[142:143]
	v_fma_f64 v[2:3], v[88:89], v[144:145], -v[2:3]
	v_add_f64 v[0:1], v[0:1], v[2:3]
	v_mul_f64 v[2:3], v[94:95], v[146:147]
	v_fma_f64 v[2:3], v[92:93], v[150:151], -v[2:3]
	v_add_f64 v[0:1], v[0:1], v[2:3]
	v_mul_f64 v[2:3], v[98:99], v[148:149]
	v_fma_f64 v[2:3], v[96:97], v[152:153], -v[2:3]
	v_add_f64 v[0:1], v[0:1], v[2:3]
	v_mul_f64 v[2:3], v[102:103], v[156:157]
	v_fma_f64 v[2:3], v[100:101], v[158:159], -v[2:3]
	v_add_f64 v[0:1], v[0:1], v[2:3]
	v_mul_f64 v[2:3], v[106:107], v[162:163]
	v_fma_f64 v[2:3], v[104:105], v[164:165], -v[2:3]
	v_add_f64 v[0:1], v[0:1], v[2:3]
	v_mul_f64 v[2:3], v[110:111], v[154:155]
	v_fma_f64 v[2:3], v[108:109], v[160:161], -v[2:3]
	v_add_f64 v[0:1], v[0:1], v[2:3]
	v_mul_f64 v[2:3], v[114:115], v[168:169]
	v_fma_f64 v[2:3], v[112:113], v[170:171], -v[2:3]
	v_add_f64 v[0:1], v[0:1], v[2:3]
	s_waitcnt vmcnt(2)
	v_add_f64 v[0:1], v[174:175], -v[0:1]
	s_waitcnt vmcnt(0)
	v_add_f64 v[2:3], v[172:173], -v[166:167]
	buffer_store_dword v1, off, s[0:3], 0 offset:20
	buffer_store_dword v0, off, s[0:3], 0 offset:16
	;; [unrolled: 1-line block ×4, first 2 shown]
	s_cbranch_vccz .LBB36_309
; %bb.236:
	v_pk_mov_b32 v[0:1], s[10:11], s[10:11] op_sel:[0,1]
	flat_load_dword v0, v[0:1] offset:140
	s_waitcnt vmcnt(0) lgkmcnt(0)
	v_add_u32_e32 v0, -1, v0
	v_cmp_ne_u32_e32 vcc, 35, v0
	s_and_saveexec_b64 s[4:5], vcc
	s_cbranch_execz .LBB36_238
; %bb.237:
	v_mov_b32_e32 v1, 16
	v_accvgpr_read_b32 v9, a73
	v_lshl_add_u32 v0, v0, 4, v1
	buffer_load_dword v1, v9, s[0:3], 0 offen offset:4
	buffer_load_dword v2, v9, s[0:3], 0 offen offset:8
	buffer_load_dword v3, v9, s[0:3], 0 offen offset:12
	buffer_load_dword v4, v0, s[0:3], 0 offen
	buffer_load_dword v5, v0, s[0:3], 0 offen offset:4
	buffer_load_dword v6, v0, s[0:3], 0 offen offset:8
	buffer_load_dword v7, v0, s[0:3], 0 offen offset:12
	buffer_load_dword v8, v9, s[0:3], 0 offen
	s_waitcnt vmcnt(4)
	buffer_store_dword v4, v9, s[0:3], 0 offen
	s_waitcnt vmcnt(4)
	buffer_store_dword v5, v9, s[0:3], 0 offen offset:4
	s_waitcnt vmcnt(4)
	buffer_store_dword v6, v9, s[0:3], 0 offen offset:8
	s_waitcnt vmcnt(4)
	buffer_store_dword v7, v9, s[0:3], 0 offen offset:12
	buffer_store_dword v3, v0, s[0:3], 0 offen offset:12
	buffer_store_dword v2, v0, s[0:3], 0 offen offset:8
	buffer_store_dword v1, v0, s[0:3], 0 offen offset:4
	s_waitcnt vmcnt(7)
	buffer_store_dword v8, v0, s[0:3], 0 offen
.LBB36_238:
	s_or_b64 exec, exec, s[4:5]
	v_pk_mov_b32 v[0:1], s[10:11], s[10:11] op_sel:[0,1]
	flat_load_dword v0, v[0:1] offset:136
	s_waitcnt vmcnt(0) lgkmcnt(0)
	v_add_u32_e32 v0, -1, v0
	v_cmp_ne_u32_e32 vcc, 34, v0
	s_and_saveexec_b64 s[4:5], vcc
	s_cbranch_execz .LBB36_240
; %bb.239:
	v_mov_b32_e32 v1, 16
	v_accvgpr_read_b32 v9, a74
	v_lshl_add_u32 v0, v0, 4, v1
	buffer_load_dword v1, v9, s[0:3], 0 offen offset:4
	buffer_load_dword v2, v9, s[0:3], 0 offen offset:8
	buffer_load_dword v3, v9, s[0:3], 0 offen offset:12
	buffer_load_dword v4, v0, s[0:3], 0 offen
	buffer_load_dword v5, v0, s[0:3], 0 offen offset:4
	buffer_load_dword v6, v0, s[0:3], 0 offen offset:8
	buffer_load_dword v7, v0, s[0:3], 0 offen offset:12
	buffer_load_dword v8, v9, s[0:3], 0 offen
	s_waitcnt vmcnt(4)
	buffer_store_dword v4, v9, s[0:3], 0 offen
	s_waitcnt vmcnt(4)
	buffer_store_dword v5, v9, s[0:3], 0 offen offset:4
	s_waitcnt vmcnt(4)
	buffer_store_dword v6, v9, s[0:3], 0 offen offset:8
	s_waitcnt vmcnt(4)
	buffer_store_dword v7, v9, s[0:3], 0 offen offset:12
	buffer_store_dword v3, v0, s[0:3], 0 offen offset:12
	buffer_store_dword v2, v0, s[0:3], 0 offen offset:8
	buffer_store_dword v1, v0, s[0:3], 0 offen offset:4
	s_waitcnt vmcnt(7)
	buffer_store_dword v8, v0, s[0:3], 0 offen
.LBB36_240:
	s_or_b64 exec, exec, s[4:5]
	;; [unrolled: 34-line block ×35, first 2 shown]
	v_pk_mov_b32 v[0:1], s[10:11], s[10:11] op_sel:[0,1]
	flat_load_dword v0, v[0:1]
	s_waitcnt vmcnt(0) lgkmcnt(0)
	v_add_u32_e32 v0, -1, v0
	v_cmp_ne_u32_e32 vcc, 0, v0
	s_and_saveexec_b64 s[4:5], vcc
	s_cbranch_execz .LBB36_308
; %bb.307:
	v_mov_b32_e32 v1, 16
	v_lshl_add_u32 v0, v0, 4, v1
	buffer_load_dword v1, v0, s[0:3], 0 offen
	buffer_load_dword v2, v0, s[0:3], 0 offen offset:4
	buffer_load_dword v3, v0, s[0:3], 0 offen offset:8
	;; [unrolled: 1-line block ×3, first 2 shown]
	buffer_load_dword v5, off, s[0:3], 0 offset:28
	buffer_load_dword v6, off, s[0:3], 0 offset:24
	;; [unrolled: 1-line block ×4, first 2 shown]
	s_waitcnt vmcnt(7)
	buffer_store_dword v1, off, s[0:3], 0 offset:16
	s_waitcnt vmcnt(7)
	buffer_store_dword v2, off, s[0:3], 0 offset:20
	;; [unrolled: 2-line block ×4, first 2 shown]
	s_waitcnt vmcnt(7)
	buffer_store_dword v5, v0, s[0:3], 0 offen offset:12
	s_waitcnt vmcnt(7)
	buffer_store_dword v6, v0, s[0:3], 0 offen offset:8
	;; [unrolled: 2-line block ×3, first 2 shown]
	s_waitcnt vmcnt(7)
	buffer_store_dword v8, v0, s[0:3], 0 offen
.LBB36_308:
	s_or_b64 exec, exec, s[4:5]
.LBB36_309:
	buffer_load_dword v0, off, s[0:3], 0 offset:16
	buffer_load_dword v1, off, s[0:3], 0 offset:20
	;; [unrolled: 1-line block ×4, first 2 shown]
	v_accvgpr_read_b32 v19, a105
	buffer_load_dword v4, v19, s[0:3], 0 offen
	buffer_load_dword v5, v19, s[0:3], 0 offen offset:4
	buffer_load_dword v6, v19, s[0:3], 0 offen offset:8
	;; [unrolled: 1-line block ×3, first 2 shown]
	v_accvgpr_read_b32 v21, a107
	buffer_load_dword v9, v21, s[0:3], 0 offen offset:4
	buffer_load_dword v10, v21, s[0:3], 0 offen offset:8
	;; [unrolled: 1-line block ×3, first 2 shown]
	v_accvgpr_read_b32 v20, a106
	buffer_load_dword v12, v20, s[0:3], 0 offen
	buffer_load_dword v13, v20, s[0:3], 0 offen offset:4
	buffer_load_dword v14, v20, s[0:3], 0 offen offset:8
	buffer_load_dword v8, v21, s[0:3], 0 offen
	buffer_load_dword v15, v20, s[0:3], 0 offen offset:12
	v_accvgpr_read_b32 v16, a104
	buffer_load_dword v17, v16, s[0:3], 0 offen offset:4
	buffer_load_dword v18, v16, s[0:3], 0 offen offset:8
                                        ; kill: killed $vgpr21
                                        ; kill: killed $vgpr19
                                        ; kill: killed $vgpr20
	buffer_load_dword v19, v16, s[0:3], 0 offen offset:12
	v_accvgpr_read_b32 v23, a103
	buffer_load_dword v20, v23, s[0:3], 0 offen
	buffer_load_dword v21, v23, s[0:3], 0 offen offset:4
	buffer_load_dword v22, v23, s[0:3], 0 offen offset:8
	s_nop 0
	buffer_load_dword v16, v16, s[0:3], 0 offen
	s_nop 0
	buffer_load_dword v23, v23, s[0:3], 0 offen offset:12
	v_accvgpr_read_b32 v24, a102
	buffer_load_dword v25, v24, s[0:3], 0 offen offset:4
	buffer_load_dword v26, v24, s[0:3], 0 offen offset:8
	buffer_load_dword v27, v24, s[0:3], 0 offen offset:12
	v_accvgpr_read_b32 v31, a101
	buffer_load_dword v28, v31, s[0:3], 0 offen
	buffer_load_dword v29, v31, s[0:3], 0 offen offset:4
	buffer_load_dword v30, v31, s[0:3], 0 offen offset:8
	s_nop 0
	buffer_load_dword v24, v24, s[0:3], 0 offen
	s_nop 0
	buffer_load_dword v31, v31, s[0:3], 0 offen offset:12
	v_accvgpr_read_b32 v32, a100
	buffer_load_dword v33, v32, s[0:3], 0 offen offset:4
	buffer_load_dword v34, v32, s[0:3], 0 offen offset:8
	;; [unrolled: 12-line block ×13, first 2 shown]
	buffer_load_dword v127, v117, s[0:3], 0 offen offset:12
	v_accvgpr_read_b32 v116, a77
	buffer_load_dword v128, v116, s[0:3], 0 offen
	buffer_load_dword v129, v116, s[0:3], 0 offen offset:4
	buffer_load_dword v130, v116, s[0:3], 0 offen offset:8
	buffer_load_dword v124, v117, s[0:3], 0 offen
	buffer_load_dword v131, v116, s[0:3], 0 offen offset:12
	v_accvgpr_read_b32 v117, a76
	buffer_load_dword v133, v117, s[0:3], 0 offen offset:4
	buffer_load_dword v134, v117, s[0:3], 0 offen offset:8
	;; [unrolled: 1-line block ×3, first 2 shown]
	v_accvgpr_read_b32 v116, a75
	buffer_load_dword v136, v116, s[0:3], 0 offen
	buffer_load_dword v137, v116, s[0:3], 0 offen offset:4
	buffer_load_dword v138, v116, s[0:3], 0 offen offset:8
	buffer_load_dword v132, v117, s[0:3], 0 offen
	buffer_load_dword v139, v116, s[0:3], 0 offen offset:12
	v_accvgpr_read_b32 v117, a74
	buffer_load_dword v141, v117, s[0:3], 0 offen offset:4
	buffer_load_dword v142, v117, s[0:3], 0 offen offset:8
	;; [unrolled: 1-line block ×3, first 2 shown]
	v_accvgpr_read_b32 v116, a73
	buffer_load_dword v144, v116, s[0:3], 0 offen
	buffer_load_dword v145, v116, s[0:3], 0 offen offset:4
	buffer_load_dword v146, v116, s[0:3], 0 offen offset:8
	buffer_load_dword v140, v117, s[0:3], 0 offen
	buffer_load_dword v147, v116, s[0:3], 0 offen offset:12
	v_accvgpr_read_b32 v116, a72
	buffer_load_dword v148, v116, s[0:3], 0 offen
	buffer_load_dword v149, v116, s[0:3], 0 offen offset:4
	buffer_load_dword v150, v116, s[0:3], 0 offen offset:8
	;; [unrolled: 1-line block ×3, first 2 shown]
	s_waitcnt vmcnt(62)
	global_store_dwordx4 v[118:119], v[0:3], off
	s_nop 0
	v_accvgpr_read_b32 v0, a0
	v_accvgpr_read_b32 v1, a1
	global_store_dwordx4 v[0:1], v[4:7], off
	v_accvgpr_read_b32 v0, a2
	v_accvgpr_read_b32 v1, a3
	global_store_dwordx4 v[0:1], v[8:11], off
	;; [unrolled: 3-line block ×19, first 2 shown]
	v_accvgpr_read_b32 v0, a38
	v_accvgpr_read_b32 v1, a39
	s_waitcnt vmcnt(62)
	global_store_dwordx4 v[0:1], v[80:83], off
	v_accvgpr_read_b32 v0, a40
	v_accvgpr_read_b32 v1, a41
	global_store_dwordx4 v[0:1], v[84:87], off
	v_accvgpr_read_b32 v0, a42
	v_accvgpr_read_b32 v1, a43
	;; [unrolled: 3-line block ×6, first 2 shown]
	s_waitcnt vmcnt(62)
	global_store_dwordx4 v[0:1], v[104:107], off
	v_accvgpr_read_b32 v0, a52
	v_accvgpr_read_b32 v1, a53
	global_store_dwordx4 v[0:1], v[108:111], off
	v_accvgpr_read_b32 v0, a54
	v_accvgpr_read_b32 v1, a55
	s_waitcnt vmcnt(57)
	global_store_dwordx4 v[0:1], v[112:115], off
	v_accvgpr_read_b32 v0, a56
	v_accvgpr_read_b32 v1, a57
	s_waitcnt vmcnt(57)
	;; [unrolled: 4-line block ×9, first 2 shown]
	global_store_dwordx4 v[0:1], v[148:151], off
	s_endpgm
	.section	.rodata,"a",@progbits
	.p2align	6, 0x0
	.amdhsa_kernel _ZN9rocsolver6v33100L18getri_kernel_smallILi37E19rocblas_complex_numIdEPS3_EEvT1_iilPiilS6_bb
		.amdhsa_group_segment_fixed_size 1192
		.amdhsa_private_segment_fixed_size 624
		.amdhsa_kernarg_size 60
		.amdhsa_user_sgpr_count 8
		.amdhsa_user_sgpr_private_segment_buffer 1
		.amdhsa_user_sgpr_dispatch_ptr 0
		.amdhsa_user_sgpr_queue_ptr 0
		.amdhsa_user_sgpr_kernarg_segment_ptr 1
		.amdhsa_user_sgpr_dispatch_id 0
		.amdhsa_user_sgpr_flat_scratch_init 1
		.amdhsa_user_sgpr_kernarg_preload_length 0
		.amdhsa_user_sgpr_kernarg_preload_offset 0
		.amdhsa_user_sgpr_private_segment_size 0
		.amdhsa_uses_dynamic_stack 0
		.amdhsa_system_sgpr_private_segment_wavefront_offset 1
		.amdhsa_system_sgpr_workgroup_id_x 1
		.amdhsa_system_sgpr_workgroup_id_y 0
		.amdhsa_system_sgpr_workgroup_id_z 0
		.amdhsa_system_sgpr_workgroup_info 0
		.amdhsa_system_vgpr_workitem_id 0
		.amdhsa_next_free_vgpr 365
		.amdhsa_next_free_sgpr 23
		.amdhsa_accum_offset 256
		.amdhsa_reserve_vcc 1
		.amdhsa_reserve_flat_scratch 1
		.amdhsa_float_round_mode_32 0
		.amdhsa_float_round_mode_16_64 0
		.amdhsa_float_denorm_mode_32 3
		.amdhsa_float_denorm_mode_16_64 3
		.amdhsa_dx10_clamp 1
		.amdhsa_ieee_mode 1
		.amdhsa_fp16_overflow 0
		.amdhsa_tg_split 0
		.amdhsa_exception_fp_ieee_invalid_op 0
		.amdhsa_exception_fp_denorm_src 0
		.amdhsa_exception_fp_ieee_div_zero 0
		.amdhsa_exception_fp_ieee_overflow 0
		.amdhsa_exception_fp_ieee_underflow 0
		.amdhsa_exception_fp_ieee_inexact 0
		.amdhsa_exception_int_div_zero 0
	.end_amdhsa_kernel
	.section	.text._ZN9rocsolver6v33100L18getri_kernel_smallILi37E19rocblas_complex_numIdEPS3_EEvT1_iilPiilS6_bb,"axG",@progbits,_ZN9rocsolver6v33100L18getri_kernel_smallILi37E19rocblas_complex_numIdEPS3_EEvT1_iilPiilS6_bb,comdat
.Lfunc_end36:
	.size	_ZN9rocsolver6v33100L18getri_kernel_smallILi37E19rocblas_complex_numIdEPS3_EEvT1_iilPiilS6_bb, .Lfunc_end36-_ZN9rocsolver6v33100L18getri_kernel_smallILi37E19rocblas_complex_numIdEPS3_EEvT1_iilPiilS6_bb
                                        ; -- End function
	.section	.AMDGPU.csdata,"",@progbits
; Kernel info:
; codeLenInByte = 93540
; NumSgprs: 29
; NumVgprs: 256
; NumAgprs: 109
; TotalNumVgprs: 365
; ScratchSize: 624
; MemoryBound: 0
; FloatMode: 240
; IeeeMode: 1
; LDSByteSize: 1192 bytes/workgroup (compile time only)
; SGPRBlocks: 3
; VGPRBlocks: 45
; NumSGPRsForWavesPerEU: 29
; NumVGPRsForWavesPerEU: 365
; AccumOffset: 256
; Occupancy: 1
; WaveLimiterHint : 1
; COMPUTE_PGM_RSRC2:SCRATCH_EN: 1
; COMPUTE_PGM_RSRC2:USER_SGPR: 8
; COMPUTE_PGM_RSRC2:TRAP_HANDLER: 0
; COMPUTE_PGM_RSRC2:TGID_X_EN: 1
; COMPUTE_PGM_RSRC2:TGID_Y_EN: 0
; COMPUTE_PGM_RSRC2:TGID_Z_EN: 0
; COMPUTE_PGM_RSRC2:TIDIG_COMP_CNT: 0
; COMPUTE_PGM_RSRC3_GFX90A:ACCUM_OFFSET: 63
; COMPUTE_PGM_RSRC3_GFX90A:TG_SPLIT: 0
	.section	.text._ZN9rocsolver6v33100L18getri_kernel_smallILi38E19rocblas_complex_numIdEPS3_EEvT1_iilPiilS6_bb,"axG",@progbits,_ZN9rocsolver6v33100L18getri_kernel_smallILi38E19rocblas_complex_numIdEPS3_EEvT1_iilPiilS6_bb,comdat
	.globl	_ZN9rocsolver6v33100L18getri_kernel_smallILi38E19rocblas_complex_numIdEPS3_EEvT1_iilPiilS6_bb ; -- Begin function _ZN9rocsolver6v33100L18getri_kernel_smallILi38E19rocblas_complex_numIdEPS3_EEvT1_iilPiilS6_bb
	.p2align	8
	.type	_ZN9rocsolver6v33100L18getri_kernel_smallILi38E19rocblas_complex_numIdEPS3_EEvT1_iilPiilS6_bb,@function
_ZN9rocsolver6v33100L18getri_kernel_smallILi38E19rocblas_complex_numIdEPS3_EEvT1_iilPiilS6_bb: ; @_ZN9rocsolver6v33100L18getri_kernel_smallILi38E19rocblas_complex_numIdEPS3_EEvT1_iilPiilS6_bb
; %bb.0:
	s_add_u32 flat_scratch_lo, s6, s9
	s_addc_u32 flat_scratch_hi, s7, 0
	s_add_u32 s0, s0, s9
	s_addc_u32 s1, s1, 0
	v_cmp_gt_u32_e32 vcc, 38, v0
	s_and_saveexec_b64 s[6:7], vcc
	s_cbranch_execz .LBB37_166
; %bb.1:
	s_load_dword s22, s[4:5], 0x38
	s_load_dwordx4 s[16:19], s[4:5], 0x10
	s_load_dwordx4 s[12:15], s[4:5], 0x28
                                        ; implicit-def: $sgpr10_sgpr11
	s_waitcnt lgkmcnt(0)
	s_bitcmp1_b32 s22, 8
	s_cselect_b64 s[20:21], -1, 0
	s_ashr_i32 s9, s8, 31
	s_bfe_u32 s6, s22, 0x10008
	s_cmp_eq_u32 s6, 0
	s_cbranch_scc1 .LBB37_3
; %bb.2:
	s_load_dword s6, s[4:5], 0x20
	s_mul_i32 s7, s8, s13
	s_mul_hi_u32 s10, s8, s12
	s_mul_i32 s11, s9, s12
	s_add_i32 s10, s10, s7
	s_add_i32 s11, s10, s11
	s_mul_i32 s10, s8, s12
	s_waitcnt lgkmcnt(0)
	s_ashr_i32 s7, s6, 31
	s_lshl_b64 s[10:11], s[10:11], 2
	s_add_u32 s10, s18, s10
	s_addc_u32 s11, s19, s11
	s_lshl_b64 s[6:7], s[6:7], 2
	s_add_u32 s10, s10, s6
	s_addc_u32 s11, s11, s7
.LBB37_3:
	s_load_dwordx4 s[4:7], s[4:5], 0x0
	s_mul_i32 s12, s8, s17
	s_mul_hi_u32 s13, s8, s16
	s_add_i32 s17, s13, s12
	v_lshlrev_b32_e32 v1, 4, v0
	s_waitcnt lgkmcnt(0)
	s_ashr_i32 s13, s6, 31
	s_mov_b32 s12, s6
	s_mul_i32 s6, s9, s16
	s_add_i32 s17, s17, s6
	s_mul_i32 s16, s8, s16
	s_lshl_b64 s[16:17], s[16:17], 4
	s_add_u32 s6, s4, s16
	s_addc_u32 s16, s5, s17
	s_lshl_b64 s[4:5], s[12:13], 4
	s_add_u32 s4, s6, s4
	s_addc_u32 s5, s16, s5
	s_add_i32 s6, s7, s7
	v_add_u32_e32 v4, s6, v0
	v_ashrrev_i32_e32 v5, 31, v4
	v_add_u32_e32 v2, s7, v4
	v_lshlrev_b64 v[4:5], 4, v[4:5]
	v_mov_b32_e32 v3, s5
	v_add_co_u32_e32 v4, vcc, s4, v4
	v_addc_co_u32_e32 v5, vcc, v3, v5, vcc
	global_load_dwordx4 v[60:63], v1, s[4:5]
	v_add_co_u32_e32 v64, vcc, s4, v1
	s_mov_b32 s12, s7
	s_ashr_i32 s13, s7, 31
	v_addc_co_u32_e32 v65, vcc, 0, v3, vcc
	s_lshl_b64 s[12:13], s[12:13], 4
	v_mov_b32_e32 v3, s13
	v_add_co_u32_e32 v66, vcc, s12, v64
	v_accvgpr_write_b32 a2, v64
	v_addc_co_u32_e32 v67, vcc, v65, v3, vcc
	v_accvgpr_write_b32 a4, v66
	v_accvgpr_write_b32 a3, v65
	;; [unrolled: 1-line block ×3, first 2 shown]
	global_load_dwordx4 v[64:67], v[66:67], off
	v_ashrrev_i32_e32 v3, 31, v2
	global_load_dwordx4 v[68:71], v[4:5], off
	v_add_u32_e32 v6, s7, v2
	v_accvgpr_write_b32 a0, v4
	v_lshlrev_b64 v[2:3], 4, v[2:3]
	v_accvgpr_write_b32 a1, v5
	v_mov_b32_e32 v4, s5
	v_add_co_u32_e32 v72, vcc, s4, v2
	v_addc_co_u32_e32 v73, vcc, v4, v3, vcc
	v_accvgpr_write_b32 a6, v72
	v_ashrrev_i32_e32 v7, 31, v6
	v_accvgpr_write_b32 a7, v73
	global_load_dwordx4 v[72:75], v[72:73], off
	v_lshlrev_b64 v[2:3], 4, v[6:7]
	v_add_co_u32_e32 v2, vcc, s4, v2
	v_add_u32_e32 v8, s7, v6
	v_addc_co_u32_e32 v3, vcc, v4, v3, vcc
	v_accvgpr_write_b32 a9, v3
	global_load_dwordx4 v[76:79], v[2:3], off
	v_ashrrev_i32_e32 v9, 31, v8
	v_accvgpr_write_b32 a8, v2
	v_lshlrev_b64 v[2:3], 4, v[8:9]
	v_add_co_u32_e32 v6, vcc, s4, v2
	v_add_u32_e32 v16, s7, v8
	v_addc_co_u32_e32 v7, vcc, v4, v3, vcc
	v_ashrrev_i32_e32 v17, 31, v16
	global_load_dwordx4 v[80:83], v[6:7], off
	v_lshlrev_b64 v[2:3], 4, v[16:17]
	v_add_co_u32_e32 v2, vcc, s4, v2
	v_add_u32_e32 v18, s7, v16
	v_addc_co_u32_e32 v3, vcc, v4, v3, vcc
	global_load_dwordx4 v[84:87], v[2:3], off
	v_accvgpr_write_b32 a13, v3
	v_ashrrev_i32_e32 v19, 31, v18
	v_accvgpr_write_b32 a11, v7
	v_accvgpr_write_b32 a12, v2
	v_lshlrev_b64 v[2:3], 4, v[18:19]
	v_accvgpr_write_b32 a10, v6
	v_add_co_u32_e32 v6, vcc, s4, v2
	v_add_u32_e32 v24, s7, v18
	v_addc_co_u32_e32 v7, vcc, v4, v3, vcc
	v_ashrrev_i32_e32 v25, 31, v24
	global_load_dwordx4 v[88:91], v[6:7], off
	v_lshlrev_b64 v[2:3], 4, v[24:25]
	v_add_co_u32_e32 v2, vcc, s4, v2
	v_add_u32_e32 v26, s7, v24
	v_addc_co_u32_e32 v3, vcc, v4, v3, vcc
	global_load_dwordx4 v[92:95], v[2:3], off
	v_accvgpr_write_b32 a17, v3
	v_ashrrev_i32_e32 v27, 31, v26
	v_accvgpr_write_b32 a15, v7
	v_accvgpr_write_b32 a16, v2
	v_lshlrev_b64 v[2:3], 4, v[26:27]
	v_accvgpr_write_b32 a14, v6
	;; [unrolled: 16-line block ×4, first 2 shown]
	v_add_co_u32_e32 v6, vcc, s4, v2
	v_add_u32_e32 v48, s7, v42
	v_addc_co_u32_e32 v7, vcc, v4, v3, vcc
	v_add_u32_e32 v50, s7, v48
	v_ashrrev_i32_e32 v49, 31, v48
	global_load_dwordx4 v[40:43], v[6:7], off
	v_add_u32_e32 v56, s7, v50
	v_lshlrev_b64 v[2:3], 4, v[48:49]
	v_add_u32_e32 v10, s7, v56
	v_add_co_u32_e32 v2, vcc, s4, v2
	v_add_u32_e32 v12, s7, v10
	v_addc_co_u32_e32 v3, vcc, v4, v3, vcc
	global_load_dwordx4 v[104:107], v[2:3], off
	v_add_u32_e32 v14, s7, v12
	v_accvgpr_write_b32 a29, v3
	v_ashrrev_i32_e32 v51, 31, v50
	v_add_u32_e32 v20, s7, v14
	v_accvgpr_write_b32 a27, v7
	v_accvgpr_write_b32 a28, v2
	v_lshlrev_b64 v[2:3], 4, v[50:51]
	v_add_u32_e32 v22, s7, v20
	v_accvgpr_write_b32 a26, v6
	v_add_co_u32_e32 v6, vcc, s4, v2
	v_add_u32_e32 v28, s7, v22
	v_addc_co_u32_e32 v7, vcc, v4, v3, vcc
	v_add_u32_e32 v30, s7, v28
	v_ashrrev_i32_e32 v57, 31, v56
	global_load_dwordx4 v[48:51], v[6:7], off
	v_add_u32_e32 v36, s7, v30
	v_lshlrev_b64 v[2:3], 4, v[56:57]
	v_add_u32_e32 v38, s7, v36
	v_add_co_u32_e32 v2, vcc, s4, v2
	v_add_u32_e32 v44, s7, v38
	v_accvgpr_write_b32 a33, v7
	v_addc_co_u32_e32 v3, vcc, v4, v3, vcc
	v_add_u32_e32 v46, s7, v44
	v_accvgpr_write_b32 a32, v6
	global_load_dwordx4 v[6:9], v[2:3], off
	v_add_u32_e32 v52, s7, v46
	v_add_u32_e32 v54, s7, v52
	;; [unrolled: 1-line block ×8, first 2 shown]
	v_accvgpr_write_b32 a35, v3
	v_add_u32_e32 v16, s7, v18
	v_accvgpr_write_b32 a34, v2
	v_add_u32_e32 v2, s7, v16
	v_ashrrev_i32_e32 v3, 31, v2
	v_lshlrev_b64 v[2:3], 4, v[2:3]
	v_add_co_u32_e32 v2, vcc, s4, v2
	v_addc_co_u32_e32 v3, vcc, v4, v3, vcc
	v_ashrrev_i32_e32 v11, 31, v10
	v_accvgpr_write_b32 a31, v3
	v_lshlrev_b64 v[10:11], 4, v[10:11]
	v_accvgpr_write_b32 a30, v2
	global_load_dwordx4 v[2:5], v[2:3], off
	s_waitcnt vmcnt(17)
	buffer_store_dword v63, off, s[0:3], 0 offset:28
	buffer_store_dword v62, off, s[0:3], 0 offset:24
	buffer_store_dword v61, off, s[0:3], 0 offset:20
	buffer_store_dword v60, off, s[0:3], 0 offset:16
	s_waitcnt vmcnt(20)
	buffer_store_dword v67, off, s[0:3], 0 offset:44
	buffer_store_dword v66, off, s[0:3], 0 offset:40
	buffer_store_dword v65, off, s[0:3], 0 offset:36
	buffer_store_dword v64, off, s[0:3], 0 offset:32
	;; [unrolled: 5-line block ×16, first 2 shown]
	s_waitcnt vmcnt(62)
	buffer_store_dword v9, off, s[0:3], 0 offset:284
	v_mov_b32_e32 v9, s5
	v_add_co_u32_e32 v24, vcc, s4, v10
	v_ashrrev_i32_e32 v13, 31, v12
	v_addc_co_u32_e32 v25, vcc, v9, v11, vcc
	v_lshlrev_b64 v[10:11], 4, v[12:13]
	v_add_co_u32_e32 v26, vcc, s4, v10
	v_ashrrev_i32_e32 v15, 31, v14
	v_addc_co_u32_e32 v27, vcc, v9, v11, vcc
	v_lshlrev_b64 v[14:15], 4, v[14:15]
	global_load_dwordx4 v[10:13], v[24:25], off
	v_add_co_u32_e32 v32, vcc, s4, v14
	v_ashrrev_i32_e32 v21, 31, v20
	v_addc_co_u32_e32 v33, vcc, v9, v15, vcc
	v_lshlrev_b64 v[14:15], 4, v[20:21]
	v_add_co_u32_e32 v14, vcc, s4, v14
	v_accvgpr_write_b32 a37, v25
	v_accvgpr_write_b32 a39, v27
	v_addc_co_u32_e32 v15, vcc, v9, v15, vcc
	global_load_dwordx4 v[40:43], v[14:15], off
	v_accvgpr_write_b32 a36, v24
	v_accvgpr_write_b32 a38, v26
	global_load_dwordx4 v[24:27], v[26:27], off
	v_accvgpr_write_b32 a41, v33
	v_accvgpr_write_b32 a40, v32
	global_load_dwordx4 v[32:35], v[32:33], off
	v_accvgpr_write_b32 a43, v15
	v_ashrrev_i32_e32 v23, 31, v22
	v_accvgpr_write_b32 a42, v14
	v_lshlrev_b64 v[14:15], 4, v[22:23]
	v_add_co_u32_e32 v20, vcc, s4, v14
	v_addc_co_u32_e32 v21, vcc, v9, v15, vcc
	v_ashrrev_i32_e32 v29, 31, v28
	v_accvgpr_write_b32 a45, v21
	v_lshlrev_b64 v[14:15], 4, v[28:29]
	v_accvgpr_write_b32 a44, v20
	global_load_dwordx4 v[20:23], v[20:21], off
	v_add_co_u32_e32 v14, vcc, s4, v14
	v_addc_co_u32_e32 v15, vcc, v9, v15, vcc
	global_load_dwordx4 v[48:51], v[14:15], off
	v_accvgpr_write_b32 a47, v15
	v_ashrrev_i32_e32 v31, 31, v30
	v_accvgpr_write_b32 a46, v14
	v_lshlrev_b64 v[14:15], 4, v[30:31]
	v_add_co_u32_e32 v28, vcc, s4, v14
	v_addc_co_u32_e32 v29, vcc, v9, v15, vcc
	v_ashrrev_i32_e32 v37, 31, v36
	v_accvgpr_write_b32 a49, v29
	v_lshlrev_b64 v[14:15], 4, v[36:37]
	v_accvgpr_write_b32 a48, v28
	global_load_dwordx4 v[28:31], v[28:29], off
	v_add_co_u32_e32 v14, vcc, s4, v14
	v_addc_co_u32_e32 v15, vcc, v9, v15, vcc
	v_accvgpr_write_b32 a51, v15
	v_ashrrev_i32_e32 v39, 31, v38
	v_accvgpr_write_b32 a50, v14
	global_load_dwordx4 v[60:63], v[14:15], off
	v_lshlrev_b64 v[14:15], 4, v[38:39]
	v_add_co_u32_e32 v36, vcc, s4, v14
	v_addc_co_u32_e32 v37, vcc, v9, v15, vcc
	v_ashrrev_i32_e32 v45, 31, v44
	v_accvgpr_write_b32 a53, v37
	v_lshlrev_b64 v[14:15], 4, v[44:45]
	v_accvgpr_write_b32 a52, v36
	global_load_dwordx4 v[36:39], v[36:37], off
	v_add_co_u32_e32 v14, vcc, s4, v14
	v_addc_co_u32_e32 v15, vcc, v9, v15, vcc
	v_accvgpr_write_b32 a55, v15
	v_ashrrev_i32_e32 v47, 31, v46
	v_accvgpr_write_b32 a54, v14
	global_load_dwordx4 v[64:67], v[14:15], off
	;; [unrolled: 14-line block ×3, first 2 shown]
	v_lshlrev_b64 v[14:15], 4, v[54:55]
	v_add_co_u32_e32 v52, vcc, s4, v14
	v_addc_co_u32_e32 v53, vcc, v9, v15, vcc
	v_accvgpr_write_b32 a61, v53
	v_ashrrev_i32_e32 v59, 31, v58
	v_accvgpr_write_b32 a60, v52
	global_load_dwordx4 v[52:55], v[52:53], off
	v_lshlrev_b64 v[14:15], 4, v[58:59]
	v_add_co_u32_e32 v14, vcc, s4, v14
	v_addc_co_u32_e32 v15, vcc, v9, v15, vcc
	v_accvgpr_write_b32 a63, v15
	global_load_dwordx4 v[56:59], v[14:15], off
	v_ashrrev_i32_e32 v109, 31, v108
	v_accvgpr_write_b32 a62, v14
	v_lshlrev_b64 v[14:15], 4, v[108:109]
	v_add_co_u32_e32 v72, vcc, s4, v14
	v_addc_co_u32_e32 v73, vcc, v9, v15, vcc
	v_accvgpr_write_b32 a64, v72
	v_ashrrev_i32_e32 v111, 31, v110
	v_accvgpr_write_b32 a65, v73
	global_load_dwordx4 v[72:75], v[72:73], off
	v_lshlrev_b64 v[14:15], 4, v[110:111]
	v_add_co_u32_e32 v14, vcc, s4, v14
	v_addc_co_u32_e32 v15, vcc, v9, v15, vcc
	v_accvgpr_write_b32 a67, v15
	global_load_dwordx4 v[76:79], v[14:15], off
	v_ashrrev_i32_e32 v113, 31, v112
	v_accvgpr_write_b32 a66, v14
	v_lshlrev_b64 v[14:15], 4, v[112:113]
	v_add_co_u32_e32 v80, vcc, s4, v14
	v_addc_co_u32_e32 v81, vcc, v9, v15, vcc
	v_ashrrev_i32_e32 v115, 31, v114
	v_accvgpr_write_b32 a68, v80
	v_lshlrev_b64 v[14:15], 4, v[114:115]
	v_accvgpr_write_b32 a69, v81
	global_load_dwordx4 v[80:83], v[80:81], off
	v_add_co_u32_e32 v14, vcc, s4, v14
	v_addc_co_u32_e32 v15, vcc, v9, v15, vcc
	v_accvgpr_write_b32 a71, v15
	v_ashrrev_i32_e32 v19, 31, v18
	v_accvgpr_write_b32 a70, v14
	global_load_dwordx4 v[84:87], v[14:15], off
	v_lshlrev_b64 v[14:15], 4, v[18:19]
	v_add_co_u32_e32 v14, vcc, s4, v14
	v_addc_co_u32_e32 v15, vcc, v9, v15, vcc
	v_ashrrev_i32_e32 v17, 31, v16
	v_accvgpr_write_b32 a73, v15
	v_lshlrev_b64 v[18:19], 4, v[16:17]
	v_accvgpr_write_b32 a72, v14
	global_load_dwordx4 v[14:17], v[14:15], off
	v_add_co_u32_e32 v18, vcc, s4, v18
	v_addc_co_u32_e32 v19, vcc, v9, v19, vcc
	global_load_dwordx4 v[88:91], v[18:19], off
	s_nop 0
	buffer_store_dword v8, off, s[0:3], 0 offset:280
	buffer_store_dword v7, off, s[0:3], 0 offset:276
	buffer_store_dword v6, off, s[0:3], 0 offset:272
	s_waitcnt vmcnt(22)
	buffer_store_dword v13, off, s[0:3], 0 offset:300
	buffer_store_dword v12, off, s[0:3], 0 offset:296
	buffer_store_dword v11, off, s[0:3], 0 offset:292
	buffer_store_dword v10, off, s[0:3], 0 offset:288
	s_waitcnt vmcnt(24)
	buffer_store_dword v27, off, s[0:3], 0 offset:316
	;; [unrolled: 5-line block ×3, first 2 shown]
	buffer_store_dword v34, off, s[0:3], 0 offset:328
	buffer_store_dword v33, off, s[0:3], 0 offset:324
	;; [unrolled: 1-line block ×7, first 2 shown]
	s_waitcnt vmcnt(34)
	buffer_store_dword v23, off, s[0:3], 0 offset:364
	buffer_store_dword v22, off, s[0:3], 0 offset:360
	buffer_store_dword v21, off, s[0:3], 0 offset:356
	buffer_store_dword v20, off, s[0:3], 0 offset:352
	s_waitcnt vmcnt(37)
	buffer_store_dword v51, off, s[0:3], 0 offset:380
	buffer_store_dword v50, off, s[0:3], 0 offset:376
	buffer_store_dword v49, off, s[0:3], 0 offset:372
	buffer_store_dword v48, off, s[0:3], 0 offset:368
	s_waitcnt vmcnt(40)
	buffer_store_dword v31, off, s[0:3], 0 offset:396
	buffer_store_dword v30, off, s[0:3], 0 offset:392
	buffer_store_dword v29, off, s[0:3], 0 offset:388
	buffer_store_dword v28, off, s[0:3], 0 offset:384
	s_waitcnt vmcnt(43)
	buffer_store_dword v63, off, s[0:3], 0 offset:412
	buffer_store_dword v62, off, s[0:3], 0 offset:408
	buffer_store_dword v61, off, s[0:3], 0 offset:404
	buffer_store_dword v60, off, s[0:3], 0 offset:400
	s_waitcnt vmcnt(46)
	buffer_store_dword v39, off, s[0:3], 0 offset:428
	buffer_store_dword v38, off, s[0:3], 0 offset:424
	buffer_store_dword v37, off, s[0:3], 0 offset:420
	buffer_store_dword v36, off, s[0:3], 0 offset:416
	s_waitcnt vmcnt(49)
	buffer_store_dword v67, off, s[0:3], 0 offset:444
	buffer_store_dword v66, off, s[0:3], 0 offset:440
	buffer_store_dword v65, off, s[0:3], 0 offset:436
	buffer_store_dword v64, off, s[0:3], 0 offset:432
	s_waitcnt vmcnt(52)
	buffer_store_dword v47, off, s[0:3], 0 offset:460
	buffer_store_dword v46, off, s[0:3], 0 offset:456
	buffer_store_dword v45, off, s[0:3], 0 offset:452
	buffer_store_dword v44, off, s[0:3], 0 offset:448
	s_waitcnt vmcnt(55)
	buffer_store_dword v71, off, s[0:3], 0 offset:476
	buffer_store_dword v70, off, s[0:3], 0 offset:472
	buffer_store_dword v69, off, s[0:3], 0 offset:468
	buffer_store_dword v68, off, s[0:3], 0 offset:464
	s_waitcnt vmcnt(58)
	buffer_store_dword v55, off, s[0:3], 0 offset:492
	buffer_store_dword v54, off, s[0:3], 0 offset:488
	buffer_store_dword v53, off, s[0:3], 0 offset:484
	buffer_store_dword v52, off, s[0:3], 0 offset:480
	s_waitcnt vmcnt(61)
	buffer_store_dword v59, off, s[0:3], 0 offset:508
	buffer_store_dword v58, off, s[0:3], 0 offset:504
	buffer_store_dword v57, off, s[0:3], 0 offset:500
	buffer_store_dword v56, off, s[0:3], 0 offset:496
	s_waitcnt vmcnt(62)
	buffer_store_dword v75, off, s[0:3], 0 offset:524
	buffer_store_dword v74, off, s[0:3], 0 offset:520
	buffer_store_dword v73, off, s[0:3], 0 offset:516
	buffer_store_dword v72, off, s[0:3], 0 offset:512
	buffer_store_dword v79, off, s[0:3], 0 offset:540
	buffer_store_dword v78, off, s[0:3], 0 offset:536
	;; [unrolled: 1-line block ×8, first 2 shown]
	s_waitcnt vmcnt(62)
	buffer_store_dword v87, off, s[0:3], 0 offset:572
	buffer_store_dword v86, off, s[0:3], 0 offset:568
	buffer_store_dword v85, off, s[0:3], 0 offset:564
	buffer_store_dword v84, off, s[0:3], 0 offset:560
	buffer_store_dword v17, off, s[0:3], 0 offset:588
	buffer_store_dword v16, off, s[0:3], 0 offset:584
	buffer_store_dword v15, off, s[0:3], 0 offset:580
	buffer_store_dword v14, off, s[0:3], 0 offset:576
	buffer_store_dword v91, off, s[0:3], 0 offset:604
	buffer_store_dword v90, off, s[0:3], 0 offset:600
	buffer_store_dword v89, off, s[0:3], 0 offset:596
	buffer_store_dword v88, off, s[0:3], 0 offset:592
	buffer_store_dword v5, off, s[0:3], 0 offset:620
	buffer_store_dword v4, off, s[0:3], 0 offset:616
	buffer_store_dword v3, off, s[0:3], 0 offset:612
	buffer_store_dword v2, off, s[0:3], 0 offset:608
	v_mov_b32_e32 v2, 16
	v_add_u32_e32 v3, 16, v2
	v_accvgpr_write_b32 a110, v3
	v_add_u32_e32 v3, 32, v2
	v_accvgpr_write_b32 a111, v3
	;; [unrolled: 2-line block ×35, first 2 shown]
	v_accvgpr_write_b32 a77, v3
	v_add_u32_e32 v3, 0x240, v2
	v_accvgpr_write_b32 a74, v18
	v_accvgpr_write_b32 a76, v3
	v_add_u32_e32 v121, 0x250, v2
	s_bitcmp0_b32 s22, 0
	s_mov_b64 s[6:7], -1
	s_cbranch_scc1 .LBB37_164
; %bb.4:
	v_cmp_eq_u32_e64 s[4:5], 0, v0
	s_and_saveexec_b64 s[6:7], s[4:5]
	s_cbranch_execz .LBB37_6
; %bb.5:
	v_mov_b32_e32 v2, 0
	ds_write_b32 v2, v2 offset:1216
.LBB37_6:
	s_or_b64 exec, exec, s[6:7]
	v_mov_b32_e32 v2, 16
	v_lshl_add_u32 v12, v0, 4, v2
	s_waitcnt lgkmcnt(0)
	; wave barrier
	s_waitcnt lgkmcnt(0)
	buffer_load_dword v2, v12, s[0:3], 0 offen
	buffer_load_dword v3, v12, s[0:3], 0 offen offset:4
	buffer_load_dword v4, v12, s[0:3], 0 offen offset:8
	;; [unrolled: 1-line block ×3, first 2 shown]
	s_waitcnt vmcnt(2)
	v_cmp_eq_f64_e32 vcc, 0, v[2:3]
	s_waitcnt vmcnt(0)
	v_cmp_eq_f64_e64 s[6:7], 0, v[4:5]
	s_and_b64 s[6:7], vcc, s[6:7]
	s_and_saveexec_b64 s[12:13], s[6:7]
	s_cbranch_execz .LBB37_10
; %bb.7:
	v_mov_b32_e32 v2, 0
	ds_read_b32 v4, v2 offset:1216
	v_add_u32_e32 v3, 1, v0
	s_waitcnt lgkmcnt(0)
	v_readfirstlane_b32 s6, v4
	s_cmp_eq_u32 s6, 0
	s_cselect_b64 s[16:17], -1, 0
	v_cmp_gt_i32_e32 vcc, s6, v3
	s_or_b64 s[16:17], s[16:17], vcc
	s_and_b64 exec, exec, s[16:17]
	s_cbranch_execz .LBB37_10
; %bb.8:
	s_mov_b64 s[16:17], 0
	v_mov_b32_e32 v4, s6
.LBB37_9:                               ; =>This Inner Loop Header: Depth=1
	ds_cmpst_rtn_b32 v4, v2, v4, v3 offset:1216
	s_waitcnt lgkmcnt(0)
	v_cmp_ne_u32_e32 vcc, 0, v4
	v_cmp_le_i32_e64 s[6:7], v4, v3
	s_and_b64 s[6:7], vcc, s[6:7]
	s_and_b64 s[6:7], exec, s[6:7]
	s_or_b64 s[16:17], s[6:7], s[16:17]
	s_andn2_b64 exec, exec, s[16:17]
	s_cbranch_execnz .LBB37_9
.LBB37_10:
	s_or_b64 exec, exec, s[12:13]
	v_mov_b32_e32 v3, 0
	s_waitcnt lgkmcnt(0)
	; wave barrier
	ds_read_b32 v2, v3 offset:1216
	s_and_saveexec_b64 s[6:7], s[4:5]
	s_cbranch_execz .LBB37_12
; %bb.11:
	s_lshl_b64 s[12:13], s[8:9], 2
	s_add_u32 s12, s14, s12
	s_addc_u32 s13, s15, s13
	s_waitcnt lgkmcnt(0)
	global_store_dword v3, v2, s[12:13]
.LBB37_12:
	s_or_b64 exec, exec, s[6:7]
	s_waitcnt lgkmcnt(0)
	v_cmp_ne_u32_e32 vcc, 0, v2
	s_mov_b64 s[6:7], 0
	s_cbranch_vccnz .LBB37_164
; %bb.13:
	buffer_load_dword v7, v12, s[0:3], 0 offen offset:4
	buffer_load_dword v6, v12, s[0:3], 0 offen
	buffer_load_dword v9, v12, s[0:3], 0 offen offset:12
	buffer_load_dword v8, v12, s[0:3], 0 offen offset:8
                                        ; implicit-def: $vgpr10_vgpr11
	s_waitcnt vmcnt(3)
	v_xor_b32_e32 v3, 0x80000000, v7
	s_waitcnt vmcnt(2)
	v_cmp_gt_f64_e32 vcc, 0, v[6:7]
	s_waitcnt vmcnt(1)
	v_xor_b32_e32 v4, 0x80000000, v9
	v_cndmask_b32_e32 v3, v7, v3, vcc
	s_waitcnt vmcnt(0)
	v_cmp_gt_f64_e32 vcc, 0, v[8:9]
	v_mov_b32_e32 v2, v6
	v_cndmask_b32_e32 v5, v9, v4, vcc
	v_mov_b32_e32 v4, v8
	v_cmp_ngt_f64_e32 vcc, v[2:3], v[4:5]
                                        ; implicit-def: $vgpr4_vgpr5
	s_and_saveexec_b64 s[6:7], vcc
	s_xor_b64 s[6:7], exec, s[6:7]
	s_cbranch_execz .LBB37_15
; %bb.14:
	v_div_scale_f64 v[2:3], s[12:13], v[8:9], v[8:9], v[6:7]
	v_rcp_f64_e32 v[4:5], v[2:3]
	v_div_scale_f64 v[10:11], vcc, v[6:7], v[8:9], v[6:7]
	v_fma_f64 v[14:15], -v[2:3], v[4:5], 1.0
	v_fmac_f64_e32 v[4:5], v[4:5], v[14:15]
	v_fma_f64 v[14:15], -v[2:3], v[4:5], 1.0
	v_fmac_f64_e32 v[4:5], v[4:5], v[14:15]
	v_mul_f64 v[14:15], v[10:11], v[4:5]
	v_fma_f64 v[2:3], -v[2:3], v[14:15], v[10:11]
	v_div_fmas_f64 v[2:3], v[2:3], v[4:5], v[14:15]
	v_div_fixup_f64 v[2:3], v[2:3], v[8:9], v[6:7]
	v_fmac_f64_e32 v[8:9], v[6:7], v[2:3]
	v_div_scale_f64 v[4:5], s[12:13], v[8:9], v[8:9], 1.0
	v_rcp_f64_e32 v[6:7], v[4:5]
	v_fma_f64 v[10:11], -v[4:5], v[6:7], 1.0
	v_fmac_f64_e32 v[6:7], v[6:7], v[10:11]
	v_fma_f64 v[10:11], -v[4:5], v[6:7], 1.0
	v_fmac_f64_e32 v[6:7], v[6:7], v[10:11]
	v_div_scale_f64 v[10:11], vcc, 1.0, v[8:9], 1.0
	v_mul_f64 v[14:15], v[10:11], v[6:7]
	v_fma_f64 v[4:5], -v[4:5], v[14:15], v[10:11]
	s_nop 1
	v_div_fmas_f64 v[4:5], v[4:5], v[6:7], v[14:15]
	v_div_fixup_f64 v[4:5], v[4:5], v[8:9], 1.0
	v_mul_f64 v[10:11], v[2:3], v[4:5]
	v_xor_b32_e32 v5, 0x80000000, v5
	v_xor_b32_e32 v3, 0x80000000, v11
	v_mov_b32_e32 v2, v10
                                        ; implicit-def: $vgpr6_vgpr7
                                        ; implicit-def: $vgpr8_vgpr9
.LBB37_15:
	s_andn2_saveexec_b64 s[6:7], s[6:7]
	s_cbranch_execz .LBB37_17
; %bb.16:
	v_div_scale_f64 v[2:3], s[12:13], v[6:7], v[6:7], v[8:9]
	v_rcp_f64_e32 v[4:5], v[2:3]
	v_div_scale_f64 v[10:11], vcc, v[8:9], v[6:7], v[8:9]
	v_fma_f64 v[14:15], -v[2:3], v[4:5], 1.0
	v_fmac_f64_e32 v[4:5], v[4:5], v[14:15]
	v_fma_f64 v[14:15], -v[2:3], v[4:5], 1.0
	v_fmac_f64_e32 v[4:5], v[4:5], v[14:15]
	v_mul_f64 v[14:15], v[10:11], v[4:5]
	v_fma_f64 v[2:3], -v[2:3], v[14:15], v[10:11]
	v_div_fmas_f64 v[2:3], v[2:3], v[4:5], v[14:15]
	v_div_fixup_f64 v[4:5], v[2:3], v[6:7], v[8:9]
	v_fmac_f64_e32 v[6:7], v[8:9], v[4:5]
	v_div_scale_f64 v[2:3], s[12:13], v[6:7], v[6:7], 1.0
	v_rcp_f64_e32 v[8:9], v[2:3]
	v_fma_f64 v[10:11], -v[2:3], v[8:9], 1.0
	v_fmac_f64_e32 v[8:9], v[8:9], v[10:11]
	v_fma_f64 v[10:11], -v[2:3], v[8:9], 1.0
	v_fmac_f64_e32 v[8:9], v[8:9], v[10:11]
	v_div_scale_f64 v[10:11], vcc, 1.0, v[6:7], 1.0
	v_mul_f64 v[14:15], v[10:11], v[8:9]
	v_fma_f64 v[2:3], -v[2:3], v[14:15], v[10:11]
	s_nop 1
	v_div_fmas_f64 v[2:3], v[2:3], v[8:9], v[14:15]
	v_div_fixup_f64 v[10:11], v[2:3], v[6:7], 1.0
	v_xor_b32_e32 v3, 0x80000000, v11
	v_mov_b32_e32 v2, v10
	v_mul_f64 v[4:5], v[4:5], -v[10:11]
.LBB37_17:
	s_or_b64 exec, exec, s[6:7]
	buffer_store_dword v11, v12, s[0:3], 0 offen offset:4
	buffer_store_dword v10, v12, s[0:3], 0 offen
	buffer_store_dword v5, v12, s[0:3], 0 offen offset:12
	buffer_store_dword v4, v12, s[0:3], 0 offen offset:8
	v_accvgpr_read_b32 v6, a110
	buffer_load_dword v11, v6, s[0:3], 0 offen offset:12
	buffer_load_dword v10, v6, s[0:3], 0 offen offset:8
	;; [unrolled: 1-line block ×3, first 2 shown]
	buffer_load_dword v8, v6, s[0:3], 0 offen
	v_xor_b32_e32 v5, 0x80000000, v5
	v_add_u32_e32 v6, 0x260, v1
	ds_write_b128 v1, v[2:5]
	s_waitcnt vmcnt(0)
	ds_write_b128 v1, v[8:11] offset:608
	s_waitcnt lgkmcnt(0)
	; wave barrier
	s_waitcnt lgkmcnt(0)
	s_and_saveexec_b64 s[6:7], s[4:5]
	s_cbranch_execz .LBB37_19
; %bb.18:
	buffer_load_dword v14, v12, s[0:3], 0 offen offset:8
	buffer_load_dword v15, v12, s[0:3], 0 offen offset:12
	buffer_load_dword v16, v12, s[0:3], 0 offen
	buffer_load_dword v17, v12, s[0:3], 0 offen offset:4
	ds_read_b128 v[2:5], v6
	v_mov_b32_e32 v7, 0
	ds_read_b128 v[8:11], v7 offset:16
	s_waitcnt vmcnt(2) lgkmcnt(1)
	v_mul_f64 v[18:19], v[4:5], v[14:15]
	v_mul_f64 v[14:15], v[2:3], v[14:15]
	s_waitcnt vmcnt(0)
	v_fmac_f64_e32 v[14:15], v[4:5], v[16:17]
	v_fma_f64 v[2:3], v[2:3], v[16:17], -v[18:19]
	v_add_f64 v[4:5], v[14:15], 0
	v_add_f64 v[2:3], v[2:3], 0
	s_waitcnt lgkmcnt(0)
	v_mul_f64 v[14:15], v[4:5], v[10:11]
	v_mul_f64 v[10:11], v[2:3], v[10:11]
	v_fma_f64 v[2:3], v[2:3], v[8:9], -v[14:15]
	v_fmac_f64_e32 v[10:11], v[4:5], v[8:9]
	buffer_store_dword v2, off, s[0:3], 0 offset:32
	buffer_store_dword v3, off, s[0:3], 0 offset:36
	;; [unrolled: 1-line block ×4, first 2 shown]
.LBB37_19:
	s_or_b64 exec, exec, s[6:7]
	v_accvgpr_read_b32 v5, a111
	s_waitcnt lgkmcnt(0)
	; wave barrier
	buffer_load_dword v2, v5, s[0:3], 0 offen
	buffer_load_dword v3, v5, s[0:3], 0 offen offset:4
	buffer_load_dword v4, v5, s[0:3], 0 offen offset:8
	s_nop 0
	buffer_load_dword v5, v5, s[0:3], 0 offen offset:12
	v_cmp_gt_u32_e32 vcc, 2, v0
	s_waitcnt vmcnt(0)
	ds_write_b128 v6, v[2:5]
	s_waitcnt lgkmcnt(0)
	; wave barrier
	s_waitcnt lgkmcnt(0)
	s_and_saveexec_b64 s[6:7], vcc
	s_cbranch_execz .LBB37_23
; %bb.20:
	buffer_load_dword v8, v12, s[0:3], 0 offen offset:8
	buffer_load_dword v9, v12, s[0:3], 0 offen offset:12
	buffer_load_dword v10, v12, s[0:3], 0 offen
	buffer_load_dword v11, v12, s[0:3], 0 offen offset:4
	ds_read_b128 v[2:5], v6
	s_waitcnt vmcnt(2) lgkmcnt(0)
	v_mul_f64 v[12:13], v[4:5], v[8:9]
	v_mul_f64 v[8:9], v[2:3], v[8:9]
	s_waitcnt vmcnt(0)
	v_fma_f64 v[2:3], v[2:3], v[10:11], -v[12:13]
	v_fmac_f64_e32 v[8:9], v[4:5], v[10:11]
	v_add_f64 v[4:5], v[2:3], 0
	v_add_f64 v[2:3], v[8:9], 0
	s_and_saveexec_b64 s[12:13], s[4:5]
	s_cbranch_execz .LBB37_22
; %bb.21:
	buffer_load_dword v12, off, s[0:3], 0 offset:40
	buffer_load_dword v13, off, s[0:3], 0 offset:44
	;; [unrolled: 1-line block ×4, first 2 shown]
	v_mov_b32_e32 v7, 0
	ds_read_b128 v[8:11], v7 offset:624
	s_waitcnt vmcnt(2) lgkmcnt(0)
	v_mul_f64 v[16:17], v[8:9], v[12:13]
	v_mul_f64 v[12:13], v[10:11], v[12:13]
	s_waitcnt vmcnt(0)
	v_fmac_f64_e32 v[16:17], v[10:11], v[14:15]
	v_fma_f64 v[8:9], v[8:9], v[14:15], -v[12:13]
	v_add_f64 v[2:3], v[2:3], v[16:17]
	v_add_f64 v[4:5], v[4:5], v[8:9]
.LBB37_22:
	s_or_b64 exec, exec, s[12:13]
	v_mov_b32_e32 v7, 0
	ds_read_b128 v[8:11], v7 offset:32
	s_waitcnt lgkmcnt(0)
	v_mul_f64 v[12:13], v[2:3], v[10:11]
	v_mul_f64 v[10:11], v[4:5], v[10:11]
	v_fma_f64 v[4:5], v[4:5], v[8:9], -v[12:13]
	v_fmac_f64_e32 v[10:11], v[2:3], v[8:9]
	buffer_store_dword v5, off, s[0:3], 0 offset:52
	buffer_store_dword v4, off, s[0:3], 0 offset:48
	;; [unrolled: 1-line block ×4, first 2 shown]
.LBB37_23:
	s_or_b64 exec, exec, s[6:7]
	v_accvgpr_read_b32 v5, a109
	s_waitcnt lgkmcnt(0)
	; wave barrier
	buffer_load_dword v2, v5, s[0:3], 0 offen
	buffer_load_dword v3, v5, s[0:3], 0 offen offset:4
	buffer_load_dword v4, v5, s[0:3], 0 offen offset:8
	s_nop 0
	buffer_load_dword v5, v5, s[0:3], 0 offen offset:12
	v_cmp_gt_u32_e32 vcc, 3, v0
	v_add_u32_e32 v7, -1, v0
	s_waitcnt vmcnt(0)
	ds_write_b128 v6, v[2:5]
	s_waitcnt lgkmcnt(0)
	; wave barrier
	s_waitcnt lgkmcnt(0)
	s_and_saveexec_b64 s[4:5], vcc
	s_cbranch_execz .LBB37_27
; %bb.24:
	v_pk_mov_b32 v[2:3], 0, 0
	v_add_u32_e32 v8, -1, v0
	v_add_u32_e32 v9, 0x260, v1
	v_add_u32_e32 v10, 16, v1
	s_mov_b64 s[6:7], 0
	v_pk_mov_b32 v[4:5], v[2:3], v[2:3] op_sel:[0,1]
.LBB37_25:                              ; =>This Inner Loop Header: Depth=1
	buffer_load_dword v16, v10, s[0:3], 0 offen offset:8
	buffer_load_dword v17, v10, s[0:3], 0 offen offset:12
	buffer_load_dword v18, v10, s[0:3], 0 offen
	buffer_load_dword v19, v10, s[0:3], 0 offen offset:4
	ds_read_b128 v[12:15], v9
	v_add_u32_e32 v8, 1, v8
	v_cmp_lt_u32_e32 vcc, 1, v8
	v_add_u32_e32 v9, 16, v9
	v_add_u32_e32 v10, 16, v10
	s_or_b64 s[6:7], vcc, s[6:7]
	s_waitcnt vmcnt(2) lgkmcnt(0)
	v_mul_f64 v[20:21], v[14:15], v[16:17]
	v_mul_f64 v[16:17], v[12:13], v[16:17]
	s_waitcnt vmcnt(0)
	v_fma_f64 v[12:13], v[12:13], v[18:19], -v[20:21]
	v_fmac_f64_e32 v[16:17], v[14:15], v[18:19]
	v_add_f64 v[4:5], v[4:5], v[12:13]
	v_add_f64 v[2:3], v[2:3], v[16:17]
	s_andn2_b64 exec, exec, s[6:7]
	s_cbranch_execnz .LBB37_25
; %bb.26:
	s_or_b64 exec, exec, s[6:7]
	v_mov_b32_e32 v8, 0
	ds_read_b128 v[8:11], v8 offset:48
	s_waitcnt lgkmcnt(0)
	v_mul_f64 v[12:13], v[2:3], v[10:11]
	v_mul_f64 v[10:11], v[4:5], v[10:11]
	v_fma_f64 v[4:5], v[4:5], v[8:9], -v[12:13]
	v_fmac_f64_e32 v[10:11], v[2:3], v[8:9]
	buffer_store_dword v5, off, s[0:3], 0 offset:68
	buffer_store_dword v4, off, s[0:3], 0 offset:64
	buffer_store_dword v11, off, s[0:3], 0 offset:76
	buffer_store_dword v10, off, s[0:3], 0 offset:72
.LBB37_27:
	s_or_b64 exec, exec, s[4:5]
	v_accvgpr_read_b32 v5, a108
	s_waitcnt lgkmcnt(0)
	; wave barrier
	buffer_load_dword v2, v5, s[0:3], 0 offen
	buffer_load_dword v3, v5, s[0:3], 0 offen offset:4
	buffer_load_dword v4, v5, s[0:3], 0 offen offset:8
	s_nop 0
	buffer_load_dword v5, v5, s[0:3], 0 offen offset:12
	v_cmp_gt_u32_e32 vcc, 4, v0
	s_waitcnt vmcnt(0)
	ds_write_b128 v6, v[2:5]
	s_waitcnt lgkmcnt(0)
	; wave barrier
	s_waitcnt lgkmcnt(0)
	s_and_saveexec_b64 s[4:5], vcc
	s_cbranch_execz .LBB37_31
; %bb.28:
	v_pk_mov_b32 v[2:3], 0, 0
	v_add_u32_e32 v8, -1, v0
	v_add_u32_e32 v9, 0x260, v1
	v_add_u32_e32 v10, 16, v1
	s_mov_b64 s[6:7], 0
	v_pk_mov_b32 v[4:5], v[2:3], v[2:3] op_sel:[0,1]
.LBB37_29:                              ; =>This Inner Loop Header: Depth=1
	buffer_load_dword v16, v10, s[0:3], 0 offen offset:8
	buffer_load_dword v17, v10, s[0:3], 0 offen offset:12
	buffer_load_dword v18, v10, s[0:3], 0 offen
	buffer_load_dword v19, v10, s[0:3], 0 offen offset:4
	ds_read_b128 v[12:15], v9
	v_add_u32_e32 v8, 1, v8
	v_cmp_lt_u32_e32 vcc, 2, v8
	v_add_u32_e32 v9, 16, v9
	v_add_u32_e32 v10, 16, v10
	s_or_b64 s[6:7], vcc, s[6:7]
	s_waitcnt vmcnt(2) lgkmcnt(0)
	v_mul_f64 v[20:21], v[14:15], v[16:17]
	v_mul_f64 v[16:17], v[12:13], v[16:17]
	s_waitcnt vmcnt(0)
	v_fma_f64 v[12:13], v[12:13], v[18:19], -v[20:21]
	v_fmac_f64_e32 v[16:17], v[14:15], v[18:19]
	v_add_f64 v[4:5], v[4:5], v[12:13]
	v_add_f64 v[2:3], v[2:3], v[16:17]
	s_andn2_b64 exec, exec, s[6:7]
	s_cbranch_execnz .LBB37_29
; %bb.30:
	s_or_b64 exec, exec, s[6:7]
	v_mov_b32_e32 v8, 0
	ds_read_b128 v[8:11], v8 offset:64
	s_waitcnt lgkmcnt(0)
	v_mul_f64 v[12:13], v[2:3], v[10:11]
	v_mul_f64 v[10:11], v[4:5], v[10:11]
	v_fma_f64 v[4:5], v[4:5], v[8:9], -v[12:13]
	v_fmac_f64_e32 v[10:11], v[2:3], v[8:9]
	buffer_store_dword v5, off, s[0:3], 0 offset:84
	buffer_store_dword v4, off, s[0:3], 0 offset:80
	buffer_store_dword v11, off, s[0:3], 0 offset:92
	buffer_store_dword v10, off, s[0:3], 0 offset:88
.LBB37_31:
	s_or_b64 exec, exec, s[4:5]
	v_accvgpr_read_b32 v5, a107
	s_waitcnt lgkmcnt(0)
	; wave barrier
	buffer_load_dword v2, v5, s[0:3], 0 offen
	buffer_load_dword v3, v5, s[0:3], 0 offen offset:4
	buffer_load_dword v4, v5, s[0:3], 0 offen offset:8
	s_nop 0
	buffer_load_dword v5, v5, s[0:3], 0 offen offset:12
	v_cmp_gt_u32_e32 vcc, 5, v0
	;; [unrolled: 59-line block ×19, first 2 shown]
	s_waitcnt vmcnt(0)
	ds_write_b128 v6, v[2:5]
	s_waitcnt lgkmcnt(0)
	; wave barrier
	s_waitcnt lgkmcnt(0)
	s_and_saveexec_b64 s[4:5], vcc
	s_cbranch_execz .LBB37_103
; %bb.100:
	v_pk_mov_b32 v[2:3], 0, 0
	v_add_u32_e32 v8, -1, v0
	v_add_u32_e32 v9, 0x260, v1
	v_add_u32_e32 v10, 16, v1
	s_mov_b64 s[6:7], 0
	v_pk_mov_b32 v[4:5], v[2:3], v[2:3] op_sel:[0,1]
.LBB37_101:                             ; =>This Inner Loop Header: Depth=1
	buffer_load_dword v16, v10, s[0:3], 0 offen offset:8
	buffer_load_dword v17, v10, s[0:3], 0 offen offset:12
	buffer_load_dword v18, v10, s[0:3], 0 offen
	buffer_load_dword v19, v10, s[0:3], 0 offen offset:4
	ds_read_b128 v[12:15], v9
	v_add_u32_e32 v8, 1, v8
	v_cmp_lt_u32_e32 vcc, 20, v8
	v_add_u32_e32 v9, 16, v9
	v_add_u32_e32 v10, 16, v10
	s_or_b64 s[6:7], vcc, s[6:7]
	s_waitcnt vmcnt(2) lgkmcnt(0)
	v_mul_f64 v[20:21], v[14:15], v[16:17]
	v_mul_f64 v[16:17], v[12:13], v[16:17]
	s_waitcnt vmcnt(0)
	v_fma_f64 v[12:13], v[12:13], v[18:19], -v[20:21]
	v_fmac_f64_e32 v[16:17], v[14:15], v[18:19]
	v_add_f64 v[4:5], v[4:5], v[12:13]
	v_add_f64 v[2:3], v[2:3], v[16:17]
	s_andn2_b64 exec, exec, s[6:7]
	s_cbranch_execnz .LBB37_101
; %bb.102:
	s_or_b64 exec, exec, s[6:7]
	v_mov_b32_e32 v8, 0
	ds_read_b128 v[8:11], v8 offset:352
	s_waitcnt lgkmcnt(0)
	v_mul_f64 v[12:13], v[2:3], v[10:11]
	v_mul_f64 v[10:11], v[4:5], v[10:11]
	v_fma_f64 v[4:5], v[4:5], v[8:9], -v[12:13]
	v_fmac_f64_e32 v[10:11], v[2:3], v[8:9]
	buffer_store_dword v5, off, s[0:3], 0 offset:372
	buffer_store_dword v4, off, s[0:3], 0 offset:368
	buffer_store_dword v11, off, s[0:3], 0 offset:380
	buffer_store_dword v10, off, s[0:3], 0 offset:376
.LBB37_103:
	s_or_b64 exec, exec, s[4:5]
	v_accvgpr_read_b32 v5, a89
	s_waitcnt lgkmcnt(0)
	; wave barrier
	buffer_load_dword v2, v5, s[0:3], 0 offen
	buffer_load_dword v3, v5, s[0:3], 0 offen offset:4
	buffer_load_dword v4, v5, s[0:3], 0 offen offset:8
	s_nop 0
	buffer_load_dword v5, v5, s[0:3], 0 offen offset:12
	v_cmp_gt_u32_e32 vcc, 23, v0
	s_waitcnt vmcnt(0)
	ds_write_b128 v6, v[2:5]
	s_waitcnt lgkmcnt(0)
	; wave barrier
	s_waitcnt lgkmcnt(0)
	s_and_saveexec_b64 s[4:5], vcc
	s_cbranch_execz .LBB37_107
; %bb.104:
	v_pk_mov_b32 v[2:3], 0, 0
	v_add_u32_e32 v8, -1, v0
	v_add_u32_e32 v9, 0x260, v1
	v_add_u32_e32 v10, 16, v1
	s_mov_b64 s[6:7], 0
	v_pk_mov_b32 v[4:5], v[2:3], v[2:3] op_sel:[0,1]
.LBB37_105:                             ; =>This Inner Loop Header: Depth=1
	buffer_load_dword v16, v10, s[0:3], 0 offen offset:8
	buffer_load_dword v17, v10, s[0:3], 0 offen offset:12
	buffer_load_dword v18, v10, s[0:3], 0 offen
	buffer_load_dword v19, v10, s[0:3], 0 offen offset:4
	ds_read_b128 v[12:15], v9
	v_add_u32_e32 v8, 1, v8
	v_cmp_lt_u32_e32 vcc, 21, v8
	v_add_u32_e32 v9, 16, v9
	v_add_u32_e32 v10, 16, v10
	s_or_b64 s[6:7], vcc, s[6:7]
	s_waitcnt vmcnt(2) lgkmcnt(0)
	v_mul_f64 v[20:21], v[14:15], v[16:17]
	v_mul_f64 v[16:17], v[12:13], v[16:17]
	s_waitcnt vmcnt(0)
	v_fma_f64 v[12:13], v[12:13], v[18:19], -v[20:21]
	v_fmac_f64_e32 v[16:17], v[14:15], v[18:19]
	v_add_f64 v[4:5], v[4:5], v[12:13]
	v_add_f64 v[2:3], v[2:3], v[16:17]
	s_andn2_b64 exec, exec, s[6:7]
	s_cbranch_execnz .LBB37_105
; %bb.106:
	s_or_b64 exec, exec, s[6:7]
	v_mov_b32_e32 v8, 0
	ds_read_b128 v[8:11], v8 offset:368
	s_waitcnt lgkmcnt(0)
	v_mul_f64 v[12:13], v[2:3], v[10:11]
	v_mul_f64 v[10:11], v[4:5], v[10:11]
	v_fma_f64 v[4:5], v[4:5], v[8:9], -v[12:13]
	v_fmac_f64_e32 v[10:11], v[2:3], v[8:9]
	buffer_store_dword v5, off, s[0:3], 0 offset:388
	buffer_store_dword v4, off, s[0:3], 0 offset:384
	buffer_store_dword v11, off, s[0:3], 0 offset:396
	buffer_store_dword v10, off, s[0:3], 0 offset:392
.LBB37_107:
	s_or_b64 exec, exec, s[4:5]
	v_accvgpr_read_b32 v5, a88
	s_waitcnt lgkmcnt(0)
	; wave barrier
	buffer_load_dword v2, v5, s[0:3], 0 offen
	buffer_load_dword v3, v5, s[0:3], 0 offen offset:4
	buffer_load_dword v4, v5, s[0:3], 0 offen offset:8
	s_nop 0
	buffer_load_dword v5, v5, s[0:3], 0 offen offset:12
	v_cmp_gt_u32_e32 vcc, 24, v0
	;; [unrolled: 59-line block ×14, first 2 shown]
	s_waitcnt vmcnt(0)
	ds_write_b128 v6, v[2:5]
	s_waitcnt lgkmcnt(0)
	; wave barrier
	s_waitcnt lgkmcnt(0)
	s_and_saveexec_b64 s[4:5], vcc
	s_cbranch_execz .LBB37_159
; %bb.156:
	v_pk_mov_b32 v[2:3], 0, 0
	v_add_u32_e32 v8, -1, v0
	v_add_u32_e32 v9, 0x260, v1
	v_add_u32_e32 v10, 16, v1
	s_mov_b64 s[6:7], 0
	v_pk_mov_b32 v[4:5], v[2:3], v[2:3] op_sel:[0,1]
.LBB37_157:                             ; =>This Inner Loop Header: Depth=1
	buffer_load_dword v16, v10, s[0:3], 0 offen offset:8
	buffer_load_dword v17, v10, s[0:3], 0 offen offset:12
	buffer_load_dword v18, v10, s[0:3], 0 offen
	buffer_load_dword v19, v10, s[0:3], 0 offen offset:4
	ds_read_b128 v[12:15], v9
	v_add_u32_e32 v8, 1, v8
	v_cmp_lt_u32_e32 vcc, 34, v8
	v_add_u32_e32 v9, 16, v9
	v_add_u32_e32 v10, 16, v10
	s_or_b64 s[6:7], vcc, s[6:7]
	s_waitcnt vmcnt(2) lgkmcnt(0)
	v_mul_f64 v[20:21], v[14:15], v[16:17]
	v_mul_f64 v[16:17], v[12:13], v[16:17]
	s_waitcnt vmcnt(0)
	v_fma_f64 v[12:13], v[12:13], v[18:19], -v[20:21]
	v_fmac_f64_e32 v[16:17], v[14:15], v[18:19]
	v_add_f64 v[4:5], v[4:5], v[12:13]
	v_add_f64 v[2:3], v[2:3], v[16:17]
	s_andn2_b64 exec, exec, s[6:7]
	s_cbranch_execnz .LBB37_157
; %bb.158:
	s_or_b64 exec, exec, s[6:7]
	v_mov_b32_e32 v8, 0
	ds_read_b128 v[8:11], v8 offset:576
	s_waitcnt lgkmcnt(0)
	v_mul_f64 v[12:13], v[2:3], v[10:11]
	v_mul_f64 v[10:11], v[4:5], v[10:11]
	v_fma_f64 v[4:5], v[4:5], v[8:9], -v[12:13]
	v_fmac_f64_e32 v[10:11], v[2:3], v[8:9]
	buffer_store_dword v5, off, s[0:3], 0 offset:596
	buffer_store_dword v4, off, s[0:3], 0 offset:592
	;; [unrolled: 1-line block ×4, first 2 shown]
.LBB37_159:
	s_or_b64 exec, exec, s[4:5]
	s_waitcnt lgkmcnt(0)
	; wave barrier
	buffer_load_dword v2, v121, s[0:3], 0 offen
	buffer_load_dword v3, v121, s[0:3], 0 offen offset:4
	buffer_load_dword v4, v121, s[0:3], 0 offen offset:8
	buffer_load_dword v5, v121, s[0:3], 0 offen offset:12
	v_cmp_ne_u32_e32 vcc, 37, v0
	s_waitcnt vmcnt(0)
	ds_write_b128 v6, v[2:5]
	s_waitcnt lgkmcnt(0)
	; wave barrier
	s_waitcnt lgkmcnt(0)
	s_and_saveexec_b64 s[4:5], vcc
	s_cbranch_execz .LBB37_163
; %bb.160:
	v_pk_mov_b32 v[2:3], 0, 0
	v_add_u32_e32 v6, 0x260, v1
	v_add_u32_e32 v1, 16, v1
	s_mov_b64 s[6:7], 0
	v_pk_mov_b32 v[4:5], v[2:3], v[2:3] op_sel:[0,1]
.LBB37_161:                             ; =>This Inner Loop Header: Depth=1
	buffer_load_dword v12, v1, s[0:3], 0 offen offset:8
	buffer_load_dword v13, v1, s[0:3], 0 offen offset:12
	buffer_load_dword v14, v1, s[0:3], 0 offen
	buffer_load_dword v15, v1, s[0:3], 0 offen offset:4
	ds_read_b128 v[8:11], v6
	v_add_u32_e32 v7, 1, v7
	v_cmp_lt_u32_e32 vcc, 35, v7
	v_add_u32_e32 v6, 16, v6
	v_add_u32_e32 v1, 16, v1
	s_or_b64 s[6:7], vcc, s[6:7]
	s_waitcnt vmcnt(2) lgkmcnt(0)
	v_mul_f64 v[16:17], v[10:11], v[12:13]
	v_mul_f64 v[12:13], v[8:9], v[12:13]
	s_waitcnt vmcnt(0)
	v_fma_f64 v[8:9], v[8:9], v[14:15], -v[16:17]
	v_fmac_f64_e32 v[12:13], v[10:11], v[14:15]
	v_add_f64 v[4:5], v[4:5], v[8:9]
	v_add_f64 v[2:3], v[2:3], v[12:13]
	s_andn2_b64 exec, exec, s[6:7]
	s_cbranch_execnz .LBB37_161
; %bb.162:
	s_or_b64 exec, exec, s[6:7]
	v_mov_b32_e32 v1, 0
	ds_read_b128 v[6:9], v1 offset:592
	s_waitcnt lgkmcnt(0)
	v_mul_f64 v[10:11], v[2:3], v[8:9]
	v_mul_f64 v[8:9], v[4:5], v[8:9]
	v_fma_f64 v[4:5], v[4:5], v[6:7], -v[10:11]
	v_fmac_f64_e32 v[8:9], v[2:3], v[6:7]
	buffer_store_dword v5, off, s[0:3], 0 offset:612
	buffer_store_dword v4, off, s[0:3], 0 offset:608
	;; [unrolled: 1-line block ×4, first 2 shown]
.LBB37_163:
	s_or_b64 exec, exec, s[4:5]
	s_mov_b64 s[6:7], -1
	s_waitcnt lgkmcnt(0)
	; wave barrier
.LBB37_164:
	s_and_b64 vcc, exec, s[6:7]
	s_cbranch_vccz .LBB37_166
; %bb.165:
	s_lshl_b64 s[4:5], s[8:9], 2
	s_add_u32 s4, s14, s4
	s_addc_u32 s5, s15, s5
	v_mov_b32_e32 v1, 0
	global_load_dword v1, v1, s[4:5]
	s_waitcnt vmcnt(0)
	v_cmp_ne_u32_e32 vcc, 0, v1
	s_cbranch_vccz .LBB37_167
.LBB37_166:
	s_endpgm
.LBB37_167:
	v_mov_b32_e32 v1, 0x260
	v_lshl_add_u32 v120, v0, 4, v1
	v_cmp_eq_u32_e32 vcc, 37, v0
	s_and_saveexec_b64 s[4:5], vcc
	s_cbranch_execz .LBB37_169
; %bb.168:
	v_accvgpr_read_b32 v1, a76
	buffer_load_dword v2, v1, s[0:3], 0 offen
	buffer_load_dword v3, v1, s[0:3], 0 offen offset:4
	buffer_load_dword v4, v1, s[0:3], 0 offen offset:8
	;; [unrolled: 1-line block ×3, first 2 shown]
	v_mov_b32_e32 v1, 0
	buffer_store_dword v1, off, s[0:3], 0 offset:592
	buffer_store_dword v1, off, s[0:3], 0 offset:596
	;; [unrolled: 1-line block ×4, first 2 shown]
	s_waitcnt vmcnt(4)
	ds_write_b128 v120, v[2:5]
.LBB37_169:
	s_or_b64 exec, exec, s[4:5]
	s_waitcnt lgkmcnt(0)
	; wave barrier
	s_waitcnt lgkmcnt(0)
	buffer_load_dword v6, off, s[0:3], 0 offset:616
	buffer_load_dword v7, off, s[0:3], 0 offset:620
	;; [unrolled: 1-line block ×8, first 2 shown]
	v_mov_b32_e32 v1, 0
	ds_read_b128 v[2:5], v1 offset:1200
	v_cmp_lt_u32_e32 vcc, 35, v0
	s_waitcnt vmcnt(6) lgkmcnt(0)
	v_mul_f64 v[14:15], v[2:3], v[6:7]
	v_mul_f64 v[6:7], v[4:5], v[6:7]
	s_waitcnt vmcnt(4)
	v_fma_f64 v[2:3], v[2:3], v[8:9], -v[6:7]
	v_fmac_f64_e32 v[14:15], v[4:5], v[8:9]
	v_add_f64 v[2:3], v[2:3], 0
	v_add_f64 v[4:5], v[14:15], 0
	s_waitcnt vmcnt(2)
	v_add_f64 v[2:3], v[10:11], -v[2:3]
	s_waitcnt vmcnt(0)
	v_add_f64 v[4:5], v[12:13], -v[4:5]
	buffer_store_dword v2, off, s[0:3], 0 offset:592
	buffer_store_dword v3, off, s[0:3], 0 offset:596
	;; [unrolled: 1-line block ×4, first 2 shown]
	s_and_saveexec_b64 s[4:5], vcc
	s_cbranch_execz .LBB37_171
; %bb.170:
	v_accvgpr_read_b32 v5, a77
	buffer_load_dword v2, v5, s[0:3], 0 offen
	buffer_load_dword v3, v5, s[0:3], 0 offen offset:4
	buffer_load_dword v4, v5, s[0:3], 0 offen offset:8
	s_nop 0
	buffer_load_dword v5, v5, s[0:3], 0 offen offset:12
	s_nop 0
	buffer_store_dword v1, off, s[0:3], 0 offset:576
	buffer_store_dword v1, off, s[0:3], 0 offset:580
	;; [unrolled: 1-line block ×4, first 2 shown]
	s_waitcnt vmcnt(4)
	ds_write_b128 v120, v[2:5]
.LBB37_171:
	s_or_b64 exec, exec, s[4:5]
	s_waitcnt lgkmcnt(0)
	; wave barrier
	s_waitcnt lgkmcnt(0)
	buffer_load_dword v10, off, s[0:3], 0 offset:600
	buffer_load_dword v11, off, s[0:3], 0 offset:604
	;; [unrolled: 1-line block ×12, first 2 shown]
	ds_read_b128 v[2:5], v1 offset:1184
	ds_read_b128 v[6:9], v1 offset:1200
	v_cmp_lt_u32_e32 vcc, 34, v0
	s_waitcnt vmcnt(10) lgkmcnt(1)
	v_mul_f64 v[22:23], v[2:3], v[10:11]
	v_mul_f64 v[10:11], v[4:5], v[10:11]
	s_waitcnt vmcnt(8) lgkmcnt(0)
	v_mul_f64 v[24:25], v[6:7], v[12:13]
	v_mul_f64 v[12:13], v[8:9], v[12:13]
	s_waitcnt vmcnt(6)
	v_fma_f64 v[2:3], v[2:3], v[14:15], -v[10:11]
	v_fmac_f64_e32 v[22:23], v[4:5], v[14:15]
	s_waitcnt vmcnt(4)
	v_fma_f64 v[4:5], v[6:7], v[16:17], -v[12:13]
	v_add_f64 v[2:3], v[2:3], 0
	v_fmac_f64_e32 v[24:25], v[8:9], v[16:17]
	v_add_f64 v[6:7], v[22:23], 0
	v_add_f64 v[2:3], v[2:3], v[4:5]
	;; [unrolled: 1-line block ×3, first 2 shown]
	s_waitcnt vmcnt(2)
	v_add_f64 v[2:3], v[18:19], -v[2:3]
	s_waitcnt vmcnt(0)
	v_add_f64 v[4:5], v[20:21], -v[6:7]
	buffer_store_dword v2, off, s[0:3], 0 offset:576
	buffer_store_dword v3, off, s[0:3], 0 offset:580
	;; [unrolled: 1-line block ×4, first 2 shown]
	s_and_saveexec_b64 s[4:5], vcc
	s_cbranch_execz .LBB37_173
; %bb.172:
	v_accvgpr_read_b32 v1, a78
	buffer_load_dword v2, v1, s[0:3], 0 offen
	buffer_load_dword v3, v1, s[0:3], 0 offen offset:4
	buffer_load_dword v4, v1, s[0:3], 0 offen offset:8
	;; [unrolled: 1-line block ×3, first 2 shown]
	v_mov_b32_e32 v1, 0
	buffer_store_dword v1, off, s[0:3], 0 offset:560
	buffer_store_dword v1, off, s[0:3], 0 offset:564
	buffer_store_dword v1, off, s[0:3], 0 offset:568
	buffer_store_dword v1, off, s[0:3], 0 offset:572
	s_waitcnt vmcnt(4)
	ds_write_b128 v120, v[2:5]
.LBB37_173:
	s_or_b64 exec, exec, s[4:5]
	s_waitcnt lgkmcnt(0)
	; wave barrier
	s_waitcnt lgkmcnt(0)
	buffer_load_dword v14, off, s[0:3], 0 offset:584
	buffer_load_dword v15, off, s[0:3], 0 offset:588
	;; [unrolled: 1-line block ×16, first 2 shown]
	v_mov_b32_e32 v1, 0
	ds_read_b128 v[2:5], v1 offset:1168
	ds_read_b128 v[6:9], v1 offset:1184
	;; [unrolled: 1-line block ×3, first 2 shown]
	v_cmp_lt_u32_e32 vcc, 33, v0
	s_waitcnt vmcnt(14) lgkmcnt(2)
	v_mul_f64 v[30:31], v[2:3], v[14:15]
	v_mul_f64 v[14:15], v[4:5], v[14:15]
	s_waitcnt vmcnt(12) lgkmcnt(1)
	v_mul_f64 v[32:33], v[6:7], v[16:17]
	v_mul_f64 v[16:17], v[8:9], v[16:17]
	;; [unrolled: 3-line block ×3, first 2 shown]
	s_waitcnt vmcnt(8)
	v_fma_f64 v[2:3], v[2:3], v[20:21], -v[14:15]
	v_fmac_f64_e32 v[30:31], v[4:5], v[20:21]
	s_waitcnt vmcnt(6)
	v_fma_f64 v[4:5], v[6:7], v[22:23], -v[16:17]
	v_add_f64 v[2:3], v[2:3], 0
	v_fmac_f64_e32 v[32:33], v[8:9], v[22:23]
	s_waitcnt vmcnt(4)
	v_fma_f64 v[6:7], v[10:11], v[24:25], -v[18:19]
	v_add_f64 v[8:9], v[30:31], 0
	v_add_f64 v[2:3], v[2:3], v[4:5]
	v_fmac_f64_e32 v[34:35], v[12:13], v[24:25]
	v_add_f64 v[8:9], v[8:9], v[32:33]
	v_add_f64 v[2:3], v[2:3], v[6:7]
	;; [unrolled: 1-line block ×3, first 2 shown]
	s_waitcnt vmcnt(2)
	v_add_f64 v[2:3], v[26:27], -v[2:3]
	s_waitcnt vmcnt(0)
	v_add_f64 v[4:5], v[28:29], -v[4:5]
	buffer_store_dword v2, off, s[0:3], 0 offset:560
	buffer_store_dword v3, off, s[0:3], 0 offset:564
	;; [unrolled: 1-line block ×4, first 2 shown]
	s_and_saveexec_b64 s[4:5], vcc
	s_cbranch_execz .LBB37_175
; %bb.174:
	v_accvgpr_read_b32 v5, a79
	buffer_load_dword v2, v5, s[0:3], 0 offen
	buffer_load_dword v3, v5, s[0:3], 0 offen offset:4
	buffer_load_dword v4, v5, s[0:3], 0 offen offset:8
	s_nop 0
	buffer_load_dword v5, v5, s[0:3], 0 offen offset:12
	s_nop 0
	buffer_store_dword v1, off, s[0:3], 0 offset:544
	buffer_store_dword v1, off, s[0:3], 0 offset:548
	;; [unrolled: 1-line block ×4, first 2 shown]
	s_waitcnt vmcnt(4)
	ds_write_b128 v120, v[2:5]
.LBB37_175:
	s_or_b64 exec, exec, s[4:5]
	s_waitcnt lgkmcnt(0)
	; wave barrier
	s_waitcnt lgkmcnt(0)
	buffer_load_dword v18, off, s[0:3], 0 offset:568
	buffer_load_dword v19, off, s[0:3], 0 offset:572
	;; [unrolled: 1-line block ×20, first 2 shown]
	ds_read_b128 v[2:5], v1 offset:1152
	ds_read_b128 v[6:9], v1 offset:1168
	;; [unrolled: 1-line block ×4, first 2 shown]
	v_cmp_lt_u32_e32 vcc, 32, v0
	s_waitcnt vmcnt(18) lgkmcnt(3)
	v_mul_f64 v[38:39], v[2:3], v[18:19]
	v_mul_f64 v[18:19], v[4:5], v[18:19]
	s_waitcnt vmcnt(16) lgkmcnt(2)
	v_mul_f64 v[40:41], v[6:7], v[20:21]
	v_mul_f64 v[20:21], v[8:9], v[20:21]
	;; [unrolled: 3-line block ×4, first 2 shown]
	s_waitcnt vmcnt(10)
	v_fma_f64 v[2:3], v[2:3], v[26:27], -v[18:19]
	v_fmac_f64_e32 v[38:39], v[4:5], v[26:27]
	s_waitcnt vmcnt(8)
	v_fma_f64 v[4:5], v[6:7], v[28:29], -v[20:21]
	v_add_f64 v[2:3], v[2:3], 0
	v_fmac_f64_e32 v[40:41], v[8:9], v[28:29]
	s_waitcnt vmcnt(6)
	v_fma_f64 v[6:7], v[10:11], v[30:31], -v[22:23]
	v_add_f64 v[10:11], v[38:39], 0
	v_add_f64 v[2:3], v[2:3], v[4:5]
	v_fmac_f64_e32 v[42:43], v[12:13], v[30:31]
	s_waitcnt vmcnt(4)
	v_fma_f64 v[8:9], v[14:15], v[32:33], -v[24:25]
	v_add_f64 v[10:11], v[10:11], v[40:41]
	v_add_f64 v[2:3], v[2:3], v[6:7]
	v_fmac_f64_e32 v[44:45], v[16:17], v[32:33]
	v_add_f64 v[4:5], v[10:11], v[42:43]
	v_add_f64 v[2:3], v[2:3], v[8:9]
	;; [unrolled: 1-line block ×3, first 2 shown]
	s_waitcnt vmcnt(2)
	v_add_f64 v[2:3], v[34:35], -v[2:3]
	s_waitcnt vmcnt(0)
	v_add_f64 v[4:5], v[36:37], -v[4:5]
	buffer_store_dword v2, off, s[0:3], 0 offset:544
	buffer_store_dword v3, off, s[0:3], 0 offset:548
	;; [unrolled: 1-line block ×4, first 2 shown]
	s_and_saveexec_b64 s[4:5], vcc
	s_cbranch_execz .LBB37_177
; %bb.176:
	v_accvgpr_read_b32 v1, a80
	buffer_load_dword v2, v1, s[0:3], 0 offen
	buffer_load_dword v3, v1, s[0:3], 0 offen offset:4
	buffer_load_dword v4, v1, s[0:3], 0 offen offset:8
	buffer_load_dword v5, v1, s[0:3], 0 offen offset:12
	v_mov_b32_e32 v1, 0
	buffer_store_dword v1, off, s[0:3], 0 offset:528
	buffer_store_dword v1, off, s[0:3], 0 offset:532
	;; [unrolled: 1-line block ×4, first 2 shown]
	s_waitcnt vmcnt(4)
	ds_write_b128 v120, v[2:5]
.LBB37_177:
	s_or_b64 exec, exec, s[4:5]
	v_mov_b32_e32 v1, 0
	s_waitcnt lgkmcnt(0)
	; wave barrier
	s_waitcnt lgkmcnt(0)
	ds_read_b128 v[2:5], v1 offset:1136
	ds_read_b128 v[6:9], v1 offset:1152
	;; [unrolled: 1-line block ×4, first 2 shown]
	buffer_load_dword v22, off, s[0:3], 0 offset:528
	buffer_load_dword v23, off, s[0:3], 0 offset:532
	;; [unrolled: 1-line block ×20, first 2 shown]
	v_cmp_lt_u32_e32 vcc, 31, v0
	s_waitcnt vmcnt(12) lgkmcnt(3)
	v_mul_f64 v[18:19], v[2:3], v[28:29]
	v_fmac_f64_e32 v[18:19], v[4:5], v[26:27]
	v_add_f64 v[18:19], v[18:19], 0
	v_mul_f64 v[4:5], v[4:5], v[28:29]
	s_waitcnt vmcnt(8) lgkmcnt(2)
	v_mul_f64 v[20:21], v[6:7], v[32:33]
	v_fmac_f64_e32 v[20:21], v[8:9], v[30:31]
	v_add_f64 v[18:19], v[18:19], v[20:21]
	v_fma_f64 v[2:3], v[2:3], v[26:27], -v[4:5]
	s_waitcnt vmcnt(4) lgkmcnt(1)
	v_mul_f64 v[20:21], v[10:11], v[36:37]
	v_fmac_f64_e32 v[20:21], v[12:13], v[34:35]
	v_add_f64 v[18:19], v[18:19], v[20:21]
	s_waitcnt vmcnt(0) lgkmcnt(0)
	v_mul_f64 v[20:21], v[14:15], v[40:41]
	v_fmac_f64_e32 v[20:21], v[16:17], v[38:39]
	v_add_f64 v[42:43], v[18:19], v[20:21]
	ds_read_b128 v[18:21], v1 offset:1200
	buffer_load_dword v45, off, s[0:3], 0 offset:612
	buffer_load_dword v44, off, s[0:3], 0 offset:608
	;; [unrolled: 1-line block ×4, first 2 shown]
	v_mul_f64 v[4:5], v[8:9], v[32:33]
	v_add_f64 v[2:3], v[2:3], 0
	v_fma_f64 v[4:5], v[6:7], v[30:31], -v[4:5]
	v_add_f64 v[2:3], v[2:3], v[4:5]
	v_mul_f64 v[4:5], v[12:13], v[36:37]
	v_fma_f64 v[4:5], v[10:11], v[34:35], -v[4:5]
	v_add_f64 v[2:3], v[2:3], v[4:5]
	v_mul_f64 v[4:5], v[16:17], v[40:41]
	v_fma_f64 v[4:5], v[14:15], v[38:39], -v[4:5]
	v_add_f64 v[2:3], v[2:3], v[4:5]
	s_waitcnt vmcnt(0) lgkmcnt(0)
	v_mul_f64 v[4:5], v[20:21], v[46:47]
	v_mul_f64 v[48:49], v[18:19], v[46:47]
	v_fma_f64 v[4:5], v[18:19], v[44:45], -v[4:5]
	v_fmac_f64_e32 v[48:49], v[20:21], v[44:45]
	v_add_f64 v[2:3], v[2:3], v[4:5]
	v_add_f64 v[42:43], v[42:43], v[48:49]
	v_add_f64 v[2:3], v[22:23], -v[2:3]
	v_add_f64 v[4:5], v[24:25], -v[42:43]
	buffer_store_dword v3, off, s[0:3], 0 offset:532
	buffer_store_dword v2, off, s[0:3], 0 offset:528
	;; [unrolled: 1-line block ×4, first 2 shown]
	s_and_saveexec_b64 s[4:5], vcc
	s_cbranch_execz .LBB37_179
; %bb.178:
	v_accvgpr_read_b32 v5, a81
	buffer_load_dword v2, v5, s[0:3], 0 offen
	buffer_load_dword v3, v5, s[0:3], 0 offen offset:4
	buffer_load_dword v4, v5, s[0:3], 0 offen offset:8
	s_nop 0
	buffer_load_dword v5, v5, s[0:3], 0 offen offset:12
	s_nop 0
	buffer_store_dword v1, off, s[0:3], 0 offset:512
	buffer_store_dword v1, off, s[0:3], 0 offset:516
	;; [unrolled: 1-line block ×4, first 2 shown]
	s_waitcnt vmcnt(4)
	ds_write_b128 v120, v[2:5]
.LBB37_179:
	s_or_b64 exec, exec, s[4:5]
	s_waitcnt lgkmcnt(0)
	; wave barrier
	s_waitcnt lgkmcnt(0)
	buffer_load_dword v26, off, s[0:3], 0 offset:536
	buffer_load_dword v27, off, s[0:3], 0 offset:540
	;; [unrolled: 1-line block ×28, first 2 shown]
	ds_read_b128 v[2:5], v1 offset:1120
	ds_read_b128 v[6:9], v1 offset:1136
	;; [unrolled: 1-line block ×6, first 2 shown]
	v_cmp_lt_u32_e32 vcc, 30, v0
	s_waitcnt vmcnt(26) lgkmcnt(5)
	v_mul_f64 v[54:55], v[2:3], v[26:27]
	v_mul_f64 v[26:27], v[4:5], v[26:27]
	s_waitcnt vmcnt(24) lgkmcnt(4)
	v_mul_f64 v[56:57], v[6:7], v[28:29]
	v_mul_f64 v[28:29], v[8:9], v[28:29]
	;; [unrolled: 3-line block ×4, first 2 shown]
	s_waitcnt vmcnt(17)
	v_mul_f64 v[60:61], v[14:15], v[36:37]
	v_mul_f64 v[36:37], v[16:17], v[36:37]
	s_waitcnt vmcnt(15) lgkmcnt(0)
	v_mul_f64 v[64:65], v[22:23], v[38:39]
	v_mul_f64 v[38:39], v[24:25], v[38:39]
	s_waitcnt vmcnt(14)
	v_fmac_f64_e32 v[62:63], v[20:21], v[34:35]
	s_waitcnt vmcnt(12)
	v_fma_f64 v[2:3], v[2:3], v[40:41], -v[26:27]
	v_fmac_f64_e32 v[54:55], v[4:5], v[40:41]
	s_waitcnt vmcnt(10)
	v_fma_f64 v[4:5], v[6:7], v[42:43], -v[28:29]
	v_add_f64 v[2:3], v[2:3], 0
	v_fmac_f64_e32 v[56:57], v[8:9], v[42:43]
	s_waitcnt vmcnt(8)
	v_fma_f64 v[6:7], v[10:11], v[44:45], -v[30:31]
	s_waitcnt vmcnt(6)
	v_fma_f64 v[8:9], v[14:15], v[46:47], -v[36:37]
	v_add_f64 v[14:15], v[54:55], 0
	v_add_f64 v[2:3], v[2:3], v[4:5]
	v_fmac_f64_e32 v[58:59], v[12:13], v[44:45]
	v_add_f64 v[14:15], v[14:15], v[56:57]
	v_add_f64 v[2:3], v[2:3], v[6:7]
	v_fmac_f64_e32 v[60:61], v[16:17], v[46:47]
	v_fma_f64 v[10:11], v[18:19], v[34:35], -v[32:33]
	v_add_f64 v[4:5], v[14:15], v[58:59]
	v_add_f64 v[2:3], v[2:3], v[8:9]
	s_waitcnt vmcnt(4)
	v_fma_f64 v[12:13], v[22:23], v[48:49], -v[38:39]
	v_add_f64 v[4:5], v[4:5], v[60:61]
	v_add_f64 v[2:3], v[2:3], v[10:11]
	v_fmac_f64_e32 v[64:65], v[24:25], v[48:49]
	v_add_f64 v[4:5], v[4:5], v[62:63]
	v_add_f64 v[2:3], v[2:3], v[12:13]
	;; [unrolled: 1-line block ×3, first 2 shown]
	s_waitcnt vmcnt(2)
	v_add_f64 v[2:3], v[50:51], -v[2:3]
	s_waitcnt vmcnt(0)
	v_add_f64 v[4:5], v[52:53], -v[4:5]
	buffer_store_dword v3, off, s[0:3], 0 offset:516
	buffer_store_dword v2, off, s[0:3], 0 offset:512
	;; [unrolled: 1-line block ×4, first 2 shown]
	s_and_saveexec_b64 s[4:5], vcc
	s_cbranch_execz .LBB37_181
; %bb.180:
	v_accvgpr_read_b32 v1, a82
	buffer_load_dword v2, v1, s[0:3], 0 offen
	buffer_load_dword v3, v1, s[0:3], 0 offen offset:4
	buffer_load_dword v4, v1, s[0:3], 0 offen offset:8
	;; [unrolled: 1-line block ×3, first 2 shown]
	v_mov_b32_e32 v1, 0
	buffer_store_dword v1, off, s[0:3], 0 offset:496
	buffer_store_dword v1, off, s[0:3], 0 offset:500
	buffer_store_dword v1, off, s[0:3], 0 offset:504
	buffer_store_dword v1, off, s[0:3], 0 offset:508
	s_waitcnt vmcnt(4)
	ds_write_b128 v120, v[2:5]
.LBB37_181:
	s_or_b64 exec, exec, s[4:5]
	s_waitcnt lgkmcnt(0)
	; wave barrier
	s_waitcnt lgkmcnt(0)
	buffer_load_dword v30, off, s[0:3], 0 offset:520
	buffer_load_dword v31, off, s[0:3], 0 offset:524
	;; [unrolled: 1-line block ×32, first 2 shown]
	v_mov_b32_e32 v1, 0
	ds_read_b128 v[2:5], v1 offset:1104
	ds_read_b128 v[6:9], v1 offset:1120
	;; [unrolled: 1-line block ×7, first 2 shown]
	v_cmp_lt_u32_e32 vcc, 29, v0
	s_waitcnt vmcnt(30) lgkmcnt(6)
	v_mul_f64 v[62:63], v[2:3], v[30:31]
	v_mul_f64 v[30:31], v[4:5], v[30:31]
	s_waitcnt vmcnt(28) lgkmcnt(5)
	v_mul_f64 v[64:65], v[6:7], v[32:33]
	v_mul_f64 v[32:33], v[8:9], v[32:33]
	;; [unrolled: 3-line block ×4, first 2 shown]
	s_waitcnt vmcnt(21)
	v_mul_f64 v[68:69], v[14:15], v[40:41]
	v_mul_f64 v[40:41], v[16:17], v[40:41]
	s_waitcnt vmcnt(17) lgkmcnt(1)
	v_mul_f64 v[72:73], v[22:23], v[46:47]
	v_mul_f64 v[46:47], v[24:25], v[46:47]
	s_waitcnt vmcnt(16) lgkmcnt(0)
	v_mul_f64 v[74:75], v[26:27], v[42:43]
	v_mul_f64 v[42:43], v[28:29], v[42:43]
	s_waitcnt vmcnt(13)
	v_fma_f64 v[2:3], v[2:3], v[48:49], -v[30:31]
	v_fmac_f64_e32 v[62:63], v[4:5], v[48:49]
	s_waitcnt vmcnt(11)
	v_fma_f64 v[4:5], v[6:7], v[50:51], -v[32:33]
	v_add_f64 v[2:3], v[2:3], 0
	v_fmac_f64_e32 v[64:65], v[8:9], v[50:51]
	s_waitcnt vmcnt(9)
	v_fma_f64 v[6:7], v[10:11], v[52:53], -v[34:35]
	s_waitcnt vmcnt(7)
	v_fmac_f64_e32 v[68:69], v[16:17], v[54:55]
	v_add_f64 v[16:17], v[62:63], 0
	v_add_f64 v[2:3], v[2:3], v[4:5]
	v_fmac_f64_e32 v[66:67], v[12:13], v[52:53]
	v_fma_f64 v[8:9], v[14:15], v[54:55], -v[40:41]
	v_add_f64 v[16:17], v[16:17], v[64:65]
	v_add_f64 v[2:3], v[2:3], v[6:7]
	v_fma_f64 v[10:11], v[18:19], v[38:39], -v[36:37]
	v_add_f64 v[4:5], v[16:17], v[66:67]
	v_add_f64 v[2:3], v[2:3], v[8:9]
	v_fmac_f64_e32 v[70:71], v[20:21], v[38:39]
	s_waitcnt vmcnt(5)
	v_fma_f64 v[12:13], v[22:23], v[56:57], -v[46:47]
	v_add_f64 v[4:5], v[4:5], v[68:69]
	v_add_f64 v[2:3], v[2:3], v[10:11]
	v_fmac_f64_e32 v[72:73], v[24:25], v[56:57]
	s_waitcnt vmcnt(4)
	v_fma_f64 v[14:15], v[26:27], v[44:45], -v[42:43]
	v_add_f64 v[4:5], v[4:5], v[70:71]
	v_add_f64 v[2:3], v[2:3], v[12:13]
	v_fmac_f64_e32 v[74:75], v[28:29], v[44:45]
	v_add_f64 v[4:5], v[4:5], v[72:73]
	v_add_f64 v[2:3], v[2:3], v[14:15]
	;; [unrolled: 1-line block ×3, first 2 shown]
	s_waitcnt vmcnt(2)
	v_add_f64 v[2:3], v[58:59], -v[2:3]
	s_waitcnt vmcnt(0)
	v_add_f64 v[4:5], v[60:61], -v[4:5]
	buffer_store_dword v3, off, s[0:3], 0 offset:500
	buffer_store_dword v2, off, s[0:3], 0 offset:496
	;; [unrolled: 1-line block ×4, first 2 shown]
	s_and_saveexec_b64 s[4:5], vcc
	s_cbranch_execz .LBB37_183
; %bb.182:
	v_accvgpr_read_b32 v5, a83
	buffer_load_dword v2, v5, s[0:3], 0 offen
	buffer_load_dword v3, v5, s[0:3], 0 offen offset:4
	buffer_load_dword v4, v5, s[0:3], 0 offen offset:8
	s_nop 0
	buffer_load_dword v5, v5, s[0:3], 0 offen offset:12
	s_nop 0
	buffer_store_dword v1, off, s[0:3], 0 offset:480
	buffer_store_dword v1, off, s[0:3], 0 offset:484
	;; [unrolled: 1-line block ×4, first 2 shown]
	s_waitcnt vmcnt(4)
	ds_write_b128 v120, v[2:5]
.LBB37_183:
	s_or_b64 exec, exec, s[4:5]
	s_waitcnt lgkmcnt(0)
	; wave barrier
	s_waitcnt lgkmcnt(0)
	buffer_load_dword v34, off, s[0:3], 0 offset:504
	buffer_load_dword v35, off, s[0:3], 0 offset:508
	;; [unrolled: 1-line block ×36, first 2 shown]
	ds_read_b128 v[2:5], v1 offset:1088
	ds_read_b128 v[6:9], v1 offset:1104
	;; [unrolled: 1-line block ×8, first 2 shown]
	v_cmp_lt_u32_e32 vcc, 28, v0
	s_waitcnt vmcnt(34) lgkmcnt(7)
	v_mul_f64 v[70:71], v[2:3], v[34:35]
	v_mul_f64 v[34:35], v[4:5], v[34:35]
	s_waitcnt vmcnt(32) lgkmcnt(6)
	v_mul_f64 v[72:73], v[6:7], v[36:37]
	v_mul_f64 v[36:37], v[8:9], v[36:37]
	;; [unrolled: 3-line block ×4, first 2 shown]
	s_waitcnt vmcnt(25)
	v_mul_f64 v[76:77], v[14:15], v[44:45]
	v_mul_f64 v[44:45], v[16:17], v[44:45]
	s_waitcnt vmcnt(23) lgkmcnt(1)
	v_mul_f64 v[82:83], v[26:27], v[46:47]
	v_mul_f64 v[46:47], v[28:29], v[46:47]
	s_waitcnt vmcnt(20)
	v_mul_f64 v[80:81], v[22:23], v[50:51]
	v_mul_f64 v[50:51], v[24:25], v[50:51]
	s_waitcnt vmcnt(18) lgkmcnt(0)
	v_mul_f64 v[84:85], v[30:31], v[52:53]
	s_waitcnt vmcnt(17)
	v_fmac_f64_e32 v[78:79], v[20:21], v[42:43]
	s_waitcnt vmcnt(16)
	v_fmac_f64_e32 v[82:83], v[28:29], v[48:49]
	s_waitcnt vmcnt(14)
	v_fma_f64 v[2:3], v[2:3], v[54:55], -v[34:35]
	v_fmac_f64_e32 v[70:71], v[4:5], v[54:55]
	s_waitcnt vmcnt(12)
	v_fma_f64 v[4:5], v[6:7], v[56:57], -v[36:37]
	v_add_f64 v[2:3], v[2:3], 0
	v_fmac_f64_e32 v[72:73], v[8:9], v[56:57]
	s_waitcnt vmcnt(10)
	v_fma_f64 v[6:7], v[10:11], v[58:59], -v[38:39]
	s_waitcnt vmcnt(8)
	v_fmac_f64_e32 v[76:77], v[16:17], v[60:61]
	v_add_f64 v[16:17], v[70:71], 0
	v_add_f64 v[2:3], v[2:3], v[4:5]
	v_fmac_f64_e32 v[74:75], v[12:13], v[58:59]
	v_fma_f64 v[8:9], v[14:15], v[60:61], -v[44:45]
	v_add_f64 v[16:17], v[16:17], v[72:73]
	v_add_f64 v[2:3], v[2:3], v[6:7]
	v_fma_f64 v[10:11], v[18:19], v[42:43], -v[40:41]
	v_add_f64 v[4:5], v[16:17], v[74:75]
	v_add_f64 v[2:3], v[2:3], v[8:9]
	s_waitcnt vmcnt(6)
	v_fma_f64 v[12:13], v[22:23], v[62:63], -v[50:51]
	v_add_f64 v[4:5], v[4:5], v[76:77]
	v_add_f64 v[2:3], v[2:3], v[10:11]
	v_fmac_f64_e32 v[80:81], v[24:25], v[62:63]
	v_fma_f64 v[14:15], v[26:27], v[48:49], -v[46:47]
	v_add_f64 v[4:5], v[4:5], v[78:79]
	v_add_f64 v[2:3], v[2:3], v[12:13]
	v_mul_f64 v[6:7], v[32:33], v[52:53]
	v_add_f64 v[4:5], v[4:5], v[80:81]
	v_add_f64 v[2:3], v[2:3], v[14:15]
	s_waitcnt vmcnt(4)
	v_fma_f64 v[6:7], v[30:31], v[64:65], -v[6:7]
	v_fmac_f64_e32 v[84:85], v[32:33], v[64:65]
	v_add_f64 v[4:5], v[4:5], v[82:83]
	v_add_f64 v[2:3], v[2:3], v[6:7]
	;; [unrolled: 1-line block ×3, first 2 shown]
	s_waitcnt vmcnt(2)
	v_add_f64 v[2:3], v[66:67], -v[2:3]
	s_waitcnt vmcnt(0)
	v_add_f64 v[4:5], v[68:69], -v[4:5]
	buffer_store_dword v3, off, s[0:3], 0 offset:484
	buffer_store_dword v2, off, s[0:3], 0 offset:480
	;; [unrolled: 1-line block ×4, first 2 shown]
	s_and_saveexec_b64 s[4:5], vcc
	s_cbranch_execz .LBB37_185
; %bb.184:
	v_accvgpr_read_b32 v1, a84
	buffer_load_dword v2, v1, s[0:3], 0 offen
	buffer_load_dword v3, v1, s[0:3], 0 offen offset:4
	buffer_load_dword v4, v1, s[0:3], 0 offen offset:8
	;; [unrolled: 1-line block ×3, first 2 shown]
	v_mov_b32_e32 v1, 0
	buffer_store_dword v1, off, s[0:3], 0 offset:464
	buffer_store_dword v1, off, s[0:3], 0 offset:468
	;; [unrolled: 1-line block ×4, first 2 shown]
	s_waitcnt vmcnt(4)
	ds_write_b128 v120, v[2:5]
.LBB37_185:
	s_or_b64 exec, exec, s[4:5]
	s_waitcnt lgkmcnt(0)
	; wave barrier
	s_waitcnt lgkmcnt(0)
	buffer_load_dword v38, off, s[0:3], 0 offset:488
	buffer_load_dword v39, off, s[0:3], 0 offset:492
	;; [unrolled: 1-line block ×40, first 2 shown]
	v_mov_b32_e32 v1, 0
	ds_read_b128 v[2:5], v1 offset:1072
	ds_read_b128 v[6:9], v1 offset:1088
	;; [unrolled: 1-line block ×9, first 2 shown]
	v_cmp_lt_u32_e32 vcc, 27, v0
	s_waitcnt vmcnt(38) lgkmcnt(8)
	v_mul_f64 v[78:79], v[2:3], v[38:39]
	v_mul_f64 v[38:39], v[4:5], v[38:39]
	s_waitcnt vmcnt(36) lgkmcnt(7)
	v_mul_f64 v[80:81], v[6:7], v[40:41]
	v_mul_f64 v[40:41], v[8:9], v[40:41]
	;; [unrolled: 3-line block ×3, first 2 shown]
	s_waitcnt vmcnt(32) lgkmcnt(4)
	v_mul_f64 v[86:87], v[18:19], v[44:45]
	s_waitcnt vmcnt(30)
	v_fmac_f64_e32 v[86:87], v[20:21], v[46:47]
	s_waitcnt vmcnt(28)
	v_mul_f64 v[84:85], v[14:15], v[48:49]
	v_mul_f64 v[48:49], v[16:17], v[48:49]
	s_waitcnt vmcnt(26) lgkmcnt(2)
	v_mul_f64 v[90:91], v[26:27], v[50:51]
	s_waitcnt vmcnt(24)
	v_fmac_f64_e32 v[90:91], v[28:29], v[52:53]
	s_waitcnt vmcnt(22)
	v_mul_f64 v[88:89], v[22:23], v[54:55]
	s_waitcnt vmcnt(18) lgkmcnt(1)
	v_mul_f64 v[92:93], v[30:31], v[60:61]
	s_waitcnt vmcnt(17) lgkmcnt(0)
	v_mul_f64 v[94:95], v[34:35], v[56:57]
	s_waitcnt vmcnt(15)
	v_fma_f64 v[2:3], v[2:3], v[62:63], -v[38:39]
	v_fmac_f64_e32 v[78:79], v[4:5], v[62:63]
	s_waitcnt vmcnt(13)
	v_fma_f64 v[4:5], v[6:7], v[64:65], -v[40:41]
	v_add_f64 v[2:3], v[2:3], 0
	s_waitcnt vmcnt(11)
	v_fma_f64 v[6:7], v[10:11], v[66:67], -v[42:43]
	v_add_f64 v[2:3], v[2:3], v[4:5]
	v_fmac_f64_e32 v[80:81], v[8:9], v[64:65]
	s_waitcnt vmcnt(9)
	v_fma_f64 v[8:9], v[14:15], v[68:69], -v[48:49]
	v_add_f64 v[2:3], v[2:3], v[6:7]
	v_mul_f64 v[6:7], v[20:21], v[44:45]
	v_add_f64 v[2:3], v[2:3], v[8:9]
	v_fma_f64 v[6:7], v[18:19], v[46:47], -v[6:7]
	v_add_f64 v[2:3], v[2:3], v[6:7]
	v_mul_f64 v[6:7], v[24:25], v[54:55]
	v_add_f64 v[10:11], v[78:79], 0
	s_waitcnt vmcnt(7)
	v_fma_f64 v[6:7], v[22:23], v[70:71], -v[6:7]
	v_fmac_f64_e32 v[82:83], v[12:13], v[66:67]
	v_add_f64 v[10:11], v[10:11], v[80:81]
	v_add_f64 v[2:3], v[2:3], v[6:7]
	v_mul_f64 v[6:7], v[28:29], v[50:51]
	v_fmac_f64_e32 v[84:85], v[16:17], v[68:69]
	v_add_f64 v[4:5], v[10:11], v[82:83]
	v_fma_f64 v[6:7], v[26:27], v[52:53], -v[6:7]
	v_add_f64 v[4:5], v[4:5], v[84:85]
	v_add_f64 v[2:3], v[2:3], v[6:7]
	v_mul_f64 v[6:7], v[32:33], v[60:61]
	v_fmac_f64_e32 v[88:89], v[24:25], v[70:71]
	v_add_f64 v[4:5], v[4:5], v[86:87]
	s_waitcnt vmcnt(5)
	v_fma_f64 v[6:7], v[30:31], v[72:73], -v[6:7]
	v_add_f64 v[4:5], v[4:5], v[88:89]
	v_add_f64 v[2:3], v[2:3], v[6:7]
	v_mul_f64 v[6:7], v[36:37], v[56:57]
	v_fmac_f64_e32 v[92:93], v[32:33], v[72:73]
	v_add_f64 v[4:5], v[4:5], v[90:91]
	s_waitcnt vmcnt(4)
	v_fma_f64 v[6:7], v[34:35], v[58:59], -v[6:7]
	v_fmac_f64_e32 v[94:95], v[36:37], v[58:59]
	v_add_f64 v[4:5], v[4:5], v[92:93]
	v_add_f64 v[2:3], v[2:3], v[6:7]
	;; [unrolled: 1-line block ×3, first 2 shown]
	s_waitcnt vmcnt(2)
	v_add_f64 v[2:3], v[74:75], -v[2:3]
	s_waitcnt vmcnt(0)
	v_add_f64 v[4:5], v[76:77], -v[4:5]
	buffer_store_dword v3, off, s[0:3], 0 offset:468
	buffer_store_dword v2, off, s[0:3], 0 offset:464
	;; [unrolled: 1-line block ×4, first 2 shown]
	s_and_saveexec_b64 s[4:5], vcc
	s_cbranch_execz .LBB37_187
; %bb.186:
	v_accvgpr_read_b32 v5, a85
	buffer_load_dword v2, v5, s[0:3], 0 offen
	buffer_load_dword v3, v5, s[0:3], 0 offen offset:4
	buffer_load_dword v4, v5, s[0:3], 0 offen offset:8
	s_nop 0
	buffer_load_dword v5, v5, s[0:3], 0 offen offset:12
	s_nop 0
	buffer_store_dword v1, off, s[0:3], 0 offset:448
	buffer_store_dword v1, off, s[0:3], 0 offset:452
	;; [unrolled: 1-line block ×4, first 2 shown]
	s_waitcnt vmcnt(4)
	ds_write_b128 v120, v[2:5]
.LBB37_187:
	s_or_b64 exec, exec, s[4:5]
	s_waitcnt lgkmcnt(0)
	; wave barrier
	s_waitcnt lgkmcnt(0)
	buffer_load_dword v4, off, s[0:3], 0 offset:464
	buffer_load_dword v5, off, s[0:3], 0 offset:468
	buffer_load_dword v46, off, s[0:3], 0 offset:472
	buffer_load_dword v47, off, s[0:3], 0 offset:476
	buffer_load_dword v48, off, s[0:3], 0 offset:488
	buffer_load_dword v49, off, s[0:3], 0 offset:492
	buffer_load_dword v2, off, s[0:3], 0 offset:504
	buffer_load_dword v3, off, s[0:3], 0 offset:508
	buffer_load_dword v51, off, s[0:3], 0 offset:540
	buffer_load_dword v50, off, s[0:3], 0 offset:536
	buffer_load_dword v53, off, s[0:3], 0 offset:532
	buffer_load_dword v52, off, s[0:3], 0 offset:528
	buffer_load_dword v55, off, s[0:3], 0 offset:524
	buffer_load_dword v54, off, s[0:3], 0 offset:520
	buffer_load_dword v57, off, s[0:3], 0 offset:572
	buffer_load_dword v56, off, s[0:3], 0 offset:568
	buffer_load_dword v59, off, s[0:3], 0 offset:564
	buffer_load_dword v58, off, s[0:3], 0 offset:560
	buffer_load_dword v61, off, s[0:3], 0 offset:556
	buffer_load_dword v60, off, s[0:3], 0 offset:552
	buffer_load_dword v63, off, s[0:3], 0 offset:604
	buffer_load_dword v62, off, s[0:3], 0 offset:600
	buffer_load_dword v65, off, s[0:3], 0 offset:596
	buffer_load_dword v64, off, s[0:3], 0 offset:592
	buffer_load_dword v67, off, s[0:3], 0 offset:588
	buffer_load_dword v66, off, s[0:3], 0 offset:584
	buffer_load_dword v69, off, s[0:3], 0 offset:620
	buffer_load_dword v68, off, s[0:3], 0 offset:616
	buffer_load_dword v70, off, s[0:3], 0 offset:480
	buffer_load_dword v71, off, s[0:3], 0 offset:484
	buffer_load_dword v72, off, s[0:3], 0 offset:496
	buffer_load_dword v73, off, s[0:3], 0 offset:500
	buffer_load_dword v75, off, s[0:3], 0 offset:516
	buffer_load_dword v74, off, s[0:3], 0 offset:512
	buffer_load_dword v77, off, s[0:3], 0 offset:548
	buffer_load_dword v76, off, s[0:3], 0 offset:544
	buffer_load_dword v79, off, s[0:3], 0 offset:580
	buffer_load_dword v78, off, s[0:3], 0 offset:576
	buffer_load_dword v81, off, s[0:3], 0 offset:612
	buffer_load_dword v80, off, s[0:3], 0 offset:608
	buffer_load_dword v82, off, s[0:3], 0 offset:448
	buffer_load_dword v83, off, s[0:3], 0 offset:452
	buffer_load_dword v84, off, s[0:3], 0 offset:456
	buffer_load_dword v85, off, s[0:3], 0 offset:460
	ds_read_b128 v[6:9], v1 offset:1056
	ds_read_b128 v[10:13], v1 offset:1072
	;; [unrolled: 1-line block ×10, first 2 shown]
	v_cmp_lt_u32_e32 vcc, 26, v0
	s_waitcnt vmcnt(40) lgkmcnt(9)
	v_mul_f64 v[86:87], v[6:7], v[46:47]
	v_mul_f64 v[46:47], v[8:9], v[46:47]
	s_waitcnt vmcnt(38) lgkmcnt(8)
	v_mul_f64 v[88:89], v[10:11], v[48:49]
	v_mul_f64 v[48:49], v[12:13], v[48:49]
	v_fmac_f64_e32 v[86:87], v[8:9], v[4:5]
	v_fma_f64 v[4:5], v[6:7], v[4:5], -v[46:47]
	s_waitcnt vmcnt(36) lgkmcnt(7)
	v_mul_f64 v[90:91], v[14:15], v[2:3]
	v_add_f64 v[4:5], v[4:5], 0
	v_mul_f64 v[2:3], v[16:17], v[2:3]
	v_add_f64 v[8:9], v[86:87], 0
	s_waitcnt vmcnt(30) lgkmcnt(6)
	v_mul_f64 v[92:93], v[18:19], v[54:55]
	s_waitcnt lgkmcnt(5)
	v_mul_f64 v[94:95], v[22:23], v[50:51]
	v_fmac_f64_e32 v[94:95], v[24:25], v[52:53]
	s_waitcnt vmcnt(28) lgkmcnt(3)
	v_mul_f64 v[98:99], v[30:31], v[56:57]
	s_waitcnt vmcnt(26)
	v_fmac_f64_e32 v[98:99], v[32:33], v[58:59]
	s_waitcnt vmcnt(24)
	v_mul_f64 v[96:97], v[26:27], v[60:61]
	s_waitcnt vmcnt(22) lgkmcnt(1)
	v_mul_f64 v[102:103], v[38:39], v[62:63]
	s_waitcnt vmcnt(20)
	v_fmac_f64_e32 v[102:103], v[40:41], v[64:65]
	s_waitcnt vmcnt(18)
	v_mul_f64 v[100:101], v[34:35], v[66:67]
	s_waitcnt vmcnt(16) lgkmcnt(0)
	v_mul_f64 v[104:105], v[42:43], v[68:69]
	s_waitcnt vmcnt(14)
	v_fma_f64 v[6:7], v[10:11], v[70:71], -v[48:49]
	v_add_f64 v[4:5], v[4:5], v[6:7]
	s_waitcnt vmcnt(12)
	v_fma_f64 v[2:3], v[14:15], v[72:73], -v[2:3]
	v_add_f64 v[2:3], v[4:5], v[2:3]
	v_mul_f64 v[4:5], v[20:21], v[54:55]
	s_waitcnt vmcnt(10)
	v_fma_f64 v[4:5], v[18:19], v[74:75], -v[4:5]
	v_add_f64 v[2:3], v[2:3], v[4:5]
	v_mul_f64 v[4:5], v[24:25], v[50:51]
	v_fma_f64 v[4:5], v[22:23], v[52:53], -v[4:5]
	v_add_f64 v[2:3], v[2:3], v[4:5]
	v_mul_f64 v[4:5], v[28:29], v[60:61]
	s_waitcnt vmcnt(8)
	v_fma_f64 v[4:5], v[26:27], v[76:77], -v[4:5]
	v_fmac_f64_e32 v[88:89], v[12:13], v[70:71]
	v_add_f64 v[2:3], v[2:3], v[4:5]
	v_mul_f64 v[4:5], v[32:33], v[56:57]
	v_fmac_f64_e32 v[90:91], v[16:17], v[72:73]
	v_add_f64 v[8:9], v[8:9], v[88:89]
	v_fma_f64 v[4:5], v[30:31], v[58:59], -v[4:5]
	v_fmac_f64_e32 v[92:93], v[20:21], v[74:75]
	v_add_f64 v[6:7], v[8:9], v[90:91]
	v_add_f64 v[2:3], v[2:3], v[4:5]
	v_mul_f64 v[4:5], v[36:37], v[66:67]
	v_add_f64 v[6:7], v[6:7], v[92:93]
	s_waitcnt vmcnt(6)
	v_fma_f64 v[4:5], v[34:35], v[78:79], -v[4:5]
	v_fmac_f64_e32 v[96:97], v[28:29], v[76:77]
	v_add_f64 v[6:7], v[6:7], v[94:95]
	v_add_f64 v[2:3], v[2:3], v[4:5]
	v_mul_f64 v[4:5], v[40:41], v[62:63]
	v_add_f64 v[6:7], v[6:7], v[96:97]
	v_fma_f64 v[4:5], v[38:39], v[64:65], -v[4:5]
	v_fmac_f64_e32 v[100:101], v[36:37], v[78:79]
	v_add_f64 v[6:7], v[6:7], v[98:99]
	v_add_f64 v[2:3], v[2:3], v[4:5]
	v_mul_f64 v[4:5], v[44:45], v[68:69]
	v_add_f64 v[6:7], v[6:7], v[100:101]
	s_waitcnt vmcnt(4)
	v_fma_f64 v[4:5], v[42:43], v[80:81], -v[4:5]
	v_fmac_f64_e32 v[104:105], v[44:45], v[80:81]
	v_add_f64 v[6:7], v[6:7], v[102:103]
	v_add_f64 v[2:3], v[2:3], v[4:5]
	v_add_f64 v[6:7], v[6:7], v[104:105]
	s_waitcnt vmcnt(2)
	v_add_f64 v[2:3], v[82:83], -v[2:3]
	s_waitcnt vmcnt(0)
	v_add_f64 v[4:5], v[84:85], -v[6:7]
	buffer_store_dword v3, off, s[0:3], 0 offset:452
	buffer_store_dword v2, off, s[0:3], 0 offset:448
	;; [unrolled: 1-line block ×4, first 2 shown]
	s_and_saveexec_b64 s[4:5], vcc
	s_cbranch_execz .LBB37_189
; %bb.188:
	v_accvgpr_read_b32 v1, a86
	buffer_load_dword v2, v1, s[0:3], 0 offen
	buffer_load_dword v3, v1, s[0:3], 0 offen offset:4
	buffer_load_dword v4, v1, s[0:3], 0 offen offset:8
	;; [unrolled: 1-line block ×3, first 2 shown]
	v_mov_b32_e32 v1, 0
	buffer_store_dword v1, off, s[0:3], 0 offset:432
	buffer_store_dword v1, off, s[0:3], 0 offset:436
	;; [unrolled: 1-line block ×4, first 2 shown]
	s_waitcnt vmcnt(4)
	ds_write_b128 v120, v[2:5]
.LBB37_189:
	s_or_b64 exec, exec, s[4:5]
	s_waitcnt lgkmcnt(0)
	; wave barrier
	s_waitcnt lgkmcnt(0)
	buffer_load_dword v2, off, s[0:3], 0 offset:448
	buffer_load_dword v3, off, s[0:3], 0 offset:452
	;; [unrolled: 1-line block ×48, first 2 shown]
	v_mov_b32_e32 v1, 0
	ds_read_b128 v[12:15], v1 offset:1040
	ds_read_b128 v[16:19], v1 offset:1056
	;; [unrolled: 1-line block ×11, first 2 shown]
	v_cmp_lt_u32_e32 vcc, 25, v0
	s_waitcnt vmcnt(44) lgkmcnt(10)
	v_mul_f64 v[94:95], v[12:13], v[6:7]
	v_mul_f64 v[6:7], v[14:15], v[6:7]
	v_fmac_f64_e32 v[94:95], v[14:15], v[2:3]
	v_fma_f64 v[2:3], v[12:13], v[2:3], -v[6:7]
	s_waitcnt vmcnt(40) lgkmcnt(9)
	v_mul_f64 v[96:97], v[16:17], v[8:9]
	v_mul_f64 v[6:7], v[18:19], v[8:9]
	v_fmac_f64_e32 v[96:97], v[18:19], v[4:5]
	v_add_f64 v[2:3], v[2:3], 0
	v_fma_f64 v[4:5], v[16:17], v[4:5], -v[6:7]
	v_add_f64 v[2:3], v[2:3], v[4:5]
	s_waitcnt vmcnt(38) lgkmcnt(8)
	v_mul_f64 v[4:5], v[22:23], v[10:11]
	v_mul_f64 v[98:99], v[20:21], v[10:11]
	v_add_f64 v[94:95], v[94:95], 0
	s_waitcnt vmcnt(32) lgkmcnt(7)
	v_mul_f64 v[100:101], v[24:25], v[60:61]
	v_add_f64 v[94:95], v[94:95], v[96:97]
	s_waitcnt lgkmcnt(6)
	v_mul_f64 v[102:103], v[28:29], v[56:57]
	v_fmac_f64_e32 v[102:103], v[30:31], v[58:59]
	s_waitcnt vmcnt(30) lgkmcnt(4)
	v_mul_f64 v[106:107], v[36:37], v[62:63]
	s_waitcnt vmcnt(26)
	v_mul_f64 v[104:105], v[32:33], v[66:67]
	v_fmac_f64_e32 v[106:107], v[38:39], v[64:65]
	s_waitcnt vmcnt(24) lgkmcnt(2)
	v_mul_f64 v[110:111], v[44:45], v[68:69]
	s_waitcnt vmcnt(22)
	v_fmac_f64_e32 v[110:111], v[46:47], v[70:71]
	s_waitcnt vmcnt(20)
	v_mul_f64 v[108:109], v[40:41], v[72:73]
	s_waitcnt vmcnt(16) lgkmcnt(1)
	v_mul_f64 v[112:113], v[48:49], v[78:79]
	s_waitcnt vmcnt(14)
	v_fma_f64 v[4:5], v[20:21], v[80:81], -v[4:5]
	v_add_f64 v[2:3], v[2:3], v[4:5]
	v_mul_f64 v[4:5], v[26:27], v[60:61]
	s_waitcnt vmcnt(12)
	v_fma_f64 v[4:5], v[24:25], v[82:83], -v[4:5]
	v_add_f64 v[2:3], v[2:3], v[4:5]
	v_mul_f64 v[4:5], v[30:31], v[56:57]
	v_fma_f64 v[4:5], v[28:29], v[58:59], -v[4:5]
	v_add_f64 v[2:3], v[2:3], v[4:5]
	v_mul_f64 v[4:5], v[34:35], v[66:67]
	s_waitcnt vmcnt(10)
	v_fma_f64 v[4:5], v[32:33], v[84:85], -v[4:5]
	v_add_f64 v[2:3], v[2:3], v[4:5]
	v_mul_f64 v[4:5], v[38:39], v[62:63]
	v_fma_f64 v[4:5], v[36:37], v[64:65], -v[4:5]
	v_fmac_f64_e32 v[98:99], v[22:23], v[80:81]
	v_add_f64 v[2:3], v[2:3], v[4:5]
	v_mul_f64 v[4:5], v[42:43], v[72:73]
	v_fmac_f64_e32 v[100:101], v[26:27], v[82:83]
	v_add_f64 v[94:95], v[94:95], v[98:99]
	s_waitcnt vmcnt(8)
	v_fma_f64 v[4:5], v[40:41], v[86:87], -v[4:5]
	v_add_f64 v[94:95], v[94:95], v[100:101]
	v_add_f64 v[2:3], v[2:3], v[4:5]
	v_mul_f64 v[4:5], v[46:47], v[68:69]
	v_fmac_f64_e32 v[104:105], v[34:35], v[84:85]
	v_add_f64 v[94:95], v[94:95], v[102:103]
	v_fma_f64 v[4:5], v[44:45], v[70:71], -v[4:5]
	v_add_f64 v[94:95], v[94:95], v[104:105]
	v_add_f64 v[2:3], v[2:3], v[4:5]
	v_mul_f64 v[4:5], v[50:51], v[78:79]
	v_fmac_f64_e32 v[108:109], v[42:43], v[86:87]
	v_add_f64 v[94:95], v[94:95], v[106:107]
	s_waitcnt vmcnt(6)
	v_fma_f64 v[4:5], v[48:49], v[88:89], -v[4:5]
	v_add_f64 v[94:95], v[94:95], v[108:109]
	v_add_f64 v[2:3], v[2:3], v[4:5]
	s_waitcnt vmcnt(5) lgkmcnt(0)
	v_mul_f64 v[4:5], v[54:55], v[74:75]
	v_fmac_f64_e32 v[112:113], v[50:51], v[88:89]
	v_add_f64 v[94:95], v[94:95], v[110:111]
	v_mul_f64 v[96:97], v[52:53], v[74:75]
	s_waitcnt vmcnt(4)
	v_fma_f64 v[4:5], v[52:53], v[76:77], -v[4:5]
	v_add_f64 v[94:95], v[94:95], v[112:113]
	v_fmac_f64_e32 v[96:97], v[54:55], v[76:77]
	v_add_f64 v[2:3], v[2:3], v[4:5]
	v_add_f64 v[94:95], v[94:95], v[96:97]
	s_waitcnt vmcnt(2)
	v_add_f64 v[2:3], v[90:91], -v[2:3]
	s_waitcnt vmcnt(0)
	v_add_f64 v[4:5], v[92:93], -v[94:95]
	buffer_store_dword v3, off, s[0:3], 0 offset:436
	buffer_store_dword v2, off, s[0:3], 0 offset:432
	;; [unrolled: 1-line block ×4, first 2 shown]
	s_and_saveexec_b64 s[4:5], vcc
	s_cbranch_execz .LBB37_191
; %bb.190:
	v_accvgpr_read_b32 v5, a87
	buffer_load_dword v2, v5, s[0:3], 0 offen
	buffer_load_dword v3, v5, s[0:3], 0 offen offset:4
	buffer_load_dword v4, v5, s[0:3], 0 offen offset:8
	s_nop 0
	buffer_load_dword v5, v5, s[0:3], 0 offen offset:12
	s_nop 0
	buffer_store_dword v1, off, s[0:3], 0 offset:416
	buffer_store_dword v1, off, s[0:3], 0 offset:420
	;; [unrolled: 1-line block ×4, first 2 shown]
	s_waitcnt vmcnt(4)
	ds_write_b128 v120, v[2:5]
.LBB37_191:
	s_or_b64 exec, exec, s[4:5]
	s_waitcnt lgkmcnt(0)
	; wave barrier
	s_waitcnt lgkmcnt(0)
	buffer_load_dword v2, off, s[0:3], 0 offset:432
	buffer_load_dword v3, off, s[0:3], 0 offset:436
	;; [unrolled: 1-line block ×52, first 2 shown]
	ds_read_b128 v[12:15], v1 offset:1024
	ds_read_b128 v[16:19], v1 offset:1040
	;; [unrolled: 1-line block ×10, first 2 shown]
	v_cmp_lt_u32_e32 vcc, 24, v0
	s_waitcnt vmcnt(48) lgkmcnt(9)
	v_mul_f64 v[52:53], v[12:13], v[6:7]
	v_mul_f64 v[6:7], v[14:15], v[6:7]
	v_fmac_f64_e32 v[52:53], v[14:15], v[2:3]
	v_fma_f64 v[2:3], v[12:13], v[2:3], -v[6:7]
	s_waitcnt vmcnt(44) lgkmcnt(8)
	v_mul_f64 v[54:55], v[16:17], v[8:9]
	v_mul_f64 v[6:7], v[18:19], v[8:9]
	v_fmac_f64_e32 v[54:55], v[18:19], v[4:5]
	v_add_f64 v[2:3], v[2:3], 0
	v_fma_f64 v[4:5], v[16:17], v[4:5], -v[6:7]
	v_add_f64 v[2:3], v[2:3], v[4:5]
	s_waitcnt vmcnt(42) lgkmcnt(7)
	v_mul_f64 v[4:5], v[22:23], v[10:11]
	v_mul_f64 v[56:57], v[20:21], v[10:11]
	v_add_f64 v[52:53], v[52:53], 0
	s_waitcnt vmcnt(36) lgkmcnt(6)
	v_mul_f64 v[58:59], v[24:25], v[64:65]
	v_add_f64 v[52:53], v[52:53], v[54:55]
	s_waitcnt lgkmcnt(5)
	v_mul_f64 v[102:103], v[28:29], v[60:61]
	v_fmac_f64_e32 v[102:103], v[30:31], v[62:63]
	s_waitcnt vmcnt(34) lgkmcnt(3)
	v_mul_f64 v[106:107], v[36:37], v[66:67]
	s_waitcnt vmcnt(30)
	v_mul_f64 v[104:105], v[32:33], v[70:71]
	v_fmac_f64_e32 v[106:107], v[38:39], v[68:69]
	s_waitcnt vmcnt(26) lgkmcnt(2)
	v_mul_f64 v[108:109], v[40:41], v[76:77]
	s_waitcnt vmcnt(25) lgkmcnt(1)
	v_mul_f64 v[110:111], v[44:45], v[72:73]
	s_waitcnt vmcnt(23)
	v_fma_f64 v[4:5], v[20:21], v[78:79], -v[4:5]
	v_add_f64 v[2:3], v[2:3], v[4:5]
	v_mul_f64 v[4:5], v[26:27], v[64:65]
	s_waitcnt vmcnt(21)
	v_fma_f64 v[4:5], v[24:25], v[80:81], -v[4:5]
	v_fmac_f64_e32 v[56:57], v[22:23], v[78:79]
	v_add_f64 v[2:3], v[2:3], v[4:5]
	v_mul_f64 v[4:5], v[30:31], v[60:61]
	v_fmac_f64_e32 v[58:59], v[26:27], v[80:81]
	v_add_f64 v[52:53], v[52:53], v[56:57]
	v_fma_f64 v[4:5], v[28:29], v[62:63], -v[4:5]
	v_add_f64 v[52:53], v[52:53], v[58:59]
	v_add_f64 v[2:3], v[2:3], v[4:5]
	v_mul_f64 v[4:5], v[34:35], v[70:71]
	s_waitcnt vmcnt(19)
	v_fmac_f64_e32 v[104:105], v[34:35], v[82:83]
	v_add_f64 v[52:53], v[52:53], v[102:103]
	v_fma_f64 v[4:5], v[32:33], v[82:83], -v[4:5]
	v_add_f64 v[52:53], v[52:53], v[104:105]
	v_add_f64 v[2:3], v[2:3], v[4:5]
	v_mul_f64 v[4:5], v[38:39], v[66:67]
	s_waitcnt vmcnt(17)
	v_fmac_f64_e32 v[108:109], v[42:43], v[84:85]
	v_add_f64 v[52:53], v[52:53], v[106:107]
	v_fma_f64 v[4:5], v[36:37], v[68:69], -v[4:5]
	s_waitcnt vmcnt(16)
	v_fmac_f64_e32 v[110:111], v[46:47], v[74:75]
	v_add_f64 v[52:53], v[52:53], v[108:109]
	v_add_f64 v[2:3], v[2:3], v[4:5]
	v_mul_f64 v[4:5], v[42:43], v[76:77]
	v_add_f64 v[102:103], v[52:53], v[110:111]
	ds_read_b128 v[52:55], v1 offset:1184
	ds_read_b128 v[56:59], v1 offset:1200
	v_fma_f64 v[4:5], v[40:41], v[84:85], -v[4:5]
	v_add_f64 v[2:3], v[2:3], v[4:5]
	v_mul_f64 v[4:5], v[46:47], v[72:73]
	v_fma_f64 v[4:5], v[44:45], v[74:75], -v[4:5]
	v_add_f64 v[2:3], v[2:3], v[4:5]
	s_waitcnt vmcnt(12) lgkmcnt(2)
	v_mul_f64 v[4:5], v[50:51], v[90:91]
	v_mul_f64 v[104:105], v[48:49], v[90:91]
	s_waitcnt vmcnt(10)
	v_fma_f64 v[4:5], v[48:49], v[92:93], -v[4:5]
	v_fmac_f64_e32 v[104:105], v[50:51], v[92:93]
	v_add_f64 v[2:3], v[2:3], v[4:5]
	s_waitcnt vmcnt(8) lgkmcnt(1)
	v_mul_f64 v[4:5], v[54:55], v[86:87]
	v_add_f64 v[102:103], v[102:103], v[104:105]
	v_mul_f64 v[104:105], v[52:53], v[86:87]
	v_fma_f64 v[4:5], v[52:53], v[88:89], -v[4:5]
	v_fmac_f64_e32 v[104:105], v[54:55], v[88:89]
	v_add_f64 v[2:3], v[2:3], v[4:5]
	s_waitcnt vmcnt(6) lgkmcnt(0)
	v_mul_f64 v[4:5], v[58:59], v[94:95]
	v_add_f64 v[102:103], v[102:103], v[104:105]
	v_mul_f64 v[104:105], v[56:57], v[94:95]
	s_waitcnt vmcnt(4)
	v_fma_f64 v[4:5], v[56:57], v[96:97], -v[4:5]
	v_fmac_f64_e32 v[104:105], v[58:59], v[96:97]
	v_add_f64 v[2:3], v[2:3], v[4:5]
	v_add_f64 v[102:103], v[102:103], v[104:105]
	s_waitcnt vmcnt(2)
	v_add_f64 v[2:3], v[98:99], -v[2:3]
	s_waitcnt vmcnt(0)
	v_add_f64 v[4:5], v[100:101], -v[102:103]
	buffer_store_dword v3, off, s[0:3], 0 offset:420
	buffer_store_dword v2, off, s[0:3], 0 offset:416
	;; [unrolled: 1-line block ×4, first 2 shown]
	s_and_saveexec_b64 s[4:5], vcc
	s_cbranch_execz .LBB37_193
; %bb.192:
	v_accvgpr_read_b32 v1, a88
	buffer_load_dword v2, v1, s[0:3], 0 offen
	buffer_load_dword v3, v1, s[0:3], 0 offen offset:4
	buffer_load_dword v4, v1, s[0:3], 0 offen offset:8
	;; [unrolled: 1-line block ×3, first 2 shown]
	v_mov_b32_e32 v1, 0
	buffer_store_dword v1, off, s[0:3], 0 offset:400
	buffer_store_dword v1, off, s[0:3], 0 offset:404
	;; [unrolled: 1-line block ×4, first 2 shown]
	s_waitcnt vmcnt(4)
	ds_write_b128 v120, v[2:5]
.LBB37_193:
	s_or_b64 exec, exec, s[4:5]
	s_waitcnt lgkmcnt(0)
	; wave barrier
	s_waitcnt lgkmcnt(0)
	buffer_load_dword v2, off, s[0:3], 0 offset:416
	buffer_load_dword v3, off, s[0:3], 0 offset:420
	;; [unrolled: 1-line block ×56, first 2 shown]
	v_mov_b32_e32 v1, 0
	ds_read_b128 v[18:21], v1 offset:1008
	ds_read_b128 v[22:25], v1 offset:1024
	;; [unrolled: 1-line block ×9, first 2 shown]
	v_cmp_lt_u32_e32 vcc, 23, v0
	s_waitcnt vmcnt(52) lgkmcnt(8)
	v_mul_f64 v[50:51], v[18:19], v[6:7]
	v_fmac_f64_e32 v[50:51], v[20:21], v[2:3]
	v_mul_f64 v[6:7], v[20:21], v[6:7]
	v_add_f64 v[50:51], v[50:51], 0
	s_waitcnt vmcnt(48) lgkmcnt(7)
	v_mul_f64 v[52:53], v[22:23], v[8:9]
	v_fmac_f64_e32 v[52:53], v[24:25], v[4:5]
	s_waitcnt vmcnt(46) lgkmcnt(6)
	v_mul_f64 v[54:55], v[26:27], v[10:11]
	v_fma_f64 v[2:3], v[18:19], v[2:3], -v[6:7]
	v_mul_f64 v[6:7], v[24:25], v[8:9]
	v_add_f64 v[50:51], v[50:51], v[52:53]
	v_add_f64 v[2:3], v[2:3], 0
	v_fma_f64 v[4:5], v[22:23], v[4:5], -v[6:7]
	s_waitcnt vmcnt(40) lgkmcnt(5)
	v_mul_f64 v[56:57], v[30:31], v[16:17]
	s_waitcnt lgkmcnt(4)
	v_mul_f64 v[58:59], v[34:35], v[12:13]
	v_add_f64 v[2:3], v[2:3], v[4:5]
	v_mul_f64 v[4:5], v[28:29], v[10:11]
	s_waitcnt vmcnt(36) lgkmcnt(3)
	v_mul_f64 v[60:61], v[38:39], v[74:75]
	v_fmac_f64_e32 v[58:59], v[36:37], v[14:15]
	s_waitcnt vmcnt(35) lgkmcnt(2)
	v_mul_f64 v[62:63], v[42:43], v[70:71]
	s_waitcnt vmcnt(33)
	v_fmac_f64_e32 v[54:55], v[28:29], v[76:77]
	v_add_f64 v[50:51], v[50:51], v[54:55]
	s_waitcnt vmcnt(31)
	v_fmac_f64_e32 v[56:57], v[32:33], v[78:79]
	v_add_f64 v[50:51], v[50:51], v[56:57]
	v_fma_f64 v[4:5], v[26:27], v[76:77], -v[4:5]
	s_waitcnt vmcnt(29)
	v_fmac_f64_e32 v[60:61], v[40:41], v[80:81]
	v_add_f64 v[50:51], v[50:51], v[58:59]
	v_add_f64 v[2:3], v[2:3], v[4:5]
	v_mul_f64 v[4:5], v[32:33], v[16:17]
	s_waitcnt vmcnt(28)
	v_fmac_f64_e32 v[62:63], v[44:45], v[72:73]
	v_add_f64 v[50:51], v[50:51], v[60:61]
	v_fma_f64 v[4:5], v[30:31], v[78:79], -v[4:5]
	v_add_f64 v[54:55], v[50:51], v[62:63]
	ds_read_b128 v[50:53], v1 offset:1136
	s_waitcnt vmcnt(24) lgkmcnt(2)
	v_mul_f64 v[56:57], v[46:47], v[86:87]
	v_add_f64 v[2:3], v[2:3], v[4:5]
	v_mul_f64 v[4:5], v[36:37], v[12:13]
	s_waitcnt vmcnt(22)
	v_fmac_f64_e32 v[56:57], v[48:49], v[88:89]
	v_fma_f64 v[4:5], v[34:35], v[14:15], -v[4:5]
	v_add_f64 v[58:59], v[54:55], v[56:57]
	ds_read_b128 v[54:57], v1 offset:1152
	v_add_f64 v[2:3], v[2:3], v[4:5]
	v_mul_f64 v[4:5], v[40:41], v[74:75]
	v_fma_f64 v[4:5], v[38:39], v[80:81], -v[4:5]
	v_add_f64 v[2:3], v[2:3], v[4:5]
	v_mul_f64 v[4:5], v[44:45], v[70:71]
	s_waitcnt vmcnt(20) lgkmcnt(1)
	v_mul_f64 v[60:61], v[50:51], v[82:83]
	v_fma_f64 v[4:5], v[42:43], v[72:73], -v[4:5]
	v_fmac_f64_e32 v[60:61], v[52:53], v[84:85]
	v_add_f64 v[2:3], v[2:3], v[4:5]
	v_mul_f64 v[4:5], v[48:49], v[86:87]
	v_add_f64 v[62:63], v[58:59], v[60:61]
	ds_read_b128 v[58:61], v1 offset:1168
	s_waitcnt vmcnt(16) lgkmcnt(1)
	v_mul_f64 v[64:65], v[54:55], v[94:95]
	v_fma_f64 v[4:5], v[46:47], v[88:89], -v[4:5]
	s_waitcnt vmcnt(14)
	v_fmac_f64_e32 v[64:65], v[56:57], v[96:97]
	v_add_f64 v[2:3], v[2:3], v[4:5]
	v_mul_f64 v[4:5], v[52:53], v[82:83]
	v_add_f64 v[110:111], v[62:63], v[64:65]
	ds_read_b128 v[62:65], v1 offset:1184
	v_fma_f64 v[4:5], v[50:51], v[84:85], -v[4:5]
	v_add_f64 v[2:3], v[2:3], v[4:5]
	v_mul_f64 v[4:5], v[56:57], v[94:95]
	v_fma_f64 v[4:5], v[54:55], v[96:97], -v[4:5]
	v_add_f64 v[2:3], v[2:3], v[4:5]
	s_waitcnt vmcnt(12) lgkmcnt(1)
	v_mul_f64 v[4:5], v[60:61], v[90:91]
	v_mul_f64 v[112:113], v[58:59], v[90:91]
	v_fma_f64 v[4:5], v[58:59], v[92:93], -v[4:5]
	v_fmac_f64_e32 v[112:113], v[60:61], v[92:93]
	v_add_f64 v[2:3], v[2:3], v[4:5]
	s_waitcnt vmcnt(8) lgkmcnt(0)
	v_mul_f64 v[4:5], v[64:65], v[102:103]
	v_add_f64 v[110:111], v[110:111], v[112:113]
	v_mul_f64 v[112:113], v[62:63], v[102:103]
	s_waitcnt vmcnt(6)
	v_fma_f64 v[4:5], v[62:63], v[104:105], -v[4:5]
	v_fmac_f64_e32 v[112:113], v[64:65], v[104:105]
	v_add_f64 v[2:3], v[2:3], v[4:5]
	s_waitcnt vmcnt(5)
	v_mul_f64 v[4:5], v[68:69], v[98:99]
	v_add_f64 v[110:111], v[110:111], v[112:113]
	v_mul_f64 v[112:113], v[66:67], v[98:99]
	s_waitcnt vmcnt(4)
	v_fma_f64 v[4:5], v[66:67], v[100:101], -v[4:5]
	v_fmac_f64_e32 v[112:113], v[68:69], v[100:101]
	v_add_f64 v[2:3], v[2:3], v[4:5]
	v_add_f64 v[110:111], v[110:111], v[112:113]
	s_waitcnt vmcnt(2)
	v_add_f64 v[2:3], v[106:107], -v[2:3]
	s_waitcnt vmcnt(0)
	v_add_f64 v[4:5], v[108:109], -v[110:111]
	buffer_store_dword v3, off, s[0:3], 0 offset:404
	buffer_store_dword v2, off, s[0:3], 0 offset:400
	;; [unrolled: 1-line block ×4, first 2 shown]
	s_and_saveexec_b64 s[4:5], vcc
	s_cbranch_execz .LBB37_195
; %bb.194:
	v_accvgpr_read_b32 v5, a89
	buffer_load_dword v2, v5, s[0:3], 0 offen
	buffer_load_dword v3, v5, s[0:3], 0 offen offset:4
	buffer_load_dword v4, v5, s[0:3], 0 offen offset:8
	s_nop 0
	buffer_load_dword v5, v5, s[0:3], 0 offen offset:12
	s_nop 0
	buffer_store_dword v1, off, s[0:3], 0 offset:384
	buffer_store_dword v1, off, s[0:3], 0 offset:388
	buffer_store_dword v1, off, s[0:3], 0 offset:392
	buffer_store_dword v1, off, s[0:3], 0 offset:396
	s_waitcnt vmcnt(4)
	ds_write_b128 v120, v[2:5]
.LBB37_195:
	s_or_b64 exec, exec, s[4:5]
	s_waitcnt lgkmcnt(0)
	; wave barrier
	s_waitcnt lgkmcnt(0)
	buffer_load_dword v2, off, s[0:3], 0 offset:400
	buffer_load_dword v3, off, s[0:3], 0 offset:404
	;; [unrolled: 1-line block ×60, first 2 shown]
	ds_read_b128 v[24:27], v1 offset:992
	ds_read_b128 v[28:31], v1 offset:1008
	;; [unrolled: 1-line block ×8, first 2 shown]
	v_cmp_lt_u32_e32 vcc, 22, v0
	ds_read_b128 v[76:79], v1 offset:1200
	s_waitcnt vmcnt(56) lgkmcnt(8)
	v_mul_f64 v[56:57], v[24:25], v[6:7]
	v_fmac_f64_e32 v[56:57], v[26:27], v[2:3]
	v_add_f64 v[56:57], v[56:57], 0
	v_mul_f64 v[6:7], v[26:27], v[6:7]
	s_waitcnt vmcnt(52) lgkmcnt(7)
	v_mul_f64 v[58:59], v[28:29], v[8:9]
	v_fmac_f64_e32 v[58:59], v[30:31], v[4:5]
	s_waitcnt vmcnt(50) lgkmcnt(6)
	v_mul_f64 v[60:61], v[32:33], v[10:11]
	v_add_f64 v[56:57], v[56:57], v[58:59]
	s_waitcnt vmcnt(48) lgkmcnt(4)
	v_mul_f64 v[64:65], v[40:41], v[12:13]
	v_fma_f64 v[2:3], v[24:25], v[2:3], -v[6:7]
	s_waitcnt vmcnt(46)
	v_fmac_f64_e32 v[64:65], v[42:43], v[14:15]
	v_mul_f64 v[6:7], v[30:31], v[8:9]
	s_waitcnt vmcnt(44)
	v_mul_f64 v[62:63], v[36:37], v[16:17]
	v_add_f64 v[2:3], v[2:3], 0
	v_fma_f64 v[4:5], v[28:29], v[4:5], -v[6:7]
	v_add_f64 v[2:3], v[2:3], v[4:5]
	s_waitcnt vmcnt(40) lgkmcnt(3)
	v_mul_f64 v[66:67], v[44:45], v[22:23]
	v_mul_f64 v[4:5], v[34:35], v[10:11]
	s_waitcnt vmcnt(38)
	v_fmac_f64_e32 v[60:61], v[34:35], v[80:81]
	v_add_f64 v[56:57], v[56:57], v[60:61]
	s_waitcnt vmcnt(36)
	v_fmac_f64_e32 v[62:63], v[38:39], v[82:83]
	v_add_f64 v[56:57], v[56:57], v[62:63]
	s_waitcnt vmcnt(34)
	v_fmac_f64_e32 v[66:67], v[46:47], v[84:85]
	v_add_f64 v[56:57], v[56:57], v[64:65]
	s_waitcnt vmcnt(32) lgkmcnt(2)
	v_mul_f64 v[58:59], v[48:49], v[18:19]
	v_add_f64 v[56:57], v[56:57], v[66:67]
	v_fmac_f64_e32 v[58:59], v[50:51], v[20:21]
	v_add_f64 v[60:61], v[56:57], v[58:59]
	ds_read_b128 v[56:59], v1 offset:1120
	v_fma_f64 v[4:5], v[32:33], v[80:81], -v[4:5]
	v_add_f64 v[2:3], v[2:3], v[4:5]
	v_mul_f64 v[4:5], v[38:39], v[16:17]
	v_fma_f64 v[4:5], v[36:37], v[82:83], -v[4:5]
	s_waitcnt vmcnt(28) lgkmcnt(2)
	v_mul_f64 v[62:63], v[52:53], v[90:91]
	v_add_f64 v[2:3], v[2:3], v[4:5]
	v_mul_f64 v[4:5], v[42:43], v[12:13]
	s_waitcnt vmcnt(26)
	v_fmac_f64_e32 v[62:63], v[54:55], v[92:93]
	v_fma_f64 v[4:5], v[40:41], v[14:15], -v[4:5]
	v_add_f64 v[64:65], v[60:61], v[62:63]
	ds_read_b128 v[60:63], v1 offset:1136
	s_waitcnt vmcnt(24) lgkmcnt(1)
	v_mul_f64 v[66:67], v[56:57], v[86:87]
	v_add_f64 v[2:3], v[2:3], v[4:5]
	v_mul_f64 v[4:5], v[46:47], v[22:23]
	v_fmac_f64_e32 v[66:67], v[58:59], v[88:89]
	v_fma_f64 v[4:5], v[44:45], v[84:85], -v[4:5]
	v_add_f64 v[68:69], v[64:65], v[66:67]
	ds_read_b128 v[64:67], v1 offset:1152
	v_add_f64 v[2:3], v[2:3], v[4:5]
	v_mul_f64 v[4:5], v[50:51], v[18:19]
	v_fma_f64 v[4:5], v[48:49], v[20:21], -v[4:5]
	v_add_f64 v[2:3], v[2:3], v[4:5]
	v_mul_f64 v[4:5], v[54:55], v[90:91]
	s_waitcnt vmcnt(20) lgkmcnt(1)
	v_mul_f64 v[70:71], v[60:61], v[98:99]
	v_fma_f64 v[4:5], v[52:53], v[92:93], -v[4:5]
	s_waitcnt vmcnt(18)
	v_fmac_f64_e32 v[70:71], v[62:63], v[100:101]
	v_add_f64 v[2:3], v[2:3], v[4:5]
	v_mul_f64 v[4:5], v[58:59], v[86:87]
	v_add_f64 v[72:73], v[68:69], v[70:71]
	ds_read_b128 v[68:71], v1 offset:1168
	s_waitcnt vmcnt(16) lgkmcnt(1)
	v_mul_f64 v[74:75], v[64:65], v[94:95]
	v_fma_f64 v[4:5], v[56:57], v[88:89], -v[4:5]
	v_fmac_f64_e32 v[74:75], v[66:67], v[96:97]
	v_add_f64 v[2:3], v[2:3], v[4:5]
	v_mul_f64 v[4:5], v[62:63], v[98:99]
	v_add_f64 v[118:119], v[72:73], v[74:75]
	ds_read_b128 v[72:75], v1 offset:1184
	v_fma_f64 v[4:5], v[60:61], v[100:101], -v[4:5]
	v_add_f64 v[2:3], v[2:3], v[4:5]
	v_mul_f64 v[4:5], v[66:67], v[94:95]
	v_fma_f64 v[4:5], v[64:65], v[96:97], -v[4:5]
	v_add_f64 v[2:3], v[2:3], v[4:5]
	s_waitcnt vmcnt(12) lgkmcnt(1)
	v_mul_f64 v[4:5], v[70:71], v[106:107]
	v_mul_f64 v[122:123], v[68:69], v[106:107]
	s_waitcnt vmcnt(10)
	v_fma_f64 v[4:5], v[68:69], v[108:109], -v[4:5]
	v_fmac_f64_e32 v[122:123], v[70:71], v[108:109]
	v_add_f64 v[2:3], v[2:3], v[4:5]
	s_waitcnt vmcnt(8) lgkmcnt(0)
	v_mul_f64 v[4:5], v[74:75], v[102:103]
	v_add_f64 v[118:119], v[118:119], v[122:123]
	v_mul_f64 v[122:123], v[72:73], v[102:103]
	v_fma_f64 v[4:5], v[72:73], v[104:105], -v[4:5]
	v_fmac_f64_e32 v[122:123], v[74:75], v[104:105]
	v_add_f64 v[2:3], v[2:3], v[4:5]
	s_waitcnt vmcnt(6)
	v_mul_f64 v[4:5], v[78:79], v[110:111]
	v_add_f64 v[118:119], v[118:119], v[122:123]
	v_mul_f64 v[122:123], v[76:77], v[110:111]
	s_waitcnt vmcnt(4)
	v_fma_f64 v[4:5], v[76:77], v[112:113], -v[4:5]
	v_fmac_f64_e32 v[122:123], v[78:79], v[112:113]
	v_add_f64 v[2:3], v[2:3], v[4:5]
	v_add_f64 v[118:119], v[118:119], v[122:123]
	s_waitcnt vmcnt(2)
	v_add_f64 v[2:3], v[114:115], -v[2:3]
	s_waitcnt vmcnt(0)
	v_add_f64 v[4:5], v[116:117], -v[118:119]
	buffer_store_dword v3, off, s[0:3], 0 offset:388
	buffer_store_dword v2, off, s[0:3], 0 offset:384
	;; [unrolled: 1-line block ×4, first 2 shown]
	s_and_saveexec_b64 s[4:5], vcc
	s_cbranch_execz .LBB37_197
; %bb.196:
	v_accvgpr_read_b32 v1, a90
	buffer_load_dword v2, v1, s[0:3], 0 offen
	buffer_load_dword v3, v1, s[0:3], 0 offen offset:4
	buffer_load_dword v4, v1, s[0:3], 0 offen offset:8
	;; [unrolled: 1-line block ×3, first 2 shown]
	v_mov_b32_e32 v1, 0
	buffer_store_dword v1, off, s[0:3], 0 offset:368
	buffer_store_dword v1, off, s[0:3], 0 offset:372
	;; [unrolled: 1-line block ×4, first 2 shown]
	s_waitcnt vmcnt(4)
	ds_write_b128 v120, v[2:5]
.LBB37_197:
	s_or_b64 exec, exec, s[4:5]
	s_waitcnt lgkmcnt(0)
	; wave barrier
	s_waitcnt lgkmcnt(0)
	buffer_load_dword v2, off, s[0:3], 0 offset:384
	buffer_load_dword v3, off, s[0:3], 0 offset:388
	;; [unrolled: 1-line block ×64, first 2 shown]
	v_mov_b32_e32 v1, 0
	ds_read_b128 v[30:33], v1 offset:976
	ds_read_b128 v[34:37], v1 offset:992
	;; [unrolled: 1-line block ×7, first 2 shown]
	v_cmp_lt_u32_e32 vcc, 21, v0
	s_waitcnt vmcnt(60) lgkmcnt(6)
	v_mul_f64 v[54:55], v[30:31], v[6:7]
	v_fmac_f64_e32 v[54:55], v[32:33], v[2:3]
	v_add_f64 v[54:55], v[54:55], 0
	v_mul_f64 v[6:7], v[32:33], v[6:7]
	s_waitcnt vmcnt(56) lgkmcnt(5)
	v_mul_f64 v[56:57], v[34:35], v[8:9]
	v_fmac_f64_e32 v[56:57], v[36:37], v[4:5]
	s_waitcnt vmcnt(54) lgkmcnt(4)
	v_mul_f64 v[58:59], v[38:39], v[10:11]
	v_add_f64 v[54:55], v[54:55], v[56:57]
	v_fma_f64 v[2:3], v[30:31], v[2:3], -v[6:7]
	v_mul_f64 v[6:7], v[36:37], v[8:9]
	s_waitcnt vmcnt(50) lgkmcnt(3)
	v_mul_f64 v[60:61], v[42:43], v[16:17]
	s_waitcnt vmcnt(49) lgkmcnt(2)
	v_mul_f64 v[62:63], v[46:47], v[12:13]
	v_add_f64 v[2:3], v[2:3], 0
	s_waitcnt vmcnt(47)
	v_fmac_f64_e32 v[58:59], v[40:41], v[20:21]
	v_add_f64 v[54:55], v[54:55], v[58:59]
	s_waitcnt vmcnt(45)
	v_fmac_f64_e32 v[60:61], v[44:45], v[18:19]
	v_add_f64 v[54:55], v[54:55], v[60:61]
	s_waitcnt vmcnt(44)
	v_fmac_f64_e32 v[62:63], v[48:49], v[14:15]
	v_add_f64 v[58:59], v[54:55], v[62:63]
	ds_read_b128 v[54:57], v1 offset:1072
	s_waitcnt vmcnt(40) lgkmcnt(2)
	v_mul_f64 v[60:61], v[50:51], v[26:27]
	v_fma_f64 v[4:5], v[34:35], v[4:5], -v[6:7]
	s_waitcnt vmcnt(38)
	v_fmac_f64_e32 v[60:61], v[52:53], v[28:29]
	v_add_f64 v[62:63], v[58:59], v[60:61]
	ds_read_b128 v[58:61], v1 offset:1088
	s_waitcnt vmcnt(36) lgkmcnt(1)
	v_mul_f64 v[64:65], v[54:55], v[22:23]
	v_fmac_f64_e32 v[64:65], v[56:57], v[24:25]
	v_add_f64 v[2:3], v[2:3], v[4:5]
	v_mul_f64 v[4:5], v[40:41], v[10:11]
	v_add_f64 v[66:67], v[62:63], v[64:65]
	ds_read_b128 v[62:65], v1 offset:1104
	s_waitcnt vmcnt(32) lgkmcnt(1)
	v_mul_f64 v[68:69], v[58:59], v[94:95]
	v_fma_f64 v[4:5], v[38:39], v[20:21], -v[4:5]
	s_waitcnt vmcnt(30)
	v_fmac_f64_e32 v[68:69], v[60:61], v[96:97]
	v_add_f64 v[2:3], v[2:3], v[4:5]
	v_mul_f64 v[4:5], v[44:45], v[16:17]
	v_add_f64 v[70:71], v[66:67], v[68:69]
	ds_read_b128 v[66:69], v1 offset:1120
	v_fma_f64 v[4:5], v[42:43], v[18:19], -v[4:5]
	v_add_f64 v[2:3], v[2:3], v[4:5]
	v_mul_f64 v[4:5], v[48:49], v[12:13]
	v_fma_f64 v[4:5], v[46:47], v[14:15], -v[4:5]
	s_waitcnt vmcnt(28) lgkmcnt(1)
	v_mul_f64 v[72:73], v[62:63], v[90:91]
	v_add_f64 v[2:3], v[2:3], v[4:5]
	v_mul_f64 v[4:5], v[52:53], v[26:27]
	v_fmac_f64_e32 v[72:73], v[64:65], v[92:93]
	v_fma_f64 v[4:5], v[50:51], v[28:29], -v[4:5]
	v_add_f64 v[74:75], v[70:71], v[72:73]
	ds_read_b128 v[70:73], v1 offset:1136
	s_waitcnt vmcnt(24) lgkmcnt(1)
	v_mul_f64 v[76:77], v[66:67], v[102:103]
	v_add_f64 v[2:3], v[2:3], v[4:5]
	v_mul_f64 v[4:5], v[56:57], v[22:23]
	s_waitcnt vmcnt(22)
	v_fmac_f64_e32 v[76:77], v[68:69], v[104:105]
	v_fma_f64 v[4:5], v[54:55], v[24:25], -v[4:5]
	v_add_f64 v[78:79], v[74:75], v[76:77]
	ds_read_b128 v[74:77], v1 offset:1152
	v_add_f64 v[2:3], v[2:3], v[4:5]
	v_mul_f64 v[4:5], v[60:61], v[94:95]
	v_fma_f64 v[4:5], v[58:59], v[96:97], -v[4:5]
	v_add_f64 v[2:3], v[2:3], v[4:5]
	v_mul_f64 v[4:5], v[64:65], v[90:91]
	s_waitcnt vmcnt(20) lgkmcnt(1)
	v_mul_f64 v[80:81], v[70:71], v[98:99]
	v_fma_f64 v[4:5], v[62:63], v[92:93], -v[4:5]
	v_fmac_f64_e32 v[80:81], v[72:73], v[100:101]
	v_add_f64 v[2:3], v[2:3], v[4:5]
	v_mul_f64 v[4:5], v[68:69], v[102:103]
	v_add_f64 v[82:83], v[78:79], v[80:81]
	ds_read_b128 v[78:81], v1 offset:1168
	s_waitcnt vmcnt(16) lgkmcnt(1)
	v_mul_f64 v[84:85], v[74:75], v[110:111]
	v_fma_f64 v[4:5], v[66:67], v[104:105], -v[4:5]
	s_waitcnt vmcnt(14)
	v_fmac_f64_e32 v[84:85], v[76:77], v[112:113]
	v_add_f64 v[2:3], v[2:3], v[4:5]
	v_mul_f64 v[4:5], v[72:73], v[98:99]
	v_add_f64 v[128:129], v[82:83], v[84:85]
	ds_read_b128 v[82:85], v1 offset:1184
	v_fma_f64 v[4:5], v[70:71], v[100:101], -v[4:5]
	v_add_f64 v[2:3], v[2:3], v[4:5]
	v_mul_f64 v[4:5], v[76:77], v[110:111]
	v_fma_f64 v[4:5], v[74:75], v[112:113], -v[4:5]
	v_add_f64 v[2:3], v[2:3], v[4:5]
	s_waitcnt vmcnt(12) lgkmcnt(1)
	v_mul_f64 v[4:5], v[80:81], v[106:107]
	v_mul_f64 v[130:131], v[78:79], v[106:107]
	v_fma_f64 v[4:5], v[78:79], v[108:109], -v[4:5]
	v_fmac_f64_e32 v[130:131], v[80:81], v[108:109]
	v_add_f64 v[2:3], v[2:3], v[4:5]
	s_waitcnt vmcnt(8) lgkmcnt(0)
	v_mul_f64 v[4:5], v[84:85], v[118:119]
	v_add_f64 v[128:129], v[128:129], v[130:131]
	v_mul_f64 v[130:131], v[82:83], v[118:119]
	s_waitcnt vmcnt(6)
	v_fma_f64 v[4:5], v[82:83], v[122:123], -v[4:5]
	v_fmac_f64_e32 v[130:131], v[84:85], v[122:123]
	v_add_f64 v[2:3], v[2:3], v[4:5]
	s_waitcnt vmcnt(5)
	v_mul_f64 v[4:5], v[88:89], v[114:115]
	v_add_f64 v[128:129], v[128:129], v[130:131]
	v_mul_f64 v[130:131], v[86:87], v[114:115]
	s_waitcnt vmcnt(4)
	v_fma_f64 v[4:5], v[86:87], v[116:117], -v[4:5]
	v_fmac_f64_e32 v[130:131], v[88:89], v[116:117]
	v_add_f64 v[2:3], v[2:3], v[4:5]
	v_add_f64 v[128:129], v[128:129], v[130:131]
	s_waitcnt vmcnt(2)
	v_add_f64 v[2:3], v[124:125], -v[2:3]
	s_waitcnt vmcnt(0)
	v_add_f64 v[4:5], v[126:127], -v[128:129]
	buffer_store_dword v3, off, s[0:3], 0 offset:372
	buffer_store_dword v2, off, s[0:3], 0 offset:368
	;; [unrolled: 1-line block ×4, first 2 shown]
	s_and_saveexec_b64 s[4:5], vcc
	s_cbranch_execz .LBB37_199
; %bb.198:
	v_accvgpr_read_b32 v5, a91
	buffer_load_dword v2, v5, s[0:3], 0 offen
	buffer_load_dword v3, v5, s[0:3], 0 offen offset:4
	buffer_load_dword v4, v5, s[0:3], 0 offen offset:8
	s_nop 0
	buffer_load_dword v5, v5, s[0:3], 0 offen offset:12
	s_nop 0
	buffer_store_dword v1, off, s[0:3], 0 offset:352
	buffer_store_dword v1, off, s[0:3], 0 offset:356
	;; [unrolled: 1-line block ×4, first 2 shown]
	s_waitcnt vmcnt(4)
	ds_write_b128 v120, v[2:5]
.LBB37_199:
	s_or_b64 exec, exec, s[4:5]
	s_waitcnt lgkmcnt(0)
	; wave barrier
	s_waitcnt lgkmcnt(0)
	buffer_load_dword v2, off, s[0:3], 0 offset:368
	buffer_load_dword v3, off, s[0:3], 0 offset:372
	buffer_load_dword v4, off, s[0:3], 0 offset:376
	buffer_load_dword v5, off, s[0:3], 0 offset:380
	buffer_load_dword v6, off, s[0:3], 0 offset:392
	buffer_load_dword v7, off, s[0:3], 0 offset:396
	buffer_load_dword v8, off, s[0:3], 0 offset:408
	buffer_load_dword v9, off, s[0:3], 0 offset:412
	buffer_load_dword v10, off, s[0:3], 0 offset:440
	buffer_load_dword v12, off, s[0:3], 0 offset:432
	buffer_load_dword v15, off, s[0:3], 0 offset:428
	buffer_load_dword v14, off, s[0:3], 0 offset:424
	buffer_load_dword v20, off, s[0:3], 0 offset:384
	buffer_load_dword v21, off, s[0:3], 0 offset:388
	buffer_load_dword v18, off, s[0:3], 0 offset:400
	buffer_load_dword v19, off, s[0:3], 0 offset:404
	buffer_load_dword v17, off, s[0:3], 0 offset:420
	buffer_load_dword v16, off, s[0:3], 0 offset:416
	buffer_load_dword v13, off, s[0:3], 0 offset:436
	buffer_load_dword v11, off, s[0:3], 0 offset:444
	buffer_load_dword v22, off, s[0:3], 0 offset:472
	buffer_load_dword v24, off, s[0:3], 0 offset:464
	buffer_load_dword v27, off, s[0:3], 0 offset:460
	buffer_load_dword v26, off, s[0:3], 0 offset:456
	buffer_load_dword v29, off, s[0:3], 0 offset:452
	buffer_load_dword v28, off, s[0:3], 0 offset:448
	buffer_load_dword v25, off, s[0:3], 0 offset:468
	buffer_load_dword v23, off, s[0:3], 0 offset:476
	buffer_load_dword v30, off, s[0:3], 0 offset:504
	buffer_load_dword v32, off, s[0:3], 0 offset:496
	buffer_load_dword v35, off, s[0:3], 0 offset:492
	buffer_load_dword v34, off, s[0:3], 0 offset:488
	buffer_load_dword v37, off, s[0:3], 0 offset:484
	buffer_load_dword v36, off, s[0:3], 0 offset:480
	buffer_load_dword v33, off, s[0:3], 0 offset:500
	buffer_load_dword v31, off, s[0:3], 0 offset:508
	buffer_load_dword v102, off, s[0:3], 0 offset:536
	buffer_load_dword v104, off, s[0:3], 0 offset:528
	buffer_load_dword v107, off, s[0:3], 0 offset:524
	buffer_load_dword v106, off, s[0:3], 0 offset:520
	buffer_load_dword v109, off, s[0:3], 0 offset:516
	buffer_load_dword v108, off, s[0:3], 0 offset:512
	buffer_load_dword v105, off, s[0:3], 0 offset:532
	buffer_load_dword v103, off, s[0:3], 0 offset:540
	buffer_load_dword v110, off, s[0:3], 0 offset:568
	buffer_load_dword v112, off, s[0:3], 0 offset:560
	buffer_load_dword v115, off, s[0:3], 0 offset:556
	buffer_load_dword v114, off, s[0:3], 0 offset:552
	buffer_load_dword v117, off, s[0:3], 0 offset:548
	buffer_load_dword v116, off, s[0:3], 0 offset:544
	buffer_load_dword v113, off, s[0:3], 0 offset:564
	buffer_load_dword v111, off, s[0:3], 0 offset:572
	buffer_load_dword v118, off, s[0:3], 0 offset:600
	buffer_load_dword v122, off, s[0:3], 0 offset:592
	buffer_load_dword v125, off, s[0:3], 0 offset:588
	buffer_load_dword v124, off, s[0:3], 0 offset:584
	buffer_load_dword v127, off, s[0:3], 0 offset:580
	buffer_load_dword v126, off, s[0:3], 0 offset:576
	buffer_load_dword v123, off, s[0:3], 0 offset:596
	buffer_load_dword v119, off, s[0:3], 0 offset:604
	buffer_load_dword v129, off, s[0:3], 0 offset:620
	buffer_load_dword v128, off, s[0:3], 0 offset:616
	buffer_load_dword v131, off, s[0:3], 0 offset:612
	buffer_load_dword v130, off, s[0:3], 0 offset:608
	ds_read_b128 v[38:41], v1 offset:960
	ds_read_b128 v[42:45], v1 offset:976
	;; [unrolled: 1-line block ×4, first 2 shown]
	buffer_load_dword v132, off, s[0:3], 0 offset:352
	buffer_load_dword v133, off, s[0:3], 0 offset:356
	;; [unrolled: 1-line block ×4, first 2 shown]
	v_cmp_lt_u32_e32 vcc, 20, v0
	ds_read_b128 v[98:101], v1 offset:1200
	s_waitcnt vmcnt(62) lgkmcnt(4)
	v_mul_f64 v[54:55], v[38:39], v[4:5]
	v_fmac_f64_e32 v[54:55], v[40:41], v[2:3]
	s_waitcnt lgkmcnt(3)
	v_mul_f64 v[56:57], v[42:43], v[6:7]
	v_add_f64 v[54:55], v[54:55], 0
	s_waitcnt vmcnt(60) lgkmcnt(2)
	v_mul_f64 v[58:59], v[46:47], v[8:9]
	v_mul_f64 v[4:5], v[40:41], v[4:5]
	v_fma_f64 v[2:3], v[38:39], v[2:3], -v[4:5]
	v_mul_f64 v[4:5], v[44:45], v[6:7]
	s_waitcnt vmcnt(56) lgkmcnt(1)
	v_mul_f64 v[60:61], v[50:51], v[14:15]
	v_add_f64 v[2:3], v[2:3], 0
	s_waitcnt vmcnt(54)
	v_fmac_f64_e32 v[56:57], v[44:45], v[20:21]
	v_add_f64 v[62:63], v[54:55], v[56:57]
	ds_read_b128 v[54:57], v1 offset:1024
	s_waitcnt vmcnt(52)
	v_fmac_f64_e32 v[58:59], v[48:49], v[18:19]
	v_add_f64 v[58:59], v[62:63], v[58:59]
	s_waitcnt vmcnt(50)
	v_fmac_f64_e32 v[60:61], v[52:53], v[16:17]
	v_add_f64 v[62:63], v[58:59], v[60:61]
	ds_read_b128 v[58:61], v1 offset:1040
	s_waitcnt vmcnt(48) lgkmcnt(1)
	v_mul_f64 v[64:65], v[54:55], v[10:11]
	v_fmac_f64_e32 v[64:65], v[56:57], v[12:13]
	v_add_f64 v[66:67], v[62:63], v[64:65]
	ds_read_b128 v[62:65], v1 offset:1056
	s_waitcnt vmcnt(44) lgkmcnt(1)
	v_mul_f64 v[68:69], v[58:59], v[26:27]
	s_waitcnt vmcnt(42)
	v_fmac_f64_e32 v[68:69], v[60:61], v[28:29]
	v_add_f64 v[70:71], v[66:67], v[68:69]
	ds_read_b128 v[66:69], v1 offset:1072
	s_waitcnt vmcnt(40) lgkmcnt(1)
	v_mul_f64 v[72:73], v[62:63], v[22:23]
	v_fmac_f64_e32 v[72:73], v[64:65], v[24:25]
	v_add_f64 v[74:75], v[70:71], v[72:73]
	ds_read_b128 v[70:73], v1 offset:1088
	v_fma_f64 v[4:5], v[42:43], v[20:21], -v[4:5]
	v_add_f64 v[2:3], v[2:3], v[4:5]
	v_mul_f64 v[4:5], v[48:49], v[8:9]
	s_waitcnt vmcnt(36) lgkmcnt(1)
	v_mul_f64 v[76:77], v[66:67], v[34:35]
	v_fma_f64 v[4:5], v[46:47], v[18:19], -v[4:5]
	s_waitcnt vmcnt(34)
	v_fmac_f64_e32 v[76:77], v[68:69], v[36:37]
	v_add_f64 v[2:3], v[2:3], v[4:5]
	v_mul_f64 v[4:5], v[52:53], v[14:15]
	v_add_f64 v[78:79], v[74:75], v[76:77]
	ds_read_b128 v[74:77], v1 offset:1104
	s_waitcnt vmcnt(32) lgkmcnt(1)
	v_mul_f64 v[80:81], v[70:71], v[30:31]
	v_fma_f64 v[4:5], v[50:51], v[16:17], -v[4:5]
	v_fmac_f64_e32 v[80:81], v[72:73], v[32:33]
	v_add_f64 v[2:3], v[2:3], v[4:5]
	v_mul_f64 v[4:5], v[56:57], v[10:11]
	v_add_f64 v[82:83], v[78:79], v[80:81]
	ds_read_b128 v[78:81], v1 offset:1120
	v_fma_f64 v[4:5], v[54:55], v[12:13], -v[4:5]
	v_add_f64 v[2:3], v[2:3], v[4:5]
	v_mul_f64 v[4:5], v[60:61], v[26:27]
	v_fma_f64 v[4:5], v[58:59], v[28:29], -v[4:5]
	s_waitcnt vmcnt(28) lgkmcnt(1)
	v_mul_f64 v[84:85], v[74:75], v[106:107]
	v_add_f64 v[2:3], v[2:3], v[4:5]
	v_mul_f64 v[4:5], v[64:65], v[22:23]
	s_waitcnt vmcnt(26)
	v_fmac_f64_e32 v[84:85], v[76:77], v[108:109]
	v_fma_f64 v[4:5], v[62:63], v[24:25], -v[4:5]
	v_add_f64 v[86:87], v[82:83], v[84:85]
	ds_read_b128 v[82:85], v1 offset:1136
	s_waitcnt vmcnt(24) lgkmcnt(1)
	v_mul_f64 v[88:89], v[78:79], v[102:103]
	v_add_f64 v[2:3], v[2:3], v[4:5]
	v_mul_f64 v[4:5], v[68:69], v[34:35]
	v_fmac_f64_e32 v[88:89], v[80:81], v[104:105]
	v_fma_f64 v[4:5], v[66:67], v[36:37], -v[4:5]
	v_add_f64 v[90:91], v[86:87], v[88:89]
	ds_read_b128 v[86:89], v1 offset:1152
	v_add_f64 v[2:3], v[2:3], v[4:5]
	v_mul_f64 v[4:5], v[72:73], v[30:31]
	v_fma_f64 v[4:5], v[70:71], v[32:33], -v[4:5]
	v_add_f64 v[2:3], v[2:3], v[4:5]
	v_mul_f64 v[4:5], v[76:77], v[106:107]
	s_waitcnt vmcnt(20) lgkmcnt(1)
	v_mul_f64 v[92:93], v[82:83], v[114:115]
	v_fma_f64 v[4:5], v[74:75], v[108:109], -v[4:5]
	s_waitcnt vmcnt(18)
	v_fmac_f64_e32 v[92:93], v[84:85], v[116:117]
	v_add_f64 v[2:3], v[2:3], v[4:5]
	v_mul_f64 v[4:5], v[80:81], v[102:103]
	v_add_f64 v[94:95], v[90:91], v[92:93]
	ds_read_b128 v[90:93], v1 offset:1168
	s_waitcnt vmcnt(16) lgkmcnt(1)
	v_mul_f64 v[96:97], v[86:87], v[110:111]
	v_fma_f64 v[4:5], v[78:79], v[104:105], -v[4:5]
	v_fmac_f64_e32 v[96:97], v[88:89], v[112:113]
	v_add_f64 v[2:3], v[2:3], v[4:5]
	v_mul_f64 v[4:5], v[84:85], v[114:115]
	v_add_f64 v[136:137], v[94:95], v[96:97]
	ds_read_b128 v[94:97], v1 offset:1184
	v_fma_f64 v[4:5], v[82:83], v[116:117], -v[4:5]
	v_add_f64 v[2:3], v[2:3], v[4:5]
	v_mul_f64 v[4:5], v[88:89], v[110:111]
	v_fma_f64 v[4:5], v[86:87], v[112:113], -v[4:5]
	v_add_f64 v[2:3], v[2:3], v[4:5]
	s_waitcnt vmcnt(12) lgkmcnt(1)
	v_mul_f64 v[4:5], v[92:93], v[124:125]
	v_mul_f64 v[138:139], v[90:91], v[124:125]
	s_waitcnt vmcnt(10)
	v_fma_f64 v[4:5], v[90:91], v[126:127], -v[4:5]
	v_fmac_f64_e32 v[138:139], v[92:93], v[126:127]
	v_add_f64 v[2:3], v[2:3], v[4:5]
	s_waitcnt vmcnt(8) lgkmcnt(0)
	v_mul_f64 v[4:5], v[96:97], v[118:119]
	v_add_f64 v[136:137], v[136:137], v[138:139]
	v_mul_f64 v[138:139], v[94:95], v[118:119]
	v_fma_f64 v[4:5], v[94:95], v[122:123], -v[4:5]
	v_fmac_f64_e32 v[138:139], v[96:97], v[122:123]
	v_add_f64 v[2:3], v[2:3], v[4:5]
	s_waitcnt vmcnt(6)
	v_mul_f64 v[4:5], v[100:101], v[128:129]
	v_add_f64 v[136:137], v[136:137], v[138:139]
	v_mul_f64 v[138:139], v[98:99], v[128:129]
	s_waitcnt vmcnt(4)
	v_fma_f64 v[4:5], v[98:99], v[130:131], -v[4:5]
	v_fmac_f64_e32 v[138:139], v[100:101], v[130:131]
	v_add_f64 v[2:3], v[2:3], v[4:5]
	v_add_f64 v[136:137], v[136:137], v[138:139]
	s_waitcnt vmcnt(2)
	v_add_f64 v[2:3], v[132:133], -v[2:3]
	s_waitcnt vmcnt(0)
	v_add_f64 v[4:5], v[134:135], -v[136:137]
	buffer_store_dword v3, off, s[0:3], 0 offset:356
	buffer_store_dword v2, off, s[0:3], 0 offset:352
	;; [unrolled: 1-line block ×4, first 2 shown]
	s_and_saveexec_b64 s[4:5], vcc
	s_cbranch_execz .LBB37_201
; %bb.200:
	v_accvgpr_read_b32 v1, a92
	buffer_load_dword v2, v1, s[0:3], 0 offen
	buffer_load_dword v3, v1, s[0:3], 0 offen offset:4
	buffer_load_dword v4, v1, s[0:3], 0 offen offset:8
	;; [unrolled: 1-line block ×3, first 2 shown]
	v_mov_b32_e32 v1, 0
	buffer_store_dword v1, off, s[0:3], 0 offset:336
	buffer_store_dword v1, off, s[0:3], 0 offset:340
	;; [unrolled: 1-line block ×4, first 2 shown]
	s_waitcnt vmcnt(4)
	ds_write_b128 v120, v[2:5]
.LBB37_201:
	s_or_b64 exec, exec, s[4:5]
	s_waitcnt lgkmcnt(0)
	; wave barrier
	s_waitcnt lgkmcnt(0)
	buffer_load_dword v2, off, s[0:3], 0 offset:352
	buffer_load_dword v3, off, s[0:3], 0 offset:356
	;; [unrolled: 1-line block ×68, first 2 shown]
	v_mov_b32_e32 v1, 0
	buffer_load_dword v140, off, s[0:3], 0 offset:336
	buffer_load_dword v141, off, s[0:3], 0 offset:340
	;; [unrolled: 1-line block ×3, first 2 shown]
	ds_read_b128 v[46:49], v1 offset:944
	ds_read_b128 v[50:53], v1 offset:960
	buffer_load_dword v143, off, s[0:3], 0 offset:348
	ds_read_b128 v[54:57], v1 offset:976
	ds_read_b128 v[58:61], v1 offset:992
	;; [unrolled: 1-line block ×3, first 2 shown]
	v_cmp_lt_u32_e32 vcc, 19, v0
	s_waitcnt vmcnt(62) lgkmcnt(4)
	v_mul_f64 v[62:63], v[46:47], v[6:7]
	v_fmac_f64_e32 v[62:63], v[48:49], v[2:3]
	v_add_f64 v[62:63], v[62:63], 0
	v_mul_f64 v[6:7], v[48:49], v[6:7]
	s_waitcnt lgkmcnt(3)
	v_mul_f64 v[64:65], v[50:51], v[10:11]
	v_fmac_f64_e32 v[64:65], v[52:53], v[4:5]
	v_add_f64 v[62:63], v[62:63], v[64:65]
	v_fma_f64 v[2:3], v[46:47], v[2:3], -v[6:7]
	s_waitcnt vmcnt(60) lgkmcnt(2)
	v_mul_f64 v[64:65], v[54:55], v[12:13]
	v_fmac_f64_e32 v[64:65], v[56:57], v[8:9]
	v_add_f64 v[66:67], v[62:63], v[64:65]
	ds_read_b128 v[62:65], v1 offset:1008
	s_waitcnt vmcnt(56) lgkmcnt(2)
	v_mul_f64 v[68:69], v[58:59], v[18:19]
	v_mul_f64 v[6:7], v[52:53], v[10:11]
	s_waitcnt vmcnt(54)
	v_fmac_f64_e32 v[68:69], v[60:61], v[20:21]
	v_add_f64 v[70:71], v[66:67], v[68:69]
	ds_read_b128 v[66:69], v1 offset:1024
	s_waitcnt vmcnt(53) lgkmcnt(1)
	v_mul_f64 v[72:73], v[62:63], v[14:15]
	s_waitcnt vmcnt(52)
	v_fmac_f64_e32 v[72:73], v[64:65], v[16:17]
	v_add_f64 v[74:75], v[70:71], v[72:73]
	ds_read_b128 v[70:73], v1 offset:1040
	s_waitcnt vmcnt(48) lgkmcnt(1)
	v_mul_f64 v[76:77], v[66:67], v[26:27]
	s_waitcnt vmcnt(46)
	v_fmac_f64_e32 v[76:77], v[68:69], v[28:29]
	v_add_f64 v[78:79], v[74:75], v[76:77]
	ds_read_b128 v[74:77], v1 offset:1056
	s_waitcnt vmcnt(45) lgkmcnt(1)
	v_mul_f64 v[80:81], v[70:71], v[22:23]
	s_waitcnt vmcnt(44)
	v_fmac_f64_e32 v[80:81], v[72:73], v[24:25]
	v_add_f64 v[82:83], v[78:79], v[80:81]
	ds_read_b128 v[78:81], v1 offset:1072
	s_waitcnt vmcnt(40) lgkmcnt(1)
	v_mul_f64 v[84:85], v[74:75], v[34:35]
	s_waitcnt vmcnt(38)
	v_fmac_f64_e32 v[84:85], v[76:77], v[36:37]
	v_add_f64 v[2:3], v[2:3], 0
	v_fma_f64 v[4:5], v[50:51], v[4:5], -v[6:7]
	v_add_f64 v[86:87], v[82:83], v[84:85]
	ds_read_b128 v[82:85], v1 offset:1088
	v_add_f64 v[2:3], v[2:3], v[4:5]
	v_mul_f64 v[4:5], v[56:57], v[12:13]
	v_fma_f64 v[4:5], v[54:55], v[8:9], -v[4:5]
	v_add_f64 v[2:3], v[2:3], v[4:5]
	v_mul_f64 v[4:5], v[60:61], v[18:19]
	s_waitcnt vmcnt(37) lgkmcnt(1)
	v_mul_f64 v[88:89], v[78:79], v[30:31]
	v_fma_f64 v[4:5], v[58:59], v[20:21], -v[4:5]
	s_waitcnt vmcnt(36)
	v_fmac_f64_e32 v[88:89], v[80:81], v[32:33]
	v_add_f64 v[2:3], v[2:3], v[4:5]
	v_mul_f64 v[4:5], v[64:65], v[14:15]
	v_add_f64 v[90:91], v[86:87], v[88:89]
	ds_read_b128 v[86:89], v1 offset:1104
	s_waitcnt vmcnt(32) lgkmcnt(1)
	v_mul_f64 v[92:93], v[82:83], v[42:43]
	v_fma_f64 v[4:5], v[62:63], v[16:17], -v[4:5]
	s_waitcnt vmcnt(30)
	v_fmac_f64_e32 v[92:93], v[84:85], v[44:45]
	v_add_f64 v[2:3], v[2:3], v[4:5]
	v_mul_f64 v[4:5], v[68:69], v[26:27]
	v_add_f64 v[94:95], v[90:91], v[92:93]
	ds_read_b128 v[90:93], v1 offset:1120
	v_fma_f64 v[4:5], v[66:67], v[28:29], -v[4:5]
	v_add_f64 v[2:3], v[2:3], v[4:5]
	v_mul_f64 v[4:5], v[72:73], v[22:23]
	v_fma_f64 v[4:5], v[70:71], v[24:25], -v[4:5]
	s_waitcnt vmcnt(29) lgkmcnt(1)
	v_mul_f64 v[96:97], v[86:87], v[38:39]
	v_add_f64 v[2:3], v[2:3], v[4:5]
	v_mul_f64 v[4:5], v[76:77], v[34:35]
	s_waitcnt vmcnt(28)
	v_fmac_f64_e32 v[96:97], v[88:89], v[40:41]
	v_fma_f64 v[4:5], v[74:75], v[36:37], -v[4:5]
	v_add_f64 v[98:99], v[94:95], v[96:97]
	ds_read_b128 v[94:97], v1 offset:1136
	s_waitcnt vmcnt(24) lgkmcnt(1)
	v_mul_f64 v[100:101], v[90:91], v[118:119]
	v_add_f64 v[2:3], v[2:3], v[4:5]
	v_mul_f64 v[4:5], v[80:81], v[30:31]
	s_waitcnt vmcnt(22)
	v_fmac_f64_e32 v[100:101], v[92:93], v[122:123]
	v_fma_f64 v[4:5], v[78:79], v[32:33], -v[4:5]
	v_add_f64 v[102:103], v[98:99], v[100:101]
	ds_read_b128 v[98:101], v1 offset:1152
	v_add_f64 v[2:3], v[2:3], v[4:5]
	v_mul_f64 v[4:5], v[84:85], v[42:43]
	v_fma_f64 v[4:5], v[82:83], v[44:45], -v[4:5]
	v_add_f64 v[2:3], v[2:3], v[4:5]
	v_mul_f64 v[4:5], v[88:89], v[38:39]
	s_waitcnt vmcnt(21) lgkmcnt(1)
	v_mul_f64 v[104:105], v[94:95], v[114:115]
	v_fma_f64 v[4:5], v[86:87], v[40:41], -v[4:5]
	s_waitcnt vmcnt(20)
	v_fmac_f64_e32 v[104:105], v[96:97], v[116:117]
	v_add_f64 v[2:3], v[2:3], v[4:5]
	v_mul_f64 v[4:5], v[92:93], v[118:119]
	v_add_f64 v[106:107], v[102:103], v[104:105]
	ds_read_b128 v[102:105], v1 offset:1168
	s_waitcnt vmcnt(16) lgkmcnt(1)
	v_mul_f64 v[108:109], v[98:99], v[128:129]
	v_fma_f64 v[4:5], v[90:91], v[122:123], -v[4:5]
	s_waitcnt vmcnt(14)
	v_fmac_f64_e32 v[108:109], v[100:101], v[130:131]
	v_add_f64 v[2:3], v[2:3], v[4:5]
	v_mul_f64 v[4:5], v[96:97], v[114:115]
	v_add_f64 v[144:145], v[106:107], v[108:109]
	ds_read_b128 v[106:109], v1 offset:1184
	v_fma_f64 v[4:5], v[94:95], v[116:117], -v[4:5]
	v_add_f64 v[2:3], v[2:3], v[4:5]
	v_mul_f64 v[4:5], v[100:101], v[128:129]
	v_fma_f64 v[4:5], v[98:99], v[130:131], -v[4:5]
	v_add_f64 v[2:3], v[2:3], v[4:5]
	s_waitcnt vmcnt(13) lgkmcnt(1)
	v_mul_f64 v[4:5], v[104:105], v[124:125]
	v_mul_f64 v[146:147], v[102:103], v[124:125]
	s_waitcnt vmcnt(12)
	v_fma_f64 v[4:5], v[102:103], v[126:127], -v[4:5]
	v_fmac_f64_e32 v[146:147], v[104:105], v[126:127]
	v_add_f64 v[2:3], v[2:3], v[4:5]
	s_waitcnt vmcnt(8) lgkmcnt(0)
	v_mul_f64 v[4:5], v[108:109], v[136:137]
	v_add_f64 v[144:145], v[144:145], v[146:147]
	v_mul_f64 v[146:147], v[106:107], v[136:137]
	s_waitcnt vmcnt(6)
	v_fma_f64 v[4:5], v[106:107], v[138:139], -v[4:5]
	v_fmac_f64_e32 v[146:147], v[108:109], v[138:139]
	v_add_f64 v[2:3], v[2:3], v[4:5]
	s_waitcnt vmcnt(5)
	v_mul_f64 v[4:5], v[112:113], v[132:133]
	v_add_f64 v[144:145], v[144:145], v[146:147]
	v_mul_f64 v[146:147], v[110:111], v[132:133]
	s_waitcnt vmcnt(4)
	v_fma_f64 v[4:5], v[110:111], v[134:135], -v[4:5]
	v_fmac_f64_e32 v[146:147], v[112:113], v[134:135]
	v_add_f64 v[2:3], v[2:3], v[4:5]
	v_add_f64 v[144:145], v[144:145], v[146:147]
	s_waitcnt vmcnt(2)
	v_add_f64 v[2:3], v[140:141], -v[2:3]
	s_waitcnt vmcnt(0)
	v_add_f64 v[4:5], v[142:143], -v[144:145]
	buffer_store_dword v3, off, s[0:3], 0 offset:340
	buffer_store_dword v2, off, s[0:3], 0 offset:336
	;; [unrolled: 1-line block ×4, first 2 shown]
	s_and_saveexec_b64 s[4:5], vcc
	s_cbranch_execz .LBB37_203
; %bb.202:
	v_accvgpr_read_b32 v5, a93
	buffer_load_dword v2, v5, s[0:3], 0 offen
	buffer_load_dword v3, v5, s[0:3], 0 offen offset:4
	buffer_load_dword v4, v5, s[0:3], 0 offen offset:8
	s_nop 0
	buffer_load_dword v5, v5, s[0:3], 0 offen offset:12
	s_nop 0
	buffer_store_dword v1, off, s[0:3], 0 offset:320
	buffer_store_dword v1, off, s[0:3], 0 offset:324
	;; [unrolled: 1-line block ×4, first 2 shown]
	s_waitcnt vmcnt(4)
	ds_write_b128 v120, v[2:5]
.LBB37_203:
	s_or_b64 exec, exec, s[4:5]
	s_waitcnt lgkmcnt(0)
	; wave barrier
	s_waitcnt lgkmcnt(0)
	buffer_load_dword v2, off, s[0:3], 0 offset:336
	buffer_load_dword v3, off, s[0:3], 0 offset:340
	;; [unrolled: 1-line block ×72, first 2 shown]
	ds_read_b128 v[52:55], v1 offset:928
	buffer_load_dword v148, off, s[0:3], 0 offset:320
	buffer_load_dword v149, off, s[0:3], 0 offset:324
	;; [unrolled: 1-line block ×4, first 2 shown]
	ds_read_b128 v[56:59], v1 offset:944
	ds_read_b128 v[60:63], v1 offset:960
	;; [unrolled: 1-line block ×3, first 2 shown]
	v_cmp_lt_u32_e32 vcc, 18, v0
	ds_read_b128 v[122:125], v1 offset:1200
	s_waitcnt vmcnt(62) lgkmcnt(4)
	v_mul_f64 v[68:69], v[52:53], v[8:9]
	v_fmac_f64_e32 v[68:69], v[54:55], v[2:3]
	v_add_f64 v[68:69], v[68:69], 0
	v_mul_f64 v[8:9], v[54:55], v[8:9]
	s_waitcnt lgkmcnt(3)
	v_mul_f64 v[70:71], v[56:57], v[10:11]
	v_fmac_f64_e32 v[70:71], v[58:59], v[4:5]
	v_add_f64 v[68:69], v[68:69], v[70:71]
	v_fma_f64 v[2:3], v[52:53], v[2:3], -v[8:9]
	s_waitcnt lgkmcnt(2)
	v_mul_f64 v[70:71], v[60:61], v[12:13]
	v_fmac_f64_e32 v[70:71], v[62:63], v[6:7]
	v_add_f64 v[72:73], v[68:69], v[70:71]
	ds_read_b128 v[68:71], v1 offset:992
	s_waitcnt vmcnt(60) lgkmcnt(2)
	v_mul_f64 v[74:75], v[64:65], v[18:19]
	v_mul_f64 v[8:9], v[58:59], v[10:11]
	s_waitcnt vmcnt(58)
	v_fmac_f64_e32 v[74:75], v[66:67], v[20:21]
	v_add_f64 v[76:77], v[72:73], v[74:75]
	ds_read_b128 v[72:75], v1 offset:1008
	s_waitcnt vmcnt(57) lgkmcnt(1)
	v_mul_f64 v[78:79], v[68:69], v[14:15]
	s_waitcnt vmcnt(56)
	v_fmac_f64_e32 v[78:79], v[70:71], v[16:17]
	v_add_f64 v[80:81], v[76:77], v[78:79]
	ds_read_b128 v[76:79], v1 offset:1024
	s_waitcnt vmcnt(52) lgkmcnt(1)
	;; [unrolled: 6-line block ×4, first 2 shown]
	v_mul_f64 v[90:91], v[80:81], v[34:35]
	s_waitcnt vmcnt(42)
	v_fmac_f64_e32 v[90:91], v[82:83], v[36:37]
	v_add_f64 v[2:3], v[2:3], 0
	v_fma_f64 v[4:5], v[56:57], v[4:5], -v[8:9]
	v_add_f64 v[92:93], v[88:89], v[90:91]
	ds_read_b128 v[88:91], v1 offset:1072
	s_waitcnt vmcnt(41) lgkmcnt(1)
	v_mul_f64 v[94:95], v[84:85], v[30:31]
	v_add_f64 v[2:3], v[2:3], v[4:5]
	v_mul_f64 v[4:5], v[62:63], v[12:13]
	s_waitcnt vmcnt(40)
	v_fmac_f64_e32 v[94:95], v[86:87], v[32:33]
	v_fma_f64 v[4:5], v[60:61], v[6:7], -v[4:5]
	v_add_f64 v[96:97], v[92:93], v[94:95]
	ds_read_b128 v[92:95], v1 offset:1088
	v_add_f64 v[2:3], v[2:3], v[4:5]
	v_mul_f64 v[4:5], v[66:67], v[18:19]
	v_fma_f64 v[4:5], v[64:65], v[20:21], -v[4:5]
	v_add_f64 v[2:3], v[2:3], v[4:5]
	v_mul_f64 v[4:5], v[70:71], v[14:15]
	s_waitcnt vmcnt(36) lgkmcnt(1)
	v_mul_f64 v[98:99], v[88:89], v[42:43]
	v_fma_f64 v[4:5], v[68:69], v[16:17], -v[4:5]
	s_waitcnt vmcnt(34)
	v_fmac_f64_e32 v[98:99], v[90:91], v[44:45]
	v_add_f64 v[2:3], v[2:3], v[4:5]
	v_mul_f64 v[4:5], v[74:75], v[26:27]
	v_add_f64 v[100:101], v[96:97], v[98:99]
	ds_read_b128 v[96:99], v1 offset:1104
	s_waitcnt vmcnt(33) lgkmcnt(1)
	v_mul_f64 v[102:103], v[92:93], v[38:39]
	v_fma_f64 v[4:5], v[72:73], v[28:29], -v[4:5]
	s_waitcnt vmcnt(32)
	v_fmac_f64_e32 v[102:103], v[94:95], v[40:41]
	v_add_f64 v[2:3], v[2:3], v[4:5]
	v_mul_f64 v[4:5], v[78:79], v[22:23]
	v_add_f64 v[104:105], v[100:101], v[102:103]
	ds_read_b128 v[100:103], v1 offset:1120
	v_fma_f64 v[4:5], v[76:77], v[24:25], -v[4:5]
	v_add_f64 v[2:3], v[2:3], v[4:5]
	v_mul_f64 v[4:5], v[82:83], v[34:35]
	v_fma_f64 v[4:5], v[80:81], v[36:37], -v[4:5]
	s_waitcnt vmcnt(28) lgkmcnt(1)
	v_mul_f64 v[106:107], v[96:97], v[50:51]
	v_add_f64 v[2:3], v[2:3], v[4:5]
	v_mul_f64 v[4:5], v[86:87], v[30:31]
	s_waitcnt vmcnt(26)
	v_fmac_f64_e32 v[106:107], v[98:99], v[126:127]
	v_fma_f64 v[4:5], v[84:85], v[32:33], -v[4:5]
	v_add_f64 v[108:109], v[104:105], v[106:107]
	ds_read_b128 v[104:107], v1 offset:1136
	s_waitcnt vmcnt(25) lgkmcnt(1)
	v_mul_f64 v[110:111], v[100:101], v[46:47]
	v_add_f64 v[2:3], v[2:3], v[4:5]
	v_mul_f64 v[4:5], v[90:91], v[42:43]
	s_waitcnt vmcnt(24)
	v_fmac_f64_e32 v[110:111], v[102:103], v[48:49]
	v_fma_f64 v[4:5], v[88:89], v[44:45], -v[4:5]
	v_add_f64 v[112:113], v[108:109], v[110:111]
	ds_read_b128 v[108:111], v1 offset:1152
	v_add_f64 v[2:3], v[2:3], v[4:5]
	v_mul_f64 v[4:5], v[94:95], v[38:39]
	v_fma_f64 v[4:5], v[92:93], v[40:41], -v[4:5]
	v_add_f64 v[2:3], v[2:3], v[4:5]
	v_mul_f64 v[4:5], v[98:99], v[50:51]
	s_waitcnt vmcnt(20) lgkmcnt(1)
	v_mul_f64 v[114:115], v[104:105], v[132:133]
	v_fma_f64 v[4:5], v[96:97], v[126:127], -v[4:5]
	s_waitcnt vmcnt(18)
	v_fmac_f64_e32 v[114:115], v[106:107], v[134:135]
	v_add_f64 v[2:3], v[2:3], v[4:5]
	v_mul_f64 v[4:5], v[102:103], v[46:47]
	v_add_f64 v[116:117], v[112:113], v[114:115]
	ds_read_b128 v[112:115], v1 offset:1168
	s_waitcnt vmcnt(17) lgkmcnt(1)
	v_mul_f64 v[118:119], v[108:109], v[128:129]
	v_fma_f64 v[4:5], v[100:101], v[48:49], -v[4:5]
	s_waitcnt vmcnt(16)
	v_fmac_f64_e32 v[118:119], v[110:111], v[130:131]
	v_add_f64 v[2:3], v[2:3], v[4:5]
	v_mul_f64 v[4:5], v[106:107], v[132:133]
	v_add_f64 v[152:153], v[116:117], v[118:119]
	ds_read_b128 v[116:119], v1 offset:1184
	v_fma_f64 v[4:5], v[104:105], v[134:135], -v[4:5]
	v_add_f64 v[2:3], v[2:3], v[4:5]
	v_mul_f64 v[4:5], v[110:111], v[128:129]
	v_fma_f64 v[4:5], v[108:109], v[130:131], -v[4:5]
	v_add_f64 v[2:3], v[2:3], v[4:5]
	s_waitcnt vmcnt(12) lgkmcnt(1)
	v_mul_f64 v[4:5], v[114:115], v[140:141]
	v_mul_f64 v[154:155], v[112:113], v[140:141]
	s_waitcnt vmcnt(10)
	v_fma_f64 v[4:5], v[112:113], v[142:143], -v[4:5]
	v_fmac_f64_e32 v[154:155], v[114:115], v[142:143]
	v_add_f64 v[2:3], v[2:3], v[4:5]
	s_waitcnt vmcnt(9) lgkmcnt(0)
	v_mul_f64 v[4:5], v[118:119], v[136:137]
	v_add_f64 v[152:153], v[152:153], v[154:155]
	v_mul_f64 v[154:155], v[116:117], v[136:137]
	s_waitcnt vmcnt(8)
	v_fma_f64 v[4:5], v[116:117], v[138:139], -v[4:5]
	v_fmac_f64_e32 v[154:155], v[118:119], v[138:139]
	v_add_f64 v[2:3], v[2:3], v[4:5]
	s_waitcnt vmcnt(6)
	v_mul_f64 v[4:5], v[124:125], v[144:145]
	v_add_f64 v[152:153], v[152:153], v[154:155]
	v_mul_f64 v[154:155], v[122:123], v[144:145]
	s_waitcnt vmcnt(4)
	v_fma_f64 v[4:5], v[122:123], v[146:147], -v[4:5]
	v_fmac_f64_e32 v[154:155], v[124:125], v[146:147]
	v_add_f64 v[2:3], v[2:3], v[4:5]
	v_add_f64 v[152:153], v[152:153], v[154:155]
	s_waitcnt vmcnt(2)
	v_add_f64 v[2:3], v[148:149], -v[2:3]
	s_waitcnt vmcnt(0)
	v_add_f64 v[4:5], v[150:151], -v[152:153]
	buffer_store_dword v3, off, s[0:3], 0 offset:324
	buffer_store_dword v2, off, s[0:3], 0 offset:320
	;; [unrolled: 1-line block ×4, first 2 shown]
	s_and_saveexec_b64 s[4:5], vcc
	s_cbranch_execz .LBB37_205
; %bb.204:
	v_accvgpr_read_b32 v1, a94
	buffer_load_dword v2, v1, s[0:3], 0 offen
	buffer_load_dword v3, v1, s[0:3], 0 offen offset:4
	buffer_load_dword v4, v1, s[0:3], 0 offen offset:8
	;; [unrolled: 1-line block ×3, first 2 shown]
	v_mov_b32_e32 v1, 0
	buffer_store_dword v1, off, s[0:3], 0 offset:304
	buffer_store_dword v1, off, s[0:3], 0 offset:308
	;; [unrolled: 1-line block ×4, first 2 shown]
	s_waitcnt vmcnt(4)
	ds_write_b128 v120, v[2:5]
.LBB37_205:
	s_or_b64 exec, exec, s[4:5]
	s_waitcnt lgkmcnt(0)
	; wave barrier
	s_waitcnt lgkmcnt(0)
	buffer_load_dword v2, off, s[0:3], 0 offset:320
	buffer_load_dword v3, off, s[0:3], 0 offset:324
	;; [unrolled: 1-line block ×76, first 2 shown]
	v_mov_b32_e32 v1, 0
	ds_read_b128 v[54:57], v1 offset:912
	buffer_load_dword v156, off, s[0:3], 0 offset:304
	buffer_load_dword v157, off, s[0:3], 0 offset:308
	buffer_load_dword v158, off, s[0:3], 0 offset:312
	buffer_load_dword v159, off, s[0:3], 0 offset:316
	ds_read_b128 v[58:61], v1 offset:928
	ds_read_b128 v[62:65], v1 offset:944
	;; [unrolled: 1-line block ×4, first 2 shown]
	v_cmp_lt_u32_e32 vcc, 17, v0
	s_waitcnt vmcnt(62) lgkmcnt(4)
	v_mul_f64 v[70:71], v[54:55], v[8:9]
	v_fmac_f64_e32 v[70:71], v[56:57], v[2:3]
	v_add_f64 v[70:71], v[70:71], 0
	v_mul_f64 v[8:9], v[56:57], v[8:9]
	s_waitcnt lgkmcnt(3)
	v_mul_f64 v[72:73], v[58:59], v[10:11]
	v_fmac_f64_e32 v[72:73], v[60:61], v[4:5]
	v_add_f64 v[70:71], v[70:71], v[72:73]
	v_fma_f64 v[2:3], v[54:55], v[2:3], -v[8:9]
	s_waitcnt lgkmcnt(2)
	v_mul_f64 v[72:73], v[62:63], v[12:13]
	v_fmac_f64_e32 v[72:73], v[64:65], v[6:7]
	v_add_f64 v[74:75], v[70:71], v[72:73]
	ds_read_b128 v[70:73], v1 offset:976
	s_waitcnt lgkmcnt(2)
	v_mul_f64 v[76:77], v[66:67], v[18:19]
	v_mul_f64 v[8:9], v[60:61], v[10:11]
	v_fmac_f64_e32 v[76:77], v[68:69], v[20:21]
	v_add_f64 v[78:79], v[74:75], v[76:77]
	ds_read_b128 v[74:77], v1 offset:992
	s_waitcnt vmcnt(61) lgkmcnt(1)
	v_mul_f64 v[80:81], v[70:71], v[14:15]
	s_waitcnt vmcnt(60)
	v_fmac_f64_e32 v[80:81], v[72:73], v[16:17]
	v_add_f64 v[82:83], v[78:79], v[80:81]
	ds_read_b128 v[78:81], v1 offset:1008
	s_waitcnt vmcnt(56) lgkmcnt(1)
	v_mul_f64 v[84:85], v[74:75], v[26:27]
	s_waitcnt vmcnt(54)
	;; [unrolled: 6-line block ×4, first 2 shown]
	v_fmac_f64_e32 v[92:93], v[84:85], v[36:37]
	v_add_f64 v[94:95], v[90:91], v[92:93]
	ds_read_b128 v[90:93], v1 offset:1056
	v_add_f64 v[2:3], v[2:3], 0
	v_fma_f64 v[4:5], v[58:59], v[4:5], -v[8:9]
	s_waitcnt vmcnt(45) lgkmcnt(1)
	v_mul_f64 v[96:97], v[86:87], v[30:31]
	v_add_f64 v[2:3], v[2:3], v[4:5]
	v_mul_f64 v[4:5], v[64:65], v[12:13]
	s_waitcnt vmcnt(44)
	v_fmac_f64_e32 v[96:97], v[88:89], v[32:33]
	v_fma_f64 v[4:5], v[62:63], v[6:7], -v[4:5]
	v_add_f64 v[98:99], v[94:95], v[96:97]
	ds_read_b128 v[94:97], v1 offset:1072
	s_waitcnt vmcnt(40) lgkmcnt(1)
	v_mul_f64 v[100:101], v[90:91], v[42:43]
	v_add_f64 v[2:3], v[2:3], v[4:5]
	v_mul_f64 v[4:5], v[68:69], v[18:19]
	s_waitcnt vmcnt(38)
	v_fmac_f64_e32 v[100:101], v[92:93], v[44:45]
	v_fma_f64 v[4:5], v[66:67], v[20:21], -v[4:5]
	v_add_f64 v[102:103], v[98:99], v[100:101]
	ds_read_b128 v[98:101], v1 offset:1088
	v_add_f64 v[2:3], v[2:3], v[4:5]
	v_mul_f64 v[4:5], v[72:73], v[14:15]
	v_fma_f64 v[4:5], v[70:71], v[16:17], -v[4:5]
	v_add_f64 v[2:3], v[2:3], v[4:5]
	v_mul_f64 v[4:5], v[76:77], v[26:27]
	s_waitcnt vmcnt(37) lgkmcnt(1)
	v_mul_f64 v[104:105], v[94:95], v[38:39]
	v_fma_f64 v[4:5], v[74:75], v[28:29], -v[4:5]
	s_waitcnt vmcnt(36)
	v_fmac_f64_e32 v[104:105], v[96:97], v[40:41]
	v_add_f64 v[2:3], v[2:3], v[4:5]
	v_mul_f64 v[4:5], v[80:81], v[22:23]
	v_add_f64 v[106:107], v[102:103], v[104:105]
	ds_read_b128 v[102:105], v1 offset:1104
	s_waitcnt vmcnt(32) lgkmcnt(1)
	v_mul_f64 v[108:109], v[98:99], v[50:51]
	v_fma_f64 v[4:5], v[78:79], v[24:25], -v[4:5]
	s_waitcnt vmcnt(30)
	v_fmac_f64_e32 v[108:109], v[100:101], v[52:53]
	v_add_f64 v[2:3], v[2:3], v[4:5]
	v_mul_f64 v[4:5], v[84:85], v[34:35]
	v_add_f64 v[110:111], v[106:107], v[108:109]
	ds_read_b128 v[106:109], v1 offset:1120
	v_fma_f64 v[4:5], v[82:83], v[36:37], -v[4:5]
	v_add_f64 v[2:3], v[2:3], v[4:5]
	v_mul_f64 v[4:5], v[88:89], v[30:31]
	v_fma_f64 v[4:5], v[86:87], v[32:33], -v[4:5]
	s_waitcnt vmcnt(29) lgkmcnt(1)
	v_mul_f64 v[112:113], v[102:103], v[46:47]
	v_add_f64 v[2:3], v[2:3], v[4:5]
	v_mul_f64 v[4:5], v[92:93], v[42:43]
	s_waitcnt vmcnt(28)
	v_fmac_f64_e32 v[112:113], v[104:105], v[48:49]
	v_fma_f64 v[4:5], v[90:91], v[44:45], -v[4:5]
	v_add_f64 v[114:115], v[110:111], v[112:113]
	ds_read_b128 v[110:113], v1 offset:1136
	s_waitcnt vmcnt(24) lgkmcnt(1)
	v_mul_f64 v[116:117], v[106:107], v[136:137]
	v_add_f64 v[2:3], v[2:3], v[4:5]
	v_mul_f64 v[4:5], v[96:97], v[38:39]
	s_waitcnt vmcnt(22)
	v_fmac_f64_e32 v[116:117], v[108:109], v[138:139]
	v_fma_f64 v[4:5], v[94:95], v[40:41], -v[4:5]
	v_add_f64 v[122:123], v[114:115], v[116:117]
	ds_read_b128 v[114:117], v1 offset:1152
	v_add_f64 v[2:3], v[2:3], v[4:5]
	v_mul_f64 v[4:5], v[100:101], v[50:51]
	v_fma_f64 v[4:5], v[98:99], v[52:53], -v[4:5]
	v_add_f64 v[2:3], v[2:3], v[4:5]
	v_mul_f64 v[4:5], v[104:105], v[46:47]
	s_waitcnt vmcnt(21) lgkmcnt(1)
	v_mul_f64 v[124:125], v[110:111], v[118:119]
	v_fma_f64 v[4:5], v[102:103], v[48:49], -v[4:5]
	s_waitcnt vmcnt(20)
	v_fmac_f64_e32 v[124:125], v[112:113], v[134:135]
	v_add_f64 v[2:3], v[2:3], v[4:5]
	v_mul_f64 v[4:5], v[108:109], v[136:137]
	v_add_f64 v[126:127], v[122:123], v[124:125]
	ds_read_b128 v[122:125], v1 offset:1168
	s_waitcnt vmcnt(16) lgkmcnt(1)
	v_mul_f64 v[128:129], v[114:115], v[144:145]
	v_fma_f64 v[4:5], v[106:107], v[138:139], -v[4:5]
	s_waitcnt vmcnt(14)
	v_fmac_f64_e32 v[128:129], v[116:117], v[146:147]
	v_add_f64 v[2:3], v[2:3], v[4:5]
	v_mul_f64 v[4:5], v[112:113], v[118:119]
	v_add_f64 v[160:161], v[126:127], v[128:129]
	ds_read_b128 v[126:129], v1 offset:1184
	v_fma_f64 v[4:5], v[110:111], v[134:135], -v[4:5]
	v_add_f64 v[2:3], v[2:3], v[4:5]
	v_mul_f64 v[4:5], v[116:117], v[144:145]
	v_fma_f64 v[4:5], v[114:115], v[146:147], -v[4:5]
	v_add_f64 v[2:3], v[2:3], v[4:5]
	s_waitcnt vmcnt(13) lgkmcnt(1)
	v_mul_f64 v[4:5], v[124:125], v[140:141]
	v_mul_f64 v[162:163], v[122:123], v[140:141]
	s_waitcnt vmcnt(12)
	v_fma_f64 v[4:5], v[122:123], v[142:143], -v[4:5]
	v_fmac_f64_e32 v[162:163], v[124:125], v[142:143]
	v_add_f64 v[2:3], v[2:3], v[4:5]
	s_waitcnt vmcnt(8) lgkmcnt(0)
	v_mul_f64 v[4:5], v[128:129], v[152:153]
	v_add_f64 v[160:161], v[160:161], v[162:163]
	v_mul_f64 v[162:163], v[126:127], v[152:153]
	s_waitcnt vmcnt(6)
	v_fma_f64 v[4:5], v[126:127], v[154:155], -v[4:5]
	v_fmac_f64_e32 v[162:163], v[128:129], v[154:155]
	v_add_f64 v[2:3], v[2:3], v[4:5]
	s_waitcnt vmcnt(5)
	v_mul_f64 v[4:5], v[132:133], v[148:149]
	v_add_f64 v[160:161], v[160:161], v[162:163]
	v_mul_f64 v[162:163], v[130:131], v[148:149]
	s_waitcnt vmcnt(4)
	v_fma_f64 v[4:5], v[130:131], v[150:151], -v[4:5]
	v_fmac_f64_e32 v[162:163], v[132:133], v[150:151]
	v_add_f64 v[2:3], v[2:3], v[4:5]
	v_add_f64 v[160:161], v[160:161], v[162:163]
	s_waitcnt vmcnt(2)
	v_add_f64 v[2:3], v[156:157], -v[2:3]
	s_waitcnt vmcnt(0)
	v_add_f64 v[4:5], v[158:159], -v[160:161]
	buffer_store_dword v3, off, s[0:3], 0 offset:308
	buffer_store_dword v2, off, s[0:3], 0 offset:304
	;; [unrolled: 1-line block ×4, first 2 shown]
	s_and_saveexec_b64 s[4:5], vcc
	s_cbranch_execz .LBB37_207
; %bb.206:
	v_accvgpr_read_b32 v5, a95
	buffer_load_dword v2, v5, s[0:3], 0 offen
	buffer_load_dword v3, v5, s[0:3], 0 offen offset:4
	buffer_load_dword v4, v5, s[0:3], 0 offen offset:8
	s_nop 0
	buffer_load_dword v5, v5, s[0:3], 0 offen offset:12
	s_nop 0
	buffer_store_dword v1, off, s[0:3], 0 offset:288
	buffer_store_dword v1, off, s[0:3], 0 offset:292
	;; [unrolled: 1-line block ×4, first 2 shown]
	s_waitcnt vmcnt(4)
	ds_write_b128 v120, v[2:5]
.LBB37_207:
	s_or_b64 exec, exec, s[4:5]
	s_waitcnt lgkmcnt(0)
	; wave barrier
	s_waitcnt lgkmcnt(0)
	buffer_load_dword v2, off, s[0:3], 0 offset:304
	buffer_load_dword v3, off, s[0:3], 0 offset:308
	;; [unrolled: 1-line block ×76, first 2 shown]
	ds_read_b128 v[54:57], v1 offset:896
	buffer_load_dword v161, off, s[0:3], 0 offset:620
	buffer_load_dword v160, off, s[0:3], 0 offset:616
	;; [unrolled: 1-line block ×8, first 2 shown]
	ds_read_b128 v[58:61], v1 offset:912
	ds_read_b128 v[62:65], v1 offset:928
	;; [unrolled: 1-line block ×3, first 2 shown]
	v_cmp_lt_u32_e32 vcc, 16, v0
	ds_read_b128 v[134:137], v1 offset:1200
	s_waitcnt vmcnt(62) lgkmcnt(4)
	v_mul_f64 v[70:71], v[54:55], v[8:9]
	v_fmac_f64_e32 v[70:71], v[56:57], v[2:3]
	v_add_f64 v[70:71], v[70:71], 0
	v_mul_f64 v[8:9], v[56:57], v[8:9]
	s_waitcnt lgkmcnt(3)
	v_mul_f64 v[72:73], v[58:59], v[10:11]
	v_fmac_f64_e32 v[72:73], v[60:61], v[4:5]
	v_add_f64 v[70:71], v[70:71], v[72:73]
	v_fma_f64 v[2:3], v[54:55], v[2:3], -v[8:9]
	s_waitcnt lgkmcnt(2)
	v_mul_f64 v[72:73], v[62:63], v[12:13]
	v_fmac_f64_e32 v[72:73], v[64:65], v[6:7]
	v_add_f64 v[74:75], v[70:71], v[72:73]
	ds_read_b128 v[70:73], v1 offset:960
	v_mul_f64 v[8:9], v[60:61], v[10:11]
	v_add_f64 v[2:3], v[2:3], 0
	s_waitcnt lgkmcnt(2)
	v_mul_f64 v[76:77], v[66:67], v[18:19]
	v_fma_f64 v[4:5], v[58:59], v[4:5], -v[8:9]
	v_fmac_f64_e32 v[76:77], v[68:69], v[20:21]
	v_add_f64 v[78:79], v[74:75], v[76:77]
	ds_read_b128 v[74:77], v1 offset:976
	s_waitcnt lgkmcnt(1)
	v_mul_f64 v[80:81], v[70:71], v[14:15]
	v_fmac_f64_e32 v[80:81], v[72:73], v[16:17]
	v_add_f64 v[82:83], v[78:79], v[80:81]
	ds_read_b128 v[78:81], v1 offset:992
	s_waitcnt vmcnt(58) lgkmcnt(1)
	v_mul_f64 v[84:85], v[74:75], v[26:27]
	s_waitcnt vmcnt(56)
	v_fmac_f64_e32 v[84:85], v[76:77], v[28:29]
	v_add_f64 v[86:87], v[82:83], v[84:85]
	ds_read_b128 v[82:85], v1 offset:1008
	s_waitcnt lgkmcnt(1)
	v_mul_f64 v[88:89], v[78:79], v[22:23]
	v_fmac_f64_e32 v[88:89], v[80:81], v[24:25]
	v_add_f64 v[90:91], v[86:87], v[88:89]
	ds_read_b128 v[86:89], v1 offset:1024
	s_waitcnt vmcnt(50) lgkmcnt(1)
	v_mul_f64 v[92:93], v[82:83], v[34:35]
	s_waitcnt vmcnt(48)
	v_fmac_f64_e32 v[92:93], v[84:85], v[36:37]
	v_add_f64 v[94:95], v[90:91], v[92:93]
	ds_read_b128 v[90:93], v1 offset:1040
	s_waitcnt lgkmcnt(1)
	v_mul_f64 v[96:97], v[86:87], v[30:31]
	v_fmac_f64_e32 v[96:97], v[88:89], v[32:33]
	v_add_f64 v[98:99], v[94:95], v[96:97]
	ds_read_b128 v[94:97], v1 offset:1056
	v_add_f64 v[2:3], v[2:3], v[4:5]
	v_mul_f64 v[4:5], v[64:65], v[12:13]
	v_fma_f64 v[4:5], v[62:63], v[6:7], -v[4:5]
	s_waitcnt vmcnt(42) lgkmcnt(1)
	v_mul_f64 v[100:101], v[90:91], v[42:43]
	v_add_f64 v[2:3], v[2:3], v[4:5]
	v_mul_f64 v[4:5], v[68:69], v[18:19]
	s_waitcnt vmcnt(40)
	v_fmac_f64_e32 v[100:101], v[92:93], v[44:45]
	v_fma_f64 v[4:5], v[66:67], v[20:21], -v[4:5]
	v_add_f64 v[102:103], v[98:99], v[100:101]
	ds_read_b128 v[98:101], v1 offset:1072
	s_waitcnt lgkmcnt(1)
	v_mul_f64 v[104:105], v[94:95], v[38:39]
	v_add_f64 v[2:3], v[2:3], v[4:5]
	v_mul_f64 v[4:5], v[72:73], v[14:15]
	v_fmac_f64_e32 v[104:105], v[96:97], v[40:41]
	v_fma_f64 v[4:5], v[70:71], v[16:17], -v[4:5]
	v_add_f64 v[106:107], v[102:103], v[104:105]
	ds_read_b128 v[102:105], v1 offset:1088
	v_add_f64 v[2:3], v[2:3], v[4:5]
	v_mul_f64 v[4:5], v[76:77], v[26:27]
	v_fma_f64 v[4:5], v[74:75], v[28:29], -v[4:5]
	v_add_f64 v[2:3], v[2:3], v[4:5]
	v_mul_f64 v[4:5], v[80:81], v[22:23]
	s_waitcnt vmcnt(34) lgkmcnt(1)
	v_mul_f64 v[108:109], v[98:99], v[50:51]
	v_fma_f64 v[4:5], v[78:79], v[24:25], -v[4:5]
	s_waitcnt vmcnt(32)
	v_fmac_f64_e32 v[108:109], v[100:101], v[52:53]
	v_add_f64 v[2:3], v[2:3], v[4:5]
	v_mul_f64 v[4:5], v[84:85], v[34:35]
	v_add_f64 v[110:111], v[106:107], v[108:109]
	ds_read_b128 v[106:109], v1 offset:1104
	s_waitcnt lgkmcnt(1)
	v_mul_f64 v[112:113], v[102:103], v[46:47]
	v_fma_f64 v[4:5], v[82:83], v[36:37], -v[4:5]
	v_fmac_f64_e32 v[112:113], v[104:105], v[48:49]
	v_add_f64 v[2:3], v[2:3], v[4:5]
	v_mul_f64 v[4:5], v[88:89], v[30:31]
	v_add_f64 v[114:115], v[110:111], v[112:113]
	ds_read_b128 v[110:113], v1 offset:1120
	v_fma_f64 v[4:5], v[86:87], v[32:33], -v[4:5]
	v_add_f64 v[2:3], v[2:3], v[4:5]
	v_mul_f64 v[4:5], v[92:93], v[42:43]
	v_fma_f64 v[4:5], v[90:91], v[44:45], -v[4:5]
	s_waitcnt vmcnt(26) lgkmcnt(1)
	v_mul_f64 v[116:117], v[106:107], v[140:141]
	v_add_f64 v[2:3], v[2:3], v[4:5]
	v_mul_f64 v[4:5], v[96:97], v[38:39]
	s_waitcnt vmcnt(24)
	v_fmac_f64_e32 v[116:117], v[108:109], v[142:143]
	v_fma_f64 v[4:5], v[94:95], v[40:41], -v[4:5]
	v_add_f64 v[122:123], v[114:115], v[116:117]
	ds_read_b128 v[114:117], v1 offset:1136
	s_waitcnt lgkmcnt(1)
	v_mul_f64 v[124:125], v[110:111], v[118:119]
	v_add_f64 v[2:3], v[2:3], v[4:5]
	v_mul_f64 v[4:5], v[100:101], v[50:51]
	v_fmac_f64_e32 v[124:125], v[112:113], v[138:139]
	v_fma_f64 v[4:5], v[98:99], v[52:53], -v[4:5]
	v_add_f64 v[126:127], v[122:123], v[124:125]
	ds_read_b128 v[122:125], v1 offset:1152
	v_add_f64 v[2:3], v[2:3], v[4:5]
	v_mul_f64 v[4:5], v[104:105], v[46:47]
	v_fma_f64 v[4:5], v[102:103], v[48:49], -v[4:5]
	v_add_f64 v[2:3], v[2:3], v[4:5]
	v_mul_f64 v[4:5], v[108:109], v[140:141]
	s_waitcnt vmcnt(18) lgkmcnt(1)
	v_mul_f64 v[128:129], v[114:115], v[148:149]
	v_fma_f64 v[4:5], v[106:107], v[142:143], -v[4:5]
	s_waitcnt vmcnt(16)
	v_fmac_f64_e32 v[128:129], v[116:117], v[150:151]
	v_add_f64 v[2:3], v[2:3], v[4:5]
	v_mul_f64 v[4:5], v[112:113], v[118:119]
	v_add_f64 v[130:131], v[126:127], v[128:129]
	ds_read_b128 v[126:129], v1 offset:1168
	s_waitcnt lgkmcnt(1)
	v_mul_f64 v[132:133], v[122:123], v[144:145]
	v_fma_f64 v[4:5], v[110:111], v[138:139], -v[4:5]
	v_fmac_f64_e32 v[132:133], v[124:125], v[146:147]
	v_add_f64 v[2:3], v[2:3], v[4:5]
	v_mul_f64 v[4:5], v[116:117], v[148:149]
	v_add_f64 v[168:169], v[130:131], v[132:133]
	ds_read_b128 v[130:133], v1 offset:1184
	v_fma_f64 v[4:5], v[114:115], v[150:151], -v[4:5]
	v_add_f64 v[2:3], v[2:3], v[4:5]
	v_mul_f64 v[4:5], v[124:125], v[144:145]
	v_fma_f64 v[4:5], v[122:123], v[146:147], -v[4:5]
	v_add_f64 v[2:3], v[2:3], v[4:5]
	s_waitcnt vmcnt(10) lgkmcnt(1)
	v_mul_f64 v[4:5], v[128:129], v[156:157]
	v_mul_f64 v[170:171], v[126:127], v[156:157]
	s_waitcnt vmcnt(8)
	v_fma_f64 v[4:5], v[126:127], v[158:159], -v[4:5]
	v_fmac_f64_e32 v[170:171], v[128:129], v[158:159]
	v_add_f64 v[2:3], v[2:3], v[4:5]
	s_waitcnt lgkmcnt(0)
	v_mul_f64 v[4:5], v[132:133], v[152:153]
	v_add_f64 v[168:169], v[168:169], v[170:171]
	v_mul_f64 v[170:171], v[130:131], v[152:153]
	v_fma_f64 v[4:5], v[130:131], v[154:155], -v[4:5]
	v_fmac_f64_e32 v[170:171], v[132:133], v[154:155]
	v_add_f64 v[2:3], v[2:3], v[4:5]
	s_waitcnt vmcnt(6)
	v_mul_f64 v[4:5], v[136:137], v[160:161]
	v_add_f64 v[168:169], v[168:169], v[170:171]
	v_mul_f64 v[170:171], v[134:135], v[160:161]
	s_waitcnt vmcnt(4)
	v_fma_f64 v[4:5], v[134:135], v[162:163], -v[4:5]
	v_fmac_f64_e32 v[170:171], v[136:137], v[162:163]
	v_add_f64 v[2:3], v[2:3], v[4:5]
	v_add_f64 v[168:169], v[168:169], v[170:171]
	s_waitcnt vmcnt(2)
	v_add_f64 v[2:3], v[164:165], -v[2:3]
	s_waitcnt vmcnt(0)
	v_add_f64 v[4:5], v[166:167], -v[168:169]
	buffer_store_dword v3, off, s[0:3], 0 offset:292
	buffer_store_dword v2, off, s[0:3], 0 offset:288
	;; [unrolled: 1-line block ×4, first 2 shown]
	s_and_saveexec_b64 s[4:5], vcc
	s_cbranch_execz .LBB37_209
; %bb.208:
	v_accvgpr_read_b32 v1, a96
	buffer_load_dword v2, v1, s[0:3], 0 offen
	buffer_load_dword v3, v1, s[0:3], 0 offen offset:4
	buffer_load_dword v4, v1, s[0:3], 0 offen offset:8
	;; [unrolled: 1-line block ×3, first 2 shown]
	v_mov_b32_e32 v1, 0
	buffer_store_dword v1, off, s[0:3], 0 offset:272
	buffer_store_dword v1, off, s[0:3], 0 offset:276
	;; [unrolled: 1-line block ×4, first 2 shown]
	s_waitcnt vmcnt(4)
	ds_write_b128 v120, v[2:5]
.LBB37_209:
	s_or_b64 exec, exec, s[4:5]
	s_waitcnt lgkmcnt(0)
	; wave barrier
	s_waitcnt lgkmcnt(0)
	buffer_load_dword v4, off, s[0:3], 0 offset:272
	buffer_load_dword v5, off, s[0:3], 0 offset:276
	;; [unrolled: 1-line block ×84, first 2 shown]
	v_mov_b32_e32 v1, 0
	ds_read_b128 v[66:69], v1 offset:880
	buffer_load_dword v173, off, s[0:3], 0 offset:620
	buffer_load_dword v172, off, s[0:3], 0 offset:616
	;; [unrolled: 1-line block ×4, first 2 shown]
	ds_read_b128 v[70:73], v1 offset:896
	ds_read_b128 v[74:77], v1 offset:912
	;; [unrolled: 1-line block ×4, first 2 shown]
	v_cmp_lt_u32_e32 vcc, 15, v0
	s_waitcnt vmcnt(62) lgkmcnt(4)
	v_mul_f64 v[82:83], v[66:67], v[12:13]
	v_fmac_f64_e32 v[82:83], v[68:69], v[6:7]
	s_waitcnt lgkmcnt(3)
	v_mul_f64 v[84:85], v[70:71], v[14:15]
	v_add_f64 v[82:83], v[82:83], 0
	v_fmac_f64_e32 v[84:85], v[72:73], v[8:9]
	v_add_f64 v[82:83], v[82:83], v[84:85]
	s_waitcnt lgkmcnt(2)
	v_mul_f64 v[84:85], v[74:75], v[16:17]
	v_fmac_f64_e32 v[84:85], v[76:77], v[10:11]
	v_add_f64 v[86:87], v[82:83], v[84:85]
	ds_read_b128 v[82:85], v1 offset:944
	v_mul_f64 v[12:13], v[68:69], v[12:13]
	s_waitcnt lgkmcnt(2)
	v_mul_f64 v[88:89], v[78:79], v[22:23]
	v_fma_f64 v[6:7], v[66:67], v[6:7], -v[12:13]
	v_fmac_f64_e32 v[88:89], v[80:81], v[24:25]
	v_add_f64 v[90:91], v[86:87], v[88:89]
	ds_read_b128 v[86:89], v1 offset:960
	s_waitcnt lgkmcnt(1)
	v_mul_f64 v[92:93], v[82:83], v[18:19]
	v_fmac_f64_e32 v[92:93], v[84:85], v[20:21]
	v_add_f64 v[94:95], v[90:91], v[92:93]
	ds_read_b128 v[90:93], v1 offset:976
	s_waitcnt vmcnt(58) lgkmcnt(1)
	v_mul_f64 v[96:97], v[86:87], v[30:31]
	s_waitcnt vmcnt(56)
	v_fmac_f64_e32 v[96:97], v[88:89], v[32:33]
	v_add_f64 v[98:99], v[94:95], v[96:97]
	ds_read_b128 v[94:97], v1 offset:992
	s_waitcnt lgkmcnt(1)
	v_mul_f64 v[100:101], v[90:91], v[26:27]
	v_fmac_f64_e32 v[100:101], v[92:93], v[28:29]
	v_add_f64 v[102:103], v[98:99], v[100:101]
	ds_read_b128 v[98:101], v1 offset:1008
	s_waitcnt vmcnt(50) lgkmcnt(1)
	v_mul_f64 v[104:105], v[94:95], v[38:39]
	s_waitcnt vmcnt(48)
	v_fmac_f64_e32 v[104:105], v[96:97], v[40:41]
	v_add_f64 v[106:107], v[102:103], v[104:105]
	ds_read_b128 v[102:105], v1 offset:1024
	s_waitcnt lgkmcnt(1)
	v_mul_f64 v[108:109], v[98:99], v[34:35]
	v_fmac_f64_e32 v[108:109], v[100:101], v[36:37]
	v_mul_f64 v[12:13], v[72:73], v[14:15]
	v_add_f64 v[110:111], v[106:107], v[108:109]
	ds_read_b128 v[106:109], v1 offset:1040
	s_waitcnt vmcnt(42) lgkmcnt(1)
	v_mul_f64 v[112:113], v[102:103], v[46:47]
	v_add_f64 v[6:7], v[6:7], 0
	v_fma_f64 v[8:9], v[70:71], v[8:9], -v[12:13]
	s_waitcnt vmcnt(40)
	v_fmac_f64_e32 v[112:113], v[104:105], v[48:49]
	v_add_f64 v[6:7], v[6:7], v[8:9]
	v_mul_f64 v[8:9], v[76:77], v[16:17]
	v_add_f64 v[114:115], v[110:111], v[112:113]
	ds_read_b128 v[110:113], v1 offset:1056
	v_fma_f64 v[8:9], v[74:75], v[10:11], -v[8:9]
	v_add_f64 v[6:7], v[6:7], v[8:9]
	v_mul_f64 v[8:9], v[80:81], v[22:23]
	v_fma_f64 v[8:9], v[78:79], v[24:25], -v[8:9]
	s_waitcnt lgkmcnt(1)
	v_mul_f64 v[116:117], v[106:107], v[42:43]
	v_add_f64 v[6:7], v[6:7], v[8:9]
	v_mul_f64 v[8:9], v[84:85], v[18:19]
	v_fmac_f64_e32 v[116:117], v[108:109], v[44:45]
	v_fma_f64 v[8:9], v[82:83], v[20:21], -v[8:9]
	v_add_f64 v[122:123], v[114:115], v[116:117]
	ds_read_b128 v[114:117], v1 offset:1072
	s_waitcnt vmcnt(34) lgkmcnt(1)
	v_mul_f64 v[124:125], v[110:111], v[54:55]
	v_add_f64 v[6:7], v[6:7], v[8:9]
	v_mul_f64 v[8:9], v[88:89], v[30:31]
	s_waitcnt vmcnt(32)
	v_fmac_f64_e32 v[124:125], v[112:113], v[56:57]
	v_fma_f64 v[8:9], v[86:87], v[32:33], -v[8:9]
	v_add_f64 v[126:127], v[122:123], v[124:125]
	ds_read_b128 v[122:125], v1 offset:1088
	v_add_f64 v[6:7], v[6:7], v[8:9]
	v_mul_f64 v[8:9], v[92:93], v[26:27]
	v_fma_f64 v[8:9], v[90:91], v[28:29], -v[8:9]
	v_add_f64 v[6:7], v[6:7], v[8:9]
	v_mul_f64 v[8:9], v[96:97], v[38:39]
	s_waitcnt lgkmcnt(1)
	v_mul_f64 v[128:129], v[114:115], v[50:51]
	v_fma_f64 v[8:9], v[94:95], v[40:41], -v[8:9]
	v_fmac_f64_e32 v[128:129], v[116:117], v[52:53]
	v_add_f64 v[6:7], v[6:7], v[8:9]
	v_mul_f64 v[8:9], v[100:101], v[34:35]
	v_add_f64 v[130:131], v[126:127], v[128:129]
	ds_read_b128 v[126:129], v1 offset:1104
	s_waitcnt vmcnt(26) lgkmcnt(1)
	v_mul_f64 v[132:133], v[122:123], v[62:63]
	v_fma_f64 v[8:9], v[98:99], v[36:37], -v[8:9]
	s_waitcnt vmcnt(24)
	v_fmac_f64_e32 v[132:133], v[124:125], v[64:65]
	v_add_f64 v[6:7], v[6:7], v[8:9]
	v_mul_f64 v[8:9], v[104:105], v[46:47]
	v_add_f64 v[134:135], v[130:131], v[132:133]
	ds_read_b128 v[130:133], v1 offset:1120
	v_fma_f64 v[8:9], v[102:103], v[48:49], -v[8:9]
	v_add_f64 v[6:7], v[6:7], v[8:9]
	v_mul_f64 v[8:9], v[108:109], v[42:43]
	v_fma_f64 v[8:9], v[106:107], v[44:45], -v[8:9]
	s_waitcnt lgkmcnt(1)
	v_mul_f64 v[136:137], v[126:127], v[58:59]
	v_add_f64 v[6:7], v[6:7], v[8:9]
	v_mul_f64 v[8:9], v[112:113], v[54:55]
	v_fmac_f64_e32 v[136:137], v[128:129], v[60:61]
	v_fma_f64 v[8:9], v[110:111], v[56:57], -v[8:9]
	v_add_f64 v[138:139], v[134:135], v[136:137]
	ds_read_b128 v[134:137], v1 offset:1136
	s_waitcnt vmcnt(18) lgkmcnt(1)
	v_mul_f64 v[140:141], v[130:131], v[156:157]
	v_add_f64 v[6:7], v[6:7], v[8:9]
	v_mul_f64 v[8:9], v[116:117], v[50:51]
	s_waitcnt vmcnt(16)
	v_fmac_f64_e32 v[140:141], v[132:133], v[158:159]
	v_fma_f64 v[8:9], v[114:115], v[52:53], -v[8:9]
	v_add_f64 v[142:143], v[138:139], v[140:141]
	ds_read_b128 v[138:141], v1 offset:1152
	v_add_f64 v[6:7], v[6:7], v[8:9]
	v_mul_f64 v[8:9], v[124:125], v[62:63]
	v_fma_f64 v[8:9], v[122:123], v[64:65], -v[8:9]
	v_add_f64 v[6:7], v[6:7], v[8:9]
	v_mul_f64 v[8:9], v[128:129], v[58:59]
	s_waitcnt lgkmcnt(1)
	v_mul_f64 v[144:145], v[134:135], v[118:119]
	v_fma_f64 v[8:9], v[126:127], v[60:61], -v[8:9]
	v_fmac_f64_e32 v[144:145], v[136:137], v[154:155]
	v_add_f64 v[6:7], v[6:7], v[8:9]
	v_mul_f64 v[8:9], v[132:133], v[156:157]
	v_add_f64 v[146:147], v[142:143], v[144:145]
	ds_read_b128 v[142:145], v1 offset:1168
	s_waitcnt vmcnt(10) lgkmcnt(1)
	v_mul_f64 v[148:149], v[138:139], v[164:165]
	v_fma_f64 v[8:9], v[130:131], v[158:159], -v[8:9]
	s_waitcnt vmcnt(8)
	v_fmac_f64_e32 v[148:149], v[140:141], v[166:167]
	v_add_f64 v[6:7], v[6:7], v[8:9]
	v_mul_f64 v[8:9], v[136:137], v[118:119]
	v_add_f64 v[176:177], v[146:147], v[148:149]
	ds_read_b128 v[146:149], v1 offset:1184
	v_fma_f64 v[8:9], v[134:135], v[154:155], -v[8:9]
	v_add_f64 v[6:7], v[6:7], v[8:9]
	v_mul_f64 v[8:9], v[140:141], v[164:165]
	v_fma_f64 v[8:9], v[138:139], v[166:167], -v[8:9]
	v_add_f64 v[6:7], v[6:7], v[8:9]
	s_waitcnt lgkmcnt(1)
	v_mul_f64 v[8:9], v[144:145], v[160:161]
	v_mul_f64 v[178:179], v[142:143], v[160:161]
	v_fma_f64 v[8:9], v[142:143], v[162:163], -v[8:9]
	v_fmac_f64_e32 v[178:179], v[144:145], v[162:163]
	v_add_f64 v[6:7], v[6:7], v[8:9]
	s_waitcnt vmcnt(6) lgkmcnt(0)
	v_mul_f64 v[8:9], v[148:149], v[168:169]
	v_add_f64 v[176:177], v[176:177], v[178:179]
	v_mul_f64 v[178:179], v[146:147], v[168:169]
	s_waitcnt vmcnt(4)
	v_fma_f64 v[8:9], v[146:147], v[170:171], -v[8:9]
	v_fmac_f64_e32 v[178:179], v[148:149], v[170:171]
	v_add_f64 v[6:7], v[6:7], v[8:9]
	s_waitcnt vmcnt(2)
	v_mul_f64 v[8:9], v[152:153], v[172:173]
	v_add_f64 v[176:177], v[176:177], v[178:179]
	v_mul_f64 v[178:179], v[150:151], v[172:173]
	s_waitcnt vmcnt(0)
	v_fma_f64 v[8:9], v[150:151], v[174:175], -v[8:9]
	v_fmac_f64_e32 v[178:179], v[152:153], v[174:175]
	v_add_f64 v[6:7], v[6:7], v[8:9]
	v_add_f64 v[176:177], v[176:177], v[178:179]
	v_add_f64 v[4:5], v[4:5], -v[6:7]
	v_add_f64 v[2:3], v[2:3], -v[176:177]
	buffer_store_dword v5, off, s[0:3], 0 offset:276
	buffer_store_dword v4, off, s[0:3], 0 offset:272
	buffer_store_dword v3, off, s[0:3], 0 offset:284
	buffer_store_dword v2, off, s[0:3], 0 offset:280
	s_and_saveexec_b64 s[4:5], vcc
	s_cbranch_execz .LBB37_211
; %bb.210:
	v_accvgpr_read_b32 v5, a97
	buffer_load_dword v2, v5, s[0:3], 0 offen
	buffer_load_dword v3, v5, s[0:3], 0 offen offset:4
	buffer_load_dword v4, v5, s[0:3], 0 offen offset:8
	s_nop 0
	buffer_load_dword v5, v5, s[0:3], 0 offen offset:12
	s_nop 0
	buffer_store_dword v1, off, s[0:3], 0 offset:256
	buffer_store_dword v1, off, s[0:3], 0 offset:260
	;; [unrolled: 1-line block ×4, first 2 shown]
	s_waitcnt vmcnt(4)
	ds_write_b128 v120, v[2:5]
.LBB37_211:
	s_or_b64 exec, exec, s[4:5]
	s_waitcnt lgkmcnt(0)
	; wave barrier
	s_waitcnt lgkmcnt(0)
	ds_read_b128 v[14:17], v1 offset:864
	ds_read_b128 v[10:13], v1 offset:880
	;; [unrolled: 1-line block ×4, first 2 shown]
	buffer_load_dword v20, off, s[0:3], 0 offset:256
	buffer_load_dword v21, off, s[0:3], 0 offset:260
	buffer_load_dword v18, off, s[0:3], 0 offset:264
	buffer_load_dword v19, off, s[0:3], 0 offset:268
	buffer_load_dword v22, off, s[0:3], 0 offset:272
	buffer_load_dword v23, off, s[0:3], 0 offset:276
	buffer_load_dword v28, off, s[0:3], 0 offset:280
	buffer_load_dword v29, off, s[0:3], 0 offset:284
	buffer_load_dword v24, off, s[0:3], 0 offset:288
	buffer_load_dword v25, off, s[0:3], 0 offset:292
	buffer_load_dword v30, off, s[0:3], 0 offset:296
	buffer_load_dword v31, off, s[0:3], 0 offset:300
	buffer_load_dword v26, off, s[0:3], 0 offset:304
	buffer_load_dword v27, off, s[0:3], 0 offset:308
	buffer_load_dword v32, off, s[0:3], 0 offset:312
	buffer_load_dword v33, off, s[0:3], 0 offset:316
	buffer_load_dword v35, off, s[0:3], 0 offset:348
	buffer_load_dword v34, off, s[0:3], 0 offset:344
	buffer_load_dword v37, off, s[0:3], 0 offset:340
	buffer_load_dword v36, off, s[0:3], 0 offset:336
	buffer_load_dword v39, off, s[0:3], 0 offset:332
	buffer_load_dword v38, off, s[0:3], 0 offset:328
	buffer_load_dword v41, off, s[0:3], 0 offset:324
	buffer_load_dword v40, off, s[0:3], 0 offset:320
	buffer_load_dword v43, off, s[0:3], 0 offset:380
	buffer_load_dword v42, off, s[0:3], 0 offset:376
	buffer_load_dword v45, off, s[0:3], 0 offset:372
	buffer_load_dword v44, off, s[0:3], 0 offset:368
	buffer_load_dword v47, off, s[0:3], 0 offset:364
	buffer_load_dword v46, off, s[0:3], 0 offset:360
	buffer_load_dword v49, off, s[0:3], 0 offset:356
	buffer_load_dword v48, off, s[0:3], 0 offset:352
	buffer_load_dword v51, off, s[0:3], 0 offset:412
	buffer_load_dword v50, off, s[0:3], 0 offset:408
	buffer_load_dword v53, off, s[0:3], 0 offset:404
	buffer_load_dword v52, off, s[0:3], 0 offset:400
	buffer_load_dword v55, off, s[0:3], 0 offset:396
	buffer_load_dword v54, off, s[0:3], 0 offset:392
	buffer_load_dword v57, off, s[0:3], 0 offset:388
	buffer_load_dword v56, off, s[0:3], 0 offset:384
	buffer_load_dword v59, off, s[0:3], 0 offset:444
	buffer_load_dword v58, off, s[0:3], 0 offset:440
	buffer_load_dword v61, off, s[0:3], 0 offset:436
	buffer_load_dword v60, off, s[0:3], 0 offset:432
	buffer_load_dword v63, off, s[0:3], 0 offset:428
	buffer_load_dword v62, off, s[0:3], 0 offset:424
	buffer_load_dword v65, off, s[0:3], 0 offset:420
	buffer_load_dword v64, off, s[0:3], 0 offset:416
	buffer_load_dword v67, off, s[0:3], 0 offset:476
	buffer_load_dword v66, off, s[0:3], 0 offset:472
	buffer_load_dword v69, off, s[0:3], 0 offset:468
	buffer_load_dword v68, off, s[0:3], 0 offset:464
	buffer_load_dword v71, off, s[0:3], 0 offset:460
	buffer_load_dword v70, off, s[0:3], 0 offset:456
	buffer_load_dword v73, off, s[0:3], 0 offset:452
	buffer_load_dword v72, off, s[0:3], 0 offset:448
	buffer_load_dword v75, off, s[0:3], 0 offset:508
	buffer_load_dword v74, off, s[0:3], 0 offset:504
	buffer_load_dword v77, off, s[0:3], 0 offset:500
	buffer_load_dword v76, off, s[0:3], 0 offset:496
	buffer_load_dword v79, off, s[0:3], 0 offset:492
	buffer_load_dword v78, off, s[0:3], 0 offset:488
	buffer_load_dword v81, off, s[0:3], 0 offset:484
	buffer_load_dword v80, off, s[0:3], 0 offset:480
	buffer_load_dword v83, off, s[0:3], 0 offset:540
	buffer_load_dword v82, off, s[0:3], 0 offset:536
	buffer_load_dword v85, off, s[0:3], 0 offset:532
	buffer_load_dword v84, off, s[0:3], 0 offset:528
	buffer_load_dword v119, off, s[0:3], 0 offset:524
	buffer_load_dword v118, off, s[0:3], 0 offset:520
	buffer_load_dword v163, off, s[0:3], 0 offset:516
	buffer_load_dword v162, off, s[0:3], 0 offset:512
	buffer_load_dword v165, off, s[0:3], 0 offset:572
	buffer_load_dword v164, off, s[0:3], 0 offset:568
	buffer_load_dword v167, off, s[0:3], 0 offset:564
	buffer_load_dword v166, off, s[0:3], 0 offset:560
	buffer_load_dword v169, off, s[0:3], 0 offset:556
	buffer_load_dword v168, off, s[0:3], 0 offset:552
	buffer_load_dword v171, off, s[0:3], 0 offset:548
	buffer_load_dword v170, off, s[0:3], 0 offset:544
	buffer_load_dword v173, off, s[0:3], 0 offset:604
	buffer_load_dword v172, off, s[0:3], 0 offset:600
	buffer_load_dword v175, off, s[0:3], 0 offset:596
	buffer_load_dword v174, off, s[0:3], 0 offset:592
	buffer_load_dword v177, off, s[0:3], 0 offset:588
	buffer_load_dword v176, off, s[0:3], 0 offset:584
	buffer_load_dword v179, off, s[0:3], 0 offset:580
	buffer_load_dword v178, off, s[0:3], 0 offset:576
	buffer_load_dword v181, off, s[0:3], 0 offset:620
	buffer_load_dword v180, off, s[0:3], 0 offset:616
	buffer_load_dword v183, off, s[0:3], 0 offset:612
	buffer_load_dword v182, off, s[0:3], 0 offset:608
	s_waitcnt vmcnt(62) lgkmcnt(3)
	v_mul_f64 v[86:87], v[14:15], v[28:29]
	v_fmac_f64_e32 v[86:87], v[16:17], v[22:23]
	s_waitcnt lgkmcnt(2)
	v_mul_f64 v[88:89], v[10:11], v[30:31]
	v_add_f64 v[86:87], v[86:87], 0
	v_fmac_f64_e32 v[88:89], v[12:13], v[24:25]
	v_add_f64 v[86:87], v[86:87], v[88:89]
	s_waitcnt lgkmcnt(1)
	v_mul_f64 v[88:89], v[6:7], v[32:33]
	v_fmac_f64_e32 v[88:89], v[8:9], v[26:27]
	v_add_f64 v[90:91], v[86:87], v[88:89]
	ds_read_b128 v[86:89], v1 offset:928
	v_mul_f64 v[16:17], v[16:17], v[28:29]
	v_fma_f64 v[14:15], v[14:15], v[22:23], -v[16:17]
	s_waitcnt lgkmcnt(1)
	v_mul_f64 v[92:93], v[2:3], v[38:39]
	v_mul_f64 v[12:13], v[12:13], v[30:31]
	v_fmac_f64_e32 v[92:93], v[4:5], v[40:41]
	v_add_f64 v[94:95], v[90:91], v[92:93]
	ds_read_b128 v[90:93], v1 offset:944
	s_waitcnt lgkmcnt(1)
	v_mul_f64 v[96:97], v[86:87], v[34:35]
	v_fmac_f64_e32 v[96:97], v[88:89], v[36:37]
	v_add_f64 v[98:99], v[94:95], v[96:97]
	ds_read_b128 v[94:97], v1 offset:960
	s_waitcnt lgkmcnt(1)
	v_mul_f64 v[100:101], v[90:91], v[46:47]
	s_waitcnt vmcnt(60)
	v_fmac_f64_e32 v[100:101], v[92:93], v[48:49]
	v_add_f64 v[102:103], v[98:99], v[100:101]
	ds_read_b128 v[98:101], v1 offset:976
	s_waitcnt lgkmcnt(1)
	v_mul_f64 v[104:105], v[94:95], v[42:43]
	v_fmac_f64_e32 v[104:105], v[96:97], v[44:45]
	v_add_f64 v[106:107], v[102:103], v[104:105]
	ds_read_b128 v[102:105], v1 offset:992
	s_waitcnt vmcnt(54) lgkmcnt(1)
	v_mul_f64 v[108:109], v[98:99], v[54:55]
	s_waitcnt vmcnt(52)
	v_fmac_f64_e32 v[108:109], v[100:101], v[56:57]
	v_add_f64 v[110:111], v[106:107], v[108:109]
	ds_read_b128 v[106:109], v1 offset:1008
	s_waitcnt lgkmcnt(1)
	v_mul_f64 v[112:113], v[102:103], v[50:51]
	v_fmac_f64_e32 v[112:113], v[104:105], v[52:53]
	v_add_f64 v[114:115], v[110:111], v[112:113]
	ds_read_b128 v[110:113], v1 offset:1024
	s_waitcnt vmcnt(46) lgkmcnt(1)
	v_mul_f64 v[116:117], v[106:107], v[62:63]
	s_waitcnt vmcnt(44)
	v_fmac_f64_e32 v[116:117], v[108:109], v[64:65]
	v_add_f64 v[122:123], v[114:115], v[116:117]
	ds_read_b128 v[114:117], v1 offset:1040
	s_waitcnt lgkmcnt(1)
	v_mul_f64 v[124:125], v[110:111], v[58:59]
	v_fmac_f64_e32 v[124:125], v[112:113], v[60:61]
	v_add_f64 v[14:15], v[14:15], 0
	v_fma_f64 v[10:11], v[10:11], v[24:25], -v[12:13]
	v_mul_f64 v[8:9], v[8:9], v[32:33]
	v_add_f64 v[126:127], v[122:123], v[124:125]
	ds_read_b128 v[122:125], v1 offset:1056
	v_add_f64 v[10:11], v[14:15], v[10:11]
	v_fma_f64 v[6:7], v[6:7], v[26:27], -v[8:9]
	v_mul_f64 v[4:5], v[4:5], v[38:39]
	v_add_f64 v[6:7], v[10:11], v[6:7]
	v_fma_f64 v[2:3], v[2:3], v[40:41], -v[4:5]
	v_mul_f64 v[4:5], v[88:89], v[34:35]
	v_add_f64 v[2:3], v[6:7], v[2:3]
	v_fma_f64 v[4:5], v[86:87], v[36:37], -v[4:5]
	s_waitcnt vmcnt(38) lgkmcnt(1)
	v_mul_f64 v[128:129], v[114:115], v[70:71]
	v_add_f64 v[2:3], v[2:3], v[4:5]
	v_mul_f64 v[4:5], v[92:93], v[46:47]
	s_waitcnt vmcnt(36)
	v_fmac_f64_e32 v[128:129], v[116:117], v[72:73]
	v_fma_f64 v[4:5], v[90:91], v[48:49], -v[4:5]
	v_add_f64 v[130:131], v[126:127], v[128:129]
	ds_read_b128 v[126:129], v1 offset:1072
	s_waitcnt lgkmcnt(1)
	v_mul_f64 v[132:133], v[122:123], v[66:67]
	v_add_f64 v[2:3], v[2:3], v[4:5]
	v_mul_f64 v[4:5], v[96:97], v[42:43]
	v_fmac_f64_e32 v[132:133], v[124:125], v[68:69]
	v_fma_f64 v[4:5], v[94:95], v[44:45], -v[4:5]
	v_add_f64 v[134:135], v[130:131], v[132:133]
	ds_read_b128 v[130:133], v1 offset:1088
	v_add_f64 v[2:3], v[2:3], v[4:5]
	v_mul_f64 v[4:5], v[100:101], v[54:55]
	v_fma_f64 v[4:5], v[98:99], v[56:57], -v[4:5]
	v_add_f64 v[2:3], v[2:3], v[4:5]
	v_mul_f64 v[4:5], v[104:105], v[50:51]
	s_waitcnt vmcnt(30) lgkmcnt(1)
	v_mul_f64 v[136:137], v[126:127], v[78:79]
	v_fma_f64 v[4:5], v[102:103], v[52:53], -v[4:5]
	s_waitcnt vmcnt(28)
	v_fmac_f64_e32 v[136:137], v[128:129], v[80:81]
	v_add_f64 v[2:3], v[2:3], v[4:5]
	v_mul_f64 v[4:5], v[108:109], v[62:63]
	v_add_f64 v[138:139], v[134:135], v[136:137]
	ds_read_b128 v[134:137], v1 offset:1104
	s_waitcnt lgkmcnt(1)
	v_mul_f64 v[140:141], v[130:131], v[74:75]
	v_fma_f64 v[4:5], v[106:107], v[64:65], -v[4:5]
	v_fmac_f64_e32 v[140:141], v[132:133], v[76:77]
	v_add_f64 v[2:3], v[2:3], v[4:5]
	v_mul_f64 v[4:5], v[112:113], v[58:59]
	v_add_f64 v[142:143], v[138:139], v[140:141]
	ds_read_b128 v[138:141], v1 offset:1120
	v_fma_f64 v[4:5], v[110:111], v[60:61], -v[4:5]
	v_add_f64 v[2:3], v[2:3], v[4:5]
	v_mul_f64 v[4:5], v[116:117], v[70:71]
	v_fma_f64 v[4:5], v[114:115], v[72:73], -v[4:5]
	s_waitcnt vmcnt(22) lgkmcnt(1)
	v_mul_f64 v[144:145], v[134:135], v[118:119]
	v_add_f64 v[2:3], v[2:3], v[4:5]
	v_mul_f64 v[4:5], v[124:125], v[66:67]
	s_waitcnt vmcnt(20)
	v_fmac_f64_e32 v[144:145], v[136:137], v[162:163]
	v_fma_f64 v[4:5], v[122:123], v[68:69], -v[4:5]
	v_add_f64 v[146:147], v[142:143], v[144:145]
	ds_read_b128 v[142:145], v1 offset:1136
	s_waitcnt lgkmcnt(1)
	v_mul_f64 v[148:149], v[138:139], v[82:83]
	v_add_f64 v[2:3], v[2:3], v[4:5]
	v_mul_f64 v[4:5], v[128:129], v[78:79]
	v_fmac_f64_e32 v[148:149], v[140:141], v[84:85]
	v_fma_f64 v[4:5], v[126:127], v[80:81], -v[4:5]
	v_add_f64 v[150:151], v[146:147], v[148:149]
	ds_read_b128 v[146:149], v1 offset:1152
	v_add_f64 v[2:3], v[2:3], v[4:5]
	v_mul_f64 v[4:5], v[132:133], v[74:75]
	v_fma_f64 v[4:5], v[130:131], v[76:77], -v[4:5]
	v_add_f64 v[2:3], v[2:3], v[4:5]
	v_mul_f64 v[4:5], v[136:137], v[118:119]
	s_waitcnt vmcnt(14) lgkmcnt(1)
	v_mul_f64 v[152:153], v[142:143], v[168:169]
	v_fma_f64 v[4:5], v[134:135], v[162:163], -v[4:5]
	s_waitcnt vmcnt(12)
	v_fmac_f64_e32 v[152:153], v[144:145], v[170:171]
	v_add_f64 v[2:3], v[2:3], v[4:5]
	v_mul_f64 v[4:5], v[140:141], v[82:83]
	v_add_f64 v[154:155], v[150:151], v[152:153]
	ds_read_b128 v[150:153], v1 offset:1168
	s_waitcnt lgkmcnt(1)
	v_mul_f64 v[156:157], v[146:147], v[164:165]
	v_fma_f64 v[4:5], v[138:139], v[84:85], -v[4:5]
	v_fmac_f64_e32 v[156:157], v[148:149], v[166:167]
	v_add_f64 v[2:3], v[2:3], v[4:5]
	v_mul_f64 v[4:5], v[144:145], v[168:169]
	v_add_f64 v[184:185], v[154:155], v[156:157]
	ds_read_b128 v[154:157], v1 offset:1184
	ds_read_b128 v[158:161], v1 offset:1200
	v_fma_f64 v[4:5], v[142:143], v[170:171], -v[4:5]
	v_add_f64 v[2:3], v[2:3], v[4:5]
	v_mul_f64 v[4:5], v[148:149], v[164:165]
	v_fma_f64 v[4:5], v[146:147], v[166:167], -v[4:5]
	v_add_f64 v[2:3], v[2:3], v[4:5]
	s_waitcnt vmcnt(6) lgkmcnt(2)
	v_mul_f64 v[4:5], v[152:153], v[176:177]
	v_mul_f64 v[194:195], v[150:151], v[176:177]
	s_waitcnt vmcnt(4)
	v_fma_f64 v[4:5], v[150:151], v[178:179], -v[4:5]
	v_fmac_f64_e32 v[194:195], v[152:153], v[178:179]
	v_add_f64 v[2:3], v[2:3], v[4:5]
	s_waitcnt lgkmcnt(1)
	v_mul_f64 v[4:5], v[156:157], v[172:173]
	v_add_f64 v[184:185], v[184:185], v[194:195]
	v_mul_f64 v[194:195], v[154:155], v[172:173]
	v_fma_f64 v[4:5], v[154:155], v[174:175], -v[4:5]
	v_fmac_f64_e32 v[194:195], v[156:157], v[174:175]
	v_add_f64 v[2:3], v[2:3], v[4:5]
	s_waitcnt vmcnt(2) lgkmcnt(0)
	v_mul_f64 v[4:5], v[160:161], v[180:181]
	v_add_f64 v[184:185], v[184:185], v[194:195]
	v_mul_f64 v[194:195], v[158:159], v[180:181]
	s_waitcnt vmcnt(0)
	v_fma_f64 v[4:5], v[158:159], v[182:183], -v[4:5]
	v_fmac_f64_e32 v[194:195], v[160:161], v[182:183]
	v_add_f64 v[2:3], v[2:3], v[4:5]
	v_add_f64 v[184:185], v[184:185], v[194:195]
	v_add_f64 v[2:3], v[20:21], -v[2:3]
	v_cmp_lt_u32_e32 vcc, 14, v0
	v_add_f64 v[4:5], v[18:19], -v[184:185]
	buffer_store_dword v3, off, s[0:3], 0 offset:260
	buffer_store_dword v2, off, s[0:3], 0 offset:256
	;; [unrolled: 1-line block ×4, first 2 shown]
	s_and_saveexec_b64 s[4:5], vcc
	s_cbranch_execz .LBB37_213
; %bb.212:
	v_accvgpr_read_b32 v1, a98
	buffer_load_dword v2, v1, s[0:3], 0 offen
	buffer_load_dword v3, v1, s[0:3], 0 offen offset:4
	buffer_load_dword v4, v1, s[0:3], 0 offen offset:8
	;; [unrolled: 1-line block ×3, first 2 shown]
	v_mov_b32_e32 v1, 0
	buffer_store_dword v1, off, s[0:3], 0 offset:240
	buffer_store_dword v1, off, s[0:3], 0 offset:244
	;; [unrolled: 1-line block ×4, first 2 shown]
	s_waitcnt vmcnt(4)
	ds_write_b128 v120, v[2:5]
.LBB37_213:
	s_or_b64 exec, exec, s[4:5]
	s_waitcnt lgkmcnt(0)
	; wave barrier
	s_waitcnt lgkmcnt(0)
	buffer_load_dword v9, off, s[0:3], 0 offset:268
	buffer_load_dword v6, off, s[0:3], 0 offset:280
	buffer_load_dword v7, off, s[0:3], 0 offset:284
	buffer_load_dword v8, off, s[0:3], 0 offset:264
	buffer_load_dword v10, off, s[0:3], 0 offset:256
	buffer_load_dword v11, off, s[0:3], 0 offset:260
	buffer_load_dword v4, off, s[0:3], 0 offset:240
	buffer_load_dword v5, off, s[0:3], 0 offset:244
	buffer_load_dword v2, off, s[0:3], 0 offset:248
	buffer_load_dword v3, off, s[0:3], 0 offset:252
	buffer_load_dword v14, off, s[0:3], 0 offset:272
	buffer_load_dword v12, off, s[0:3], 0 offset:288
	buffer_load_dword v13, off, s[0:3], 0 offset:292
	buffer_load_dword v16, off, s[0:3], 0 offset:296
	buffer_load_dword v17, off, s[0:3], 0 offset:300
	buffer_load_dword v15, off, s[0:3], 0 offset:276
	buffer_load_dword v19, off, s[0:3], 0 offset:332
	buffer_load_dword v18, off, s[0:3], 0 offset:328
	buffer_load_dword v21, off, s[0:3], 0 offset:324
	buffer_load_dword v20, off, s[0:3], 0 offset:320
	buffer_load_dword v23, off, s[0:3], 0 offset:316
	buffer_load_dword v22, off, s[0:3], 0 offset:312
	buffer_load_dword v25, off, s[0:3], 0 offset:308
	buffer_load_dword v24, off, s[0:3], 0 offset:304
	buffer_load_dword v27, off, s[0:3], 0 offset:364
	buffer_load_dword v26, off, s[0:3], 0 offset:360
	buffer_load_dword v29, off, s[0:3], 0 offset:356
	buffer_load_dword v28, off, s[0:3], 0 offset:352
	buffer_load_dword v31, off, s[0:3], 0 offset:348
	buffer_load_dword v30, off, s[0:3], 0 offset:344
	buffer_load_dword v33, off, s[0:3], 0 offset:340
	buffer_load_dword v32, off, s[0:3], 0 offset:336
	buffer_load_dword v35, off, s[0:3], 0 offset:396
	buffer_load_dword v34, off, s[0:3], 0 offset:392
	buffer_load_dword v37, off, s[0:3], 0 offset:388
	buffer_load_dword v36, off, s[0:3], 0 offset:384
	buffer_load_dword v39, off, s[0:3], 0 offset:380
	buffer_load_dword v38, off, s[0:3], 0 offset:376
	buffer_load_dword v41, off, s[0:3], 0 offset:372
	buffer_load_dword v40, off, s[0:3], 0 offset:368
	buffer_load_dword v43, off, s[0:3], 0 offset:428
	buffer_load_dword v42, off, s[0:3], 0 offset:424
	buffer_load_dword v45, off, s[0:3], 0 offset:420
	buffer_load_dword v44, off, s[0:3], 0 offset:416
	buffer_load_dword v47, off, s[0:3], 0 offset:412
	buffer_load_dword v46, off, s[0:3], 0 offset:408
	buffer_load_dword v49, off, s[0:3], 0 offset:404
	buffer_load_dword v48, off, s[0:3], 0 offset:400
	buffer_load_dword v51, off, s[0:3], 0 offset:460
	buffer_load_dword v50, off, s[0:3], 0 offset:456
	buffer_load_dword v53, off, s[0:3], 0 offset:452
	buffer_load_dword v52, off, s[0:3], 0 offset:448
	buffer_load_dword v55, off, s[0:3], 0 offset:444
	buffer_load_dword v54, off, s[0:3], 0 offset:440
	buffer_load_dword v57, off, s[0:3], 0 offset:436
	buffer_load_dword v56, off, s[0:3], 0 offset:432
	buffer_load_dword v59, off, s[0:3], 0 offset:492
	buffer_load_dword v58, off, s[0:3], 0 offset:488
	buffer_load_dword v61, off, s[0:3], 0 offset:484
	buffer_load_dword v60, off, s[0:3], 0 offset:480
	buffer_load_dword v63, off, s[0:3], 0 offset:476
	buffer_load_dword v62, off, s[0:3], 0 offset:472
	buffer_load_dword v65, off, s[0:3], 0 offset:468
	buffer_load_dword v64, off, s[0:3], 0 offset:464
	v_mov_b32_e32 v1, 0
	ds_read_b128 v[74:77], v1 offset:848
	ds_read_b128 v[78:81], v1 offset:864
	buffer_load_dword v67, off, s[0:3], 0 offset:524
	buffer_load_dword v66, off, s[0:3], 0 offset:520
	;; [unrolled: 1-line block ×8, first 2 shown]
	ds_read_b128 v[82:85], v1 offset:880
	ds_read_b128 v[86:89], v1 offset:896
	buffer_load_dword v119, off, s[0:3], 0 offset:556
	buffer_load_dword v118, off, s[0:3], 0 offset:552
	;; [unrolled: 1-line block ×24, first 2 shown]
	ds_read_b128 v[166:169], v1 offset:1200
	v_cmp_lt_u32_e32 vcc, 13, v0
	s_waitcnt vmcnt(62) lgkmcnt(1)
	v_mul_f64 v[96:97], v[86:87], v[22:23]
	v_fmac_f64_e32 v[96:97], v[88:89], v[24:25]
	v_mul_f64 v[92:93], v[78:79], v[6:7]
	v_mul_f64 v[90:91], v[74:75], v[8:9]
	;; [unrolled: 1-line block ×3, first 2 shown]
	v_fmac_f64_e32 v[90:91], v[76:77], v[10:11]
	v_add_f64 v[90:91], v[90:91], 0
	v_fma_f64 v[8:9], v[74:75], v[10:11], -v[8:9]
	v_mul_f64 v[6:7], v[80:81], v[6:7]
	v_add_f64 v[8:9], v[8:9], 0
	v_fmac_f64_e32 v[92:93], v[80:81], v[14:15]
	v_add_f64 v[90:91], v[90:91], v[92:93]
	v_mul_f64 v[92:93], v[82:83], v[16:17]
	v_fmac_f64_e32 v[92:93], v[84:85], v[12:13]
	v_add_f64 v[94:95], v[90:91], v[92:93]
	ds_read_b128 v[90:93], v1 offset:912
	v_add_f64 v[98:99], v[94:95], v[96:97]
	ds_read_b128 v[94:97], v1 offset:928
	v_fma_f64 v[6:7], v[78:79], v[14:15], -v[6:7]
	v_add_f64 v[6:7], v[8:9], v[6:7]
	s_waitcnt lgkmcnt(1)
	v_mul_f64 v[100:101], v[90:91], v[18:19]
	v_fmac_f64_e32 v[100:101], v[92:93], v[20:21]
	v_add_f64 v[102:103], v[98:99], v[100:101]
	ds_read_b128 v[98:101], v1 offset:944
	s_waitcnt lgkmcnt(1)
	v_mul_f64 v[104:105], v[94:95], v[30:31]
	v_fmac_f64_e32 v[104:105], v[96:97], v[32:33]
	v_add_f64 v[106:107], v[102:103], v[104:105]
	ds_read_b128 v[102:105], v1 offset:960
	;; [unrolled: 5-line block ×3, first 2 shown]
	s_waitcnt vmcnt(58) lgkmcnt(1)
	v_mul_f64 v[112:113], v[102:103], v[38:39]
	s_waitcnt vmcnt(56)
	v_fmac_f64_e32 v[112:113], v[104:105], v[40:41]
	v_add_f64 v[114:115], v[110:111], v[112:113]
	ds_read_b128 v[110:113], v1 offset:992
	s_waitcnt lgkmcnt(1)
	v_mul_f64 v[116:117], v[106:107], v[34:35]
	v_fmac_f64_e32 v[116:117], v[108:109], v[36:37]
	v_add_f64 v[122:123], v[114:115], v[116:117]
	ds_read_b128 v[114:117], v1 offset:1008
	s_waitcnt vmcnt(50) lgkmcnt(1)
	v_mul_f64 v[124:125], v[110:111], v[46:47]
	s_waitcnt vmcnt(48)
	v_fmac_f64_e32 v[124:125], v[112:113], v[48:49]
	v_add_f64 v[126:127], v[122:123], v[124:125]
	ds_read_b128 v[122:125], v1 offset:1024
	v_mul_f64 v[8:9], v[84:85], v[16:17]
	s_waitcnt lgkmcnt(1)
	v_mul_f64 v[128:129], v[114:115], v[42:43]
	v_fma_f64 v[8:9], v[82:83], v[12:13], -v[8:9]
	v_fmac_f64_e32 v[128:129], v[116:117], v[44:45]
	v_add_f64 v[6:7], v[6:7], v[8:9]
	v_mul_f64 v[8:9], v[88:89], v[22:23]
	v_add_f64 v[130:131], v[126:127], v[128:129]
	ds_read_b128 v[126:129], v1 offset:1040
	s_waitcnt vmcnt(42) lgkmcnt(1)
	v_mul_f64 v[132:133], v[122:123], v[54:55]
	v_fma_f64 v[8:9], v[86:87], v[24:25], -v[8:9]
	s_waitcnt vmcnt(40)
	v_fmac_f64_e32 v[132:133], v[124:125], v[56:57]
	v_add_f64 v[6:7], v[6:7], v[8:9]
	v_mul_f64 v[8:9], v[92:93], v[18:19]
	v_add_f64 v[134:135], v[130:131], v[132:133]
	ds_read_b128 v[130:133], v1 offset:1056
	v_fma_f64 v[8:9], v[90:91], v[20:21], -v[8:9]
	v_add_f64 v[6:7], v[6:7], v[8:9]
	v_mul_f64 v[8:9], v[96:97], v[30:31]
	v_fma_f64 v[8:9], v[94:95], v[32:33], -v[8:9]
	s_waitcnt lgkmcnt(1)
	v_mul_f64 v[136:137], v[126:127], v[50:51]
	v_add_f64 v[6:7], v[6:7], v[8:9]
	v_mul_f64 v[8:9], v[100:101], v[26:27]
	v_fmac_f64_e32 v[136:137], v[128:129], v[52:53]
	v_fma_f64 v[8:9], v[98:99], v[28:29], -v[8:9]
	v_add_f64 v[138:139], v[134:135], v[136:137]
	ds_read_b128 v[134:137], v1 offset:1072
	s_waitcnt vmcnt(34) lgkmcnt(1)
	v_mul_f64 v[140:141], v[130:131], v[62:63]
	v_add_f64 v[6:7], v[6:7], v[8:9]
	v_mul_f64 v[8:9], v[104:105], v[38:39]
	s_waitcnt vmcnt(32)
	v_fmac_f64_e32 v[140:141], v[132:133], v[64:65]
	v_fma_f64 v[8:9], v[102:103], v[40:41], -v[8:9]
	v_add_f64 v[142:143], v[138:139], v[140:141]
	ds_read_b128 v[138:141], v1 offset:1088
	v_add_f64 v[6:7], v[6:7], v[8:9]
	v_mul_f64 v[8:9], v[108:109], v[34:35]
	v_fma_f64 v[8:9], v[106:107], v[36:37], -v[8:9]
	v_add_f64 v[6:7], v[6:7], v[8:9]
	v_mul_f64 v[8:9], v[112:113], v[46:47]
	s_waitcnt lgkmcnt(1)
	v_mul_f64 v[144:145], v[134:135], v[58:59]
	v_fma_f64 v[8:9], v[110:111], v[48:49], -v[8:9]
	v_fmac_f64_e32 v[144:145], v[136:137], v[60:61]
	v_add_f64 v[6:7], v[6:7], v[8:9]
	v_mul_f64 v[8:9], v[116:117], v[42:43]
	v_add_f64 v[146:147], v[142:143], v[144:145]
	ds_read_b128 v[142:145], v1 offset:1104
	s_waitcnt vmcnt(26) lgkmcnt(1)
	v_mul_f64 v[148:149], v[138:139], v[70:71]
	v_fma_f64 v[8:9], v[114:115], v[44:45], -v[8:9]
	s_waitcnt vmcnt(24)
	v_fmac_f64_e32 v[148:149], v[140:141], v[72:73]
	v_add_f64 v[6:7], v[6:7], v[8:9]
	v_mul_f64 v[8:9], v[124:125], v[54:55]
	v_add_f64 v[150:151], v[146:147], v[148:149]
	ds_read_b128 v[146:149], v1 offset:1120
	v_fma_f64 v[8:9], v[122:123], v[56:57], -v[8:9]
	v_add_f64 v[6:7], v[6:7], v[8:9]
	v_mul_f64 v[8:9], v[128:129], v[50:51]
	v_fma_f64 v[8:9], v[126:127], v[52:53], -v[8:9]
	s_waitcnt lgkmcnt(1)
	v_mul_f64 v[152:153], v[142:143], v[66:67]
	v_add_f64 v[6:7], v[6:7], v[8:9]
	v_mul_f64 v[8:9], v[132:133], v[62:63]
	v_fmac_f64_e32 v[152:153], v[144:145], v[68:69]
	v_fma_f64 v[8:9], v[130:131], v[64:65], -v[8:9]
	v_add_f64 v[154:155], v[150:151], v[152:153]
	ds_read_b128 v[150:153], v1 offset:1136
	s_waitcnt vmcnt(18) lgkmcnt(1)
	v_mul_f64 v[156:157], v[146:147], v[172:173]
	v_add_f64 v[6:7], v[6:7], v[8:9]
	v_mul_f64 v[8:9], v[136:137], v[58:59]
	s_waitcnt vmcnt(16)
	v_fmac_f64_e32 v[156:157], v[148:149], v[174:175]
	v_fma_f64 v[8:9], v[134:135], v[60:61], -v[8:9]
	v_add_f64 v[158:159], v[154:155], v[156:157]
	ds_read_b128 v[154:157], v1 offset:1152
	v_add_f64 v[6:7], v[6:7], v[8:9]
	v_mul_f64 v[8:9], v[140:141], v[70:71]
	v_fma_f64 v[8:9], v[138:139], v[72:73], -v[8:9]
	v_add_f64 v[6:7], v[6:7], v[8:9]
	v_mul_f64 v[8:9], v[144:145], v[66:67]
	s_waitcnt lgkmcnt(1)
	v_mul_f64 v[160:161], v[150:151], v[118:119]
	v_fma_f64 v[8:9], v[142:143], v[68:69], -v[8:9]
	v_fmac_f64_e32 v[160:161], v[152:153], v[170:171]
	v_add_f64 v[6:7], v[6:7], v[8:9]
	v_mul_f64 v[8:9], v[148:149], v[172:173]
	v_add_f64 v[162:163], v[158:159], v[160:161]
	ds_read_b128 v[158:161], v1 offset:1168
	s_waitcnt vmcnt(10) lgkmcnt(1)
	v_mul_f64 v[164:165], v[154:155], v[180:181]
	v_fma_f64 v[8:9], v[146:147], v[174:175], -v[8:9]
	s_waitcnt vmcnt(8)
	v_fmac_f64_e32 v[164:165], v[156:157], v[182:183]
	v_add_f64 v[6:7], v[6:7], v[8:9]
	v_mul_f64 v[8:9], v[152:153], v[118:119]
	v_add_f64 v[200:201], v[162:163], v[164:165]
	ds_read_b128 v[162:165], v1 offset:1184
	v_fma_f64 v[8:9], v[150:151], v[170:171], -v[8:9]
	v_add_f64 v[6:7], v[6:7], v[8:9]
	v_mul_f64 v[8:9], v[156:157], v[180:181]
	v_fma_f64 v[8:9], v[154:155], v[182:183], -v[8:9]
	v_add_f64 v[6:7], v[6:7], v[8:9]
	s_waitcnt lgkmcnt(1)
	v_mul_f64 v[8:9], v[160:161], v[176:177]
	v_mul_f64 v[202:203], v[158:159], v[176:177]
	v_fma_f64 v[8:9], v[158:159], v[178:179], -v[8:9]
	v_fmac_f64_e32 v[202:203], v[160:161], v[178:179]
	v_add_f64 v[6:7], v[6:7], v[8:9]
	s_waitcnt vmcnt(2) lgkmcnt(0)
	v_mul_f64 v[8:9], v[164:165], v[196:197]
	v_add_f64 v[200:201], v[200:201], v[202:203]
	v_mul_f64 v[202:203], v[162:163], v[196:197]
	s_waitcnt vmcnt(0)
	v_fma_f64 v[8:9], v[162:163], v[198:199], -v[8:9]
	v_fmac_f64_e32 v[202:203], v[164:165], v[198:199]
	v_add_f64 v[6:7], v[6:7], v[8:9]
	v_mul_f64 v[8:9], v[168:169], v[184:185]
	v_add_f64 v[200:201], v[200:201], v[202:203]
	v_mul_f64 v[202:203], v[166:167], v[184:185]
	v_fma_f64 v[8:9], v[166:167], v[194:195], -v[8:9]
	v_fmac_f64_e32 v[202:203], v[168:169], v[194:195]
	v_add_f64 v[6:7], v[6:7], v[8:9]
	v_add_f64 v[200:201], v[200:201], v[202:203]
	v_add_f64 v[4:5], v[4:5], -v[6:7]
	v_add_f64 v[2:3], v[2:3], -v[200:201]
	buffer_store_dword v5, off, s[0:3], 0 offset:244
	buffer_store_dword v4, off, s[0:3], 0 offset:240
	;; [unrolled: 1-line block ×4, first 2 shown]
	s_and_saveexec_b64 s[4:5], vcc
	s_cbranch_execz .LBB37_215
; %bb.214:
	v_accvgpr_read_b32 v5, a99
	buffer_load_dword v2, v5, s[0:3], 0 offen
	buffer_load_dword v3, v5, s[0:3], 0 offen offset:4
	buffer_load_dword v4, v5, s[0:3], 0 offen offset:8
	s_nop 0
	buffer_load_dword v5, v5, s[0:3], 0 offen offset:12
	s_nop 0
	buffer_store_dword v1, off, s[0:3], 0 offset:224
	buffer_store_dword v1, off, s[0:3], 0 offset:228
	;; [unrolled: 1-line block ×4, first 2 shown]
	s_waitcnt vmcnt(4)
	ds_write_b128 v120, v[2:5]
.LBB37_215:
	s_or_b64 exec, exec, s[4:5]
	s_waitcnt lgkmcnt(0)
	; wave barrier
	s_waitcnt lgkmcnt(0)
	buffer_load_dword v22, off, s[0:3], 0 offset:240
	buffer_load_dword v23, off, s[0:3], 0 offset:244
	;; [unrolled: 1-line block ×16, first 2 shown]
	ds_read_b128 v[2:5], v1 offset:832
	ds_read_b128 v[6:9], v1 offset:848
	;; [unrolled: 1-line block ×4, first 2 shown]
	buffer_load_dword v35, off, s[0:3], 0 offset:316
	buffer_load_dword v34, off, s[0:3], 0 offset:312
	;; [unrolled: 1-line block ×48, first 2 shown]
	v_cmp_lt_u32_e32 vcc, 12, v0
	s_waitcnt vmcnt(42) lgkmcnt(0)
	v_mul_f64 v[104:105], v[14:15], v[38:39]
	s_waitcnt vmcnt(40)
	v_fmac_f64_e32 v[104:105], v[16:17], v[40:41]
	v_mul_f64 v[82:83], v[2:3], v[24:25]
	v_fmac_f64_e32 v[82:83], v[4:5], v[22:23]
	v_add_f64 v[82:83], v[82:83], 0
	v_mul_f64 v[4:5], v[4:5], v[24:25]
	v_mul_f64 v[84:85], v[6:7], v[32:33]
	v_fma_f64 v[2:3], v[2:3], v[22:23], -v[4:5]
	v_mul_f64 v[98:99], v[10:11], v[26:27]
	v_fmac_f64_e32 v[98:99], v[12:13], v[30:31]
	v_fmac_f64_e32 v[84:85], v[8:9], v[28:29]
	v_add_f64 v[100:101], v[82:83], v[84:85]
	buffer_load_dword v83, off, s[0:3], 0 offset:508
	buffer_load_dword v82, off, s[0:3], 0 offset:504
	;; [unrolled: 1-line block ×32, first 2 shown]
	v_add_f64 v[102:103], v[100:101], v[98:99]
	ds_read_b128 v[98:101], v1 offset:896
	buffer_load_dword v205, off, s[0:3], 0 offset:620
	buffer_load_dword v204, off, s[0:3], 0 offset:616
	;; [unrolled: 1-line block ×4, first 2 shown]
	v_add_f64 v[106:107], v[102:103], v[104:105]
	ds_read_b128 v[102:105], v1 offset:912
	v_mul_f64 v[4:5], v[8:9], v[32:33]
	s_waitcnt lgkmcnt(1)
	v_mul_f64 v[108:109], v[98:99], v[34:35]
	v_fmac_f64_e32 v[108:109], v[100:101], v[36:37]
	v_add_f64 v[110:111], v[106:107], v[108:109]
	ds_read_b128 v[106:109], v1 offset:928
	s_waitcnt vmcnt(62) lgkmcnt(1)
	v_mul_f64 v[112:113], v[102:103], v[46:47]
	v_fmac_f64_e32 v[112:113], v[104:105], v[48:49]
	v_add_f64 v[114:115], v[110:111], v[112:113]
	ds_read_b128 v[110:113], v1 offset:944
	s_waitcnt lgkmcnt(1)
	v_mul_f64 v[116:117], v[106:107], v[42:43]
	v_fmac_f64_e32 v[116:117], v[108:109], v[44:45]
	v_add_f64 v[122:123], v[114:115], v[116:117]
	ds_read_b128 v[114:117], v1 offset:960
	s_waitcnt lgkmcnt(1)
	v_mul_f64 v[124:125], v[110:111], v[54:55]
	s_waitcnt vmcnt(60)
	v_fmac_f64_e32 v[124:125], v[112:113], v[56:57]
	v_add_f64 v[126:127], v[122:123], v[124:125]
	ds_read_b128 v[122:125], v1 offset:976
	s_waitcnt lgkmcnt(1)
	v_mul_f64 v[128:129], v[114:115], v[50:51]
	v_fmac_f64_e32 v[128:129], v[116:117], v[52:53]
	v_add_f64 v[130:131], v[126:127], v[128:129]
	ds_read_b128 v[126:129], v1 offset:992
	s_waitcnt vmcnt(54) lgkmcnt(1)
	v_mul_f64 v[132:133], v[122:123], v[62:63]
	s_waitcnt vmcnt(52)
	v_fmac_f64_e32 v[132:133], v[124:125], v[64:65]
	v_add_f64 v[134:135], v[130:131], v[132:133]
	ds_read_b128 v[130:133], v1 offset:1008
	s_waitcnt lgkmcnt(1)
	v_mul_f64 v[136:137], v[126:127], v[58:59]
	v_fmac_f64_e32 v[136:137], v[128:129], v[60:61]
	v_add_f64 v[2:3], v[2:3], 0
	v_fma_f64 v[4:5], v[6:7], v[28:29], -v[4:5]
	v_add_f64 v[138:139], v[134:135], v[136:137]
	ds_read_b128 v[134:137], v1 offset:1024
	v_add_f64 v[2:3], v[2:3], v[4:5]
	v_mul_f64 v[4:5], v[12:13], v[26:27]
	v_fma_f64 v[4:5], v[10:11], v[30:31], -v[4:5]
	v_add_f64 v[2:3], v[2:3], v[4:5]
	v_mul_f64 v[4:5], v[16:17], v[38:39]
	s_waitcnt vmcnt(46) lgkmcnt(1)
	v_mul_f64 v[140:141], v[130:131], v[70:71]
	v_fma_f64 v[4:5], v[14:15], v[40:41], -v[4:5]
	s_waitcnt vmcnt(44)
	v_fmac_f64_e32 v[140:141], v[132:133], v[72:73]
	v_add_f64 v[2:3], v[2:3], v[4:5]
	v_mul_f64 v[4:5], v[100:101], v[34:35]
	v_add_f64 v[142:143], v[138:139], v[140:141]
	ds_read_b128 v[138:141], v1 offset:1040
	s_waitcnt lgkmcnt(1)
	v_mul_f64 v[144:145], v[134:135], v[66:67]
	v_fma_f64 v[4:5], v[98:99], v[36:37], -v[4:5]
	v_fmac_f64_e32 v[144:145], v[136:137], v[68:69]
	v_add_f64 v[2:3], v[2:3], v[4:5]
	v_mul_f64 v[4:5], v[104:105], v[46:47]
	v_add_f64 v[146:147], v[142:143], v[144:145]
	ds_read_b128 v[142:145], v1 offset:1056
	v_fma_f64 v[4:5], v[102:103], v[48:49], -v[4:5]
	v_add_f64 v[2:3], v[2:3], v[4:5]
	v_mul_f64 v[4:5], v[108:109], v[42:43]
	v_fma_f64 v[4:5], v[106:107], v[44:45], -v[4:5]
	s_waitcnt vmcnt(38) lgkmcnt(1)
	v_mul_f64 v[148:149], v[138:139], v[78:79]
	v_add_f64 v[2:3], v[2:3], v[4:5]
	v_mul_f64 v[4:5], v[112:113], v[54:55]
	s_waitcnt vmcnt(36)
	v_fmac_f64_e32 v[148:149], v[140:141], v[80:81]
	v_fma_f64 v[4:5], v[110:111], v[56:57], -v[4:5]
	v_add_f64 v[150:151], v[146:147], v[148:149]
	ds_read_b128 v[146:149], v1 offset:1072
	s_waitcnt lgkmcnt(1)
	v_mul_f64 v[152:153], v[142:143], v[74:75]
	v_add_f64 v[2:3], v[2:3], v[4:5]
	v_mul_f64 v[4:5], v[116:117], v[50:51]
	v_fmac_f64_e32 v[152:153], v[144:145], v[76:77]
	v_fma_f64 v[4:5], v[114:115], v[52:53], -v[4:5]
	v_add_f64 v[154:155], v[150:151], v[152:153]
	ds_read_b128 v[150:153], v1 offset:1088
	v_add_f64 v[2:3], v[2:3], v[4:5]
	v_mul_f64 v[4:5], v[124:125], v[62:63]
	v_fma_f64 v[4:5], v[122:123], v[64:65], -v[4:5]
	v_add_f64 v[2:3], v[2:3], v[4:5]
	v_mul_f64 v[4:5], v[128:129], v[58:59]
	s_waitcnt vmcnt(30) lgkmcnt(1)
	v_mul_f64 v[156:157], v[146:147], v[86:87]
	v_fma_f64 v[4:5], v[126:127], v[60:61], -v[4:5]
	s_waitcnt vmcnt(28)
	v_fmac_f64_e32 v[156:157], v[148:149], v[88:89]
	v_add_f64 v[2:3], v[2:3], v[4:5]
	v_mul_f64 v[4:5], v[132:133], v[70:71]
	v_add_f64 v[158:159], v[154:155], v[156:157]
	ds_read_b128 v[154:157], v1 offset:1104
	s_waitcnt lgkmcnt(1)
	v_mul_f64 v[160:161], v[150:151], v[82:83]
	v_fma_f64 v[4:5], v[130:131], v[72:73], -v[4:5]
	v_fmac_f64_e32 v[160:161], v[152:153], v[84:85]
	v_add_f64 v[2:3], v[2:3], v[4:5]
	v_mul_f64 v[4:5], v[136:137], v[66:67]
	v_add_f64 v[162:163], v[158:159], v[160:161]
	ds_read_b128 v[158:161], v1 offset:1120
	v_fma_f64 v[4:5], v[134:135], v[68:69], -v[4:5]
	v_add_f64 v[2:3], v[2:3], v[4:5]
	v_mul_f64 v[4:5], v[140:141], v[78:79]
	v_fma_f64 v[4:5], v[138:139], v[80:81], -v[4:5]
	s_waitcnt vmcnt(22) lgkmcnt(1)
	v_mul_f64 v[164:165], v[154:155], v[94:95]
	v_add_f64 v[2:3], v[2:3], v[4:5]
	v_mul_f64 v[4:5], v[144:145], v[74:75]
	s_waitcnt vmcnt(20)
	v_fmac_f64_e32 v[164:165], v[156:157], v[96:97]
	v_fma_f64 v[4:5], v[142:143], v[76:77], -v[4:5]
	v_add_f64 v[166:167], v[162:163], v[164:165]
	ds_read_b128 v[162:165], v1 offset:1136
	s_waitcnt lgkmcnt(1)
	v_mul_f64 v[168:169], v[158:159], v[90:91]
	v_add_f64 v[2:3], v[2:3], v[4:5]
	v_mul_f64 v[4:5], v[148:149], v[86:87]
	v_fmac_f64_e32 v[168:169], v[160:161], v[92:93]
	v_fma_f64 v[4:5], v[146:147], v[88:89], -v[4:5]
	v_add_f64 v[170:171], v[166:167], v[168:169]
	ds_read_b128 v[166:169], v1 offset:1152
	v_add_f64 v[2:3], v[2:3], v[4:5]
	v_mul_f64 v[4:5], v[152:153], v[82:83]
	v_fma_f64 v[4:5], v[150:151], v[84:85], -v[4:5]
	v_add_f64 v[2:3], v[2:3], v[4:5]
	v_mul_f64 v[4:5], v[156:157], v[94:95]
	s_waitcnt vmcnt(14) lgkmcnt(1)
	v_mul_f64 v[172:173], v[162:163], v[184:185]
	v_fma_f64 v[4:5], v[154:155], v[96:97], -v[4:5]
	s_waitcnt vmcnt(12)
	v_fmac_f64_e32 v[172:173], v[164:165], v[194:195]
	v_add_f64 v[2:3], v[2:3], v[4:5]
	v_mul_f64 v[4:5], v[160:161], v[90:91]
	v_add_f64 v[174:175], v[170:171], v[172:173]
	ds_read_b128 v[170:173], v1 offset:1168
	s_waitcnt lgkmcnt(1)
	v_mul_f64 v[176:177], v[166:167], v[118:119]
	v_fma_f64 v[4:5], v[158:159], v[92:93], -v[4:5]
	v_fmac_f64_e32 v[176:177], v[168:169], v[182:183]
	v_add_f64 v[2:3], v[2:3], v[4:5]
	v_mul_f64 v[4:5], v[164:165], v[184:185]
	v_add_f64 v[208:209], v[174:175], v[176:177]
	ds_read_b128 v[174:177], v1 offset:1184
	v_fma_f64 v[4:5], v[162:163], v[194:195], -v[4:5]
	v_add_f64 v[2:3], v[2:3], v[4:5]
	v_mul_f64 v[4:5], v[168:169], v[118:119]
	ds_read_b128 v[178:181], v1 offset:1200
	v_fma_f64 v[4:5], v[166:167], v[182:183], -v[4:5]
	v_add_f64 v[2:3], v[2:3], v[4:5]
	s_waitcnt vmcnt(6) lgkmcnt(2)
	v_mul_f64 v[4:5], v[172:173], v[200:201]
	v_mul_f64 v[210:211], v[170:171], v[200:201]
	s_waitcnt vmcnt(4)
	v_fma_f64 v[4:5], v[170:171], v[202:203], -v[4:5]
	v_fmac_f64_e32 v[210:211], v[172:173], v[202:203]
	v_add_f64 v[2:3], v[2:3], v[4:5]
	s_waitcnt lgkmcnt(1)
	v_mul_f64 v[4:5], v[176:177], v[196:197]
	v_add_f64 v[208:209], v[208:209], v[210:211]
	v_mul_f64 v[210:211], v[174:175], v[196:197]
	v_fma_f64 v[4:5], v[174:175], v[198:199], -v[4:5]
	v_fmac_f64_e32 v[210:211], v[176:177], v[198:199]
	v_add_f64 v[2:3], v[2:3], v[4:5]
	s_waitcnt vmcnt(2) lgkmcnt(0)
	v_mul_f64 v[4:5], v[180:181], v[204:205]
	v_add_f64 v[208:209], v[208:209], v[210:211]
	v_mul_f64 v[210:211], v[178:179], v[204:205]
	s_waitcnt vmcnt(0)
	v_fma_f64 v[4:5], v[178:179], v[206:207], -v[4:5]
	v_fmac_f64_e32 v[210:211], v[180:181], v[206:207]
	v_add_f64 v[2:3], v[2:3], v[4:5]
	v_add_f64 v[208:209], v[208:209], v[210:211]
	v_add_f64 v[2:3], v[20:21], -v[2:3]
	v_add_f64 v[4:5], v[18:19], -v[208:209]
	buffer_store_dword v3, off, s[0:3], 0 offset:228
	buffer_store_dword v2, off, s[0:3], 0 offset:224
	;; [unrolled: 1-line block ×4, first 2 shown]
	s_and_saveexec_b64 s[4:5], vcc
	s_cbranch_execz .LBB37_217
; %bb.216:
	v_accvgpr_read_b32 v1, a100
	buffer_load_dword v2, v1, s[0:3], 0 offen
	buffer_load_dword v3, v1, s[0:3], 0 offen offset:4
	buffer_load_dword v4, v1, s[0:3], 0 offen offset:8
	;; [unrolled: 1-line block ×3, first 2 shown]
	v_mov_b32_e32 v1, 0
	buffer_store_dword v1, off, s[0:3], 0 offset:208
	buffer_store_dword v1, off, s[0:3], 0 offset:212
	;; [unrolled: 1-line block ×4, first 2 shown]
	s_waitcnt vmcnt(4)
	ds_write_b128 v120, v[2:5]
.LBB37_217:
	s_or_b64 exec, exec, s[4:5]
	s_waitcnt lgkmcnt(0)
	; wave barrier
	s_waitcnt lgkmcnt(0)
	buffer_load_dword v22, off, s[0:3], 0 offset:224
	buffer_load_dword v23, off, s[0:3], 0 offset:228
	;; [unrolled: 1-line block ×64, first 2 shown]
	v_mov_b32_e32 v1, 0
	ds_read_b128 v[18:21], v1 offset:816
	ds_read_b128 v[14:17], v1 offset:832
	;; [unrolled: 1-line block ×5, first 2 shown]
	v_cmp_lt_u32_e32 vcc, 11, v0
	s_waitcnt vmcnt(60) lgkmcnt(4)
	v_mul_f64 v[86:87], v[18:19], v[26:27]
	v_fmac_f64_e32 v[86:87], v[20:21], v[22:23]
	v_add_f64 v[86:87], v[86:87], 0
	v_mul_f64 v[20:21], v[20:21], v[26:27]
	s_waitcnt vmcnt(56) lgkmcnt(3)
	v_mul_f64 v[88:89], v[14:15], v[28:29]
	v_fmac_f64_e32 v[88:89], v[16:17], v[24:25]
	s_waitcnt vmcnt(54) lgkmcnt(2)
	v_mul_f64 v[90:91], v[10:11], v[30:31]
	v_add_f64 v[86:87], v[86:87], v[88:89]
	v_fma_f64 v[18:19], v[18:19], v[22:23], -v[20:21]
	v_mul_f64 v[16:17], v[16:17], v[28:29]
	s_waitcnt vmcnt(50) lgkmcnt(1)
	v_mul_f64 v[102:103], v[6:7], v[40:41]
	v_add_f64 v[18:19], v[18:19], 0
	s_waitcnt vmcnt(48)
	v_fmac_f64_e32 v[90:91], v[12:13], v[44:45]
	v_add_f64 v[104:105], v[86:87], v[90:91]
	buffer_load_dword v87, off, s[0:3], 0 offset:492
	buffer_load_dword v86, off, s[0:3], 0 offset:488
	;; [unrolled: 1-line block ×40, first 2 shown]
	s_waitcnt vmcnt(62)
	v_fmac_f64_e32 v[102:103], v[8:9], v[42:43]
	v_add_f64 v[106:107], v[104:105], v[102:103]
	ds_read_b128 v[102:105], v1 offset:896
	s_waitcnt lgkmcnt(1)
	v_mul_f64 v[108:109], v[2:3], v[36:37]
	v_fmac_f64_e32 v[108:109], v[4:5], v[38:39]
	v_add_f64 v[110:111], v[106:107], v[108:109]
	ds_read_b128 v[106:109], v1 offset:912
	s_waitcnt lgkmcnt(1)
	v_mul_f64 v[112:113], v[102:103], v[50:51]
	;; [unrolled: 5-line block ×5, first 2 shown]
	v_fmac_f64_e32 v[128:129], v[116:117], v[56:57]
	v_add_f64 v[130:131], v[126:127], v[128:129]
	ds_read_b128 v[126:129], v1 offset:976
	s_waitcnt vmcnt(58) lgkmcnt(1)
	v_mul_f64 v[132:133], v[122:123], v[66:67]
	s_waitcnt vmcnt(56)
	v_fmac_f64_e32 v[132:133], v[124:125], v[68:69]
	v_add_f64 v[134:135], v[130:131], v[132:133]
	ds_read_b128 v[130:133], v1 offset:992
	s_waitcnt lgkmcnt(1)
	v_mul_f64 v[136:137], v[126:127], v[62:63]
	v_fmac_f64_e32 v[136:137], v[128:129], v[64:65]
	v_add_f64 v[138:139], v[134:135], v[136:137]
	ds_read_b128 v[134:137], v1 offset:1008
	s_waitcnt vmcnt(50) lgkmcnt(1)
	v_mul_f64 v[140:141], v[130:131], v[74:75]
	s_waitcnt vmcnt(48)
	v_fmac_f64_e32 v[140:141], v[132:133], v[76:77]
	v_add_f64 v[142:143], v[138:139], v[140:141]
	ds_read_b128 v[138:141], v1 offset:1024
	v_fma_f64 v[14:15], v[14:15], v[24:25], -v[16:17]
	v_mul_f64 v[12:13], v[12:13], v[30:31]
	v_add_f64 v[14:15], v[18:19], v[14:15]
	v_fma_f64 v[10:11], v[10:11], v[44:45], -v[12:13]
	v_mul_f64 v[8:9], v[8:9], v[40:41]
	s_waitcnt lgkmcnt(1)
	v_mul_f64 v[144:145], v[134:135], v[70:71]
	v_add_f64 v[10:11], v[14:15], v[10:11]
	v_fma_f64 v[6:7], v[6:7], v[42:43], -v[8:9]
	v_mul_f64 v[4:5], v[4:5], v[36:37]
	v_fmac_f64_e32 v[144:145], v[136:137], v[72:73]
	v_add_f64 v[6:7], v[10:11], v[6:7]
	v_fma_f64 v[2:3], v[2:3], v[38:39], -v[4:5]
	v_mul_f64 v[4:5], v[104:105], v[50:51]
	v_add_f64 v[146:147], v[142:143], v[144:145]
	ds_read_b128 v[142:145], v1 offset:1040
	s_waitcnt vmcnt(42) lgkmcnt(1)
	v_mul_f64 v[148:149], v[138:139], v[82:83]
	v_add_f64 v[2:3], v[6:7], v[2:3]
	v_fma_f64 v[4:5], v[102:103], v[52:53], -v[4:5]
	s_waitcnt vmcnt(40)
	v_fmac_f64_e32 v[148:149], v[140:141], v[84:85]
	v_add_f64 v[2:3], v[2:3], v[4:5]
	v_mul_f64 v[4:5], v[108:109], v[46:47]
	v_add_f64 v[150:151], v[146:147], v[148:149]
	ds_read_b128 v[146:149], v1 offset:1056
	v_fma_f64 v[4:5], v[106:107], v[48:49], -v[4:5]
	v_add_f64 v[2:3], v[2:3], v[4:5]
	v_mul_f64 v[4:5], v[112:113], v[58:59]
	v_fma_f64 v[4:5], v[110:111], v[60:61], -v[4:5]
	s_waitcnt lgkmcnt(1)
	v_mul_f64 v[152:153], v[142:143], v[78:79]
	v_add_f64 v[2:3], v[2:3], v[4:5]
	v_mul_f64 v[4:5], v[116:117], v[54:55]
	v_fmac_f64_e32 v[152:153], v[144:145], v[80:81]
	v_fma_f64 v[4:5], v[114:115], v[56:57], -v[4:5]
	v_add_f64 v[154:155], v[150:151], v[152:153]
	ds_read_b128 v[150:153], v1 offset:1072
	s_waitcnt vmcnt(34) lgkmcnt(1)
	v_mul_f64 v[156:157], v[146:147], v[90:91]
	v_add_f64 v[2:3], v[2:3], v[4:5]
	v_mul_f64 v[4:5], v[124:125], v[66:67]
	s_waitcnt vmcnt(32)
	v_fmac_f64_e32 v[156:157], v[148:149], v[92:93]
	v_fma_f64 v[4:5], v[122:123], v[68:69], -v[4:5]
	v_add_f64 v[158:159], v[154:155], v[156:157]
	ds_read_b128 v[154:157], v1 offset:1088
	v_add_f64 v[2:3], v[2:3], v[4:5]
	v_mul_f64 v[4:5], v[128:129], v[62:63]
	v_fma_f64 v[4:5], v[126:127], v[64:65], -v[4:5]
	v_add_f64 v[2:3], v[2:3], v[4:5]
	v_mul_f64 v[4:5], v[132:133], v[74:75]
	s_waitcnt lgkmcnt(1)
	v_mul_f64 v[160:161], v[150:151], v[86:87]
	v_fma_f64 v[4:5], v[130:131], v[76:77], -v[4:5]
	v_fmac_f64_e32 v[160:161], v[152:153], v[88:89]
	v_add_f64 v[2:3], v[2:3], v[4:5]
	v_mul_f64 v[4:5], v[136:137], v[70:71]
	v_add_f64 v[162:163], v[158:159], v[160:161]
	ds_read_b128 v[158:161], v1 offset:1104
	s_waitcnt vmcnt(26) lgkmcnt(1)
	v_mul_f64 v[164:165], v[154:155], v[98:99]
	v_fma_f64 v[4:5], v[134:135], v[72:73], -v[4:5]
	s_waitcnt vmcnt(24)
	v_fmac_f64_e32 v[164:165], v[156:157], v[100:101]
	v_add_f64 v[2:3], v[2:3], v[4:5]
	v_mul_f64 v[4:5], v[140:141], v[82:83]
	v_add_f64 v[166:167], v[162:163], v[164:165]
	ds_read_b128 v[162:165], v1 offset:1120
	v_fma_f64 v[4:5], v[138:139], v[84:85], -v[4:5]
	v_add_f64 v[2:3], v[2:3], v[4:5]
	v_mul_f64 v[4:5], v[144:145], v[78:79]
	v_fma_f64 v[4:5], v[142:143], v[80:81], -v[4:5]
	s_waitcnt lgkmcnt(1)
	v_mul_f64 v[168:169], v[158:159], v[94:95]
	v_add_f64 v[2:3], v[2:3], v[4:5]
	v_mul_f64 v[4:5], v[148:149], v[90:91]
	v_fmac_f64_e32 v[168:169], v[160:161], v[96:97]
	v_fma_f64 v[4:5], v[146:147], v[92:93], -v[4:5]
	v_add_f64 v[170:171], v[166:167], v[168:169]
	ds_read_b128 v[166:169], v1 offset:1136
	s_waitcnt vmcnt(18) lgkmcnt(1)
	v_mul_f64 v[172:173], v[162:163], v[196:197]
	v_add_f64 v[2:3], v[2:3], v[4:5]
	v_mul_f64 v[4:5], v[152:153], v[86:87]
	s_waitcnt vmcnt(16)
	v_fmac_f64_e32 v[172:173], v[164:165], v[198:199]
	v_fma_f64 v[4:5], v[150:151], v[88:89], -v[4:5]
	v_add_f64 v[174:175], v[170:171], v[172:173]
	ds_read_b128 v[170:173], v1 offset:1152
	v_add_f64 v[2:3], v[2:3], v[4:5]
	v_mul_f64 v[4:5], v[156:157], v[98:99]
	v_fma_f64 v[4:5], v[154:155], v[100:101], -v[4:5]
	v_add_f64 v[2:3], v[2:3], v[4:5]
	v_mul_f64 v[4:5], v[160:161], v[94:95]
	s_waitcnt lgkmcnt(1)
	v_mul_f64 v[176:177], v[166:167], v[118:119]
	v_fma_f64 v[4:5], v[158:159], v[96:97], -v[4:5]
	v_fmac_f64_e32 v[176:177], v[168:169], v[194:195]
	v_add_f64 v[2:3], v[2:3], v[4:5]
	v_mul_f64 v[4:5], v[164:165], v[196:197]
	v_add_f64 v[178:179], v[174:175], v[176:177]
	ds_read_b128 v[174:177], v1 offset:1168
	s_waitcnt vmcnt(10) lgkmcnt(1)
	v_mul_f64 v[180:181], v[170:171], v[204:205]
	v_fma_f64 v[4:5], v[162:163], v[198:199], -v[4:5]
	s_waitcnt vmcnt(8)
	v_fmac_f64_e32 v[180:181], v[172:173], v[206:207]
	v_add_f64 v[2:3], v[2:3], v[4:5]
	v_mul_f64 v[4:5], v[168:169], v[118:119]
	v_add_f64 v[216:217], v[178:179], v[180:181]
	ds_read_b128 v[178:181], v1 offset:1184
	ds_read_b128 v[182:185], v1 offset:1200
	v_fma_f64 v[4:5], v[166:167], v[194:195], -v[4:5]
	v_add_f64 v[2:3], v[2:3], v[4:5]
	v_mul_f64 v[4:5], v[172:173], v[204:205]
	v_fma_f64 v[4:5], v[170:171], v[206:207], -v[4:5]
	v_add_f64 v[2:3], v[2:3], v[4:5]
	s_waitcnt lgkmcnt(2)
	v_mul_f64 v[4:5], v[176:177], v[200:201]
	v_mul_f64 v[218:219], v[174:175], v[200:201]
	v_fma_f64 v[4:5], v[174:175], v[202:203], -v[4:5]
	v_fmac_f64_e32 v[218:219], v[176:177], v[202:203]
	v_add_f64 v[2:3], v[2:3], v[4:5]
	s_waitcnt vmcnt(2) lgkmcnt(1)
	v_mul_f64 v[4:5], v[180:181], v[212:213]
	v_add_f64 v[216:217], v[216:217], v[218:219]
	v_mul_f64 v[218:219], v[178:179], v[212:213]
	s_waitcnt vmcnt(0)
	v_fma_f64 v[4:5], v[178:179], v[214:215], -v[4:5]
	v_fmac_f64_e32 v[218:219], v[180:181], v[214:215]
	v_add_f64 v[2:3], v[2:3], v[4:5]
	s_waitcnt lgkmcnt(0)
	v_mul_f64 v[4:5], v[184:185], v[208:209]
	v_add_f64 v[216:217], v[216:217], v[218:219]
	v_mul_f64 v[218:219], v[182:183], v[208:209]
	v_fma_f64 v[4:5], v[182:183], v[210:211], -v[4:5]
	v_fmac_f64_e32 v[218:219], v[184:185], v[210:211]
	v_add_f64 v[2:3], v[2:3], v[4:5]
	v_add_f64 v[216:217], v[216:217], v[218:219]
	v_add_f64 v[2:3], v[34:35], -v[2:3]
	v_add_f64 v[4:5], v[32:33], -v[216:217]
	buffer_store_dword v3, off, s[0:3], 0 offset:212
	buffer_store_dword v2, off, s[0:3], 0 offset:208
	;; [unrolled: 1-line block ×4, first 2 shown]
	s_and_saveexec_b64 s[4:5], vcc
	s_cbranch_execz .LBB37_219
; %bb.218:
	v_accvgpr_read_b32 v5, a101
	buffer_load_dword v2, v5, s[0:3], 0 offen
	buffer_load_dword v3, v5, s[0:3], 0 offen offset:4
	buffer_load_dword v4, v5, s[0:3], 0 offen offset:8
	s_nop 0
	buffer_load_dword v5, v5, s[0:3], 0 offen offset:12
	s_nop 0
	buffer_store_dword v1, off, s[0:3], 0 offset:192
	buffer_store_dword v1, off, s[0:3], 0 offset:196
	;; [unrolled: 1-line block ×4, first 2 shown]
	s_waitcnt vmcnt(4)
	ds_write_b128 v120, v[2:5]
.LBB37_219:
	s_or_b64 exec, exec, s[4:5]
	s_waitcnt lgkmcnt(0)
	; wave barrier
	s_waitcnt lgkmcnt(0)
	buffer_load_dword v26, off, s[0:3], 0 offset:208
	buffer_load_dword v27, off, s[0:3], 0 offset:212
	;; [unrolled: 1-line block ×24, first 2 shown]
	ds_read_b128 v[22:25], v1 offset:800
	ds_read_b128 v[18:21], v1 offset:816
	ds_read_b128 v[10:13], v1 offset:832
	ds_read_b128 v[6:9], v1 offset:848
	ds_read_b128 v[2:5], v1 offset:864
	ds_read_b128 v[14:17], v1 offset:880
	buffer_load_dword v51, off, s[0:3], 0 offset:316
	buffer_load_dword v50, off, s[0:3], 0 offset:312
	;; [unrolled: 1-line block ×40, first 2 shown]
	v_cmp_lt_u32_e32 vcc, 10, v0
	s_waitcnt vmcnt(34) lgkmcnt(0)
	v_mul_f64 v[124:125], v[14:15], v[54:55]
	s_waitcnt vmcnt(32)
	v_fmac_f64_e32 v[124:125], v[16:17], v[56:57]
	v_mul_f64 v[90:91], v[22:23], v[28:29]
	v_fmac_f64_e32 v[90:91], v[24:25], v[26:27]
	v_mul_f64 v[92:93], v[18:19], v[30:31]
	v_add_f64 v[90:91], v[90:91], 0
	v_mul_f64 v[94:95], v[10:11], v[32:33]
	v_mul_f64 v[24:25], v[24:25], v[28:29]
	;; [unrolled: 1-line block ×3, first 2 shown]
	v_fma_f64 v[22:23], v[22:23], v[26:27], -v[24:25]
	v_add_f64 v[22:23], v[22:23], 0
	v_mul_f64 v[96:97], v[6:7], v[42:43]
	v_fmac_f64_e32 v[92:93], v[20:21], v[48:49]
	v_add_f64 v[90:91], v[90:91], v[92:93]
	v_fmac_f64_e32 v[94:95], v[12:13], v[46:47]
	v_add_f64 v[90:91], v[90:91], v[94:95]
	;; [unrolled: 2-line block ×3, first 2 shown]
	buffer_load_dword v91, off, s[0:3], 0 offset:476
	buffer_load_dword v90, off, s[0:3], 0 offset:472
	;; [unrolled: 1-line block ×40, first 2 shown]
	v_fmac_f64_e32 v[114:115], v[4:5], v[40:41]
	v_add_f64 v[122:123], v[116:117], v[114:115]
	ds_read_b128 v[114:117], v1 offset:896
	buffer_load_dword v221, off, s[0:3], 0 offset:620
	buffer_load_dword v220, off, s[0:3], 0 offset:616
	;; [unrolled: 1-line block ×4, first 2 shown]
	v_add_f64 v[126:127], v[122:123], v[124:125]
	ds_read_b128 v[122:125], v1 offset:912
	v_mul_f64 v[20:21], v[20:21], v[30:31]
	s_waitcnt lgkmcnt(1)
	v_mul_f64 v[128:129], v[114:115], v[50:51]
	v_fmac_f64_e32 v[128:129], v[116:117], v[52:53]
	v_add_f64 v[130:131], v[126:127], v[128:129]
	ds_read_b128 v[126:129], v1 offset:928
	s_waitcnt vmcnt(62) lgkmcnt(1)
	v_mul_f64 v[132:133], v[122:123], v[62:63]
	v_fmac_f64_e32 v[132:133], v[124:125], v[64:65]
	v_add_f64 v[134:135], v[130:131], v[132:133]
	ds_read_b128 v[130:133], v1 offset:944
	s_waitcnt lgkmcnt(1)
	v_mul_f64 v[136:137], v[126:127], v[58:59]
	v_fmac_f64_e32 v[136:137], v[128:129], v[60:61]
	v_add_f64 v[138:139], v[134:135], v[136:137]
	ds_read_b128 v[134:137], v1 offset:960
	s_waitcnt lgkmcnt(1)
	v_mul_f64 v[140:141], v[130:131], v[70:71]
	s_waitcnt vmcnt(60)
	v_fmac_f64_e32 v[140:141], v[132:133], v[72:73]
	v_add_f64 v[142:143], v[138:139], v[140:141]
	ds_read_b128 v[138:141], v1 offset:976
	s_waitcnt lgkmcnt(1)
	v_mul_f64 v[144:145], v[134:135], v[66:67]
	v_fmac_f64_e32 v[144:145], v[136:137], v[68:69]
	v_add_f64 v[146:147], v[142:143], v[144:145]
	ds_read_b128 v[142:145], v1 offset:992
	s_waitcnt vmcnt(54) lgkmcnt(1)
	v_mul_f64 v[148:149], v[138:139], v[78:79]
	s_waitcnt vmcnt(52)
	v_fmac_f64_e32 v[148:149], v[140:141], v[80:81]
	v_add_f64 v[150:151], v[146:147], v[148:149]
	ds_read_b128 v[146:149], v1 offset:1008
	s_waitcnt lgkmcnt(1)
	v_mul_f64 v[152:153], v[142:143], v[74:75]
	v_fmac_f64_e32 v[152:153], v[144:145], v[76:77]
	v_fma_f64 v[18:19], v[18:19], v[48:49], -v[20:21]
	v_mul_f64 v[12:13], v[12:13], v[32:33]
	v_add_f64 v[154:155], v[150:151], v[152:153]
	ds_read_b128 v[150:153], v1 offset:1024
	v_add_f64 v[18:19], v[22:23], v[18:19]
	v_fma_f64 v[10:11], v[10:11], v[46:47], -v[12:13]
	v_mul_f64 v[8:9], v[8:9], v[42:43]
	v_add_f64 v[10:11], v[18:19], v[10:11]
	v_fma_f64 v[6:7], v[6:7], v[44:45], -v[8:9]
	v_mul_f64 v[4:5], v[4:5], v[38:39]
	;; [unrolled: 3-line block ×3, first 2 shown]
	s_waitcnt vmcnt(46) lgkmcnt(1)
	v_mul_f64 v[156:157], v[146:147], v[86:87]
	v_add_f64 v[2:3], v[6:7], v[2:3]
	v_fma_f64 v[4:5], v[14:15], v[56:57], -v[4:5]
	s_waitcnt vmcnt(44)
	v_fmac_f64_e32 v[156:157], v[148:149], v[88:89]
	v_add_f64 v[2:3], v[2:3], v[4:5]
	v_mul_f64 v[4:5], v[116:117], v[50:51]
	v_add_f64 v[158:159], v[154:155], v[156:157]
	ds_read_b128 v[154:157], v1 offset:1040
	s_waitcnt lgkmcnt(1)
	v_mul_f64 v[160:161], v[150:151], v[82:83]
	v_fma_f64 v[4:5], v[114:115], v[52:53], -v[4:5]
	v_fmac_f64_e32 v[160:161], v[152:153], v[84:85]
	v_add_f64 v[2:3], v[2:3], v[4:5]
	v_mul_f64 v[4:5], v[124:125], v[62:63]
	v_add_f64 v[162:163], v[158:159], v[160:161]
	ds_read_b128 v[158:161], v1 offset:1056
	v_fma_f64 v[4:5], v[122:123], v[64:65], -v[4:5]
	v_add_f64 v[2:3], v[2:3], v[4:5]
	v_mul_f64 v[4:5], v[128:129], v[58:59]
	v_fma_f64 v[4:5], v[126:127], v[60:61], -v[4:5]
	s_waitcnt vmcnt(38) lgkmcnt(1)
	v_mul_f64 v[164:165], v[154:155], v[94:95]
	v_add_f64 v[2:3], v[2:3], v[4:5]
	v_mul_f64 v[4:5], v[132:133], v[70:71]
	s_waitcnt vmcnt(36)
	v_fmac_f64_e32 v[164:165], v[156:157], v[96:97]
	v_fma_f64 v[4:5], v[130:131], v[72:73], -v[4:5]
	v_add_f64 v[166:167], v[162:163], v[164:165]
	ds_read_b128 v[162:165], v1 offset:1072
	s_waitcnt lgkmcnt(1)
	v_mul_f64 v[168:169], v[158:159], v[90:91]
	v_add_f64 v[2:3], v[2:3], v[4:5]
	v_mul_f64 v[4:5], v[136:137], v[66:67]
	v_fmac_f64_e32 v[168:169], v[160:161], v[92:93]
	v_fma_f64 v[4:5], v[134:135], v[68:69], -v[4:5]
	v_add_f64 v[170:171], v[166:167], v[168:169]
	ds_read_b128 v[166:169], v1 offset:1088
	v_add_f64 v[2:3], v[2:3], v[4:5]
	v_mul_f64 v[4:5], v[140:141], v[78:79]
	v_fma_f64 v[4:5], v[138:139], v[80:81], -v[4:5]
	v_add_f64 v[2:3], v[2:3], v[4:5]
	v_mul_f64 v[4:5], v[144:145], v[74:75]
	s_waitcnt vmcnt(30) lgkmcnt(1)
	v_mul_f64 v[172:173], v[162:163], v[102:103]
	v_fma_f64 v[4:5], v[142:143], v[76:77], -v[4:5]
	s_waitcnt vmcnt(28)
	v_fmac_f64_e32 v[172:173], v[164:165], v[104:105]
	v_add_f64 v[2:3], v[2:3], v[4:5]
	v_mul_f64 v[4:5], v[148:149], v[86:87]
	v_add_f64 v[174:175], v[170:171], v[172:173]
	ds_read_b128 v[170:173], v1 offset:1104
	s_waitcnt lgkmcnt(1)
	v_mul_f64 v[176:177], v[166:167], v[98:99]
	v_fma_f64 v[4:5], v[146:147], v[88:89], -v[4:5]
	v_fmac_f64_e32 v[176:177], v[168:169], v[100:101]
	v_add_f64 v[2:3], v[2:3], v[4:5]
	v_mul_f64 v[4:5], v[152:153], v[82:83]
	v_add_f64 v[178:179], v[174:175], v[176:177]
	ds_read_b128 v[174:177], v1 offset:1120
	v_fma_f64 v[4:5], v[150:151], v[84:85], -v[4:5]
	v_add_f64 v[2:3], v[2:3], v[4:5]
	v_mul_f64 v[4:5], v[156:157], v[94:95]
	v_fma_f64 v[4:5], v[154:155], v[96:97], -v[4:5]
	s_waitcnt vmcnt(22) lgkmcnt(1)
	v_mul_f64 v[180:181], v[170:171], v[110:111]
	v_add_f64 v[2:3], v[2:3], v[4:5]
	v_mul_f64 v[4:5], v[160:161], v[90:91]
	s_waitcnt vmcnt(20)
	v_fmac_f64_e32 v[180:181], v[172:173], v[112:113]
	v_fma_f64 v[4:5], v[158:159], v[92:93], -v[4:5]
	v_add_f64 v[182:183], v[178:179], v[180:181]
	ds_read_b128 v[178:181], v1 offset:1136
	s_waitcnt lgkmcnt(1)
	v_mul_f64 v[184:185], v[174:175], v[106:107]
	v_add_f64 v[2:3], v[2:3], v[4:5]
	v_mul_f64 v[4:5], v[164:165], v[102:103]
	v_fmac_f64_e32 v[184:185], v[176:177], v[108:109]
	v_fma_f64 v[4:5], v[162:163], v[104:105], -v[4:5]
	v_add_f64 v[194:195], v[182:183], v[184:185]
	ds_read_b128 v[182:185], v1 offset:1152
	v_add_f64 v[2:3], v[2:3], v[4:5]
	v_mul_f64 v[4:5], v[168:169], v[98:99]
	v_fma_f64 v[4:5], v[166:167], v[100:101], -v[4:5]
	v_add_f64 v[2:3], v[2:3], v[4:5]
	v_mul_f64 v[4:5], v[172:173], v[110:111]
	s_waitcnt vmcnt(14) lgkmcnt(1)
	v_mul_f64 v[196:197], v[178:179], v[208:209]
	v_fma_f64 v[4:5], v[170:171], v[112:113], -v[4:5]
	s_waitcnt vmcnt(12)
	v_fmac_f64_e32 v[196:197], v[180:181], v[210:211]
	v_add_f64 v[2:3], v[2:3], v[4:5]
	v_mul_f64 v[4:5], v[176:177], v[106:107]
	v_add_f64 v[198:199], v[194:195], v[196:197]
	ds_read_b128 v[194:197], v1 offset:1168
	s_waitcnt lgkmcnt(1)
	v_mul_f64 v[200:201], v[182:183], v[118:119]
	v_fma_f64 v[4:5], v[174:175], v[108:109], -v[4:5]
	v_fmac_f64_e32 v[200:201], v[184:185], v[206:207]
	v_add_f64 v[2:3], v[2:3], v[4:5]
	v_mul_f64 v[4:5], v[180:181], v[208:209]
	v_add_f64 v[224:225], v[198:199], v[200:201]
	ds_read_b128 v[198:201], v1 offset:1184
	v_fma_f64 v[4:5], v[178:179], v[210:211], -v[4:5]
	v_add_f64 v[2:3], v[2:3], v[4:5]
	v_mul_f64 v[4:5], v[184:185], v[118:119]
	ds_read_b128 v[202:205], v1 offset:1200
	v_fma_f64 v[4:5], v[182:183], v[206:207], -v[4:5]
	v_add_f64 v[2:3], v[2:3], v[4:5]
	s_waitcnt vmcnt(6) lgkmcnt(2)
	v_mul_f64 v[4:5], v[196:197], v[216:217]
	v_mul_f64 v[226:227], v[194:195], v[216:217]
	s_waitcnt vmcnt(4)
	v_fma_f64 v[4:5], v[194:195], v[218:219], -v[4:5]
	v_fmac_f64_e32 v[226:227], v[196:197], v[218:219]
	v_add_f64 v[2:3], v[2:3], v[4:5]
	s_waitcnt lgkmcnt(1)
	v_mul_f64 v[4:5], v[200:201], v[212:213]
	v_add_f64 v[224:225], v[224:225], v[226:227]
	v_mul_f64 v[226:227], v[198:199], v[212:213]
	v_fma_f64 v[4:5], v[198:199], v[214:215], -v[4:5]
	v_fmac_f64_e32 v[226:227], v[200:201], v[214:215]
	v_add_f64 v[2:3], v[2:3], v[4:5]
	s_waitcnt vmcnt(2) lgkmcnt(0)
	v_mul_f64 v[4:5], v[204:205], v[220:221]
	v_add_f64 v[224:225], v[224:225], v[226:227]
	v_mul_f64 v[226:227], v[202:203], v[220:221]
	s_waitcnt vmcnt(0)
	v_fma_f64 v[4:5], v[202:203], v[222:223], -v[4:5]
	v_fmac_f64_e32 v[226:227], v[204:205], v[222:223]
	v_add_f64 v[2:3], v[2:3], v[4:5]
	v_add_f64 v[224:225], v[224:225], v[226:227]
	v_add_f64 v[2:3], v[36:37], -v[2:3]
	v_add_f64 v[4:5], v[34:35], -v[224:225]
	buffer_store_dword v3, off, s[0:3], 0 offset:196
	buffer_store_dword v2, off, s[0:3], 0 offset:192
	;; [unrolled: 1-line block ×4, first 2 shown]
	s_and_saveexec_b64 s[4:5], vcc
	s_cbranch_execz .LBB37_221
; %bb.220:
	v_accvgpr_read_b32 v1, a102
	buffer_load_dword v2, v1, s[0:3], 0 offen
	buffer_load_dword v3, v1, s[0:3], 0 offen offset:4
	buffer_load_dword v4, v1, s[0:3], 0 offen offset:8
	;; [unrolled: 1-line block ×3, first 2 shown]
	v_mov_b32_e32 v1, 0
	buffer_store_dword v1, off, s[0:3], 0 offset:176
	buffer_store_dword v1, off, s[0:3], 0 offset:180
	;; [unrolled: 1-line block ×4, first 2 shown]
	s_waitcnt vmcnt(4)
	ds_write_b128 v120, v[2:5]
.LBB37_221:
	s_or_b64 exec, exec, s[4:5]
	s_waitcnt lgkmcnt(0)
	; wave barrier
	s_waitcnt lgkmcnt(0)
	buffer_load_dword v30, off, s[0:3], 0 offset:192
	buffer_load_dword v31, off, s[0:3], 0 offset:196
	;; [unrolled: 1-line block ×56, first 2 shown]
	v_mov_b32_e32 v1, 0
	ds_read_b128 v[26:29], v1 offset:784
	ds_read_b128 v[22:25], v1 offset:800
	;; [unrolled: 1-line block ×7, first 2 shown]
	v_cmp_lt_u32_e32 vcc, 9, v0
	s_waitcnt vmcnt(52) lgkmcnt(6)
	v_mul_f64 v[86:87], v[26:27], v[34:35]
	v_fmac_f64_e32 v[86:87], v[28:29], v[30:31]
	v_add_f64 v[86:87], v[86:87], 0
	v_mul_f64 v[28:29], v[28:29], v[34:35]
	s_waitcnt vmcnt(48) lgkmcnt(5)
	v_mul_f64 v[88:89], v[22:23], v[36:37]
	v_fmac_f64_e32 v[88:89], v[24:25], v[32:33]
	s_waitcnt vmcnt(46) lgkmcnt(4)
	v_mul_f64 v[90:91], v[18:19], v[38:39]
	v_add_f64 v[86:87], v[86:87], v[88:89]
	s_waitcnt vmcnt(44) lgkmcnt(2)
	v_mul_f64 v[94:95], v[10:11], v[40:41]
	v_fma_f64 v[26:27], v[26:27], v[30:31], -v[28:29]
	s_waitcnt vmcnt(42)
	v_fmac_f64_e32 v[94:95], v[12:13], v[42:43]
	v_mul_f64 v[24:25], v[24:25], v[36:37]
	s_waitcnt vmcnt(40)
	v_mul_f64 v[92:93], v[14:15], v[48:49]
	v_add_f64 v[26:27], v[26:27], 0
	v_fma_f64 v[22:23], v[22:23], v[32:33], -v[24:25]
	v_add_f64 v[22:23], v[26:27], v[22:23]
	s_waitcnt vmcnt(36) lgkmcnt(1)
	v_mul_f64 v[110:111], v[6:7], v[54:55]
	v_mul_f64 v[12:13], v[12:13], v[40:41]
	s_waitcnt vmcnt(34)
	v_fmac_f64_e32 v[90:91], v[20:21], v[60:61]
	v_add_f64 v[86:87], v[86:87], v[90:91]
	s_waitcnt vmcnt(32)
	v_fmac_f64_e32 v[92:93], v[16:17], v[58:59]
	v_add_f64 v[86:87], v[86:87], v[92:93]
	v_add_f64 v[116:117], v[86:87], v[94:95]
	buffer_load_dword v87, off, s[0:3], 0 offset:428
	buffer_load_dword v86, off, s[0:3], 0 offset:424
	;; [unrolled: 1-line block ×56, first 2 shown]
	ds_read_b128 v[126:129], v1 offset:896
	ds_read_b128 v[130:133], v1 offset:912
	v_mul_f64 v[20:21], v[20:21], v[38:39]
	v_fma_f64 v[18:19], v[18:19], v[60:61], -v[20:21]
	v_mul_f64 v[16:17], v[16:17], v[48:49]
	s_waitcnt vmcnt(62)
	v_fmac_f64_e32 v[110:111], v[8:9], v[56:57]
	v_add_f64 v[18:19], v[22:23], v[18:19]
	v_fma_f64 v[14:15], v[14:15], v[58:59], -v[16:17]
	v_add_f64 v[110:111], v[116:117], v[110:111]
	s_waitcnt lgkmcnt(2)
	v_mul_f64 v[116:117], v[2:3], v[50:51]
	v_add_f64 v[14:15], v[18:19], v[14:15]
	v_fma_f64 v[10:11], v[10:11], v[42:43], -v[12:13]
	v_mul_f64 v[8:9], v[8:9], v[54:55]
	v_fmac_f64_e32 v[116:117], v[4:5], v[52:53]
	ds_read_b128 v[134:137], v1 offset:928
	ds_read_b128 v[138:141], v1 offset:944
	v_add_f64 v[10:11], v[14:15], v[10:11]
	v_fma_f64 v[6:7], v[6:7], v[56:57], -v[8:9]
	v_mul_f64 v[4:5], v[4:5], v[50:51]
	v_add_f64 v[6:7], v[10:11], v[6:7]
	v_fma_f64 v[2:3], v[2:3], v[52:53], -v[4:5]
	s_waitcnt lgkmcnt(3)
	v_mul_f64 v[4:5], v[128:129], v[66:67]
	v_add_f64 v[110:111], v[110:111], v[116:117]
	v_mul_f64 v[116:117], v[126:127], v[66:67]
	v_add_f64 v[2:3], v[6:7], v[2:3]
	v_fma_f64 v[4:5], v[126:127], v[68:69], -v[4:5]
	v_fmac_f64_e32 v[116:117], v[128:129], v[68:69]
	v_add_f64 v[2:3], v[2:3], v[4:5]
	s_waitcnt lgkmcnt(2)
	v_mul_f64 v[4:5], v[132:133], v[62:63]
	v_add_f64 v[110:111], v[110:111], v[116:117]
	v_mul_f64 v[116:117], v[130:131], v[62:63]
	ds_read_b128 v[142:145], v1 offset:960
	ds_read_b128 v[146:149], v1 offset:976
	v_fma_f64 v[4:5], v[130:131], v[64:65], -v[4:5]
	v_fmac_f64_e32 v[116:117], v[132:133], v[64:65]
	v_add_f64 v[2:3], v[2:3], v[4:5]
	s_waitcnt lgkmcnt(3)
	v_mul_f64 v[4:5], v[136:137], v[74:75]
	v_add_f64 v[110:111], v[110:111], v[116:117]
	v_mul_f64 v[116:117], v[134:135], v[74:75]
	v_fma_f64 v[4:5], v[134:135], v[76:77], -v[4:5]
	v_fmac_f64_e32 v[116:117], v[136:137], v[76:77]
	v_add_f64 v[2:3], v[2:3], v[4:5]
	s_waitcnt lgkmcnt(2)
	v_mul_f64 v[4:5], v[140:141], v[70:71]
	v_add_f64 v[110:111], v[110:111], v[116:117]
	v_mul_f64 v[116:117], v[138:139], v[70:71]
	ds_read_b128 v[150:153], v1 offset:992
	ds_read_b128 v[154:157], v1 offset:1008
	v_fma_f64 v[4:5], v[138:139], v[72:73], -v[4:5]
	v_fmac_f64_e32 v[116:117], v[140:141], v[72:73]
	v_add_f64 v[2:3], v[2:3], v[4:5]
	s_waitcnt vmcnt(58) lgkmcnt(3)
	v_mul_f64 v[4:5], v[144:145], v[82:83]
	v_add_f64 v[110:111], v[110:111], v[116:117]
	v_mul_f64 v[116:117], v[142:143], v[82:83]
	s_waitcnt vmcnt(56)
	v_fma_f64 v[4:5], v[142:143], v[84:85], -v[4:5]
	v_fmac_f64_e32 v[116:117], v[144:145], v[84:85]
	v_add_f64 v[2:3], v[2:3], v[4:5]
	s_waitcnt lgkmcnt(2)
	v_mul_f64 v[4:5], v[148:149], v[78:79]
	v_add_f64 v[110:111], v[110:111], v[116:117]
	v_mul_f64 v[116:117], v[146:147], v[78:79]
	ds_read_b128 v[158:161], v1 offset:1024
	ds_read_b128 v[162:165], v1 offset:1040
	v_fma_f64 v[4:5], v[146:147], v[80:81], -v[4:5]
	v_fmac_f64_e32 v[116:117], v[148:149], v[80:81]
	v_add_f64 v[2:3], v[2:3], v[4:5]
	s_waitcnt vmcnt(50) lgkmcnt(3)
	v_mul_f64 v[4:5], v[152:153], v[90:91]
	v_add_f64 v[110:111], v[110:111], v[116:117]
	v_mul_f64 v[116:117], v[150:151], v[90:91]
	s_waitcnt vmcnt(48)
	v_fma_f64 v[4:5], v[150:151], v[92:93], -v[4:5]
	v_fmac_f64_e32 v[116:117], v[152:153], v[92:93]
	v_add_f64 v[2:3], v[2:3], v[4:5]
	s_waitcnt lgkmcnt(2)
	v_mul_f64 v[4:5], v[156:157], v[86:87]
	v_add_f64 v[110:111], v[110:111], v[116:117]
	v_mul_f64 v[116:117], v[154:155], v[86:87]
	ds_read_b128 v[166:169], v1 offset:1056
	ds_read_b128 v[170:173], v1 offset:1072
	v_fma_f64 v[4:5], v[154:155], v[88:89], -v[4:5]
	v_fmac_f64_e32 v[116:117], v[156:157], v[88:89]
	v_add_f64 v[2:3], v[2:3], v[4:5]
	s_waitcnt vmcnt(42) lgkmcnt(3)
	v_mul_f64 v[4:5], v[160:161], v[98:99]
	v_add_f64 v[110:111], v[110:111], v[116:117]
	v_mul_f64 v[116:117], v[158:159], v[98:99]
	s_waitcnt vmcnt(40)
	v_fma_f64 v[4:5], v[158:159], v[100:101], -v[4:5]
	v_fmac_f64_e32 v[116:117], v[160:161], v[100:101]
	v_add_f64 v[2:3], v[2:3], v[4:5]
	s_waitcnt lgkmcnt(2)
	v_mul_f64 v[4:5], v[164:165], v[94:95]
	v_add_f64 v[110:111], v[110:111], v[116:117]
	v_mul_f64 v[116:117], v[162:163], v[94:95]
	ds_read_b128 v[174:177], v1 offset:1088
	ds_read_b128 v[178:181], v1 offset:1104
	v_fma_f64 v[4:5], v[162:163], v[96:97], -v[4:5]
	v_fmac_f64_e32 v[116:117], v[164:165], v[96:97]
	v_add_f64 v[2:3], v[2:3], v[4:5]
	s_waitcnt vmcnt(34) lgkmcnt(3)
	v_mul_f64 v[4:5], v[168:169], v[106:107]
	v_add_f64 v[110:111], v[110:111], v[116:117]
	v_mul_f64 v[116:117], v[166:167], v[106:107]
	s_waitcnt vmcnt(32)
	v_fma_f64 v[4:5], v[166:167], v[108:109], -v[4:5]
	v_fmac_f64_e32 v[116:117], v[168:169], v[108:109]
	v_add_f64 v[2:3], v[2:3], v[4:5]
	s_waitcnt lgkmcnt(2)
	v_mul_f64 v[4:5], v[172:173], v[102:103]
	v_add_f64 v[110:111], v[110:111], v[116:117]
	v_mul_f64 v[116:117], v[170:171], v[102:103]
	ds_read_b128 v[182:185], v1 offset:1120
	ds_read_b128 v[194:197], v1 offset:1136
	v_fma_f64 v[4:5], v[170:171], v[104:105], -v[4:5]
	v_fmac_f64_e32 v[116:117], v[172:173], v[104:105]
	v_add_f64 v[2:3], v[2:3], v[4:5]
	s_waitcnt vmcnt(26) lgkmcnt(3)
	v_mul_f64 v[4:5], v[176:177], v[118:119]
	v_add_f64 v[110:111], v[110:111], v[116:117]
	v_mul_f64 v[116:117], v[174:175], v[118:119]
	s_waitcnt vmcnt(24)
	v_fma_f64 v[4:5], v[174:175], v[122:123], -v[4:5]
	v_fmac_f64_e32 v[116:117], v[176:177], v[122:123]
	v_add_f64 v[2:3], v[2:3], v[4:5]
	s_waitcnt lgkmcnt(2)
	v_mul_f64 v[4:5], v[180:181], v[112:113]
	v_add_f64 v[110:111], v[110:111], v[116:117]
	v_mul_f64 v[116:117], v[178:179], v[112:113]
	ds_read_b128 v[198:201], v1 offset:1152
	ds_read_b128 v[202:205], v1 offset:1168
	v_fma_f64 v[4:5], v[178:179], v[114:115], -v[4:5]
	v_fmac_f64_e32 v[116:117], v[180:181], v[114:115]
	v_add_f64 v[2:3], v[2:3], v[4:5]
	s_waitcnt vmcnt(18) lgkmcnt(3)
	v_mul_f64 v[4:5], v[184:185], v[216:217]
	v_add_f64 v[110:111], v[110:111], v[116:117]
	v_mul_f64 v[116:117], v[182:183], v[216:217]
	s_waitcnt vmcnt(16)
	v_fma_f64 v[4:5], v[182:183], v[218:219], -v[4:5]
	v_fmac_f64_e32 v[116:117], v[184:185], v[218:219]
	v_add_f64 v[2:3], v[2:3], v[4:5]
	s_waitcnt lgkmcnt(2)
	v_mul_f64 v[4:5], v[196:197], v[124:125]
	v_add_f64 v[110:111], v[110:111], v[116:117]
	v_mul_f64 v[116:117], v[194:195], v[124:125]
	ds_read_b128 v[206:209], v1 offset:1184
	ds_read_b128 v[210:213], v1 offset:1200
	v_fma_f64 v[4:5], v[194:195], v[214:215], -v[4:5]
	v_fmac_f64_e32 v[116:117], v[196:197], v[214:215]
	v_add_f64 v[2:3], v[2:3], v[4:5]
	s_waitcnt vmcnt(10) lgkmcnt(3)
	v_mul_f64 v[4:5], v[200:201], v[224:225]
	v_add_f64 v[110:111], v[110:111], v[116:117]
	v_mul_f64 v[116:117], v[198:199], v[224:225]
	s_waitcnt vmcnt(8)
	v_fma_f64 v[4:5], v[198:199], v[226:227], -v[4:5]
	v_fmac_f64_e32 v[116:117], v[200:201], v[226:227]
	v_add_f64 v[2:3], v[2:3], v[4:5]
	s_waitcnt lgkmcnt(2)
	v_mul_f64 v[4:5], v[204:205], v[220:221]
	v_add_f64 v[110:111], v[110:111], v[116:117]
	v_mul_f64 v[116:117], v[202:203], v[220:221]
	v_fma_f64 v[4:5], v[202:203], v[222:223], -v[4:5]
	v_fmac_f64_e32 v[116:117], v[204:205], v[222:223]
	v_add_f64 v[2:3], v[2:3], v[4:5]
	s_waitcnt vmcnt(2) lgkmcnt(1)
	v_mul_f64 v[4:5], v[208:209], v[232:233]
	v_add_f64 v[110:111], v[110:111], v[116:117]
	v_mul_f64 v[116:117], v[206:207], v[232:233]
	s_waitcnt vmcnt(0)
	v_fma_f64 v[4:5], v[206:207], v[234:235], -v[4:5]
	v_fmac_f64_e32 v[116:117], v[208:209], v[234:235]
	v_add_f64 v[2:3], v[2:3], v[4:5]
	s_waitcnt lgkmcnt(0)
	v_mul_f64 v[4:5], v[212:213], v[228:229]
	v_add_f64 v[110:111], v[110:111], v[116:117]
	v_mul_f64 v[116:117], v[210:211], v[228:229]
	v_fma_f64 v[4:5], v[210:211], v[230:231], -v[4:5]
	v_fmac_f64_e32 v[116:117], v[212:213], v[230:231]
	v_add_f64 v[2:3], v[2:3], v[4:5]
	v_add_f64 v[110:111], v[110:111], v[116:117]
	v_add_f64 v[2:3], v[46:47], -v[2:3]
	v_add_f64 v[4:5], v[44:45], -v[110:111]
	buffer_store_dword v3, off, s[0:3], 0 offset:180
	buffer_store_dword v2, off, s[0:3], 0 offset:176
	;; [unrolled: 1-line block ×4, first 2 shown]
	s_and_saveexec_b64 s[4:5], vcc
	s_cbranch_execz .LBB37_223
; %bb.222:
	v_accvgpr_read_b32 v5, a103
	buffer_load_dword v2, v5, s[0:3], 0 offen
	buffer_load_dword v3, v5, s[0:3], 0 offen offset:4
	buffer_load_dword v4, v5, s[0:3], 0 offen offset:8
	s_nop 0
	buffer_load_dword v5, v5, s[0:3], 0 offen offset:12
	s_nop 0
	buffer_store_dword v1, off, s[0:3], 0 offset:160
	buffer_store_dword v1, off, s[0:3], 0 offset:164
	;; [unrolled: 1-line block ×4, first 2 shown]
	s_waitcnt vmcnt(4)
	ds_write_b128 v120, v[2:5]
.LBB37_223:
	s_or_b64 exec, exec, s[4:5]
	s_waitcnt lgkmcnt(0)
	; wave barrier
	s_waitcnt lgkmcnt(0)
	buffer_load_dword v34, off, s[0:3], 0 offset:176
	buffer_load_dword v35, off, s[0:3], 0 offset:180
	;; [unrolled: 1-line block ×32, first 2 shown]
	ds_read_b128 v[30:33], v1 offset:768
	ds_read_b128 v[26:29], v1 offset:784
	;; [unrolled: 1-line block ×8, first 2 shown]
	buffer_load_dword v67, off, s[0:3], 0 offset:316
	buffer_load_dword v66, off, s[0:3], 0 offset:312
	;; [unrolled: 1-line block ×24, first 2 shown]
	v_cmp_lt_u32_e32 vcc, 8, v0
	s_waitcnt vmcnt(52) lgkmcnt(7)
	v_mul_f64 v[90:91], v[30:31], v[38:39]
	v_fmac_f64_e32 v[90:91], v[32:33], v[34:35]
	v_add_f64 v[90:91], v[90:91], 0
	v_mul_f64 v[32:33], v[32:33], v[38:39]
	s_waitcnt vmcnt(48) lgkmcnt(6)
	v_mul_f64 v[92:93], v[26:27], v[40:41]
	v_fmac_f64_e32 v[92:93], v[28:29], v[36:37]
	s_waitcnt vmcnt(46) lgkmcnt(5)
	v_mul_f64 v[94:95], v[22:23], v[42:43]
	v_add_f64 v[90:91], v[90:91], v[92:93]
	s_waitcnt vmcnt(44) lgkmcnt(4)
	v_mul_f64 v[96:97], v[18:19], v[48:49]
	v_fma_f64 v[30:31], v[30:31], v[34:35], -v[32:33]
	s_waitcnt vmcnt(42) lgkmcnt(1)
	v_mul_f64 v[124:125], v[2:3], v[50:51]
	v_mul_f64 v[28:29], v[28:29], v[40:41]
	s_waitcnt vmcnt(18) lgkmcnt(0)
	v_mul_f64 v[138:139], v[14:15], v[70:71]
	v_mul_f64 v[100:101], v[6:7], v[54:55]
	s_waitcnt vmcnt(16)
	v_fmac_f64_e32 v[138:139], v[16:17], v[72:73]
	v_mul_f64 v[98:99], v[10:11], v[56:57]
	v_add_f64 v[30:31], v[30:31], 0
	v_fmac_f64_e32 v[98:99], v[12:13], v[58:59]
	v_fma_f64 v[26:27], v[26:27], v[36:37], -v[28:29]
	v_fmac_f64_e32 v[94:95], v[24:25], v[64:65]
	v_add_f64 v[90:91], v[90:91], v[94:95]
	v_fmac_f64_e32 v[96:97], v[20:21], v[62:63]
	v_add_f64 v[90:91], v[90:91], v[96:97]
	;; [unrolled: 2-line block ×3, first 2 shown]
	v_add_f64 v[126:127], v[90:91], v[100:101]
	buffer_load_dword v91, off, s[0:3], 0 offset:412
	buffer_load_dword v90, off, s[0:3], 0 offset:408
	;; [unrolled: 1-line block ×56, first 2 shown]
	v_fmac_f64_e32 v[124:125], v[4:5], v[52:53]
	v_add_f64 v[136:137], v[126:127], v[124:125]
	ds_read_b128 v[124:127], v1 offset:896
	buffer_load_dword v237, off, s[0:3], 0 offset:620
	buffer_load_dword v236, off, s[0:3], 0 offset:616
	;; [unrolled: 1-line block ×4, first 2 shown]
	v_add_f64 v[140:141], v[136:137], v[138:139]
	ds_read_b128 v[136:139], v1 offset:912
	v_mul_f64 v[24:25], v[24:25], v[42:43]
	s_waitcnt lgkmcnt(1)
	v_mul_f64 v[142:143], v[124:125], v[66:67]
	v_fmac_f64_e32 v[142:143], v[126:127], v[68:69]
	v_add_f64 v[144:145], v[140:141], v[142:143]
	ds_read_b128 v[140:143], v1 offset:928
	s_waitcnt vmcnt(62) lgkmcnt(1)
	v_mul_f64 v[146:147], v[136:137], v[78:79]
	v_fmac_f64_e32 v[146:147], v[138:139], v[80:81]
	v_add_f64 v[148:149], v[144:145], v[146:147]
	ds_read_b128 v[144:147], v1 offset:944
	s_waitcnt lgkmcnt(1)
	v_mul_f64 v[150:151], v[140:141], v[74:75]
	v_fmac_f64_e32 v[150:151], v[142:143], v[76:77]
	v_add_f64 v[152:153], v[148:149], v[150:151]
	ds_read_b128 v[148:151], v1 offset:960
	s_waitcnt lgkmcnt(1)
	v_mul_f64 v[154:155], v[144:145], v[86:87]
	s_waitcnt vmcnt(60)
	v_fmac_f64_e32 v[154:155], v[146:147], v[88:89]
	v_add_f64 v[156:157], v[152:153], v[154:155]
	ds_read_b128 v[152:155], v1 offset:976
	s_waitcnt lgkmcnt(1)
	v_mul_f64 v[158:159], v[148:149], v[82:83]
	v_fmac_f64_e32 v[158:159], v[150:151], v[84:85]
	v_add_f64 v[160:161], v[156:157], v[158:159]
	ds_read_b128 v[156:159], v1 offset:992
	v_add_f64 v[26:27], v[30:31], v[26:27]
	v_fma_f64 v[22:23], v[22:23], v[64:65], -v[24:25]
	s_waitcnt vmcnt(54) lgkmcnt(1)
	v_mul_f64 v[162:163], v[152:153], v[94:95]
	v_mul_f64 v[20:21], v[20:21], v[48:49]
	s_waitcnt vmcnt(52)
	v_fmac_f64_e32 v[162:163], v[154:155], v[96:97]
	v_add_f64 v[164:165], v[160:161], v[162:163]
	ds_read_b128 v[160:163], v1 offset:1008
	s_waitcnt lgkmcnt(1)
	v_mul_f64 v[166:167], v[156:157], v[90:91]
	v_fmac_f64_e32 v[166:167], v[158:159], v[92:93]
	v_add_f64 v[22:23], v[26:27], v[22:23]
	v_fma_f64 v[18:19], v[18:19], v[62:63], -v[20:21]
	v_mul_f64 v[12:13], v[12:13], v[56:57]
	v_add_f64 v[168:169], v[164:165], v[166:167]
	ds_read_b128 v[164:167], v1 offset:1024
	v_add_f64 v[18:19], v[22:23], v[18:19]
	v_fma_f64 v[10:11], v[10:11], v[58:59], -v[12:13]
	v_mul_f64 v[8:9], v[8:9], v[54:55]
	v_add_f64 v[10:11], v[18:19], v[10:11]
	v_fma_f64 v[6:7], v[6:7], v[60:61], -v[8:9]
	v_mul_f64 v[4:5], v[4:5], v[50:51]
	;; [unrolled: 3-line block ×3, first 2 shown]
	s_waitcnt vmcnt(46) lgkmcnt(1)
	v_mul_f64 v[170:171], v[160:161], v[102:103]
	v_add_f64 v[2:3], v[6:7], v[2:3]
	v_fma_f64 v[4:5], v[14:15], v[72:73], -v[4:5]
	s_waitcnt vmcnt(44)
	v_fmac_f64_e32 v[170:171], v[162:163], v[104:105]
	v_add_f64 v[2:3], v[2:3], v[4:5]
	v_mul_f64 v[4:5], v[126:127], v[66:67]
	v_add_f64 v[172:173], v[168:169], v[170:171]
	ds_read_b128 v[168:171], v1 offset:1040
	s_waitcnt lgkmcnt(1)
	v_mul_f64 v[174:175], v[164:165], v[98:99]
	v_fma_f64 v[4:5], v[124:125], v[68:69], -v[4:5]
	v_fmac_f64_e32 v[174:175], v[166:167], v[100:101]
	v_add_f64 v[2:3], v[2:3], v[4:5]
	v_mul_f64 v[4:5], v[138:139], v[78:79]
	v_add_f64 v[176:177], v[172:173], v[174:175]
	ds_read_b128 v[172:175], v1 offset:1056
	v_fma_f64 v[4:5], v[136:137], v[80:81], -v[4:5]
	v_add_f64 v[2:3], v[2:3], v[4:5]
	v_mul_f64 v[4:5], v[142:143], v[74:75]
	v_fma_f64 v[4:5], v[140:141], v[76:77], -v[4:5]
	s_waitcnt vmcnt(38) lgkmcnt(1)
	v_mul_f64 v[178:179], v[168:169], v[110:111]
	v_add_f64 v[2:3], v[2:3], v[4:5]
	v_mul_f64 v[4:5], v[146:147], v[86:87]
	s_waitcnt vmcnt(36)
	v_fmac_f64_e32 v[178:179], v[170:171], v[112:113]
	v_fma_f64 v[4:5], v[144:145], v[88:89], -v[4:5]
	v_add_f64 v[180:181], v[176:177], v[178:179]
	ds_read_b128 v[176:179], v1 offset:1072
	s_waitcnt lgkmcnt(1)
	v_mul_f64 v[182:183], v[172:173], v[106:107]
	v_add_f64 v[2:3], v[2:3], v[4:5]
	v_mul_f64 v[4:5], v[150:151], v[82:83]
	v_fmac_f64_e32 v[182:183], v[174:175], v[108:109]
	v_fma_f64 v[4:5], v[148:149], v[84:85], -v[4:5]
	v_add_f64 v[194:195], v[180:181], v[182:183]
	ds_read_b128 v[180:183], v1 offset:1088
	v_add_f64 v[2:3], v[2:3], v[4:5]
	v_mul_f64 v[4:5], v[154:155], v[94:95]
	v_fma_f64 v[4:5], v[152:153], v[96:97], -v[4:5]
	v_add_f64 v[2:3], v[2:3], v[4:5]
	v_mul_f64 v[4:5], v[158:159], v[90:91]
	s_waitcnt vmcnt(30) lgkmcnt(1)
	v_mul_f64 v[196:197], v[176:177], v[118:119]
	v_fma_f64 v[4:5], v[156:157], v[92:93], -v[4:5]
	s_waitcnt vmcnt(28)
	v_fmac_f64_e32 v[196:197], v[178:179], v[122:123]
	v_add_f64 v[2:3], v[2:3], v[4:5]
	v_mul_f64 v[4:5], v[162:163], v[102:103]
	v_add_f64 v[198:199], v[194:195], v[196:197]
	ds_read_b128 v[194:197], v1 offset:1104
	s_waitcnt lgkmcnt(1)
	v_mul_f64 v[200:201], v[180:181], v[114:115]
	v_fma_f64 v[4:5], v[160:161], v[104:105], -v[4:5]
	v_fmac_f64_e32 v[200:201], v[182:183], v[116:117]
	v_add_f64 v[2:3], v[2:3], v[4:5]
	v_mul_f64 v[4:5], v[166:167], v[98:99]
	v_add_f64 v[202:203], v[198:199], v[200:201]
	ds_read_b128 v[198:201], v1 offset:1120
	v_fma_f64 v[4:5], v[164:165], v[100:101], -v[4:5]
	v_add_f64 v[2:3], v[2:3], v[4:5]
	v_mul_f64 v[4:5], v[170:171], v[110:111]
	v_fma_f64 v[4:5], v[168:169], v[112:113], -v[4:5]
	s_waitcnt vmcnt(22) lgkmcnt(1)
	v_mul_f64 v[204:205], v[194:195], v[132:133]
	v_add_f64 v[2:3], v[2:3], v[4:5]
	v_mul_f64 v[4:5], v[174:175], v[106:107]
	s_waitcnt vmcnt(20)
	v_fmac_f64_e32 v[204:205], v[196:197], v[134:135]
	v_fma_f64 v[4:5], v[172:173], v[108:109], -v[4:5]
	v_add_f64 v[206:207], v[202:203], v[204:205]
	ds_read_b128 v[202:205], v1 offset:1136
	s_waitcnt lgkmcnt(1)
	v_mul_f64 v[208:209], v[198:199], v[128:129]
	v_add_f64 v[2:3], v[2:3], v[4:5]
	v_mul_f64 v[4:5], v[178:179], v[118:119]
	v_fmac_f64_e32 v[208:209], v[200:201], v[130:131]
	v_fma_f64 v[4:5], v[176:177], v[122:123], -v[4:5]
	v_add_f64 v[210:211], v[206:207], v[208:209]
	ds_read_b128 v[206:209], v1 offset:1152
	v_add_f64 v[2:3], v[2:3], v[4:5]
	v_mul_f64 v[4:5], v[182:183], v[114:115]
	v_fma_f64 v[4:5], v[180:181], v[116:117], -v[4:5]
	v_add_f64 v[2:3], v[2:3], v[4:5]
	v_mul_f64 v[4:5], v[196:197], v[132:133]
	s_waitcnt vmcnt(14) lgkmcnt(1)
	v_mul_f64 v[212:213], v[202:203], v[224:225]
	v_fma_f64 v[4:5], v[194:195], v[134:135], -v[4:5]
	s_waitcnt vmcnt(12)
	v_fmac_f64_e32 v[212:213], v[204:205], v[226:227]
	v_add_f64 v[2:3], v[2:3], v[4:5]
	v_mul_f64 v[4:5], v[200:201], v[128:129]
	v_add_f64 v[214:215], v[210:211], v[212:213]
	ds_read_b128 v[210:213], v1 offset:1168
	s_waitcnt lgkmcnt(1)
	v_mul_f64 v[216:217], v[206:207], v[184:185]
	v_fma_f64 v[4:5], v[198:199], v[130:131], -v[4:5]
	v_fmac_f64_e32 v[216:217], v[208:209], v[222:223]
	v_add_f64 v[2:3], v[2:3], v[4:5]
	v_mul_f64 v[4:5], v[204:205], v[224:225]
	v_add_f64 v[240:241], v[214:215], v[216:217]
	ds_read_b128 v[214:217], v1 offset:1184
	v_fma_f64 v[4:5], v[202:203], v[226:227], -v[4:5]
	v_add_f64 v[2:3], v[2:3], v[4:5]
	v_mul_f64 v[4:5], v[208:209], v[184:185]
	ds_read_b128 v[218:221], v1 offset:1200
	v_fma_f64 v[4:5], v[206:207], v[222:223], -v[4:5]
	v_add_f64 v[2:3], v[2:3], v[4:5]
	s_waitcnt vmcnt(6) lgkmcnt(2)
	v_mul_f64 v[4:5], v[212:213], v[232:233]
	v_mul_f64 v[242:243], v[210:211], v[232:233]
	s_waitcnt vmcnt(4)
	v_fma_f64 v[4:5], v[210:211], v[234:235], -v[4:5]
	v_fmac_f64_e32 v[242:243], v[212:213], v[234:235]
	v_add_f64 v[2:3], v[2:3], v[4:5]
	s_waitcnt lgkmcnt(1)
	v_mul_f64 v[4:5], v[216:217], v[228:229]
	v_add_f64 v[240:241], v[240:241], v[242:243]
	v_mul_f64 v[242:243], v[214:215], v[228:229]
	v_fma_f64 v[4:5], v[214:215], v[230:231], -v[4:5]
	v_fmac_f64_e32 v[242:243], v[216:217], v[230:231]
	v_add_f64 v[2:3], v[2:3], v[4:5]
	s_waitcnt vmcnt(2) lgkmcnt(0)
	v_mul_f64 v[4:5], v[220:221], v[236:237]
	v_add_f64 v[240:241], v[240:241], v[242:243]
	v_mul_f64 v[242:243], v[218:219], v[236:237]
	s_waitcnt vmcnt(0)
	v_fma_f64 v[4:5], v[218:219], v[238:239], -v[4:5]
	v_fmac_f64_e32 v[242:243], v[220:221], v[238:239]
	v_add_f64 v[2:3], v[2:3], v[4:5]
	v_add_f64 v[240:241], v[240:241], v[242:243]
	v_add_f64 v[2:3], v[46:47], -v[2:3]
	v_add_f64 v[4:5], v[44:45], -v[240:241]
	buffer_store_dword v3, off, s[0:3], 0 offset:164
	buffer_store_dword v2, off, s[0:3], 0 offset:160
	;; [unrolled: 1-line block ×4, first 2 shown]
	s_and_saveexec_b64 s[4:5], vcc
	s_cbranch_execz .LBB37_225
; %bb.224:
	v_accvgpr_read_b32 v1, a104
	buffer_load_dword v2, v1, s[0:3], 0 offen
	buffer_load_dword v3, v1, s[0:3], 0 offen offset:4
	buffer_load_dword v4, v1, s[0:3], 0 offen offset:8
	;; [unrolled: 1-line block ×3, first 2 shown]
	v_mov_b32_e32 v1, 0
	buffer_store_dword v1, off, s[0:3], 0 offset:144
	buffer_store_dword v1, off, s[0:3], 0 offset:148
	;; [unrolled: 1-line block ×4, first 2 shown]
	s_waitcnt vmcnt(4)
	ds_write_b128 v120, v[2:5]
.LBB37_225:
	s_or_b64 exec, exec, s[4:5]
	s_waitcnt lgkmcnt(0)
	; wave barrier
	s_waitcnt lgkmcnt(0)
	buffer_load_dword v38, off, s[0:3], 0 offset:160
	buffer_load_dword v39, off, s[0:3], 0 offset:164
	;; [unrolled: 1-line block ×48, first 2 shown]
	v_mov_b32_e32 v1, 0
	ds_read_b128 v[34:37], v1 offset:752
	ds_read_b128 v[30:33], v1 offset:768
	;; [unrolled: 1-line block ×9, first 2 shown]
	v_cmp_lt_u32_e32 vcc, 7, v0
	s_waitcnt vmcnt(44) lgkmcnt(8)
	v_mul_f64 v[86:87], v[34:35], v[42:43]
	v_fmac_f64_e32 v[86:87], v[36:37], v[38:39]
	v_add_f64 v[86:87], v[86:87], 0
	v_mul_f64 v[36:37], v[36:37], v[42:43]
	s_waitcnt vmcnt(40) lgkmcnt(7)
	v_mul_f64 v[88:89], v[30:31], v[44:45]
	v_fmac_f64_e32 v[88:89], v[32:33], v[40:41]
	s_waitcnt vmcnt(38) lgkmcnt(6)
	v_mul_f64 v[90:91], v[26:27], v[46:47]
	v_add_f64 v[86:87], v[86:87], v[88:89]
	s_waitcnt vmcnt(36) lgkmcnt(4)
	v_mul_f64 v[94:95], v[18:19], v[48:49]
	v_fma_f64 v[34:35], v[34:35], v[38:39], -v[36:37]
	s_waitcnt vmcnt(34)
	v_fmac_f64_e32 v[94:95], v[20:21], v[50:51]
	v_mul_f64 v[32:33], v[32:33], v[44:45]
	s_waitcnt vmcnt(32)
	v_mul_f64 v[92:93], v[22:23], v[52:53]
	v_add_f64 v[34:35], v[34:35], 0
	s_waitcnt vmcnt(30) lgkmcnt(2)
	v_mul_f64 v[98:99], v[10:11], v[54:55]
	v_fma_f64 v[30:31], v[30:31], v[40:41], -v[32:33]
	s_waitcnt vmcnt(28)
	v_fmac_f64_e32 v[98:99], v[12:13], v[56:57]
	v_add_f64 v[30:31], v[34:35], v[30:31]
	s_waitcnt vmcnt(26)
	v_mul_f64 v[96:97], v[14:15], v[58:59]
	v_mul_f64 v[20:21], v[20:21], v[48:49]
	v_fma_f64 v[18:19], v[18:19], v[50:51], -v[20:21]
	v_mul_f64 v[12:13], v[12:13], v[54:55]
	s_waitcnt vmcnt(22) lgkmcnt(1)
	v_mul_f64 v[110:111], v[6:7], v[68:69]
	v_fma_f64 v[10:11], v[10:11], v[56:57], -v[12:13]
	s_waitcnt vmcnt(20)
	v_fmac_f64_e32 v[90:91], v[28:29], v[76:77]
	v_add_f64 v[86:87], v[86:87], v[90:91]
	s_waitcnt vmcnt(18)
	v_fmac_f64_e32 v[92:93], v[24:25], v[74:75]
	v_add_f64 v[86:87], v[86:87], v[92:93]
	;; [unrolled: 3-line block ×3, first 2 shown]
	v_add_f64 v[86:87], v[86:87], v[96:97]
	v_add_f64 v[112:113], v[86:87], v[98:99]
	buffer_load_dword v87, off, s[0:3], 0 offset:364
	buffer_load_dword v86, off, s[0:3], 0 offset:360
	;; [unrolled: 1-line block ×72, first 2 shown]
	s_waitcnt vmcnt(62)
	v_fmac_f64_e32 v[110:111], v[8:9], v[70:71]
	v_add_f64 v[144:145], v[112:113], v[110:111]
	ds_read_b128 v[110:113], v1 offset:896
	s_waitcnt lgkmcnt(1)
	v_mul_f64 v[146:147], v[2:3], v[64:65]
	v_fmac_f64_e32 v[146:147], v[4:5], v[66:67]
	v_add_f64 v[148:149], v[144:145], v[146:147]
	ds_read_b128 v[144:147], v1 offset:912
	s_waitcnt lgkmcnt(1)
	v_mul_f64 v[150:151], v[110:111], v[82:83]
	;; [unrolled: 5-line block ×5, first 2 shown]
	v_fmac_f64_e32 v[162:163], v[154:155], v[88:89]
	v_add_f64 v[164:165], v[160:161], v[162:163]
	ds_read_b128 v[160:163], v1 offset:976
	s_waitcnt vmcnt(58) lgkmcnt(1)
	v_mul_f64 v[166:167], v[156:157], v[98:99]
	s_waitcnt vmcnt(56)
	v_fmac_f64_e32 v[166:167], v[158:159], v[100:101]
	v_add_f64 v[168:169], v[164:165], v[166:167]
	ds_read_b128 v[164:167], v1 offset:992
	s_waitcnt lgkmcnt(1)
	v_mul_f64 v[170:171], v[160:161], v[94:95]
	v_fmac_f64_e32 v[170:171], v[162:163], v[96:97]
	v_mul_f64 v[28:29], v[28:29], v[46:47]
	v_add_f64 v[172:173], v[168:169], v[170:171]
	ds_read_b128 v[168:171], v1 offset:1008
	s_waitcnt vmcnt(50) lgkmcnt(1)
	v_mul_f64 v[174:175], v[164:165], v[106:107]
	v_fma_f64 v[26:27], v[26:27], v[76:77], -v[28:29]
	v_mul_f64 v[24:25], v[24:25], v[52:53]
	s_waitcnt vmcnt(48)
	v_fmac_f64_e32 v[174:175], v[166:167], v[108:109]
	v_add_f64 v[26:27], v[30:31], v[26:27]
	v_fma_f64 v[22:23], v[22:23], v[74:75], -v[24:25]
	v_add_f64 v[176:177], v[172:173], v[174:175]
	ds_read_b128 v[172:175], v1 offset:1024
	v_add_f64 v[22:23], v[26:27], v[22:23]
	v_mul_f64 v[16:17], v[16:17], v[58:59]
	v_add_f64 v[18:19], v[22:23], v[18:19]
	v_fma_f64 v[14:15], v[14:15], v[72:73], -v[16:17]
	v_add_f64 v[14:15], v[18:19], v[14:15]
	v_mul_f64 v[8:9], v[8:9], v[68:69]
	s_waitcnt lgkmcnt(1)
	v_mul_f64 v[178:179], v[168:169], v[102:103]
	v_add_f64 v[10:11], v[14:15], v[10:11]
	v_fma_f64 v[6:7], v[6:7], v[70:71], -v[8:9]
	v_mul_f64 v[4:5], v[4:5], v[64:65]
	v_fmac_f64_e32 v[178:179], v[170:171], v[104:105]
	v_add_f64 v[6:7], v[10:11], v[6:7]
	v_fma_f64 v[2:3], v[2:3], v[66:67], -v[4:5]
	v_mul_f64 v[4:5], v[112:113], v[82:83]
	v_add_f64 v[180:181], v[176:177], v[178:179]
	ds_read_b128 v[176:179], v1 offset:1040
	s_waitcnt vmcnt(42) lgkmcnt(1)
	v_mul_f64 v[182:183], v[172:173], v[118:119]
	v_add_f64 v[2:3], v[6:7], v[2:3]
	v_fma_f64 v[4:5], v[110:111], v[84:85], -v[4:5]
	s_waitcnt vmcnt(40)
	v_fmac_f64_e32 v[182:183], v[174:175], v[122:123]
	v_add_f64 v[2:3], v[2:3], v[4:5]
	v_mul_f64 v[4:5], v[146:147], v[78:79]
	v_add_f64 v[194:195], v[180:181], v[182:183]
	ds_read_b128 v[180:183], v1 offset:1056
	v_fma_f64 v[4:5], v[144:145], v[80:81], -v[4:5]
	v_add_f64 v[2:3], v[2:3], v[4:5]
	v_mul_f64 v[4:5], v[150:151], v[90:91]
	v_fma_f64 v[4:5], v[148:149], v[92:93], -v[4:5]
	s_waitcnt lgkmcnt(1)
	v_mul_f64 v[196:197], v[176:177], v[114:115]
	v_add_f64 v[2:3], v[2:3], v[4:5]
	v_mul_f64 v[4:5], v[154:155], v[86:87]
	v_fmac_f64_e32 v[196:197], v[178:179], v[116:117]
	v_fma_f64 v[4:5], v[152:153], v[88:89], -v[4:5]
	v_add_f64 v[198:199], v[194:195], v[196:197]
	ds_read_b128 v[194:197], v1 offset:1072
	s_waitcnt vmcnt(34) lgkmcnt(1)
	v_mul_f64 v[200:201], v[180:181], v[128:129]
	v_add_f64 v[2:3], v[2:3], v[4:5]
	v_mul_f64 v[4:5], v[158:159], v[98:99]
	s_waitcnt vmcnt(32)
	v_fmac_f64_e32 v[200:201], v[182:183], v[130:131]
	v_fma_f64 v[4:5], v[156:157], v[100:101], -v[4:5]
	v_add_f64 v[202:203], v[198:199], v[200:201]
	ds_read_b128 v[198:201], v1 offset:1088
	v_add_f64 v[2:3], v[2:3], v[4:5]
	v_mul_f64 v[4:5], v[162:163], v[94:95]
	v_fma_f64 v[4:5], v[160:161], v[96:97], -v[4:5]
	v_add_f64 v[2:3], v[2:3], v[4:5]
	v_mul_f64 v[4:5], v[166:167], v[106:107]
	s_waitcnt lgkmcnt(1)
	v_mul_f64 v[204:205], v[194:195], v[124:125]
	v_fma_f64 v[4:5], v[164:165], v[108:109], -v[4:5]
	v_fmac_f64_e32 v[204:205], v[196:197], v[126:127]
	v_add_f64 v[2:3], v[2:3], v[4:5]
	v_mul_f64 v[4:5], v[170:171], v[102:103]
	v_add_f64 v[206:207], v[202:203], v[204:205]
	ds_read_b128 v[202:205], v1 offset:1104
	s_waitcnt vmcnt(26) lgkmcnt(1)
	v_mul_f64 v[208:209], v[198:199], v[136:137]
	v_fma_f64 v[4:5], v[168:169], v[104:105], -v[4:5]
	s_waitcnt vmcnt(24)
	v_fmac_f64_e32 v[208:209], v[200:201], v[138:139]
	v_add_f64 v[2:3], v[2:3], v[4:5]
	v_mul_f64 v[4:5], v[174:175], v[118:119]
	v_add_f64 v[210:211], v[206:207], v[208:209]
	ds_read_b128 v[206:209], v1 offset:1120
	v_fma_f64 v[4:5], v[172:173], v[122:123], -v[4:5]
	v_add_f64 v[2:3], v[2:3], v[4:5]
	v_mul_f64 v[4:5], v[178:179], v[114:115]
	v_fma_f64 v[4:5], v[176:177], v[116:117], -v[4:5]
	s_waitcnt lgkmcnt(1)
	v_mul_f64 v[212:213], v[202:203], v[132:133]
	v_add_f64 v[2:3], v[2:3], v[4:5]
	v_mul_f64 v[4:5], v[182:183], v[128:129]
	v_fmac_f64_e32 v[212:213], v[204:205], v[134:135]
	v_fma_f64 v[4:5], v[180:181], v[130:131], -v[4:5]
	v_add_f64 v[214:215], v[210:211], v[212:213]
	ds_read_b128 v[210:213], v1 offset:1136
	s_waitcnt vmcnt(18) lgkmcnt(1)
	v_mul_f64 v[216:217], v[206:207], v[184:185]
	v_add_f64 v[2:3], v[2:3], v[4:5]
	v_mul_f64 v[4:5], v[196:197], v[124:125]
	s_waitcnt vmcnt(16)
	v_fmac_f64_e32 v[216:217], v[208:209], v[230:231]
	v_fma_f64 v[4:5], v[194:195], v[126:127], -v[4:5]
	v_add_f64 v[218:219], v[214:215], v[216:217]
	ds_read_b128 v[214:217], v1 offset:1152
	v_add_f64 v[2:3], v[2:3], v[4:5]
	v_mul_f64 v[4:5], v[200:201], v[136:137]
	v_fma_f64 v[4:5], v[198:199], v[138:139], -v[4:5]
	v_add_f64 v[2:3], v[2:3], v[4:5]
	v_mul_f64 v[4:5], v[204:205], v[132:133]
	s_waitcnt lgkmcnt(1)
	v_mul_f64 v[220:221], v[210:211], v[140:141]
	v_fma_f64 v[4:5], v[202:203], v[134:135], -v[4:5]
	v_fmac_f64_e32 v[220:221], v[212:213], v[142:143]
	v_add_f64 v[2:3], v[2:3], v[4:5]
	v_mul_f64 v[4:5], v[208:209], v[184:185]
	v_add_f64 v[222:223], v[218:219], v[220:221]
	ds_read_b128 v[218:221], v1 offset:1168
	s_waitcnt vmcnt(10) lgkmcnt(1)
	v_mul_f64 v[224:225], v[214:215], v[236:237]
	v_fma_f64 v[4:5], v[206:207], v[230:231], -v[4:5]
	s_waitcnt vmcnt(8)
	v_fmac_f64_e32 v[224:225], v[216:217], v[238:239]
	v_add_f64 v[2:3], v[2:3], v[4:5]
	v_mul_f64 v[4:5], v[212:213], v[140:141]
	v_add_f64 v[248:249], v[222:223], v[224:225]
	ds_read_b128 v[222:225], v1 offset:1184
	ds_read_b128 v[226:229], v1 offset:1200
	v_fma_f64 v[4:5], v[210:211], v[142:143], -v[4:5]
	v_add_f64 v[2:3], v[2:3], v[4:5]
	v_mul_f64 v[4:5], v[216:217], v[236:237]
	v_fma_f64 v[4:5], v[214:215], v[238:239], -v[4:5]
	v_add_f64 v[2:3], v[2:3], v[4:5]
	s_waitcnt lgkmcnt(2)
	v_mul_f64 v[4:5], v[220:221], v[232:233]
	v_mul_f64 v[250:251], v[218:219], v[232:233]
	v_fma_f64 v[4:5], v[218:219], v[234:235], -v[4:5]
	v_fmac_f64_e32 v[250:251], v[220:221], v[234:235]
	v_add_f64 v[2:3], v[2:3], v[4:5]
	s_waitcnt vmcnt(2) lgkmcnt(1)
	v_mul_f64 v[4:5], v[224:225], v[244:245]
	v_add_f64 v[248:249], v[248:249], v[250:251]
	v_mul_f64 v[250:251], v[222:223], v[244:245]
	s_waitcnt vmcnt(0)
	v_fma_f64 v[4:5], v[222:223], v[246:247], -v[4:5]
	v_fmac_f64_e32 v[250:251], v[224:225], v[246:247]
	v_add_f64 v[2:3], v[2:3], v[4:5]
	s_waitcnt lgkmcnt(0)
	v_mul_f64 v[4:5], v[228:229], v[240:241]
	v_add_f64 v[248:249], v[248:249], v[250:251]
	v_mul_f64 v[250:251], v[226:227], v[240:241]
	v_fma_f64 v[4:5], v[226:227], v[242:243], -v[4:5]
	v_fmac_f64_e32 v[250:251], v[228:229], v[242:243]
	v_add_f64 v[2:3], v[2:3], v[4:5]
	v_add_f64 v[248:249], v[248:249], v[250:251]
	v_add_f64 v[2:3], v[62:63], -v[2:3]
	v_add_f64 v[4:5], v[60:61], -v[248:249]
	buffer_store_dword v3, off, s[0:3], 0 offset:148
	buffer_store_dword v2, off, s[0:3], 0 offset:144
	buffer_store_dword v5, off, s[0:3], 0 offset:156
	buffer_store_dword v4, off, s[0:3], 0 offset:152
	s_and_saveexec_b64 s[4:5], vcc
	s_cbranch_execz .LBB37_227
; %bb.226:
	v_accvgpr_read_b32 v5, a105
	buffer_load_dword v2, v5, s[0:3], 0 offen
	buffer_load_dword v3, v5, s[0:3], 0 offen offset:4
	buffer_load_dword v4, v5, s[0:3], 0 offen offset:8
	s_nop 0
	buffer_load_dword v5, v5, s[0:3], 0 offen offset:12
	s_nop 0
	buffer_store_dword v1, off, s[0:3], 0 offset:128
	buffer_store_dword v1, off, s[0:3], 0 offset:132
	;; [unrolled: 1-line block ×4, first 2 shown]
	s_waitcnt vmcnt(4)
	ds_write_b128 v120, v[2:5]
.LBB37_227:
	s_or_b64 exec, exec, s[4:5]
	s_waitcnt lgkmcnt(0)
	; wave barrier
	s_waitcnt lgkmcnt(0)
	buffer_load_dword v48, off, s[0:3], 0 offset:144
	buffer_load_dword v49, off, s[0:3], 0 offset:148
	;; [unrolled: 1-line block ×40, first 2 shown]
	ds_read_b128 v[38:41], v1 offset:736
	ds_read_b128 v[34:37], v1 offset:752
	;; [unrolled: 1-line block ×10, first 2 shown]
	buffer_load_dword v83, off, s[0:3], 0 offset:316
	buffer_load_dword v82, off, s[0:3], 0 offset:312
	;; [unrolled: 1-line block ×8, first 2 shown]
	v_cmp_lt_u32_e32 vcc, 6, v0
	s_waitcnt vmcnt(44) lgkmcnt(9)
	v_mul_f64 v[90:91], v[38:39], v[50:51]
	v_fmac_f64_e32 v[90:91], v[40:41], v[48:49]
	v_add_f64 v[90:91], v[90:91], 0
	v_mul_f64 v[40:41], v[40:41], v[50:51]
	s_waitcnt vmcnt(40) lgkmcnt(8)
	v_mul_f64 v[92:93], v[34:35], v[44:45]
	v_fmac_f64_e32 v[92:93], v[36:37], v[42:43]
	s_waitcnt vmcnt(38) lgkmcnt(7)
	v_mul_f64 v[94:95], v[30:31], v[46:47]
	v_add_f64 v[90:91], v[90:91], v[92:93]
	s_waitcnt vmcnt(36) lgkmcnt(5)
	v_mul_f64 v[98:99], v[22:23], v[52:53]
	v_mul_f64 v[36:37], v[36:37], v[44:45]
	s_waitcnt vmcnt(34)
	v_fmac_f64_e32 v[98:99], v[24:25], v[54:55]
	v_fma_f64 v[34:35], v[34:35], v[42:43], -v[36:37]
	s_waitcnt vmcnt(32)
	v_mul_f64 v[96:97], v[26:27], v[56:57]
	v_mul_f64 v[24:25], v[24:25], v[52:53]
	s_waitcnt vmcnt(30) lgkmcnt(4)
	v_mul_f64 v[100:101], v[18:19], v[62:63]
	v_fma_f64 v[22:23], v[22:23], v[54:55], -v[24:25]
	s_waitcnt vmcnt(28) lgkmcnt(1)
	v_mul_f64 v[124:125], v[2:3], v[64:65]
	s_waitcnt vmcnt(25)
	v_mul_f64 v[104:105], v[6:7], v[68:69]
	s_waitcnt vmcnt(23)
	;; [unrolled: 2-line block ×3, first 2 shown]
	v_fmac_f64_e32 v[102:103], v[12:13], v[72:73]
	v_mul_f64 v[12:13], v[12:13], v[70:71]
	s_waitcnt vmcnt(19)
	v_fmac_f64_e32 v[94:95], v[32:33], v[80:81]
	v_add_f64 v[90:91], v[90:91], v[94:95]
	s_waitcnt vmcnt(17)
	v_fmac_f64_e32 v[96:97], v[28:29], v[78:79]
	v_add_f64 v[90:91], v[90:91], v[96:97]
	;; [unrolled: 3-line block ×3, first 2 shown]
	v_add_f64 v[90:91], v[90:91], v[100:101]
	s_waitcnt vmcnt(13)
	v_fmac_f64_e32 v[104:105], v[8:9], v[74:75]
	v_add_f64 v[90:91], v[90:91], v[102:103]
	v_add_f64 v[126:127], v[90:91], v[104:105]
	buffer_load_dword v91, off, s[0:3], 0 offset:348
	buffer_load_dword v90, off, s[0:3], 0 offset:344
	;; [unrolled: 1-line block ×72, first 2 shown]
	s_waitcnt vmcnt(62)
	v_fmac_f64_e32 v[124:125], v[4:5], v[66:67]
	v_add_f64 v[152:153], v[126:127], v[124:125]
	ds_read_b128 v[124:127], v1 offset:896
	s_waitcnt lgkmcnt(1)
	v_mul_f64 v[154:155], v[14:15], v[86:87]
	v_fmac_f64_e32 v[154:155], v[16:17], v[88:89]
	buffer_load_dword v245, off, s[0:3], 0 offset:620
	buffer_load_dword v244, off, s[0:3], 0 offset:616
	;; [unrolled: 1-line block ×4, first 2 shown]
	v_add_f64 v[156:157], v[152:153], v[154:155]
	s_waitcnt lgkmcnt(0)
	v_mul_f64 v[158:159], v[124:125], v[82:83]
	ds_read_b128 v[152:155], v1 offset:912
	v_fmac_f64_e32 v[158:159], v[126:127], v[84:85]
	v_add_f64 v[160:161], v[156:157], v[158:159]
	ds_read_b128 v[156:159], v1 offset:928
	v_mul_f64 v[32:33], v[32:33], v[46:47]
	s_waitcnt lgkmcnt(1)
	v_mul_f64 v[162:163], v[152:153], v[94:95]
	v_fma_f64 v[30:31], v[30:31], v[80:81], -v[32:33]
	v_fmac_f64_e32 v[162:163], v[154:155], v[96:97]
	s_waitcnt lgkmcnt(0)
	v_mul_f64 v[166:167], v[156:157], v[90:91]
	v_add_f64 v[164:165], v[160:161], v[162:163]
	ds_read_b128 v[160:163], v1 offset:944
	v_fmac_f64_e32 v[166:167], v[158:159], v[92:93]
	v_add_f64 v[168:169], v[164:165], v[166:167]
	ds_read_b128 v[164:167], v1 offset:960
	v_mul_f64 v[28:29], v[28:29], v[56:57]
	s_waitcnt vmcnt(62) lgkmcnt(1)
	v_mul_f64 v[170:171], v[160:161], v[102:103]
	s_waitcnt vmcnt(60)
	v_fmac_f64_e32 v[170:171], v[162:163], v[104:105]
	v_add_f64 v[172:173], v[168:169], v[170:171]
	s_waitcnt lgkmcnt(0)
	v_mul_f64 v[174:175], v[164:165], v[98:99]
	ds_read_b128 v[168:171], v1 offset:976
	v_fmac_f64_e32 v[174:175], v[166:167], v[100:101]
	v_add_f64 v[176:177], v[172:173], v[174:175]
	ds_read_b128 v[172:175], v1 offset:992
	v_fma_f64 v[26:27], v[26:27], v[78:79], -v[28:29]
	s_waitcnt vmcnt(54) lgkmcnt(1)
	v_mul_f64 v[178:179], v[168:169], v[110:111]
	s_waitcnt vmcnt(52)
	v_fmac_f64_e32 v[178:179], v[170:171], v[112:113]
	v_add_f64 v[180:181], v[176:177], v[178:179]
	s_waitcnt lgkmcnt(0)
	v_mul_f64 v[182:183], v[172:173], v[106:107]
	ds_read_b128 v[176:179], v1 offset:1008
	v_fmac_f64_e32 v[182:183], v[174:175], v[108:109]
	v_add_f64 v[194:195], v[180:181], v[182:183]
	ds_read_b128 v[180:183], v1 offset:1024
	v_mul_f64 v[20:21], v[20:21], v[62:63]
	s_waitcnt vmcnt(46) lgkmcnt(1)
	v_mul_f64 v[196:197], v[176:177], v[118:119]
	s_waitcnt vmcnt(44)
	v_fmac_f64_e32 v[196:197], v[178:179], v[122:123]
	v_add_f64 v[198:199], v[194:195], v[196:197]
	s_waitcnt lgkmcnt(0)
	v_mul_f64 v[200:201], v[180:181], v[114:115]
	ds_read_b128 v[194:197], v1 offset:1040
	v_fmac_f64_e32 v[200:201], v[182:183], v[116:117]
	v_add_f64 v[202:203], v[198:199], v[200:201]
	ds_read_b128 v[198:201], v1 offset:1056
	v_fma_f64 v[18:19], v[18:19], v[76:77], -v[20:21]
	s_waitcnt vmcnt(38) lgkmcnt(1)
	v_mul_f64 v[204:205], v[194:195], v[132:133]
	s_waitcnt vmcnt(36)
	v_fmac_f64_e32 v[204:205], v[196:197], v[134:135]
	v_add_f64 v[206:207], v[202:203], v[204:205]
	s_waitcnt lgkmcnt(0)
	v_mul_f64 v[208:209], v[198:199], v[128:129]
	ds_read_b128 v[202:205], v1 offset:1072
	v_fmac_f64_e32 v[208:209], v[200:201], v[130:131]
	v_add_f64 v[210:211], v[206:207], v[208:209]
	ds_read_b128 v[206:209], v1 offset:1088
	v_fma_f64 v[10:11], v[10:11], v[72:73], -v[12:13]
	s_waitcnt vmcnt(30) lgkmcnt(1)
	v_mul_f64 v[212:213], v[202:203], v[140:141]
	s_waitcnt vmcnt(28)
	v_fmac_f64_e32 v[212:213], v[204:205], v[142:143]
	v_add_f64 v[214:215], v[210:211], v[212:213]
	s_waitcnt lgkmcnt(0)
	v_mul_f64 v[216:217], v[206:207], v[136:137]
	ds_read_b128 v[210:213], v1 offset:1104
	v_fmac_f64_e32 v[216:217], v[208:209], v[138:139]
	v_add_f64 v[218:219], v[214:215], v[216:217]
	ds_read_b128 v[214:217], v1 offset:1120
	v_mul_f64 v[8:9], v[8:9], v[68:69]
	s_waitcnt vmcnt(22) lgkmcnt(1)
	v_mul_f64 v[220:221], v[210:211], v[148:149]
	s_waitcnt vmcnt(20)
	v_fmac_f64_e32 v[220:221], v[212:213], v[150:151]
	v_add_f64 v[222:223], v[218:219], v[220:221]
	s_waitcnt lgkmcnt(0)
	v_mul_f64 v[224:225], v[214:215], v[144:145]
	ds_read_b128 v[218:221], v1 offset:1136
	v_fmac_f64_e32 v[224:225], v[216:217], v[146:147]
	v_add_f64 v[226:227], v[222:223], v[224:225]
	ds_read_b128 v[222:225], v1 offset:1152
	v_fma_f64 v[6:7], v[6:7], v[74:75], -v[8:9]
	s_waitcnt vmcnt(14) lgkmcnt(1)
	v_mul_f64 v[228:229], v[218:219], v[232:233]
	s_waitcnt vmcnt(12)
	v_fmac_f64_e32 v[228:229], v[220:221], v[234:235]
	v_add_f64 v[248:249], v[226:227], v[228:229]
	s_waitcnt lgkmcnt(0)
	v_mul_f64 v[250:251], v[222:223], v[184:185]
	v_fmac_f64_e32 v[250:251], v[224:225], v[230:231]
	v_add_f64 v[248:249], v[248:249], v[250:251]
	v_fma_f64 v[250:251], v[38:39], v[48:49], -v[40:41]
	v_add_f64 v[250:251], v[250:251], 0
	v_add_f64 v[34:35], v[250:251], v[34:35]
	;; [unrolled: 1-line block ×7, first 2 shown]
	v_mul_f64 v[4:5], v[4:5], v[64:65]
	v_add_f64 v[6:7], v[10:11], v[6:7]
	v_fma_f64 v[2:3], v[2:3], v[66:67], -v[4:5]
	v_mul_f64 v[4:5], v[16:17], v[86:87]
	v_add_f64 v[2:3], v[6:7], v[2:3]
	v_fma_f64 v[4:5], v[14:15], v[88:89], -v[4:5]
	v_add_f64 v[2:3], v[2:3], v[4:5]
	v_mul_f64 v[4:5], v[126:127], v[82:83]
	v_fma_f64 v[4:5], v[124:125], v[84:85], -v[4:5]
	v_add_f64 v[2:3], v[2:3], v[4:5]
	v_mul_f64 v[4:5], v[154:155], v[94:95]
	;; [unrolled: 3-line block ×15, first 2 shown]
	ds_read_b128 v[226:229], v1 offset:1168
	ds_read_b128 v[38:41], v1 offset:1184
	v_fma_f64 v[4:5], v[214:215], v[146:147], -v[4:5]
	v_add_f64 v[2:3], v[2:3], v[4:5]
	v_mul_f64 v[4:5], v[220:221], v[232:233]
	v_fma_f64 v[4:5], v[218:219], v[234:235], -v[4:5]
	v_add_f64 v[2:3], v[2:3], v[4:5]
	v_mul_f64 v[4:5], v[224:225], v[184:185]
	ds_read_b128 v[48:51], v1 offset:1200
	v_fma_f64 v[4:5], v[222:223], v[230:231], -v[4:5]
	v_add_f64 v[2:3], v[2:3], v[4:5]
	s_waitcnt vmcnt(6) lgkmcnt(2)
	v_mul_f64 v[4:5], v[228:229], v[240:241]
	v_mul_f64 v[252:253], v[226:227], v[240:241]
	s_waitcnt vmcnt(4)
	v_fma_f64 v[4:5], v[226:227], v[242:243], -v[4:5]
	v_fmac_f64_e32 v[252:253], v[228:229], v[242:243]
	v_add_f64 v[2:3], v[2:3], v[4:5]
	s_waitcnt lgkmcnt(1)
	v_mul_f64 v[4:5], v[40:41], v[236:237]
	v_add_f64 v[248:249], v[248:249], v[252:253]
	v_mul_f64 v[252:253], v[38:39], v[236:237]
	v_fma_f64 v[4:5], v[38:39], v[238:239], -v[4:5]
	v_fmac_f64_e32 v[252:253], v[40:41], v[238:239]
	v_add_f64 v[2:3], v[2:3], v[4:5]
	s_waitcnt vmcnt(2) lgkmcnt(0)
	v_mul_f64 v[4:5], v[50:51], v[244:245]
	v_add_f64 v[248:249], v[248:249], v[252:253]
	v_mul_f64 v[252:253], v[48:49], v[244:245]
	s_waitcnt vmcnt(0)
	v_fma_f64 v[4:5], v[48:49], v[246:247], -v[4:5]
	v_fmac_f64_e32 v[252:253], v[50:51], v[246:247]
	v_add_f64 v[2:3], v[2:3], v[4:5]
	v_add_f64 v[248:249], v[248:249], v[252:253]
	v_add_f64 v[2:3], v[60:61], -v[2:3]
	v_add_f64 v[4:5], v[58:59], -v[248:249]
	buffer_store_dword v3, off, s[0:3], 0 offset:132
	buffer_store_dword v2, off, s[0:3], 0 offset:128
	;; [unrolled: 1-line block ×4, first 2 shown]
	s_and_saveexec_b64 s[4:5], vcc
	s_cbranch_execz .LBB37_229
; %bb.228:
	v_accvgpr_read_b32 v1, a106
	buffer_load_dword v2, v1, s[0:3], 0 offen
	buffer_load_dword v3, v1, s[0:3], 0 offen offset:4
	buffer_load_dword v4, v1, s[0:3], 0 offen offset:8
	;; [unrolled: 1-line block ×3, first 2 shown]
	v_mov_b32_e32 v1, 0
	buffer_store_dword v1, off, s[0:3], 0 offset:112
	buffer_store_dword v1, off, s[0:3], 0 offset:116
	;; [unrolled: 1-line block ×4, first 2 shown]
	s_waitcnt vmcnt(4)
	ds_write_b128 v120, v[2:5]
.LBB37_229:
	s_or_b64 exec, exec, s[4:5]
	s_waitcnt lgkmcnt(0)
	; wave barrier
	s_waitcnt lgkmcnt(0)
	buffer_load_dword v106, off, s[0:3], 0 offset:128
	buffer_load_dword v107, off, s[0:3], 0 offset:132
	;; [unrolled: 1-line block ×49, first 2 shown]
	v_mov_b32_e32 v1, 0
	ds_read_b128 v[110:113], v1 offset:720
	ds_read_b128 v[250:253], v1 offset:736
	;; [unrolled: 1-line block ×10, first 2 shown]
	buffer_load_dword v160, off, s[0:3], 0 offset:320
	buffer_load_dword v175, off, s[0:3], 0 offset:316
	;; [unrolled: 1-line block ×69, first 2 shown]
	v_cmp_lt_u32_e32 vcc, 5, v0
	s_waitcnt vmcnt(62) lgkmcnt(9)
	v_mul_f64 v[34:35], v[110:111], v[108:109]
	v_fmac_f64_e32 v[34:35], v[112:113], v[106:107]
	v_add_f64 v[34:35], v[34:35], 0
	v_mul_f64 v[108:109], v[112:113], v[108:109]
	s_waitcnt lgkmcnt(8)
	v_mul_f64 v[36:37], v[250:251], v[116:117]
	v_fmac_f64_e32 v[36:37], v[252:253], v[114:115]
	s_waitcnt lgkmcnt(7)
	v_mul_f64 v[38:39], v[30:31], v[118:119]
	v_add_f64 v[34:35], v[34:35], v[36:37]
	s_waitcnt lgkmcnt(5)
	v_mul_f64 v[42:43], v[22:23], v[122:123]
	v_mul_f64 v[116:117], v[252:253], v[116:117]
	v_fmac_f64_e32 v[42:43], v[24:25], v[124:125]
	v_fma_f64 v[250:251], v[250:251], v[114:115], -v[116:117]
	v_mul_f64 v[40:41], v[26:27], v[126:127]
	v_mul_f64 v[24:25], v[24:25], v[122:123]
	s_waitcnt lgkmcnt(3)
	v_mul_f64 v[46:47], v[14:15], v[128:129]
	v_fma_f64 v[22:23], v[22:23], v[124:125], -v[24:25]
	v_fmac_f64_e32 v[46:47], v[16:17], v[130:131]
	v_mul_f64 v[16:17], v[16:17], v[128:129]
	v_mul_f64 v[44:45], v[18:19], v[132:133]
	v_fma_f64 v[14:15], v[14:15], v[130:131], -v[16:17]
	s_waitcnt lgkmcnt(1)
	v_mul_f64 v[50:51], v[6:7], v[134:135]
	v_fmac_f64_e32 v[50:51], v[8:9], v[136:137]
	v_mul_f64 v[8:9], v[8:9], v[134:135]
	v_mul_f64 v[48:49], v[10:11], v[142:143]
	v_fma_f64 v[6:7], v[6:7], v[136:137], -v[8:9]
	s_waitcnt lgkmcnt(0)
	v_mul_f64 v[52:53], v[2:3], v[138:139]
	v_fmac_f64_e32 v[38:39], v[32:33], v[154:155]
	v_add_f64 v[34:35], v[34:35], v[38:39]
	v_fmac_f64_e32 v[40:41], v[28:29], v[152:153]
	v_add_f64 v[34:35], v[34:35], v[40:41]
	;; [unrolled: 2-line block ×3, first 2 shown]
	v_add_f64 v[34:35], v[34:35], v[44:45]
	v_fmac_f64_e32 v[48:49], v[12:13], v[148:149]
	v_add_f64 v[34:35], v[34:35], v[46:47]
	v_add_f64 v[34:35], v[34:35], v[48:49]
	v_fmac_f64_e32 v[52:53], v[4:5], v[146:147]
	v_add_f64 v[34:35], v[34:35], v[50:51]
	v_add_f64 v[42:43], v[34:35], v[52:53]
	ds_read_b128 v[38:41], v1 offset:880
	ds_read_b128 v[34:37], v1 offset:896
	buffer_load_dword v231, off, s[0:3], 0 offset:620
	buffer_load_dword v230, off, s[0:3], 0 offset:616
	;; [unrolled: 1-line block ×8, first 2 shown]
	ds_read_b128 v[114:117], v1 offset:1200
	v_mul_f64 v[32:33], v[32:33], v[118:119]
	s_waitcnt lgkmcnt(2)
	v_mul_f64 v[44:45], v[38:39], v[144:145]
	v_fmac_f64_e32 v[44:45], v[40:41], v[156:157]
	v_add_f64 v[46:47], v[42:43], v[44:45]
	ds_read_b128 v[42:45], v1 offset:912
	s_waitcnt lgkmcnt(2)
	v_mul_f64 v[48:49], v[34:35], v[174:175]
	v_fmac_f64_e32 v[48:49], v[36:37], v[178:179]
	v_add_f64 v[50:51], v[46:47], v[48:49]
	ds_read_b128 v[46:49], v1 offset:928
	;; [unrolled: 5-line block ×3, first 2 shown]
	s_waitcnt vmcnt(62) lgkmcnt(1)
	v_mul_f64 v[56:57], v[46:47], v[182:183]
	v_fmac_f64_e32 v[56:57], v[48:49], v[194:195]
	v_add_f64 v[58:59], v[54:55], v[56:57]
	ds_read_b128 v[54:57], v1 offset:960
	s_waitcnt lgkmcnt(1)
	v_mul_f64 v[60:61], v[50:51], v[162:163]
	v_fmac_f64_e32 v[60:61], v[52:53], v[164:165]
	v_add_f64 v[62:63], v[58:59], v[60:61]
	ds_read_b128 v[58:61], v1 offset:976
	s_waitcnt vmcnt(58) lgkmcnt(1)
	v_mul_f64 v[64:65], v[54:55], v[198:199]
	s_waitcnt vmcnt(56)
	v_fmac_f64_e32 v[64:65], v[56:57], v[202:203]
	v_add_f64 v[66:67], v[62:63], v[64:65]
	ds_read_b128 v[62:65], v1 offset:992
	s_waitcnt lgkmcnt(1)
	v_mul_f64 v[68:69], v[58:59], v[166:167]
	v_fmac_f64_e32 v[68:69], v[60:61], v[168:169]
	v_add_f64 v[70:71], v[66:67], v[68:69]
	ds_read_b128 v[66:69], v1 offset:1008
	s_waitcnt vmcnt(50) lgkmcnt(1)
	v_mul_f64 v[72:73], v[62:63], v[206:207]
	s_waitcnt vmcnt(48)
	v_fmac_f64_e32 v[72:73], v[64:65], v[210:211]
	v_add_f64 v[74:75], v[70:71], v[72:73]
	ds_read_b128 v[70:73], v1 offset:1024
	s_waitcnt lgkmcnt(1)
	v_mul_f64 v[76:77], v[66:67], v[170:171]
	v_fmac_f64_e32 v[76:77], v[68:69], v[172:173]
	v_add_f64 v[78:79], v[74:75], v[76:77]
	ds_read_b128 v[74:77], v1 offset:1040
	s_waitcnt vmcnt(42) lgkmcnt(1)
	v_mul_f64 v[80:81], v[70:71], v[214:215]
	s_waitcnt vmcnt(40)
	v_fmac_f64_e32 v[80:81], v[72:73], v[218:219]
	v_add_f64 v[82:83], v[78:79], v[80:81]
	ds_read_b128 v[78:81], v1 offset:1056
	s_waitcnt lgkmcnt(1)
	v_mul_f64 v[84:85], v[74:75], v[176:177]
	v_fmac_f64_e32 v[84:85], v[76:77], v[180:181]
	v_add_f64 v[86:87], v[82:83], v[84:85]
	ds_read_b128 v[82:85], v1 offset:1072
	s_waitcnt vmcnt(34) lgkmcnt(1)
	v_mul_f64 v[88:89], v[78:79], v[222:223]
	s_waitcnt vmcnt(32)
	v_fmac_f64_e32 v[88:89], v[80:81], v[224:225]
	v_add_f64 v[90:91], v[86:87], v[88:89]
	ds_read_b128 v[86:89], v1 offset:1088
	s_waitcnt lgkmcnt(1)
	v_mul_f64 v[92:93], v[82:83], v[184:185]
	v_fmac_f64_e32 v[92:93], v[84:85], v[196:197]
	v_add_f64 v[94:95], v[90:91], v[92:93]
	ds_read_b128 v[90:93], v1 offset:1104
	s_waitcnt vmcnt(26) lgkmcnt(1)
	v_mul_f64 v[96:97], v[86:87], v[226:227]
	s_waitcnt vmcnt(24)
	v_fmac_f64_e32 v[96:97], v[88:89], v[228:229]
	v_add_f64 v[98:99], v[94:95], v[96:97]
	ds_read_b128 v[94:97], v1 offset:1120
	s_waitcnt lgkmcnt(1)
	v_mul_f64 v[100:101], v[90:91], v[200:201]
	v_fmac_f64_e32 v[100:101], v[92:93], v[204:205]
	v_add_f64 v[246:247], v[98:99], v[100:101]
	ds_read_b128 v[98:101], v1 offset:1136
	ds_read_b128 v[102:105], v1 offset:1152
	s_waitcnt vmcnt(18) lgkmcnt(2)
	v_mul_f64 v[248:249], v[94:95], v[232:233]
	s_waitcnt vmcnt(16)
	v_fmac_f64_e32 v[248:249], v[96:97], v[236:237]
	v_add_f64 v[246:247], v[246:247], v[248:249]
	s_waitcnt lgkmcnt(1)
	v_mul_f64 v[248:249], v[98:99], v[208:209]
	v_fmac_f64_e32 v[248:249], v[100:101], v[212:213]
	v_add_f64 v[246:247], v[246:247], v[248:249]
	v_fma_f64 v[248:249], v[110:111], v[106:107], -v[108:109]
	ds_read_b128 v[110:113], v1 offset:1168
	ds_read_b128 v[106:109], v1 offset:1184
	s_waitcnt vmcnt(10) lgkmcnt(2)
	v_mul_f64 v[254:255], v[102:103], v[238:239]
	s_waitcnt vmcnt(8)
	v_fmac_f64_e32 v[254:255], v[104:105], v[240:241]
	v_add_f64 v[246:247], v[246:247], v[254:255]
	s_waitcnt lgkmcnt(1)
	v_mul_f64 v[252:253], v[110:111], v[216:217]
	v_fmac_f64_e32 v[252:253], v[112:113], v[220:221]
	v_add_f64 v[246:247], v[246:247], v[252:253]
	s_waitcnt vmcnt(2) lgkmcnt(0)
	v_mul_f64 v[252:253], v[106:107], v[242:243]
	s_waitcnt vmcnt(0)
	v_fmac_f64_e32 v[252:253], v[108:109], v[244:245]
	v_add_f64 v[246:247], v[246:247], v[252:253]
	v_mul_f64 v[252:253], v[114:115], v[230:231]
	v_fmac_f64_e32 v[252:253], v[116:117], v[234:235]
	v_add_f64 v[246:247], v[246:247], v[252:253]
	buffer_load_dword v252, off, s[0:3], 0 offset:120
	buffer_load_dword v253, off, s[0:3], 0 offset:124
	v_add_f64 v[248:249], v[248:249], 0
	v_add_f64 v[248:249], v[248:249], v[250:251]
	v_fma_f64 v[30:31], v[30:31], v[154:155], -v[32:33]
	v_mul_f64 v[28:29], v[28:29], v[126:127]
	v_add_f64 v[30:31], v[248:249], v[30:31]
	v_fma_f64 v[26:27], v[26:27], v[152:153], -v[28:29]
	v_add_f64 v[26:27], v[30:31], v[26:27]
	v_mul_f64 v[20:21], v[20:21], v[132:133]
	v_add_f64 v[22:23], v[26:27], v[22:23]
	v_fma_f64 v[18:19], v[18:19], v[150:151], -v[20:21]
	v_add_f64 v[18:19], v[22:23], v[18:19]
	;; [unrolled: 4-line block ×3, first 2 shown]
	v_mul_f64 v[4:5], v[4:5], v[138:139]
	v_add_f64 v[6:7], v[10:11], v[6:7]
	v_fma_f64 v[2:3], v[2:3], v[146:147], -v[4:5]
	v_mul_f64 v[4:5], v[40:41], v[144:145]
	v_add_f64 v[2:3], v[6:7], v[2:3]
	v_fma_f64 v[4:5], v[38:39], v[156:157], -v[4:5]
	v_add_f64 v[2:3], v[2:3], v[4:5]
	v_mul_f64 v[4:5], v[36:37], v[174:175]
	v_fma_f64 v[4:5], v[34:35], v[178:179], -v[4:5]
	v_add_f64 v[2:3], v[2:3], v[4:5]
	v_mul_f64 v[4:5], v[44:45], v[158:159]
	;; [unrolled: 3-line block ×20, first 2 shown]
	v_fma_f64 v[4:5], v[114:115], v[234:235], -v[4:5]
	v_add_f64 v[2:3], v[2:3], v[4:5]
	v_add_f64 v[2:3], v[140:141], -v[2:3]
	s_waitcnt vmcnt(0)
	v_add_f64 v[4:5], v[252:253], -v[246:247]
	buffer_store_dword v3, off, s[0:3], 0 offset:116
	buffer_store_dword v2, off, s[0:3], 0 offset:112
	;; [unrolled: 1-line block ×4, first 2 shown]
	s_and_saveexec_b64 s[4:5], vcc
	s_cbranch_execz .LBB37_231
; %bb.230:
	v_accvgpr_read_b32 v5, a107
	buffer_load_dword v2, v5, s[0:3], 0 offen
	buffer_load_dword v3, v5, s[0:3], 0 offen offset:4
	buffer_load_dword v4, v5, s[0:3], 0 offen offset:8
	s_nop 0
	buffer_load_dword v5, v5, s[0:3], 0 offen offset:12
	s_nop 0
	buffer_store_dword v1, off, s[0:3], 0 offset:96
	buffer_store_dword v1, off, s[0:3], 0 offset:100
	;; [unrolled: 1-line block ×4, first 2 shown]
	s_waitcnt vmcnt(4)
	ds_write_b128 v120, v[2:5]
.LBB37_231:
	s_or_b64 exec, exec, s[4:5]
	s_waitcnt lgkmcnt(0)
	; wave barrier
	s_waitcnt lgkmcnt(0)
	buffer_load_dword v112, off, s[0:3], 0 offset:112
	buffer_load_dword v113, off, s[0:3], 0 offset:116
	buffer_load_dword v246, off, s[0:3], 0 offset:120
	buffer_load_dword v247, off, s[0:3], 0 offset:124
	buffer_load_dword v110, off, s[0:3], 0 offset:128
	buffer_load_dword v111, off, s[0:3], 0 offset:132
	buffer_load_dword v248, off, s[0:3], 0 offset:136
	buffer_load_dword v249, off, s[0:3], 0 offset:140
	buffer_load_dword v244, off, s[0:3], 0 offset:152
	buffer_load_dword v245, off, s[0:3], 0 offset:156
	buffer_load_dword v119, off, s[0:3], 0 offset:188
	buffer_load_dword v118, off, s[0:3], 0 offset:184
	buffer_load_dword v123, off, s[0:3], 0 offset:180
	buffer_load_dword v122, off, s[0:3], 0 offset:176
	buffer_load_dword v125, off, s[0:3], 0 offset:172
	buffer_load_dword v124, off, s[0:3], 0 offset:168
	buffer_load_dword v127, off, s[0:3], 0 offset:220
	buffer_load_dword v126, off, s[0:3], 0 offset:216
	buffer_load_dword v129, off, s[0:3], 0 offset:212
	buffer_load_dword v128, off, s[0:3], 0 offset:208
	buffer_load_dword v133, off, s[0:3], 0 offset:204
	buffer_load_dword v132, off, s[0:3], 0 offset:200
	buffer_load_dword v131, off, s[0:3], 0 offset:236
	buffer_load_dword v130, off, s[0:3], 0 offset:232
	buffer_load_dword v250, off, s[0:3], 0 offset:144
	buffer_load_dword v251, off, s[0:3], 0 offset:148
	buffer_load_dword v141, off, s[0:3], 0 offset:164
	buffer_load_dword v140, off, s[0:3], 0 offset:160
	buffer_load_dword v139, off, s[0:3], 0 offset:196
	buffer_load_dword v138, off, s[0:3], 0 offset:192
	buffer_load_dword v137, off, s[0:3], 0 offset:228
	buffer_load_dword v136, off, s[0:3], 0 offset:224
	buffer_load_dword v134, off, s[0:3], 0 offset:248
	buffer_load_dword v142, off, s[0:3], 0 offset:240
	buffer_load_dword v143, off, s[0:3], 0 offset:244
	buffer_load_dword v135, off, s[0:3], 0 offset:252
	ds_read_b128 v[102:105], v1 offset:704
	ds_read_b128 v[106:109], v1 offset:720
	ds_read_b128 v[114:117], v1 offset:736
	ds_read_b128 v[22:25], v1 offset:752
	ds_read_b128 v[18:21], v1 offset:768
	ds_read_b128 v[14:17], v1 offset:784
	ds_read_b128 v[10:13], v1 offset:800
	ds_read_b128 v[6:9], v1 offset:816
	ds_read_b128 v[2:5], v1 offset:832
	buffer_load_dword v145, off, s[0:3], 0 offset:284
	buffer_load_dword v144, off, s[0:3], 0 offset:280
	;; [unrolled: 1-line block ×78, first 2 shown]
	v_cmp_lt_u32_e32 vcc, 4, v0
	s_waitcnt vmcnt(62) lgkmcnt(8)
	v_mul_f64 v[26:27], v[102:103], v[246:247]
	v_fmac_f64_e32 v[26:27], v[104:105], v[112:113]
	v_add_f64 v[26:27], v[26:27], 0
	v_mul_f64 v[104:105], v[104:105], v[246:247]
	s_waitcnt lgkmcnt(7)
	v_mul_f64 v[28:29], v[106:107], v[248:249]
	v_fmac_f64_e32 v[28:29], v[108:109], v[110:111]
	s_waitcnt lgkmcnt(6)
	v_mul_f64 v[30:31], v[114:115], v[244:245]
	v_add_f64 v[26:27], v[26:27], v[28:29]
	s_waitcnt lgkmcnt(4)
	v_mul_f64 v[34:35], v[18:19], v[118:119]
	v_fma_f64 v[246:247], v[102:103], v[112:113], -v[104:105]
	v_fmac_f64_e32 v[34:35], v[20:21], v[122:123]
	v_mul_f64 v[108:109], v[108:109], v[248:249]
	v_mul_f64 v[32:33], v[22:23], v[124:125]
	v_fma_f64 v[248:249], v[106:107], v[110:111], -v[108:109]
	s_waitcnt lgkmcnt(2)
	v_mul_f64 v[38:39], v[10:11], v[126:127]
	v_add_f64 v[246:247], v[246:247], 0
	v_fmac_f64_e32 v[38:39], v[12:13], v[128:129]
	v_add_f64 v[246:247], v[246:247], v[248:249]
	v_mul_f64 v[36:37], v[14:15], v[132:133]
	v_mul_f64 v[20:21], v[20:21], v[118:119]
	s_waitcnt lgkmcnt(1)
	v_mul_f64 v[40:41], v[6:7], v[130:131]
	v_fma_f64 v[18:19], v[18:19], v[122:123], -v[20:21]
	v_fmac_f64_e32 v[30:31], v[116:117], v[250:251]
	v_add_f64 v[26:27], v[26:27], v[30:31]
	v_fmac_f64_e32 v[32:33], v[24:25], v[140:141]
	v_add_f64 v[26:27], v[26:27], v[32:33]
	;; [unrolled: 2-line block ×3, first 2 shown]
	v_add_f64 v[26:27], v[26:27], v[36:37]
	v_fmac_f64_e32 v[40:41], v[8:9], v[136:137]
	v_add_f64 v[30:31], v[26:27], v[38:39]
	ds_read_b128 v[26:29], v1 offset:848
	s_waitcnt lgkmcnt(1)
	v_mul_f64 v[32:33], v[2:3], v[134:135]
	v_add_f64 v[30:31], v[30:31], v[40:41]
	v_fmac_f64_e32 v[32:33], v[4:5], v[142:143]
	v_add_f64 v[34:35], v[30:31], v[32:33]
	ds_read_b128 v[30:33], v1 offset:864
	s_waitcnt lgkmcnt(1)
	v_mul_f64 v[36:37], v[26:27], v[148:149]
	buffer_load_dword v233, off, s[0:3], 0 offset:548
	buffer_load_dword v232, off, s[0:3], 0 offset:544
	v_fmac_f64_e32 v[36:37], v[28:29], v[150:151]
	v_add_f64 v[38:39], v[34:35], v[36:37]
	s_waitcnt lgkmcnt(0)
	v_mul_f64 v[40:41], v[30:31], v[144:145]
	ds_read_b128 v[34:37], v1 offset:880
	v_fmac_f64_e32 v[40:41], v[32:33], v[146:147]
	v_add_f64 v[42:43], v[38:39], v[40:41]
	ds_read_b128 v[38:41], v1 offset:896
	v_mul_f64 v[116:117], v[116:117], v[244:245]
	s_waitcnt lgkmcnt(1)
	v_mul_f64 v[44:45], v[34:35], v[160:161]
	v_fmac_f64_e32 v[44:45], v[36:37], v[162:163]
	v_add_f64 v[46:47], v[42:43], v[44:45]
	s_waitcnt lgkmcnt(0)
	v_mul_f64 v[48:49], v[38:39], v[152:153]
	v_fmac_f64_e32 v[48:49], v[40:41], v[154:155]
	ds_read_b128 v[42:45], v1 offset:912
	v_add_f64 v[50:51], v[46:47], v[48:49]
	ds_read_b128 v[46:49], v1 offset:928
	buffer_load_dword v185, off, s[0:3], 0 offset:604
	buffer_load_dword v235, off, s[0:3], 0 offset:588
	;; [unrolled: 1-line block ×12, first 2 shown]
	ds_read_b128 v[106:109], v1 offset:1168
	s_waitcnt vmcnt(62) lgkmcnt(2)
	v_mul_f64 v[52:53], v[42:43], v[176:177]
	v_fmac_f64_e32 v[52:53], v[44:45], v[180:181]
	v_add_f64 v[54:55], v[50:51], v[52:53]
	ds_read_b128 v[50:53], v1 offset:944
	s_waitcnt lgkmcnt(2)
	v_mul_f64 v[56:57], v[46:47], v[156:157]
	v_fmac_f64_e32 v[56:57], v[48:49], v[158:159]
	v_add_f64 v[58:59], v[54:55], v[56:57]
	ds_read_b128 v[54:57], v1 offset:960
	s_waitcnt lgkmcnt(1)
	v_mul_f64 v[60:61], v[50:51], v[194:195]
	s_waitcnt vmcnt(60)
	v_fmac_f64_e32 v[60:61], v[52:53], v[198:199]
	v_add_f64 v[62:63], v[58:59], v[60:61]
	ds_read_b128 v[58:61], v1 offset:976
	s_waitcnt lgkmcnt(1)
	v_mul_f64 v[64:65], v[54:55], v[164:165]
	v_fmac_f64_e32 v[64:65], v[56:57], v[166:167]
	v_add_f64 v[66:67], v[62:63], v[64:65]
	ds_read_b128 v[62:65], v1 offset:992
	s_waitcnt vmcnt(54) lgkmcnt(1)
	v_mul_f64 v[68:69], v[58:59], v[202:203]
	s_waitcnt vmcnt(52)
	v_fmac_f64_e32 v[68:69], v[60:61], v[206:207]
	v_add_f64 v[70:71], v[66:67], v[68:69]
	ds_read_b128 v[66:69], v1 offset:1008
	s_waitcnt lgkmcnt(1)
	v_mul_f64 v[72:73], v[62:63], v[168:169]
	v_fmac_f64_e32 v[72:73], v[64:65], v[170:171]
	v_add_f64 v[74:75], v[70:71], v[72:73]
	ds_read_b128 v[70:73], v1 offset:1024
	s_waitcnt vmcnt(46) lgkmcnt(1)
	;; [unrolled: 11-line block ×4, first 2 shown]
	v_mul_f64 v[92:93], v[82:83], v[222:223]
	s_waitcnt vmcnt(28)
	v_fmac_f64_e32 v[92:93], v[84:85], v[224:225]
	v_add_f64 v[98:99], v[90:91], v[92:93]
	ds_read_b128 v[90:93], v1 offset:1104
	ds_read_b128 v[94:97], v1 offset:1120
	s_waitcnt lgkmcnt(2)
	v_mul_f64 v[100:101], v[86:87], v[196:197]
	v_fmac_f64_e32 v[100:101], v[88:89], v[200:201]
	v_add_f64 v[98:99], v[98:99], v[100:101]
	s_waitcnt vmcnt(22) lgkmcnt(1)
	v_mul_f64 v[100:101], v[90:91], v[226:227]
	s_waitcnt vmcnt(20)
	v_fmac_f64_e32 v[100:101], v[92:93], v[228:229]
	v_add_f64 v[98:99], v[98:99], v[100:101]
	s_waitcnt lgkmcnt(0)
	v_mul_f64 v[100:101], v[94:95], v[204:205]
	v_fmac_f64_e32 v[100:101], v[96:97], v[208:209]
	v_add_f64 v[252:253], v[98:99], v[100:101]
	ds_read_b128 v[98:101], v1 offset:1136
	ds_read_b128 v[102:105], v1 offset:1152
	v_fma_f64 v[250:251], v[114:115], v[250:251], -v[116:117]
	ds_read_b128 v[114:117], v1 offset:1200
	v_mul_f64 v[24:25], v[24:25], v[124:125]
	s_waitcnt vmcnt(14) lgkmcnt(2)
	v_mul_f64 v[112:113], v[98:99], v[230:231]
	s_waitcnt lgkmcnt(1)
	v_mul_f64 v[110:111], v[102:103], v[212:213]
	s_waitcnt vmcnt(12)
	v_fmac_f64_e32 v[112:113], v[100:101], v[232:233]
	v_add_f64 v[112:113], v[252:253], v[112:113]
	v_fmac_f64_e32 v[110:111], v[104:105], v[216:217]
	v_add_f64 v[252:253], v[112:113], v[110:111]
	ds_read_b128 v[110:113], v1 offset:1184
	v_add_f64 v[246:247], v[246:247], v[250:251]
	v_fma_f64 v[22:23], v[22:23], v[140:141], -v[24:25]
	v_add_f64 v[22:23], v[246:247], v[22:23]
	s_waitcnt vmcnt(9)
	v_mul_f64 v[244:245], v[106:107], v[234:235]
	v_mul_f64 v[16:17], v[16:17], v[132:133]
	s_waitcnt vmcnt(7)
	v_fmac_f64_e32 v[244:245], v[108:109], v[240:241]
	v_add_f64 v[244:245], v[252:253], v[244:245]
	s_waitcnt vmcnt(6) lgkmcnt(0)
	v_mul_f64 v[252:253], v[110:111], v[184:185]
	s_waitcnt vmcnt(4)
	v_fmac_f64_e32 v[252:253], v[112:113], v[238:239]
	v_add_f64 v[244:245], v[244:245], v[252:253]
	s_waitcnt vmcnt(2)
	v_mul_f64 v[252:253], v[114:115], v[236:237]
	v_add_f64 v[18:19], v[22:23], v[18:19]
	s_waitcnt vmcnt(0)
	v_fmac_f64_e32 v[252:253], v[116:117], v[242:243]
	v_add_f64 v[244:245], v[244:245], v[252:253]
	buffer_load_dword v254, off, s[0:3], 0 offset:96
	buffer_load_dword v255, off, s[0:3], 0 offset:100
	;; [unrolled: 1-line block ×4, first 2 shown]
	v_fma_f64 v[14:15], v[14:15], v[138:139], -v[16:17]
	v_mul_f64 v[12:13], v[12:13], v[126:127]
	v_add_f64 v[14:15], v[18:19], v[14:15]
	v_fma_f64 v[10:11], v[10:11], v[128:129], -v[12:13]
	v_mul_f64 v[8:9], v[8:9], v[130:131]
	v_add_f64 v[10:11], v[14:15], v[10:11]
	;; [unrolled: 3-line block ×4, first 2 shown]
	v_fma_f64 v[4:5], v[26:27], v[150:151], -v[4:5]
	v_add_f64 v[2:3], v[2:3], v[4:5]
	v_mul_f64 v[4:5], v[32:33], v[144:145]
	v_fma_f64 v[4:5], v[30:31], v[146:147], -v[4:5]
	v_add_f64 v[2:3], v[2:3], v[4:5]
	v_mul_f64 v[4:5], v[36:37], v[160:161]
	;; [unrolled: 3-line block ×22, first 2 shown]
	v_fma_f64 v[4:5], v[114:115], v[242:243], -v[4:5]
	v_add_f64 v[2:3], v[2:3], v[4:5]
	s_waitcnt vmcnt(2)
	v_add_f64 v[2:3], v[254:255], -v[2:3]
	s_waitcnt vmcnt(0)
	v_add_f64 v[4:5], v[252:253], -v[244:245]
	buffer_store_dword v3, off, s[0:3], 0 offset:100
	buffer_store_dword v2, off, s[0:3], 0 offset:96
	;; [unrolled: 1-line block ×4, first 2 shown]
	s_and_saveexec_b64 s[4:5], vcc
	s_cbranch_execz .LBB37_233
; %bb.232:
	v_accvgpr_read_b32 v1, a108
	buffer_load_dword v2, v1, s[0:3], 0 offen
	buffer_load_dword v3, v1, s[0:3], 0 offen offset:4
	buffer_load_dword v4, v1, s[0:3], 0 offen offset:8
	;; [unrolled: 1-line block ×3, first 2 shown]
	v_mov_b32_e32 v1, 0
	buffer_store_dword v1, off, s[0:3], 0 offset:80
	buffer_store_dword v1, off, s[0:3], 0 offset:84
	;; [unrolled: 1-line block ×4, first 2 shown]
	s_waitcnt vmcnt(4)
	ds_write_b128 v120, v[2:5]
.LBB37_233:
	s_or_b64 exec, exec, s[4:5]
	s_waitcnt lgkmcnt(0)
	; wave barrier
	s_waitcnt lgkmcnt(0)
	buffer_load_dword v94, off, s[0:3], 0 offset:96
	buffer_load_dword v95, off, s[0:3], 0 offset:100
	;; [unrolled: 1-line block ×52, first 2 shown]
	v_mov_b32_e32 v1, 0
	ds_read_b128 v[102:105], v1 offset:688
	ds_read_b128 v[114:117], v1 offset:704
	;; [unrolled: 1-line block ×10, first 2 shown]
	v_cmp_lt_u32_e32 vcc, 3, v0
	s_waitcnt vmcnt(48) lgkmcnt(9)
	v_mul_f64 v[26:27], v[102:103], v[96:97]
	v_fmac_f64_e32 v[26:27], v[104:105], v[94:95]
	v_add_f64 v[26:27], v[26:27], 0
	v_mul_f64 v[96:97], v[104:105], v[96:97]
	s_waitcnt vmcnt(44) lgkmcnt(8)
	v_mul_f64 v[28:29], v[114:115], v[100:101]
	v_fmac_f64_e32 v[28:29], v[116:117], v[98:99]
	s_waitcnt vmcnt(42) lgkmcnt(7)
	v_mul_f64 v[30:31], v[244:245], v[106:107]
	v_add_f64 v[26:27], v[26:27], v[28:29]
	s_waitcnt vmcnt(40) lgkmcnt(5)
	v_mul_f64 v[34:35], v[22:23], v[122:123]
	v_fma_f64 v[254:255], v[102:103], v[94:95], -v[96:97]
	s_waitcnt vmcnt(38)
	v_fmac_f64_e32 v[34:35], v[24:25], v[126:127]
	v_mul_f64 v[100:101], v[116:117], v[100:101]
	s_waitcnt vmcnt(36)
	v_mul_f64 v[32:33], v[250:251], v[110:111]
	v_fma_f64 v[186:187], v[114:115], v[98:99], -v[100:101]
	s_waitcnt vmcnt(34) lgkmcnt(3)
	v_mul_f64 v[38:39], v[14:15], v[118:119]
	v_mul_f64 v[106:107], v[246:247], v[106:107]
	s_waitcnt vmcnt(32)
	v_fmac_f64_e32 v[38:39], v[16:17], v[124:125]
	v_mul_f64 v[110:111], v[252:253], v[110:111]
	s_waitcnt vmcnt(30)
	v_mul_f64 v[36:37], v[18:19], v[132:133]
	v_mul_f64 v[24:25], v[24:25], v[122:123]
	v_fma_f64 v[22:23], v[22:23], v[126:127], -v[24:25]
	s_waitcnt vmcnt(27) lgkmcnt(2)
	v_mul_f64 v[40:41], v[10:11], v[130:131]
	s_waitcnt vmcnt(26) lgkmcnt(1)
	v_mul_f64 v[42:43], v[6:7], v[128:129]
	v_mul_f64 v[16:17], v[16:17], v[118:119]
	s_waitcnt vmcnt(24)
	v_fmac_f64_e32 v[30:31], v[246:247], v[108:109]
	v_add_f64 v[26:27], v[26:27], v[30:31]
	s_waitcnt vmcnt(22)
	v_fmac_f64_e32 v[32:33], v[252:253], v[112:113]
	v_add_f64 v[26:27], v[26:27], v[32:33]
	;; [unrolled: 3-line block ×3, first 2 shown]
	v_add_f64 v[26:27], v[26:27], v[36:37]
	s_waitcnt vmcnt(18)
	v_fmac_f64_e32 v[40:41], v[12:13], v[134:135]
	v_add_f64 v[26:27], v[26:27], v[38:39]
	v_add_f64 v[26:27], v[26:27], v[40:41]
	s_waitcnt vmcnt(16)
	v_fmac_f64_e32 v[42:43], v[8:9], v[140:141]
	v_add_f64 v[34:35], v[26:27], v[42:43]
	ds_read_b128 v[26:29], v1 offset:848
	ds_read_b128 v[30:33], v1 offset:864
	buffer_load_dword v157, off, s[0:3], 0 offset:332
	buffer_load_dword v156, off, s[0:3], 0 offset:328
	;; [unrolled: 1-line block ×56, first 2 shown]
	s_waitcnt vmcnt(62) lgkmcnt(2)
	v_mul_f64 v[36:37], v[2:3], v[144:145]
	v_fmac_f64_e32 v[36:37], v[4:5], v[146:147]
	v_add_f64 v[34:35], v[34:35], v[36:37]
	s_waitcnt lgkmcnt(1)
	v_mul_f64 v[36:37], v[26:27], v[138:139]
	v_fmac_f64_e32 v[36:37], v[28:29], v[142:143]
	v_add_f64 v[34:35], v[34:35], v[36:37]
	s_waitcnt lgkmcnt(0)
	v_mul_f64 v[36:37], v[30:31], v[148:149]
	s_waitcnt vmcnt(60)
	v_fmac_f64_e32 v[36:37], v[32:33], v[152:153]
	v_add_f64 v[42:43], v[34:35], v[36:37]
	ds_read_b128 v[34:37], v1 offset:880
	buffer_load_dword v211, off, s[0:3], 0 offset:556
	buffer_load_dword v210, off, s[0:3], 0 offset:552
	;; [unrolled: 1-line block ×16, first 2 shown]
	ds_read_b128 v[38:41], v1 offset:896
	buffer_load_dword v233, off, s[0:3], 0 offset:620
	buffer_load_dword v232, off, s[0:3], 0 offset:616
	;; [unrolled: 1-line block ×8, first 2 shown]
	ds_read_b128 v[98:101], v1 offset:1136
	s_waitcnt vmcnt(62) lgkmcnt(2)
	v_mul_f64 v[44:45], v[34:35], v[150:151]
	v_fmac_f64_e32 v[44:45], v[36:37], v[154:155]
	v_add_f64 v[46:47], v[42:43], v[44:45]
	ds_read_b128 v[42:45], v1 offset:912
	v_fma_f64 v[246:247], v[250:251], v[112:113], -v[110:111]
	v_mul_f64 v[20:21], v[20:21], v[132:133]
	v_fma_f64 v[18:19], v[18:19], v[136:137], -v[20:21]
	v_fma_f64 v[14:15], v[14:15], v[124:125], -v[16:17]
	v_mul_f64 v[12:13], v[12:13], v[130:131]
	v_fma_f64 v[10:11], v[10:11], v[134:135], -v[12:13]
	v_mul_f64 v[8:9], v[8:9], v[128:129]
	;; [unrolled: 2-line block ×4, first 2 shown]
	s_waitcnt lgkmcnt(2)
	v_mul_f64 v[48:49], v[38:39], v[172:173]
	v_fma_f64 v[4:5], v[26:27], v[142:143], -v[4:5]
	v_fmac_f64_e32 v[48:49], v[40:41], v[176:177]
	v_add_f64 v[50:51], v[46:47], v[48:49]
	ds_read_b128 v[46:49], v1 offset:928
	s_waitcnt lgkmcnt(1)
	v_mul_f64 v[52:53], v[42:43], v[156:157]
	v_fmac_f64_e32 v[52:53], v[44:45], v[158:159]
	v_add_f64 v[54:55], v[50:51], v[52:53]
	ds_read_b128 v[50:53], v1 offset:944
	s_waitcnt lgkmcnt(1)
	v_mul_f64 v[56:57], v[46:47], v[180:181]
	;; [unrolled: 5-line block ×3, first 2 shown]
	v_fmac_f64_e32 v[60:61], v[52:53], v[162:163]
	v_add_f64 v[62:63], v[58:59], v[60:61]
	ds_read_b128 v[58:61], v1 offset:976
	s_waitcnt vmcnt(58) lgkmcnt(1)
	v_mul_f64 v[64:65], v[54:55], v[198:199]
	s_waitcnt vmcnt(56)
	v_fmac_f64_e32 v[64:65], v[56:57], v[202:203]
	v_add_f64 v[66:67], v[62:63], v[64:65]
	ds_read_b128 v[62:65], v1 offset:992
	s_waitcnt lgkmcnt(1)
	v_mul_f64 v[68:69], v[58:59], v[164:165]
	v_fmac_f64_e32 v[68:69], v[60:61], v[166:167]
	v_add_f64 v[70:71], v[66:67], v[68:69]
	ds_read_b128 v[66:69], v1 offset:1008
	s_waitcnt vmcnt(50) lgkmcnt(1)
	v_mul_f64 v[72:73], v[62:63], v[206:207]
	s_waitcnt vmcnt(48)
	v_fmac_f64_e32 v[72:73], v[64:65], v[208:209]
	v_add_f64 v[74:75], v[70:71], v[72:73]
	ds_read_b128 v[70:73], v1 offset:1024
	s_waitcnt lgkmcnt(1)
	v_mul_f64 v[76:77], v[66:67], v[168:169]
	;; [unrolled: 11-line block ×3, first 2 shown]
	v_fmac_f64_e32 v[84:85], v[76:77], v[178:179]
	v_add_f64 v[90:91], v[82:83], v[84:85]
	ds_read_b128 v[82:85], v1 offset:1072
	ds_read_b128 v[86:89], v1 offset:1088
	s_waitcnt vmcnt(34) lgkmcnt(2)
	v_mul_f64 v[92:93], v[78:79], v[220:221]
	s_waitcnt vmcnt(32)
	v_fmac_f64_e32 v[92:93], v[80:81], v[226:227]
	v_add_f64 v[90:91], v[90:91], v[92:93]
	s_waitcnt lgkmcnt(1)
	v_mul_f64 v[92:93], v[82:83], v[182:183]
	v_fmac_f64_e32 v[92:93], v[84:85], v[196:197]
	v_add_f64 v[90:91], v[90:91], v[92:93]
	s_waitcnt vmcnt(27) lgkmcnt(0)
	v_mul_f64 v[92:93], v[86:87], v[224:225]
	s_waitcnt vmcnt(25)
	v_fmac_f64_e32 v[92:93], v[88:89], v[228:229]
	v_add_f64 v[248:249], v[90:91], v[92:93]
	ds_read_b128 v[90:93], v1 offset:1104
	ds_read_b128 v[94:97], v1 offset:1120
	;; [unrolled: 1-line block ×3, first 2 shown]
	s_waitcnt lgkmcnt(2)
	v_mul_f64 v[102:103], v[90:91], v[200:201]
	s_waitcnt vmcnt(24)
	v_fmac_f64_e32 v[102:103], v[92:93], v[204:205]
	s_waitcnt vmcnt(18) lgkmcnt(1)
	v_mul_f64 v[104:105], v[94:95], v[230:231]
	v_add_f64 v[102:103], v[248:249], v[102:103]
	s_waitcnt vmcnt(16)
	v_fmac_f64_e32 v[104:105], v[96:97], v[234:235]
	v_add_f64 v[102:103], v[102:103], v[104:105]
	v_fma_f64 v[248:249], v[244:245], v[108:109], -v[106:107]
	ds_read_b128 v[106:109], v1 offset:1168
	v_mul_f64 v[104:105], v[98:99], v[210:211]
	v_fmac_f64_e32 v[104:105], v[100:101], v[214:215]
	v_add_f64 v[114:115], v[102:103], v[104:105]
	ds_read_b128 v[102:105], v1 offset:1152
	s_waitcnt vmcnt(10) lgkmcnt(0)
	v_mul_f64 v[116:117], v[102:103], v[238:239]
	s_waitcnt vmcnt(8)
	v_fmac_f64_e32 v[116:117], v[104:105], v[240:241]
	v_add_f64 v[114:115], v[114:115], v[116:117]
	v_mul_f64 v[116:117], v[106:107], v[218:219]
	v_fmac_f64_e32 v[116:117], v[108:109], v[222:223]
	v_add_f64 v[114:115], v[114:115], v[116:117]
	s_waitcnt vmcnt(2)
	v_mul_f64 v[116:117], v[110:111], v[184:185]
	s_waitcnt vmcnt(0)
	v_fmac_f64_e32 v[116:117], v[112:113], v[242:243]
	v_add_f64 v[244:245], v[114:115], v[116:117]
	ds_read_b128 v[114:117], v1 offset:1200
	buffer_load_dword v252, off, s[0:3], 0 offset:80
	buffer_load_dword v253, off, s[0:3], 0 offset:84
	s_waitcnt lgkmcnt(0)
	v_mul_f64 v[250:251], v[114:115], v[232:233]
	v_fmac_f64_e32 v[250:251], v[116:117], v[236:237]
	v_add_f64 v[244:245], v[244:245], v[250:251]
	v_add_f64 v[250:251], v[254:255], 0
	;; [unrolled: 1-line block ×4, first 2 shown]
	buffer_load_dword v248, off, s[0:3], 0 offset:88
	buffer_load_dword v249, off, s[0:3], 0 offset:92
	v_add_f64 v[186:187], v[186:187], v[246:247]
	v_add_f64 v[22:23], v[186:187], v[22:23]
	;; [unrolled: 1-line block ×8, first 2 shown]
	v_mul_f64 v[4:5], v[32:33], v[148:149]
	v_fma_f64 v[4:5], v[30:31], v[152:153], -v[4:5]
	v_add_f64 v[2:3], v[2:3], v[4:5]
	v_mul_f64 v[4:5], v[36:37], v[150:151]
	v_fma_f64 v[4:5], v[34:35], v[154:155], -v[4:5]
	v_add_f64 v[2:3], v[2:3], v[4:5]
	;; [unrolled: 3-line block ×22, first 2 shown]
	s_waitcnt vmcnt(2)
	v_add_f64 v[2:3], v[252:253], -v[2:3]
	s_waitcnt vmcnt(0)
	v_add_f64 v[4:5], v[248:249], -v[244:245]
	buffer_store_dword v3, off, s[0:3], 0 offset:84
	buffer_store_dword v2, off, s[0:3], 0 offset:80
	;; [unrolled: 1-line block ×4, first 2 shown]
	s_and_saveexec_b64 s[4:5], vcc
	s_cbranch_execz .LBB37_235
; %bb.234:
	v_accvgpr_read_b32 v5, a109
	buffer_load_dword v2, v5, s[0:3], 0 offen
	buffer_load_dword v3, v5, s[0:3], 0 offen offset:4
	buffer_load_dword v4, v5, s[0:3], 0 offen offset:8
	s_nop 0
	buffer_load_dword v5, v5, s[0:3], 0 offen offset:12
	s_nop 0
	buffer_store_dword v1, off, s[0:3], 0 offset:64
	buffer_store_dword v1, off, s[0:3], 0 offset:68
	;; [unrolled: 1-line block ×4, first 2 shown]
	s_waitcnt vmcnt(4)
	ds_write_b128 v120, v[2:5]
.LBB37_235:
	s_or_b64 exec, exec, s[4:5]
	s_waitcnt lgkmcnt(0)
	; wave barrier
	s_waitcnt lgkmcnt(0)
	buffer_load_dword v86, off, s[0:3], 0 offset:80
	buffer_load_dword v87, off, s[0:3], 0 offset:84
	;; [unrolled: 1-line block ×42, first 2 shown]
	ds_read_b128 v[94:97], v1 offset:672
	ds_read_b128 v[106:109], v1 offset:688
	;; [unrolled: 1-line block ×10, first 2 shown]
	buffer_load_dword v147, off, s[0:3], 0 offset:228
	buffer_load_dword v146, off, s[0:3], 0 offset:224
	ds_read_b128 v[6:9], v1 offset:832
	buffer_load_dword v143, off, s[0:3], 0 offset:284
	buffer_load_dword v142, off, s[0:3], 0 offset:280
	;; [unrolled: 1-line block ×80, first 2 shown]
	v_cmp_lt_u32_e32 vcc, 2, v0
	s_waitcnt vmcnt(62) lgkmcnt(10)
	v_mul_f64 v[26:27], v[94:95], v[88:89]
	v_fmac_f64_e32 v[26:27], v[96:97], v[86:87]
	v_add_f64 v[26:27], v[26:27], 0
	v_mul_f64 v[88:89], v[96:97], v[88:89]
	s_waitcnt lgkmcnt(9)
	v_mul_f64 v[28:29], v[106:107], v[92:93]
	v_fmac_f64_e32 v[28:29], v[108:109], v[90:91]
	s_waitcnt lgkmcnt(8)
	v_mul_f64 v[30:31], v[114:115], v[98:99]
	v_add_f64 v[26:27], v[26:27], v[28:29]
	s_waitcnt lgkmcnt(6)
	v_mul_f64 v[34:35], v[248:249], v[110:111]
	v_fma_f64 v[252:253], v[94:95], v[86:87], -v[88:89]
	v_fmac_f64_e32 v[34:35], v[250:251], v[112:113]
	v_mul_f64 v[92:93], v[108:109], v[92:93]
	v_mul_f64 v[32:33], v[182:183], v[102:103]
	;; [unrolled: 1-line block ×3, first 2 shown]
	s_waitcnt lgkmcnt(4)
	v_mul_f64 v[38:39], v[18:19], v[118:119]
	v_mul_f64 v[102:103], v[184:185], v[102:103]
	v_fmac_f64_e32 v[38:39], v[20:21], v[122:123]
	v_mul_f64 v[110:111], v[250:251], v[110:111]
	v_mul_f64 v[36:37], v[22:23], v[124:125]
	v_fma_f64 v[248:249], v[248:249], v[112:113], -v[110:111]
	s_waitcnt lgkmcnt(2)
	v_mul_f64 v[42:43], v[10:11], v[126:127]
	v_mul_f64 v[20:21], v[20:21], v[118:119]
	v_fma_f64 v[18:19], v[18:19], v[122:123], -v[20:21]
	v_mul_f64 v[40:41], v[14:15], v[132:133]
	s_waitcnt lgkmcnt(1)
	v_mul_f64 v[44:45], v[2:3], v[130:131]
	v_fmac_f64_e32 v[30:31], v[116:117], v[100:101]
	v_add_f64 v[26:27], v[26:27], v[30:31]
	v_fmac_f64_e32 v[32:33], v[184:185], v[104:105]
	v_add_f64 v[26:27], v[26:27], v[32:33]
	;; [unrolled: 2-line block ×3, first 2 shown]
	v_add_f64 v[26:27], v[26:27], v[36:37]
	v_fmac_f64_e32 v[40:41], v[16:17], v[134:135]
	v_add_f64 v[26:27], v[26:27], v[38:39]
	v_fmac_f64_e32 v[42:43], v[12:13], v[128:129]
	v_add_f64 v[26:27], v[26:27], v[40:41]
	v_add_f64 v[26:27], v[26:27], v[42:43]
	s_waitcnt lgkmcnt(0)
	v_mul_f64 v[32:33], v[6:7], v[138:139]
	v_fmac_f64_e32 v[44:45], v[4:5], v[146:147]
	v_add_f64 v[30:31], v[26:27], v[44:45]
	ds_read_b128 v[26:29], v1 offset:848
	v_fmac_f64_e32 v[32:33], v[8:9], v[140:141]
	v_add_f64 v[34:35], v[30:31], v[32:33]
	ds_read_b128 v[30:33], v1 offset:864
	v_fma_f64 v[254:255], v[114:115], v[100:101], -v[98:99]
	s_waitcnt lgkmcnt(1)
	v_mul_f64 v[36:37], v[26:27], v[148:149]
	v_fmac_f64_e32 v[36:37], v[28:29], v[164:165]
	v_add_f64 v[38:39], v[34:35], v[36:37]
	ds_read_b128 v[34:37], v1 offset:880
	s_waitcnt lgkmcnt(1)
	v_mul_f64 v[40:41], v[30:31], v[142:143]
	v_fmac_f64_e32 v[40:41], v[32:33], v[144:145]
	v_add_f64 v[42:43], v[38:39], v[40:41]
	ds_read_b128 v[38:41], v1 offset:896
	;; [unrolled: 5-line block ×4, first 2 shown]
	s_waitcnt vmcnt(58) lgkmcnt(1)
	v_mul_f64 v[52:53], v[42:43], v[176:177]
	s_waitcnt vmcnt(56)
	v_fmac_f64_e32 v[52:53], v[44:45], v[196:197]
	v_add_f64 v[54:55], v[50:51], v[52:53]
	ds_read_b128 v[50:53], v1 offset:944
	buffer_load_dword v178, off, s[0:3], 0 offset:600
	buffer_load_dword v241, off, s[0:3], 0 offset:588
	;; [unrolled: 1-line block ×8, first 2 shown]
	s_waitcnt lgkmcnt(1)
	v_mul_f64 v[56:57], v[46:47], v[154:155]
	v_fmac_f64_e32 v[56:57], v[48:49], v[156:157]
	v_add_f64 v[58:59], v[54:55], v[56:57]
	ds_read_b128 v[54:57], v1 offset:960
	buffer_load_dword v245, off, s[0:3], 0 offset:620
	buffer_load_dword v244, off, s[0:3], 0 offset:616
	buffer_load_dword v247, off, s[0:3], 0 offset:612
	buffer_load_dword v246, off, s[0:3], 0 offset:608
	s_waitcnt vmcnt(62) lgkmcnt(1)
	v_mul_f64 v[60:61], v[50:51], v[200:201]
	s_waitcnt vmcnt(60)
	v_fmac_f64_e32 v[60:61], v[52:53], v[204:205]
	v_add_f64 v[62:63], v[58:59], v[60:61]
	ds_read_b128 v[58:61], v1 offset:976
	s_waitcnt lgkmcnt(1)
	v_mul_f64 v[64:65], v[54:55], v[158:159]
	v_fmac_f64_e32 v[64:65], v[56:57], v[160:161]
	v_add_f64 v[66:67], v[62:63], v[64:65]
	ds_read_b128 v[62:65], v1 offset:992
	s_waitcnt vmcnt(54) lgkmcnt(1)
	v_mul_f64 v[68:69], v[58:59], v[208:209]
	s_waitcnt vmcnt(52)
	v_fmac_f64_e32 v[68:69], v[60:61], v[212:213]
	v_add_f64 v[70:71], v[66:67], v[68:69]
	ds_read_b128 v[66:69], v1 offset:1008
	s_waitcnt lgkmcnt(1)
	v_mul_f64 v[72:73], v[62:63], v[162:163]
	v_fmac_f64_e32 v[72:73], v[64:65], v[166:167]
	v_add_f64 v[74:75], v[70:71], v[72:73]
	ds_read_b128 v[70:73], v1 offset:1024
	s_waitcnt vmcnt(46) lgkmcnt(1)
	v_mul_f64 v[76:77], v[66:67], v[216:217]
	s_waitcnt vmcnt(44)
	v_fmac_f64_e32 v[76:77], v[68:69], v[220:221]
	v_add_f64 v[82:83], v[74:75], v[76:77]
	ds_read_b128 v[74:77], v1 offset:1040
	ds_read_b128 v[78:81], v1 offset:1056
	s_waitcnt lgkmcnt(2)
	v_mul_f64 v[84:85], v[70:71], v[170:171]
	v_fmac_f64_e32 v[84:85], v[72:73], v[174:175]
	v_add_f64 v[82:83], v[82:83], v[84:85]
	s_waitcnt vmcnt(38) lgkmcnt(1)
	v_mul_f64 v[84:85], v[74:75], v[224:225]
	s_waitcnt vmcnt(36)
	v_fmac_f64_e32 v[84:85], v[76:77], v[226:227]
	v_add_f64 v[82:83], v[82:83], v[84:85]
	s_waitcnt lgkmcnt(0)
	v_mul_f64 v[84:85], v[78:79], v[194:195]
	v_fmac_f64_e32 v[84:85], v[80:81], v[198:199]
	v_add_f64 v[186:187], v[82:83], v[84:85]
	ds_read_b128 v[82:85], v1 offset:1072
	ds_read_b128 v[86:89], v1 offset:1088
	;; [unrolled: 1-line block ×3, first 2 shown]
	v_fma_f64 v[184:185], v[182:183], v[104:105], -v[102:103]
	ds_read_b128 v[102:105], v1 offset:1168
	ds_read_b128 v[110:113], v1 offset:1184
	s_waitcnt vmcnt(30) lgkmcnt(4)
	v_mul_f64 v[94:95], v[82:83], v[228:229]
	s_waitcnt vmcnt(28)
	v_fmac_f64_e32 v[94:95], v[84:85], v[230:231]
	v_add_f64 v[94:95], v[186:187], v[94:95]
	v_fma_f64 v[186:187], v[106:107], v[90:91], -v[92:93]
	ds_read_b128 v[90:93], v1 offset:1104
	s_waitcnt lgkmcnt(4)
	v_mul_f64 v[96:97], v[86:87], v[202:203]
	v_fmac_f64_e32 v[96:97], v[88:89], v[206:207]
	v_add_f64 v[106:107], v[94:95], v[96:97]
	ds_read_b128 v[94:97], v1 offset:1120
	s_waitcnt vmcnt(22) lgkmcnt(1)
	v_mul_f64 v[108:109], v[90:91], v[232:233]
	s_waitcnt vmcnt(20)
	v_fmac_f64_e32 v[108:109], v[92:93], v[234:235]
	v_add_f64 v[106:107], v[106:107], v[108:109]
	v_mul_f64 v[24:25], v[24:25], v[124:125]
	s_waitcnt lgkmcnt(0)
	v_mul_f64 v[108:109], v[94:95], v[210:211]
	v_fmac_f64_e32 v[108:109], v[96:97], v[214:215]
	v_add_f64 v[114:115], v[106:107], v[108:109]
	ds_read_b128 v[106:109], v1 offset:1152
	s_waitcnt vmcnt(14)
	v_mul_f64 v[116:117], v[98:99], v[236:237]
	s_waitcnt vmcnt(12)
	v_fmac_f64_e32 v[116:117], v[100:101], v[238:239]
	v_add_f64 v[114:115], v[114:115], v[116:117]
	v_fma_f64 v[22:23], v[22:23], v[136:137], -v[24:25]
	s_waitcnt lgkmcnt(0)
	v_mul_f64 v[116:117], v[106:107], v[218:219]
	v_fmac_f64_e32 v[116:117], v[108:109], v[222:223]
	v_add_f64 v[114:115], v[114:115], v[116:117]
	v_mul_f64 v[16:17], v[16:17], v[132:133]
	v_fma_f64 v[14:15], v[14:15], v[134:135], -v[16:17]
	v_mul_f64 v[12:13], v[12:13], v[126:127]
	v_fma_f64 v[10:11], v[10:11], v[128:129], -v[12:13]
	v_mul_f64 v[4:5], v[4:5], v[130:131]
	v_fma_f64 v[2:3], v[2:3], v[146:147], -v[4:5]
	v_mul_f64 v[4:5], v[8:9], v[138:139]
	v_fma_f64 v[4:5], v[6:7], v[140:141], -v[4:5]
	s_waitcnt vmcnt(9)
	v_mul_f64 v[116:117], v[102:103], v[240:241]
	s_waitcnt vmcnt(7)
	v_fmac_f64_e32 v[116:117], v[104:105], v[242:243]
	v_add_f64 v[114:115], v[114:115], v[116:117]
	s_waitcnt vmcnt(5)
	v_mul_f64 v[116:117], v[110:111], v[178:179]
	s_waitcnt vmcnt(4)
	v_fmac_f64_e32 v[116:117], v[112:113], v[180:181]
	v_add_f64 v[182:183], v[114:115], v[116:117]
	ds_read_b128 v[114:117], v1 offset:1200
	s_waitcnt vmcnt(2) lgkmcnt(0)
	v_mul_f64 v[250:251], v[114:115], v[244:245]
	s_waitcnt vmcnt(0)
	v_fmac_f64_e32 v[250:251], v[116:117], v[246:247]
	v_add_f64 v[182:183], v[182:183], v[250:251]
	v_add_f64 v[250:251], v[252:253], 0
	v_add_f64 v[186:187], v[250:251], v[186:187]
	v_add_f64 v[250:251], v[186:187], v[254:255]
	buffer_load_dword v254, off, s[0:3], 0 offset:64
	buffer_load_dword v255, off, s[0:3], 0 offset:68
	;; [unrolled: 1-line block ×4, first 2 shown]
	v_add_f64 v[184:185], v[250:251], v[184:185]
	v_add_f64 v[184:185], v[184:185], v[248:249]
	;; [unrolled: 1-line block ×8, first 2 shown]
	v_mul_f64 v[4:5], v[28:29], v[148:149]
	v_fma_f64 v[4:5], v[26:27], v[164:165], -v[4:5]
	v_add_f64 v[2:3], v[2:3], v[4:5]
	v_mul_f64 v[4:5], v[32:33], v[142:143]
	v_fma_f64 v[4:5], v[30:31], v[144:145], -v[4:5]
	v_add_f64 v[2:3], v[2:3], v[4:5]
	;; [unrolled: 3-line block ×23, first 2 shown]
	s_waitcnt vmcnt(2)
	v_add_f64 v[2:3], v[254:255], -v[2:3]
	s_waitcnt vmcnt(0)
	v_add_f64 v[4:5], v[252:253], -v[182:183]
	buffer_store_dword v3, off, s[0:3], 0 offset:68
	buffer_store_dword v2, off, s[0:3], 0 offset:64
	;; [unrolled: 1-line block ×4, first 2 shown]
	s_and_saveexec_b64 s[4:5], vcc
	s_cbranch_execz .LBB37_237
; %bb.236:
	v_accvgpr_read_b32 v1, a111
	buffer_load_dword v2, v1, s[0:3], 0 offen
	buffer_load_dword v3, v1, s[0:3], 0 offen offset:4
	buffer_load_dword v4, v1, s[0:3], 0 offen offset:8
	;; [unrolled: 1-line block ×3, first 2 shown]
	v_mov_b32_e32 v1, 0
	buffer_store_dword v1, off, s[0:3], 0 offset:48
	buffer_store_dword v1, off, s[0:3], 0 offset:52
	;; [unrolled: 1-line block ×4, first 2 shown]
	s_waitcnt vmcnt(4)
	ds_write_b128 v120, v[2:5]
.LBB37_237:
	s_or_b64 exec, exec, s[4:5]
	s_waitcnt lgkmcnt(0)
	; wave barrier
	s_waitcnt lgkmcnt(0)
	buffer_load_dword v82, off, s[0:3], 0 offset:64
	buffer_load_dword v83, off, s[0:3], 0 offset:68
	;; [unrolled: 1-line block ×54, first 2 shown]
	v_mov_b32_e32 v1, 0
	ds_read_b128 v[90:93], v1 offset:656
	ds_read_b128 v[106:109], v1 offset:672
	;; [unrolled: 1-line block ×9, first 2 shown]
	buffer_load_dword v141, off, s[0:3], 0 offset:292
	buffer_load_dword v140, off, s[0:3], 0 offset:288
	;; [unrolled: 1-line block ×62, first 2 shown]
	v_cmp_lt_u32_e32 vcc, 1, v0
	s_waitcnt vmcnt(62) lgkmcnt(8)
	v_mul_f64 v[14:15], v[90:91], v[84:85]
	v_fmac_f64_e32 v[14:15], v[92:93], v[82:83]
	v_add_f64 v[14:15], v[14:15], 0
	v_mul_f64 v[84:85], v[92:93], v[84:85]
	s_waitcnt lgkmcnt(7)
	v_mul_f64 v[16:17], v[106:107], v[88:89]
	v_fmac_f64_e32 v[16:17], v[108:109], v[86:87]
	s_waitcnt lgkmcnt(6)
	v_mul_f64 v[18:19], v[114:115], v[94:95]
	v_add_f64 v[14:15], v[14:15], v[16:17]
	s_waitcnt lgkmcnt(4)
	v_mul_f64 v[22:23], v[248:249], v[102:103]
	v_fma_f64 v[186:187], v[90:91], v[82:83], -v[84:85]
	v_fmac_f64_e32 v[22:23], v[250:251], v[104:105]
	v_mul_f64 v[88:89], v[108:109], v[88:89]
	v_mul_f64 v[20:21], v[180:181], v[98:99]
	v_fma_f64 v[188:189], v[106:107], v[86:87], -v[88:89]
	s_waitcnt lgkmcnt(2)
	v_mul_f64 v[26:27], v[10:11], v[194:195]
	v_mul_f64 v[94:95], v[116:117], v[94:95]
	v_fmac_f64_e32 v[26:27], v[12:13], v[196:197]
	v_mul_f64 v[98:99], v[182:183], v[98:99]
	v_mul_f64 v[24:25], v[252:253], v[110:111]
	v_mul_f64 v[102:103], v[250:251], v[102:103]
	s_waitcnt lgkmcnt(1)
	v_mul_f64 v[28:29], v[6:7], v[198:199]
	v_mul_f64 v[110:111], v[254:255], v[110:111]
	v_fmac_f64_e32 v[18:19], v[116:117], v[96:97]
	v_add_f64 v[14:15], v[14:15], v[18:19]
	v_fmac_f64_e32 v[20:21], v[182:183], v[100:101]
	v_add_f64 v[14:15], v[14:15], v[20:21]
	;; [unrolled: 2-line block ×3, first 2 shown]
	v_add_f64 v[14:15], v[14:15], v[24:25]
	v_fmac_f64_e32 v[28:29], v[8:9], v[202:203]
	v_add_f64 v[14:15], v[14:15], v[26:27]
	v_add_f64 v[18:19], v[14:15], v[28:29]
	ds_read_b128 v[14:17], v1 offset:800
	s_waitcnt lgkmcnt(1)
	v_mul_f64 v[20:21], v[2:3], v[200:201]
	v_fmac_f64_e32 v[20:21], v[4:5], v[118:119]
	v_add_f64 v[22:23], v[18:19], v[20:21]
	ds_read_b128 v[18:21], v1 offset:816
	s_waitcnt lgkmcnt(1)
	v_mul_f64 v[24:25], v[14:15], v[126:127]
	v_fmac_f64_e32 v[24:25], v[16:17], v[128:129]
	;; [unrolled: 5-line block ×5, first 2 shown]
	v_add_f64 v[38:39], v[34:35], v[36:37]
	ds_read_b128 v[34:37], v1 offset:880
	s_waitcnt vmcnt(58) lgkmcnt(1)
	v_mul_f64 v[40:41], v[30:31], v[154:155]
	s_waitcnt vmcnt(56)
	v_fmac_f64_e32 v[40:41], v[32:33], v[158:159]
	v_add_f64 v[42:43], v[38:39], v[40:41]
	ds_read_b128 v[38:41], v1 offset:896
	s_waitcnt lgkmcnt(1)
	v_mul_f64 v[44:45], v[34:35], v[134:135]
	v_fmac_f64_e32 v[44:45], v[36:37], v[140:141]
	v_add_f64 v[46:47], v[42:43], v[44:45]
	ds_read_b128 v[42:45], v1 offset:912
	s_waitcnt vmcnt(50) lgkmcnt(1)
	v_mul_f64 v[48:49], v[38:39], v[162:163]
	s_waitcnt vmcnt(48)
	v_fmac_f64_e32 v[48:49], v[40:41], v[166:167]
	v_add_f64 v[50:51], v[46:47], v[48:49]
	ds_read_b128 v[46:49], v1 offset:928
	buffer_load_dword v229, off, s[0:3], 0 offset:540
	buffer_load_dword v228, off, s[0:3], 0 offset:536
	;; [unrolled: 1-line block ×8, first 2 shown]
	s_waitcnt lgkmcnt(1)
	v_mul_f64 v[52:53], v[42:43], v[142:143]
	v_fmac_f64_e32 v[52:53], v[44:45], v[144:145]
	v_add_f64 v[54:55], v[50:51], v[52:53]
	ds_read_b128 v[50:53], v1 offset:944
	s_waitcnt vmcnt(50) lgkmcnt(1)
	v_mul_f64 v[56:57], v[46:47], v[170:171]
	s_waitcnt vmcnt(48)
	v_fmac_f64_e32 v[56:57], v[48:49], v[204:205]
	buffer_load_dword v233, off, s[0:3], 0 offset:588
	buffer_load_dword v239, off, s[0:3], 0 offset:572
	;; [unrolled: 1-line block ×12, first 2 shown]
	v_add_f64 v[58:59], v[54:55], v[56:57]
	ds_read_b128 v[54:57], v1 offset:960
	s_waitcnt lgkmcnt(1)
	v_mul_f64 v[60:61], v[50:51], v[146:147]
	v_fmac_f64_e32 v[60:61], v[52:53], v[148:149]
	v_add_f64 v[62:63], v[58:59], v[60:61]
	ds_read_b128 v[58:61], v1 offset:976
	s_waitcnt vmcnt(54) lgkmcnt(1)
	v_mul_f64 v[64:65], v[54:55], v[208:209]
	s_waitcnt vmcnt(52)
	v_fmac_f64_e32 v[64:65], v[56:57], v[212:213]
	v_add_f64 v[66:67], v[62:63], v[64:65]
	ds_read_b128 v[62:65], v1 offset:992
	s_waitcnt lgkmcnt(1)
	v_mul_f64 v[68:69], v[58:59], v[150:151]
	v_fmac_f64_e32 v[68:69], v[60:61], v[152:153]
	v_add_f64 v[70:71], v[66:67], v[68:69]
	ds_read_b128 v[66:69], v1 offset:1008
	s_waitcnt vmcnt(46) lgkmcnt(1)
	v_mul_f64 v[72:73], v[62:63], v[176:177]
	s_waitcnt vmcnt(44)
	v_fmac_f64_e32 v[72:73], v[64:65], v[214:215]
	v_add_f64 v[78:79], v[70:71], v[72:73]
	ds_read_b128 v[70:73], v1 offset:1024
	ds_read_b128 v[74:77], v1 offset:1040
	s_waitcnt lgkmcnt(2)
	v_mul_f64 v[80:81], v[66:67], v[156:157]
	v_fmac_f64_e32 v[80:81], v[68:69], v[160:161]
	v_add_f64 v[78:79], v[78:79], v[80:81]
	s_waitcnt vmcnt(38) lgkmcnt(1)
	v_mul_f64 v[80:81], v[70:71], v[216:217]
	s_waitcnt vmcnt(36)
	v_fmac_f64_e32 v[80:81], v[72:73], v[218:219]
	v_add_f64 v[78:79], v[78:79], v[80:81]
	s_waitcnt lgkmcnt(0)
	v_mul_f64 v[80:81], v[74:75], v[164:165]
	v_fmac_f64_e32 v[80:81], v[76:77], v[168:169]
	v_add_f64 v[178:179], v[78:79], v[80:81]
	ds_read_b128 v[78:81], v1 offset:1056
	ds_read_b128 v[82:85], v1 offset:1072
	;; [unrolled: 1-line block ×3, first 2 shown]
	v_fma_f64 v[190:191], v[114:115], v[96:97], -v[94:95]
	ds_read_b128 v[94:97], v1 offset:1120
	s_waitcnt vmcnt(30) lgkmcnt(3)
	v_mul_f64 v[90:91], v[78:79], v[220:221]
	s_waitcnt vmcnt(28)
	v_fmac_f64_e32 v[90:91], v[80:81], v[222:223]
	s_waitcnt lgkmcnt(2)
	v_mul_f64 v[92:93], v[82:83], v[172:173]
	v_add_f64 v[90:91], v[178:179], v[90:91]
	v_fmac_f64_e32 v[92:93], v[84:85], v[206:207]
	v_add_f64 v[90:91], v[90:91], v[92:93]
	s_waitcnt vmcnt(22) lgkmcnt(1)
	v_mul_f64 v[92:93], v[86:87], v[224:225]
	s_waitcnt vmcnt(20)
	v_fmac_f64_e32 v[92:93], v[88:89], v[226:227]
	v_add_f64 v[106:107], v[90:91], v[92:93]
	ds_read_b128 v[90:93], v1 offset:1104
	v_fma_f64 v[192:193], v[180:181], v[100:101], -v[98:99]
	ds_read_b128 v[98:101], v1 offset:1136
	buffer_load_dword v178, off, s[0:3], 0 offset:616
	v_fma_f64 v[248:249], v[248:249], v[104:105], -v[102:103]
	s_waitcnt lgkmcnt(1)
	v_mul_f64 v[108:109], v[90:91], v[210:211]
	v_fmac_f64_e32 v[108:109], v[92:93], v[174:175]
	v_add_f64 v[106:107], v[106:107], v[108:109]
	ds_read_b128 v[102:105], v1 offset:1152
	v_fma_f64 v[184:185], v[252:253], v[112:113], -v[110:111]
	ds_read_b128 v[110:113], v1 offset:1184
	v_add_f64 v[186:187], v[186:187], 0
	v_add_f64 v[186:187], v[186:187], v[188:189]
	;; [unrolled: 1-line block ×5, first 2 shown]
	v_mul_f64 v[12:13], v[12:13], v[194:195]
	v_add_f64 v[184:185], v[252:253], v[184:185]
	v_fma_f64 v[10:11], v[10:11], v[196:197], -v[12:13]
	v_mul_f64 v[8:9], v[8:9], v[198:199]
	v_add_f64 v[10:11], v[184:185], v[10:11]
	v_fma_f64 v[6:7], v[6:7], v[202:203], -v[8:9]
	;; [unrolled: 3-line block ×3, first 2 shown]
	v_mul_f64 v[4:5], v[16:17], v[126:127]
	v_add_f64 v[2:3], v[6:7], v[2:3]
	s_waitcnt vmcnt(19)
	v_mul_f64 v[108:109], v[94:95], v[228:229]
	v_fma_f64 v[4:5], v[14:15], v[128:129], -v[4:5]
	s_waitcnt vmcnt(17)
	v_fmac_f64_e32 v[108:109], v[96:97], v[230:231]
	v_add_f64 v[106:107], v[106:107], v[108:109]
	s_waitcnt vmcnt(15) lgkmcnt(2)
	v_mul_f64 v[108:109], v[98:99], v[234:235]
	s_waitcnt vmcnt(13)
	v_fmac_f64_e32 v[108:109], v[100:101], v[236:237]
	v_add_f64 v[114:115], v[106:107], v[108:109]
	ds_read_b128 v[106:109], v1 offset:1168
	buffer_load_dword v182, off, s[0:3], 0 offset:608
	buffer_load_dword v179, off, s[0:3], 0 offset:620
	;; [unrolled: 1-line block ×3, first 2 shown]
	s_waitcnt vmcnt(13) lgkmcnt(2)
	v_mul_f64 v[116:117], v[102:103], v[238:239]
	s_waitcnt vmcnt(11)
	v_fmac_f64_e32 v[116:117], v[104:105], v[244:245]
	v_add_f64 v[114:115], v[114:115], v[116:117]
	s_waitcnt vmcnt(10) lgkmcnt(0)
	v_mul_f64 v[116:117], v[106:107], v[232:233]
	s_waitcnt vmcnt(8)
	v_fmac_f64_e32 v[116:117], v[108:109], v[242:243]
	v_add_f64 v[114:115], v[114:115], v[116:117]
	s_waitcnt vmcnt(6)
	v_mul_f64 v[116:117], v[110:111], v[240:241]
	s_waitcnt vmcnt(4)
	v_fmac_f64_e32 v[116:117], v[112:113], v[246:247]
	v_add_f64 v[180:181], v[114:115], v[116:117]
	ds_read_b128 v[114:117], v1 offset:1200
	v_add_f64 v[2:3], v[2:3], v[4:5]
	v_mul_f64 v[4:5], v[20:21], v[122:123]
	v_fma_f64 v[4:5], v[18:19], v[124:125], -v[4:5]
	v_add_f64 v[2:3], v[2:3], v[4:5]
	v_mul_f64 v[4:5], v[24:25], v[136:137]
	v_fma_f64 v[4:5], v[22:23], v[138:139], -v[4:5]
	;; [unrolled: 3-line block ×22, first 2 shown]
	v_add_f64 v[2:3], v[2:3], v[4:5]
	v_mul_f64 v[4:5], v[108:109], v[232:233]
	s_waitcnt vmcnt(1) lgkmcnt(0)
	v_mul_f64 v[250:251], v[114:115], v[178:179]
	s_waitcnt vmcnt(0)
	v_fmac_f64_e32 v[250:251], v[116:117], v[182:183]
	v_add_f64 v[180:181], v[180:181], v[250:251]
	buffer_load_dword v250, off, s[0:3], 0 offset:48
	buffer_load_dword v251, off, s[0:3], 0 offset:52
	;; [unrolled: 1-line block ×4, first 2 shown]
	v_fma_f64 v[4:5], v[106:107], v[242:243], -v[4:5]
	v_add_f64 v[2:3], v[2:3], v[4:5]
	v_mul_f64 v[4:5], v[112:113], v[240:241]
	v_fma_f64 v[4:5], v[110:111], v[246:247], -v[4:5]
	v_add_f64 v[2:3], v[2:3], v[4:5]
	v_mul_f64 v[4:5], v[116:117], v[178:179]
	v_fma_f64 v[4:5], v[114:115], v[182:183], -v[4:5]
	v_add_f64 v[2:3], v[2:3], v[4:5]
	s_waitcnt vmcnt(2)
	v_add_f64 v[2:3], v[250:251], -v[2:3]
	s_waitcnt vmcnt(0)
	v_add_f64 v[4:5], v[248:249], -v[180:181]
	buffer_store_dword v3, off, s[0:3], 0 offset:52
	buffer_store_dword v2, off, s[0:3], 0 offset:48
	;; [unrolled: 1-line block ×4, first 2 shown]
	s_and_saveexec_b64 s[4:5], vcc
	s_cbranch_execz .LBB37_239
; %bb.238:
	v_accvgpr_read_b32 v5, a110
	buffer_load_dword v2, v5, s[0:3], 0 offen
	buffer_load_dword v3, v5, s[0:3], 0 offen offset:4
	buffer_load_dword v4, v5, s[0:3], 0 offen offset:8
	s_nop 0
	buffer_load_dword v5, v5, s[0:3], 0 offen offset:12
	s_nop 0
	buffer_store_dword v1, off, s[0:3], 0 offset:32
	buffer_store_dword v1, off, s[0:3], 0 offset:36
	;; [unrolled: 1-line block ×4, first 2 shown]
	s_waitcnt vmcnt(4)
	ds_write_b128 v120, v[2:5]
.LBB37_239:
	s_or_b64 exec, exec, s[4:5]
	s_waitcnt lgkmcnt(0)
	; wave barrier
	s_waitcnt lgkmcnt(0)
	buffer_load_dword v84, off, s[0:3], 0 offset:48
	buffer_load_dword v85, off, s[0:3], 0 offset:52
	buffer_load_dword v106, off, s[0:3], 0 offset:56
	buffer_load_dword v107, off, s[0:3], 0 offset:60
	buffer_load_dword v82, off, s[0:3], 0 offset:64
	buffer_load_dword v83, off, s[0:3], 0 offset:68
	buffer_load_dword v96, off, s[0:3], 0 offset:72
	buffer_load_dword v97, off, s[0:3], 0 offset:76
	buffer_load_dword v94, off, s[0:3], 0 offset:88
	buffer_load_dword v95, off, s[0:3], 0 offset:92
	buffer_load_dword v109, off, s[0:3], 0 offset:124
	buffer_load_dword v108, off, s[0:3], 0 offset:120
	buffer_load_dword v115, off, s[0:3], 0 offset:116
	buffer_load_dword v114, off, s[0:3], 0 offset:112
	buffer_load_dword v117, off, s[0:3], 0 offset:108
	buffer_load_dword v116, off, s[0:3], 0 offset:104
	buffer_load_dword v179, off, s[0:3], 0 offset:156
	buffer_load_dword v178, off, s[0:3], 0 offset:152
	buffer_load_dword v180, off, s[0:3], 0 offset:144
	buffer_load_dword v183, off, s[0:3], 0 offset:140
	buffer_load_dword v182, off, s[0:3], 0 offset:136
	buffer_load_dword v195, off, s[0:3], 0 offset:172
	buffer_load_dword v194, off, s[0:3], 0 offset:168
	buffer_load_dword v250, off, s[0:3], 0 offset:80
	buffer_load_dword v251, off, s[0:3], 0 offset:84
	buffer_load_dword v249, off, s[0:3], 0 offset:100
	buffer_load_dword v248, off, s[0:3], 0 offset:96
	buffer_load_dword v185, off, s[0:3], 0 offset:132
	buffer_load_dword v184, off, s[0:3], 0 offset:128
	buffer_load_dword v181, off, s[0:3], 0 offset:148
	buffer_load_dword v196, off, s[0:3], 0 offset:184
	buffer_load_dword v198, off, s[0:3], 0 offset:176
	buffer_load_dword v199, off, s[0:3], 0 offset:180
	buffer_load_dword v197, off, s[0:3], 0 offset:188
	ds_read_b128 v[74:77], v1 offset:640
	ds_read_b128 v[78:81], v1 offset:656
	;; [unrolled: 1-line block ×8, first 2 shown]
	buffer_load_dword v201, off, s[0:3], 0 offset:164
	buffer_load_dword v200, off, s[0:3], 0 offset:160
	ds_read_b128 v[6:9], v1 offset:768
	buffer_load_dword v119, off, s[0:3], 0 offset:220
	buffer_load_dword v118, off, s[0:3], 0 offset:216
	;; [unrolled: 1-line block ×80, first 2 shown]
	v_cmp_ne_u32_e32 vcc, 0, v0
	s_waitcnt vmcnt(62) lgkmcnt(8)
	v_mul_f64 v[10:11], v[74:75], v[106:107]
	v_fmac_f64_e32 v[10:11], v[76:77], v[84:85]
	v_add_f64 v[10:11], v[10:11], 0
	v_mul_f64 v[76:77], v[76:77], v[106:107]
	s_waitcnt lgkmcnt(7)
	v_mul_f64 v[12:13], v[78:79], v[96:97]
	v_fmac_f64_e32 v[12:13], v[80:81], v[82:83]
	s_waitcnt lgkmcnt(6)
	v_mul_f64 v[14:15], v[86:87], v[94:95]
	v_add_f64 v[10:11], v[10:11], v[12:13]
	s_waitcnt lgkmcnt(4)
	v_mul_f64 v[18:19], v[98:99], v[108:109]
	v_fma_f64 v[188:189], v[74:75], v[84:85], -v[76:77]
	v_fmac_f64_e32 v[18:19], v[100:101], v[114:115]
	v_mul_f64 v[80:81], v[80:81], v[96:97]
	v_mul_f64 v[16:17], v[90:91], v[116:117]
	v_fma_f64 v[190:191], v[78:79], v[82:83], -v[80:81]
	s_waitcnt lgkmcnt(2)
	v_mul_f64 v[22:23], v[110:111], v[178:179]
	v_mul_f64 v[100:101], v[100:101], v[108:109]
	;; [unrolled: 1-line block ×3, first 2 shown]
	s_waitcnt lgkmcnt(1)
	v_mul_f64 v[24:25], v[2:3], v[194:195]
	v_fmac_f64_e32 v[14:15], v[88:89], v[250:251]
	v_add_f64 v[10:11], v[10:11], v[14:15]
	v_fmac_f64_e32 v[16:17], v[92:93], v[248:249]
	v_add_f64 v[10:11], v[10:11], v[16:17]
	;; [unrolled: 2-line block ×4, first 2 shown]
	v_add_f64 v[10:11], v[10:11], v[22:23]
	s_waitcnt lgkmcnt(0)
	v_mul_f64 v[16:17], v[6:7], v[196:197]
	v_fmac_f64_e32 v[16:17], v[8:9], v[198:199]
	v_fmac_f64_e32 v[24:25], v[4:5], v[200:201]
	v_add_f64 v[14:15], v[10:11], v[24:25]
	ds_read_b128 v[10:13], v1 offset:784
	v_add_f64 v[18:19], v[14:15], v[16:17]
	ds_read_b128 v[14:17], v1 offset:800
	v_mul_f64 v[88:89], v[88:89], v[94:95]
	v_mul_f64 v[92:93], v[92:93], v[116:117]
	s_waitcnt lgkmcnt(1)
	v_mul_f64 v[20:21], v[10:11], v[124:125]
	v_fmac_f64_e32 v[20:21], v[12:13], v[126:127]
	s_waitcnt lgkmcnt(0)
	v_mul_f64 v[24:25], v[14:15], v[118:119]
	v_add_f64 v[22:23], v[18:19], v[20:21]
	ds_read_b128 v[18:21], v1 offset:816
	v_fmac_f64_e32 v[24:25], v[16:17], v[122:123]
	v_add_f64 v[26:27], v[22:23], v[24:25]
	ds_read_b128 v[22:25], v1 offset:832
	v_fma_f64 v[192:193], v[90:91], v[248:249], -v[92:93]
	s_waitcnt lgkmcnt(1)
	v_mul_f64 v[28:29], v[18:19], v[136:137]
	v_fmac_f64_e32 v[28:29], v[20:21], v[138:139]
	v_add_f64 v[30:31], v[26:27], v[28:29]
	s_waitcnt lgkmcnt(0)
	v_mul_f64 v[32:33], v[22:23], v[128:129]
	ds_read_b128 v[26:29], v1 offset:848
	v_fmac_f64_e32 v[32:33], v[24:25], v[130:131]
	v_add_f64 v[34:35], v[30:31], v[32:33]
	ds_read_b128 v[30:33], v1 offset:864
	v_fma_f64 v[248:249], v[98:99], v[114:115], -v[100:101]
	s_waitcnt vmcnt(58) lgkmcnt(1)
	v_mul_f64 v[36:37], v[26:27], v[152:153]
	s_waitcnt vmcnt(56)
	v_fmac_f64_e32 v[36:37], v[28:29], v[156:157]
	v_add_f64 v[38:39], v[34:35], v[36:37]
	s_waitcnt lgkmcnt(0)
	v_mul_f64 v[40:41], v[30:31], v[132:133]
	ds_read_b128 v[34:37], v1 offset:880
	v_fmac_f64_e32 v[40:41], v[32:33], v[134:135]
	v_add_f64 v[42:43], v[38:39], v[40:41]
	ds_read_b128 v[38:41], v1 offset:896
	v_mul_f64 v[104:105], v[104:105], v[182:183]
	s_waitcnt vmcnt(50) lgkmcnt(1)
	v_mul_f64 v[44:45], v[34:35], v[160:161]
	s_waitcnt vmcnt(48)
	v_fmac_f64_e32 v[44:45], v[36:37], v[164:165]
	v_add_f64 v[46:47], v[42:43], v[44:45]
	s_waitcnt lgkmcnt(0)
	v_mul_f64 v[48:49], v[38:39], v[140:141]
	v_fmac_f64_e32 v[48:49], v[40:41], v[142:143]
	ds_read_b128 v[42:45], v1 offset:912
	v_add_f64 v[50:51], v[46:47], v[48:49]
	ds_read_b128 v[46:49], v1 offset:928
	buffer_load_dword v169, off, s[0:3], 0 offset:540
	buffer_load_dword v171, off, s[0:3], 0 offset:524
	;; [unrolled: 1-line block ×12, first 2 shown]
	v_mul_f64 v[112:113], v[112:113], v[178:179]
	s_waitcnt vmcnt(54) lgkmcnt(1)
	v_mul_f64 v[52:53], v[42:43], v[202:203]
	s_waitcnt vmcnt(52)
	v_fmac_f64_e32 v[52:53], v[44:45], v[206:207]
	v_add_f64 v[54:55], v[50:51], v[52:53]
	ds_read_b128 v[50:53], v1 offset:944
	s_waitcnt lgkmcnt(1)
	v_mul_f64 v[56:57], v[46:47], v[144:145]
	v_fmac_f64_e32 v[56:57], v[48:49], v[146:147]
	buffer_load_dword v239, off, s[0:3], 0 offset:572
	buffer_load_dword v238, off, s[0:3], 0 offset:568
	;; [unrolled: 1-line block ×12, first 2 shown]
	v_add_f64 v[58:59], v[54:55], v[56:57]
	ds_read_b128 v[54:57], v1 offset:960
	s_waitcnt vmcnt(58) lgkmcnt(1)
	v_mul_f64 v[60:61], v[50:51], v[210:211]
	s_waitcnt vmcnt(56)
	v_fmac_f64_e32 v[60:61], v[52:53], v[214:215]
	v_add_f64 v[62:63], v[58:59], v[60:61]
	ds_read_b128 v[58:61], v1 offset:976
	s_waitcnt lgkmcnt(1)
	v_mul_f64 v[64:65], v[54:55], v[148:149]
	v_fmac_f64_e32 v[64:65], v[56:57], v[150:151]
	v_add_f64 v[70:71], v[62:63], v[64:65]
	ds_read_b128 v[62:65], v1 offset:992
	ds_read_b128 v[66:69], v1 offset:1008
	s_waitcnt vmcnt(50) lgkmcnt(2)
	v_mul_f64 v[72:73], v[58:59], v[218:219]
	s_waitcnt vmcnt(48)
	v_fmac_f64_e32 v[72:73], v[60:61], v[220:221]
	v_add_f64 v[70:71], v[70:71], v[72:73]
	s_waitcnt lgkmcnt(1)
	v_mul_f64 v[72:73], v[62:63], v[154:155]
	v_fmac_f64_e32 v[72:73], v[64:65], v[158:159]
	v_add_f64 v[70:71], v[70:71], v[72:73]
	s_waitcnt vmcnt(42) lgkmcnt(0)
	v_mul_f64 v[72:73], v[66:67], v[222:223]
	s_waitcnt vmcnt(40)
	v_fmac_f64_e32 v[72:73], v[68:69], v[224:225]
	v_add_f64 v[186:187], v[70:71], v[72:73]
	ds_read_b128 v[70:73], v1 offset:1024
	ds_read_b128 v[74:77], v1 offset:1040
	;; [unrolled: 1-line block ×5, first 2 shown]
	s_waitcnt lgkmcnt(4)
	v_mul_f64 v[84:85], v[70:71], v[162:163]
	v_fmac_f64_e32 v[84:85], v[72:73], v[166:167]
	v_add_f64 v[82:83], v[186:187], v[84:85]
	s_waitcnt vmcnt(34) lgkmcnt(3)
	v_mul_f64 v[84:85], v[74:75], v[226:227]
	s_waitcnt vmcnt(32)
	v_fmac_f64_e32 v[84:85], v[76:77], v[228:229]
	v_add_f64 v[82:83], v[82:83], v[84:85]
	v_fma_f64 v[186:187], v[86:87], v[250:251], -v[88:89]
	ds_read_b128 v[86:89], v1 offset:1088
	s_waitcnt lgkmcnt(3)
	v_mul_f64 v[84:85], v[78:79], v[204:205]
	v_fmac_f64_e32 v[84:85], v[80:81], v[208:209]
	v_add_f64 v[96:97], v[82:83], v[84:85]
	ds_read_b128 v[82:85], v1 offset:1072
	v_fma_f64 v[252:253], v[102:103], v[184:185], -v[104:105]
	v_fma_f64 v[254:255], v[110:111], v[180:181], -v[112:113]
	ds_read_b128 v[110:113], v1 offset:1184
	v_mul_f64 v[4:5], v[4:5], v[194:195]
	s_waitcnt vmcnt(26) lgkmcnt(1)
	v_mul_f64 v[94:95], v[82:83], v[230:231]
	s_waitcnt vmcnt(24)
	v_fmac_f64_e32 v[94:95], v[84:85], v[232:233]
	v_add_f64 v[94:95], v[96:97], v[94:95]
	v_mul_f64 v[96:97], v[86:87], v[212:213]
	v_fmac_f64_e32 v[96:97], v[88:89], v[216:217]
	v_add_f64 v[106:107], v[94:95], v[96:97]
	ds_read_b128 v[94:97], v1 offset:1120
	v_fma_f64 v[2:3], v[2:3], v[200:201], -v[4:5]
	v_mul_f64 v[4:5], v[8:9], v[196:197]
	v_fma_f64 v[4:5], v[6:7], v[198:199], -v[4:5]
	ds_read_b128 v[102:105], v1 offset:1168
	s_waitcnt vmcnt(21)
	v_mul_f64 v[108:109], v[90:91], v[170:171]
	s_waitcnt vmcnt(19)
	v_fmac_f64_e32 v[108:109], v[92:93], v[176:177]
	v_add_f64 v[106:107], v[106:107], v[108:109]
	s_waitcnt vmcnt(18) lgkmcnt(1)
	v_mul_f64 v[108:109], v[94:95], v[168:169]
	s_waitcnt vmcnt(16)
	v_fmac_f64_e32 v[108:109], v[96:97], v[174:175]
	v_add_f64 v[114:115], v[106:107], v[108:109]
	ds_read_b128 v[106:109], v1 offset:1152
	buffer_load_dword v181, off, s[0:3], 0 offset:620
	buffer_load_dword v180, off, s[0:3], 0 offset:616
	buffer_load_dword v183, off, s[0:3], 0 offset:612
	buffer_load_dword v182, off, s[0:3], 0 offset:608
	s_waitcnt vmcnt(18)
	v_mul_f64 v[116:117], v[98:99], v[172:173]
	s_waitcnt vmcnt(16)
	v_fmac_f64_e32 v[116:117], v[100:101], v[234:235]
	v_add_f64 v[114:115], v[114:115], v[116:117]
	s_waitcnt vmcnt(14) lgkmcnt(0)
	v_mul_f64 v[116:117], v[106:107], v[238:239]
	s_waitcnt vmcnt(12)
	v_fmac_f64_e32 v[116:117], v[108:109], v[240:241]
	v_add_f64 v[114:115], v[114:115], v[116:117]
	s_waitcnt vmcnt(9)
	v_mul_f64 v[116:117], v[102:103], v[244:245]
	s_waitcnt vmcnt(7)
	v_fmac_f64_e32 v[116:117], v[104:105], v[246:247]
	v_add_f64 v[114:115], v[114:115], v[116:117]
	s_waitcnt vmcnt(5)
	v_mul_f64 v[116:117], v[110:111], v[236:237]
	s_waitcnt vmcnt(4)
	v_fmac_f64_e32 v[116:117], v[112:113], v[242:243]
	v_add_f64 v[178:179], v[114:115], v[116:117]
	ds_read_b128 v[114:117], v1 offset:1200
	s_waitcnt vmcnt(2) lgkmcnt(0)
	v_mul_f64 v[184:185], v[114:115], v[180:181]
	s_waitcnt vmcnt(0)
	v_fmac_f64_e32 v[184:185], v[116:117], v[182:183]
	v_add_f64 v[178:179], v[178:179], v[184:185]
	v_add_f64 v[184:185], v[188:189], 0
	;; [unrolled: 1-line block ×6, first 2 shown]
	buffer_load_dword v250, off, s[0:3], 0 offset:32
	buffer_load_dword v251, off, s[0:3], 0 offset:36
	;; [unrolled: 1-line block ×4, first 2 shown]
	v_add_f64 v[184:185], v[184:185], v[252:253]
	v_add_f64 v[184:185], v[184:185], v[254:255]
	;; [unrolled: 1-line block ×4, first 2 shown]
	v_mul_f64 v[4:5], v[12:13], v[124:125]
	v_fma_f64 v[4:5], v[10:11], v[126:127], -v[4:5]
	v_add_f64 v[2:3], v[2:3], v[4:5]
	v_mul_f64 v[4:5], v[16:17], v[118:119]
	v_fma_f64 v[4:5], v[14:15], v[122:123], -v[4:5]
	v_add_f64 v[2:3], v[2:3], v[4:5]
	v_mul_f64 v[4:5], v[20:21], v[136:137]
	v_fma_f64 v[4:5], v[18:19], v[138:139], -v[4:5]
	v_add_f64 v[2:3], v[2:3], v[4:5]
	v_mul_f64 v[4:5], v[24:25], v[128:129]
	v_fma_f64 v[4:5], v[22:23], v[130:131], -v[4:5]
	v_add_f64 v[2:3], v[2:3], v[4:5]
	v_mul_f64 v[4:5], v[28:29], v[152:153]
	v_fma_f64 v[4:5], v[26:27], v[156:157], -v[4:5]
	v_add_f64 v[2:3], v[2:3], v[4:5]
	v_mul_f64 v[4:5], v[32:33], v[132:133]
	v_fma_f64 v[4:5], v[30:31], v[134:135], -v[4:5]
	v_add_f64 v[2:3], v[2:3], v[4:5]
	v_mul_f64 v[4:5], v[36:37], v[160:161]
	v_fma_f64 v[4:5], v[34:35], v[164:165], -v[4:5]
	v_add_f64 v[2:3], v[2:3], v[4:5]
	v_mul_f64 v[4:5], v[40:41], v[140:141]
	v_fma_f64 v[4:5], v[38:39], v[142:143], -v[4:5]
	v_add_f64 v[2:3], v[2:3], v[4:5]
	v_mul_f64 v[4:5], v[44:45], v[202:203]
	v_fma_f64 v[4:5], v[42:43], v[206:207], -v[4:5]
	v_add_f64 v[2:3], v[2:3], v[4:5]
	v_mul_f64 v[4:5], v[48:49], v[144:145]
	v_fma_f64 v[4:5], v[46:47], v[146:147], -v[4:5]
	v_add_f64 v[2:3], v[2:3], v[4:5]
	v_mul_f64 v[4:5], v[52:53], v[210:211]
	v_fma_f64 v[4:5], v[50:51], v[214:215], -v[4:5]
	v_add_f64 v[2:3], v[2:3], v[4:5]
	v_mul_f64 v[4:5], v[56:57], v[148:149]
	v_fma_f64 v[4:5], v[54:55], v[150:151], -v[4:5]
	v_add_f64 v[2:3], v[2:3], v[4:5]
	v_mul_f64 v[4:5], v[60:61], v[218:219]
	v_fma_f64 v[4:5], v[58:59], v[220:221], -v[4:5]
	v_add_f64 v[2:3], v[2:3], v[4:5]
	v_mul_f64 v[4:5], v[64:65], v[154:155]
	v_fma_f64 v[4:5], v[62:63], v[158:159], -v[4:5]
	v_add_f64 v[2:3], v[2:3], v[4:5]
	v_mul_f64 v[4:5], v[68:69], v[222:223]
	v_fma_f64 v[4:5], v[66:67], v[224:225], -v[4:5]
	v_add_f64 v[2:3], v[2:3], v[4:5]
	v_mul_f64 v[4:5], v[72:73], v[162:163]
	v_fma_f64 v[4:5], v[70:71], v[166:167], -v[4:5]
	v_add_f64 v[2:3], v[2:3], v[4:5]
	v_mul_f64 v[4:5], v[76:77], v[226:227]
	v_fma_f64 v[4:5], v[74:75], v[228:229], -v[4:5]
	v_add_f64 v[2:3], v[2:3], v[4:5]
	v_mul_f64 v[4:5], v[80:81], v[204:205]
	v_fma_f64 v[4:5], v[78:79], v[208:209], -v[4:5]
	v_add_f64 v[2:3], v[2:3], v[4:5]
	v_mul_f64 v[4:5], v[84:85], v[230:231]
	v_fma_f64 v[4:5], v[82:83], v[232:233], -v[4:5]
	v_add_f64 v[2:3], v[2:3], v[4:5]
	v_mul_f64 v[4:5], v[88:89], v[212:213]
	v_fma_f64 v[4:5], v[86:87], v[216:217], -v[4:5]
	v_add_f64 v[2:3], v[2:3], v[4:5]
	v_mul_f64 v[4:5], v[92:93], v[170:171]
	v_fma_f64 v[4:5], v[90:91], v[176:177], -v[4:5]
	v_add_f64 v[2:3], v[2:3], v[4:5]
	v_mul_f64 v[4:5], v[96:97], v[168:169]
	v_fma_f64 v[4:5], v[94:95], v[174:175], -v[4:5]
	v_add_f64 v[2:3], v[2:3], v[4:5]
	v_mul_f64 v[4:5], v[100:101], v[172:173]
	v_fma_f64 v[4:5], v[98:99], v[234:235], -v[4:5]
	v_add_f64 v[2:3], v[2:3], v[4:5]
	v_mul_f64 v[4:5], v[108:109], v[238:239]
	v_fma_f64 v[4:5], v[106:107], v[240:241], -v[4:5]
	v_add_f64 v[2:3], v[2:3], v[4:5]
	v_mul_f64 v[4:5], v[104:105], v[244:245]
	v_fma_f64 v[4:5], v[102:103], v[246:247], -v[4:5]
	v_add_f64 v[2:3], v[2:3], v[4:5]
	v_mul_f64 v[4:5], v[112:113], v[236:237]
	v_fma_f64 v[4:5], v[110:111], v[242:243], -v[4:5]
	v_add_f64 v[2:3], v[2:3], v[4:5]
	v_mul_f64 v[4:5], v[116:117], v[180:181]
	v_fma_f64 v[4:5], v[114:115], v[182:183], -v[4:5]
	v_add_f64 v[2:3], v[2:3], v[4:5]
	s_waitcnt vmcnt(2)
	v_add_f64 v[2:3], v[250:251], -v[2:3]
	s_waitcnt vmcnt(0)
	v_add_f64 v[4:5], v[248:249], -v[178:179]
	buffer_store_dword v3, off, s[0:3], 0 offset:36
	buffer_store_dword v2, off, s[0:3], 0 offset:32
	;; [unrolled: 1-line block ×4, first 2 shown]
	s_and_saveexec_b64 s[4:5], vcc
	s_cbranch_execz .LBB37_241
; %bb.240:
	buffer_load_dword v0, off, s[0:3], 0 offset:16
	buffer_load_dword v1, off, s[0:3], 0 offset:20
	;; [unrolled: 1-line block ×4, first 2 shown]
	v_mov_b32_e32 v4, 0
	buffer_store_dword v4, off, s[0:3], 0 offset:16
	buffer_store_dword v4, off, s[0:3], 0 offset:20
	;; [unrolled: 1-line block ×4, first 2 shown]
	s_waitcnt vmcnt(4)
	ds_write_b128 v120, v[0:3]
.LBB37_241:
	s_or_b64 exec, exec, s[4:5]
	s_waitcnt lgkmcnt(0)
	; wave barrier
	s_waitcnt lgkmcnt(0)
	buffer_load_dword v64, off, s[0:3], 0 offset:32
	buffer_load_dword v65, off, s[0:3], 0 offset:36
	;; [unrolled: 1-line block ×55, first 2 shown]
	v_mov_b32_e32 v120, 0
	ds_read_b128 v[68:71], v120 offset:624
	ds_read_b128 v[80:83], v120 offset:640
	;; [unrolled: 1-line block ×9, first 2 shown]
	buffer_load_dword v210, off, s[0:3], 0 offset:256
	buffer_load_dword v229, off, s[0:3], 0 offset:252
	;; [unrolled: 1-line block ×61, first 2 shown]
	s_and_b64 vcc, exec, s[20:21]
	s_waitcnt vmcnt(62) lgkmcnt(8)
	v_mul_f64 v[4:5], v[68:69], v[66:67]
	v_fmac_f64_e32 v[4:5], v[70:71], v[64:65]
	v_add_f64 v[4:5], v[4:5], 0
	v_mul_f64 v[66:67], v[70:71], v[66:67]
	s_waitcnt lgkmcnt(7)
	v_mul_f64 v[6:7], v[80:81], v[74:75]
	v_fmac_f64_e32 v[6:7], v[82:83], v[72:73]
	s_waitcnt lgkmcnt(6)
	v_mul_f64 v[8:9], v[92:93], v[76:77]
	v_add_f64 v[4:5], v[4:5], v[6:7]
	s_waitcnt lgkmcnt(4)
	v_mul_f64 v[12:13], v[112:113], v[88:89]
	v_fma_f64 v[184:185], v[68:69], v[64:65], -v[66:67]
	v_fmac_f64_e32 v[12:13], v[114:115], v[90:91]
	v_mul_f64 v[74:75], v[82:83], v[74:75]
	v_mul_f64 v[10:11], v[104:105], v[84:85]
	v_fma_f64 v[186:187], v[80:81], v[72:73], -v[74:75]
	s_waitcnt lgkmcnt(2)
	v_mul_f64 v[16:17], v[172:173], v[100:101]
	v_mul_f64 v[76:77], v[94:95], v[76:77]
	;; [unrolled: 1-line block ×5, first 2 shown]
	s_waitcnt lgkmcnt(1)
	v_mul_f64 v[18:19], v[180:181], v[108:109]
	v_fmac_f64_e32 v[18:19], v[182:183], v[110:111]
	v_fmac_f64_e32 v[8:9], v[94:95], v[78:79]
	v_add_f64 v[4:5], v[4:5], v[8:9]
	v_fmac_f64_e32 v[10:11], v[106:107], v[86:87]
	v_add_f64 v[4:5], v[4:5], v[10:11]
	v_fmac_f64_e32 v[14:15], v[170:171], v[98:99]
	v_add_f64 v[4:5], v[4:5], v[12:13]
	v_fmac_f64_e32 v[16:17], v[174:175], v[102:103]
	v_add_f64 v[4:5], v[4:5], v[14:15]
	v_add_f64 v[4:5], v[4:5], v[16:17]
	v_add_f64 v[8:9], v[4:5], v[18:19]
	ds_read_b128 v[4:7], v120 offset:768
	s_waitcnt lgkmcnt(1)
	v_mul_f64 v[10:11], v[0:1], v[116:117]
	v_fmac_f64_e32 v[10:11], v[2:3], v[194:195]
	v_add_f64 v[12:13], v[8:9], v[10:11]
	ds_read_b128 v[8:11], v120 offset:784
	s_waitcnt lgkmcnt(1)
	v_mul_f64 v[14:15], v[4:5], v[200:201]
	v_fmac_f64_e32 v[14:15], v[6:7], v[202:203]
	;; [unrolled: 5-line block ×5, first 2 shown]
	v_add_f64 v[28:29], v[24:25], v[26:27]
	ds_read_b128 v[24:27], v120 offset:848
	s_waitcnt vmcnt(58) lgkmcnt(1)
	v_mul_f64 v[30:31], v[20:21], v[228:229]
	s_waitcnt vmcnt(56)
	v_fmac_f64_e32 v[30:31], v[22:23], v[232:233]
	v_add_f64 v[32:33], v[28:29], v[30:31]
	ds_read_b128 v[28:31], v120 offset:864
	s_waitcnt lgkmcnt(1)
	v_mul_f64 v[34:35], v[24:25], v[208:209]
	v_fmac_f64_e32 v[34:35], v[26:27], v[210:211]
	v_add_f64 v[36:37], v[32:33], v[34:35]
	ds_read_b128 v[32:35], v120 offset:880
	s_waitcnt vmcnt(50) lgkmcnt(1)
	v_mul_f64 v[38:39], v[28:29], v[236:237]
	s_waitcnt vmcnt(48)
	v_fmac_f64_e32 v[38:39], v[30:31], v[240:241]
	v_add_f64 v[40:41], v[36:37], v[38:39]
	ds_read_b128 v[36:39], v120 offset:896
	s_waitcnt lgkmcnt(1)
	v_mul_f64 v[42:43], v[32:33], v[216:217]
	v_fmac_f64_e32 v[42:43], v[34:35], v[218:219]
	v_add_f64 v[44:45], v[40:41], v[42:43]
	ds_read_b128 v[40:43], v120 offset:912
	s_waitcnt vmcnt(42) lgkmcnt(1)
	v_mul_f64 v[46:47], v[36:37], v[244:245]
	s_waitcnt vmcnt(40)
	v_fmac_f64_e32 v[46:47], v[38:39], v[248:249]
	v_add_f64 v[48:49], v[44:45], v[46:47]
	ds_read_b128 v[44:47], v120 offset:928
	buffer_load_dword v141, off, s[0:3], 0 offset:524
	buffer_load_dword v143, off, s[0:3], 0 offset:508
	;; [unrolled: 1-line block ×8, first 2 shown]
	s_waitcnt lgkmcnt(1)
	v_mul_f64 v[50:51], v[40:41], v[220:221]
	v_fmac_f64_e32 v[50:51], v[42:43], v[222:223]
	v_add_f64 v[52:53], v[48:49], v[50:51]
	ds_read_b128 v[48:51], v120 offset:944
	s_waitcnt vmcnt(42) lgkmcnt(1)
	v_mul_f64 v[54:55], v[44:45], v[252:253]
	buffer_load_dword v149, off, s[0:3], 0 offset:540
	buffer_load_dword v148, off, s[0:3], 0 offset:536
	;; [unrolled: 1-line block ×4, first 2 shown]
	s_waitcnt vmcnt(44)
	v_fmac_f64_e32 v[54:55], v[46:47], v[118:119]
	v_add_f64 v[56:57], v[52:53], v[54:55]
	ds_read_b128 v[52:55], v120 offset:960
	buffer_load_dword v155, off, s[0:3], 0 offset:556
	buffer_load_dword v154, off, s[0:3], 0 offset:552
	;; [unrolled: 1-line block ×4, first 2 shown]
	s_waitcnt lgkmcnt(1)
	v_mul_f64 v[58:59], v[48:49], v[224:225]
	v_fmac_f64_e32 v[58:59], v[50:51], v[226:227]
	buffer_load_dword v152, off, s[0:3], 0 offset:584
	buffer_load_dword v161, off, s[0:3], 0 offset:572
	;; [unrolled: 1-line block ×12, first 2 shown]
	s_waitcnt vmcnt(54) lgkmcnt(0)
	v_mul_f64 v[62:63], v[52:53], v[124:125]
	v_add_f64 v[60:61], v[56:57], v[58:59]
	ds_read_b128 v[56:59], v120 offset:976
	s_waitcnt vmcnt(52)
	v_fmac_f64_e32 v[62:63], v[54:55], v[126:127]
	v_add_f64 v[176:177], v[60:61], v[62:63]
	ds_read_b128 v[60:63], v120 offset:992
	ds_read_b128 v[64:67], v120 offset:1008
	;; [unrolled: 1-line block ×3, first 2 shown]
	s_waitcnt lgkmcnt(3)
	v_mul_f64 v[178:179], v[56:57], v[230:231]
	v_fmac_f64_e32 v[178:179], v[58:59], v[234:235]
	s_waitcnt vmcnt(46) lgkmcnt(2)
	v_mul_f64 v[70:71], v[60:61], v[128:129]
	v_add_f64 v[68:69], v[176:177], v[178:179]
	s_waitcnt vmcnt(44)
	v_fmac_f64_e32 v[70:71], v[62:63], v[130:131]
	v_add_f64 v[68:69], v[68:69], v[70:71]
	s_waitcnt lgkmcnt(1)
	v_mul_f64 v[70:71], v[64:65], v[238:239]
	v_fmac_f64_e32 v[70:71], v[66:67], v[242:243]
	v_add_f64 v[176:177], v[68:69], v[70:71]
	ds_read_b128 v[68:71], v120 offset:1024
	v_fma_f64 v[188:189], v[92:93], v[78:79], -v[76:77]
	ds_read_b128 v[76:79], v120 offset:1056
	s_waitcnt vmcnt(42) lgkmcnt(2)
	v_mul_f64 v[82:83], v[72:73], v[246:247]
	s_waitcnt vmcnt(40)
	v_fmac_f64_e32 v[82:83], v[74:75], v[250:251]
	s_waitcnt vmcnt(38) lgkmcnt(1)
	v_mul_f64 v[80:81], v[68:69], v[132:133]
	s_waitcnt vmcnt(36)
	v_fmac_f64_e32 v[80:81], v[70:71], v[134:135]
	v_add_f64 v[80:81], v[176:177], v[80:81]
	v_add_f64 v[80:81], v[80:81], v[82:83]
	s_waitcnt vmcnt(30) lgkmcnt(0)
	v_mul_f64 v[82:83], v[76:77], v[136:137]
	s_waitcnt vmcnt(28)
	v_fmac_f64_e32 v[82:83], v[78:79], v[138:139]
	v_add_f64 v[92:93], v[80:81], v[82:83]
	ds_read_b128 v[80:83], v120 offset:1072
	v_fma_f64 v[176:177], v[104:105], v[86:87], -v[84:85]
	ds_read_b128 v[84:87], v120 offset:1088
	v_fma_f64 v[190:191], v[112:113], v[90:91], -v[88:89]
	ds_read_b128 v[88:91], v120 offset:1104
	s_waitcnt lgkmcnt(2)
	v_mul_f64 v[94:95], v[80:81], v[254:255]
	v_fmac_f64_e32 v[94:95], v[82:83], v[122:123]
	v_add_f64 v[92:93], v[92:93], v[94:95]
	v_mul_f64 v[96:97], v[170:171], v[96:97]
	v_fma_f64 v[192:193], v[168:169], v[98:99], -v[96:97]
	ds_read_b128 v[96:99], v120 offset:1136
	v_mul_f64 v[100:101], v[174:175], v[100:101]
	v_fma_f64 v[178:179], v[172:173], v[102:103], -v[100:101]
	v_mul_f64 v[108:109], v[182:183], v[108:109]
	v_fma_f64 v[180:181], v[180:181], v[110:111], -v[108:109]
	;; [unrolled: 2-line block ×4, first 2 shown]
	ds_read_b128 v[100:103], v120 offset:1152
	ds_read_b128 v[108:111], v120 offset:1184
	s_waitcnt vmcnt(25) lgkmcnt(4)
	v_mul_f64 v[94:95], v[84:85], v[142:143]
	s_waitcnt vmcnt(23)
	v_fmac_f64_e32 v[94:95], v[86:87], v[146:147]
	v_add_f64 v[92:93], v[92:93], v[94:95]
	s_waitcnt vmcnt(22) lgkmcnt(3)
	v_mul_f64 v[94:95], v[88:89], v[140:141]
	s_waitcnt vmcnt(20)
	v_fmac_f64_e32 v[94:95], v[90:91], v[144:145]
	v_add_f64 v[104:105], v[92:93], v[94:95]
	ds_read_b128 v[92:95], v120 offset:1120
	s_waitcnt vmcnt(9) lgkmcnt(2)
	v_mul_f64 v[114:115], v[100:101], v[160:161]
	s_waitcnt vmcnt(7)
	v_fmac_f64_e32 v[114:115], v[102:103], v[164:165]
	s_waitcnt lgkmcnt(0)
	v_mul_f64 v[106:107], v[92:93], v[148:149]
	v_fmac_f64_e32 v[106:107], v[94:95], v[150:151]
	v_add_f64 v[104:105], v[104:105], v[106:107]
	v_mul_f64 v[106:107], v[96:97], v[154:155]
	v_fmac_f64_e32 v[106:107], v[98:99], v[156:157]
	v_add_f64 v[112:113], v[104:105], v[106:107]
	ds_read_b128 v[104:107], v120 offset:1168
	buffer_load_dword v170, off, s[0:3], 0 offset:616
	buffer_load_dword v171, off, s[0:3], 0 offset:620
	;; [unrolled: 1-line block ×4, first 2 shown]
	v_add_f64 v[112:113], v[112:113], v[114:115]
	s_waitcnt vmcnt(9) lgkmcnt(0)
	v_mul_f64 v[114:115], v[104:105], v[152:153]
	s_waitcnt vmcnt(8)
	v_fmac_f64_e32 v[114:115], v[106:107], v[158:159]
	v_add_f64 v[112:113], v[112:113], v[114:115]
	s_waitcnt vmcnt(6)
	v_mul_f64 v[114:115], v[108:109], v[162:163]
	s_waitcnt vmcnt(4)
	v_fmac_f64_e32 v[114:115], v[110:111], v[166:167]
	v_add_f64 v[168:169], v[112:113], v[114:115]
	ds_read_b128 v[112:115], v120 offset:1200
	s_waitcnt vmcnt(2) lgkmcnt(0)
	v_mul_f64 v[174:175], v[112:113], v[170:171]
	s_waitcnt vmcnt(0)
	v_fmac_f64_e32 v[174:175], v[114:115], v[172:173]
	v_add_f64 v[168:169], v[168:169], v[174:175]
	v_add_f64 v[174:175], v[184:185], 0
	;; [unrolled: 1-line block ×6, first 2 shown]
	buffer_load_dword v176, off, s[0:3], 0 offset:16
	buffer_load_dword v177, off, s[0:3], 0 offset:20
	v_add_f64 v[182:183], v[174:175], v[192:193]
	buffer_load_dword v174, off, s[0:3], 0 offset:24
	buffer_load_dword v175, off, s[0:3], 0 offset:28
	v_add_f64 v[178:179], v[182:183], v[178:179]
	v_add_f64 v[178:179], v[178:179], v[180:181]
	;; [unrolled: 1-line block ×4, first 2 shown]
	v_mul_f64 v[2:3], v[10:11], v[196:197]
	v_fma_f64 v[2:3], v[8:9], v[198:199], -v[2:3]
	v_add_f64 v[0:1], v[0:1], v[2:3]
	v_mul_f64 v[2:3], v[14:15], v[212:213]
	v_fma_f64 v[2:3], v[12:13], v[214:215], -v[2:3]
	v_add_f64 v[0:1], v[0:1], v[2:3]
	;; [unrolled: 3-line block ×27, first 2 shown]
	s_waitcnt vmcnt(2)
	v_add_f64 v[0:1], v[176:177], -v[0:1]
	s_waitcnt vmcnt(0)
	v_add_f64 v[2:3], v[174:175], -v[168:169]
	buffer_store_dword v1, off, s[0:3], 0 offset:20
	buffer_store_dword v0, off, s[0:3], 0 offset:16
	;; [unrolled: 1-line block ×4, first 2 shown]
	s_cbranch_vccz .LBB37_317
; %bb.242:
	v_pk_mov_b32 v[0:1], s[10:11], s[10:11] op_sel:[0,1]
	flat_load_dword v0, v[0:1] offset:144
	s_waitcnt vmcnt(0) lgkmcnt(0)
	v_add_u32_e32 v0, -1, v0
	v_cmp_ne_u32_e32 vcc, 36, v0
	s_and_saveexec_b64 s[4:5], vcc
	s_cbranch_execz .LBB37_244
; %bb.243:
	v_mov_b32_e32 v1, 16
	v_accvgpr_read_b32 v9, a76
	v_lshl_add_u32 v0, v0, 4, v1
	buffer_load_dword v1, v9, s[0:3], 0 offen offset:4
	buffer_load_dword v2, v9, s[0:3], 0 offen offset:8
	buffer_load_dword v3, v9, s[0:3], 0 offen offset:12
	buffer_load_dword v4, v0, s[0:3], 0 offen
	buffer_load_dword v5, v0, s[0:3], 0 offen offset:4
	buffer_load_dword v6, v0, s[0:3], 0 offen offset:8
	buffer_load_dword v7, v0, s[0:3], 0 offen offset:12
	buffer_load_dword v8, v9, s[0:3], 0 offen
	s_waitcnt vmcnt(4)
	buffer_store_dword v4, v9, s[0:3], 0 offen
	s_waitcnt vmcnt(4)
	buffer_store_dword v5, v9, s[0:3], 0 offen offset:4
	s_waitcnt vmcnt(4)
	buffer_store_dword v6, v9, s[0:3], 0 offen offset:8
	s_waitcnt vmcnt(4)
	buffer_store_dword v7, v9, s[0:3], 0 offen offset:12
	buffer_store_dword v3, v0, s[0:3], 0 offen offset:12
	buffer_store_dword v2, v0, s[0:3], 0 offen offset:8
	buffer_store_dword v1, v0, s[0:3], 0 offen offset:4
	s_waitcnt vmcnt(7)
	buffer_store_dword v8, v0, s[0:3], 0 offen
.LBB37_244:
	s_or_b64 exec, exec, s[4:5]
	v_pk_mov_b32 v[0:1], s[10:11], s[10:11] op_sel:[0,1]
	flat_load_dword v0, v[0:1] offset:140
	s_waitcnt vmcnt(0) lgkmcnt(0)
	v_add_u32_e32 v0, -1, v0
	v_cmp_ne_u32_e32 vcc, 35, v0
	s_and_saveexec_b64 s[4:5], vcc
	s_cbranch_execz .LBB37_246
; %bb.245:
	v_mov_b32_e32 v1, 16
	v_accvgpr_read_b32 v9, a77
	v_lshl_add_u32 v0, v0, 4, v1
	buffer_load_dword v1, v9, s[0:3], 0 offen offset:4
	buffer_load_dword v2, v9, s[0:3], 0 offen offset:8
	buffer_load_dword v3, v9, s[0:3], 0 offen offset:12
	buffer_load_dword v4, v0, s[0:3], 0 offen
	buffer_load_dword v5, v0, s[0:3], 0 offen offset:4
	buffer_load_dword v6, v0, s[0:3], 0 offen offset:8
	buffer_load_dword v7, v0, s[0:3], 0 offen offset:12
	buffer_load_dword v8, v9, s[0:3], 0 offen
	s_waitcnt vmcnt(4)
	buffer_store_dword v4, v9, s[0:3], 0 offen
	s_waitcnt vmcnt(4)
	buffer_store_dword v5, v9, s[0:3], 0 offen offset:4
	s_waitcnt vmcnt(4)
	buffer_store_dword v6, v9, s[0:3], 0 offen offset:8
	s_waitcnt vmcnt(4)
	buffer_store_dword v7, v9, s[0:3], 0 offen offset:12
	buffer_store_dword v3, v0, s[0:3], 0 offen offset:12
	buffer_store_dword v2, v0, s[0:3], 0 offen offset:8
	buffer_store_dword v1, v0, s[0:3], 0 offen offset:4
	s_waitcnt vmcnt(7)
	buffer_store_dword v8, v0, s[0:3], 0 offen
.LBB37_246:
	s_or_b64 exec, exec, s[4:5]
	;; [unrolled: 34-line block ×36, first 2 shown]
	v_pk_mov_b32 v[0:1], s[10:11], s[10:11] op_sel:[0,1]
	flat_load_dword v0, v[0:1]
	s_waitcnt vmcnt(0) lgkmcnt(0)
	v_add_u32_e32 v0, -1, v0
	v_cmp_ne_u32_e32 vcc, 0, v0
	s_and_saveexec_b64 s[4:5], vcc
	s_cbranch_execz .LBB37_316
; %bb.315:
	v_mov_b32_e32 v1, 16
	v_lshl_add_u32 v0, v0, 4, v1
	buffer_load_dword v1, v0, s[0:3], 0 offen
	buffer_load_dword v2, v0, s[0:3], 0 offen offset:4
	buffer_load_dword v3, v0, s[0:3], 0 offen offset:8
	;; [unrolled: 1-line block ×3, first 2 shown]
	buffer_load_dword v5, off, s[0:3], 0 offset:28
	buffer_load_dword v6, off, s[0:3], 0 offset:24
	;; [unrolled: 1-line block ×4, first 2 shown]
	s_waitcnt vmcnt(7)
	buffer_store_dword v1, off, s[0:3], 0 offset:16
	s_waitcnt vmcnt(7)
	buffer_store_dword v2, off, s[0:3], 0 offset:20
	;; [unrolled: 2-line block ×4, first 2 shown]
	s_waitcnt vmcnt(7)
	buffer_store_dword v5, v0, s[0:3], 0 offen offset:12
	s_waitcnt vmcnt(7)
	buffer_store_dword v6, v0, s[0:3], 0 offen offset:8
	;; [unrolled: 2-line block ×3, first 2 shown]
	s_waitcnt vmcnt(7)
	buffer_store_dword v8, v0, s[0:3], 0 offen
.LBB37_316:
	s_or_b64 exec, exec, s[4:5]
.LBB37_317:
	buffer_load_dword v0, off, s[0:3], 0 offset:16
	buffer_load_dword v1, off, s[0:3], 0 offset:20
	buffer_load_dword v2, off, s[0:3], 0 offset:24
	buffer_load_dword v3, off, s[0:3], 0 offset:28
	v_accvgpr_read_b32 v16, a110
	buffer_load_dword v5, v16, s[0:3], 0 offen offset:4
	buffer_load_dword v6, v16, s[0:3], 0 offen offset:8
	buffer_load_dword v7, v16, s[0:3], 0 offen offset:12
	v_accvgpr_read_b32 v17, a111
	buffer_load_dword v8, v17, s[0:3], 0 offen
	buffer_load_dword v9, v17, s[0:3], 0 offen offset:4
	buffer_load_dword v10, v17, s[0:3], 0 offen offset:8
	buffer_load_dword v4, v16, s[0:3], 0 offen
	buffer_load_dword v11, v17, s[0:3], 0 offen offset:12
	v_accvgpr_read_b32 v12, a109
	buffer_load_dword v13, v12, s[0:3], 0 offen offset:4
	buffer_load_dword v14, v12, s[0:3], 0 offen offset:8
	;; [unrolled: 1-line block ×3, first 2 shown]
	v_accvgpr_read_b32 v19, a108
                                        ; kill: killed $vgpr17
                                        ; kill: killed $vgpr16
	buffer_load_dword v16, v19, s[0:3], 0 offen
	buffer_load_dword v17, v19, s[0:3], 0 offen offset:4
	buffer_load_dword v18, v19, s[0:3], 0 offen offset:8
	s_nop 0
	buffer_load_dword v12, v12, s[0:3], 0 offen
	s_nop 0
	buffer_load_dword v19, v19, s[0:3], 0 offen offset:12
	v_accvgpr_read_b32 v20, a107
	buffer_load_dword v21, v20, s[0:3], 0 offen offset:4
	buffer_load_dword v22, v20, s[0:3], 0 offen offset:8
	buffer_load_dword v23, v20, s[0:3], 0 offen offset:12
	v_accvgpr_read_b32 v27, a106
	buffer_load_dword v24, v27, s[0:3], 0 offen
	buffer_load_dword v25, v27, s[0:3], 0 offen offset:4
	buffer_load_dword v26, v27, s[0:3], 0 offen offset:8
	s_nop 0
	buffer_load_dword v20, v20, s[0:3], 0 offen
	s_nop 0
	buffer_load_dword v27, v27, s[0:3], 0 offen offset:12
	v_accvgpr_read_b32 v28, a105
	buffer_load_dword v29, v28, s[0:3], 0 offen offset:4
	buffer_load_dword v30, v28, s[0:3], 0 offen offset:8
	buffer_load_dword v31, v28, s[0:3], 0 offen offset:12
	v_accvgpr_read_b32 v35, a104
	;; [unrolled: 12-line block ×16, first 2 shown]
	buffer_load_dword v146, v120, s[0:3], 0 offen
	buffer_load_dword v147, v120, s[0:3], 0 offen offset:4
	buffer_load_dword v148, v120, s[0:3], 0 offen offset:8
	s_nop 0
	buffer_load_dword v142, v142, s[0:3], 0 offen
	s_nop 0
	buffer_load_dword v149, v120, s[0:3], 0 offen offset:12
	buffer_load_dword v150, v121, s[0:3], 0 offen
	buffer_load_dword v151, v121, s[0:3], 0 offen offset:4
	buffer_load_dword v152, v121, s[0:3], 0 offen offset:8
	;; [unrolled: 1-line block ×3, first 2 shown]
	v_accvgpr_read_b32 v121, a3
	v_accvgpr_read_b32 v120, a2
	s_waitcnt vmcnt(62)
	global_store_dwordx4 v[120:121], v[0:3], off
	s_nop 0
	v_accvgpr_read_b32 v0, a4
	v_accvgpr_read_b32 v1, a5
	global_store_dwordx4 v[0:1], v[4:7], off
	v_accvgpr_read_b32 v0, a0
	v_accvgpr_read_b32 v1, a1
	global_store_dwordx4 v[0:1], v[8:11], off
	;; [unrolled: 3-line block ×20, first 2 shown]
	v_accvgpr_read_b32 v0, a44
	v_accvgpr_read_b32 v1, a45
	s_waitcnt vmcnt(62)
	global_store_dwordx4 v[0:1], v[84:87], off
	v_accvgpr_read_b32 v0, a46
	v_accvgpr_read_b32 v1, a47
	global_store_dwordx4 v[0:1], v[88:91], off
	v_accvgpr_read_b32 v0, a48
	v_accvgpr_read_b32 v1, a49
	;; [unrolled: 3-line block ×6, first 2 shown]
	s_waitcnt vmcnt(62)
	global_store_dwordx4 v[0:1], v[108:111], off
	v_accvgpr_read_b32 v0, a58
	v_accvgpr_read_b32 v1, a59
	global_store_dwordx4 v[0:1], v[112:115], off
	v_accvgpr_read_b32 v0, a60
	v_accvgpr_read_b32 v1, a61
	s_waitcnt vmcnt(58)
	global_store_dwordx4 v[0:1], v[116:119], off
	v_accvgpr_read_b32 v0, a62
	v_accvgpr_read_b32 v1, a63
	s_waitcnt vmcnt(58)
	;; [unrolled: 4-line block ×9, first 2 shown]
	global_store_dwordx4 v[0:1], v[150:153], off
	s_endpgm
	.section	.rodata,"a",@progbits
	.p2align	6, 0x0
	.amdhsa_kernel _ZN9rocsolver6v33100L18getri_kernel_smallILi38E19rocblas_complex_numIdEPS3_EEvT1_iilPiilS6_bb
		.amdhsa_group_segment_fixed_size 1224
		.amdhsa_private_segment_fixed_size 640
		.amdhsa_kernarg_size 60
		.amdhsa_user_sgpr_count 8
		.amdhsa_user_sgpr_private_segment_buffer 1
		.amdhsa_user_sgpr_dispatch_ptr 0
		.amdhsa_user_sgpr_queue_ptr 0
		.amdhsa_user_sgpr_kernarg_segment_ptr 1
		.amdhsa_user_sgpr_dispatch_id 0
		.amdhsa_user_sgpr_flat_scratch_init 1
		.amdhsa_user_sgpr_kernarg_preload_length 0
		.amdhsa_user_sgpr_kernarg_preload_offset 0
		.amdhsa_user_sgpr_private_segment_size 0
		.amdhsa_uses_dynamic_stack 0
		.amdhsa_system_sgpr_private_segment_wavefront_offset 1
		.amdhsa_system_sgpr_workgroup_id_x 1
		.amdhsa_system_sgpr_workgroup_id_y 0
		.amdhsa_system_sgpr_workgroup_id_z 0
		.amdhsa_system_sgpr_workgroup_info 0
		.amdhsa_system_vgpr_workitem_id 0
		.amdhsa_next_free_vgpr 368
		.amdhsa_next_free_sgpr 23
		.amdhsa_accum_offset 256
		.amdhsa_reserve_vcc 1
		.amdhsa_reserve_flat_scratch 1
		.amdhsa_float_round_mode_32 0
		.amdhsa_float_round_mode_16_64 0
		.amdhsa_float_denorm_mode_32 3
		.amdhsa_float_denorm_mode_16_64 3
		.amdhsa_dx10_clamp 1
		.amdhsa_ieee_mode 1
		.amdhsa_fp16_overflow 0
		.amdhsa_tg_split 0
		.amdhsa_exception_fp_ieee_invalid_op 0
		.amdhsa_exception_fp_denorm_src 0
		.amdhsa_exception_fp_ieee_div_zero 0
		.amdhsa_exception_fp_ieee_overflow 0
		.amdhsa_exception_fp_ieee_underflow 0
		.amdhsa_exception_fp_ieee_inexact 0
		.amdhsa_exception_int_div_zero 0
	.end_amdhsa_kernel
	.section	.text._ZN9rocsolver6v33100L18getri_kernel_smallILi38E19rocblas_complex_numIdEPS3_EEvT1_iilPiilS6_bb,"axG",@progbits,_ZN9rocsolver6v33100L18getri_kernel_smallILi38E19rocblas_complex_numIdEPS3_EEvT1_iilPiilS6_bb,comdat
.Lfunc_end37:
	.size	_ZN9rocsolver6v33100L18getri_kernel_smallILi38E19rocblas_complex_numIdEPS3_EEvT1_iilPiilS6_bb, .Lfunc_end37-_ZN9rocsolver6v33100L18getri_kernel_smallILi38E19rocblas_complex_numIdEPS3_EEvT1_iilPiilS6_bb
                                        ; -- End function
	.section	.AMDGPU.csdata,"",@progbits
; Kernel info:
; codeLenInByte = 97540
; NumSgprs: 29
; NumVgprs: 256
; NumAgprs: 112
; TotalNumVgprs: 368
; ScratchSize: 640
; MemoryBound: 0
; FloatMode: 240
; IeeeMode: 1
; LDSByteSize: 1224 bytes/workgroup (compile time only)
; SGPRBlocks: 3
; VGPRBlocks: 45
; NumSGPRsForWavesPerEU: 29
; NumVGPRsForWavesPerEU: 368
; AccumOffset: 256
; Occupancy: 1
; WaveLimiterHint : 1
; COMPUTE_PGM_RSRC2:SCRATCH_EN: 1
; COMPUTE_PGM_RSRC2:USER_SGPR: 8
; COMPUTE_PGM_RSRC2:TRAP_HANDLER: 0
; COMPUTE_PGM_RSRC2:TGID_X_EN: 1
; COMPUTE_PGM_RSRC2:TGID_Y_EN: 0
; COMPUTE_PGM_RSRC2:TGID_Z_EN: 0
; COMPUTE_PGM_RSRC2:TIDIG_COMP_CNT: 0
; COMPUTE_PGM_RSRC3_GFX90A:ACCUM_OFFSET: 63
; COMPUTE_PGM_RSRC3_GFX90A:TG_SPLIT: 0
	.section	.text._ZN9rocsolver6v33100L18getri_kernel_smallILi39E19rocblas_complex_numIdEPS3_EEvT1_iilPiilS6_bb,"axG",@progbits,_ZN9rocsolver6v33100L18getri_kernel_smallILi39E19rocblas_complex_numIdEPS3_EEvT1_iilPiilS6_bb,comdat
	.globl	_ZN9rocsolver6v33100L18getri_kernel_smallILi39E19rocblas_complex_numIdEPS3_EEvT1_iilPiilS6_bb ; -- Begin function _ZN9rocsolver6v33100L18getri_kernel_smallILi39E19rocblas_complex_numIdEPS3_EEvT1_iilPiilS6_bb
	.p2align	8
	.type	_ZN9rocsolver6v33100L18getri_kernel_smallILi39E19rocblas_complex_numIdEPS3_EEvT1_iilPiilS6_bb,@function
_ZN9rocsolver6v33100L18getri_kernel_smallILi39E19rocblas_complex_numIdEPS3_EEvT1_iilPiilS6_bb: ; @_ZN9rocsolver6v33100L18getri_kernel_smallILi39E19rocblas_complex_numIdEPS3_EEvT1_iilPiilS6_bb
; %bb.0:
	s_add_u32 flat_scratch_lo, s6, s9
	s_addc_u32 flat_scratch_hi, s7, 0
	s_add_u32 s0, s0, s9
	s_addc_u32 s1, s1, 0
	v_cmp_gt_u32_e32 vcc, 39, v0
	s_and_saveexec_b64 s[6:7], vcc
	s_cbranch_execz .LBB38_170
; %bb.1:
	s_load_dword s22, s[4:5], 0x38
	s_load_dwordx4 s[16:19], s[4:5], 0x10
	s_load_dwordx4 s[12:15], s[4:5], 0x28
                                        ; implicit-def: $sgpr10_sgpr11
	s_waitcnt lgkmcnt(0)
	s_bitcmp1_b32 s22, 8
	s_cselect_b64 s[20:21], -1, 0
	s_ashr_i32 s9, s8, 31
	s_bfe_u32 s6, s22, 0x10008
	s_cmp_eq_u32 s6, 0
	s_cbranch_scc1 .LBB38_3
; %bb.2:
	s_load_dword s6, s[4:5], 0x20
	s_mul_i32 s7, s8, s13
	s_mul_hi_u32 s10, s8, s12
	s_mul_i32 s11, s9, s12
	s_add_i32 s10, s10, s7
	s_add_i32 s11, s10, s11
	s_mul_i32 s10, s8, s12
	s_waitcnt lgkmcnt(0)
	s_ashr_i32 s7, s6, 31
	s_lshl_b64 s[10:11], s[10:11], 2
	s_add_u32 s10, s18, s10
	s_addc_u32 s11, s19, s11
	s_lshl_b64 s[6:7], s[6:7], 2
	s_add_u32 s10, s10, s6
	s_addc_u32 s11, s11, s7
.LBB38_3:
	s_load_dwordx4 s[4:7], s[4:5], 0x0
	s_mul_i32 s12, s8, s17
	s_mul_hi_u32 s13, s8, s16
	s_add_i32 s17, s13, s12
	v_lshlrev_b32_e32 v1, 4, v0
	s_waitcnt lgkmcnt(0)
	s_ashr_i32 s13, s6, 31
	s_mov_b32 s12, s6
	s_mul_i32 s6, s9, s16
	s_add_i32 s17, s17, s6
	s_mul_i32 s16, s8, s16
	s_lshl_b64 s[16:17], s[16:17], 4
	s_add_u32 s6, s4, s16
	s_addc_u32 s16, s5, s17
	s_lshl_b64 s[4:5], s[12:13], 4
	s_add_u32 s4, s6, s4
	s_addc_u32 s5, s16, s5
	v_mov_b32_e32 v2, s5
	v_add_co_u32_e32 v8, vcc, s4, v1
	v_addc_co_u32_e32 v9, vcc, 0, v2, vcc
	global_load_dwordx4 v[2:5], v1, s[4:5]
	s_ashr_i32 s13, s7, 31
	s_mov_b32 s12, s7
	s_lshl_b64 s[12:13], s[12:13], 4
	v_mov_b32_e32 v6, s13
	v_add_co_u32_e32 v10, vcc, s12, v8
	s_add_i32 s6, s7, s7
	v_addc_co_u32_e32 v11, vcc, v9, v6, vcc
	v_add_u32_e32 v14, s6, v0
	v_accvgpr_write_b32 a2, v10
	v_ashrrev_i32_e32 v15, 31, v14
	v_accvgpr_write_b32 a3, v11
	global_load_dwordx4 v[10:13], v[10:11], off
	v_accvgpr_write_b32 a0, v8
	v_lshlrev_b64 v[6:7], 4, v[14:15]
	v_accvgpr_write_b32 a1, v9
	v_mov_b32_e32 v8, s5
	v_add_co_u32_e32 v6, vcc, s4, v6
	v_addc_co_u32_e32 v7, vcc, v8, v7, vcc
	v_accvgpr_write_b32 a4, v6
	v_accvgpr_write_b32 a5, v7
	global_load_dwordx4 v[6:9], v[6:7], off
	v_add_u32_e32 v14, s7, v14
	v_ashrrev_i32_e32 v15, 31, v14
	v_lshlrev_b64 v[16:17], 4, v[14:15]
	v_mov_b32_e32 v15, s5
	v_add_co_u32_e32 v20, vcc, s4, v16
	v_add_u32_e32 v14, s7, v14
	v_addc_co_u32_e32 v21, vcc, v15, v17, vcc
	v_ashrrev_i32_e32 v15, 31, v14
	v_add_u32_e32 v16, s7, v14
	v_lshlrev_b64 v[14:15], 4, v[14:15]
	v_mov_b32_e32 v18, s5
	v_ashrrev_i32_e32 v17, 31, v16
	v_add_co_u32_e32 v14, vcc, s4, v14
	v_add_u32_e32 v22, s7, v16
	v_addc_co_u32_e32 v15, vcc, v18, v15, vcc
	v_lshlrev_b64 v[24:25], 4, v[16:17]
	v_mov_b32_e32 v26, s5
	v_ashrrev_i32_e32 v23, 31, v22
	v_add_co_u32_e32 v24, vcc, s4, v24
	v_add_u32_e32 v30, s7, v22
	v_addc_co_u32_e32 v25, vcc, v26, v25, vcc
	v_lshlrev_b64 v[22:23], 4, v[22:23]
	v_mov_b32_e32 v27, s5
	v_ashrrev_i32_e32 v31, 31, v30
	v_add_co_u32_e32 v22, vcc, s4, v22
	v_addc_co_u32_e32 v23, vcc, v27, v23, vcc
	v_lshlrev_b64 v[32:33], 4, v[30:31]
	v_add_u32_e32 v38, s7, v30
	v_mov_b32_e32 v31, s5
	v_add_co_u32_e32 v34, vcc, s4, v32
	v_ashrrev_i32_e32 v39, 31, v38
	v_addc_co_u32_e32 v35, vcc, v31, v33, vcc
	v_lshlrev_b64 v[30:31], 4, v[38:39]
	v_add_u32_e32 v38, s7, v38
	v_mov_b32_e32 v32, s5
	v_add_co_u32_e32 v36, vcc, s4, v30
	v_ashrrev_i32_e32 v39, 31, v38
	;; [unrolled: 6-line block ×10, first 2 shown]
	v_addc_co_u32_e32 v69, vcc, v64, v63, vcc
	v_lshlrev_b64 v[70:71], 4, v[74:75]
	v_mov_b32_e32 v72, s5
	v_add_co_u32_e32 v70, vcc, s4, v70
	v_accvgpr_write_b32 a6, v20
	v_accvgpr_write_b32 a8, v14
	;; [unrolled: 1-line block ×14, first 2 shown]
	v_addc_co_u32_e32 v71, vcc, v72, v71, vcc
	v_accvgpr_write_b32 a34, v70
	v_accvgpr_write_b32 a7, v21
	global_load_dwordx4 v[18:21], v[20:21], off
	v_accvgpr_write_b32 a9, v15
	global_load_dwordx4 v[14:17], v[14:15], off
	v_accvgpr_write_b32 a11, v25
	global_load_dwordx4 v[26:29], v[24:25], off
	global_load_dwordx4 v[30:33], v[34:35], off
	v_accvgpr_write_b32 a13, v23
	global_load_dwordx4 v[22:25], v[22:23], off
	v_accvgpr_write_b32 a15, v35
	v_accvgpr_write_b32 a17, v37
	global_load_dwordx4 v[34:37], v[36:37], off
	v_accvgpr_write_b32 a19, v43
	global_load_dwordx4 v[38:41], v[42:43], off
	;; [unrolled: 2-line block ×10, first 2 shown]
	s_waitcnt vmcnt(17)
	buffer_store_dword v5, off, s[0:3], 0 offset:28
	buffer_store_dword v4, off, s[0:3], 0 offset:24
	;; [unrolled: 1-line block ×4, first 2 shown]
	s_waitcnt vmcnt(20)
	buffer_store_dword v13, off, s[0:3], 0 offset:44
	buffer_store_dword v12, off, s[0:3], 0 offset:40
	;; [unrolled: 1-line block ×4, first 2 shown]
	s_waitcnt vmcnt(23)
	buffer_store_dword v9, off, s[0:3], 0 offset:60
	buffer_store_dword v8, off, s[0:3], 0 offset:56
	;; [unrolled: 1-line block ×3, first 2 shown]
	v_add_u32_e32 v8, s7, v74
	v_ashrrev_i32_e32 v9, 31, v8
	v_lshlrev_b64 v[2:3], 4, v[8:9]
	v_mov_b32_e32 v4, s5
	v_add_co_u32_e32 v2, vcc, s4, v2
	v_addc_co_u32_e32 v3, vcc, v4, v3, vcc
	v_accvgpr_write_b32 a37, v3
	v_accvgpr_write_b32 a36, v2
	global_load_dwordx4 v[2:5], v[2:3], off
	s_nop 0
	buffer_store_dword v6, off, s[0:3], 0 offset:48
	s_waitcnt vmcnt(27)
	buffer_store_dword v21, off, s[0:3], 0 offset:76
	buffer_store_dword v20, off, s[0:3], 0 offset:72
	buffer_store_dword v19, off, s[0:3], 0 offset:68
	buffer_store_dword v18, off, s[0:3], 0 offset:64
	s_waitcnt vmcnt(30)
	buffer_store_dword v17, off, s[0:3], 0 offset:92
	buffer_store_dword v16, off, s[0:3], 0 offset:88
	buffer_store_dword v15, off, s[0:3], 0 offset:84
	;; [unrolled: 5-line block ×4, first 2 shown]
	buffer_store_dword v22, off, s[0:3], 0 offset:112
	buffer_store_dword v33, off, s[0:3], 0 offset:140
	;; [unrolled: 1-line block ×5, first 2 shown]
	s_waitcnt vmcnt(42)
	buffer_store_dword v37, off, s[0:3], 0 offset:156
	buffer_store_dword v36, off, s[0:3], 0 offset:152
	buffer_store_dword v35, off, s[0:3], 0 offset:148
	buffer_store_dword v34, off, s[0:3], 0 offset:144
	s_waitcnt vmcnt(45)
	buffer_store_dword v38, off, s[0:3], 0 offset:160
	buffer_store_dword v39, off, s[0:3], 0 offset:164
	buffer_store_dword v40, off, s[0:3], 0 offset:168
	buffer_store_dword v41, off, s[0:3], 0 offset:172
	s_waitcnt vmcnt(48)
	buffer_store_dword v42, off, s[0:3], 0 offset:176
	buffer_store_dword v43, off, s[0:3], 0 offset:180
	buffer_store_dword v44, off, s[0:3], 0 offset:184
	buffer_store_dword v45, off, s[0:3], 0 offset:188
	s_waitcnt vmcnt(51)
	buffer_store_dword v46, off, s[0:3], 0 offset:192
	buffer_store_dword v47, off, s[0:3], 0 offset:196
	buffer_store_dword v48, off, s[0:3], 0 offset:200
	buffer_store_dword v49, off, s[0:3], 0 offset:204
	s_waitcnt vmcnt(54)
	buffer_store_dword v53, off, s[0:3], 0 offset:220
	buffer_store_dword v52, off, s[0:3], 0 offset:216
	buffer_store_dword v51, off, s[0:3], 0 offset:212
	buffer_store_dword v50, off, s[0:3], 0 offset:208
	s_waitcnt vmcnt(57)
	buffer_store_dword v57, off, s[0:3], 0 offset:236
	buffer_store_dword v56, off, s[0:3], 0 offset:232
	buffer_store_dword v55, off, s[0:3], 0 offset:228
	buffer_store_dword v54, off, s[0:3], 0 offset:224
	s_waitcnt vmcnt(60)
	buffer_store_dword v61, off, s[0:3], 0 offset:252
	buffer_store_dword v60, off, s[0:3], 0 offset:248
	buffer_store_dword v59, off, s[0:3], 0 offset:244
	buffer_store_dword v58, off, s[0:3], 0 offset:240
	s_waitcnt vmcnt(62)
	buffer_store_dword v65, off, s[0:3], 0 offset:268
	buffer_store_dword v64, off, s[0:3], 0 offset:264
	buffer_store_dword v63, off, s[0:3], 0 offset:260
	buffer_store_dword v62, off, s[0:3], 0 offset:256
	buffer_store_dword v69, off, s[0:3], 0 offset:284
	buffer_store_dword v68, off, s[0:3], 0 offset:280
	;; [unrolled: 1-line block ×4, first 2 shown]
	s_waitcnt vmcnt(62)
	buffer_store_dword v73, off, s[0:3], 0 offset:300
	buffer_store_dword v72, off, s[0:3], 0 offset:296
	;; [unrolled: 1-line block ×4, first 2 shown]
	v_add_u32_e32 v6, s7, v8
	v_ashrrev_i32_e32 v7, 31, v6
	v_lshlrev_b64 v[8:9], 4, v[6:7]
	v_add_u32_e32 v14, s7, v6
	v_mov_b32_e32 v7, s5
	v_add_co_u32_e32 v10, vcc, s4, v8
	v_ashrrev_i32_e32 v15, 31, v14
	v_addc_co_u32_e32 v11, vcc, v7, v9, vcc
	v_lshlrev_b64 v[6:7], 4, v[14:15]
	v_add_u32_e32 v14, s7, v14
	v_mov_b32_e32 v8, s5
	v_add_co_u32_e32 v12, vcc, s4, v6
	v_ashrrev_i32_e32 v15, 31, v14
	v_addc_co_u32_e32 v13, vcc, v8, v7, vcc
	global_load_dwordx4 v[6:9], v[10:11], off
	v_lshlrev_b64 v[16:17], 4, v[14:15]
	v_add_u32_e32 v22, s7, v14
	v_add_co_u32_e32 v16, vcc, s4, v16
	v_ashrrev_i32_e32 v23, 31, v22
	v_lshlrev_b64 v[14:15], 4, v[22:23]
	v_accvgpr_write_b32 a39, v11
	v_accvgpr_write_b32 a41, v13
	;; [unrolled: 1-line block ×4, first 2 shown]
	v_add_u32_e32 v22, s7, v22
	v_ashrrev_i32_e32 v23, 31, v22
	v_lshlrev_b64 v[24:25], 4, v[22:23]
	v_add_u32_e32 v30, s7, v22
	v_ashrrev_i32_e32 v31, 31, v30
	v_lshlrev_b64 v[22:23], 4, v[30:31]
	;; [unrolled: 3-line block ×3, first 2 shown]
	v_add_u32_e32 v38, s7, v30
	v_ashrrev_i32_e32 v39, 31, v38
	s_waitcnt vmcnt(62)
	buffer_store_dword v5, off, s[0:3], 0 offset:316
	v_mov_b32_e32 v5, s5
	v_addc_co_u32_e32 v17, vcc, v5, v17, vcc
	v_add_co_u32_e32 v18, vcc, s4, v14
	v_accvgpr_write_b32 a43, v17
	v_addc_co_u32_e32 v19, vcc, v5, v15, vcc
	v_accvgpr_write_b32 a42, v16
	global_load_dwordx4 v[14:17], v[16:17], off
	v_accvgpr_write_b32 a45, v19
	global_load_dwordx4 v[10:13], v[12:13], off
	;; [unrolled: 2-line block ×3, first 2 shown]
	v_add_co_u32_e32 v24, vcc, s4, v24
	v_addc_co_u32_e32 v25, vcc, v5, v25, vcc
	v_add_co_u32_e32 v26, vcc, s4, v22
	v_accvgpr_write_b32 a47, v25
	v_addc_co_u32_e32 v27, vcc, v5, v23, vcc
	v_accvgpr_write_b32 a46, v24
	global_load_dwordx4 v[22:25], v[24:25], off
	v_accvgpr_write_b32 a49, v27
	v_accvgpr_write_b32 a48, v26
	global_load_dwordx4 v[26:29], v[26:27], off
	v_add_co_u32_e32 v32, vcc, s4, v32
	v_addc_co_u32_e32 v33, vcc, v5, v33, vcc
	v_lshlrev_b64 v[30:31], 4, v[38:39]
	v_add_co_u32_e32 v34, vcc, s4, v30
	v_accvgpr_write_b32 a51, v33
	v_addc_co_u32_e32 v35, vcc, v5, v31, vcc
	v_accvgpr_write_b32 a50, v32
	global_load_dwordx4 v[30:33], v[32:33], off
	v_add_u32_e32 v38, s7, v38
	v_accvgpr_write_b32 a53, v35
	v_ashrrev_i32_e32 v39, 31, v38
	v_accvgpr_write_b32 a52, v34
	global_load_dwordx4 v[34:37], v[34:35], off
	v_lshlrev_b64 v[40:41], 4, v[38:39]
	v_add_u32_e32 v46, s7, v38
	v_add_co_u32_e32 v40, vcc, s4, v40
	v_ashrrev_i32_e32 v47, 31, v46
	v_addc_co_u32_e32 v41, vcc, v5, v41, vcc
	v_lshlrev_b64 v[38:39], 4, v[46:47]
	v_add_co_u32_e32 v42, vcc, s4, v38
	v_accvgpr_write_b32 a55, v41
	v_addc_co_u32_e32 v43, vcc, v5, v39, vcc
	v_accvgpr_write_b32 a54, v40
	global_load_dwordx4 v[38:41], v[40:41], off
	v_add_u32_e32 v46, s7, v46
	v_accvgpr_write_b32 a57, v43
	v_ashrrev_i32_e32 v47, 31, v46
	v_accvgpr_write_b32 a56, v42
	global_load_dwordx4 v[42:45], v[42:43], off
	v_lshlrev_b64 v[48:49], 4, v[46:47]
	v_add_u32_e32 v54, s7, v46
	v_add_co_u32_e32 v48, vcc, s4, v48
	v_ashrrev_i32_e32 v55, 31, v54
	;; [unrolled: 16-line block ×5, first 2 shown]
	v_addc_co_u32_e32 v73, vcc, v5, v73, vcc
	v_lshlrev_b64 v[70:71], 4, v[78:79]
	v_add_co_u32_e32 v74, vcc, s4, v70
	v_accvgpr_write_b32 a70, v72
	v_addc_co_u32_e32 v75, vcc, v5, v71, vcc
	v_accvgpr_write_b32 a71, v73
	global_load_dwordx4 v[70:73], v[72:73], off
	v_accvgpr_write_b32 a72, v74
	v_add_u32_e32 v78, s7, v78
	v_accvgpr_write_b32 a73, v75
	global_load_dwordx4 v[74:77], v[74:75], off
	v_ashrrev_i32_e32 v79, 31, v78
	v_lshlrev_b64 v[80:81], 4, v[78:79]
	v_add_co_u32_e32 v80, vcc, s4, v80
	v_add_u32_e32 v78, s7, v78
	v_addc_co_u32_e32 v81, vcc, v5, v81, vcc
	v_ashrrev_i32_e32 v79, 31, v78
	v_accvgpr_write_b32 a74, v80
	v_lshlrev_b64 v[82:83], 4, v[78:79]
	v_accvgpr_write_b32 a75, v81
	global_load_dwordx4 v[78:81], v[80:81], off
	v_add_co_u32_e32 v82, vcc, s4, v82
	v_addc_co_u32_e32 v83, vcc, v5, v83, vcc
	v_accvgpr_write_b32 a76, v82
	v_accvgpr_write_b32 a77, v83
	global_load_dwordx4 v[82:85], v[82:83], off
	s_nop 0
	buffer_store_dword v4, off, s[0:3], 0 offset:312
	buffer_store_dword v3, off, s[0:3], 0 offset:308
	;; [unrolled: 1-line block ×3, first 2 shown]
	s_waitcnt vmcnt(23)
	buffer_store_dword v9, off, s[0:3], 0 offset:332
	buffer_store_dword v8, off, s[0:3], 0 offset:328
	;; [unrolled: 1-line block ×4, first 2 shown]
	s_waitcnt vmcnt(24)
	buffer_store_dword v13, off, s[0:3], 0 offset:348
	buffer_store_dword v12, off, s[0:3], 0 offset:344
	;; [unrolled: 1-line block ×8, first 2 shown]
	s_waitcnt vmcnt(31)
	buffer_store_dword v21, off, s[0:3], 0 offset:380
	buffer_store_dword v20, off, s[0:3], 0 offset:376
	buffer_store_dword v19, off, s[0:3], 0 offset:372
	buffer_store_dword v18, off, s[0:3], 0 offset:368
	s_waitcnt vmcnt(34)
	buffer_store_dword v25, off, s[0:3], 0 offset:396
	buffer_store_dword v24, off, s[0:3], 0 offset:392
	buffer_store_dword v23, off, s[0:3], 0 offset:388
	buffer_store_dword v22, off, s[0:3], 0 offset:384
	;; [unrolled: 5-line block ×12, first 2 shown]
	buffer_store_dword v69, off, s[0:3], 0 offset:572
	buffer_store_dword v68, off, s[0:3], 0 offset:568
	;; [unrolled: 1-line block ×8, first 2 shown]
	s_waitcnt vmcnt(62)
	buffer_store_dword v77, off, s[0:3], 0 offset:604
	buffer_store_dword v76, off, s[0:3], 0 offset:600
	;; [unrolled: 1-line block ×12, first 2 shown]
	v_mov_b32_e32 v2, 16
	v_add_u32_e32 v3, 16, v2
	v_accvgpr_write_b32 a115, v3
	v_add_u32_e32 v3, 32, v2
	v_accvgpr_write_b32 a114, v3
	;; [unrolled: 2-line block ×36, first 2 shown]
	v_add_u32_e32 v3, 0x250, v2
	v_add_u32_e32 v2, 0x260, v2
	v_accvgpr_write_b32 a79, v3
	v_accvgpr_write_b32 a78, v2
	s_bitcmp0_b32 s22, 0
	s_mov_b64 s[6:7], -1
	s_cbranch_scc1 .LBB38_168
; %bb.4:
	v_cmp_eq_u32_e64 s[4:5], 0, v0
	s_and_saveexec_b64 s[6:7], s[4:5]
	s_cbranch_execz .LBB38_6
; %bb.5:
	v_mov_b32_e32 v2, 0
	ds_write_b32 v2, v2 offset:1248
.LBB38_6:
	s_or_b64 exec, exec, s[6:7]
	v_mov_b32_e32 v2, 16
	v_lshl_add_u32 v12, v0, 4, v2
	s_waitcnt lgkmcnt(0)
	; wave barrier
	s_waitcnt lgkmcnt(0)
	buffer_load_dword v2, v12, s[0:3], 0 offen
	buffer_load_dword v3, v12, s[0:3], 0 offen offset:4
	buffer_load_dword v4, v12, s[0:3], 0 offen offset:8
	;; [unrolled: 1-line block ×3, first 2 shown]
	s_waitcnt vmcnt(2)
	v_cmp_eq_f64_e32 vcc, 0, v[2:3]
	s_waitcnt vmcnt(0)
	v_cmp_eq_f64_e64 s[6:7], 0, v[4:5]
	s_and_b64 s[6:7], vcc, s[6:7]
	s_and_saveexec_b64 s[12:13], s[6:7]
	s_cbranch_execz .LBB38_10
; %bb.7:
	v_mov_b32_e32 v2, 0
	ds_read_b32 v4, v2 offset:1248
	v_add_u32_e32 v3, 1, v0
	s_waitcnt lgkmcnt(0)
	v_readfirstlane_b32 s6, v4
	s_cmp_eq_u32 s6, 0
	s_cselect_b64 s[16:17], -1, 0
	v_cmp_gt_i32_e32 vcc, s6, v3
	s_or_b64 s[16:17], s[16:17], vcc
	s_and_b64 exec, exec, s[16:17]
	s_cbranch_execz .LBB38_10
; %bb.8:
	s_mov_b64 s[16:17], 0
	v_mov_b32_e32 v4, s6
.LBB38_9:                               ; =>This Inner Loop Header: Depth=1
	ds_cmpst_rtn_b32 v4, v2, v4, v3 offset:1248
	s_waitcnt lgkmcnt(0)
	v_cmp_ne_u32_e32 vcc, 0, v4
	v_cmp_le_i32_e64 s[6:7], v4, v3
	s_and_b64 s[6:7], vcc, s[6:7]
	s_and_b64 s[6:7], exec, s[6:7]
	s_or_b64 s[16:17], s[6:7], s[16:17]
	s_andn2_b64 exec, exec, s[16:17]
	s_cbranch_execnz .LBB38_9
.LBB38_10:
	s_or_b64 exec, exec, s[12:13]
	v_mov_b32_e32 v3, 0
	s_waitcnt lgkmcnt(0)
	; wave barrier
	ds_read_b32 v2, v3 offset:1248
	s_and_saveexec_b64 s[6:7], s[4:5]
	s_cbranch_execz .LBB38_12
; %bb.11:
	s_lshl_b64 s[12:13], s[8:9], 2
	s_add_u32 s12, s14, s12
	s_addc_u32 s13, s15, s13
	s_waitcnt lgkmcnt(0)
	global_store_dword v3, v2, s[12:13]
.LBB38_12:
	s_or_b64 exec, exec, s[6:7]
	s_waitcnt lgkmcnt(0)
	v_cmp_ne_u32_e32 vcc, 0, v2
	s_mov_b64 s[6:7], 0
	s_cbranch_vccnz .LBB38_168
; %bb.13:
	buffer_load_dword v7, v12, s[0:3], 0 offen offset:4
	buffer_load_dword v6, v12, s[0:3], 0 offen
	buffer_load_dword v9, v12, s[0:3], 0 offen offset:12
	buffer_load_dword v8, v12, s[0:3], 0 offen offset:8
                                        ; implicit-def: $vgpr10_vgpr11
	s_waitcnt vmcnt(3)
	v_xor_b32_e32 v3, 0x80000000, v7
	s_waitcnt vmcnt(2)
	v_cmp_gt_f64_e32 vcc, 0, v[6:7]
	s_waitcnt vmcnt(1)
	v_xor_b32_e32 v4, 0x80000000, v9
	v_cndmask_b32_e32 v3, v7, v3, vcc
	s_waitcnt vmcnt(0)
	v_cmp_gt_f64_e32 vcc, 0, v[8:9]
	v_mov_b32_e32 v2, v6
	v_cndmask_b32_e32 v5, v9, v4, vcc
	v_mov_b32_e32 v4, v8
	v_cmp_ngt_f64_e32 vcc, v[2:3], v[4:5]
                                        ; implicit-def: $vgpr4_vgpr5
	s_and_saveexec_b64 s[6:7], vcc
	s_xor_b64 s[6:7], exec, s[6:7]
	s_cbranch_execz .LBB38_15
; %bb.14:
	v_div_scale_f64 v[2:3], s[12:13], v[8:9], v[8:9], v[6:7]
	v_rcp_f64_e32 v[4:5], v[2:3]
	v_div_scale_f64 v[10:11], vcc, v[6:7], v[8:9], v[6:7]
	v_fma_f64 v[14:15], -v[2:3], v[4:5], 1.0
	v_fmac_f64_e32 v[4:5], v[4:5], v[14:15]
	v_fma_f64 v[14:15], -v[2:3], v[4:5], 1.0
	v_fmac_f64_e32 v[4:5], v[4:5], v[14:15]
	v_mul_f64 v[14:15], v[10:11], v[4:5]
	v_fma_f64 v[2:3], -v[2:3], v[14:15], v[10:11]
	v_div_fmas_f64 v[2:3], v[2:3], v[4:5], v[14:15]
	v_div_fixup_f64 v[2:3], v[2:3], v[8:9], v[6:7]
	v_fmac_f64_e32 v[8:9], v[6:7], v[2:3]
	v_div_scale_f64 v[4:5], s[12:13], v[8:9], v[8:9], 1.0
	v_rcp_f64_e32 v[6:7], v[4:5]
	v_fma_f64 v[10:11], -v[4:5], v[6:7], 1.0
	v_fmac_f64_e32 v[6:7], v[6:7], v[10:11]
	v_fma_f64 v[10:11], -v[4:5], v[6:7], 1.0
	v_fmac_f64_e32 v[6:7], v[6:7], v[10:11]
	v_div_scale_f64 v[10:11], vcc, 1.0, v[8:9], 1.0
	v_mul_f64 v[14:15], v[10:11], v[6:7]
	v_fma_f64 v[4:5], -v[4:5], v[14:15], v[10:11]
	s_nop 1
	v_div_fmas_f64 v[4:5], v[4:5], v[6:7], v[14:15]
	v_div_fixup_f64 v[4:5], v[4:5], v[8:9], 1.0
	v_mul_f64 v[10:11], v[2:3], v[4:5]
	v_xor_b32_e32 v5, 0x80000000, v5
	v_xor_b32_e32 v3, 0x80000000, v11
	v_mov_b32_e32 v2, v10
                                        ; implicit-def: $vgpr6_vgpr7
                                        ; implicit-def: $vgpr8_vgpr9
.LBB38_15:
	s_andn2_saveexec_b64 s[6:7], s[6:7]
	s_cbranch_execz .LBB38_17
; %bb.16:
	v_div_scale_f64 v[2:3], s[12:13], v[6:7], v[6:7], v[8:9]
	v_rcp_f64_e32 v[4:5], v[2:3]
	v_div_scale_f64 v[10:11], vcc, v[8:9], v[6:7], v[8:9]
	v_fma_f64 v[14:15], -v[2:3], v[4:5], 1.0
	v_fmac_f64_e32 v[4:5], v[4:5], v[14:15]
	v_fma_f64 v[14:15], -v[2:3], v[4:5], 1.0
	v_fmac_f64_e32 v[4:5], v[4:5], v[14:15]
	v_mul_f64 v[14:15], v[10:11], v[4:5]
	v_fma_f64 v[2:3], -v[2:3], v[14:15], v[10:11]
	v_div_fmas_f64 v[2:3], v[2:3], v[4:5], v[14:15]
	v_div_fixup_f64 v[4:5], v[2:3], v[6:7], v[8:9]
	v_fmac_f64_e32 v[6:7], v[8:9], v[4:5]
	v_div_scale_f64 v[2:3], s[12:13], v[6:7], v[6:7], 1.0
	v_rcp_f64_e32 v[8:9], v[2:3]
	v_fma_f64 v[10:11], -v[2:3], v[8:9], 1.0
	v_fmac_f64_e32 v[8:9], v[8:9], v[10:11]
	v_fma_f64 v[10:11], -v[2:3], v[8:9], 1.0
	v_fmac_f64_e32 v[8:9], v[8:9], v[10:11]
	v_div_scale_f64 v[10:11], vcc, 1.0, v[6:7], 1.0
	v_mul_f64 v[14:15], v[10:11], v[8:9]
	v_fma_f64 v[2:3], -v[2:3], v[14:15], v[10:11]
	s_nop 1
	v_div_fmas_f64 v[2:3], v[2:3], v[8:9], v[14:15]
	v_div_fixup_f64 v[10:11], v[2:3], v[6:7], 1.0
	v_xor_b32_e32 v3, 0x80000000, v11
	v_mov_b32_e32 v2, v10
	v_mul_f64 v[4:5], v[4:5], -v[10:11]
.LBB38_17:
	s_or_b64 exec, exec, s[6:7]
	buffer_store_dword v11, v12, s[0:3], 0 offen offset:4
	buffer_store_dword v10, v12, s[0:3], 0 offen
	buffer_store_dword v5, v12, s[0:3], 0 offen offset:12
	buffer_store_dword v4, v12, s[0:3], 0 offen offset:8
	v_accvgpr_read_b32 v6, a115
	buffer_load_dword v11, v6, s[0:3], 0 offen offset:12
	buffer_load_dword v10, v6, s[0:3], 0 offen offset:8
	;; [unrolled: 1-line block ×3, first 2 shown]
	buffer_load_dword v8, v6, s[0:3], 0 offen
	v_xor_b32_e32 v5, 0x80000000, v5
	v_add_u32_e32 v6, 0x270, v1
	ds_write_b128 v1, v[2:5]
	s_waitcnt vmcnt(0)
	ds_write_b128 v1, v[8:11] offset:624
	s_waitcnt lgkmcnt(0)
	; wave barrier
	s_waitcnt lgkmcnt(0)
	s_and_saveexec_b64 s[6:7], s[4:5]
	s_cbranch_execz .LBB38_19
; %bb.18:
	buffer_load_dword v14, v12, s[0:3], 0 offen offset:8
	buffer_load_dword v15, v12, s[0:3], 0 offen offset:12
	buffer_load_dword v16, v12, s[0:3], 0 offen
	buffer_load_dword v17, v12, s[0:3], 0 offen offset:4
	ds_read_b128 v[2:5], v6
	v_mov_b32_e32 v7, 0
	ds_read_b128 v[8:11], v7 offset:16
	s_waitcnt vmcnt(2) lgkmcnt(1)
	v_mul_f64 v[18:19], v[4:5], v[14:15]
	v_mul_f64 v[14:15], v[2:3], v[14:15]
	s_waitcnt vmcnt(0)
	v_fmac_f64_e32 v[14:15], v[4:5], v[16:17]
	v_fma_f64 v[2:3], v[2:3], v[16:17], -v[18:19]
	v_add_f64 v[4:5], v[14:15], 0
	v_add_f64 v[2:3], v[2:3], 0
	s_waitcnt lgkmcnt(0)
	v_mul_f64 v[14:15], v[4:5], v[10:11]
	v_mul_f64 v[10:11], v[2:3], v[10:11]
	v_fma_f64 v[2:3], v[2:3], v[8:9], -v[14:15]
	v_fmac_f64_e32 v[10:11], v[4:5], v[8:9]
	buffer_store_dword v2, off, s[0:3], 0 offset:32
	buffer_store_dword v3, off, s[0:3], 0 offset:36
	buffer_store_dword v10, off, s[0:3], 0 offset:40
	buffer_store_dword v11, off, s[0:3], 0 offset:44
.LBB38_19:
	s_or_b64 exec, exec, s[6:7]
	v_accvgpr_read_b32 v5, a114
	s_waitcnt lgkmcnt(0)
	; wave barrier
	buffer_load_dword v2, v5, s[0:3], 0 offen
	buffer_load_dword v3, v5, s[0:3], 0 offen offset:4
	buffer_load_dword v4, v5, s[0:3], 0 offen offset:8
	s_nop 0
	buffer_load_dword v5, v5, s[0:3], 0 offen offset:12
	v_cmp_gt_u32_e32 vcc, 2, v0
	s_waitcnt vmcnt(0)
	ds_write_b128 v6, v[2:5]
	s_waitcnt lgkmcnt(0)
	; wave barrier
	s_waitcnt lgkmcnt(0)
	s_and_saveexec_b64 s[6:7], vcc
	s_cbranch_execz .LBB38_23
; %bb.20:
	buffer_load_dword v8, v12, s[0:3], 0 offen offset:8
	buffer_load_dword v9, v12, s[0:3], 0 offen offset:12
	buffer_load_dword v10, v12, s[0:3], 0 offen
	buffer_load_dword v11, v12, s[0:3], 0 offen offset:4
	ds_read_b128 v[2:5], v6
	s_waitcnt vmcnt(2) lgkmcnt(0)
	v_mul_f64 v[12:13], v[4:5], v[8:9]
	v_mul_f64 v[8:9], v[2:3], v[8:9]
	s_waitcnt vmcnt(0)
	v_fma_f64 v[2:3], v[2:3], v[10:11], -v[12:13]
	v_fmac_f64_e32 v[8:9], v[4:5], v[10:11]
	v_add_f64 v[4:5], v[2:3], 0
	v_add_f64 v[2:3], v[8:9], 0
	s_and_saveexec_b64 s[12:13], s[4:5]
	s_cbranch_execz .LBB38_22
; %bb.21:
	buffer_load_dword v12, off, s[0:3], 0 offset:40
	buffer_load_dword v13, off, s[0:3], 0 offset:44
	;; [unrolled: 1-line block ×4, first 2 shown]
	v_mov_b32_e32 v7, 0
	ds_read_b128 v[8:11], v7 offset:640
	s_waitcnt vmcnt(2) lgkmcnt(0)
	v_mul_f64 v[16:17], v[8:9], v[12:13]
	v_mul_f64 v[12:13], v[10:11], v[12:13]
	s_waitcnt vmcnt(0)
	v_fmac_f64_e32 v[16:17], v[10:11], v[14:15]
	v_fma_f64 v[8:9], v[8:9], v[14:15], -v[12:13]
	v_add_f64 v[2:3], v[2:3], v[16:17]
	v_add_f64 v[4:5], v[4:5], v[8:9]
.LBB38_22:
	s_or_b64 exec, exec, s[12:13]
	v_mov_b32_e32 v7, 0
	ds_read_b128 v[8:11], v7 offset:32
	s_waitcnt lgkmcnt(0)
	v_mul_f64 v[12:13], v[2:3], v[10:11]
	v_mul_f64 v[10:11], v[4:5], v[10:11]
	v_fma_f64 v[4:5], v[4:5], v[8:9], -v[12:13]
	v_fmac_f64_e32 v[10:11], v[2:3], v[8:9]
	buffer_store_dword v5, off, s[0:3], 0 offset:52
	buffer_store_dword v4, off, s[0:3], 0 offset:48
	;; [unrolled: 1-line block ×4, first 2 shown]
.LBB38_23:
	s_or_b64 exec, exec, s[6:7]
	v_accvgpr_read_b32 v5, a113
	s_waitcnt lgkmcnt(0)
	; wave barrier
	buffer_load_dword v2, v5, s[0:3], 0 offen
	buffer_load_dword v3, v5, s[0:3], 0 offen offset:4
	buffer_load_dword v4, v5, s[0:3], 0 offen offset:8
	s_nop 0
	buffer_load_dword v5, v5, s[0:3], 0 offen offset:12
	v_cmp_gt_u32_e32 vcc, 3, v0
	v_add_u32_e32 v7, -1, v0
	s_waitcnt vmcnt(0)
	ds_write_b128 v6, v[2:5]
	s_waitcnt lgkmcnt(0)
	; wave barrier
	s_waitcnt lgkmcnt(0)
	s_and_saveexec_b64 s[4:5], vcc
	s_cbranch_execz .LBB38_27
; %bb.24:
	v_pk_mov_b32 v[2:3], 0, 0
	v_add_u32_e32 v8, -1, v0
	v_add_u32_e32 v9, 0x270, v1
	v_add_u32_e32 v10, 16, v1
	s_mov_b64 s[6:7], 0
	v_pk_mov_b32 v[4:5], v[2:3], v[2:3] op_sel:[0,1]
.LBB38_25:                              ; =>This Inner Loop Header: Depth=1
	buffer_load_dword v16, v10, s[0:3], 0 offen offset:8
	buffer_load_dword v17, v10, s[0:3], 0 offen offset:12
	buffer_load_dword v18, v10, s[0:3], 0 offen
	buffer_load_dword v19, v10, s[0:3], 0 offen offset:4
	ds_read_b128 v[12:15], v9
	v_add_u32_e32 v8, 1, v8
	v_cmp_lt_u32_e32 vcc, 1, v8
	v_add_u32_e32 v9, 16, v9
	v_add_u32_e32 v10, 16, v10
	s_or_b64 s[6:7], vcc, s[6:7]
	s_waitcnt vmcnt(2) lgkmcnt(0)
	v_mul_f64 v[20:21], v[14:15], v[16:17]
	v_mul_f64 v[16:17], v[12:13], v[16:17]
	s_waitcnt vmcnt(0)
	v_fma_f64 v[12:13], v[12:13], v[18:19], -v[20:21]
	v_fmac_f64_e32 v[16:17], v[14:15], v[18:19]
	v_add_f64 v[4:5], v[4:5], v[12:13]
	v_add_f64 v[2:3], v[2:3], v[16:17]
	s_andn2_b64 exec, exec, s[6:7]
	s_cbranch_execnz .LBB38_25
; %bb.26:
	s_or_b64 exec, exec, s[6:7]
	v_mov_b32_e32 v8, 0
	ds_read_b128 v[8:11], v8 offset:48
	s_waitcnt lgkmcnt(0)
	v_mul_f64 v[12:13], v[2:3], v[10:11]
	v_mul_f64 v[10:11], v[4:5], v[10:11]
	v_fma_f64 v[4:5], v[4:5], v[8:9], -v[12:13]
	v_fmac_f64_e32 v[10:11], v[2:3], v[8:9]
	buffer_store_dword v5, off, s[0:3], 0 offset:68
	buffer_store_dword v4, off, s[0:3], 0 offset:64
	buffer_store_dword v11, off, s[0:3], 0 offset:76
	buffer_store_dword v10, off, s[0:3], 0 offset:72
.LBB38_27:
	s_or_b64 exec, exec, s[4:5]
	v_accvgpr_read_b32 v5, a112
	s_waitcnt lgkmcnt(0)
	; wave barrier
	buffer_load_dword v2, v5, s[0:3], 0 offen
	buffer_load_dword v3, v5, s[0:3], 0 offen offset:4
	buffer_load_dword v4, v5, s[0:3], 0 offen offset:8
	s_nop 0
	buffer_load_dword v5, v5, s[0:3], 0 offen offset:12
	v_cmp_gt_u32_e32 vcc, 4, v0
	s_waitcnt vmcnt(0)
	ds_write_b128 v6, v[2:5]
	s_waitcnt lgkmcnt(0)
	; wave barrier
	s_waitcnt lgkmcnt(0)
	s_and_saveexec_b64 s[4:5], vcc
	s_cbranch_execz .LBB38_31
; %bb.28:
	v_pk_mov_b32 v[2:3], 0, 0
	v_add_u32_e32 v8, -1, v0
	v_add_u32_e32 v9, 0x270, v1
	v_add_u32_e32 v10, 16, v1
	s_mov_b64 s[6:7], 0
	v_pk_mov_b32 v[4:5], v[2:3], v[2:3] op_sel:[0,1]
.LBB38_29:                              ; =>This Inner Loop Header: Depth=1
	buffer_load_dword v16, v10, s[0:3], 0 offen offset:8
	buffer_load_dword v17, v10, s[0:3], 0 offen offset:12
	buffer_load_dword v18, v10, s[0:3], 0 offen
	buffer_load_dword v19, v10, s[0:3], 0 offen offset:4
	ds_read_b128 v[12:15], v9
	v_add_u32_e32 v8, 1, v8
	v_cmp_lt_u32_e32 vcc, 2, v8
	v_add_u32_e32 v9, 16, v9
	v_add_u32_e32 v10, 16, v10
	s_or_b64 s[6:7], vcc, s[6:7]
	s_waitcnt vmcnt(2) lgkmcnt(0)
	v_mul_f64 v[20:21], v[14:15], v[16:17]
	v_mul_f64 v[16:17], v[12:13], v[16:17]
	s_waitcnt vmcnt(0)
	v_fma_f64 v[12:13], v[12:13], v[18:19], -v[20:21]
	v_fmac_f64_e32 v[16:17], v[14:15], v[18:19]
	v_add_f64 v[4:5], v[4:5], v[12:13]
	v_add_f64 v[2:3], v[2:3], v[16:17]
	s_andn2_b64 exec, exec, s[6:7]
	s_cbranch_execnz .LBB38_29
; %bb.30:
	s_or_b64 exec, exec, s[6:7]
	v_mov_b32_e32 v8, 0
	ds_read_b128 v[8:11], v8 offset:64
	s_waitcnt lgkmcnt(0)
	v_mul_f64 v[12:13], v[2:3], v[10:11]
	v_mul_f64 v[10:11], v[4:5], v[10:11]
	v_fma_f64 v[4:5], v[4:5], v[8:9], -v[12:13]
	v_fmac_f64_e32 v[10:11], v[2:3], v[8:9]
	buffer_store_dword v5, off, s[0:3], 0 offset:84
	buffer_store_dword v4, off, s[0:3], 0 offset:80
	buffer_store_dword v11, off, s[0:3], 0 offset:92
	buffer_store_dword v10, off, s[0:3], 0 offset:88
.LBB38_31:
	s_or_b64 exec, exec, s[4:5]
	v_accvgpr_read_b32 v5, a111
	s_waitcnt lgkmcnt(0)
	; wave barrier
	buffer_load_dword v2, v5, s[0:3], 0 offen
	buffer_load_dword v3, v5, s[0:3], 0 offen offset:4
	buffer_load_dword v4, v5, s[0:3], 0 offen offset:8
	s_nop 0
	buffer_load_dword v5, v5, s[0:3], 0 offen offset:12
	v_cmp_gt_u32_e32 vcc, 5, v0
	;; [unrolled: 59-line block ×19, first 2 shown]
	s_waitcnt vmcnt(0)
	ds_write_b128 v6, v[2:5]
	s_waitcnt lgkmcnt(0)
	; wave barrier
	s_waitcnt lgkmcnt(0)
	s_and_saveexec_b64 s[4:5], vcc
	s_cbranch_execz .LBB38_103
; %bb.100:
	v_pk_mov_b32 v[2:3], 0, 0
	v_add_u32_e32 v8, -1, v0
	v_add_u32_e32 v9, 0x270, v1
	v_add_u32_e32 v10, 16, v1
	s_mov_b64 s[6:7], 0
	v_pk_mov_b32 v[4:5], v[2:3], v[2:3] op_sel:[0,1]
.LBB38_101:                             ; =>This Inner Loop Header: Depth=1
	buffer_load_dword v16, v10, s[0:3], 0 offen offset:8
	buffer_load_dword v17, v10, s[0:3], 0 offen offset:12
	buffer_load_dword v18, v10, s[0:3], 0 offen
	buffer_load_dword v19, v10, s[0:3], 0 offen offset:4
	ds_read_b128 v[12:15], v9
	v_add_u32_e32 v8, 1, v8
	v_cmp_lt_u32_e32 vcc, 20, v8
	v_add_u32_e32 v9, 16, v9
	v_add_u32_e32 v10, 16, v10
	s_or_b64 s[6:7], vcc, s[6:7]
	s_waitcnt vmcnt(2) lgkmcnt(0)
	v_mul_f64 v[20:21], v[14:15], v[16:17]
	v_mul_f64 v[16:17], v[12:13], v[16:17]
	s_waitcnt vmcnt(0)
	v_fma_f64 v[12:13], v[12:13], v[18:19], -v[20:21]
	v_fmac_f64_e32 v[16:17], v[14:15], v[18:19]
	v_add_f64 v[4:5], v[4:5], v[12:13]
	v_add_f64 v[2:3], v[2:3], v[16:17]
	s_andn2_b64 exec, exec, s[6:7]
	s_cbranch_execnz .LBB38_101
; %bb.102:
	s_or_b64 exec, exec, s[6:7]
	v_mov_b32_e32 v8, 0
	ds_read_b128 v[8:11], v8 offset:352
	s_waitcnt lgkmcnt(0)
	v_mul_f64 v[12:13], v[2:3], v[10:11]
	v_mul_f64 v[10:11], v[4:5], v[10:11]
	v_fma_f64 v[4:5], v[4:5], v[8:9], -v[12:13]
	v_fmac_f64_e32 v[10:11], v[2:3], v[8:9]
	buffer_store_dword v5, off, s[0:3], 0 offset:372
	buffer_store_dword v4, off, s[0:3], 0 offset:368
	buffer_store_dword v11, off, s[0:3], 0 offset:380
	buffer_store_dword v10, off, s[0:3], 0 offset:376
.LBB38_103:
	s_or_b64 exec, exec, s[4:5]
	v_accvgpr_read_b32 v5, a93
	s_waitcnt lgkmcnt(0)
	; wave barrier
	buffer_load_dword v2, v5, s[0:3], 0 offen
	buffer_load_dword v3, v5, s[0:3], 0 offen offset:4
	buffer_load_dword v4, v5, s[0:3], 0 offen offset:8
	s_nop 0
	buffer_load_dword v5, v5, s[0:3], 0 offen offset:12
	v_cmp_gt_u32_e32 vcc, 23, v0
	s_waitcnt vmcnt(0)
	ds_write_b128 v6, v[2:5]
	s_waitcnt lgkmcnt(0)
	; wave barrier
	s_waitcnt lgkmcnt(0)
	s_and_saveexec_b64 s[4:5], vcc
	s_cbranch_execz .LBB38_107
; %bb.104:
	v_pk_mov_b32 v[2:3], 0, 0
	v_add_u32_e32 v8, -1, v0
	v_add_u32_e32 v9, 0x270, v1
	v_add_u32_e32 v10, 16, v1
	s_mov_b64 s[6:7], 0
	v_pk_mov_b32 v[4:5], v[2:3], v[2:3] op_sel:[0,1]
.LBB38_105:                             ; =>This Inner Loop Header: Depth=1
	buffer_load_dword v16, v10, s[0:3], 0 offen offset:8
	buffer_load_dword v17, v10, s[0:3], 0 offen offset:12
	buffer_load_dword v18, v10, s[0:3], 0 offen
	buffer_load_dword v19, v10, s[0:3], 0 offen offset:4
	ds_read_b128 v[12:15], v9
	v_add_u32_e32 v8, 1, v8
	v_cmp_lt_u32_e32 vcc, 21, v8
	v_add_u32_e32 v9, 16, v9
	v_add_u32_e32 v10, 16, v10
	s_or_b64 s[6:7], vcc, s[6:7]
	s_waitcnt vmcnt(2) lgkmcnt(0)
	v_mul_f64 v[20:21], v[14:15], v[16:17]
	v_mul_f64 v[16:17], v[12:13], v[16:17]
	s_waitcnt vmcnt(0)
	v_fma_f64 v[12:13], v[12:13], v[18:19], -v[20:21]
	v_fmac_f64_e32 v[16:17], v[14:15], v[18:19]
	v_add_f64 v[4:5], v[4:5], v[12:13]
	v_add_f64 v[2:3], v[2:3], v[16:17]
	s_andn2_b64 exec, exec, s[6:7]
	s_cbranch_execnz .LBB38_105
; %bb.106:
	s_or_b64 exec, exec, s[6:7]
	v_mov_b32_e32 v8, 0
	ds_read_b128 v[8:11], v8 offset:368
	s_waitcnt lgkmcnt(0)
	v_mul_f64 v[12:13], v[2:3], v[10:11]
	v_mul_f64 v[10:11], v[4:5], v[10:11]
	v_fma_f64 v[4:5], v[4:5], v[8:9], -v[12:13]
	v_fmac_f64_e32 v[10:11], v[2:3], v[8:9]
	buffer_store_dword v5, off, s[0:3], 0 offset:388
	buffer_store_dword v4, off, s[0:3], 0 offset:384
	buffer_store_dword v11, off, s[0:3], 0 offset:396
	buffer_store_dword v10, off, s[0:3], 0 offset:392
.LBB38_107:
	s_or_b64 exec, exec, s[4:5]
	v_accvgpr_read_b32 v5, a92
	s_waitcnt lgkmcnt(0)
	; wave barrier
	buffer_load_dword v2, v5, s[0:3], 0 offen
	buffer_load_dword v3, v5, s[0:3], 0 offen offset:4
	buffer_load_dword v4, v5, s[0:3], 0 offen offset:8
	s_nop 0
	buffer_load_dword v5, v5, s[0:3], 0 offen offset:12
	v_cmp_gt_u32_e32 vcc, 24, v0
	;; [unrolled: 59-line block ×15, first 2 shown]
	s_waitcnt vmcnt(0)
	ds_write_b128 v6, v[2:5]
	s_waitcnt lgkmcnt(0)
	; wave barrier
	s_waitcnt lgkmcnt(0)
	s_and_saveexec_b64 s[4:5], vcc
	s_cbranch_execz .LBB38_163
; %bb.160:
	v_pk_mov_b32 v[2:3], 0, 0
	v_add_u32_e32 v8, -1, v0
	v_add_u32_e32 v9, 0x270, v1
	v_add_u32_e32 v10, 16, v1
	s_mov_b64 s[6:7], 0
	v_pk_mov_b32 v[4:5], v[2:3], v[2:3] op_sel:[0,1]
.LBB38_161:                             ; =>This Inner Loop Header: Depth=1
	buffer_load_dword v16, v10, s[0:3], 0 offen offset:8
	buffer_load_dword v17, v10, s[0:3], 0 offen offset:12
	buffer_load_dword v18, v10, s[0:3], 0 offen
	buffer_load_dword v19, v10, s[0:3], 0 offen offset:4
	ds_read_b128 v[12:15], v9
	v_add_u32_e32 v8, 1, v8
	v_cmp_lt_u32_e32 vcc, 35, v8
	v_add_u32_e32 v9, 16, v9
	v_add_u32_e32 v10, 16, v10
	s_or_b64 s[6:7], vcc, s[6:7]
	s_waitcnt vmcnt(2) lgkmcnt(0)
	v_mul_f64 v[20:21], v[14:15], v[16:17]
	v_mul_f64 v[16:17], v[12:13], v[16:17]
	s_waitcnt vmcnt(0)
	v_fma_f64 v[12:13], v[12:13], v[18:19], -v[20:21]
	v_fmac_f64_e32 v[16:17], v[14:15], v[18:19]
	v_add_f64 v[4:5], v[4:5], v[12:13]
	v_add_f64 v[2:3], v[2:3], v[16:17]
	s_andn2_b64 exec, exec, s[6:7]
	s_cbranch_execnz .LBB38_161
; %bb.162:
	s_or_b64 exec, exec, s[6:7]
	v_mov_b32_e32 v8, 0
	ds_read_b128 v[8:11], v8 offset:592
	s_waitcnt lgkmcnt(0)
	v_mul_f64 v[12:13], v[2:3], v[10:11]
	v_mul_f64 v[10:11], v[4:5], v[10:11]
	v_fma_f64 v[4:5], v[4:5], v[8:9], -v[12:13]
	v_fmac_f64_e32 v[10:11], v[2:3], v[8:9]
	buffer_store_dword v5, off, s[0:3], 0 offset:612
	buffer_store_dword v4, off, s[0:3], 0 offset:608
	;; [unrolled: 1-line block ×4, first 2 shown]
.LBB38_163:
	s_or_b64 exec, exec, s[4:5]
	v_accvgpr_read_b32 v5, a78
	s_waitcnt lgkmcnt(0)
	; wave barrier
	buffer_load_dword v2, v5, s[0:3], 0 offen
	buffer_load_dword v3, v5, s[0:3], 0 offen offset:4
	buffer_load_dword v4, v5, s[0:3], 0 offen offset:8
	s_nop 0
	buffer_load_dword v5, v5, s[0:3], 0 offen offset:12
	v_cmp_ne_u32_e32 vcc, 38, v0
	s_waitcnt vmcnt(0)
	ds_write_b128 v6, v[2:5]
	s_waitcnt lgkmcnt(0)
	; wave barrier
	s_waitcnt lgkmcnt(0)
	s_and_saveexec_b64 s[4:5], vcc
	s_cbranch_execz .LBB38_167
; %bb.164:
	v_pk_mov_b32 v[2:3], 0, 0
	v_add_u32_e32 v6, 0x270, v1
	v_add_u32_e32 v1, 16, v1
	s_mov_b64 s[6:7], 0
	v_pk_mov_b32 v[4:5], v[2:3], v[2:3] op_sel:[0,1]
.LBB38_165:                             ; =>This Inner Loop Header: Depth=1
	buffer_load_dword v12, v1, s[0:3], 0 offen offset:8
	buffer_load_dword v13, v1, s[0:3], 0 offen offset:12
	buffer_load_dword v14, v1, s[0:3], 0 offen
	buffer_load_dword v15, v1, s[0:3], 0 offen offset:4
	ds_read_b128 v[8:11], v6
	v_add_u32_e32 v7, 1, v7
	v_cmp_lt_u32_e32 vcc, 36, v7
	v_add_u32_e32 v6, 16, v6
	v_add_u32_e32 v1, 16, v1
	s_or_b64 s[6:7], vcc, s[6:7]
	s_waitcnt vmcnt(2) lgkmcnt(0)
	v_mul_f64 v[16:17], v[10:11], v[12:13]
	v_mul_f64 v[12:13], v[8:9], v[12:13]
	s_waitcnt vmcnt(0)
	v_fma_f64 v[8:9], v[8:9], v[14:15], -v[16:17]
	v_fmac_f64_e32 v[12:13], v[10:11], v[14:15]
	v_add_f64 v[4:5], v[4:5], v[8:9]
	v_add_f64 v[2:3], v[2:3], v[12:13]
	s_andn2_b64 exec, exec, s[6:7]
	s_cbranch_execnz .LBB38_165
; %bb.166:
	s_or_b64 exec, exec, s[6:7]
	v_mov_b32_e32 v1, 0
	ds_read_b128 v[6:9], v1 offset:608
	s_waitcnt lgkmcnt(0)
	v_mul_f64 v[10:11], v[2:3], v[8:9]
	v_mul_f64 v[8:9], v[4:5], v[8:9]
	v_fma_f64 v[4:5], v[4:5], v[6:7], -v[10:11]
	v_fmac_f64_e32 v[8:9], v[2:3], v[6:7]
	buffer_store_dword v5, off, s[0:3], 0 offset:628
	buffer_store_dword v4, off, s[0:3], 0 offset:624
	buffer_store_dword v9, off, s[0:3], 0 offset:636
	buffer_store_dword v8, off, s[0:3], 0 offset:632
.LBB38_167:
	s_or_b64 exec, exec, s[4:5]
	s_mov_b64 s[6:7], -1
	s_waitcnt lgkmcnt(0)
	; wave barrier
.LBB38_168:
	s_and_b64 vcc, exec, s[6:7]
	s_cbranch_vccz .LBB38_170
; %bb.169:
	s_lshl_b64 s[4:5], s[8:9], 2
	s_add_u32 s4, s14, s4
	s_addc_u32 s5, s15, s5
	v_mov_b32_e32 v1, 0
	global_load_dword v1, v1, s[4:5]
	s_waitcnt vmcnt(0)
	v_cmp_ne_u32_e32 vcc, 0, v1
	s_cbranch_vccz .LBB38_171
.LBB38_170:
	s_endpgm
.LBB38_171:
	v_mov_b32_e32 v1, 0x270
	v_lshl_add_u32 v1, v0, 4, v1
	v_accvgpr_write_b32 a116, v1
	v_cmp_eq_u32_e32 vcc, 38, v0
	s_and_saveexec_b64 s[4:5], vcc
	s_cbranch_execz .LBB38_173
; %bb.172:
	v_accvgpr_read_b32 v1, a79
	buffer_load_dword v2, v1, s[0:3], 0 offen
	buffer_load_dword v3, v1, s[0:3], 0 offen offset:4
	buffer_load_dword v4, v1, s[0:3], 0 offen offset:8
	;; [unrolled: 1-line block ×3, first 2 shown]
	v_mov_b32_e32 v1, 0
	v_accvgpr_read_b32 v6, a116
	buffer_store_dword v1, off, s[0:3], 0 offset:608
	buffer_store_dword v1, off, s[0:3], 0 offset:612
	;; [unrolled: 1-line block ×4, first 2 shown]
	s_waitcnt vmcnt(4)
	ds_write_b128 v6, v[2:5]
.LBB38_173:
	s_or_b64 exec, exec, s[4:5]
	s_waitcnt lgkmcnt(0)
	; wave barrier
	s_waitcnt lgkmcnt(0)
	buffer_load_dword v6, off, s[0:3], 0 offset:632
	buffer_load_dword v7, off, s[0:3], 0 offset:636
	;; [unrolled: 1-line block ×8, first 2 shown]
	v_mov_b32_e32 v1, 0
	ds_read_b128 v[2:5], v1 offset:1232
	v_cmp_lt_u32_e32 vcc, 36, v0
	s_waitcnt vmcnt(6) lgkmcnt(0)
	v_mul_f64 v[14:15], v[2:3], v[6:7]
	v_mul_f64 v[6:7], v[4:5], v[6:7]
	s_waitcnt vmcnt(4)
	v_fma_f64 v[2:3], v[2:3], v[8:9], -v[6:7]
	v_fmac_f64_e32 v[14:15], v[4:5], v[8:9]
	v_add_f64 v[2:3], v[2:3], 0
	v_add_f64 v[4:5], v[14:15], 0
	s_waitcnt vmcnt(2)
	v_add_f64 v[2:3], v[10:11], -v[2:3]
	s_waitcnt vmcnt(0)
	v_add_f64 v[4:5], v[12:13], -v[4:5]
	buffer_store_dword v2, off, s[0:3], 0 offset:608
	buffer_store_dword v3, off, s[0:3], 0 offset:612
	;; [unrolled: 1-line block ×4, first 2 shown]
	s_and_saveexec_b64 s[4:5], vcc
	s_cbranch_execz .LBB38_175
; %bb.174:
	v_accvgpr_read_b32 v5, a80
	buffer_load_dword v2, v5, s[0:3], 0 offen
	buffer_load_dword v3, v5, s[0:3], 0 offen offset:4
	buffer_load_dword v4, v5, s[0:3], 0 offen offset:8
	s_nop 0
	buffer_load_dword v5, v5, s[0:3], 0 offen offset:12
	v_accvgpr_read_b32 v6, a116
	buffer_store_dword v1, off, s[0:3], 0 offset:592
	buffer_store_dword v1, off, s[0:3], 0 offset:596
	;; [unrolled: 1-line block ×4, first 2 shown]
	s_waitcnt vmcnt(4)
	ds_write_b128 v6, v[2:5]
.LBB38_175:
	s_or_b64 exec, exec, s[4:5]
	s_waitcnt lgkmcnt(0)
	; wave barrier
	s_waitcnt lgkmcnt(0)
	buffer_load_dword v10, off, s[0:3], 0 offset:616
	buffer_load_dword v11, off, s[0:3], 0 offset:620
	buffer_load_dword v12, off, s[0:3], 0 offset:632
	buffer_load_dword v13, off, s[0:3], 0 offset:636
	buffer_load_dword v14, off, s[0:3], 0 offset:608
	buffer_load_dword v15, off, s[0:3], 0 offset:612
	buffer_load_dword v16, off, s[0:3], 0 offset:624
	buffer_load_dword v17, off, s[0:3], 0 offset:628
	buffer_load_dword v18, off, s[0:3], 0 offset:592
	buffer_load_dword v19, off, s[0:3], 0 offset:596
	buffer_load_dword v20, off, s[0:3], 0 offset:600
	buffer_load_dword v21, off, s[0:3], 0 offset:604
	ds_read_b128 v[2:5], v1 offset:1216
	ds_read_b128 v[6:9], v1 offset:1232
	v_cmp_lt_u32_e32 vcc, 35, v0
	s_waitcnt vmcnt(10) lgkmcnt(1)
	v_mul_f64 v[22:23], v[2:3], v[10:11]
	v_mul_f64 v[10:11], v[4:5], v[10:11]
	s_waitcnt vmcnt(8) lgkmcnt(0)
	v_mul_f64 v[24:25], v[6:7], v[12:13]
	v_mul_f64 v[12:13], v[8:9], v[12:13]
	s_waitcnt vmcnt(6)
	v_fma_f64 v[2:3], v[2:3], v[14:15], -v[10:11]
	v_fmac_f64_e32 v[22:23], v[4:5], v[14:15]
	s_waitcnt vmcnt(4)
	v_fma_f64 v[4:5], v[6:7], v[16:17], -v[12:13]
	v_add_f64 v[2:3], v[2:3], 0
	v_fmac_f64_e32 v[24:25], v[8:9], v[16:17]
	v_add_f64 v[6:7], v[22:23], 0
	v_add_f64 v[2:3], v[2:3], v[4:5]
	;; [unrolled: 1-line block ×3, first 2 shown]
	s_waitcnt vmcnt(2)
	v_add_f64 v[2:3], v[18:19], -v[2:3]
	s_waitcnt vmcnt(0)
	v_add_f64 v[4:5], v[20:21], -v[6:7]
	buffer_store_dword v2, off, s[0:3], 0 offset:592
	buffer_store_dword v3, off, s[0:3], 0 offset:596
	;; [unrolled: 1-line block ×4, first 2 shown]
	s_and_saveexec_b64 s[4:5], vcc
	s_cbranch_execz .LBB38_177
; %bb.176:
	v_accvgpr_read_b32 v1, a81
	buffer_load_dword v2, v1, s[0:3], 0 offen
	buffer_load_dword v3, v1, s[0:3], 0 offen offset:4
	buffer_load_dword v4, v1, s[0:3], 0 offen offset:8
	buffer_load_dword v5, v1, s[0:3], 0 offen offset:12
	v_mov_b32_e32 v1, 0
	v_accvgpr_read_b32 v6, a116
	buffer_store_dword v1, off, s[0:3], 0 offset:576
	buffer_store_dword v1, off, s[0:3], 0 offset:580
	;; [unrolled: 1-line block ×4, first 2 shown]
	s_waitcnt vmcnt(4)
	ds_write_b128 v6, v[2:5]
.LBB38_177:
	s_or_b64 exec, exec, s[4:5]
	s_waitcnt lgkmcnt(0)
	; wave barrier
	s_waitcnt lgkmcnt(0)
	buffer_load_dword v14, off, s[0:3], 0 offset:600
	buffer_load_dword v15, off, s[0:3], 0 offset:604
	;; [unrolled: 1-line block ×16, first 2 shown]
	v_mov_b32_e32 v1, 0
	ds_read_b128 v[2:5], v1 offset:1200
	ds_read_b128 v[6:9], v1 offset:1216
	;; [unrolled: 1-line block ×3, first 2 shown]
	v_cmp_lt_u32_e32 vcc, 34, v0
	s_waitcnt vmcnt(14) lgkmcnt(2)
	v_mul_f64 v[30:31], v[2:3], v[14:15]
	v_mul_f64 v[14:15], v[4:5], v[14:15]
	s_waitcnt vmcnt(12) lgkmcnt(1)
	v_mul_f64 v[32:33], v[6:7], v[16:17]
	v_mul_f64 v[16:17], v[8:9], v[16:17]
	;; [unrolled: 3-line block ×3, first 2 shown]
	s_waitcnt vmcnt(8)
	v_fma_f64 v[2:3], v[2:3], v[20:21], -v[14:15]
	v_fmac_f64_e32 v[30:31], v[4:5], v[20:21]
	s_waitcnt vmcnt(6)
	v_fma_f64 v[4:5], v[6:7], v[22:23], -v[16:17]
	v_add_f64 v[2:3], v[2:3], 0
	v_fmac_f64_e32 v[32:33], v[8:9], v[22:23]
	s_waitcnt vmcnt(4)
	v_fma_f64 v[6:7], v[10:11], v[24:25], -v[18:19]
	v_add_f64 v[8:9], v[30:31], 0
	v_add_f64 v[2:3], v[2:3], v[4:5]
	v_fmac_f64_e32 v[34:35], v[12:13], v[24:25]
	v_add_f64 v[8:9], v[8:9], v[32:33]
	v_add_f64 v[2:3], v[2:3], v[6:7]
	;; [unrolled: 1-line block ×3, first 2 shown]
	s_waitcnt vmcnt(2)
	v_add_f64 v[2:3], v[26:27], -v[2:3]
	s_waitcnt vmcnt(0)
	v_add_f64 v[4:5], v[28:29], -v[4:5]
	buffer_store_dword v2, off, s[0:3], 0 offset:576
	buffer_store_dword v3, off, s[0:3], 0 offset:580
	;; [unrolled: 1-line block ×4, first 2 shown]
	s_and_saveexec_b64 s[4:5], vcc
	s_cbranch_execz .LBB38_179
; %bb.178:
	v_accvgpr_read_b32 v5, a82
	buffer_load_dword v2, v5, s[0:3], 0 offen
	buffer_load_dword v3, v5, s[0:3], 0 offen offset:4
	buffer_load_dword v4, v5, s[0:3], 0 offen offset:8
	s_nop 0
	buffer_load_dword v5, v5, s[0:3], 0 offen offset:12
	v_accvgpr_read_b32 v6, a116
	buffer_store_dword v1, off, s[0:3], 0 offset:560
	buffer_store_dword v1, off, s[0:3], 0 offset:564
	;; [unrolled: 1-line block ×4, first 2 shown]
	s_waitcnt vmcnt(4)
	ds_write_b128 v6, v[2:5]
.LBB38_179:
	s_or_b64 exec, exec, s[4:5]
	s_waitcnt lgkmcnt(0)
	; wave barrier
	s_waitcnt lgkmcnt(0)
	buffer_load_dword v18, off, s[0:3], 0 offset:584
	buffer_load_dword v19, off, s[0:3], 0 offset:588
	buffer_load_dword v20, off, s[0:3], 0 offset:600
	buffer_load_dword v21, off, s[0:3], 0 offset:604
	buffer_load_dword v22, off, s[0:3], 0 offset:616
	buffer_load_dword v23, off, s[0:3], 0 offset:620
	buffer_load_dword v25, off, s[0:3], 0 offset:636
	buffer_load_dword v24, off, s[0:3], 0 offset:632
	buffer_load_dword v26, off, s[0:3], 0 offset:576
	buffer_load_dword v27, off, s[0:3], 0 offset:580
	buffer_load_dword v28, off, s[0:3], 0 offset:592
	buffer_load_dword v29, off, s[0:3], 0 offset:596
	buffer_load_dword v30, off, s[0:3], 0 offset:608
	buffer_load_dword v31, off, s[0:3], 0 offset:612
	buffer_load_dword v33, off, s[0:3], 0 offset:628
	buffer_load_dword v32, off, s[0:3], 0 offset:624
	buffer_load_dword v34, off, s[0:3], 0 offset:560
	buffer_load_dword v35, off, s[0:3], 0 offset:564
	buffer_load_dword v36, off, s[0:3], 0 offset:568
	buffer_load_dword v37, off, s[0:3], 0 offset:572
	ds_read_b128 v[2:5], v1 offset:1184
	ds_read_b128 v[6:9], v1 offset:1200
	;; [unrolled: 1-line block ×4, first 2 shown]
	v_cmp_lt_u32_e32 vcc, 33, v0
	s_waitcnt vmcnt(18) lgkmcnt(3)
	v_mul_f64 v[38:39], v[2:3], v[18:19]
	v_mul_f64 v[18:19], v[4:5], v[18:19]
	s_waitcnt vmcnt(16) lgkmcnt(2)
	v_mul_f64 v[40:41], v[6:7], v[20:21]
	v_mul_f64 v[20:21], v[8:9], v[20:21]
	;; [unrolled: 3-line block ×4, first 2 shown]
	s_waitcnt vmcnt(10)
	v_fma_f64 v[2:3], v[2:3], v[26:27], -v[18:19]
	v_fmac_f64_e32 v[38:39], v[4:5], v[26:27]
	s_waitcnt vmcnt(8)
	v_fma_f64 v[4:5], v[6:7], v[28:29], -v[20:21]
	v_add_f64 v[2:3], v[2:3], 0
	v_fmac_f64_e32 v[40:41], v[8:9], v[28:29]
	s_waitcnt vmcnt(6)
	v_fma_f64 v[6:7], v[10:11], v[30:31], -v[22:23]
	v_add_f64 v[10:11], v[38:39], 0
	v_add_f64 v[2:3], v[2:3], v[4:5]
	v_fmac_f64_e32 v[42:43], v[12:13], v[30:31]
	s_waitcnt vmcnt(4)
	v_fma_f64 v[8:9], v[14:15], v[32:33], -v[24:25]
	v_add_f64 v[10:11], v[10:11], v[40:41]
	v_add_f64 v[2:3], v[2:3], v[6:7]
	v_fmac_f64_e32 v[44:45], v[16:17], v[32:33]
	v_add_f64 v[4:5], v[10:11], v[42:43]
	v_add_f64 v[2:3], v[2:3], v[8:9]
	;; [unrolled: 1-line block ×3, first 2 shown]
	s_waitcnt vmcnt(2)
	v_add_f64 v[2:3], v[34:35], -v[2:3]
	s_waitcnt vmcnt(0)
	v_add_f64 v[4:5], v[36:37], -v[4:5]
	buffer_store_dword v2, off, s[0:3], 0 offset:560
	buffer_store_dword v3, off, s[0:3], 0 offset:564
	;; [unrolled: 1-line block ×4, first 2 shown]
	s_and_saveexec_b64 s[4:5], vcc
	s_cbranch_execz .LBB38_181
; %bb.180:
	v_accvgpr_read_b32 v1, a83
	buffer_load_dword v2, v1, s[0:3], 0 offen
	buffer_load_dword v3, v1, s[0:3], 0 offen offset:4
	buffer_load_dword v4, v1, s[0:3], 0 offen offset:8
	buffer_load_dword v5, v1, s[0:3], 0 offen offset:12
	v_mov_b32_e32 v1, 0
	v_accvgpr_read_b32 v6, a116
	buffer_store_dword v1, off, s[0:3], 0 offset:544
	buffer_store_dword v1, off, s[0:3], 0 offset:548
	;; [unrolled: 1-line block ×4, first 2 shown]
	s_waitcnt vmcnt(4)
	ds_write_b128 v6, v[2:5]
.LBB38_181:
	s_or_b64 exec, exec, s[4:5]
	s_waitcnt lgkmcnt(0)
	; wave barrier
	s_waitcnt lgkmcnt(0)
	buffer_load_dword v22, off, s[0:3], 0 offset:568
	buffer_load_dword v23, off, s[0:3], 0 offset:572
	;; [unrolled: 1-line block ×24, first 2 shown]
	v_mov_b32_e32 v1, 0
	ds_read_b128 v[2:5], v1 offset:1168
	ds_read_b128 v[6:9], v1 offset:1184
	;; [unrolled: 1-line block ×5, first 2 shown]
	v_cmp_lt_u32_e32 vcc, 32, v0
	s_waitcnt vmcnt(22) lgkmcnt(4)
	v_mul_f64 v[46:47], v[2:3], v[22:23]
	v_mul_f64 v[22:23], v[4:5], v[22:23]
	s_waitcnt vmcnt(20) lgkmcnt(3)
	v_mul_f64 v[48:49], v[6:7], v[24:25]
	v_mul_f64 v[24:25], v[8:9], v[24:25]
	;; [unrolled: 3-line block ×4, first 2 shown]
	s_waitcnt vmcnt(13) lgkmcnt(0)
	v_mul_f64 v[54:55], v[18:19], v[28:29]
	s_waitcnt vmcnt(11)
	v_fma_f64 v[2:3], v[2:3], v[34:35], -v[22:23]
	v_fmac_f64_e32 v[46:47], v[4:5], v[34:35]
	s_waitcnt vmcnt(9)
	v_fma_f64 v[4:5], v[6:7], v[36:37], -v[24:25]
	v_add_f64 v[2:3], v[2:3], 0
	v_fmac_f64_e32 v[48:49], v[8:9], v[36:37]
	s_waitcnt vmcnt(7)
	v_fmac_f64_e32 v[50:51], v[12:13], v[38:39]
	v_fma_f64 v[6:7], v[10:11], v[38:39], -v[26:27]
	v_add_f64 v[12:13], v[46:47], 0
	v_add_f64 v[2:3], v[2:3], v[4:5]
	v_mul_f64 v[28:29], v[20:21], v[28:29]
	s_waitcnt vmcnt(5)
	v_fma_f64 v[8:9], v[14:15], v[40:41], -v[32:33]
	v_add_f64 v[12:13], v[12:13], v[48:49]
	v_add_f64 v[2:3], v[2:3], v[6:7]
	v_fmac_f64_e32 v[52:53], v[16:17], v[40:41]
	s_waitcnt vmcnt(4)
	v_fma_f64 v[10:11], v[18:19], v[30:31], -v[28:29]
	v_add_f64 v[4:5], v[12:13], v[50:51]
	v_add_f64 v[2:3], v[2:3], v[8:9]
	v_fmac_f64_e32 v[54:55], v[20:21], v[30:31]
	v_add_f64 v[4:5], v[4:5], v[52:53]
	v_add_f64 v[2:3], v[2:3], v[10:11]
	;; [unrolled: 1-line block ×3, first 2 shown]
	s_waitcnt vmcnt(2)
	v_add_f64 v[2:3], v[42:43], -v[2:3]
	s_waitcnt vmcnt(0)
	v_add_f64 v[4:5], v[44:45], -v[4:5]
	buffer_store_dword v3, off, s[0:3], 0 offset:548
	buffer_store_dword v2, off, s[0:3], 0 offset:544
	;; [unrolled: 1-line block ×4, first 2 shown]
	s_and_saveexec_b64 s[4:5], vcc
	s_cbranch_execz .LBB38_183
; %bb.182:
	v_accvgpr_read_b32 v5, a84
	buffer_load_dword v2, v5, s[0:3], 0 offen
	buffer_load_dword v3, v5, s[0:3], 0 offen offset:4
	buffer_load_dword v4, v5, s[0:3], 0 offen offset:8
	s_nop 0
	buffer_load_dword v5, v5, s[0:3], 0 offen offset:12
	v_accvgpr_read_b32 v6, a116
	buffer_store_dword v1, off, s[0:3], 0 offset:528
	buffer_store_dword v1, off, s[0:3], 0 offset:532
	;; [unrolled: 1-line block ×4, first 2 shown]
	s_waitcnt vmcnt(4)
	ds_write_b128 v6, v[2:5]
.LBB38_183:
	s_or_b64 exec, exec, s[4:5]
	s_waitcnt lgkmcnt(0)
	; wave barrier
	s_waitcnt lgkmcnt(0)
	buffer_load_dword v26, off, s[0:3], 0 offset:552
	buffer_load_dword v27, off, s[0:3], 0 offset:556
	;; [unrolled: 1-line block ×28, first 2 shown]
	ds_read_b128 v[2:5], v1 offset:1152
	ds_read_b128 v[6:9], v1 offset:1168
	;; [unrolled: 1-line block ×6, first 2 shown]
	v_cmp_lt_u32_e32 vcc, 31, v0
	s_waitcnt vmcnt(26) lgkmcnt(5)
	v_mul_f64 v[54:55], v[2:3], v[26:27]
	v_mul_f64 v[26:27], v[4:5], v[26:27]
	s_waitcnt vmcnt(24) lgkmcnt(4)
	v_mul_f64 v[56:57], v[6:7], v[28:29]
	v_mul_f64 v[28:29], v[8:9], v[28:29]
	;; [unrolled: 3-line block ×4, first 2 shown]
	s_waitcnt vmcnt(17)
	v_mul_f64 v[60:61], v[14:15], v[36:37]
	v_mul_f64 v[36:37], v[16:17], v[36:37]
	s_waitcnt vmcnt(15) lgkmcnt(0)
	v_mul_f64 v[64:65], v[22:23], v[38:39]
	v_mul_f64 v[38:39], v[24:25], v[38:39]
	s_waitcnt vmcnt(14)
	v_fmac_f64_e32 v[62:63], v[20:21], v[34:35]
	s_waitcnt vmcnt(12)
	v_fma_f64 v[2:3], v[2:3], v[40:41], -v[26:27]
	v_fmac_f64_e32 v[54:55], v[4:5], v[40:41]
	s_waitcnt vmcnt(10)
	v_fma_f64 v[4:5], v[6:7], v[42:43], -v[28:29]
	v_add_f64 v[2:3], v[2:3], 0
	v_fmac_f64_e32 v[56:57], v[8:9], v[42:43]
	s_waitcnt vmcnt(8)
	v_fma_f64 v[6:7], v[10:11], v[44:45], -v[30:31]
	s_waitcnt vmcnt(6)
	v_fma_f64 v[8:9], v[14:15], v[46:47], -v[36:37]
	v_add_f64 v[14:15], v[54:55], 0
	v_add_f64 v[2:3], v[2:3], v[4:5]
	v_fmac_f64_e32 v[58:59], v[12:13], v[44:45]
	v_add_f64 v[14:15], v[14:15], v[56:57]
	v_add_f64 v[2:3], v[2:3], v[6:7]
	v_fmac_f64_e32 v[60:61], v[16:17], v[46:47]
	v_fma_f64 v[10:11], v[18:19], v[34:35], -v[32:33]
	v_add_f64 v[4:5], v[14:15], v[58:59]
	v_add_f64 v[2:3], v[2:3], v[8:9]
	s_waitcnt vmcnt(4)
	v_fma_f64 v[12:13], v[22:23], v[48:49], -v[38:39]
	v_add_f64 v[4:5], v[4:5], v[60:61]
	v_add_f64 v[2:3], v[2:3], v[10:11]
	v_fmac_f64_e32 v[64:65], v[24:25], v[48:49]
	v_add_f64 v[4:5], v[4:5], v[62:63]
	v_add_f64 v[2:3], v[2:3], v[12:13]
	;; [unrolled: 1-line block ×3, first 2 shown]
	s_waitcnt vmcnt(2)
	v_add_f64 v[2:3], v[50:51], -v[2:3]
	s_waitcnt vmcnt(0)
	v_add_f64 v[4:5], v[52:53], -v[4:5]
	buffer_store_dword v3, off, s[0:3], 0 offset:532
	buffer_store_dword v2, off, s[0:3], 0 offset:528
	;; [unrolled: 1-line block ×4, first 2 shown]
	s_and_saveexec_b64 s[4:5], vcc
	s_cbranch_execz .LBB38_185
; %bb.184:
	v_accvgpr_read_b32 v1, a85
	buffer_load_dword v2, v1, s[0:3], 0 offen
	buffer_load_dword v3, v1, s[0:3], 0 offen offset:4
	buffer_load_dword v4, v1, s[0:3], 0 offen offset:8
	;; [unrolled: 1-line block ×3, first 2 shown]
	v_mov_b32_e32 v1, 0
	v_accvgpr_read_b32 v6, a116
	buffer_store_dword v1, off, s[0:3], 0 offset:512
	buffer_store_dword v1, off, s[0:3], 0 offset:516
	;; [unrolled: 1-line block ×4, first 2 shown]
	s_waitcnt vmcnt(4)
	ds_write_b128 v6, v[2:5]
.LBB38_185:
	s_or_b64 exec, exec, s[4:5]
	s_waitcnt lgkmcnt(0)
	; wave barrier
	s_waitcnt lgkmcnt(0)
	buffer_load_dword v30, off, s[0:3], 0 offset:536
	buffer_load_dword v31, off, s[0:3], 0 offset:540
	buffer_load_dword v32, off, s[0:3], 0 offset:552
	buffer_load_dword v33, off, s[0:3], 0 offset:556
	buffer_load_dword v34, off, s[0:3], 0 offset:568
	buffer_load_dword v35, off, s[0:3], 0 offset:572
	buffer_load_dword v37, off, s[0:3], 0 offset:604
	buffer_load_dword v36, off, s[0:3], 0 offset:600
	buffer_load_dword v38, off, s[0:3], 0 offset:592
	buffer_load_dword v41, off, s[0:3], 0 offset:588
	buffer_load_dword v40, off, s[0:3], 0 offset:584
	buffer_load_dword v42, off, s[0:3], 0 offset:632
	buffer_load_dword v44, off, s[0:3], 0 offset:624
	buffer_load_dword v47, off, s[0:3], 0 offset:620
	buffer_load_dword v46, off, s[0:3], 0 offset:616
	buffer_load_dword v43, off, s[0:3], 0 offset:636
	buffer_load_dword v39, off, s[0:3], 0 offset:596
	buffer_load_dword v48, off, s[0:3], 0 offset:528
	buffer_load_dword v49, off, s[0:3], 0 offset:532
	buffer_load_dword v50, off, s[0:3], 0 offset:544
	buffer_load_dword v51, off, s[0:3], 0 offset:548
	buffer_load_dword v52, off, s[0:3], 0 offset:560
	buffer_load_dword v53, off, s[0:3], 0 offset:564
	buffer_load_dword v55, off, s[0:3], 0 offset:580
	buffer_load_dword v54, off, s[0:3], 0 offset:576
	buffer_load_dword v57, off, s[0:3], 0 offset:612
	buffer_load_dword v56, off, s[0:3], 0 offset:608
	buffer_load_dword v45, off, s[0:3], 0 offset:628
	buffer_load_dword v58, off, s[0:3], 0 offset:512
	buffer_load_dword v59, off, s[0:3], 0 offset:516
	buffer_load_dword v60, off, s[0:3], 0 offset:520
	buffer_load_dword v61, off, s[0:3], 0 offset:524
	v_mov_b32_e32 v1, 0
	ds_read_b128 v[2:5], v1 offset:1136
	ds_read_b128 v[6:9], v1 offset:1152
	;; [unrolled: 1-line block ×7, first 2 shown]
	v_cmp_lt_u32_e32 vcc, 30, v0
	s_waitcnt vmcnt(30) lgkmcnt(6)
	v_mul_f64 v[62:63], v[2:3], v[30:31]
	v_mul_f64 v[30:31], v[4:5], v[30:31]
	s_waitcnt vmcnt(28) lgkmcnt(5)
	v_mul_f64 v[64:65], v[6:7], v[32:33]
	v_mul_f64 v[32:33], v[8:9], v[32:33]
	;; [unrolled: 3-line block ×4, first 2 shown]
	s_waitcnt vmcnt(21)
	v_mul_f64 v[68:69], v[14:15], v[40:41]
	v_mul_f64 v[40:41], v[16:17], v[40:41]
	s_waitcnt vmcnt(17) lgkmcnt(1)
	v_mul_f64 v[72:73], v[22:23], v[46:47]
	v_mul_f64 v[46:47], v[24:25], v[46:47]
	s_waitcnt vmcnt(16) lgkmcnt(0)
	v_mul_f64 v[74:75], v[26:27], v[42:43]
	v_mul_f64 v[42:43], v[28:29], v[42:43]
	s_waitcnt vmcnt(13)
	v_fma_f64 v[2:3], v[2:3], v[48:49], -v[30:31]
	v_fmac_f64_e32 v[62:63], v[4:5], v[48:49]
	s_waitcnt vmcnt(11)
	v_fma_f64 v[4:5], v[6:7], v[50:51], -v[32:33]
	v_add_f64 v[2:3], v[2:3], 0
	v_fmac_f64_e32 v[64:65], v[8:9], v[50:51]
	s_waitcnt vmcnt(9)
	v_fma_f64 v[6:7], v[10:11], v[52:53], -v[34:35]
	s_waitcnt vmcnt(7)
	v_fmac_f64_e32 v[68:69], v[16:17], v[54:55]
	v_add_f64 v[16:17], v[62:63], 0
	v_add_f64 v[2:3], v[2:3], v[4:5]
	v_fmac_f64_e32 v[66:67], v[12:13], v[52:53]
	v_fma_f64 v[8:9], v[14:15], v[54:55], -v[40:41]
	v_add_f64 v[16:17], v[16:17], v[64:65]
	v_add_f64 v[2:3], v[2:3], v[6:7]
	v_fma_f64 v[10:11], v[18:19], v[38:39], -v[36:37]
	v_add_f64 v[4:5], v[16:17], v[66:67]
	v_add_f64 v[2:3], v[2:3], v[8:9]
	v_fmac_f64_e32 v[70:71], v[20:21], v[38:39]
	s_waitcnt vmcnt(5)
	v_fma_f64 v[12:13], v[22:23], v[56:57], -v[46:47]
	v_add_f64 v[4:5], v[4:5], v[68:69]
	v_add_f64 v[2:3], v[2:3], v[10:11]
	v_fmac_f64_e32 v[72:73], v[24:25], v[56:57]
	s_waitcnt vmcnt(4)
	v_fma_f64 v[14:15], v[26:27], v[44:45], -v[42:43]
	v_add_f64 v[4:5], v[4:5], v[70:71]
	v_add_f64 v[2:3], v[2:3], v[12:13]
	v_fmac_f64_e32 v[74:75], v[28:29], v[44:45]
	v_add_f64 v[4:5], v[4:5], v[72:73]
	v_add_f64 v[2:3], v[2:3], v[14:15]
	;; [unrolled: 1-line block ×3, first 2 shown]
	s_waitcnt vmcnt(2)
	v_add_f64 v[2:3], v[58:59], -v[2:3]
	s_waitcnt vmcnt(0)
	v_add_f64 v[4:5], v[60:61], -v[4:5]
	buffer_store_dword v3, off, s[0:3], 0 offset:516
	buffer_store_dword v2, off, s[0:3], 0 offset:512
	;; [unrolled: 1-line block ×4, first 2 shown]
	s_and_saveexec_b64 s[4:5], vcc
	s_cbranch_execz .LBB38_187
; %bb.186:
	v_accvgpr_read_b32 v5, a86
	buffer_load_dword v2, v5, s[0:3], 0 offen
	buffer_load_dword v3, v5, s[0:3], 0 offen offset:4
	buffer_load_dword v4, v5, s[0:3], 0 offen offset:8
	s_nop 0
	buffer_load_dword v5, v5, s[0:3], 0 offen offset:12
	v_accvgpr_read_b32 v6, a116
	buffer_store_dword v1, off, s[0:3], 0 offset:496
	buffer_store_dword v1, off, s[0:3], 0 offset:500
	;; [unrolled: 1-line block ×4, first 2 shown]
	s_waitcnt vmcnt(4)
	ds_write_b128 v6, v[2:5]
.LBB38_187:
	s_or_b64 exec, exec, s[4:5]
	s_waitcnt lgkmcnt(0)
	; wave barrier
	s_waitcnt lgkmcnt(0)
	buffer_load_dword v34, off, s[0:3], 0 offset:520
	buffer_load_dword v35, off, s[0:3], 0 offset:524
	;; [unrolled: 1-line block ×36, first 2 shown]
	ds_read_b128 v[2:5], v1 offset:1120
	ds_read_b128 v[6:9], v1 offset:1136
	;; [unrolled: 1-line block ×8, first 2 shown]
	v_cmp_lt_u32_e32 vcc, 29, v0
	s_waitcnt vmcnt(34) lgkmcnt(7)
	v_mul_f64 v[70:71], v[2:3], v[34:35]
	v_mul_f64 v[34:35], v[4:5], v[34:35]
	s_waitcnt vmcnt(32) lgkmcnt(6)
	v_mul_f64 v[72:73], v[6:7], v[36:37]
	v_mul_f64 v[36:37], v[8:9], v[36:37]
	;; [unrolled: 3-line block ×4, first 2 shown]
	s_waitcnt vmcnt(25)
	v_mul_f64 v[76:77], v[14:15], v[44:45]
	v_mul_f64 v[44:45], v[16:17], v[44:45]
	s_waitcnt vmcnt(23) lgkmcnt(1)
	v_mul_f64 v[82:83], v[26:27], v[46:47]
	v_mul_f64 v[46:47], v[28:29], v[46:47]
	s_waitcnt vmcnt(20)
	v_mul_f64 v[80:81], v[22:23], v[50:51]
	v_mul_f64 v[50:51], v[24:25], v[50:51]
	s_waitcnt vmcnt(18) lgkmcnt(0)
	v_mul_f64 v[84:85], v[30:31], v[52:53]
	s_waitcnt vmcnt(17)
	v_fmac_f64_e32 v[78:79], v[20:21], v[42:43]
	s_waitcnt vmcnt(16)
	v_fmac_f64_e32 v[82:83], v[28:29], v[48:49]
	s_waitcnt vmcnt(14)
	v_fma_f64 v[2:3], v[2:3], v[54:55], -v[34:35]
	v_fmac_f64_e32 v[70:71], v[4:5], v[54:55]
	s_waitcnt vmcnt(12)
	v_fma_f64 v[4:5], v[6:7], v[56:57], -v[36:37]
	v_add_f64 v[2:3], v[2:3], 0
	v_fmac_f64_e32 v[72:73], v[8:9], v[56:57]
	s_waitcnt vmcnt(10)
	v_fma_f64 v[6:7], v[10:11], v[58:59], -v[38:39]
	s_waitcnt vmcnt(8)
	v_fmac_f64_e32 v[76:77], v[16:17], v[60:61]
	v_add_f64 v[16:17], v[70:71], 0
	v_add_f64 v[2:3], v[2:3], v[4:5]
	v_fmac_f64_e32 v[74:75], v[12:13], v[58:59]
	v_fma_f64 v[8:9], v[14:15], v[60:61], -v[44:45]
	v_add_f64 v[16:17], v[16:17], v[72:73]
	v_add_f64 v[2:3], v[2:3], v[6:7]
	v_fma_f64 v[10:11], v[18:19], v[42:43], -v[40:41]
	v_add_f64 v[4:5], v[16:17], v[74:75]
	v_add_f64 v[2:3], v[2:3], v[8:9]
	s_waitcnt vmcnt(6)
	v_fma_f64 v[12:13], v[22:23], v[62:63], -v[50:51]
	v_add_f64 v[4:5], v[4:5], v[76:77]
	v_add_f64 v[2:3], v[2:3], v[10:11]
	v_fmac_f64_e32 v[80:81], v[24:25], v[62:63]
	v_fma_f64 v[14:15], v[26:27], v[48:49], -v[46:47]
	v_add_f64 v[4:5], v[4:5], v[78:79]
	v_add_f64 v[2:3], v[2:3], v[12:13]
	v_mul_f64 v[6:7], v[32:33], v[52:53]
	v_add_f64 v[4:5], v[4:5], v[80:81]
	v_add_f64 v[2:3], v[2:3], v[14:15]
	s_waitcnt vmcnt(4)
	v_fma_f64 v[6:7], v[30:31], v[64:65], -v[6:7]
	v_fmac_f64_e32 v[84:85], v[32:33], v[64:65]
	v_add_f64 v[4:5], v[4:5], v[82:83]
	v_add_f64 v[2:3], v[2:3], v[6:7]
	;; [unrolled: 1-line block ×3, first 2 shown]
	s_waitcnt vmcnt(2)
	v_add_f64 v[2:3], v[66:67], -v[2:3]
	s_waitcnt vmcnt(0)
	v_add_f64 v[4:5], v[68:69], -v[4:5]
	buffer_store_dword v3, off, s[0:3], 0 offset:500
	buffer_store_dword v2, off, s[0:3], 0 offset:496
	;; [unrolled: 1-line block ×4, first 2 shown]
	s_and_saveexec_b64 s[4:5], vcc
	s_cbranch_execz .LBB38_189
; %bb.188:
	v_accvgpr_read_b32 v1, a87
	buffer_load_dword v2, v1, s[0:3], 0 offen
	buffer_load_dword v3, v1, s[0:3], 0 offen offset:4
	buffer_load_dword v4, v1, s[0:3], 0 offen offset:8
	buffer_load_dword v5, v1, s[0:3], 0 offen offset:12
	v_mov_b32_e32 v1, 0
	v_accvgpr_read_b32 v6, a116
	buffer_store_dword v1, off, s[0:3], 0 offset:480
	buffer_store_dword v1, off, s[0:3], 0 offset:484
	;; [unrolled: 1-line block ×4, first 2 shown]
	s_waitcnt vmcnt(4)
	ds_write_b128 v6, v[2:5]
.LBB38_189:
	s_or_b64 exec, exec, s[4:5]
	s_waitcnt lgkmcnt(0)
	; wave barrier
	s_waitcnt lgkmcnt(0)
	buffer_load_dword v38, off, s[0:3], 0 offset:504
	buffer_load_dword v39, off, s[0:3], 0 offset:508
	;; [unrolled: 1-line block ×40, first 2 shown]
	v_mov_b32_e32 v1, 0
	ds_read_b128 v[2:5], v1 offset:1104
	ds_read_b128 v[6:9], v1 offset:1120
	;; [unrolled: 1-line block ×9, first 2 shown]
	v_cmp_lt_u32_e32 vcc, 28, v0
	s_waitcnt vmcnt(38) lgkmcnt(8)
	v_mul_f64 v[78:79], v[2:3], v[38:39]
	v_mul_f64 v[38:39], v[4:5], v[38:39]
	s_waitcnt vmcnt(36) lgkmcnt(7)
	v_mul_f64 v[80:81], v[6:7], v[40:41]
	v_mul_f64 v[40:41], v[8:9], v[40:41]
	;; [unrolled: 3-line block ×3, first 2 shown]
	s_waitcnt vmcnt(32) lgkmcnt(4)
	v_mul_f64 v[86:87], v[18:19], v[44:45]
	s_waitcnt vmcnt(30)
	v_fmac_f64_e32 v[86:87], v[20:21], v[46:47]
	s_waitcnt vmcnt(28)
	v_mul_f64 v[84:85], v[14:15], v[48:49]
	v_mul_f64 v[48:49], v[16:17], v[48:49]
	s_waitcnt vmcnt(26) lgkmcnt(2)
	v_mul_f64 v[90:91], v[26:27], v[50:51]
	s_waitcnt vmcnt(24)
	v_fmac_f64_e32 v[90:91], v[28:29], v[52:53]
	s_waitcnt vmcnt(22)
	v_mul_f64 v[88:89], v[22:23], v[54:55]
	s_waitcnt vmcnt(18) lgkmcnt(1)
	v_mul_f64 v[92:93], v[30:31], v[60:61]
	s_waitcnt vmcnt(17) lgkmcnt(0)
	v_mul_f64 v[94:95], v[34:35], v[56:57]
	s_waitcnt vmcnt(15)
	v_fma_f64 v[2:3], v[2:3], v[62:63], -v[38:39]
	v_fmac_f64_e32 v[78:79], v[4:5], v[62:63]
	s_waitcnt vmcnt(13)
	v_fma_f64 v[4:5], v[6:7], v[64:65], -v[40:41]
	v_add_f64 v[2:3], v[2:3], 0
	s_waitcnt vmcnt(11)
	v_fma_f64 v[6:7], v[10:11], v[66:67], -v[42:43]
	v_add_f64 v[2:3], v[2:3], v[4:5]
	v_fmac_f64_e32 v[80:81], v[8:9], v[64:65]
	s_waitcnt vmcnt(9)
	v_fma_f64 v[8:9], v[14:15], v[68:69], -v[48:49]
	v_add_f64 v[2:3], v[2:3], v[6:7]
	v_mul_f64 v[6:7], v[20:21], v[44:45]
	v_add_f64 v[2:3], v[2:3], v[8:9]
	v_fma_f64 v[6:7], v[18:19], v[46:47], -v[6:7]
	v_add_f64 v[2:3], v[2:3], v[6:7]
	v_mul_f64 v[6:7], v[24:25], v[54:55]
	v_add_f64 v[10:11], v[78:79], 0
	s_waitcnt vmcnt(7)
	v_fma_f64 v[6:7], v[22:23], v[70:71], -v[6:7]
	v_fmac_f64_e32 v[82:83], v[12:13], v[66:67]
	v_add_f64 v[10:11], v[10:11], v[80:81]
	v_add_f64 v[2:3], v[2:3], v[6:7]
	v_mul_f64 v[6:7], v[28:29], v[50:51]
	v_fmac_f64_e32 v[84:85], v[16:17], v[68:69]
	v_add_f64 v[4:5], v[10:11], v[82:83]
	v_fma_f64 v[6:7], v[26:27], v[52:53], -v[6:7]
	v_add_f64 v[4:5], v[4:5], v[84:85]
	v_add_f64 v[2:3], v[2:3], v[6:7]
	v_mul_f64 v[6:7], v[32:33], v[60:61]
	v_fmac_f64_e32 v[88:89], v[24:25], v[70:71]
	v_add_f64 v[4:5], v[4:5], v[86:87]
	s_waitcnt vmcnt(5)
	v_fma_f64 v[6:7], v[30:31], v[72:73], -v[6:7]
	v_add_f64 v[4:5], v[4:5], v[88:89]
	v_add_f64 v[2:3], v[2:3], v[6:7]
	v_mul_f64 v[6:7], v[36:37], v[56:57]
	v_fmac_f64_e32 v[92:93], v[32:33], v[72:73]
	v_add_f64 v[4:5], v[4:5], v[90:91]
	s_waitcnt vmcnt(4)
	v_fma_f64 v[6:7], v[34:35], v[58:59], -v[6:7]
	v_fmac_f64_e32 v[94:95], v[36:37], v[58:59]
	v_add_f64 v[4:5], v[4:5], v[92:93]
	v_add_f64 v[2:3], v[2:3], v[6:7]
	;; [unrolled: 1-line block ×3, first 2 shown]
	s_waitcnt vmcnt(2)
	v_add_f64 v[2:3], v[74:75], -v[2:3]
	s_waitcnt vmcnt(0)
	v_add_f64 v[4:5], v[76:77], -v[4:5]
	buffer_store_dword v3, off, s[0:3], 0 offset:484
	buffer_store_dword v2, off, s[0:3], 0 offset:480
	;; [unrolled: 1-line block ×4, first 2 shown]
	s_and_saveexec_b64 s[4:5], vcc
	s_cbranch_execz .LBB38_191
; %bb.190:
	v_accvgpr_read_b32 v5, a88
	buffer_load_dword v2, v5, s[0:3], 0 offen
	buffer_load_dword v3, v5, s[0:3], 0 offen offset:4
	buffer_load_dword v4, v5, s[0:3], 0 offen offset:8
	s_nop 0
	buffer_load_dword v5, v5, s[0:3], 0 offen offset:12
	v_accvgpr_read_b32 v6, a116
	buffer_store_dword v1, off, s[0:3], 0 offset:464
	buffer_store_dword v1, off, s[0:3], 0 offset:468
	;; [unrolled: 1-line block ×4, first 2 shown]
	s_waitcnt vmcnt(4)
	ds_write_b128 v6, v[2:5]
.LBB38_191:
	s_or_b64 exec, exec, s[4:5]
	s_waitcnt lgkmcnt(0)
	; wave barrier
	s_waitcnt lgkmcnt(0)
	buffer_load_dword v4, off, s[0:3], 0 offset:480
	buffer_load_dword v5, off, s[0:3], 0 offset:484
	buffer_load_dword v46, off, s[0:3], 0 offset:488
	buffer_load_dword v47, off, s[0:3], 0 offset:492
	buffer_load_dword v48, off, s[0:3], 0 offset:504
	buffer_load_dword v49, off, s[0:3], 0 offset:508
	buffer_load_dword v2, off, s[0:3], 0 offset:520
	buffer_load_dword v3, off, s[0:3], 0 offset:524
	buffer_load_dword v51, off, s[0:3], 0 offset:556
	buffer_load_dword v50, off, s[0:3], 0 offset:552
	buffer_load_dword v53, off, s[0:3], 0 offset:548
	buffer_load_dword v52, off, s[0:3], 0 offset:544
	buffer_load_dword v55, off, s[0:3], 0 offset:540
	buffer_load_dword v54, off, s[0:3], 0 offset:536
	buffer_load_dword v57, off, s[0:3], 0 offset:588
	buffer_load_dword v56, off, s[0:3], 0 offset:584
	buffer_load_dword v59, off, s[0:3], 0 offset:580
	buffer_load_dword v58, off, s[0:3], 0 offset:576
	buffer_load_dword v61, off, s[0:3], 0 offset:572
	buffer_load_dword v60, off, s[0:3], 0 offset:568
	buffer_load_dword v63, off, s[0:3], 0 offset:620
	buffer_load_dword v62, off, s[0:3], 0 offset:616
	buffer_load_dword v65, off, s[0:3], 0 offset:612
	buffer_load_dword v64, off, s[0:3], 0 offset:608
	buffer_load_dword v67, off, s[0:3], 0 offset:604
	buffer_load_dword v66, off, s[0:3], 0 offset:600
	buffer_load_dword v69, off, s[0:3], 0 offset:636
	buffer_load_dword v68, off, s[0:3], 0 offset:632
	buffer_load_dword v70, off, s[0:3], 0 offset:496
	buffer_load_dword v71, off, s[0:3], 0 offset:500
	buffer_load_dword v72, off, s[0:3], 0 offset:512
	buffer_load_dword v73, off, s[0:3], 0 offset:516
	buffer_load_dword v75, off, s[0:3], 0 offset:532
	buffer_load_dword v74, off, s[0:3], 0 offset:528
	buffer_load_dword v77, off, s[0:3], 0 offset:564
	buffer_load_dword v76, off, s[0:3], 0 offset:560
	buffer_load_dword v79, off, s[0:3], 0 offset:596
	buffer_load_dword v78, off, s[0:3], 0 offset:592
	buffer_load_dword v81, off, s[0:3], 0 offset:628
	buffer_load_dword v80, off, s[0:3], 0 offset:624
	buffer_load_dword v82, off, s[0:3], 0 offset:464
	buffer_load_dword v83, off, s[0:3], 0 offset:468
	buffer_load_dword v84, off, s[0:3], 0 offset:472
	buffer_load_dword v85, off, s[0:3], 0 offset:476
	ds_read_b128 v[6:9], v1 offset:1088
	ds_read_b128 v[10:13], v1 offset:1104
	;; [unrolled: 1-line block ×10, first 2 shown]
	v_cmp_lt_u32_e32 vcc, 27, v0
	s_waitcnt vmcnt(40) lgkmcnt(9)
	v_mul_f64 v[86:87], v[6:7], v[46:47]
	v_mul_f64 v[46:47], v[8:9], v[46:47]
	s_waitcnt vmcnt(38) lgkmcnt(8)
	v_mul_f64 v[88:89], v[10:11], v[48:49]
	v_mul_f64 v[48:49], v[12:13], v[48:49]
	v_fmac_f64_e32 v[86:87], v[8:9], v[4:5]
	v_fma_f64 v[4:5], v[6:7], v[4:5], -v[46:47]
	s_waitcnt vmcnt(36) lgkmcnt(7)
	v_mul_f64 v[90:91], v[14:15], v[2:3]
	v_add_f64 v[4:5], v[4:5], 0
	v_mul_f64 v[2:3], v[16:17], v[2:3]
	v_add_f64 v[8:9], v[86:87], 0
	s_waitcnt vmcnt(30) lgkmcnt(6)
	v_mul_f64 v[92:93], v[18:19], v[54:55]
	s_waitcnt lgkmcnt(5)
	v_mul_f64 v[94:95], v[22:23], v[50:51]
	v_fmac_f64_e32 v[94:95], v[24:25], v[52:53]
	s_waitcnt vmcnt(28) lgkmcnt(3)
	v_mul_f64 v[98:99], v[30:31], v[56:57]
	s_waitcnt vmcnt(26)
	v_fmac_f64_e32 v[98:99], v[32:33], v[58:59]
	s_waitcnt vmcnt(24)
	v_mul_f64 v[96:97], v[26:27], v[60:61]
	s_waitcnt vmcnt(22) lgkmcnt(1)
	v_mul_f64 v[102:103], v[38:39], v[62:63]
	s_waitcnt vmcnt(20)
	v_fmac_f64_e32 v[102:103], v[40:41], v[64:65]
	s_waitcnt vmcnt(18)
	v_mul_f64 v[100:101], v[34:35], v[66:67]
	s_waitcnt vmcnt(16) lgkmcnt(0)
	v_mul_f64 v[104:105], v[42:43], v[68:69]
	s_waitcnt vmcnt(14)
	v_fma_f64 v[6:7], v[10:11], v[70:71], -v[48:49]
	v_add_f64 v[4:5], v[4:5], v[6:7]
	s_waitcnt vmcnt(12)
	v_fma_f64 v[2:3], v[14:15], v[72:73], -v[2:3]
	v_add_f64 v[2:3], v[4:5], v[2:3]
	v_mul_f64 v[4:5], v[20:21], v[54:55]
	s_waitcnt vmcnt(10)
	v_fma_f64 v[4:5], v[18:19], v[74:75], -v[4:5]
	v_add_f64 v[2:3], v[2:3], v[4:5]
	v_mul_f64 v[4:5], v[24:25], v[50:51]
	v_fma_f64 v[4:5], v[22:23], v[52:53], -v[4:5]
	v_add_f64 v[2:3], v[2:3], v[4:5]
	v_mul_f64 v[4:5], v[28:29], v[60:61]
	s_waitcnt vmcnt(8)
	v_fma_f64 v[4:5], v[26:27], v[76:77], -v[4:5]
	v_fmac_f64_e32 v[88:89], v[12:13], v[70:71]
	v_add_f64 v[2:3], v[2:3], v[4:5]
	v_mul_f64 v[4:5], v[32:33], v[56:57]
	v_fmac_f64_e32 v[90:91], v[16:17], v[72:73]
	v_add_f64 v[8:9], v[8:9], v[88:89]
	v_fma_f64 v[4:5], v[30:31], v[58:59], -v[4:5]
	v_fmac_f64_e32 v[92:93], v[20:21], v[74:75]
	v_add_f64 v[6:7], v[8:9], v[90:91]
	v_add_f64 v[2:3], v[2:3], v[4:5]
	v_mul_f64 v[4:5], v[36:37], v[66:67]
	v_add_f64 v[6:7], v[6:7], v[92:93]
	s_waitcnt vmcnt(6)
	v_fma_f64 v[4:5], v[34:35], v[78:79], -v[4:5]
	v_fmac_f64_e32 v[96:97], v[28:29], v[76:77]
	v_add_f64 v[6:7], v[6:7], v[94:95]
	v_add_f64 v[2:3], v[2:3], v[4:5]
	v_mul_f64 v[4:5], v[40:41], v[62:63]
	v_add_f64 v[6:7], v[6:7], v[96:97]
	v_fma_f64 v[4:5], v[38:39], v[64:65], -v[4:5]
	v_fmac_f64_e32 v[100:101], v[36:37], v[78:79]
	v_add_f64 v[6:7], v[6:7], v[98:99]
	v_add_f64 v[2:3], v[2:3], v[4:5]
	v_mul_f64 v[4:5], v[44:45], v[68:69]
	v_add_f64 v[6:7], v[6:7], v[100:101]
	s_waitcnt vmcnt(4)
	v_fma_f64 v[4:5], v[42:43], v[80:81], -v[4:5]
	v_fmac_f64_e32 v[104:105], v[44:45], v[80:81]
	v_add_f64 v[6:7], v[6:7], v[102:103]
	v_add_f64 v[2:3], v[2:3], v[4:5]
	;; [unrolled: 1-line block ×3, first 2 shown]
	s_waitcnt vmcnt(2)
	v_add_f64 v[2:3], v[82:83], -v[2:3]
	s_waitcnt vmcnt(0)
	v_add_f64 v[4:5], v[84:85], -v[6:7]
	buffer_store_dword v3, off, s[0:3], 0 offset:468
	buffer_store_dword v2, off, s[0:3], 0 offset:464
	;; [unrolled: 1-line block ×4, first 2 shown]
	s_and_saveexec_b64 s[4:5], vcc
	s_cbranch_execz .LBB38_193
; %bb.192:
	v_accvgpr_read_b32 v1, a89
	buffer_load_dword v2, v1, s[0:3], 0 offen
	buffer_load_dword v3, v1, s[0:3], 0 offen offset:4
	buffer_load_dword v4, v1, s[0:3], 0 offen offset:8
	;; [unrolled: 1-line block ×3, first 2 shown]
	v_mov_b32_e32 v1, 0
	v_accvgpr_read_b32 v6, a116
	buffer_store_dword v1, off, s[0:3], 0 offset:448
	buffer_store_dword v1, off, s[0:3], 0 offset:452
	;; [unrolled: 1-line block ×4, first 2 shown]
	s_waitcnt vmcnt(4)
	ds_write_b128 v6, v[2:5]
.LBB38_193:
	s_or_b64 exec, exec, s[4:5]
	s_waitcnt lgkmcnt(0)
	; wave barrier
	s_waitcnt lgkmcnt(0)
	buffer_load_dword v2, off, s[0:3], 0 offset:464
	buffer_load_dword v3, off, s[0:3], 0 offset:468
	;; [unrolled: 1-line block ×48, first 2 shown]
	v_mov_b32_e32 v1, 0
	ds_read_b128 v[12:15], v1 offset:1072
	ds_read_b128 v[16:19], v1 offset:1088
	;; [unrolled: 1-line block ×11, first 2 shown]
	v_cmp_lt_u32_e32 vcc, 26, v0
	s_waitcnt vmcnt(44) lgkmcnt(10)
	v_mul_f64 v[94:95], v[12:13], v[6:7]
	v_mul_f64 v[6:7], v[14:15], v[6:7]
	v_fmac_f64_e32 v[94:95], v[14:15], v[2:3]
	v_fma_f64 v[2:3], v[12:13], v[2:3], -v[6:7]
	s_waitcnt vmcnt(40) lgkmcnt(9)
	v_mul_f64 v[96:97], v[16:17], v[8:9]
	v_mul_f64 v[6:7], v[18:19], v[8:9]
	v_fmac_f64_e32 v[96:97], v[18:19], v[4:5]
	v_add_f64 v[2:3], v[2:3], 0
	v_fma_f64 v[4:5], v[16:17], v[4:5], -v[6:7]
	v_add_f64 v[2:3], v[2:3], v[4:5]
	s_waitcnt vmcnt(38) lgkmcnt(8)
	v_mul_f64 v[4:5], v[22:23], v[10:11]
	v_mul_f64 v[98:99], v[20:21], v[10:11]
	v_add_f64 v[94:95], v[94:95], 0
	s_waitcnt vmcnt(32) lgkmcnt(7)
	v_mul_f64 v[100:101], v[24:25], v[60:61]
	v_add_f64 v[94:95], v[94:95], v[96:97]
	s_waitcnt lgkmcnt(6)
	v_mul_f64 v[102:103], v[28:29], v[56:57]
	v_fmac_f64_e32 v[102:103], v[30:31], v[58:59]
	s_waitcnt vmcnt(30) lgkmcnt(4)
	v_mul_f64 v[106:107], v[36:37], v[62:63]
	s_waitcnt vmcnt(26)
	v_mul_f64 v[104:105], v[32:33], v[66:67]
	v_fmac_f64_e32 v[106:107], v[38:39], v[64:65]
	s_waitcnt vmcnt(24) lgkmcnt(2)
	v_mul_f64 v[110:111], v[44:45], v[68:69]
	s_waitcnt vmcnt(22)
	v_fmac_f64_e32 v[110:111], v[46:47], v[70:71]
	s_waitcnt vmcnt(20)
	v_mul_f64 v[108:109], v[40:41], v[72:73]
	s_waitcnt vmcnt(16) lgkmcnt(1)
	v_mul_f64 v[112:113], v[48:49], v[78:79]
	s_waitcnt vmcnt(14)
	v_fma_f64 v[4:5], v[20:21], v[80:81], -v[4:5]
	v_add_f64 v[2:3], v[2:3], v[4:5]
	v_mul_f64 v[4:5], v[26:27], v[60:61]
	s_waitcnt vmcnt(12)
	v_fma_f64 v[4:5], v[24:25], v[82:83], -v[4:5]
	v_add_f64 v[2:3], v[2:3], v[4:5]
	v_mul_f64 v[4:5], v[30:31], v[56:57]
	v_fma_f64 v[4:5], v[28:29], v[58:59], -v[4:5]
	v_add_f64 v[2:3], v[2:3], v[4:5]
	v_mul_f64 v[4:5], v[34:35], v[66:67]
	s_waitcnt vmcnt(10)
	v_fma_f64 v[4:5], v[32:33], v[84:85], -v[4:5]
	v_add_f64 v[2:3], v[2:3], v[4:5]
	v_mul_f64 v[4:5], v[38:39], v[62:63]
	v_fma_f64 v[4:5], v[36:37], v[64:65], -v[4:5]
	v_fmac_f64_e32 v[98:99], v[22:23], v[80:81]
	v_add_f64 v[2:3], v[2:3], v[4:5]
	v_mul_f64 v[4:5], v[42:43], v[72:73]
	v_fmac_f64_e32 v[100:101], v[26:27], v[82:83]
	v_add_f64 v[94:95], v[94:95], v[98:99]
	s_waitcnt vmcnt(8)
	v_fma_f64 v[4:5], v[40:41], v[86:87], -v[4:5]
	v_add_f64 v[94:95], v[94:95], v[100:101]
	v_add_f64 v[2:3], v[2:3], v[4:5]
	v_mul_f64 v[4:5], v[46:47], v[68:69]
	v_fmac_f64_e32 v[104:105], v[34:35], v[84:85]
	v_add_f64 v[94:95], v[94:95], v[102:103]
	v_fma_f64 v[4:5], v[44:45], v[70:71], -v[4:5]
	v_add_f64 v[94:95], v[94:95], v[104:105]
	v_add_f64 v[2:3], v[2:3], v[4:5]
	v_mul_f64 v[4:5], v[50:51], v[78:79]
	v_fmac_f64_e32 v[108:109], v[42:43], v[86:87]
	v_add_f64 v[94:95], v[94:95], v[106:107]
	s_waitcnt vmcnt(6)
	v_fma_f64 v[4:5], v[48:49], v[88:89], -v[4:5]
	v_add_f64 v[94:95], v[94:95], v[108:109]
	v_add_f64 v[2:3], v[2:3], v[4:5]
	s_waitcnt vmcnt(5) lgkmcnt(0)
	v_mul_f64 v[4:5], v[54:55], v[74:75]
	v_fmac_f64_e32 v[112:113], v[50:51], v[88:89]
	v_add_f64 v[94:95], v[94:95], v[110:111]
	v_mul_f64 v[96:97], v[52:53], v[74:75]
	s_waitcnt vmcnt(4)
	v_fma_f64 v[4:5], v[52:53], v[76:77], -v[4:5]
	v_add_f64 v[94:95], v[94:95], v[112:113]
	v_fmac_f64_e32 v[96:97], v[54:55], v[76:77]
	v_add_f64 v[2:3], v[2:3], v[4:5]
	v_add_f64 v[94:95], v[94:95], v[96:97]
	s_waitcnt vmcnt(2)
	v_add_f64 v[2:3], v[90:91], -v[2:3]
	s_waitcnt vmcnt(0)
	v_add_f64 v[4:5], v[92:93], -v[94:95]
	buffer_store_dword v3, off, s[0:3], 0 offset:452
	buffer_store_dword v2, off, s[0:3], 0 offset:448
	;; [unrolled: 1-line block ×4, first 2 shown]
	s_and_saveexec_b64 s[4:5], vcc
	s_cbranch_execz .LBB38_195
; %bb.194:
	v_accvgpr_read_b32 v5, a90
	buffer_load_dword v2, v5, s[0:3], 0 offen
	buffer_load_dword v3, v5, s[0:3], 0 offen offset:4
	buffer_load_dword v4, v5, s[0:3], 0 offen offset:8
	s_nop 0
	buffer_load_dword v5, v5, s[0:3], 0 offen offset:12
	v_accvgpr_read_b32 v6, a116
	buffer_store_dword v1, off, s[0:3], 0 offset:432
	buffer_store_dword v1, off, s[0:3], 0 offset:436
	;; [unrolled: 1-line block ×4, first 2 shown]
	s_waitcnt vmcnt(4)
	ds_write_b128 v6, v[2:5]
.LBB38_195:
	s_or_b64 exec, exec, s[4:5]
	s_waitcnt lgkmcnt(0)
	; wave barrier
	s_waitcnt lgkmcnt(0)
	buffer_load_dword v2, off, s[0:3], 0 offset:448
	buffer_load_dword v3, off, s[0:3], 0 offset:452
	;; [unrolled: 1-line block ×52, first 2 shown]
	ds_read_b128 v[12:15], v1 offset:1056
	ds_read_b128 v[16:19], v1 offset:1072
	;; [unrolled: 1-line block ×10, first 2 shown]
	v_cmp_lt_u32_e32 vcc, 25, v0
	s_waitcnt vmcnt(48) lgkmcnt(9)
	v_mul_f64 v[52:53], v[12:13], v[6:7]
	v_mul_f64 v[6:7], v[14:15], v[6:7]
	v_fmac_f64_e32 v[52:53], v[14:15], v[2:3]
	v_fma_f64 v[2:3], v[12:13], v[2:3], -v[6:7]
	s_waitcnt vmcnt(44) lgkmcnt(8)
	v_mul_f64 v[54:55], v[16:17], v[8:9]
	v_mul_f64 v[6:7], v[18:19], v[8:9]
	v_fmac_f64_e32 v[54:55], v[18:19], v[4:5]
	v_add_f64 v[2:3], v[2:3], 0
	v_fma_f64 v[4:5], v[16:17], v[4:5], -v[6:7]
	v_add_f64 v[2:3], v[2:3], v[4:5]
	s_waitcnt vmcnt(42) lgkmcnt(7)
	v_mul_f64 v[4:5], v[22:23], v[10:11]
	v_mul_f64 v[56:57], v[20:21], v[10:11]
	v_add_f64 v[52:53], v[52:53], 0
	s_waitcnt vmcnt(36) lgkmcnt(6)
	v_mul_f64 v[58:59], v[24:25], v[64:65]
	v_add_f64 v[52:53], v[52:53], v[54:55]
	s_waitcnt lgkmcnt(5)
	v_mul_f64 v[102:103], v[28:29], v[60:61]
	v_fmac_f64_e32 v[102:103], v[30:31], v[62:63]
	s_waitcnt vmcnt(34) lgkmcnt(3)
	v_mul_f64 v[106:107], v[36:37], v[66:67]
	s_waitcnt vmcnt(30)
	v_mul_f64 v[104:105], v[32:33], v[70:71]
	v_fmac_f64_e32 v[106:107], v[38:39], v[68:69]
	s_waitcnt vmcnt(26) lgkmcnt(2)
	v_mul_f64 v[108:109], v[40:41], v[76:77]
	s_waitcnt vmcnt(25) lgkmcnt(1)
	v_mul_f64 v[110:111], v[44:45], v[72:73]
	s_waitcnt vmcnt(23)
	v_fma_f64 v[4:5], v[20:21], v[78:79], -v[4:5]
	v_add_f64 v[2:3], v[2:3], v[4:5]
	v_mul_f64 v[4:5], v[26:27], v[64:65]
	s_waitcnt vmcnt(21)
	v_fma_f64 v[4:5], v[24:25], v[80:81], -v[4:5]
	v_fmac_f64_e32 v[56:57], v[22:23], v[78:79]
	v_add_f64 v[2:3], v[2:3], v[4:5]
	v_mul_f64 v[4:5], v[30:31], v[60:61]
	v_fmac_f64_e32 v[58:59], v[26:27], v[80:81]
	v_add_f64 v[52:53], v[52:53], v[56:57]
	v_fma_f64 v[4:5], v[28:29], v[62:63], -v[4:5]
	v_add_f64 v[52:53], v[52:53], v[58:59]
	v_add_f64 v[2:3], v[2:3], v[4:5]
	v_mul_f64 v[4:5], v[34:35], v[70:71]
	s_waitcnt vmcnt(19)
	v_fmac_f64_e32 v[104:105], v[34:35], v[82:83]
	v_add_f64 v[52:53], v[52:53], v[102:103]
	v_fma_f64 v[4:5], v[32:33], v[82:83], -v[4:5]
	v_add_f64 v[52:53], v[52:53], v[104:105]
	v_add_f64 v[2:3], v[2:3], v[4:5]
	v_mul_f64 v[4:5], v[38:39], v[66:67]
	s_waitcnt vmcnt(17)
	v_fmac_f64_e32 v[108:109], v[42:43], v[84:85]
	v_add_f64 v[52:53], v[52:53], v[106:107]
	v_fma_f64 v[4:5], v[36:37], v[68:69], -v[4:5]
	s_waitcnt vmcnt(16)
	v_fmac_f64_e32 v[110:111], v[46:47], v[74:75]
	v_add_f64 v[52:53], v[52:53], v[108:109]
	v_add_f64 v[2:3], v[2:3], v[4:5]
	v_mul_f64 v[4:5], v[42:43], v[76:77]
	v_add_f64 v[102:103], v[52:53], v[110:111]
	ds_read_b128 v[52:55], v1 offset:1216
	ds_read_b128 v[56:59], v1 offset:1232
	v_fma_f64 v[4:5], v[40:41], v[84:85], -v[4:5]
	v_add_f64 v[2:3], v[2:3], v[4:5]
	v_mul_f64 v[4:5], v[46:47], v[72:73]
	v_fma_f64 v[4:5], v[44:45], v[74:75], -v[4:5]
	v_add_f64 v[2:3], v[2:3], v[4:5]
	s_waitcnt vmcnt(12) lgkmcnt(2)
	v_mul_f64 v[4:5], v[50:51], v[90:91]
	v_mul_f64 v[104:105], v[48:49], v[90:91]
	s_waitcnt vmcnt(10)
	v_fma_f64 v[4:5], v[48:49], v[92:93], -v[4:5]
	v_fmac_f64_e32 v[104:105], v[50:51], v[92:93]
	v_add_f64 v[2:3], v[2:3], v[4:5]
	s_waitcnt vmcnt(8) lgkmcnt(1)
	v_mul_f64 v[4:5], v[54:55], v[86:87]
	v_add_f64 v[102:103], v[102:103], v[104:105]
	v_mul_f64 v[104:105], v[52:53], v[86:87]
	v_fma_f64 v[4:5], v[52:53], v[88:89], -v[4:5]
	v_fmac_f64_e32 v[104:105], v[54:55], v[88:89]
	v_add_f64 v[2:3], v[2:3], v[4:5]
	s_waitcnt vmcnt(6) lgkmcnt(0)
	v_mul_f64 v[4:5], v[58:59], v[94:95]
	v_add_f64 v[102:103], v[102:103], v[104:105]
	v_mul_f64 v[104:105], v[56:57], v[94:95]
	s_waitcnt vmcnt(4)
	v_fma_f64 v[4:5], v[56:57], v[96:97], -v[4:5]
	v_fmac_f64_e32 v[104:105], v[58:59], v[96:97]
	v_add_f64 v[2:3], v[2:3], v[4:5]
	v_add_f64 v[102:103], v[102:103], v[104:105]
	s_waitcnt vmcnt(2)
	v_add_f64 v[2:3], v[98:99], -v[2:3]
	s_waitcnt vmcnt(0)
	v_add_f64 v[4:5], v[100:101], -v[102:103]
	buffer_store_dword v3, off, s[0:3], 0 offset:436
	buffer_store_dword v2, off, s[0:3], 0 offset:432
	;; [unrolled: 1-line block ×4, first 2 shown]
	s_and_saveexec_b64 s[4:5], vcc
	s_cbranch_execz .LBB38_197
; %bb.196:
	v_accvgpr_read_b32 v1, a91
	buffer_load_dword v2, v1, s[0:3], 0 offen
	buffer_load_dword v3, v1, s[0:3], 0 offen offset:4
	buffer_load_dword v4, v1, s[0:3], 0 offen offset:8
	;; [unrolled: 1-line block ×3, first 2 shown]
	v_mov_b32_e32 v1, 0
	v_accvgpr_read_b32 v6, a116
	buffer_store_dword v1, off, s[0:3], 0 offset:416
	buffer_store_dword v1, off, s[0:3], 0 offset:420
	;; [unrolled: 1-line block ×4, first 2 shown]
	s_waitcnt vmcnt(4)
	ds_write_b128 v6, v[2:5]
.LBB38_197:
	s_or_b64 exec, exec, s[4:5]
	s_waitcnt lgkmcnt(0)
	; wave barrier
	s_waitcnt lgkmcnt(0)
	buffer_load_dword v2, off, s[0:3], 0 offset:432
	buffer_load_dword v3, off, s[0:3], 0 offset:436
	;; [unrolled: 1-line block ×56, first 2 shown]
	v_mov_b32_e32 v1, 0
	ds_read_b128 v[18:21], v1 offset:1040
	ds_read_b128 v[22:25], v1 offset:1056
	;; [unrolled: 1-line block ×9, first 2 shown]
	v_cmp_lt_u32_e32 vcc, 24, v0
	s_waitcnt vmcnt(52) lgkmcnt(8)
	v_mul_f64 v[50:51], v[18:19], v[6:7]
	v_fmac_f64_e32 v[50:51], v[20:21], v[2:3]
	v_mul_f64 v[6:7], v[20:21], v[6:7]
	v_add_f64 v[50:51], v[50:51], 0
	s_waitcnt vmcnt(48) lgkmcnt(7)
	v_mul_f64 v[52:53], v[22:23], v[8:9]
	v_fmac_f64_e32 v[52:53], v[24:25], v[4:5]
	s_waitcnt vmcnt(46) lgkmcnt(6)
	v_mul_f64 v[54:55], v[26:27], v[10:11]
	v_fma_f64 v[2:3], v[18:19], v[2:3], -v[6:7]
	v_mul_f64 v[6:7], v[24:25], v[8:9]
	v_add_f64 v[50:51], v[50:51], v[52:53]
	v_add_f64 v[2:3], v[2:3], 0
	v_fma_f64 v[4:5], v[22:23], v[4:5], -v[6:7]
	s_waitcnt vmcnt(40) lgkmcnt(5)
	v_mul_f64 v[56:57], v[30:31], v[16:17]
	s_waitcnt lgkmcnt(4)
	v_mul_f64 v[58:59], v[34:35], v[12:13]
	v_add_f64 v[2:3], v[2:3], v[4:5]
	v_mul_f64 v[4:5], v[28:29], v[10:11]
	s_waitcnt vmcnt(36) lgkmcnt(3)
	v_mul_f64 v[60:61], v[38:39], v[74:75]
	v_fmac_f64_e32 v[58:59], v[36:37], v[14:15]
	s_waitcnt vmcnt(35) lgkmcnt(2)
	v_mul_f64 v[62:63], v[42:43], v[70:71]
	s_waitcnt vmcnt(33)
	v_fmac_f64_e32 v[54:55], v[28:29], v[76:77]
	v_add_f64 v[50:51], v[50:51], v[54:55]
	s_waitcnt vmcnt(31)
	v_fmac_f64_e32 v[56:57], v[32:33], v[78:79]
	v_add_f64 v[50:51], v[50:51], v[56:57]
	v_fma_f64 v[4:5], v[26:27], v[76:77], -v[4:5]
	s_waitcnt vmcnt(29)
	v_fmac_f64_e32 v[60:61], v[40:41], v[80:81]
	v_add_f64 v[50:51], v[50:51], v[58:59]
	v_add_f64 v[2:3], v[2:3], v[4:5]
	v_mul_f64 v[4:5], v[32:33], v[16:17]
	s_waitcnt vmcnt(28)
	v_fmac_f64_e32 v[62:63], v[44:45], v[72:73]
	v_add_f64 v[50:51], v[50:51], v[60:61]
	v_fma_f64 v[4:5], v[30:31], v[78:79], -v[4:5]
	v_add_f64 v[54:55], v[50:51], v[62:63]
	ds_read_b128 v[50:53], v1 offset:1168
	s_waitcnt vmcnt(24) lgkmcnt(2)
	v_mul_f64 v[56:57], v[46:47], v[86:87]
	v_add_f64 v[2:3], v[2:3], v[4:5]
	v_mul_f64 v[4:5], v[36:37], v[12:13]
	s_waitcnt vmcnt(22)
	v_fmac_f64_e32 v[56:57], v[48:49], v[88:89]
	v_fma_f64 v[4:5], v[34:35], v[14:15], -v[4:5]
	v_add_f64 v[58:59], v[54:55], v[56:57]
	ds_read_b128 v[54:57], v1 offset:1184
	v_add_f64 v[2:3], v[2:3], v[4:5]
	v_mul_f64 v[4:5], v[40:41], v[74:75]
	v_fma_f64 v[4:5], v[38:39], v[80:81], -v[4:5]
	v_add_f64 v[2:3], v[2:3], v[4:5]
	v_mul_f64 v[4:5], v[44:45], v[70:71]
	s_waitcnt vmcnt(20) lgkmcnt(1)
	v_mul_f64 v[60:61], v[50:51], v[82:83]
	v_fma_f64 v[4:5], v[42:43], v[72:73], -v[4:5]
	v_fmac_f64_e32 v[60:61], v[52:53], v[84:85]
	v_add_f64 v[2:3], v[2:3], v[4:5]
	v_mul_f64 v[4:5], v[48:49], v[86:87]
	v_add_f64 v[62:63], v[58:59], v[60:61]
	ds_read_b128 v[58:61], v1 offset:1200
	s_waitcnt vmcnt(16) lgkmcnt(1)
	v_mul_f64 v[64:65], v[54:55], v[94:95]
	v_fma_f64 v[4:5], v[46:47], v[88:89], -v[4:5]
	s_waitcnt vmcnt(14)
	v_fmac_f64_e32 v[64:65], v[56:57], v[96:97]
	v_add_f64 v[2:3], v[2:3], v[4:5]
	v_mul_f64 v[4:5], v[52:53], v[82:83]
	v_add_f64 v[110:111], v[62:63], v[64:65]
	ds_read_b128 v[62:65], v1 offset:1216
	v_fma_f64 v[4:5], v[50:51], v[84:85], -v[4:5]
	v_add_f64 v[2:3], v[2:3], v[4:5]
	v_mul_f64 v[4:5], v[56:57], v[94:95]
	v_fma_f64 v[4:5], v[54:55], v[96:97], -v[4:5]
	v_add_f64 v[2:3], v[2:3], v[4:5]
	s_waitcnt vmcnt(12) lgkmcnt(1)
	v_mul_f64 v[4:5], v[60:61], v[90:91]
	v_mul_f64 v[112:113], v[58:59], v[90:91]
	v_fma_f64 v[4:5], v[58:59], v[92:93], -v[4:5]
	v_fmac_f64_e32 v[112:113], v[60:61], v[92:93]
	v_add_f64 v[2:3], v[2:3], v[4:5]
	s_waitcnt vmcnt(8) lgkmcnt(0)
	v_mul_f64 v[4:5], v[64:65], v[102:103]
	v_add_f64 v[110:111], v[110:111], v[112:113]
	v_mul_f64 v[112:113], v[62:63], v[102:103]
	s_waitcnt vmcnt(6)
	v_fma_f64 v[4:5], v[62:63], v[104:105], -v[4:5]
	v_fmac_f64_e32 v[112:113], v[64:65], v[104:105]
	v_add_f64 v[2:3], v[2:3], v[4:5]
	s_waitcnt vmcnt(5)
	v_mul_f64 v[4:5], v[68:69], v[98:99]
	v_add_f64 v[110:111], v[110:111], v[112:113]
	v_mul_f64 v[112:113], v[66:67], v[98:99]
	s_waitcnt vmcnt(4)
	v_fma_f64 v[4:5], v[66:67], v[100:101], -v[4:5]
	v_fmac_f64_e32 v[112:113], v[68:69], v[100:101]
	v_add_f64 v[2:3], v[2:3], v[4:5]
	v_add_f64 v[110:111], v[110:111], v[112:113]
	s_waitcnt vmcnt(2)
	v_add_f64 v[2:3], v[106:107], -v[2:3]
	s_waitcnt vmcnt(0)
	v_add_f64 v[4:5], v[108:109], -v[110:111]
	buffer_store_dword v3, off, s[0:3], 0 offset:420
	buffer_store_dword v2, off, s[0:3], 0 offset:416
	;; [unrolled: 1-line block ×4, first 2 shown]
	s_and_saveexec_b64 s[4:5], vcc
	s_cbranch_execz .LBB38_199
; %bb.198:
	v_accvgpr_read_b32 v5, a92
	buffer_load_dword v2, v5, s[0:3], 0 offen
	buffer_load_dword v3, v5, s[0:3], 0 offen offset:4
	buffer_load_dword v4, v5, s[0:3], 0 offen offset:8
	s_nop 0
	buffer_load_dword v5, v5, s[0:3], 0 offen offset:12
	v_accvgpr_read_b32 v6, a116
	buffer_store_dword v1, off, s[0:3], 0 offset:400
	buffer_store_dword v1, off, s[0:3], 0 offset:404
	;; [unrolled: 1-line block ×4, first 2 shown]
	s_waitcnt vmcnt(4)
	ds_write_b128 v6, v[2:5]
.LBB38_199:
	s_or_b64 exec, exec, s[4:5]
	s_waitcnt lgkmcnt(0)
	; wave barrier
	s_waitcnt lgkmcnt(0)
	buffer_load_dword v2, off, s[0:3], 0 offset:416
	buffer_load_dword v3, off, s[0:3], 0 offset:420
	;; [unrolled: 1-line block ×60, first 2 shown]
	ds_read_b128 v[24:27], v1 offset:1024
	ds_read_b128 v[28:31], v1 offset:1040
	;; [unrolled: 1-line block ×8, first 2 shown]
	v_cmp_lt_u32_e32 vcc, 23, v0
	ds_read_b128 v[76:79], v1 offset:1232
	s_waitcnt vmcnt(56) lgkmcnt(8)
	v_mul_f64 v[56:57], v[24:25], v[6:7]
	v_fmac_f64_e32 v[56:57], v[26:27], v[2:3]
	v_add_f64 v[56:57], v[56:57], 0
	v_mul_f64 v[6:7], v[26:27], v[6:7]
	s_waitcnt vmcnt(52) lgkmcnt(7)
	v_mul_f64 v[58:59], v[28:29], v[8:9]
	v_fmac_f64_e32 v[58:59], v[30:31], v[4:5]
	s_waitcnt vmcnt(50) lgkmcnt(6)
	v_mul_f64 v[60:61], v[32:33], v[10:11]
	v_add_f64 v[56:57], v[56:57], v[58:59]
	s_waitcnt vmcnt(48) lgkmcnt(4)
	v_mul_f64 v[64:65], v[40:41], v[12:13]
	v_fma_f64 v[2:3], v[24:25], v[2:3], -v[6:7]
	s_waitcnt vmcnt(46)
	v_fmac_f64_e32 v[64:65], v[42:43], v[14:15]
	v_mul_f64 v[6:7], v[30:31], v[8:9]
	s_waitcnt vmcnt(44)
	v_mul_f64 v[62:63], v[36:37], v[16:17]
	v_add_f64 v[2:3], v[2:3], 0
	v_fma_f64 v[4:5], v[28:29], v[4:5], -v[6:7]
	v_add_f64 v[2:3], v[2:3], v[4:5]
	s_waitcnt vmcnt(40) lgkmcnt(3)
	v_mul_f64 v[66:67], v[44:45], v[22:23]
	v_mul_f64 v[4:5], v[34:35], v[10:11]
	s_waitcnt vmcnt(38)
	v_fmac_f64_e32 v[60:61], v[34:35], v[80:81]
	v_add_f64 v[56:57], v[56:57], v[60:61]
	s_waitcnt vmcnt(36)
	v_fmac_f64_e32 v[62:63], v[38:39], v[82:83]
	v_add_f64 v[56:57], v[56:57], v[62:63]
	;; [unrolled: 3-line block ×3, first 2 shown]
	s_waitcnt vmcnt(32) lgkmcnt(2)
	v_mul_f64 v[58:59], v[48:49], v[18:19]
	v_add_f64 v[56:57], v[56:57], v[66:67]
	v_fmac_f64_e32 v[58:59], v[50:51], v[20:21]
	v_add_f64 v[60:61], v[56:57], v[58:59]
	ds_read_b128 v[56:59], v1 offset:1152
	v_fma_f64 v[4:5], v[32:33], v[80:81], -v[4:5]
	v_add_f64 v[2:3], v[2:3], v[4:5]
	v_mul_f64 v[4:5], v[38:39], v[16:17]
	v_fma_f64 v[4:5], v[36:37], v[82:83], -v[4:5]
	s_waitcnt vmcnt(28) lgkmcnt(2)
	v_mul_f64 v[62:63], v[52:53], v[90:91]
	v_add_f64 v[2:3], v[2:3], v[4:5]
	v_mul_f64 v[4:5], v[42:43], v[12:13]
	s_waitcnt vmcnt(26)
	v_fmac_f64_e32 v[62:63], v[54:55], v[92:93]
	v_fma_f64 v[4:5], v[40:41], v[14:15], -v[4:5]
	v_add_f64 v[64:65], v[60:61], v[62:63]
	ds_read_b128 v[60:63], v1 offset:1168
	s_waitcnt vmcnt(24) lgkmcnt(1)
	v_mul_f64 v[66:67], v[56:57], v[86:87]
	v_add_f64 v[2:3], v[2:3], v[4:5]
	v_mul_f64 v[4:5], v[46:47], v[22:23]
	v_fmac_f64_e32 v[66:67], v[58:59], v[88:89]
	v_fma_f64 v[4:5], v[44:45], v[84:85], -v[4:5]
	v_add_f64 v[68:69], v[64:65], v[66:67]
	ds_read_b128 v[64:67], v1 offset:1184
	v_add_f64 v[2:3], v[2:3], v[4:5]
	v_mul_f64 v[4:5], v[50:51], v[18:19]
	v_fma_f64 v[4:5], v[48:49], v[20:21], -v[4:5]
	v_add_f64 v[2:3], v[2:3], v[4:5]
	v_mul_f64 v[4:5], v[54:55], v[90:91]
	s_waitcnt vmcnt(20) lgkmcnt(1)
	v_mul_f64 v[70:71], v[60:61], v[98:99]
	v_fma_f64 v[4:5], v[52:53], v[92:93], -v[4:5]
	s_waitcnt vmcnt(18)
	v_fmac_f64_e32 v[70:71], v[62:63], v[100:101]
	v_add_f64 v[2:3], v[2:3], v[4:5]
	v_mul_f64 v[4:5], v[58:59], v[86:87]
	v_add_f64 v[72:73], v[68:69], v[70:71]
	ds_read_b128 v[68:71], v1 offset:1200
	s_waitcnt vmcnt(16) lgkmcnt(1)
	v_mul_f64 v[74:75], v[64:65], v[94:95]
	v_fma_f64 v[4:5], v[56:57], v[88:89], -v[4:5]
	v_fmac_f64_e32 v[74:75], v[66:67], v[96:97]
	v_add_f64 v[2:3], v[2:3], v[4:5]
	v_mul_f64 v[4:5], v[62:63], v[98:99]
	v_add_f64 v[120:121], v[72:73], v[74:75]
	ds_read_b128 v[72:75], v1 offset:1216
	v_fma_f64 v[4:5], v[60:61], v[100:101], -v[4:5]
	v_add_f64 v[2:3], v[2:3], v[4:5]
	v_mul_f64 v[4:5], v[66:67], v[94:95]
	v_fma_f64 v[4:5], v[64:65], v[96:97], -v[4:5]
	v_add_f64 v[2:3], v[2:3], v[4:5]
	s_waitcnt vmcnt(12) lgkmcnt(1)
	v_mul_f64 v[4:5], v[70:71], v[106:107]
	v_mul_f64 v[122:123], v[68:69], v[106:107]
	s_waitcnt vmcnt(10)
	v_fma_f64 v[4:5], v[68:69], v[108:109], -v[4:5]
	v_fmac_f64_e32 v[122:123], v[70:71], v[108:109]
	v_add_f64 v[2:3], v[2:3], v[4:5]
	s_waitcnt vmcnt(8) lgkmcnt(0)
	v_mul_f64 v[4:5], v[74:75], v[102:103]
	v_add_f64 v[120:121], v[120:121], v[122:123]
	v_mul_f64 v[122:123], v[72:73], v[102:103]
	v_fma_f64 v[4:5], v[72:73], v[104:105], -v[4:5]
	v_fmac_f64_e32 v[122:123], v[74:75], v[104:105]
	v_add_f64 v[2:3], v[2:3], v[4:5]
	s_waitcnt vmcnt(6)
	v_mul_f64 v[4:5], v[78:79], v[110:111]
	v_add_f64 v[120:121], v[120:121], v[122:123]
	v_mul_f64 v[122:123], v[76:77], v[110:111]
	s_waitcnt vmcnt(4)
	v_fma_f64 v[4:5], v[76:77], v[112:113], -v[4:5]
	v_fmac_f64_e32 v[122:123], v[78:79], v[112:113]
	v_add_f64 v[2:3], v[2:3], v[4:5]
	v_add_f64 v[120:121], v[120:121], v[122:123]
	s_waitcnt vmcnt(2)
	v_add_f64 v[2:3], v[114:115], -v[2:3]
	s_waitcnt vmcnt(0)
	v_add_f64 v[4:5], v[116:117], -v[120:121]
	buffer_store_dword v3, off, s[0:3], 0 offset:404
	buffer_store_dword v2, off, s[0:3], 0 offset:400
	;; [unrolled: 1-line block ×4, first 2 shown]
	s_and_saveexec_b64 s[4:5], vcc
	s_cbranch_execz .LBB38_201
; %bb.200:
	v_accvgpr_read_b32 v1, a93
	buffer_load_dword v2, v1, s[0:3], 0 offen
	buffer_load_dword v3, v1, s[0:3], 0 offen offset:4
	buffer_load_dword v4, v1, s[0:3], 0 offen offset:8
	;; [unrolled: 1-line block ×3, first 2 shown]
	v_mov_b32_e32 v1, 0
	v_accvgpr_read_b32 v6, a116
	buffer_store_dword v1, off, s[0:3], 0 offset:384
	buffer_store_dword v1, off, s[0:3], 0 offset:388
	;; [unrolled: 1-line block ×4, first 2 shown]
	s_waitcnt vmcnt(4)
	ds_write_b128 v6, v[2:5]
.LBB38_201:
	s_or_b64 exec, exec, s[4:5]
	s_waitcnt lgkmcnt(0)
	; wave barrier
	s_waitcnt lgkmcnt(0)
	buffer_load_dword v2, off, s[0:3], 0 offset:400
	buffer_load_dword v3, off, s[0:3], 0 offset:404
	;; [unrolled: 1-line block ×64, first 2 shown]
	v_mov_b32_e32 v1, 0
	ds_read_b128 v[30:33], v1 offset:1008
	ds_read_b128 v[34:37], v1 offset:1024
	;; [unrolled: 1-line block ×7, first 2 shown]
	v_cmp_lt_u32_e32 vcc, 22, v0
	s_waitcnt vmcnt(60) lgkmcnt(6)
	v_mul_f64 v[54:55], v[30:31], v[6:7]
	v_fmac_f64_e32 v[54:55], v[32:33], v[2:3]
	v_add_f64 v[54:55], v[54:55], 0
	v_mul_f64 v[6:7], v[32:33], v[6:7]
	s_waitcnt vmcnt(56) lgkmcnt(5)
	v_mul_f64 v[56:57], v[34:35], v[8:9]
	v_fmac_f64_e32 v[56:57], v[36:37], v[4:5]
	s_waitcnt vmcnt(54) lgkmcnt(4)
	v_mul_f64 v[58:59], v[38:39], v[10:11]
	v_add_f64 v[54:55], v[54:55], v[56:57]
	v_fma_f64 v[2:3], v[30:31], v[2:3], -v[6:7]
	v_mul_f64 v[6:7], v[36:37], v[8:9]
	s_waitcnt vmcnt(50) lgkmcnt(3)
	v_mul_f64 v[60:61], v[42:43], v[16:17]
	s_waitcnt vmcnt(49) lgkmcnt(2)
	v_mul_f64 v[62:63], v[46:47], v[12:13]
	v_add_f64 v[2:3], v[2:3], 0
	s_waitcnt vmcnt(47)
	v_fmac_f64_e32 v[58:59], v[40:41], v[20:21]
	v_add_f64 v[54:55], v[54:55], v[58:59]
	s_waitcnt vmcnt(45)
	v_fmac_f64_e32 v[60:61], v[44:45], v[18:19]
	;; [unrolled: 3-line block ×3, first 2 shown]
	v_add_f64 v[58:59], v[54:55], v[62:63]
	ds_read_b128 v[54:57], v1 offset:1104
	s_waitcnt vmcnt(40) lgkmcnt(2)
	v_mul_f64 v[60:61], v[50:51], v[26:27]
	v_fma_f64 v[4:5], v[34:35], v[4:5], -v[6:7]
	s_waitcnt vmcnt(38)
	v_fmac_f64_e32 v[60:61], v[52:53], v[28:29]
	v_add_f64 v[62:63], v[58:59], v[60:61]
	ds_read_b128 v[58:61], v1 offset:1120
	s_waitcnt vmcnt(36) lgkmcnt(1)
	v_mul_f64 v[64:65], v[54:55], v[22:23]
	v_fmac_f64_e32 v[64:65], v[56:57], v[24:25]
	v_add_f64 v[2:3], v[2:3], v[4:5]
	v_mul_f64 v[4:5], v[40:41], v[10:11]
	v_add_f64 v[66:67], v[62:63], v[64:65]
	ds_read_b128 v[62:65], v1 offset:1136
	s_waitcnt vmcnt(32) lgkmcnt(1)
	v_mul_f64 v[68:69], v[58:59], v[94:95]
	v_fma_f64 v[4:5], v[38:39], v[20:21], -v[4:5]
	s_waitcnt vmcnt(30)
	v_fmac_f64_e32 v[68:69], v[60:61], v[96:97]
	v_add_f64 v[2:3], v[2:3], v[4:5]
	v_mul_f64 v[4:5], v[44:45], v[16:17]
	v_add_f64 v[70:71], v[66:67], v[68:69]
	ds_read_b128 v[66:69], v1 offset:1152
	v_fma_f64 v[4:5], v[42:43], v[18:19], -v[4:5]
	v_add_f64 v[2:3], v[2:3], v[4:5]
	v_mul_f64 v[4:5], v[48:49], v[12:13]
	v_fma_f64 v[4:5], v[46:47], v[14:15], -v[4:5]
	s_waitcnt vmcnt(28) lgkmcnt(1)
	v_mul_f64 v[72:73], v[62:63], v[90:91]
	v_add_f64 v[2:3], v[2:3], v[4:5]
	v_mul_f64 v[4:5], v[52:53], v[26:27]
	v_fmac_f64_e32 v[72:73], v[64:65], v[92:93]
	v_fma_f64 v[4:5], v[50:51], v[28:29], -v[4:5]
	v_add_f64 v[74:75], v[70:71], v[72:73]
	ds_read_b128 v[70:73], v1 offset:1168
	s_waitcnt vmcnt(24) lgkmcnt(1)
	v_mul_f64 v[76:77], v[66:67], v[102:103]
	v_add_f64 v[2:3], v[2:3], v[4:5]
	v_mul_f64 v[4:5], v[56:57], v[22:23]
	s_waitcnt vmcnt(22)
	v_fmac_f64_e32 v[76:77], v[68:69], v[104:105]
	v_fma_f64 v[4:5], v[54:55], v[24:25], -v[4:5]
	v_add_f64 v[78:79], v[74:75], v[76:77]
	ds_read_b128 v[74:77], v1 offset:1184
	v_add_f64 v[2:3], v[2:3], v[4:5]
	v_mul_f64 v[4:5], v[60:61], v[94:95]
	v_fma_f64 v[4:5], v[58:59], v[96:97], -v[4:5]
	v_add_f64 v[2:3], v[2:3], v[4:5]
	v_mul_f64 v[4:5], v[64:65], v[90:91]
	s_waitcnt vmcnt(20) lgkmcnt(1)
	v_mul_f64 v[80:81], v[70:71], v[98:99]
	v_fma_f64 v[4:5], v[62:63], v[92:93], -v[4:5]
	v_fmac_f64_e32 v[80:81], v[72:73], v[100:101]
	v_add_f64 v[2:3], v[2:3], v[4:5]
	v_mul_f64 v[4:5], v[68:69], v[102:103]
	v_add_f64 v[82:83], v[78:79], v[80:81]
	ds_read_b128 v[78:81], v1 offset:1200
	s_waitcnt vmcnt(16) lgkmcnt(1)
	v_mul_f64 v[84:85], v[74:75], v[110:111]
	v_fma_f64 v[4:5], v[66:67], v[104:105], -v[4:5]
	s_waitcnt vmcnt(14)
	v_fmac_f64_e32 v[84:85], v[76:77], v[112:113]
	v_add_f64 v[2:3], v[2:3], v[4:5]
	v_mul_f64 v[4:5], v[72:73], v[98:99]
	v_add_f64 v[128:129], v[82:83], v[84:85]
	ds_read_b128 v[82:85], v1 offset:1216
	v_fma_f64 v[4:5], v[70:71], v[100:101], -v[4:5]
	v_add_f64 v[2:3], v[2:3], v[4:5]
	v_mul_f64 v[4:5], v[76:77], v[110:111]
	v_fma_f64 v[4:5], v[74:75], v[112:113], -v[4:5]
	v_add_f64 v[2:3], v[2:3], v[4:5]
	s_waitcnt vmcnt(12) lgkmcnt(1)
	v_mul_f64 v[4:5], v[80:81], v[106:107]
	v_mul_f64 v[130:131], v[78:79], v[106:107]
	v_fma_f64 v[4:5], v[78:79], v[108:109], -v[4:5]
	v_fmac_f64_e32 v[130:131], v[80:81], v[108:109]
	v_add_f64 v[2:3], v[2:3], v[4:5]
	s_waitcnt vmcnt(8) lgkmcnt(0)
	v_mul_f64 v[4:5], v[84:85], v[120:121]
	v_add_f64 v[128:129], v[128:129], v[130:131]
	v_mul_f64 v[130:131], v[82:83], v[120:121]
	s_waitcnt vmcnt(6)
	v_fma_f64 v[4:5], v[82:83], v[122:123], -v[4:5]
	v_fmac_f64_e32 v[130:131], v[84:85], v[122:123]
	v_add_f64 v[2:3], v[2:3], v[4:5]
	s_waitcnt vmcnt(5)
	v_mul_f64 v[4:5], v[88:89], v[114:115]
	v_add_f64 v[128:129], v[128:129], v[130:131]
	v_mul_f64 v[130:131], v[86:87], v[114:115]
	s_waitcnt vmcnt(4)
	v_fma_f64 v[4:5], v[86:87], v[116:117], -v[4:5]
	v_fmac_f64_e32 v[130:131], v[88:89], v[116:117]
	v_add_f64 v[2:3], v[2:3], v[4:5]
	v_add_f64 v[128:129], v[128:129], v[130:131]
	s_waitcnt vmcnt(2)
	v_add_f64 v[2:3], v[124:125], -v[2:3]
	s_waitcnt vmcnt(0)
	v_add_f64 v[4:5], v[126:127], -v[128:129]
	buffer_store_dword v3, off, s[0:3], 0 offset:388
	buffer_store_dword v2, off, s[0:3], 0 offset:384
	;; [unrolled: 1-line block ×4, first 2 shown]
	s_and_saveexec_b64 s[4:5], vcc
	s_cbranch_execz .LBB38_203
; %bb.202:
	v_accvgpr_read_b32 v5, a94
	buffer_load_dword v2, v5, s[0:3], 0 offen
	buffer_load_dword v3, v5, s[0:3], 0 offen offset:4
	buffer_load_dword v4, v5, s[0:3], 0 offen offset:8
	s_nop 0
	buffer_load_dword v5, v5, s[0:3], 0 offen offset:12
	v_accvgpr_read_b32 v6, a116
	buffer_store_dword v1, off, s[0:3], 0 offset:368
	buffer_store_dword v1, off, s[0:3], 0 offset:372
	;; [unrolled: 1-line block ×4, first 2 shown]
	s_waitcnt vmcnt(4)
	ds_write_b128 v6, v[2:5]
.LBB38_203:
	s_or_b64 exec, exec, s[4:5]
	s_waitcnt lgkmcnt(0)
	; wave barrier
	s_waitcnt lgkmcnt(0)
	buffer_load_dword v2, off, s[0:3], 0 offset:384
	buffer_load_dword v3, off, s[0:3], 0 offset:388
	;; [unrolled: 1-line block ×64, first 2 shown]
	ds_read_b128 v[38:41], v1 offset:992
	ds_read_b128 v[42:45], v1 offset:1008
	;; [unrolled: 1-line block ×4, first 2 shown]
	buffer_load_dword v132, off, s[0:3], 0 offset:368
	buffer_load_dword v133, off, s[0:3], 0 offset:372
	;; [unrolled: 1-line block ×4, first 2 shown]
	v_cmp_lt_u32_e32 vcc, 21, v0
	ds_read_b128 v[98:101], v1 offset:1232
	s_waitcnt vmcnt(62) lgkmcnt(4)
	v_mul_f64 v[54:55], v[38:39], v[4:5]
	v_fmac_f64_e32 v[54:55], v[40:41], v[2:3]
	s_waitcnt lgkmcnt(3)
	v_mul_f64 v[56:57], v[42:43], v[6:7]
	v_add_f64 v[54:55], v[54:55], 0
	s_waitcnt vmcnt(60) lgkmcnt(2)
	v_mul_f64 v[58:59], v[46:47], v[8:9]
	v_mul_f64 v[4:5], v[40:41], v[4:5]
	v_fma_f64 v[2:3], v[38:39], v[2:3], -v[4:5]
	v_mul_f64 v[4:5], v[44:45], v[6:7]
	s_waitcnt vmcnt(56) lgkmcnt(1)
	v_mul_f64 v[60:61], v[50:51], v[14:15]
	v_add_f64 v[2:3], v[2:3], 0
	s_waitcnt vmcnt(54)
	v_fmac_f64_e32 v[56:57], v[44:45], v[20:21]
	v_add_f64 v[62:63], v[54:55], v[56:57]
	ds_read_b128 v[54:57], v1 offset:1056
	s_waitcnt vmcnt(52)
	v_fmac_f64_e32 v[58:59], v[48:49], v[18:19]
	v_add_f64 v[58:59], v[62:63], v[58:59]
	s_waitcnt vmcnt(50)
	v_fmac_f64_e32 v[60:61], v[52:53], v[16:17]
	v_add_f64 v[62:63], v[58:59], v[60:61]
	ds_read_b128 v[58:61], v1 offset:1072
	s_waitcnt vmcnt(48) lgkmcnt(1)
	v_mul_f64 v[64:65], v[54:55], v[10:11]
	v_fmac_f64_e32 v[64:65], v[56:57], v[12:13]
	v_add_f64 v[66:67], v[62:63], v[64:65]
	ds_read_b128 v[62:65], v1 offset:1088
	s_waitcnt vmcnt(44) lgkmcnt(1)
	v_mul_f64 v[68:69], v[58:59], v[26:27]
	s_waitcnt vmcnt(42)
	v_fmac_f64_e32 v[68:69], v[60:61], v[28:29]
	v_add_f64 v[70:71], v[66:67], v[68:69]
	ds_read_b128 v[66:69], v1 offset:1104
	s_waitcnt vmcnt(40) lgkmcnt(1)
	v_mul_f64 v[72:73], v[62:63], v[22:23]
	v_fmac_f64_e32 v[72:73], v[64:65], v[24:25]
	v_add_f64 v[74:75], v[70:71], v[72:73]
	ds_read_b128 v[70:73], v1 offset:1120
	v_fma_f64 v[4:5], v[42:43], v[20:21], -v[4:5]
	v_add_f64 v[2:3], v[2:3], v[4:5]
	v_mul_f64 v[4:5], v[48:49], v[8:9]
	s_waitcnt vmcnt(36) lgkmcnt(1)
	v_mul_f64 v[76:77], v[66:67], v[34:35]
	v_fma_f64 v[4:5], v[46:47], v[18:19], -v[4:5]
	s_waitcnt vmcnt(34)
	v_fmac_f64_e32 v[76:77], v[68:69], v[36:37]
	v_add_f64 v[2:3], v[2:3], v[4:5]
	v_mul_f64 v[4:5], v[52:53], v[14:15]
	v_add_f64 v[78:79], v[74:75], v[76:77]
	ds_read_b128 v[74:77], v1 offset:1136
	s_waitcnt vmcnt(32) lgkmcnt(1)
	v_mul_f64 v[80:81], v[70:71], v[30:31]
	v_fma_f64 v[4:5], v[50:51], v[16:17], -v[4:5]
	v_fmac_f64_e32 v[80:81], v[72:73], v[32:33]
	v_add_f64 v[2:3], v[2:3], v[4:5]
	v_mul_f64 v[4:5], v[56:57], v[10:11]
	v_add_f64 v[82:83], v[78:79], v[80:81]
	ds_read_b128 v[78:81], v1 offset:1152
	v_fma_f64 v[4:5], v[54:55], v[12:13], -v[4:5]
	v_add_f64 v[2:3], v[2:3], v[4:5]
	v_mul_f64 v[4:5], v[60:61], v[26:27]
	v_fma_f64 v[4:5], v[58:59], v[28:29], -v[4:5]
	s_waitcnt vmcnt(28) lgkmcnt(1)
	v_mul_f64 v[84:85], v[74:75], v[106:107]
	v_add_f64 v[2:3], v[2:3], v[4:5]
	v_mul_f64 v[4:5], v[64:65], v[22:23]
	s_waitcnt vmcnt(26)
	v_fmac_f64_e32 v[84:85], v[76:77], v[108:109]
	v_fma_f64 v[4:5], v[62:63], v[24:25], -v[4:5]
	v_add_f64 v[86:87], v[82:83], v[84:85]
	ds_read_b128 v[82:85], v1 offset:1168
	s_waitcnt vmcnt(24) lgkmcnt(1)
	v_mul_f64 v[88:89], v[78:79], v[102:103]
	v_add_f64 v[2:3], v[2:3], v[4:5]
	v_mul_f64 v[4:5], v[68:69], v[34:35]
	v_fmac_f64_e32 v[88:89], v[80:81], v[104:105]
	v_fma_f64 v[4:5], v[66:67], v[36:37], -v[4:5]
	v_add_f64 v[90:91], v[86:87], v[88:89]
	ds_read_b128 v[86:89], v1 offset:1184
	v_add_f64 v[2:3], v[2:3], v[4:5]
	v_mul_f64 v[4:5], v[72:73], v[30:31]
	v_fma_f64 v[4:5], v[70:71], v[32:33], -v[4:5]
	v_add_f64 v[2:3], v[2:3], v[4:5]
	v_mul_f64 v[4:5], v[76:77], v[106:107]
	s_waitcnt vmcnt(20) lgkmcnt(1)
	v_mul_f64 v[92:93], v[82:83], v[114:115]
	v_fma_f64 v[4:5], v[74:75], v[108:109], -v[4:5]
	s_waitcnt vmcnt(18)
	v_fmac_f64_e32 v[92:93], v[84:85], v[116:117]
	v_add_f64 v[2:3], v[2:3], v[4:5]
	v_mul_f64 v[4:5], v[80:81], v[102:103]
	v_add_f64 v[94:95], v[90:91], v[92:93]
	ds_read_b128 v[90:93], v1 offset:1200
	s_waitcnt vmcnt(16) lgkmcnt(1)
	v_mul_f64 v[96:97], v[86:87], v[110:111]
	v_fma_f64 v[4:5], v[78:79], v[104:105], -v[4:5]
	v_fmac_f64_e32 v[96:97], v[88:89], v[112:113]
	v_add_f64 v[2:3], v[2:3], v[4:5]
	v_mul_f64 v[4:5], v[84:85], v[114:115]
	v_add_f64 v[136:137], v[94:95], v[96:97]
	ds_read_b128 v[94:97], v1 offset:1216
	v_fma_f64 v[4:5], v[82:83], v[116:117], -v[4:5]
	v_add_f64 v[2:3], v[2:3], v[4:5]
	v_mul_f64 v[4:5], v[88:89], v[110:111]
	v_fma_f64 v[4:5], v[86:87], v[112:113], -v[4:5]
	v_add_f64 v[2:3], v[2:3], v[4:5]
	s_waitcnt vmcnt(12) lgkmcnt(1)
	v_mul_f64 v[4:5], v[92:93], v[124:125]
	v_mul_f64 v[138:139], v[90:91], v[124:125]
	s_waitcnt vmcnt(10)
	v_fma_f64 v[4:5], v[90:91], v[126:127], -v[4:5]
	v_fmac_f64_e32 v[138:139], v[92:93], v[126:127]
	v_add_f64 v[2:3], v[2:3], v[4:5]
	s_waitcnt vmcnt(8) lgkmcnt(0)
	v_mul_f64 v[4:5], v[96:97], v[120:121]
	v_add_f64 v[136:137], v[136:137], v[138:139]
	v_mul_f64 v[138:139], v[94:95], v[120:121]
	v_fma_f64 v[4:5], v[94:95], v[122:123], -v[4:5]
	v_fmac_f64_e32 v[138:139], v[96:97], v[122:123]
	v_add_f64 v[2:3], v[2:3], v[4:5]
	s_waitcnt vmcnt(6)
	v_mul_f64 v[4:5], v[100:101], v[128:129]
	v_add_f64 v[136:137], v[136:137], v[138:139]
	v_mul_f64 v[138:139], v[98:99], v[128:129]
	s_waitcnt vmcnt(4)
	v_fma_f64 v[4:5], v[98:99], v[130:131], -v[4:5]
	v_fmac_f64_e32 v[138:139], v[100:101], v[130:131]
	v_add_f64 v[2:3], v[2:3], v[4:5]
	v_add_f64 v[136:137], v[136:137], v[138:139]
	s_waitcnt vmcnt(2)
	v_add_f64 v[2:3], v[132:133], -v[2:3]
	s_waitcnt vmcnt(0)
	v_add_f64 v[4:5], v[134:135], -v[136:137]
	buffer_store_dword v3, off, s[0:3], 0 offset:372
	buffer_store_dword v2, off, s[0:3], 0 offset:368
	;; [unrolled: 1-line block ×4, first 2 shown]
	s_and_saveexec_b64 s[4:5], vcc
	s_cbranch_execz .LBB38_205
; %bb.204:
	v_accvgpr_read_b32 v1, a95
	buffer_load_dword v2, v1, s[0:3], 0 offen
	buffer_load_dword v3, v1, s[0:3], 0 offen offset:4
	buffer_load_dword v4, v1, s[0:3], 0 offen offset:8
	;; [unrolled: 1-line block ×3, first 2 shown]
	v_mov_b32_e32 v1, 0
	v_accvgpr_read_b32 v6, a116
	buffer_store_dword v1, off, s[0:3], 0 offset:352
	buffer_store_dword v1, off, s[0:3], 0 offset:356
	buffer_store_dword v1, off, s[0:3], 0 offset:360
	buffer_store_dword v1, off, s[0:3], 0 offset:364
	s_waitcnt vmcnt(4)
	ds_write_b128 v6, v[2:5]
.LBB38_205:
	s_or_b64 exec, exec, s[4:5]
	s_waitcnt lgkmcnt(0)
	; wave barrier
	s_waitcnt lgkmcnt(0)
	buffer_load_dword v2, off, s[0:3], 0 offset:368
	buffer_load_dword v3, off, s[0:3], 0 offset:372
	;; [unrolled: 1-line block ×68, first 2 shown]
	v_mov_b32_e32 v1, 0
	buffer_load_dword v140, off, s[0:3], 0 offset:352
	buffer_load_dword v141, off, s[0:3], 0 offset:356
	;; [unrolled: 1-line block ×3, first 2 shown]
	ds_read_b128 v[46:49], v1 offset:976
	ds_read_b128 v[50:53], v1 offset:992
	buffer_load_dword v143, off, s[0:3], 0 offset:364
	ds_read_b128 v[54:57], v1 offset:1008
	ds_read_b128 v[58:61], v1 offset:1024
	;; [unrolled: 1-line block ×3, first 2 shown]
	v_cmp_lt_u32_e32 vcc, 20, v0
	s_waitcnt vmcnt(62) lgkmcnt(4)
	v_mul_f64 v[62:63], v[46:47], v[6:7]
	v_fmac_f64_e32 v[62:63], v[48:49], v[2:3]
	v_add_f64 v[62:63], v[62:63], 0
	v_mul_f64 v[6:7], v[48:49], v[6:7]
	s_waitcnt lgkmcnt(3)
	v_mul_f64 v[64:65], v[50:51], v[10:11]
	v_fmac_f64_e32 v[64:65], v[52:53], v[4:5]
	v_add_f64 v[62:63], v[62:63], v[64:65]
	v_fma_f64 v[2:3], v[46:47], v[2:3], -v[6:7]
	s_waitcnt vmcnt(60) lgkmcnt(2)
	v_mul_f64 v[64:65], v[54:55], v[12:13]
	v_fmac_f64_e32 v[64:65], v[56:57], v[8:9]
	v_add_f64 v[66:67], v[62:63], v[64:65]
	ds_read_b128 v[62:65], v1 offset:1040
	s_waitcnt vmcnt(56) lgkmcnt(2)
	v_mul_f64 v[68:69], v[58:59], v[18:19]
	v_mul_f64 v[6:7], v[52:53], v[10:11]
	s_waitcnt vmcnt(54)
	v_fmac_f64_e32 v[68:69], v[60:61], v[20:21]
	v_add_f64 v[70:71], v[66:67], v[68:69]
	ds_read_b128 v[66:69], v1 offset:1056
	s_waitcnt vmcnt(53) lgkmcnt(1)
	v_mul_f64 v[72:73], v[62:63], v[14:15]
	s_waitcnt vmcnt(52)
	v_fmac_f64_e32 v[72:73], v[64:65], v[16:17]
	v_add_f64 v[74:75], v[70:71], v[72:73]
	ds_read_b128 v[70:73], v1 offset:1072
	s_waitcnt vmcnt(48) lgkmcnt(1)
	;; [unrolled: 6-line block ×4, first 2 shown]
	v_mul_f64 v[84:85], v[74:75], v[34:35]
	s_waitcnt vmcnt(38)
	v_fmac_f64_e32 v[84:85], v[76:77], v[36:37]
	v_add_f64 v[2:3], v[2:3], 0
	v_fma_f64 v[4:5], v[50:51], v[4:5], -v[6:7]
	v_add_f64 v[86:87], v[82:83], v[84:85]
	ds_read_b128 v[82:85], v1 offset:1120
	v_add_f64 v[2:3], v[2:3], v[4:5]
	v_mul_f64 v[4:5], v[56:57], v[12:13]
	v_fma_f64 v[4:5], v[54:55], v[8:9], -v[4:5]
	v_add_f64 v[2:3], v[2:3], v[4:5]
	v_mul_f64 v[4:5], v[60:61], v[18:19]
	s_waitcnt vmcnt(37) lgkmcnt(1)
	v_mul_f64 v[88:89], v[78:79], v[30:31]
	v_fma_f64 v[4:5], v[58:59], v[20:21], -v[4:5]
	s_waitcnt vmcnt(36)
	v_fmac_f64_e32 v[88:89], v[80:81], v[32:33]
	v_add_f64 v[2:3], v[2:3], v[4:5]
	v_mul_f64 v[4:5], v[64:65], v[14:15]
	v_add_f64 v[90:91], v[86:87], v[88:89]
	ds_read_b128 v[86:89], v1 offset:1136
	s_waitcnt vmcnt(32) lgkmcnt(1)
	v_mul_f64 v[92:93], v[82:83], v[42:43]
	v_fma_f64 v[4:5], v[62:63], v[16:17], -v[4:5]
	s_waitcnt vmcnt(30)
	v_fmac_f64_e32 v[92:93], v[84:85], v[44:45]
	v_add_f64 v[2:3], v[2:3], v[4:5]
	v_mul_f64 v[4:5], v[68:69], v[26:27]
	v_add_f64 v[94:95], v[90:91], v[92:93]
	ds_read_b128 v[90:93], v1 offset:1152
	v_fma_f64 v[4:5], v[66:67], v[28:29], -v[4:5]
	v_add_f64 v[2:3], v[2:3], v[4:5]
	v_mul_f64 v[4:5], v[72:73], v[22:23]
	v_fma_f64 v[4:5], v[70:71], v[24:25], -v[4:5]
	s_waitcnt vmcnt(29) lgkmcnt(1)
	v_mul_f64 v[96:97], v[86:87], v[38:39]
	v_add_f64 v[2:3], v[2:3], v[4:5]
	v_mul_f64 v[4:5], v[76:77], v[34:35]
	s_waitcnt vmcnt(28)
	v_fmac_f64_e32 v[96:97], v[88:89], v[40:41]
	v_fma_f64 v[4:5], v[74:75], v[36:37], -v[4:5]
	v_add_f64 v[98:99], v[94:95], v[96:97]
	ds_read_b128 v[94:97], v1 offset:1168
	s_waitcnt vmcnt(24) lgkmcnt(1)
	v_mul_f64 v[100:101], v[90:91], v[120:121]
	v_add_f64 v[2:3], v[2:3], v[4:5]
	v_mul_f64 v[4:5], v[80:81], v[30:31]
	s_waitcnt vmcnt(22)
	v_fmac_f64_e32 v[100:101], v[92:93], v[122:123]
	v_fma_f64 v[4:5], v[78:79], v[32:33], -v[4:5]
	v_add_f64 v[102:103], v[98:99], v[100:101]
	ds_read_b128 v[98:101], v1 offset:1184
	v_add_f64 v[2:3], v[2:3], v[4:5]
	v_mul_f64 v[4:5], v[84:85], v[42:43]
	v_fma_f64 v[4:5], v[82:83], v[44:45], -v[4:5]
	v_add_f64 v[2:3], v[2:3], v[4:5]
	v_mul_f64 v[4:5], v[88:89], v[38:39]
	s_waitcnt vmcnt(21) lgkmcnt(1)
	v_mul_f64 v[104:105], v[94:95], v[114:115]
	v_fma_f64 v[4:5], v[86:87], v[40:41], -v[4:5]
	s_waitcnt vmcnt(20)
	v_fmac_f64_e32 v[104:105], v[96:97], v[116:117]
	v_add_f64 v[2:3], v[2:3], v[4:5]
	v_mul_f64 v[4:5], v[92:93], v[120:121]
	v_add_f64 v[106:107], v[102:103], v[104:105]
	ds_read_b128 v[102:105], v1 offset:1200
	s_waitcnt vmcnt(16) lgkmcnt(1)
	v_mul_f64 v[108:109], v[98:99], v[128:129]
	v_fma_f64 v[4:5], v[90:91], v[122:123], -v[4:5]
	s_waitcnt vmcnt(14)
	v_fmac_f64_e32 v[108:109], v[100:101], v[130:131]
	v_add_f64 v[2:3], v[2:3], v[4:5]
	v_mul_f64 v[4:5], v[96:97], v[114:115]
	v_add_f64 v[144:145], v[106:107], v[108:109]
	ds_read_b128 v[106:109], v1 offset:1216
	v_fma_f64 v[4:5], v[94:95], v[116:117], -v[4:5]
	v_add_f64 v[2:3], v[2:3], v[4:5]
	v_mul_f64 v[4:5], v[100:101], v[128:129]
	v_fma_f64 v[4:5], v[98:99], v[130:131], -v[4:5]
	v_add_f64 v[2:3], v[2:3], v[4:5]
	s_waitcnt vmcnt(13) lgkmcnt(1)
	v_mul_f64 v[4:5], v[104:105], v[124:125]
	v_mul_f64 v[146:147], v[102:103], v[124:125]
	s_waitcnt vmcnt(12)
	v_fma_f64 v[4:5], v[102:103], v[126:127], -v[4:5]
	v_fmac_f64_e32 v[146:147], v[104:105], v[126:127]
	v_add_f64 v[2:3], v[2:3], v[4:5]
	s_waitcnt vmcnt(8) lgkmcnt(0)
	v_mul_f64 v[4:5], v[108:109], v[136:137]
	v_add_f64 v[144:145], v[144:145], v[146:147]
	v_mul_f64 v[146:147], v[106:107], v[136:137]
	s_waitcnt vmcnt(6)
	v_fma_f64 v[4:5], v[106:107], v[138:139], -v[4:5]
	v_fmac_f64_e32 v[146:147], v[108:109], v[138:139]
	v_add_f64 v[2:3], v[2:3], v[4:5]
	s_waitcnt vmcnt(5)
	v_mul_f64 v[4:5], v[112:113], v[132:133]
	v_add_f64 v[144:145], v[144:145], v[146:147]
	v_mul_f64 v[146:147], v[110:111], v[132:133]
	s_waitcnt vmcnt(4)
	v_fma_f64 v[4:5], v[110:111], v[134:135], -v[4:5]
	v_fmac_f64_e32 v[146:147], v[112:113], v[134:135]
	v_add_f64 v[2:3], v[2:3], v[4:5]
	v_add_f64 v[144:145], v[144:145], v[146:147]
	s_waitcnt vmcnt(2)
	v_add_f64 v[2:3], v[140:141], -v[2:3]
	s_waitcnt vmcnt(0)
	v_add_f64 v[4:5], v[142:143], -v[144:145]
	buffer_store_dword v3, off, s[0:3], 0 offset:356
	buffer_store_dword v2, off, s[0:3], 0 offset:352
	buffer_store_dword v5, off, s[0:3], 0 offset:364
	buffer_store_dword v4, off, s[0:3], 0 offset:360
	s_and_saveexec_b64 s[4:5], vcc
	s_cbranch_execz .LBB38_207
; %bb.206:
	v_accvgpr_read_b32 v5, a96
	buffer_load_dword v2, v5, s[0:3], 0 offen
	buffer_load_dword v3, v5, s[0:3], 0 offen offset:4
	buffer_load_dword v4, v5, s[0:3], 0 offen offset:8
	s_nop 0
	buffer_load_dword v5, v5, s[0:3], 0 offen offset:12
	v_accvgpr_read_b32 v6, a116
	buffer_store_dword v1, off, s[0:3], 0 offset:336
	buffer_store_dword v1, off, s[0:3], 0 offset:340
	;; [unrolled: 1-line block ×4, first 2 shown]
	s_waitcnt vmcnt(4)
	ds_write_b128 v6, v[2:5]
.LBB38_207:
	s_or_b64 exec, exec, s[4:5]
	s_waitcnt lgkmcnt(0)
	; wave barrier
	s_waitcnt lgkmcnt(0)
	buffer_load_dword v2, off, s[0:3], 0 offset:352
	buffer_load_dword v3, off, s[0:3], 0 offset:356
	;; [unrolled: 1-line block ×72, first 2 shown]
	ds_read_b128 v[52:55], v1 offset:960
	buffer_load_dword v148, off, s[0:3], 0 offset:336
	buffer_load_dword v149, off, s[0:3], 0 offset:340
	;; [unrolled: 1-line block ×4, first 2 shown]
	ds_read_b128 v[56:59], v1 offset:976
	ds_read_b128 v[60:63], v1 offset:992
	;; [unrolled: 1-line block ×3, first 2 shown]
	v_cmp_lt_u32_e32 vcc, 19, v0
	ds_read_b128 v[124:127], v1 offset:1232
	s_waitcnt vmcnt(62) lgkmcnt(4)
	v_mul_f64 v[68:69], v[52:53], v[8:9]
	v_fmac_f64_e32 v[68:69], v[54:55], v[2:3]
	v_add_f64 v[68:69], v[68:69], 0
	v_mul_f64 v[8:9], v[54:55], v[8:9]
	s_waitcnt lgkmcnt(3)
	v_mul_f64 v[70:71], v[56:57], v[10:11]
	v_fmac_f64_e32 v[70:71], v[58:59], v[4:5]
	v_add_f64 v[68:69], v[68:69], v[70:71]
	v_fma_f64 v[2:3], v[52:53], v[2:3], -v[8:9]
	s_waitcnt lgkmcnt(2)
	v_mul_f64 v[70:71], v[60:61], v[12:13]
	v_fmac_f64_e32 v[70:71], v[62:63], v[6:7]
	v_add_f64 v[72:73], v[68:69], v[70:71]
	ds_read_b128 v[68:71], v1 offset:1024
	s_waitcnt vmcnt(60) lgkmcnt(2)
	v_mul_f64 v[74:75], v[64:65], v[18:19]
	v_mul_f64 v[8:9], v[58:59], v[10:11]
	s_waitcnt vmcnt(58)
	v_fmac_f64_e32 v[74:75], v[66:67], v[20:21]
	v_add_f64 v[76:77], v[72:73], v[74:75]
	ds_read_b128 v[72:75], v1 offset:1040
	s_waitcnt vmcnt(57) lgkmcnt(1)
	v_mul_f64 v[78:79], v[68:69], v[14:15]
	s_waitcnt vmcnt(56)
	v_fmac_f64_e32 v[78:79], v[70:71], v[16:17]
	v_add_f64 v[80:81], v[76:77], v[78:79]
	ds_read_b128 v[76:79], v1 offset:1056
	s_waitcnt vmcnt(52) lgkmcnt(1)
	;; [unrolled: 6-line block ×4, first 2 shown]
	v_mul_f64 v[90:91], v[80:81], v[34:35]
	s_waitcnt vmcnt(42)
	v_fmac_f64_e32 v[90:91], v[82:83], v[36:37]
	v_add_f64 v[2:3], v[2:3], 0
	v_fma_f64 v[4:5], v[56:57], v[4:5], -v[8:9]
	v_add_f64 v[92:93], v[88:89], v[90:91]
	ds_read_b128 v[88:91], v1 offset:1104
	s_waitcnt vmcnt(41) lgkmcnt(1)
	v_mul_f64 v[94:95], v[84:85], v[30:31]
	v_add_f64 v[2:3], v[2:3], v[4:5]
	v_mul_f64 v[4:5], v[62:63], v[12:13]
	s_waitcnt vmcnt(40)
	v_fmac_f64_e32 v[94:95], v[86:87], v[32:33]
	v_fma_f64 v[4:5], v[60:61], v[6:7], -v[4:5]
	v_add_f64 v[96:97], v[92:93], v[94:95]
	ds_read_b128 v[92:95], v1 offset:1120
	v_add_f64 v[2:3], v[2:3], v[4:5]
	v_mul_f64 v[4:5], v[66:67], v[18:19]
	v_fma_f64 v[4:5], v[64:65], v[20:21], -v[4:5]
	v_add_f64 v[2:3], v[2:3], v[4:5]
	v_mul_f64 v[4:5], v[70:71], v[14:15]
	s_waitcnt vmcnt(36) lgkmcnt(1)
	v_mul_f64 v[98:99], v[88:89], v[42:43]
	v_fma_f64 v[4:5], v[68:69], v[16:17], -v[4:5]
	s_waitcnt vmcnt(34)
	v_fmac_f64_e32 v[98:99], v[90:91], v[44:45]
	v_add_f64 v[2:3], v[2:3], v[4:5]
	v_mul_f64 v[4:5], v[74:75], v[26:27]
	v_add_f64 v[100:101], v[96:97], v[98:99]
	ds_read_b128 v[96:99], v1 offset:1136
	s_waitcnt vmcnt(33) lgkmcnt(1)
	v_mul_f64 v[102:103], v[92:93], v[38:39]
	v_fma_f64 v[4:5], v[72:73], v[28:29], -v[4:5]
	s_waitcnt vmcnt(32)
	v_fmac_f64_e32 v[102:103], v[94:95], v[40:41]
	v_add_f64 v[2:3], v[2:3], v[4:5]
	v_mul_f64 v[4:5], v[78:79], v[22:23]
	v_add_f64 v[104:105], v[100:101], v[102:103]
	ds_read_b128 v[100:103], v1 offset:1152
	v_fma_f64 v[4:5], v[76:77], v[24:25], -v[4:5]
	v_add_f64 v[2:3], v[2:3], v[4:5]
	v_mul_f64 v[4:5], v[82:83], v[34:35]
	v_fma_f64 v[4:5], v[80:81], v[36:37], -v[4:5]
	s_waitcnt vmcnt(28) lgkmcnt(1)
	v_mul_f64 v[106:107], v[96:97], v[50:51]
	v_add_f64 v[2:3], v[2:3], v[4:5]
	v_mul_f64 v[4:5], v[86:87], v[30:31]
	s_waitcnt vmcnt(26)
	v_fmac_f64_e32 v[106:107], v[98:99], v[116:117]
	v_fma_f64 v[4:5], v[84:85], v[32:33], -v[4:5]
	v_add_f64 v[108:109], v[104:105], v[106:107]
	ds_read_b128 v[104:107], v1 offset:1168
	s_waitcnt vmcnt(25) lgkmcnt(1)
	v_mul_f64 v[110:111], v[100:101], v[46:47]
	v_add_f64 v[2:3], v[2:3], v[4:5]
	v_mul_f64 v[4:5], v[90:91], v[42:43]
	s_waitcnt vmcnt(24)
	v_fmac_f64_e32 v[110:111], v[102:103], v[48:49]
	v_fma_f64 v[4:5], v[88:89], v[44:45], -v[4:5]
	v_add_f64 v[112:113], v[108:109], v[110:111]
	ds_read_b128 v[108:111], v1 offset:1184
	v_add_f64 v[2:3], v[2:3], v[4:5]
	v_mul_f64 v[4:5], v[94:95], v[38:39]
	v_fma_f64 v[4:5], v[92:93], v[40:41], -v[4:5]
	v_add_f64 v[2:3], v[2:3], v[4:5]
	v_mul_f64 v[4:5], v[98:99], v[50:51]
	s_waitcnt vmcnt(20) lgkmcnt(1)
	v_mul_f64 v[114:115], v[104:105], v[132:133]
	v_fma_f64 v[4:5], v[96:97], v[116:117], -v[4:5]
	s_waitcnt vmcnt(18)
	v_fmac_f64_e32 v[114:115], v[106:107], v[134:135]
	v_add_f64 v[2:3], v[2:3], v[4:5]
	v_mul_f64 v[4:5], v[102:103], v[46:47]
	v_add_f64 v[120:121], v[112:113], v[114:115]
	ds_read_b128 v[112:115], v1 offset:1200
	s_waitcnt vmcnt(17) lgkmcnt(1)
	v_mul_f64 v[122:123], v[108:109], v[128:129]
	v_fma_f64 v[4:5], v[100:101], v[48:49], -v[4:5]
	s_waitcnt vmcnt(16)
	v_fmac_f64_e32 v[122:123], v[110:111], v[130:131]
	v_add_f64 v[2:3], v[2:3], v[4:5]
	v_mul_f64 v[4:5], v[106:107], v[132:133]
	v_add_f64 v[152:153], v[120:121], v[122:123]
	ds_read_b128 v[120:123], v1 offset:1216
	v_fma_f64 v[4:5], v[104:105], v[134:135], -v[4:5]
	v_add_f64 v[2:3], v[2:3], v[4:5]
	v_mul_f64 v[4:5], v[110:111], v[128:129]
	v_fma_f64 v[4:5], v[108:109], v[130:131], -v[4:5]
	v_add_f64 v[2:3], v[2:3], v[4:5]
	s_waitcnt vmcnt(12) lgkmcnt(1)
	v_mul_f64 v[4:5], v[114:115], v[140:141]
	v_mul_f64 v[154:155], v[112:113], v[140:141]
	s_waitcnt vmcnt(10)
	v_fma_f64 v[4:5], v[112:113], v[142:143], -v[4:5]
	v_fmac_f64_e32 v[154:155], v[114:115], v[142:143]
	v_add_f64 v[2:3], v[2:3], v[4:5]
	s_waitcnt vmcnt(9) lgkmcnt(0)
	v_mul_f64 v[4:5], v[122:123], v[136:137]
	v_add_f64 v[152:153], v[152:153], v[154:155]
	v_mul_f64 v[154:155], v[120:121], v[136:137]
	s_waitcnt vmcnt(8)
	v_fma_f64 v[4:5], v[120:121], v[138:139], -v[4:5]
	v_fmac_f64_e32 v[154:155], v[122:123], v[138:139]
	v_add_f64 v[2:3], v[2:3], v[4:5]
	s_waitcnt vmcnt(6)
	v_mul_f64 v[4:5], v[126:127], v[144:145]
	v_add_f64 v[152:153], v[152:153], v[154:155]
	v_mul_f64 v[154:155], v[124:125], v[144:145]
	s_waitcnt vmcnt(4)
	v_fma_f64 v[4:5], v[124:125], v[146:147], -v[4:5]
	v_fmac_f64_e32 v[154:155], v[126:127], v[146:147]
	v_add_f64 v[2:3], v[2:3], v[4:5]
	v_add_f64 v[152:153], v[152:153], v[154:155]
	s_waitcnt vmcnt(2)
	v_add_f64 v[2:3], v[148:149], -v[2:3]
	s_waitcnt vmcnt(0)
	v_add_f64 v[4:5], v[150:151], -v[152:153]
	buffer_store_dword v3, off, s[0:3], 0 offset:340
	buffer_store_dword v2, off, s[0:3], 0 offset:336
	;; [unrolled: 1-line block ×4, first 2 shown]
	s_and_saveexec_b64 s[4:5], vcc
	s_cbranch_execz .LBB38_209
; %bb.208:
	v_accvgpr_read_b32 v1, a97
	buffer_load_dword v2, v1, s[0:3], 0 offen
	buffer_load_dword v3, v1, s[0:3], 0 offen offset:4
	buffer_load_dword v4, v1, s[0:3], 0 offen offset:8
	;; [unrolled: 1-line block ×3, first 2 shown]
	v_mov_b32_e32 v1, 0
	v_accvgpr_read_b32 v6, a116
	buffer_store_dword v1, off, s[0:3], 0 offset:320
	buffer_store_dword v1, off, s[0:3], 0 offset:324
	;; [unrolled: 1-line block ×4, first 2 shown]
	s_waitcnt vmcnt(4)
	ds_write_b128 v6, v[2:5]
.LBB38_209:
	s_or_b64 exec, exec, s[4:5]
	s_waitcnt lgkmcnt(0)
	; wave barrier
	s_waitcnt lgkmcnt(0)
	buffer_load_dword v2, off, s[0:3], 0 offset:336
	buffer_load_dword v3, off, s[0:3], 0 offset:340
	;; [unrolled: 1-line block ×76, first 2 shown]
	v_mov_b32_e32 v1, 0
	ds_read_b128 v[54:57], v1 offset:944
	buffer_load_dword v156, off, s[0:3], 0 offset:320
	buffer_load_dword v157, off, s[0:3], 0 offset:324
	;; [unrolled: 1-line block ×4, first 2 shown]
	ds_read_b128 v[58:61], v1 offset:960
	ds_read_b128 v[62:65], v1 offset:976
	;; [unrolled: 1-line block ×4, first 2 shown]
	v_cmp_lt_u32_e32 vcc, 18, v0
	s_waitcnt vmcnt(62) lgkmcnt(4)
	v_mul_f64 v[70:71], v[54:55], v[8:9]
	v_fmac_f64_e32 v[70:71], v[56:57], v[2:3]
	v_add_f64 v[70:71], v[70:71], 0
	v_mul_f64 v[8:9], v[56:57], v[8:9]
	s_waitcnt lgkmcnt(3)
	v_mul_f64 v[72:73], v[58:59], v[10:11]
	v_fmac_f64_e32 v[72:73], v[60:61], v[4:5]
	v_add_f64 v[70:71], v[70:71], v[72:73]
	v_fma_f64 v[2:3], v[54:55], v[2:3], -v[8:9]
	s_waitcnt lgkmcnt(2)
	v_mul_f64 v[72:73], v[62:63], v[12:13]
	v_fmac_f64_e32 v[72:73], v[64:65], v[6:7]
	v_add_f64 v[74:75], v[70:71], v[72:73]
	ds_read_b128 v[70:73], v1 offset:1008
	s_waitcnt lgkmcnt(2)
	v_mul_f64 v[76:77], v[66:67], v[18:19]
	v_mul_f64 v[8:9], v[60:61], v[10:11]
	v_fmac_f64_e32 v[76:77], v[68:69], v[20:21]
	v_add_f64 v[78:79], v[74:75], v[76:77]
	ds_read_b128 v[74:77], v1 offset:1024
	s_waitcnt vmcnt(61) lgkmcnt(1)
	v_mul_f64 v[80:81], v[70:71], v[14:15]
	s_waitcnt vmcnt(60)
	v_fmac_f64_e32 v[80:81], v[72:73], v[16:17]
	v_add_f64 v[82:83], v[78:79], v[80:81]
	ds_read_b128 v[78:81], v1 offset:1040
	s_waitcnt vmcnt(56) lgkmcnt(1)
	v_mul_f64 v[84:85], v[74:75], v[26:27]
	s_waitcnt vmcnt(54)
	;; [unrolled: 6-line block ×4, first 2 shown]
	v_fmac_f64_e32 v[92:93], v[84:85], v[36:37]
	v_add_f64 v[94:95], v[90:91], v[92:93]
	ds_read_b128 v[90:93], v1 offset:1088
	v_add_f64 v[2:3], v[2:3], 0
	v_fma_f64 v[4:5], v[58:59], v[4:5], -v[8:9]
	s_waitcnt vmcnt(45) lgkmcnt(1)
	v_mul_f64 v[96:97], v[86:87], v[30:31]
	v_add_f64 v[2:3], v[2:3], v[4:5]
	v_mul_f64 v[4:5], v[64:65], v[12:13]
	s_waitcnt vmcnt(44)
	v_fmac_f64_e32 v[96:97], v[88:89], v[32:33]
	v_fma_f64 v[4:5], v[62:63], v[6:7], -v[4:5]
	v_add_f64 v[98:99], v[94:95], v[96:97]
	ds_read_b128 v[94:97], v1 offset:1104
	s_waitcnt vmcnt(40) lgkmcnt(1)
	v_mul_f64 v[100:101], v[90:91], v[42:43]
	v_add_f64 v[2:3], v[2:3], v[4:5]
	v_mul_f64 v[4:5], v[68:69], v[18:19]
	s_waitcnt vmcnt(38)
	v_fmac_f64_e32 v[100:101], v[92:93], v[44:45]
	v_fma_f64 v[4:5], v[66:67], v[20:21], -v[4:5]
	v_add_f64 v[102:103], v[98:99], v[100:101]
	ds_read_b128 v[98:101], v1 offset:1120
	v_add_f64 v[2:3], v[2:3], v[4:5]
	v_mul_f64 v[4:5], v[72:73], v[14:15]
	v_fma_f64 v[4:5], v[70:71], v[16:17], -v[4:5]
	v_add_f64 v[2:3], v[2:3], v[4:5]
	v_mul_f64 v[4:5], v[76:77], v[26:27]
	s_waitcnt vmcnt(37) lgkmcnt(1)
	v_mul_f64 v[104:105], v[94:95], v[38:39]
	v_fma_f64 v[4:5], v[74:75], v[28:29], -v[4:5]
	s_waitcnt vmcnt(36)
	v_fmac_f64_e32 v[104:105], v[96:97], v[40:41]
	v_add_f64 v[2:3], v[2:3], v[4:5]
	v_mul_f64 v[4:5], v[80:81], v[22:23]
	v_add_f64 v[106:107], v[102:103], v[104:105]
	ds_read_b128 v[102:105], v1 offset:1136
	s_waitcnt vmcnt(32) lgkmcnt(1)
	v_mul_f64 v[108:109], v[98:99], v[50:51]
	v_fma_f64 v[4:5], v[78:79], v[24:25], -v[4:5]
	s_waitcnt vmcnt(30)
	v_fmac_f64_e32 v[108:109], v[100:101], v[52:53]
	v_add_f64 v[2:3], v[2:3], v[4:5]
	v_mul_f64 v[4:5], v[84:85], v[34:35]
	v_add_f64 v[110:111], v[106:107], v[108:109]
	ds_read_b128 v[106:109], v1 offset:1152
	v_fma_f64 v[4:5], v[82:83], v[36:37], -v[4:5]
	v_add_f64 v[2:3], v[2:3], v[4:5]
	v_mul_f64 v[4:5], v[88:89], v[30:31]
	v_fma_f64 v[4:5], v[86:87], v[32:33], -v[4:5]
	s_waitcnt vmcnt(29) lgkmcnt(1)
	v_mul_f64 v[112:113], v[102:103], v[46:47]
	v_add_f64 v[2:3], v[2:3], v[4:5]
	v_mul_f64 v[4:5], v[92:93], v[42:43]
	s_waitcnt vmcnt(28)
	v_fmac_f64_e32 v[112:113], v[104:105], v[48:49]
	v_fma_f64 v[4:5], v[90:91], v[44:45], -v[4:5]
	v_add_f64 v[114:115], v[110:111], v[112:113]
	ds_read_b128 v[110:113], v1 offset:1168
	s_waitcnt vmcnt(24) lgkmcnt(1)
	v_mul_f64 v[116:117], v[106:107], v[136:137]
	v_add_f64 v[2:3], v[2:3], v[4:5]
	v_mul_f64 v[4:5], v[96:97], v[38:39]
	s_waitcnt vmcnt(22)
	v_fmac_f64_e32 v[116:117], v[108:109], v[138:139]
	v_fma_f64 v[4:5], v[94:95], v[40:41], -v[4:5]
	v_add_f64 v[120:121], v[114:115], v[116:117]
	ds_read_b128 v[114:117], v1 offset:1184
	v_add_f64 v[2:3], v[2:3], v[4:5]
	v_mul_f64 v[4:5], v[100:101], v[50:51]
	v_fma_f64 v[4:5], v[98:99], v[52:53], -v[4:5]
	v_add_f64 v[2:3], v[2:3], v[4:5]
	v_mul_f64 v[4:5], v[104:105], v[46:47]
	s_waitcnt vmcnt(21) lgkmcnt(1)
	v_mul_f64 v[122:123], v[110:111], v[132:133]
	v_fma_f64 v[4:5], v[102:103], v[48:49], -v[4:5]
	s_waitcnt vmcnt(20)
	v_fmac_f64_e32 v[122:123], v[112:113], v[134:135]
	v_add_f64 v[2:3], v[2:3], v[4:5]
	v_mul_f64 v[4:5], v[108:109], v[136:137]
	v_add_f64 v[124:125], v[120:121], v[122:123]
	ds_read_b128 v[120:123], v1 offset:1200
	s_waitcnt vmcnt(16) lgkmcnt(1)
	v_mul_f64 v[126:127], v[114:115], v[144:145]
	v_fma_f64 v[4:5], v[106:107], v[138:139], -v[4:5]
	s_waitcnt vmcnt(14)
	v_fmac_f64_e32 v[126:127], v[116:117], v[146:147]
	v_add_f64 v[2:3], v[2:3], v[4:5]
	v_mul_f64 v[4:5], v[112:113], v[132:133]
	v_add_f64 v[160:161], v[124:125], v[126:127]
	ds_read_b128 v[124:127], v1 offset:1216
	v_fma_f64 v[4:5], v[110:111], v[134:135], -v[4:5]
	v_add_f64 v[2:3], v[2:3], v[4:5]
	v_mul_f64 v[4:5], v[116:117], v[144:145]
	v_fma_f64 v[4:5], v[114:115], v[146:147], -v[4:5]
	v_add_f64 v[2:3], v[2:3], v[4:5]
	s_waitcnt vmcnt(13) lgkmcnt(1)
	v_mul_f64 v[4:5], v[122:123], v[140:141]
	v_mul_f64 v[162:163], v[120:121], v[140:141]
	s_waitcnt vmcnt(12)
	v_fma_f64 v[4:5], v[120:121], v[142:143], -v[4:5]
	v_fmac_f64_e32 v[162:163], v[122:123], v[142:143]
	v_add_f64 v[2:3], v[2:3], v[4:5]
	s_waitcnt vmcnt(8) lgkmcnt(0)
	v_mul_f64 v[4:5], v[126:127], v[152:153]
	v_add_f64 v[160:161], v[160:161], v[162:163]
	v_mul_f64 v[162:163], v[124:125], v[152:153]
	s_waitcnt vmcnt(6)
	v_fma_f64 v[4:5], v[124:125], v[154:155], -v[4:5]
	v_fmac_f64_e32 v[162:163], v[126:127], v[154:155]
	v_add_f64 v[2:3], v[2:3], v[4:5]
	s_waitcnt vmcnt(5)
	v_mul_f64 v[4:5], v[130:131], v[148:149]
	v_add_f64 v[160:161], v[160:161], v[162:163]
	v_mul_f64 v[162:163], v[128:129], v[148:149]
	s_waitcnt vmcnt(4)
	v_fma_f64 v[4:5], v[128:129], v[150:151], -v[4:5]
	v_fmac_f64_e32 v[162:163], v[130:131], v[150:151]
	v_add_f64 v[2:3], v[2:3], v[4:5]
	v_add_f64 v[160:161], v[160:161], v[162:163]
	s_waitcnt vmcnt(2)
	v_add_f64 v[2:3], v[156:157], -v[2:3]
	s_waitcnt vmcnt(0)
	v_add_f64 v[4:5], v[158:159], -v[160:161]
	buffer_store_dword v3, off, s[0:3], 0 offset:324
	buffer_store_dword v2, off, s[0:3], 0 offset:320
	buffer_store_dword v5, off, s[0:3], 0 offset:332
	buffer_store_dword v4, off, s[0:3], 0 offset:328
	s_and_saveexec_b64 s[4:5], vcc
	s_cbranch_execz .LBB38_211
; %bb.210:
	v_accvgpr_read_b32 v5, a98
	buffer_load_dword v2, v5, s[0:3], 0 offen
	buffer_load_dword v3, v5, s[0:3], 0 offen offset:4
	buffer_load_dword v4, v5, s[0:3], 0 offen offset:8
	s_nop 0
	buffer_load_dword v5, v5, s[0:3], 0 offen offset:12
	v_accvgpr_read_b32 v6, a116
	buffer_store_dword v1, off, s[0:3], 0 offset:304
	buffer_store_dword v1, off, s[0:3], 0 offset:308
	buffer_store_dword v1, off, s[0:3], 0 offset:312
	buffer_store_dword v1, off, s[0:3], 0 offset:316
	s_waitcnt vmcnt(4)
	ds_write_b128 v6, v[2:5]
.LBB38_211:
	s_or_b64 exec, exec, s[4:5]
	s_waitcnt lgkmcnt(0)
	; wave barrier
	s_waitcnt lgkmcnt(0)
	buffer_load_dword v2, off, s[0:3], 0 offset:320
	buffer_load_dword v3, off, s[0:3], 0 offset:324
	;; [unrolled: 1-line block ×76, first 2 shown]
	ds_read_b128 v[54:57], v1 offset:928
	buffer_load_dword v161, off, s[0:3], 0 offset:636
	buffer_load_dword v160, off, s[0:3], 0 offset:632
	;; [unrolled: 1-line block ×8, first 2 shown]
	ds_read_b128 v[58:61], v1 offset:944
	ds_read_b128 v[62:65], v1 offset:960
	;; [unrolled: 1-line block ×3, first 2 shown]
	v_cmp_lt_u32_e32 vcc, 17, v0
	ds_read_b128 v[132:135], v1 offset:1232
	s_waitcnt vmcnt(62) lgkmcnt(4)
	v_mul_f64 v[70:71], v[54:55], v[8:9]
	v_fmac_f64_e32 v[70:71], v[56:57], v[2:3]
	v_add_f64 v[70:71], v[70:71], 0
	v_mul_f64 v[8:9], v[56:57], v[8:9]
	s_waitcnt lgkmcnt(3)
	v_mul_f64 v[72:73], v[58:59], v[10:11]
	v_fmac_f64_e32 v[72:73], v[60:61], v[4:5]
	v_add_f64 v[70:71], v[70:71], v[72:73]
	v_fma_f64 v[2:3], v[54:55], v[2:3], -v[8:9]
	s_waitcnt lgkmcnt(2)
	v_mul_f64 v[72:73], v[62:63], v[12:13]
	v_fmac_f64_e32 v[72:73], v[64:65], v[6:7]
	v_add_f64 v[74:75], v[70:71], v[72:73]
	ds_read_b128 v[70:73], v1 offset:992
	v_mul_f64 v[8:9], v[60:61], v[10:11]
	v_add_f64 v[2:3], v[2:3], 0
	s_waitcnt lgkmcnt(2)
	v_mul_f64 v[76:77], v[66:67], v[18:19]
	v_fma_f64 v[4:5], v[58:59], v[4:5], -v[8:9]
	v_fmac_f64_e32 v[76:77], v[68:69], v[20:21]
	v_add_f64 v[78:79], v[74:75], v[76:77]
	ds_read_b128 v[74:77], v1 offset:1008
	s_waitcnt lgkmcnt(1)
	v_mul_f64 v[80:81], v[70:71], v[14:15]
	v_fmac_f64_e32 v[80:81], v[72:73], v[16:17]
	v_add_f64 v[82:83], v[78:79], v[80:81]
	ds_read_b128 v[78:81], v1 offset:1024
	s_waitcnt vmcnt(58) lgkmcnt(1)
	v_mul_f64 v[84:85], v[74:75], v[26:27]
	s_waitcnt vmcnt(56)
	v_fmac_f64_e32 v[84:85], v[76:77], v[28:29]
	v_add_f64 v[86:87], v[82:83], v[84:85]
	ds_read_b128 v[82:85], v1 offset:1040
	s_waitcnt lgkmcnt(1)
	v_mul_f64 v[88:89], v[78:79], v[22:23]
	v_fmac_f64_e32 v[88:89], v[80:81], v[24:25]
	v_add_f64 v[90:91], v[86:87], v[88:89]
	ds_read_b128 v[86:89], v1 offset:1056
	s_waitcnt vmcnt(50) lgkmcnt(1)
	v_mul_f64 v[92:93], v[82:83], v[34:35]
	s_waitcnt vmcnt(48)
	v_fmac_f64_e32 v[92:93], v[84:85], v[36:37]
	v_add_f64 v[94:95], v[90:91], v[92:93]
	ds_read_b128 v[90:93], v1 offset:1072
	s_waitcnt lgkmcnt(1)
	v_mul_f64 v[96:97], v[86:87], v[30:31]
	v_fmac_f64_e32 v[96:97], v[88:89], v[32:33]
	v_add_f64 v[98:99], v[94:95], v[96:97]
	ds_read_b128 v[94:97], v1 offset:1088
	v_add_f64 v[2:3], v[2:3], v[4:5]
	v_mul_f64 v[4:5], v[64:65], v[12:13]
	v_fma_f64 v[4:5], v[62:63], v[6:7], -v[4:5]
	s_waitcnt vmcnt(42) lgkmcnt(1)
	v_mul_f64 v[100:101], v[90:91], v[42:43]
	v_add_f64 v[2:3], v[2:3], v[4:5]
	v_mul_f64 v[4:5], v[68:69], v[18:19]
	s_waitcnt vmcnt(40)
	v_fmac_f64_e32 v[100:101], v[92:93], v[44:45]
	v_fma_f64 v[4:5], v[66:67], v[20:21], -v[4:5]
	v_add_f64 v[102:103], v[98:99], v[100:101]
	ds_read_b128 v[98:101], v1 offset:1104
	s_waitcnt lgkmcnt(1)
	v_mul_f64 v[104:105], v[94:95], v[38:39]
	v_add_f64 v[2:3], v[2:3], v[4:5]
	v_mul_f64 v[4:5], v[72:73], v[14:15]
	v_fmac_f64_e32 v[104:105], v[96:97], v[40:41]
	v_fma_f64 v[4:5], v[70:71], v[16:17], -v[4:5]
	v_add_f64 v[106:107], v[102:103], v[104:105]
	ds_read_b128 v[102:105], v1 offset:1120
	v_add_f64 v[2:3], v[2:3], v[4:5]
	v_mul_f64 v[4:5], v[76:77], v[26:27]
	v_fma_f64 v[4:5], v[74:75], v[28:29], -v[4:5]
	v_add_f64 v[2:3], v[2:3], v[4:5]
	v_mul_f64 v[4:5], v[80:81], v[22:23]
	s_waitcnt vmcnt(34) lgkmcnt(1)
	v_mul_f64 v[108:109], v[98:99], v[50:51]
	v_fma_f64 v[4:5], v[78:79], v[24:25], -v[4:5]
	s_waitcnt vmcnt(32)
	v_fmac_f64_e32 v[108:109], v[100:101], v[52:53]
	v_add_f64 v[2:3], v[2:3], v[4:5]
	v_mul_f64 v[4:5], v[84:85], v[34:35]
	v_add_f64 v[110:111], v[106:107], v[108:109]
	ds_read_b128 v[106:109], v1 offset:1136
	s_waitcnt lgkmcnt(1)
	v_mul_f64 v[112:113], v[102:103], v[46:47]
	v_fma_f64 v[4:5], v[82:83], v[36:37], -v[4:5]
	v_fmac_f64_e32 v[112:113], v[104:105], v[48:49]
	v_add_f64 v[2:3], v[2:3], v[4:5]
	v_mul_f64 v[4:5], v[88:89], v[30:31]
	v_add_f64 v[114:115], v[110:111], v[112:113]
	ds_read_b128 v[110:113], v1 offset:1152
	v_fma_f64 v[4:5], v[86:87], v[32:33], -v[4:5]
	v_add_f64 v[2:3], v[2:3], v[4:5]
	v_mul_f64 v[4:5], v[92:93], v[42:43]
	v_fma_f64 v[4:5], v[90:91], v[44:45], -v[4:5]
	s_waitcnt vmcnt(26) lgkmcnt(1)
	v_mul_f64 v[116:117], v[106:107], v[140:141]
	v_add_f64 v[2:3], v[2:3], v[4:5]
	v_mul_f64 v[4:5], v[96:97], v[38:39]
	s_waitcnt vmcnt(24)
	v_fmac_f64_e32 v[116:117], v[108:109], v[142:143]
	v_fma_f64 v[4:5], v[94:95], v[40:41], -v[4:5]
	v_add_f64 v[120:121], v[114:115], v[116:117]
	ds_read_b128 v[114:117], v1 offset:1168
	s_waitcnt lgkmcnt(1)
	v_mul_f64 v[122:123], v[110:111], v[136:137]
	v_add_f64 v[2:3], v[2:3], v[4:5]
	v_mul_f64 v[4:5], v[100:101], v[50:51]
	v_fmac_f64_e32 v[122:123], v[112:113], v[138:139]
	v_fma_f64 v[4:5], v[98:99], v[52:53], -v[4:5]
	v_add_f64 v[124:125], v[120:121], v[122:123]
	ds_read_b128 v[120:123], v1 offset:1184
	v_add_f64 v[2:3], v[2:3], v[4:5]
	v_mul_f64 v[4:5], v[104:105], v[46:47]
	v_fma_f64 v[4:5], v[102:103], v[48:49], -v[4:5]
	v_add_f64 v[2:3], v[2:3], v[4:5]
	v_mul_f64 v[4:5], v[108:109], v[140:141]
	s_waitcnt vmcnt(18) lgkmcnt(1)
	v_mul_f64 v[126:127], v[114:115], v[148:149]
	v_fma_f64 v[4:5], v[106:107], v[142:143], -v[4:5]
	s_waitcnt vmcnt(16)
	v_fmac_f64_e32 v[126:127], v[116:117], v[150:151]
	v_add_f64 v[2:3], v[2:3], v[4:5]
	v_mul_f64 v[4:5], v[112:113], v[136:137]
	v_add_f64 v[128:129], v[124:125], v[126:127]
	ds_read_b128 v[124:127], v1 offset:1200
	s_waitcnt lgkmcnt(1)
	v_mul_f64 v[130:131], v[120:121], v[144:145]
	v_fma_f64 v[4:5], v[110:111], v[138:139], -v[4:5]
	v_fmac_f64_e32 v[130:131], v[122:123], v[146:147]
	v_add_f64 v[2:3], v[2:3], v[4:5]
	v_mul_f64 v[4:5], v[116:117], v[148:149]
	v_add_f64 v[168:169], v[128:129], v[130:131]
	ds_read_b128 v[128:131], v1 offset:1216
	v_fma_f64 v[4:5], v[114:115], v[150:151], -v[4:5]
	v_add_f64 v[2:3], v[2:3], v[4:5]
	v_mul_f64 v[4:5], v[122:123], v[144:145]
	v_fma_f64 v[4:5], v[120:121], v[146:147], -v[4:5]
	v_add_f64 v[2:3], v[2:3], v[4:5]
	s_waitcnt vmcnt(10) lgkmcnt(1)
	v_mul_f64 v[4:5], v[126:127], v[156:157]
	v_mul_f64 v[170:171], v[124:125], v[156:157]
	s_waitcnt vmcnt(8)
	v_fma_f64 v[4:5], v[124:125], v[158:159], -v[4:5]
	v_fmac_f64_e32 v[170:171], v[126:127], v[158:159]
	v_add_f64 v[2:3], v[2:3], v[4:5]
	s_waitcnt lgkmcnt(0)
	v_mul_f64 v[4:5], v[130:131], v[152:153]
	v_add_f64 v[168:169], v[168:169], v[170:171]
	v_mul_f64 v[170:171], v[128:129], v[152:153]
	v_fma_f64 v[4:5], v[128:129], v[154:155], -v[4:5]
	v_fmac_f64_e32 v[170:171], v[130:131], v[154:155]
	v_add_f64 v[2:3], v[2:3], v[4:5]
	s_waitcnt vmcnt(6)
	v_mul_f64 v[4:5], v[134:135], v[160:161]
	v_add_f64 v[168:169], v[168:169], v[170:171]
	v_mul_f64 v[170:171], v[132:133], v[160:161]
	s_waitcnt vmcnt(4)
	v_fma_f64 v[4:5], v[132:133], v[162:163], -v[4:5]
	v_fmac_f64_e32 v[170:171], v[134:135], v[162:163]
	v_add_f64 v[2:3], v[2:3], v[4:5]
	v_add_f64 v[168:169], v[168:169], v[170:171]
	s_waitcnt vmcnt(2)
	v_add_f64 v[2:3], v[164:165], -v[2:3]
	s_waitcnt vmcnt(0)
	v_add_f64 v[4:5], v[166:167], -v[168:169]
	buffer_store_dword v3, off, s[0:3], 0 offset:308
	buffer_store_dword v2, off, s[0:3], 0 offset:304
	;; [unrolled: 1-line block ×4, first 2 shown]
	s_and_saveexec_b64 s[4:5], vcc
	s_cbranch_execz .LBB38_213
; %bb.212:
	v_accvgpr_read_b32 v1, a99
	buffer_load_dword v2, v1, s[0:3], 0 offen
	buffer_load_dword v3, v1, s[0:3], 0 offen offset:4
	buffer_load_dword v4, v1, s[0:3], 0 offen offset:8
	;; [unrolled: 1-line block ×3, first 2 shown]
	v_mov_b32_e32 v1, 0
	v_accvgpr_read_b32 v6, a116
	buffer_store_dword v1, off, s[0:3], 0 offset:288
	buffer_store_dword v1, off, s[0:3], 0 offset:292
	;; [unrolled: 1-line block ×4, first 2 shown]
	s_waitcnt vmcnt(4)
	ds_write_b128 v6, v[2:5]
.LBB38_213:
	s_or_b64 exec, exec, s[4:5]
	s_waitcnt lgkmcnt(0)
	; wave barrier
	s_waitcnt lgkmcnt(0)
	buffer_load_dword v4, off, s[0:3], 0 offset:288
	buffer_load_dword v5, off, s[0:3], 0 offset:292
	buffer_load_dword v2, off, s[0:3], 0 offset:296
	buffer_load_dword v3, off, s[0:3], 0 offset:300
	buffer_load_dword v6, off, s[0:3], 0 offset:304
	buffer_load_dword v7, off, s[0:3], 0 offset:308
	buffer_load_dword v12, off, s[0:3], 0 offset:312
	buffer_load_dword v13, off, s[0:3], 0 offset:316
	buffer_load_dword v8, off, s[0:3], 0 offset:320
	buffer_load_dword v9, off, s[0:3], 0 offset:324
	buffer_load_dword v14, off, s[0:3], 0 offset:328
	buffer_load_dword v15, off, s[0:3], 0 offset:332
	buffer_load_dword v10, off, s[0:3], 0 offset:336
	buffer_load_dword v11, off, s[0:3], 0 offset:340
	buffer_load_dword v16, off, s[0:3], 0 offset:344
	buffer_load_dword v17, off, s[0:3], 0 offset:348
	buffer_load_dword v19, off, s[0:3], 0 offset:380
	buffer_load_dword v18, off, s[0:3], 0 offset:376
	buffer_load_dword v21, off, s[0:3], 0 offset:372
	buffer_load_dword v20, off, s[0:3], 0 offset:368
	buffer_load_dword v23, off, s[0:3], 0 offset:364
	buffer_load_dword v22, off, s[0:3], 0 offset:360
	buffer_load_dword v25, off, s[0:3], 0 offset:356
	buffer_load_dword v24, off, s[0:3], 0 offset:352
	buffer_load_dword v27, off, s[0:3], 0 offset:412
	buffer_load_dword v26, off, s[0:3], 0 offset:408
	buffer_load_dword v29, off, s[0:3], 0 offset:404
	buffer_load_dword v28, off, s[0:3], 0 offset:400
	buffer_load_dword v31, off, s[0:3], 0 offset:396
	buffer_load_dword v30, off, s[0:3], 0 offset:392
	buffer_load_dword v33, off, s[0:3], 0 offset:388
	buffer_load_dword v32, off, s[0:3], 0 offset:384
	buffer_load_dword v35, off, s[0:3], 0 offset:444
	buffer_load_dword v34, off, s[0:3], 0 offset:440
	buffer_load_dword v37, off, s[0:3], 0 offset:436
	buffer_load_dword v36, off, s[0:3], 0 offset:432
	buffer_load_dword v39, off, s[0:3], 0 offset:428
	buffer_load_dword v38, off, s[0:3], 0 offset:424
	buffer_load_dword v41, off, s[0:3], 0 offset:420
	buffer_load_dword v40, off, s[0:3], 0 offset:416
	buffer_load_dword v43, off, s[0:3], 0 offset:476
	buffer_load_dword v42, off, s[0:3], 0 offset:472
	buffer_load_dword v45, off, s[0:3], 0 offset:468
	buffer_load_dword v44, off, s[0:3], 0 offset:464
	buffer_load_dword v47, off, s[0:3], 0 offset:460
	buffer_load_dword v46, off, s[0:3], 0 offset:456
	buffer_load_dword v49, off, s[0:3], 0 offset:452
	buffer_load_dword v48, off, s[0:3], 0 offset:448
	buffer_load_dword v51, off, s[0:3], 0 offset:508
	buffer_load_dword v50, off, s[0:3], 0 offset:504
	buffer_load_dword v53, off, s[0:3], 0 offset:500
	buffer_load_dword v52, off, s[0:3], 0 offset:496
	buffer_load_dword v55, off, s[0:3], 0 offset:492
	buffer_load_dword v54, off, s[0:3], 0 offset:488
	buffer_load_dword v57, off, s[0:3], 0 offset:484
	buffer_load_dword v56, off, s[0:3], 0 offset:480
	buffer_load_dword v59, off, s[0:3], 0 offset:540
	buffer_load_dword v58, off, s[0:3], 0 offset:536
	buffer_load_dword v61, off, s[0:3], 0 offset:532
	buffer_load_dword v60, off, s[0:3], 0 offset:528
	buffer_load_dword v63, off, s[0:3], 0 offset:524
	buffer_load_dword v62, off, s[0:3], 0 offset:520
	buffer_load_dword v65, off, s[0:3], 0 offset:516
	buffer_load_dword v64, off, s[0:3], 0 offset:512
	buffer_load_dword v153, off, s[0:3], 0 offset:572
	buffer_load_dword v152, off, s[0:3], 0 offset:568
	buffer_load_dword v155, off, s[0:3], 0 offset:564
	buffer_load_dword v154, off, s[0:3], 0 offset:560
	buffer_load_dword v157, off, s[0:3], 0 offset:556
	buffer_load_dword v156, off, s[0:3], 0 offset:552
	buffer_load_dword v159, off, s[0:3], 0 offset:548
	buffer_load_dword v158, off, s[0:3], 0 offset:544
	buffer_load_dword v161, off, s[0:3], 0 offset:604
	buffer_load_dword v160, off, s[0:3], 0 offset:600
	buffer_load_dword v163, off, s[0:3], 0 offset:596
	buffer_load_dword v162, off, s[0:3], 0 offset:592
	buffer_load_dword v165, off, s[0:3], 0 offset:588
	buffer_load_dword v164, off, s[0:3], 0 offset:584
	buffer_load_dword v167, off, s[0:3], 0 offset:580
	buffer_load_dword v166, off, s[0:3], 0 offset:576
	buffer_load_dword v169, off, s[0:3], 0 offset:620
	buffer_load_dword v168, off, s[0:3], 0 offset:616
	buffer_load_dword v171, off, s[0:3], 0 offset:612
	buffer_load_dword v170, off, s[0:3], 0 offset:608
	v_mov_b32_e32 v1, 0
	ds_read_b128 v[66:69], v1 offset:912
	buffer_load_dword v173, off, s[0:3], 0 offset:636
	buffer_load_dword v172, off, s[0:3], 0 offset:632
	;; [unrolled: 1-line block ×4, first 2 shown]
	ds_read_b128 v[70:73], v1 offset:928
	ds_read_b128 v[74:77], v1 offset:944
	;; [unrolled: 1-line block ×4, first 2 shown]
	v_cmp_lt_u32_e32 vcc, 16, v0
	s_waitcnt vmcnt(62) lgkmcnt(4)
	v_mul_f64 v[82:83], v[66:67], v[12:13]
	v_fmac_f64_e32 v[82:83], v[68:69], v[6:7]
	s_waitcnt lgkmcnt(3)
	v_mul_f64 v[84:85], v[70:71], v[14:15]
	v_add_f64 v[82:83], v[82:83], 0
	v_fmac_f64_e32 v[84:85], v[72:73], v[8:9]
	v_add_f64 v[82:83], v[82:83], v[84:85]
	s_waitcnt lgkmcnt(2)
	v_mul_f64 v[84:85], v[74:75], v[16:17]
	v_fmac_f64_e32 v[84:85], v[76:77], v[10:11]
	v_add_f64 v[86:87], v[82:83], v[84:85]
	ds_read_b128 v[82:85], v1 offset:976
	v_mul_f64 v[12:13], v[68:69], v[12:13]
	s_waitcnt lgkmcnt(2)
	v_mul_f64 v[88:89], v[78:79], v[22:23]
	v_fma_f64 v[6:7], v[66:67], v[6:7], -v[12:13]
	v_fmac_f64_e32 v[88:89], v[80:81], v[24:25]
	v_add_f64 v[90:91], v[86:87], v[88:89]
	ds_read_b128 v[86:89], v1 offset:992
	s_waitcnt lgkmcnt(1)
	v_mul_f64 v[92:93], v[82:83], v[18:19]
	v_fmac_f64_e32 v[92:93], v[84:85], v[20:21]
	v_add_f64 v[94:95], v[90:91], v[92:93]
	ds_read_b128 v[90:93], v1 offset:1008
	s_waitcnt vmcnt(58) lgkmcnt(1)
	v_mul_f64 v[96:97], v[86:87], v[30:31]
	s_waitcnt vmcnt(56)
	v_fmac_f64_e32 v[96:97], v[88:89], v[32:33]
	v_add_f64 v[98:99], v[94:95], v[96:97]
	ds_read_b128 v[94:97], v1 offset:1024
	s_waitcnt lgkmcnt(1)
	v_mul_f64 v[100:101], v[90:91], v[26:27]
	v_fmac_f64_e32 v[100:101], v[92:93], v[28:29]
	v_add_f64 v[102:103], v[98:99], v[100:101]
	ds_read_b128 v[98:101], v1 offset:1040
	s_waitcnt vmcnt(50) lgkmcnt(1)
	v_mul_f64 v[104:105], v[94:95], v[38:39]
	s_waitcnt vmcnt(48)
	v_fmac_f64_e32 v[104:105], v[96:97], v[40:41]
	v_add_f64 v[106:107], v[102:103], v[104:105]
	ds_read_b128 v[102:105], v1 offset:1056
	s_waitcnt lgkmcnt(1)
	v_mul_f64 v[108:109], v[98:99], v[34:35]
	v_fmac_f64_e32 v[108:109], v[100:101], v[36:37]
	v_mul_f64 v[12:13], v[72:73], v[14:15]
	v_add_f64 v[110:111], v[106:107], v[108:109]
	ds_read_b128 v[106:109], v1 offset:1072
	s_waitcnt vmcnt(42) lgkmcnt(1)
	v_mul_f64 v[112:113], v[102:103], v[46:47]
	v_add_f64 v[6:7], v[6:7], 0
	v_fma_f64 v[8:9], v[70:71], v[8:9], -v[12:13]
	s_waitcnt vmcnt(40)
	v_fmac_f64_e32 v[112:113], v[104:105], v[48:49]
	v_add_f64 v[6:7], v[6:7], v[8:9]
	v_mul_f64 v[8:9], v[76:77], v[16:17]
	v_add_f64 v[114:115], v[110:111], v[112:113]
	ds_read_b128 v[110:113], v1 offset:1088
	v_fma_f64 v[8:9], v[74:75], v[10:11], -v[8:9]
	v_add_f64 v[6:7], v[6:7], v[8:9]
	v_mul_f64 v[8:9], v[80:81], v[22:23]
	v_fma_f64 v[8:9], v[78:79], v[24:25], -v[8:9]
	s_waitcnt lgkmcnt(1)
	v_mul_f64 v[116:117], v[106:107], v[42:43]
	v_add_f64 v[6:7], v[6:7], v[8:9]
	v_mul_f64 v[8:9], v[84:85], v[18:19]
	v_fmac_f64_e32 v[116:117], v[108:109], v[44:45]
	v_fma_f64 v[8:9], v[82:83], v[20:21], -v[8:9]
	v_add_f64 v[120:121], v[114:115], v[116:117]
	ds_read_b128 v[114:117], v1 offset:1104
	s_waitcnt vmcnt(34) lgkmcnt(1)
	v_mul_f64 v[122:123], v[110:111], v[54:55]
	v_add_f64 v[6:7], v[6:7], v[8:9]
	v_mul_f64 v[8:9], v[88:89], v[30:31]
	s_waitcnt vmcnt(32)
	v_fmac_f64_e32 v[122:123], v[112:113], v[56:57]
	v_fma_f64 v[8:9], v[86:87], v[32:33], -v[8:9]
	v_add_f64 v[124:125], v[120:121], v[122:123]
	ds_read_b128 v[120:123], v1 offset:1120
	v_add_f64 v[6:7], v[6:7], v[8:9]
	v_mul_f64 v[8:9], v[92:93], v[26:27]
	v_fma_f64 v[8:9], v[90:91], v[28:29], -v[8:9]
	v_add_f64 v[6:7], v[6:7], v[8:9]
	v_mul_f64 v[8:9], v[96:97], v[38:39]
	s_waitcnt lgkmcnt(1)
	v_mul_f64 v[126:127], v[114:115], v[50:51]
	v_fma_f64 v[8:9], v[94:95], v[40:41], -v[8:9]
	v_fmac_f64_e32 v[126:127], v[116:117], v[52:53]
	v_add_f64 v[6:7], v[6:7], v[8:9]
	v_mul_f64 v[8:9], v[100:101], v[34:35]
	v_add_f64 v[128:129], v[124:125], v[126:127]
	ds_read_b128 v[124:127], v1 offset:1136
	s_waitcnt vmcnt(26) lgkmcnt(1)
	v_mul_f64 v[130:131], v[120:121], v[62:63]
	v_fma_f64 v[8:9], v[98:99], v[36:37], -v[8:9]
	s_waitcnt vmcnt(24)
	v_fmac_f64_e32 v[130:131], v[122:123], v[64:65]
	v_add_f64 v[6:7], v[6:7], v[8:9]
	v_mul_f64 v[8:9], v[104:105], v[46:47]
	v_add_f64 v[132:133], v[128:129], v[130:131]
	ds_read_b128 v[128:131], v1 offset:1152
	v_fma_f64 v[8:9], v[102:103], v[48:49], -v[8:9]
	v_add_f64 v[6:7], v[6:7], v[8:9]
	v_mul_f64 v[8:9], v[108:109], v[42:43]
	v_fma_f64 v[8:9], v[106:107], v[44:45], -v[8:9]
	s_waitcnt lgkmcnt(1)
	v_mul_f64 v[134:135], v[124:125], v[58:59]
	v_add_f64 v[6:7], v[6:7], v[8:9]
	v_mul_f64 v[8:9], v[112:113], v[54:55]
	v_fmac_f64_e32 v[134:135], v[126:127], v[60:61]
	v_fma_f64 v[8:9], v[110:111], v[56:57], -v[8:9]
	v_add_f64 v[136:137], v[132:133], v[134:135]
	ds_read_b128 v[132:135], v1 offset:1168
	s_waitcnt vmcnt(18) lgkmcnt(1)
	v_mul_f64 v[138:139], v[128:129], v[156:157]
	v_add_f64 v[6:7], v[6:7], v[8:9]
	v_mul_f64 v[8:9], v[116:117], v[50:51]
	s_waitcnt vmcnt(16)
	v_fmac_f64_e32 v[138:139], v[130:131], v[158:159]
	v_fma_f64 v[8:9], v[114:115], v[52:53], -v[8:9]
	v_add_f64 v[140:141], v[136:137], v[138:139]
	ds_read_b128 v[136:139], v1 offset:1184
	v_add_f64 v[6:7], v[6:7], v[8:9]
	v_mul_f64 v[8:9], v[122:123], v[62:63]
	v_fma_f64 v[8:9], v[120:121], v[64:65], -v[8:9]
	v_add_f64 v[6:7], v[6:7], v[8:9]
	v_mul_f64 v[8:9], v[126:127], v[58:59]
	s_waitcnt lgkmcnt(1)
	v_mul_f64 v[142:143], v[132:133], v[152:153]
	v_fma_f64 v[8:9], v[124:125], v[60:61], -v[8:9]
	v_fmac_f64_e32 v[142:143], v[134:135], v[154:155]
	v_add_f64 v[6:7], v[6:7], v[8:9]
	v_mul_f64 v[8:9], v[130:131], v[156:157]
	v_add_f64 v[144:145], v[140:141], v[142:143]
	ds_read_b128 v[140:143], v1 offset:1200
	s_waitcnt vmcnt(10) lgkmcnt(1)
	v_mul_f64 v[146:147], v[136:137], v[164:165]
	v_fma_f64 v[8:9], v[128:129], v[158:159], -v[8:9]
	s_waitcnt vmcnt(8)
	v_fmac_f64_e32 v[146:147], v[138:139], v[166:167]
	v_add_f64 v[6:7], v[6:7], v[8:9]
	v_mul_f64 v[8:9], v[134:135], v[152:153]
	v_add_f64 v[176:177], v[144:145], v[146:147]
	ds_read_b128 v[144:147], v1 offset:1216
	v_fma_f64 v[8:9], v[132:133], v[154:155], -v[8:9]
	v_add_f64 v[6:7], v[6:7], v[8:9]
	v_mul_f64 v[8:9], v[138:139], v[164:165]
	v_fma_f64 v[8:9], v[136:137], v[166:167], -v[8:9]
	v_add_f64 v[6:7], v[6:7], v[8:9]
	s_waitcnt lgkmcnt(1)
	v_mul_f64 v[8:9], v[142:143], v[160:161]
	v_mul_f64 v[178:179], v[140:141], v[160:161]
	v_fma_f64 v[8:9], v[140:141], v[162:163], -v[8:9]
	v_fmac_f64_e32 v[178:179], v[142:143], v[162:163]
	v_add_f64 v[6:7], v[6:7], v[8:9]
	s_waitcnt vmcnt(6) lgkmcnt(0)
	v_mul_f64 v[8:9], v[146:147], v[168:169]
	v_add_f64 v[176:177], v[176:177], v[178:179]
	v_mul_f64 v[178:179], v[144:145], v[168:169]
	s_waitcnt vmcnt(4)
	v_fma_f64 v[8:9], v[144:145], v[170:171], -v[8:9]
	v_fmac_f64_e32 v[178:179], v[146:147], v[170:171]
	v_add_f64 v[6:7], v[6:7], v[8:9]
	s_waitcnt vmcnt(2)
	v_mul_f64 v[8:9], v[150:151], v[172:173]
	v_add_f64 v[176:177], v[176:177], v[178:179]
	v_mul_f64 v[178:179], v[148:149], v[172:173]
	s_waitcnt vmcnt(0)
	v_fma_f64 v[8:9], v[148:149], v[174:175], -v[8:9]
	v_fmac_f64_e32 v[178:179], v[150:151], v[174:175]
	v_add_f64 v[6:7], v[6:7], v[8:9]
	v_add_f64 v[176:177], v[176:177], v[178:179]
	v_add_f64 v[4:5], v[4:5], -v[6:7]
	v_add_f64 v[2:3], v[2:3], -v[176:177]
	buffer_store_dword v5, off, s[0:3], 0 offset:292
	buffer_store_dword v4, off, s[0:3], 0 offset:288
	;; [unrolled: 1-line block ×4, first 2 shown]
	s_and_saveexec_b64 s[4:5], vcc
	s_cbranch_execz .LBB38_215
; %bb.214:
	v_accvgpr_read_b32 v5, a100
	buffer_load_dword v2, v5, s[0:3], 0 offen
	buffer_load_dword v3, v5, s[0:3], 0 offen offset:4
	buffer_load_dword v4, v5, s[0:3], 0 offen offset:8
	s_nop 0
	buffer_load_dword v5, v5, s[0:3], 0 offen offset:12
	v_accvgpr_read_b32 v6, a116
	buffer_store_dword v1, off, s[0:3], 0 offset:272
	buffer_store_dword v1, off, s[0:3], 0 offset:276
	;; [unrolled: 1-line block ×4, first 2 shown]
	s_waitcnt vmcnt(4)
	ds_write_b128 v6, v[2:5]
.LBB38_215:
	s_or_b64 exec, exec, s[4:5]
	s_waitcnt lgkmcnt(0)
	; wave barrier
	s_waitcnt lgkmcnt(0)
	ds_read_b128 v[14:17], v1 offset:896
	ds_read_b128 v[10:13], v1 offset:912
	;; [unrolled: 1-line block ×4, first 2 shown]
	buffer_load_dword v20, off, s[0:3], 0 offset:272
	buffer_load_dword v21, off, s[0:3], 0 offset:276
	;; [unrolled: 1-line block ×92, first 2 shown]
	s_waitcnt vmcnt(62) lgkmcnt(3)
	v_mul_f64 v[86:87], v[14:15], v[28:29]
	v_fmac_f64_e32 v[86:87], v[16:17], v[22:23]
	s_waitcnt lgkmcnt(2)
	v_mul_f64 v[88:89], v[10:11], v[30:31]
	v_add_f64 v[86:87], v[86:87], 0
	v_fmac_f64_e32 v[88:89], v[12:13], v[24:25]
	v_add_f64 v[86:87], v[86:87], v[88:89]
	s_waitcnt lgkmcnt(1)
	v_mul_f64 v[88:89], v[6:7], v[32:33]
	v_fmac_f64_e32 v[88:89], v[8:9], v[26:27]
	v_add_f64 v[90:91], v[86:87], v[88:89]
	ds_read_b128 v[86:89], v1 offset:960
	v_mul_f64 v[16:17], v[16:17], v[28:29]
	v_fma_f64 v[14:15], v[14:15], v[22:23], -v[16:17]
	s_waitcnt lgkmcnt(1)
	v_mul_f64 v[92:93], v[2:3], v[38:39]
	v_mul_f64 v[12:13], v[12:13], v[30:31]
	v_fmac_f64_e32 v[92:93], v[4:5], v[40:41]
	v_add_f64 v[94:95], v[90:91], v[92:93]
	ds_read_b128 v[90:93], v1 offset:976
	s_waitcnt lgkmcnt(1)
	v_mul_f64 v[96:97], v[86:87], v[34:35]
	v_fmac_f64_e32 v[96:97], v[88:89], v[36:37]
	v_add_f64 v[98:99], v[94:95], v[96:97]
	ds_read_b128 v[94:97], v1 offset:992
	s_waitcnt lgkmcnt(1)
	v_mul_f64 v[100:101], v[90:91], v[46:47]
	s_waitcnt vmcnt(60)
	v_fmac_f64_e32 v[100:101], v[92:93], v[48:49]
	v_add_f64 v[102:103], v[98:99], v[100:101]
	ds_read_b128 v[98:101], v1 offset:1008
	s_waitcnt lgkmcnt(1)
	v_mul_f64 v[104:105], v[94:95], v[42:43]
	v_fmac_f64_e32 v[104:105], v[96:97], v[44:45]
	v_add_f64 v[106:107], v[102:103], v[104:105]
	ds_read_b128 v[102:105], v1 offset:1024
	s_waitcnt vmcnt(54) lgkmcnt(1)
	v_mul_f64 v[108:109], v[98:99], v[54:55]
	s_waitcnt vmcnt(52)
	v_fmac_f64_e32 v[108:109], v[100:101], v[56:57]
	v_add_f64 v[110:111], v[106:107], v[108:109]
	ds_read_b128 v[106:109], v1 offset:1040
	s_waitcnt lgkmcnt(1)
	v_mul_f64 v[112:113], v[102:103], v[50:51]
	v_fmac_f64_e32 v[112:113], v[104:105], v[52:53]
	v_add_f64 v[114:115], v[110:111], v[112:113]
	ds_read_b128 v[110:113], v1 offset:1056
	s_waitcnt vmcnt(46) lgkmcnt(1)
	v_mul_f64 v[116:117], v[106:107], v[62:63]
	s_waitcnt vmcnt(44)
	v_fmac_f64_e32 v[116:117], v[108:109], v[64:65]
	v_add_f64 v[120:121], v[114:115], v[116:117]
	ds_read_b128 v[114:117], v1 offset:1072
	s_waitcnt lgkmcnt(1)
	v_mul_f64 v[122:123], v[110:111], v[58:59]
	v_fmac_f64_e32 v[122:123], v[112:113], v[60:61]
	v_add_f64 v[14:15], v[14:15], 0
	v_fma_f64 v[10:11], v[10:11], v[24:25], -v[12:13]
	v_mul_f64 v[8:9], v[8:9], v[32:33]
	v_add_f64 v[124:125], v[120:121], v[122:123]
	ds_read_b128 v[120:123], v1 offset:1088
	v_add_f64 v[10:11], v[14:15], v[10:11]
	v_fma_f64 v[6:7], v[6:7], v[26:27], -v[8:9]
	v_mul_f64 v[4:5], v[4:5], v[38:39]
	v_add_f64 v[6:7], v[10:11], v[6:7]
	v_fma_f64 v[2:3], v[2:3], v[40:41], -v[4:5]
	v_mul_f64 v[4:5], v[88:89], v[34:35]
	v_add_f64 v[2:3], v[6:7], v[2:3]
	v_fma_f64 v[4:5], v[86:87], v[36:37], -v[4:5]
	s_waitcnt vmcnt(38) lgkmcnt(1)
	v_mul_f64 v[126:127], v[114:115], v[70:71]
	v_add_f64 v[2:3], v[2:3], v[4:5]
	v_mul_f64 v[4:5], v[92:93], v[46:47]
	s_waitcnt vmcnt(36)
	v_fmac_f64_e32 v[126:127], v[116:117], v[72:73]
	v_fma_f64 v[4:5], v[90:91], v[48:49], -v[4:5]
	v_add_f64 v[128:129], v[124:125], v[126:127]
	ds_read_b128 v[124:127], v1 offset:1104
	s_waitcnt lgkmcnt(1)
	v_mul_f64 v[130:131], v[120:121], v[66:67]
	v_add_f64 v[2:3], v[2:3], v[4:5]
	v_mul_f64 v[4:5], v[96:97], v[42:43]
	v_fmac_f64_e32 v[130:131], v[122:123], v[68:69]
	v_fma_f64 v[4:5], v[94:95], v[44:45], -v[4:5]
	v_add_f64 v[132:133], v[128:129], v[130:131]
	ds_read_b128 v[128:131], v1 offset:1120
	v_add_f64 v[2:3], v[2:3], v[4:5]
	v_mul_f64 v[4:5], v[100:101], v[54:55]
	v_fma_f64 v[4:5], v[98:99], v[56:57], -v[4:5]
	v_add_f64 v[2:3], v[2:3], v[4:5]
	v_mul_f64 v[4:5], v[104:105], v[50:51]
	s_waitcnt vmcnt(30) lgkmcnt(1)
	v_mul_f64 v[134:135], v[124:125], v[78:79]
	v_fma_f64 v[4:5], v[102:103], v[52:53], -v[4:5]
	s_waitcnt vmcnt(28)
	v_fmac_f64_e32 v[134:135], v[126:127], v[80:81]
	v_add_f64 v[2:3], v[2:3], v[4:5]
	v_mul_f64 v[4:5], v[108:109], v[62:63]
	v_add_f64 v[136:137], v[132:133], v[134:135]
	ds_read_b128 v[132:135], v1 offset:1136
	s_waitcnt lgkmcnt(1)
	v_mul_f64 v[138:139], v[128:129], v[74:75]
	v_fma_f64 v[4:5], v[106:107], v[64:65], -v[4:5]
	v_fmac_f64_e32 v[138:139], v[130:131], v[76:77]
	v_add_f64 v[2:3], v[2:3], v[4:5]
	v_mul_f64 v[4:5], v[112:113], v[58:59]
	v_add_f64 v[140:141], v[136:137], v[138:139]
	ds_read_b128 v[136:139], v1 offset:1152
	v_fma_f64 v[4:5], v[110:111], v[60:61], -v[4:5]
	v_add_f64 v[2:3], v[2:3], v[4:5]
	v_mul_f64 v[4:5], v[116:117], v[70:71]
	v_fma_f64 v[4:5], v[114:115], v[72:73], -v[4:5]
	s_waitcnt vmcnt(22) lgkmcnt(1)
	v_mul_f64 v[142:143], v[132:133], v[160:161]
	v_add_f64 v[2:3], v[2:3], v[4:5]
	v_mul_f64 v[4:5], v[122:123], v[66:67]
	s_waitcnt vmcnt(20)
	v_fmac_f64_e32 v[142:143], v[134:135], v[162:163]
	v_fma_f64 v[4:5], v[120:121], v[68:69], -v[4:5]
	v_add_f64 v[144:145], v[140:141], v[142:143]
	ds_read_b128 v[140:143], v1 offset:1168
	s_waitcnt lgkmcnt(1)
	v_mul_f64 v[146:147], v[136:137], v[82:83]
	v_add_f64 v[2:3], v[2:3], v[4:5]
	v_mul_f64 v[4:5], v[126:127], v[78:79]
	v_fmac_f64_e32 v[146:147], v[138:139], v[84:85]
	v_fma_f64 v[4:5], v[124:125], v[80:81], -v[4:5]
	v_add_f64 v[148:149], v[144:145], v[146:147]
	ds_read_b128 v[144:147], v1 offset:1184
	v_add_f64 v[2:3], v[2:3], v[4:5]
	v_mul_f64 v[4:5], v[130:131], v[74:75]
	v_fma_f64 v[4:5], v[128:129], v[76:77], -v[4:5]
	v_add_f64 v[2:3], v[2:3], v[4:5]
	v_mul_f64 v[4:5], v[134:135], v[160:161]
	s_waitcnt vmcnt(14) lgkmcnt(1)
	v_mul_f64 v[150:151], v[140:141], v[168:169]
	v_fma_f64 v[4:5], v[132:133], v[162:163], -v[4:5]
	s_waitcnt vmcnt(12)
	v_fmac_f64_e32 v[150:151], v[142:143], v[170:171]
	v_add_f64 v[2:3], v[2:3], v[4:5]
	v_mul_f64 v[4:5], v[138:139], v[82:83]
	v_add_f64 v[152:153], v[148:149], v[150:151]
	ds_read_b128 v[148:151], v1 offset:1200
	s_waitcnt lgkmcnt(1)
	v_mul_f64 v[154:155], v[144:145], v[164:165]
	v_fma_f64 v[4:5], v[136:137], v[84:85], -v[4:5]
	v_fmac_f64_e32 v[154:155], v[146:147], v[166:167]
	v_add_f64 v[2:3], v[2:3], v[4:5]
	v_mul_f64 v[4:5], v[142:143], v[168:169]
	v_add_f64 v[184:185], v[152:153], v[154:155]
	ds_read_b128 v[152:155], v1 offset:1216
	ds_read_b128 v[156:159], v1 offset:1232
	v_fma_f64 v[4:5], v[140:141], v[170:171], -v[4:5]
	v_add_f64 v[2:3], v[2:3], v[4:5]
	v_mul_f64 v[4:5], v[146:147], v[164:165]
	v_fma_f64 v[4:5], v[144:145], v[166:167], -v[4:5]
	v_add_f64 v[2:3], v[2:3], v[4:5]
	s_waitcnt vmcnt(6) lgkmcnt(2)
	v_mul_f64 v[4:5], v[150:151], v[176:177]
	v_mul_f64 v[186:187], v[148:149], v[176:177]
	s_waitcnt vmcnt(4)
	v_fma_f64 v[4:5], v[148:149], v[178:179], -v[4:5]
	v_fmac_f64_e32 v[186:187], v[150:151], v[178:179]
	v_add_f64 v[2:3], v[2:3], v[4:5]
	s_waitcnt lgkmcnt(1)
	v_mul_f64 v[4:5], v[154:155], v[172:173]
	v_add_f64 v[184:185], v[184:185], v[186:187]
	v_mul_f64 v[186:187], v[152:153], v[172:173]
	v_fma_f64 v[4:5], v[152:153], v[174:175], -v[4:5]
	v_fmac_f64_e32 v[186:187], v[154:155], v[174:175]
	v_add_f64 v[2:3], v[2:3], v[4:5]
	s_waitcnt vmcnt(2) lgkmcnt(0)
	v_mul_f64 v[4:5], v[158:159], v[180:181]
	v_add_f64 v[184:185], v[184:185], v[186:187]
	v_mul_f64 v[186:187], v[156:157], v[180:181]
	s_waitcnt vmcnt(0)
	v_fma_f64 v[4:5], v[156:157], v[182:183], -v[4:5]
	v_fmac_f64_e32 v[186:187], v[158:159], v[182:183]
	v_add_f64 v[2:3], v[2:3], v[4:5]
	v_add_f64 v[184:185], v[184:185], v[186:187]
	v_add_f64 v[2:3], v[20:21], -v[2:3]
	v_cmp_lt_u32_e32 vcc, 15, v0
	v_add_f64 v[4:5], v[18:19], -v[184:185]
	buffer_store_dword v3, off, s[0:3], 0 offset:276
	buffer_store_dword v2, off, s[0:3], 0 offset:272
	;; [unrolled: 1-line block ×4, first 2 shown]
	s_and_saveexec_b64 s[4:5], vcc
	s_cbranch_execz .LBB38_217
; %bb.216:
	v_accvgpr_read_b32 v1, a101
	buffer_load_dword v2, v1, s[0:3], 0 offen
	buffer_load_dword v3, v1, s[0:3], 0 offen offset:4
	buffer_load_dword v4, v1, s[0:3], 0 offen offset:8
	;; [unrolled: 1-line block ×3, first 2 shown]
	v_mov_b32_e32 v1, 0
	v_accvgpr_read_b32 v6, a116
	buffer_store_dword v1, off, s[0:3], 0 offset:256
	buffer_store_dword v1, off, s[0:3], 0 offset:260
	;; [unrolled: 1-line block ×4, first 2 shown]
	s_waitcnt vmcnt(4)
	ds_write_b128 v6, v[2:5]
.LBB38_217:
	s_or_b64 exec, exec, s[4:5]
	s_waitcnt lgkmcnt(0)
	; wave barrier
	s_waitcnt lgkmcnt(0)
	buffer_load_dword v9, off, s[0:3], 0 offset:284
	buffer_load_dword v6, off, s[0:3], 0 offset:296
	;; [unrolled: 1-line block ×64, first 2 shown]
	v_mov_b32_e32 v1, 0
	ds_read_b128 v[74:77], v1 offset:880
	ds_read_b128 v[78:81], v1 offset:896
	buffer_load_dword v67, off, s[0:3], 0 offset:540
	buffer_load_dword v66, off, s[0:3], 0 offset:536
	;; [unrolled: 1-line block ×8, first 2 shown]
	ds_read_b128 v[82:85], v1 offset:912
	ds_read_b128 v[86:89], v1 offset:928
	buffer_load_dword v169, off, s[0:3], 0 offset:572
	buffer_load_dword v168, off, s[0:3], 0 offset:568
	;; [unrolled: 1-line block ×24, first 2 shown]
	ds_read_b128 v[164:167], v1 offset:1232
	v_cmp_lt_u32_e32 vcc, 14, v0
	s_waitcnt vmcnt(62) lgkmcnt(1)
	v_mul_f64 v[96:97], v[86:87], v[22:23]
	v_fmac_f64_e32 v[96:97], v[88:89], v[24:25]
	v_mul_f64 v[92:93], v[78:79], v[6:7]
	v_mul_f64 v[90:91], v[74:75], v[8:9]
	;; [unrolled: 1-line block ×3, first 2 shown]
	v_fmac_f64_e32 v[90:91], v[76:77], v[10:11]
	v_add_f64 v[90:91], v[90:91], 0
	v_fma_f64 v[8:9], v[74:75], v[10:11], -v[8:9]
	v_mul_f64 v[6:7], v[80:81], v[6:7]
	v_add_f64 v[8:9], v[8:9], 0
	v_fmac_f64_e32 v[92:93], v[80:81], v[14:15]
	v_add_f64 v[90:91], v[90:91], v[92:93]
	v_mul_f64 v[92:93], v[82:83], v[16:17]
	v_fmac_f64_e32 v[92:93], v[84:85], v[12:13]
	v_add_f64 v[94:95], v[90:91], v[92:93]
	ds_read_b128 v[90:93], v1 offset:944
	v_add_f64 v[98:99], v[94:95], v[96:97]
	ds_read_b128 v[94:97], v1 offset:960
	v_fma_f64 v[6:7], v[78:79], v[14:15], -v[6:7]
	v_add_f64 v[6:7], v[8:9], v[6:7]
	s_waitcnt lgkmcnt(1)
	v_mul_f64 v[100:101], v[90:91], v[18:19]
	v_fmac_f64_e32 v[100:101], v[92:93], v[20:21]
	v_add_f64 v[102:103], v[98:99], v[100:101]
	ds_read_b128 v[98:101], v1 offset:976
	s_waitcnt lgkmcnt(1)
	v_mul_f64 v[104:105], v[94:95], v[30:31]
	v_fmac_f64_e32 v[104:105], v[96:97], v[32:33]
	v_add_f64 v[106:107], v[102:103], v[104:105]
	ds_read_b128 v[102:105], v1 offset:992
	;; [unrolled: 5-line block ×3, first 2 shown]
	s_waitcnt vmcnt(58) lgkmcnt(1)
	v_mul_f64 v[112:113], v[102:103], v[38:39]
	s_waitcnt vmcnt(56)
	v_fmac_f64_e32 v[112:113], v[104:105], v[40:41]
	v_add_f64 v[114:115], v[110:111], v[112:113]
	ds_read_b128 v[110:113], v1 offset:1024
	s_waitcnt lgkmcnt(1)
	v_mul_f64 v[116:117], v[106:107], v[34:35]
	v_fmac_f64_e32 v[116:117], v[108:109], v[36:37]
	v_add_f64 v[120:121], v[114:115], v[116:117]
	ds_read_b128 v[114:117], v1 offset:1040
	s_waitcnt vmcnt(50) lgkmcnt(1)
	v_mul_f64 v[122:123], v[110:111], v[46:47]
	s_waitcnt vmcnt(48)
	v_fmac_f64_e32 v[122:123], v[112:113], v[48:49]
	v_add_f64 v[124:125], v[120:121], v[122:123]
	ds_read_b128 v[120:123], v1 offset:1056
	v_mul_f64 v[8:9], v[84:85], v[16:17]
	s_waitcnt lgkmcnt(1)
	v_mul_f64 v[126:127], v[114:115], v[42:43]
	v_fma_f64 v[8:9], v[82:83], v[12:13], -v[8:9]
	v_fmac_f64_e32 v[126:127], v[116:117], v[44:45]
	v_add_f64 v[6:7], v[6:7], v[8:9]
	v_mul_f64 v[8:9], v[88:89], v[22:23]
	v_add_f64 v[128:129], v[124:125], v[126:127]
	ds_read_b128 v[124:127], v1 offset:1072
	s_waitcnt vmcnt(42) lgkmcnt(1)
	v_mul_f64 v[130:131], v[120:121], v[54:55]
	v_fma_f64 v[8:9], v[86:87], v[24:25], -v[8:9]
	s_waitcnt vmcnt(40)
	v_fmac_f64_e32 v[130:131], v[122:123], v[56:57]
	v_add_f64 v[6:7], v[6:7], v[8:9]
	v_mul_f64 v[8:9], v[92:93], v[18:19]
	v_add_f64 v[132:133], v[128:129], v[130:131]
	ds_read_b128 v[128:131], v1 offset:1088
	v_fma_f64 v[8:9], v[90:91], v[20:21], -v[8:9]
	v_add_f64 v[6:7], v[6:7], v[8:9]
	v_mul_f64 v[8:9], v[96:97], v[30:31]
	v_fma_f64 v[8:9], v[94:95], v[32:33], -v[8:9]
	s_waitcnt lgkmcnt(1)
	v_mul_f64 v[134:135], v[124:125], v[50:51]
	v_add_f64 v[6:7], v[6:7], v[8:9]
	v_mul_f64 v[8:9], v[100:101], v[26:27]
	v_fmac_f64_e32 v[134:135], v[126:127], v[52:53]
	v_fma_f64 v[8:9], v[98:99], v[28:29], -v[8:9]
	v_add_f64 v[136:137], v[132:133], v[134:135]
	ds_read_b128 v[132:135], v1 offset:1104
	s_waitcnt vmcnt(34) lgkmcnt(1)
	v_mul_f64 v[138:139], v[128:129], v[62:63]
	v_add_f64 v[6:7], v[6:7], v[8:9]
	v_mul_f64 v[8:9], v[104:105], v[38:39]
	s_waitcnt vmcnt(32)
	v_fmac_f64_e32 v[138:139], v[130:131], v[64:65]
	v_fma_f64 v[8:9], v[102:103], v[40:41], -v[8:9]
	v_add_f64 v[140:141], v[136:137], v[138:139]
	ds_read_b128 v[136:139], v1 offset:1120
	v_add_f64 v[6:7], v[6:7], v[8:9]
	v_mul_f64 v[8:9], v[108:109], v[34:35]
	v_fma_f64 v[8:9], v[106:107], v[36:37], -v[8:9]
	v_add_f64 v[6:7], v[6:7], v[8:9]
	v_mul_f64 v[8:9], v[112:113], v[46:47]
	s_waitcnt lgkmcnt(1)
	v_mul_f64 v[142:143], v[132:133], v[58:59]
	v_fma_f64 v[8:9], v[110:111], v[48:49], -v[8:9]
	v_fmac_f64_e32 v[142:143], v[134:135], v[60:61]
	v_add_f64 v[6:7], v[6:7], v[8:9]
	v_mul_f64 v[8:9], v[116:117], v[42:43]
	v_add_f64 v[144:145], v[140:141], v[142:143]
	ds_read_b128 v[140:143], v1 offset:1136
	s_waitcnt vmcnt(26) lgkmcnt(1)
	v_mul_f64 v[146:147], v[136:137], v[70:71]
	v_fma_f64 v[8:9], v[114:115], v[44:45], -v[8:9]
	s_waitcnt vmcnt(24)
	v_fmac_f64_e32 v[146:147], v[138:139], v[72:73]
	v_add_f64 v[6:7], v[6:7], v[8:9]
	v_mul_f64 v[8:9], v[122:123], v[54:55]
	v_add_f64 v[148:149], v[144:145], v[146:147]
	ds_read_b128 v[144:147], v1 offset:1152
	v_fma_f64 v[8:9], v[120:121], v[56:57], -v[8:9]
	v_add_f64 v[6:7], v[6:7], v[8:9]
	v_mul_f64 v[8:9], v[126:127], v[50:51]
	v_fma_f64 v[8:9], v[124:125], v[52:53], -v[8:9]
	s_waitcnt lgkmcnt(1)
	v_mul_f64 v[150:151], v[140:141], v[66:67]
	v_add_f64 v[6:7], v[6:7], v[8:9]
	v_mul_f64 v[8:9], v[130:131], v[62:63]
	v_fmac_f64_e32 v[150:151], v[142:143], v[68:69]
	v_fma_f64 v[8:9], v[128:129], v[64:65], -v[8:9]
	v_add_f64 v[152:153], v[148:149], v[150:151]
	ds_read_b128 v[148:151], v1 offset:1168
	s_waitcnt vmcnt(18) lgkmcnt(1)
	v_mul_f64 v[154:155], v[144:145], v[172:173]
	v_add_f64 v[6:7], v[6:7], v[8:9]
	v_mul_f64 v[8:9], v[134:135], v[58:59]
	s_waitcnt vmcnt(16)
	v_fmac_f64_e32 v[154:155], v[146:147], v[174:175]
	v_fma_f64 v[8:9], v[132:133], v[60:61], -v[8:9]
	v_add_f64 v[156:157], v[152:153], v[154:155]
	ds_read_b128 v[152:155], v1 offset:1184
	v_add_f64 v[6:7], v[6:7], v[8:9]
	v_mul_f64 v[8:9], v[138:139], v[70:71]
	v_fma_f64 v[8:9], v[136:137], v[72:73], -v[8:9]
	v_add_f64 v[6:7], v[6:7], v[8:9]
	v_mul_f64 v[8:9], v[142:143], v[66:67]
	s_waitcnt lgkmcnt(1)
	v_mul_f64 v[158:159], v[148:149], v[168:169]
	v_fma_f64 v[8:9], v[140:141], v[68:69], -v[8:9]
	v_fmac_f64_e32 v[158:159], v[150:151], v[170:171]
	v_add_f64 v[6:7], v[6:7], v[8:9]
	v_mul_f64 v[8:9], v[146:147], v[172:173]
	v_add_f64 v[160:161], v[156:157], v[158:159]
	ds_read_b128 v[156:159], v1 offset:1200
	s_waitcnt vmcnt(10) lgkmcnt(1)
	v_mul_f64 v[162:163], v[152:153], v[180:181]
	v_fma_f64 v[8:9], v[144:145], v[174:175], -v[8:9]
	s_waitcnt vmcnt(8)
	v_fmac_f64_e32 v[162:163], v[154:155], v[182:183]
	v_add_f64 v[6:7], v[6:7], v[8:9]
	v_mul_f64 v[8:9], v[150:151], v[168:169]
	v_add_f64 v[200:201], v[160:161], v[162:163]
	ds_read_b128 v[160:163], v1 offset:1216
	v_fma_f64 v[8:9], v[148:149], v[170:171], -v[8:9]
	v_add_f64 v[6:7], v[6:7], v[8:9]
	v_mul_f64 v[8:9], v[154:155], v[180:181]
	v_fma_f64 v[8:9], v[152:153], v[182:183], -v[8:9]
	v_add_f64 v[6:7], v[6:7], v[8:9]
	s_waitcnt lgkmcnt(1)
	v_mul_f64 v[8:9], v[158:159], v[176:177]
	v_mul_f64 v[202:203], v[156:157], v[176:177]
	v_fma_f64 v[8:9], v[156:157], v[178:179], -v[8:9]
	v_fmac_f64_e32 v[202:203], v[158:159], v[178:179]
	v_add_f64 v[6:7], v[6:7], v[8:9]
	s_waitcnt vmcnt(2) lgkmcnt(0)
	v_mul_f64 v[8:9], v[162:163], v[196:197]
	v_add_f64 v[200:201], v[200:201], v[202:203]
	v_mul_f64 v[202:203], v[160:161], v[196:197]
	s_waitcnt vmcnt(0)
	v_fma_f64 v[8:9], v[160:161], v[198:199], -v[8:9]
	v_fmac_f64_e32 v[202:203], v[162:163], v[198:199]
	v_add_f64 v[6:7], v[6:7], v[8:9]
	v_mul_f64 v[8:9], v[166:167], v[184:185]
	v_add_f64 v[200:201], v[200:201], v[202:203]
	v_mul_f64 v[202:203], v[164:165], v[184:185]
	v_fma_f64 v[8:9], v[164:165], v[186:187], -v[8:9]
	v_fmac_f64_e32 v[202:203], v[166:167], v[186:187]
	v_add_f64 v[6:7], v[6:7], v[8:9]
	v_add_f64 v[200:201], v[200:201], v[202:203]
	v_add_f64 v[4:5], v[4:5], -v[6:7]
	v_add_f64 v[2:3], v[2:3], -v[200:201]
	buffer_store_dword v5, off, s[0:3], 0 offset:260
	buffer_store_dword v4, off, s[0:3], 0 offset:256
	buffer_store_dword v3, off, s[0:3], 0 offset:268
	buffer_store_dword v2, off, s[0:3], 0 offset:264
	s_and_saveexec_b64 s[4:5], vcc
	s_cbranch_execz .LBB38_219
; %bb.218:
	v_accvgpr_read_b32 v5, a102
	buffer_load_dword v2, v5, s[0:3], 0 offen
	buffer_load_dword v3, v5, s[0:3], 0 offen offset:4
	buffer_load_dword v4, v5, s[0:3], 0 offen offset:8
	s_nop 0
	buffer_load_dword v5, v5, s[0:3], 0 offen offset:12
	v_accvgpr_read_b32 v6, a116
	buffer_store_dword v1, off, s[0:3], 0 offset:240
	buffer_store_dword v1, off, s[0:3], 0 offset:244
	;; [unrolled: 1-line block ×4, first 2 shown]
	s_waitcnt vmcnt(4)
	ds_write_b128 v6, v[2:5]
.LBB38_219:
	s_or_b64 exec, exec, s[4:5]
	s_waitcnt lgkmcnt(0)
	; wave barrier
	s_waitcnt lgkmcnt(0)
	buffer_load_dword v22, off, s[0:3], 0 offset:256
	buffer_load_dword v23, off, s[0:3], 0 offset:260
	buffer_load_dword v24, off, s[0:3], 0 offset:264
	buffer_load_dword v25, off, s[0:3], 0 offset:268
	buffer_load_dword v27, off, s[0:3], 0 offset:300
	buffer_load_dword v28, off, s[0:3], 0 offset:272
	buffer_load_dword v32, off, s[0:3], 0 offset:280
	buffer_load_dword v33, off, s[0:3], 0 offset:284
	buffer_load_dword v30, off, s[0:3], 0 offset:288
	buffer_load_dword v26, off, s[0:3], 0 offset:296
	buffer_load_dword v31, off, s[0:3], 0 offset:292
	buffer_load_dword v29, off, s[0:3], 0 offset:276
	buffer_load_dword v20, off, s[0:3], 0 offset:240
	buffer_load_dword v21, off, s[0:3], 0 offset:244
	buffer_load_dword v18, off, s[0:3], 0 offset:248
	buffer_load_dword v19, off, s[0:3], 0 offset:252
	ds_read_b128 v[2:5], v1 offset:864
	ds_read_b128 v[6:9], v1 offset:880
	;; [unrolled: 1-line block ×4, first 2 shown]
	buffer_load_dword v35, off, s[0:3], 0 offset:332
	buffer_load_dword v34, off, s[0:3], 0 offset:328
	;; [unrolled: 1-line block ×48, first 2 shown]
	v_cmp_lt_u32_e32 vcc, 13, v0
	s_waitcnt vmcnt(42) lgkmcnt(0)
	v_mul_f64 v[104:105], v[14:15], v[38:39]
	s_waitcnt vmcnt(40)
	v_fmac_f64_e32 v[104:105], v[16:17], v[40:41]
	v_mul_f64 v[82:83], v[2:3], v[24:25]
	v_fmac_f64_e32 v[82:83], v[4:5], v[22:23]
	v_add_f64 v[82:83], v[82:83], 0
	v_mul_f64 v[4:5], v[4:5], v[24:25]
	v_mul_f64 v[84:85], v[6:7], v[32:33]
	v_fma_f64 v[2:3], v[2:3], v[22:23], -v[4:5]
	v_mul_f64 v[98:99], v[10:11], v[26:27]
	v_fmac_f64_e32 v[98:99], v[12:13], v[30:31]
	v_fmac_f64_e32 v[84:85], v[8:9], v[28:29]
	v_add_f64 v[100:101], v[82:83], v[84:85]
	buffer_load_dword v83, off, s[0:3], 0 offset:524
	buffer_load_dword v82, off, s[0:3], 0 offset:520
	;; [unrolled: 1-line block ×32, first 2 shown]
	v_add_f64 v[102:103], v[100:101], v[98:99]
	ds_read_b128 v[98:101], v1 offset:928
	buffer_load_dword v205, off, s[0:3], 0 offset:636
	buffer_load_dword v204, off, s[0:3], 0 offset:632
	;; [unrolled: 1-line block ×4, first 2 shown]
	v_add_f64 v[106:107], v[102:103], v[104:105]
	ds_read_b128 v[102:105], v1 offset:944
	v_mul_f64 v[4:5], v[8:9], v[32:33]
	s_waitcnt lgkmcnt(1)
	v_mul_f64 v[108:109], v[98:99], v[34:35]
	v_fmac_f64_e32 v[108:109], v[100:101], v[36:37]
	v_add_f64 v[110:111], v[106:107], v[108:109]
	ds_read_b128 v[106:109], v1 offset:960
	s_waitcnt vmcnt(62) lgkmcnt(1)
	v_mul_f64 v[112:113], v[102:103], v[46:47]
	v_fmac_f64_e32 v[112:113], v[104:105], v[48:49]
	v_add_f64 v[114:115], v[110:111], v[112:113]
	ds_read_b128 v[110:113], v1 offset:976
	s_waitcnt lgkmcnt(1)
	v_mul_f64 v[116:117], v[106:107], v[42:43]
	v_fmac_f64_e32 v[116:117], v[108:109], v[44:45]
	v_add_f64 v[120:121], v[114:115], v[116:117]
	ds_read_b128 v[114:117], v1 offset:992
	s_waitcnt lgkmcnt(1)
	v_mul_f64 v[122:123], v[110:111], v[54:55]
	s_waitcnt vmcnt(60)
	v_fmac_f64_e32 v[122:123], v[112:113], v[56:57]
	v_add_f64 v[124:125], v[120:121], v[122:123]
	ds_read_b128 v[120:123], v1 offset:1008
	s_waitcnt lgkmcnt(1)
	v_mul_f64 v[126:127], v[114:115], v[50:51]
	v_fmac_f64_e32 v[126:127], v[116:117], v[52:53]
	v_add_f64 v[128:129], v[124:125], v[126:127]
	ds_read_b128 v[124:127], v1 offset:1024
	s_waitcnt vmcnt(54) lgkmcnt(1)
	v_mul_f64 v[130:131], v[120:121], v[62:63]
	s_waitcnt vmcnt(52)
	v_fmac_f64_e32 v[130:131], v[122:123], v[64:65]
	v_add_f64 v[132:133], v[128:129], v[130:131]
	ds_read_b128 v[128:131], v1 offset:1040
	s_waitcnt lgkmcnt(1)
	v_mul_f64 v[134:135], v[124:125], v[58:59]
	v_fmac_f64_e32 v[134:135], v[126:127], v[60:61]
	v_add_f64 v[2:3], v[2:3], 0
	v_fma_f64 v[4:5], v[6:7], v[28:29], -v[4:5]
	v_add_f64 v[136:137], v[132:133], v[134:135]
	ds_read_b128 v[132:135], v1 offset:1056
	v_add_f64 v[2:3], v[2:3], v[4:5]
	v_mul_f64 v[4:5], v[12:13], v[26:27]
	v_fma_f64 v[4:5], v[10:11], v[30:31], -v[4:5]
	v_add_f64 v[2:3], v[2:3], v[4:5]
	v_mul_f64 v[4:5], v[16:17], v[38:39]
	s_waitcnt vmcnt(46) lgkmcnt(1)
	v_mul_f64 v[138:139], v[128:129], v[70:71]
	v_fma_f64 v[4:5], v[14:15], v[40:41], -v[4:5]
	s_waitcnt vmcnt(44)
	v_fmac_f64_e32 v[138:139], v[130:131], v[72:73]
	v_add_f64 v[2:3], v[2:3], v[4:5]
	v_mul_f64 v[4:5], v[100:101], v[34:35]
	v_add_f64 v[140:141], v[136:137], v[138:139]
	ds_read_b128 v[136:139], v1 offset:1072
	s_waitcnt lgkmcnt(1)
	v_mul_f64 v[142:143], v[132:133], v[66:67]
	v_fma_f64 v[4:5], v[98:99], v[36:37], -v[4:5]
	v_fmac_f64_e32 v[142:143], v[134:135], v[68:69]
	v_add_f64 v[2:3], v[2:3], v[4:5]
	v_mul_f64 v[4:5], v[104:105], v[46:47]
	v_add_f64 v[144:145], v[140:141], v[142:143]
	ds_read_b128 v[140:143], v1 offset:1088
	v_fma_f64 v[4:5], v[102:103], v[48:49], -v[4:5]
	v_add_f64 v[2:3], v[2:3], v[4:5]
	v_mul_f64 v[4:5], v[108:109], v[42:43]
	v_fma_f64 v[4:5], v[106:107], v[44:45], -v[4:5]
	s_waitcnt vmcnt(38) lgkmcnt(1)
	v_mul_f64 v[146:147], v[136:137], v[78:79]
	v_add_f64 v[2:3], v[2:3], v[4:5]
	v_mul_f64 v[4:5], v[112:113], v[54:55]
	s_waitcnt vmcnt(36)
	v_fmac_f64_e32 v[146:147], v[138:139], v[80:81]
	v_fma_f64 v[4:5], v[110:111], v[56:57], -v[4:5]
	v_add_f64 v[148:149], v[144:145], v[146:147]
	ds_read_b128 v[144:147], v1 offset:1104
	s_waitcnt lgkmcnt(1)
	v_mul_f64 v[150:151], v[140:141], v[74:75]
	v_add_f64 v[2:3], v[2:3], v[4:5]
	v_mul_f64 v[4:5], v[116:117], v[50:51]
	v_fmac_f64_e32 v[150:151], v[142:143], v[76:77]
	v_fma_f64 v[4:5], v[114:115], v[52:53], -v[4:5]
	v_add_f64 v[152:153], v[148:149], v[150:151]
	ds_read_b128 v[148:151], v1 offset:1120
	v_add_f64 v[2:3], v[2:3], v[4:5]
	v_mul_f64 v[4:5], v[122:123], v[62:63]
	v_fma_f64 v[4:5], v[120:121], v[64:65], -v[4:5]
	v_add_f64 v[2:3], v[2:3], v[4:5]
	v_mul_f64 v[4:5], v[126:127], v[58:59]
	s_waitcnt vmcnt(30) lgkmcnt(1)
	v_mul_f64 v[154:155], v[144:145], v[86:87]
	v_fma_f64 v[4:5], v[124:125], v[60:61], -v[4:5]
	s_waitcnt vmcnt(28)
	v_fmac_f64_e32 v[154:155], v[146:147], v[88:89]
	v_add_f64 v[2:3], v[2:3], v[4:5]
	v_mul_f64 v[4:5], v[130:131], v[70:71]
	v_add_f64 v[156:157], v[152:153], v[154:155]
	ds_read_b128 v[152:155], v1 offset:1136
	s_waitcnt lgkmcnt(1)
	v_mul_f64 v[158:159], v[148:149], v[82:83]
	v_fma_f64 v[4:5], v[128:129], v[72:73], -v[4:5]
	v_fmac_f64_e32 v[158:159], v[150:151], v[84:85]
	v_add_f64 v[2:3], v[2:3], v[4:5]
	v_mul_f64 v[4:5], v[134:135], v[66:67]
	v_add_f64 v[160:161], v[156:157], v[158:159]
	ds_read_b128 v[156:159], v1 offset:1152
	v_fma_f64 v[4:5], v[132:133], v[68:69], -v[4:5]
	v_add_f64 v[2:3], v[2:3], v[4:5]
	v_mul_f64 v[4:5], v[138:139], v[78:79]
	v_fma_f64 v[4:5], v[136:137], v[80:81], -v[4:5]
	s_waitcnt vmcnt(22) lgkmcnt(1)
	v_mul_f64 v[162:163], v[152:153], v[94:95]
	v_add_f64 v[2:3], v[2:3], v[4:5]
	v_mul_f64 v[4:5], v[142:143], v[74:75]
	s_waitcnt vmcnt(20)
	v_fmac_f64_e32 v[162:163], v[154:155], v[96:97]
	v_fma_f64 v[4:5], v[140:141], v[76:77], -v[4:5]
	v_add_f64 v[164:165], v[160:161], v[162:163]
	ds_read_b128 v[160:163], v1 offset:1168
	s_waitcnt lgkmcnt(1)
	v_mul_f64 v[166:167], v[156:157], v[90:91]
	v_add_f64 v[2:3], v[2:3], v[4:5]
	v_mul_f64 v[4:5], v[146:147], v[86:87]
	v_fmac_f64_e32 v[166:167], v[158:159], v[92:93]
	v_fma_f64 v[4:5], v[144:145], v[88:89], -v[4:5]
	v_add_f64 v[168:169], v[164:165], v[166:167]
	ds_read_b128 v[164:167], v1 offset:1184
	v_add_f64 v[2:3], v[2:3], v[4:5]
	v_mul_f64 v[4:5], v[150:151], v[82:83]
	v_fma_f64 v[4:5], v[148:149], v[84:85], -v[4:5]
	v_add_f64 v[2:3], v[2:3], v[4:5]
	v_mul_f64 v[4:5], v[154:155], v[94:95]
	s_waitcnt vmcnt(14) lgkmcnt(1)
	v_mul_f64 v[170:171], v[160:161], v[184:185]
	v_fma_f64 v[4:5], v[152:153], v[96:97], -v[4:5]
	s_waitcnt vmcnt(12)
	v_fmac_f64_e32 v[170:171], v[162:163], v[186:187]
	v_add_f64 v[2:3], v[2:3], v[4:5]
	v_mul_f64 v[4:5], v[158:159], v[90:91]
	v_add_f64 v[172:173], v[168:169], v[170:171]
	ds_read_b128 v[168:171], v1 offset:1200
	s_waitcnt lgkmcnt(1)
	v_mul_f64 v[174:175], v[164:165], v[180:181]
	v_fma_f64 v[4:5], v[156:157], v[92:93], -v[4:5]
	v_fmac_f64_e32 v[174:175], v[166:167], v[182:183]
	v_add_f64 v[2:3], v[2:3], v[4:5]
	v_mul_f64 v[4:5], v[162:163], v[184:185]
	v_add_f64 v[208:209], v[172:173], v[174:175]
	ds_read_b128 v[172:175], v1 offset:1216
	v_fma_f64 v[4:5], v[160:161], v[186:187], -v[4:5]
	v_add_f64 v[2:3], v[2:3], v[4:5]
	v_mul_f64 v[4:5], v[166:167], v[180:181]
	ds_read_b128 v[176:179], v1 offset:1232
	v_fma_f64 v[4:5], v[164:165], v[182:183], -v[4:5]
	v_add_f64 v[2:3], v[2:3], v[4:5]
	s_waitcnt vmcnt(6) lgkmcnt(2)
	v_mul_f64 v[4:5], v[170:171], v[200:201]
	v_mul_f64 v[210:211], v[168:169], v[200:201]
	s_waitcnt vmcnt(4)
	v_fma_f64 v[4:5], v[168:169], v[202:203], -v[4:5]
	v_fmac_f64_e32 v[210:211], v[170:171], v[202:203]
	v_add_f64 v[2:3], v[2:3], v[4:5]
	s_waitcnt lgkmcnt(1)
	v_mul_f64 v[4:5], v[174:175], v[196:197]
	v_add_f64 v[208:209], v[208:209], v[210:211]
	v_mul_f64 v[210:211], v[172:173], v[196:197]
	v_fma_f64 v[4:5], v[172:173], v[198:199], -v[4:5]
	v_fmac_f64_e32 v[210:211], v[174:175], v[198:199]
	v_add_f64 v[2:3], v[2:3], v[4:5]
	s_waitcnt vmcnt(2) lgkmcnt(0)
	v_mul_f64 v[4:5], v[178:179], v[204:205]
	v_add_f64 v[208:209], v[208:209], v[210:211]
	v_mul_f64 v[210:211], v[176:177], v[204:205]
	s_waitcnt vmcnt(0)
	v_fma_f64 v[4:5], v[176:177], v[206:207], -v[4:5]
	v_fmac_f64_e32 v[210:211], v[178:179], v[206:207]
	v_add_f64 v[2:3], v[2:3], v[4:5]
	v_add_f64 v[208:209], v[208:209], v[210:211]
	v_add_f64 v[2:3], v[20:21], -v[2:3]
	v_add_f64 v[4:5], v[18:19], -v[208:209]
	buffer_store_dword v3, off, s[0:3], 0 offset:244
	buffer_store_dword v2, off, s[0:3], 0 offset:240
	;; [unrolled: 1-line block ×4, first 2 shown]
	s_and_saveexec_b64 s[4:5], vcc
	s_cbranch_execz .LBB38_221
; %bb.220:
	v_accvgpr_read_b32 v1, a103
	buffer_load_dword v2, v1, s[0:3], 0 offen
	buffer_load_dword v3, v1, s[0:3], 0 offen offset:4
	buffer_load_dword v4, v1, s[0:3], 0 offen offset:8
	buffer_load_dword v5, v1, s[0:3], 0 offen offset:12
	v_mov_b32_e32 v1, 0
	v_accvgpr_read_b32 v6, a116
	buffer_store_dword v1, off, s[0:3], 0 offset:224
	buffer_store_dword v1, off, s[0:3], 0 offset:228
	;; [unrolled: 1-line block ×4, first 2 shown]
	s_waitcnt vmcnt(4)
	ds_write_b128 v6, v[2:5]
.LBB38_221:
	s_or_b64 exec, exec, s[4:5]
	s_waitcnt lgkmcnt(0)
	; wave barrier
	s_waitcnt lgkmcnt(0)
	buffer_load_dword v22, off, s[0:3], 0 offset:240
	buffer_load_dword v23, off, s[0:3], 0 offset:244
	;; [unrolled: 1-line block ×64, first 2 shown]
	v_mov_b32_e32 v1, 0
	ds_read_b128 v[18:21], v1 offset:848
	ds_read_b128 v[14:17], v1 offset:864
	;; [unrolled: 1-line block ×5, first 2 shown]
	v_cmp_lt_u32_e32 vcc, 12, v0
	s_waitcnt vmcnt(60) lgkmcnt(4)
	v_mul_f64 v[86:87], v[18:19], v[26:27]
	v_fmac_f64_e32 v[86:87], v[20:21], v[22:23]
	v_add_f64 v[86:87], v[86:87], 0
	v_mul_f64 v[20:21], v[20:21], v[26:27]
	s_waitcnt vmcnt(56) lgkmcnt(3)
	v_mul_f64 v[88:89], v[14:15], v[28:29]
	v_fmac_f64_e32 v[88:89], v[16:17], v[24:25]
	s_waitcnt vmcnt(54) lgkmcnt(2)
	v_mul_f64 v[90:91], v[10:11], v[30:31]
	v_add_f64 v[86:87], v[86:87], v[88:89]
	v_fma_f64 v[18:19], v[18:19], v[22:23], -v[20:21]
	v_mul_f64 v[16:17], v[16:17], v[28:29]
	s_waitcnt vmcnt(50) lgkmcnt(1)
	v_mul_f64 v[102:103], v[6:7], v[40:41]
	v_add_f64 v[18:19], v[18:19], 0
	s_waitcnt vmcnt(48)
	v_fmac_f64_e32 v[90:91], v[12:13], v[44:45]
	v_add_f64 v[104:105], v[86:87], v[90:91]
	buffer_load_dword v87, off, s[0:3], 0 offset:508
	buffer_load_dword v86, off, s[0:3], 0 offset:504
	;; [unrolled: 1-line block ×40, first 2 shown]
	s_waitcnt vmcnt(62)
	v_fmac_f64_e32 v[102:103], v[8:9], v[42:43]
	v_add_f64 v[106:107], v[104:105], v[102:103]
	ds_read_b128 v[102:105], v1 offset:928
	s_waitcnt lgkmcnt(1)
	v_mul_f64 v[108:109], v[2:3], v[36:37]
	v_fmac_f64_e32 v[108:109], v[4:5], v[38:39]
	v_add_f64 v[110:111], v[106:107], v[108:109]
	ds_read_b128 v[106:109], v1 offset:944
	s_waitcnt lgkmcnt(1)
	v_mul_f64 v[112:113], v[102:103], v[50:51]
	v_fmac_f64_e32 v[112:113], v[104:105], v[52:53]
	v_add_f64 v[114:115], v[110:111], v[112:113]
	ds_read_b128 v[110:113], v1 offset:960
	s_waitcnt lgkmcnt(1)
	v_mul_f64 v[116:117], v[106:107], v[46:47]
	v_fmac_f64_e32 v[116:117], v[108:109], v[48:49]
	v_add_f64 v[120:121], v[114:115], v[116:117]
	ds_read_b128 v[114:117], v1 offset:976
	s_waitcnt lgkmcnt(1)
	v_mul_f64 v[122:123], v[110:111], v[58:59]
	v_fmac_f64_e32 v[122:123], v[112:113], v[60:61]
	v_add_f64 v[124:125], v[120:121], v[122:123]
	ds_read_b128 v[120:123], v1 offset:992
	s_waitcnt lgkmcnt(1)
	v_mul_f64 v[126:127], v[114:115], v[54:55]
	v_fmac_f64_e32 v[126:127], v[116:117], v[56:57]
	v_add_f64 v[128:129], v[124:125], v[126:127]
	ds_read_b128 v[124:127], v1 offset:1008
	s_waitcnt vmcnt(58) lgkmcnt(1)
	v_mul_f64 v[130:131], v[120:121], v[66:67]
	s_waitcnt vmcnt(56)
	v_fmac_f64_e32 v[130:131], v[122:123], v[68:69]
	v_add_f64 v[132:133], v[128:129], v[130:131]
	ds_read_b128 v[128:131], v1 offset:1024
	s_waitcnt lgkmcnt(1)
	v_mul_f64 v[134:135], v[124:125], v[62:63]
	v_fmac_f64_e32 v[134:135], v[126:127], v[64:65]
	v_add_f64 v[136:137], v[132:133], v[134:135]
	ds_read_b128 v[132:135], v1 offset:1040
	s_waitcnt vmcnt(50) lgkmcnt(1)
	v_mul_f64 v[138:139], v[128:129], v[74:75]
	s_waitcnt vmcnt(48)
	v_fmac_f64_e32 v[138:139], v[130:131], v[76:77]
	v_add_f64 v[140:141], v[136:137], v[138:139]
	ds_read_b128 v[136:139], v1 offset:1056
	v_fma_f64 v[14:15], v[14:15], v[24:25], -v[16:17]
	v_mul_f64 v[12:13], v[12:13], v[30:31]
	v_add_f64 v[14:15], v[18:19], v[14:15]
	v_fma_f64 v[10:11], v[10:11], v[44:45], -v[12:13]
	v_mul_f64 v[8:9], v[8:9], v[40:41]
	s_waitcnt lgkmcnt(1)
	v_mul_f64 v[142:143], v[132:133], v[70:71]
	v_add_f64 v[10:11], v[14:15], v[10:11]
	v_fma_f64 v[6:7], v[6:7], v[42:43], -v[8:9]
	v_mul_f64 v[4:5], v[4:5], v[36:37]
	v_fmac_f64_e32 v[142:143], v[134:135], v[72:73]
	v_add_f64 v[6:7], v[10:11], v[6:7]
	v_fma_f64 v[2:3], v[2:3], v[38:39], -v[4:5]
	v_mul_f64 v[4:5], v[104:105], v[50:51]
	v_add_f64 v[144:145], v[140:141], v[142:143]
	ds_read_b128 v[140:143], v1 offset:1072
	s_waitcnt vmcnt(42) lgkmcnt(1)
	v_mul_f64 v[146:147], v[136:137], v[82:83]
	v_add_f64 v[2:3], v[6:7], v[2:3]
	v_fma_f64 v[4:5], v[102:103], v[52:53], -v[4:5]
	s_waitcnt vmcnt(40)
	v_fmac_f64_e32 v[146:147], v[138:139], v[84:85]
	v_add_f64 v[2:3], v[2:3], v[4:5]
	v_mul_f64 v[4:5], v[108:109], v[46:47]
	v_add_f64 v[148:149], v[144:145], v[146:147]
	ds_read_b128 v[144:147], v1 offset:1088
	v_fma_f64 v[4:5], v[106:107], v[48:49], -v[4:5]
	v_add_f64 v[2:3], v[2:3], v[4:5]
	v_mul_f64 v[4:5], v[112:113], v[58:59]
	v_fma_f64 v[4:5], v[110:111], v[60:61], -v[4:5]
	s_waitcnt lgkmcnt(1)
	v_mul_f64 v[150:151], v[140:141], v[78:79]
	v_add_f64 v[2:3], v[2:3], v[4:5]
	v_mul_f64 v[4:5], v[116:117], v[54:55]
	v_fmac_f64_e32 v[150:151], v[142:143], v[80:81]
	v_fma_f64 v[4:5], v[114:115], v[56:57], -v[4:5]
	v_add_f64 v[152:153], v[148:149], v[150:151]
	ds_read_b128 v[148:151], v1 offset:1104
	s_waitcnt vmcnt(34) lgkmcnt(1)
	v_mul_f64 v[154:155], v[144:145], v[90:91]
	v_add_f64 v[2:3], v[2:3], v[4:5]
	v_mul_f64 v[4:5], v[122:123], v[66:67]
	s_waitcnt vmcnt(32)
	v_fmac_f64_e32 v[154:155], v[146:147], v[92:93]
	v_fma_f64 v[4:5], v[120:121], v[68:69], -v[4:5]
	v_add_f64 v[156:157], v[152:153], v[154:155]
	ds_read_b128 v[152:155], v1 offset:1120
	v_add_f64 v[2:3], v[2:3], v[4:5]
	v_mul_f64 v[4:5], v[126:127], v[62:63]
	v_fma_f64 v[4:5], v[124:125], v[64:65], -v[4:5]
	v_add_f64 v[2:3], v[2:3], v[4:5]
	v_mul_f64 v[4:5], v[130:131], v[74:75]
	s_waitcnt lgkmcnt(1)
	v_mul_f64 v[158:159], v[148:149], v[86:87]
	v_fma_f64 v[4:5], v[128:129], v[76:77], -v[4:5]
	v_fmac_f64_e32 v[158:159], v[150:151], v[88:89]
	v_add_f64 v[2:3], v[2:3], v[4:5]
	v_mul_f64 v[4:5], v[134:135], v[70:71]
	v_add_f64 v[160:161], v[156:157], v[158:159]
	ds_read_b128 v[156:159], v1 offset:1136
	s_waitcnt vmcnt(26) lgkmcnt(1)
	v_mul_f64 v[162:163], v[152:153], v[98:99]
	v_fma_f64 v[4:5], v[132:133], v[72:73], -v[4:5]
	s_waitcnt vmcnt(24)
	v_fmac_f64_e32 v[162:163], v[154:155], v[100:101]
	v_add_f64 v[2:3], v[2:3], v[4:5]
	v_mul_f64 v[4:5], v[138:139], v[82:83]
	v_add_f64 v[164:165], v[160:161], v[162:163]
	ds_read_b128 v[160:163], v1 offset:1152
	v_fma_f64 v[4:5], v[136:137], v[84:85], -v[4:5]
	v_add_f64 v[2:3], v[2:3], v[4:5]
	v_mul_f64 v[4:5], v[142:143], v[78:79]
	v_fma_f64 v[4:5], v[140:141], v[80:81], -v[4:5]
	s_waitcnt lgkmcnt(1)
	v_mul_f64 v[166:167], v[156:157], v[94:95]
	v_add_f64 v[2:3], v[2:3], v[4:5]
	v_mul_f64 v[4:5], v[146:147], v[90:91]
	v_fmac_f64_e32 v[166:167], v[158:159], v[96:97]
	v_fma_f64 v[4:5], v[144:145], v[92:93], -v[4:5]
	v_add_f64 v[168:169], v[164:165], v[166:167]
	ds_read_b128 v[164:167], v1 offset:1168
	s_waitcnt vmcnt(18) lgkmcnt(1)
	v_mul_f64 v[170:171], v[160:161], v[196:197]
	v_add_f64 v[2:3], v[2:3], v[4:5]
	v_mul_f64 v[4:5], v[150:151], v[86:87]
	s_waitcnt vmcnt(16)
	v_fmac_f64_e32 v[170:171], v[162:163], v[198:199]
	v_fma_f64 v[4:5], v[148:149], v[88:89], -v[4:5]
	v_add_f64 v[172:173], v[168:169], v[170:171]
	ds_read_b128 v[168:171], v1 offset:1184
	v_add_f64 v[2:3], v[2:3], v[4:5]
	v_mul_f64 v[4:5], v[154:155], v[98:99]
	v_fma_f64 v[4:5], v[152:153], v[100:101], -v[4:5]
	v_add_f64 v[2:3], v[2:3], v[4:5]
	v_mul_f64 v[4:5], v[158:159], v[94:95]
	s_waitcnt lgkmcnt(1)
	v_mul_f64 v[174:175], v[164:165], v[184:185]
	v_fma_f64 v[4:5], v[156:157], v[96:97], -v[4:5]
	v_fmac_f64_e32 v[174:175], v[166:167], v[186:187]
	v_add_f64 v[2:3], v[2:3], v[4:5]
	v_mul_f64 v[4:5], v[162:163], v[196:197]
	v_add_f64 v[176:177], v[172:173], v[174:175]
	ds_read_b128 v[172:175], v1 offset:1200
	s_waitcnt vmcnt(10) lgkmcnt(1)
	v_mul_f64 v[178:179], v[168:169], v[204:205]
	v_fma_f64 v[4:5], v[160:161], v[198:199], -v[4:5]
	s_waitcnt vmcnt(8)
	v_fmac_f64_e32 v[178:179], v[170:171], v[206:207]
	v_add_f64 v[2:3], v[2:3], v[4:5]
	v_mul_f64 v[4:5], v[166:167], v[184:185]
	v_add_f64 v[216:217], v[176:177], v[178:179]
	ds_read_b128 v[176:179], v1 offset:1216
	ds_read_b128 v[180:183], v1 offset:1232
	v_fma_f64 v[4:5], v[164:165], v[186:187], -v[4:5]
	v_add_f64 v[2:3], v[2:3], v[4:5]
	v_mul_f64 v[4:5], v[170:171], v[204:205]
	v_fma_f64 v[4:5], v[168:169], v[206:207], -v[4:5]
	v_add_f64 v[2:3], v[2:3], v[4:5]
	s_waitcnt lgkmcnt(2)
	v_mul_f64 v[4:5], v[174:175], v[200:201]
	v_mul_f64 v[218:219], v[172:173], v[200:201]
	v_fma_f64 v[4:5], v[172:173], v[202:203], -v[4:5]
	v_fmac_f64_e32 v[218:219], v[174:175], v[202:203]
	v_add_f64 v[2:3], v[2:3], v[4:5]
	s_waitcnt vmcnt(2) lgkmcnt(1)
	v_mul_f64 v[4:5], v[178:179], v[212:213]
	v_add_f64 v[216:217], v[216:217], v[218:219]
	v_mul_f64 v[218:219], v[176:177], v[212:213]
	s_waitcnt vmcnt(0)
	v_fma_f64 v[4:5], v[176:177], v[214:215], -v[4:5]
	v_fmac_f64_e32 v[218:219], v[178:179], v[214:215]
	v_add_f64 v[2:3], v[2:3], v[4:5]
	s_waitcnt lgkmcnt(0)
	v_mul_f64 v[4:5], v[182:183], v[208:209]
	v_add_f64 v[216:217], v[216:217], v[218:219]
	v_mul_f64 v[218:219], v[180:181], v[208:209]
	v_fma_f64 v[4:5], v[180:181], v[210:211], -v[4:5]
	v_fmac_f64_e32 v[218:219], v[182:183], v[210:211]
	v_add_f64 v[2:3], v[2:3], v[4:5]
	v_add_f64 v[216:217], v[216:217], v[218:219]
	v_add_f64 v[2:3], v[34:35], -v[2:3]
	v_add_f64 v[4:5], v[32:33], -v[216:217]
	buffer_store_dword v3, off, s[0:3], 0 offset:228
	buffer_store_dword v2, off, s[0:3], 0 offset:224
	;; [unrolled: 1-line block ×4, first 2 shown]
	s_and_saveexec_b64 s[4:5], vcc
	s_cbranch_execz .LBB38_223
; %bb.222:
	v_accvgpr_read_b32 v5, a104
	buffer_load_dword v2, v5, s[0:3], 0 offen
	buffer_load_dword v3, v5, s[0:3], 0 offen offset:4
	buffer_load_dword v4, v5, s[0:3], 0 offen offset:8
	s_nop 0
	buffer_load_dword v5, v5, s[0:3], 0 offen offset:12
	v_accvgpr_read_b32 v6, a116
	buffer_store_dword v1, off, s[0:3], 0 offset:208
	buffer_store_dword v1, off, s[0:3], 0 offset:212
	;; [unrolled: 1-line block ×4, first 2 shown]
	s_waitcnt vmcnt(4)
	ds_write_b128 v6, v[2:5]
.LBB38_223:
	s_or_b64 exec, exec, s[4:5]
	s_waitcnt lgkmcnt(0)
	; wave barrier
	s_waitcnt lgkmcnt(0)
	buffer_load_dword v26, off, s[0:3], 0 offset:224
	buffer_load_dword v27, off, s[0:3], 0 offset:228
	;; [unrolled: 1-line block ×24, first 2 shown]
	ds_read_b128 v[22:25], v1 offset:832
	ds_read_b128 v[18:21], v1 offset:848
	;; [unrolled: 1-line block ×6, first 2 shown]
	buffer_load_dword v51, off, s[0:3], 0 offset:332
	buffer_load_dword v50, off, s[0:3], 0 offset:328
	buffer_load_dword v53, off, s[0:3], 0 offset:324
	buffer_load_dword v52, off, s[0:3], 0 offset:320
	buffer_load_dword v55, off, s[0:3], 0 offset:316
	buffer_load_dword v54, off, s[0:3], 0 offset:312
	buffer_load_dword v57, off, s[0:3], 0 offset:308
	buffer_load_dword v56, off, s[0:3], 0 offset:304
	buffer_load_dword v59, off, s[0:3], 0 offset:364
	buffer_load_dword v58, off, s[0:3], 0 offset:360
	buffer_load_dword v61, off, s[0:3], 0 offset:356
	buffer_load_dword v60, off, s[0:3], 0 offset:352
	buffer_load_dword v63, off, s[0:3], 0 offset:348
	buffer_load_dword v62, off, s[0:3], 0 offset:344
	buffer_load_dword v65, off, s[0:3], 0 offset:340
	buffer_load_dword v64, off, s[0:3], 0 offset:336
	buffer_load_dword v67, off, s[0:3], 0 offset:396
	buffer_load_dword v66, off, s[0:3], 0 offset:392
	buffer_load_dword v69, off, s[0:3], 0 offset:388
	buffer_load_dword v68, off, s[0:3], 0 offset:384
	buffer_load_dword v71, off, s[0:3], 0 offset:380
	buffer_load_dword v70, off, s[0:3], 0 offset:376
	buffer_load_dword v73, off, s[0:3], 0 offset:372
	buffer_load_dword v72, off, s[0:3], 0 offset:368
	buffer_load_dword v75, off, s[0:3], 0 offset:428
	buffer_load_dword v74, off, s[0:3], 0 offset:424
	buffer_load_dword v77, off, s[0:3], 0 offset:420
	buffer_load_dword v76, off, s[0:3], 0 offset:416
	buffer_load_dword v79, off, s[0:3], 0 offset:412
	buffer_load_dword v78, off, s[0:3], 0 offset:408
	buffer_load_dword v81, off, s[0:3], 0 offset:404
	buffer_load_dword v80, off, s[0:3], 0 offset:400
	buffer_load_dword v83, off, s[0:3], 0 offset:460
	buffer_load_dword v82, off, s[0:3], 0 offset:456
	buffer_load_dword v85, off, s[0:3], 0 offset:452
	buffer_load_dword v84, off, s[0:3], 0 offset:448
	buffer_load_dword v87, off, s[0:3], 0 offset:444
	buffer_load_dword v86, off, s[0:3], 0 offset:440
	buffer_load_dword v89, off, s[0:3], 0 offset:436
	buffer_load_dword v88, off, s[0:3], 0 offset:432
	v_cmp_lt_u32_e32 vcc, 11, v0
	s_waitcnt vmcnt(34) lgkmcnt(0)
	v_mul_f64 v[122:123], v[14:15], v[54:55]
	s_waitcnt vmcnt(32)
	v_fmac_f64_e32 v[122:123], v[16:17], v[56:57]
	v_mul_f64 v[90:91], v[22:23], v[28:29]
	v_fmac_f64_e32 v[90:91], v[24:25], v[26:27]
	v_mul_f64 v[92:93], v[18:19], v[30:31]
	v_add_f64 v[90:91], v[90:91], 0
	v_mul_f64 v[94:95], v[10:11], v[32:33]
	v_mul_f64 v[24:25], v[24:25], v[28:29]
	;; [unrolled: 1-line block ×3, first 2 shown]
	v_fma_f64 v[22:23], v[22:23], v[26:27], -v[24:25]
	v_add_f64 v[22:23], v[22:23], 0
	v_mul_f64 v[96:97], v[6:7], v[42:43]
	v_fmac_f64_e32 v[92:93], v[20:21], v[48:49]
	v_add_f64 v[90:91], v[90:91], v[92:93]
	v_fmac_f64_e32 v[94:95], v[12:13], v[46:47]
	v_add_f64 v[90:91], v[90:91], v[94:95]
	;; [unrolled: 2-line block ×3, first 2 shown]
	buffer_load_dword v91, off, s[0:3], 0 offset:492
	buffer_load_dword v90, off, s[0:3], 0 offset:488
	;; [unrolled: 1-line block ×40, first 2 shown]
	v_fmac_f64_e32 v[114:115], v[4:5], v[40:41]
	v_add_f64 v[120:121], v[116:117], v[114:115]
	ds_read_b128 v[114:117], v1 offset:928
	buffer_load_dword v221, off, s[0:3], 0 offset:636
	buffer_load_dword v220, off, s[0:3], 0 offset:632
	;; [unrolled: 1-line block ×4, first 2 shown]
	v_add_f64 v[124:125], v[120:121], v[122:123]
	ds_read_b128 v[120:123], v1 offset:944
	v_mul_f64 v[20:21], v[20:21], v[30:31]
	s_waitcnt lgkmcnt(1)
	v_mul_f64 v[126:127], v[114:115], v[50:51]
	v_fmac_f64_e32 v[126:127], v[116:117], v[52:53]
	v_add_f64 v[128:129], v[124:125], v[126:127]
	ds_read_b128 v[124:127], v1 offset:960
	s_waitcnt vmcnt(62) lgkmcnt(1)
	v_mul_f64 v[130:131], v[120:121], v[62:63]
	v_fmac_f64_e32 v[130:131], v[122:123], v[64:65]
	v_add_f64 v[132:133], v[128:129], v[130:131]
	ds_read_b128 v[128:131], v1 offset:976
	s_waitcnt lgkmcnt(1)
	v_mul_f64 v[134:135], v[124:125], v[58:59]
	v_fmac_f64_e32 v[134:135], v[126:127], v[60:61]
	v_add_f64 v[136:137], v[132:133], v[134:135]
	ds_read_b128 v[132:135], v1 offset:992
	s_waitcnt lgkmcnt(1)
	v_mul_f64 v[138:139], v[128:129], v[70:71]
	s_waitcnt vmcnt(60)
	v_fmac_f64_e32 v[138:139], v[130:131], v[72:73]
	v_add_f64 v[140:141], v[136:137], v[138:139]
	ds_read_b128 v[136:139], v1 offset:1008
	s_waitcnt lgkmcnt(1)
	v_mul_f64 v[142:143], v[132:133], v[66:67]
	v_fmac_f64_e32 v[142:143], v[134:135], v[68:69]
	v_add_f64 v[144:145], v[140:141], v[142:143]
	ds_read_b128 v[140:143], v1 offset:1024
	s_waitcnt vmcnt(54) lgkmcnt(1)
	v_mul_f64 v[146:147], v[136:137], v[78:79]
	s_waitcnt vmcnt(52)
	v_fmac_f64_e32 v[146:147], v[138:139], v[80:81]
	v_add_f64 v[148:149], v[144:145], v[146:147]
	ds_read_b128 v[144:147], v1 offset:1040
	s_waitcnt lgkmcnt(1)
	v_mul_f64 v[150:151], v[140:141], v[74:75]
	v_fmac_f64_e32 v[150:151], v[142:143], v[76:77]
	v_fma_f64 v[18:19], v[18:19], v[48:49], -v[20:21]
	v_mul_f64 v[12:13], v[12:13], v[32:33]
	v_add_f64 v[152:153], v[148:149], v[150:151]
	ds_read_b128 v[148:151], v1 offset:1056
	v_add_f64 v[18:19], v[22:23], v[18:19]
	v_fma_f64 v[10:11], v[10:11], v[46:47], -v[12:13]
	v_mul_f64 v[8:9], v[8:9], v[42:43]
	v_add_f64 v[10:11], v[18:19], v[10:11]
	v_fma_f64 v[6:7], v[6:7], v[44:45], -v[8:9]
	v_mul_f64 v[4:5], v[4:5], v[38:39]
	;; [unrolled: 3-line block ×3, first 2 shown]
	s_waitcnt vmcnt(46) lgkmcnt(1)
	v_mul_f64 v[154:155], v[144:145], v[86:87]
	v_add_f64 v[2:3], v[6:7], v[2:3]
	v_fma_f64 v[4:5], v[14:15], v[56:57], -v[4:5]
	s_waitcnt vmcnt(44)
	v_fmac_f64_e32 v[154:155], v[146:147], v[88:89]
	v_add_f64 v[2:3], v[2:3], v[4:5]
	v_mul_f64 v[4:5], v[116:117], v[50:51]
	v_add_f64 v[156:157], v[152:153], v[154:155]
	ds_read_b128 v[152:155], v1 offset:1072
	s_waitcnt lgkmcnt(1)
	v_mul_f64 v[158:159], v[148:149], v[82:83]
	v_fma_f64 v[4:5], v[114:115], v[52:53], -v[4:5]
	v_fmac_f64_e32 v[158:159], v[150:151], v[84:85]
	v_add_f64 v[2:3], v[2:3], v[4:5]
	v_mul_f64 v[4:5], v[122:123], v[62:63]
	v_add_f64 v[160:161], v[156:157], v[158:159]
	ds_read_b128 v[156:159], v1 offset:1088
	v_fma_f64 v[4:5], v[120:121], v[64:65], -v[4:5]
	v_add_f64 v[2:3], v[2:3], v[4:5]
	v_mul_f64 v[4:5], v[126:127], v[58:59]
	v_fma_f64 v[4:5], v[124:125], v[60:61], -v[4:5]
	s_waitcnt vmcnt(38) lgkmcnt(1)
	v_mul_f64 v[162:163], v[152:153], v[94:95]
	v_add_f64 v[2:3], v[2:3], v[4:5]
	v_mul_f64 v[4:5], v[130:131], v[70:71]
	s_waitcnt vmcnt(36)
	v_fmac_f64_e32 v[162:163], v[154:155], v[96:97]
	v_fma_f64 v[4:5], v[128:129], v[72:73], -v[4:5]
	v_add_f64 v[164:165], v[160:161], v[162:163]
	ds_read_b128 v[160:163], v1 offset:1104
	s_waitcnt lgkmcnt(1)
	v_mul_f64 v[166:167], v[156:157], v[90:91]
	v_add_f64 v[2:3], v[2:3], v[4:5]
	v_mul_f64 v[4:5], v[134:135], v[66:67]
	v_fmac_f64_e32 v[166:167], v[158:159], v[92:93]
	v_fma_f64 v[4:5], v[132:133], v[68:69], -v[4:5]
	v_add_f64 v[168:169], v[164:165], v[166:167]
	ds_read_b128 v[164:167], v1 offset:1120
	v_add_f64 v[2:3], v[2:3], v[4:5]
	v_mul_f64 v[4:5], v[138:139], v[78:79]
	v_fma_f64 v[4:5], v[136:137], v[80:81], -v[4:5]
	v_add_f64 v[2:3], v[2:3], v[4:5]
	v_mul_f64 v[4:5], v[142:143], v[74:75]
	s_waitcnt vmcnt(30) lgkmcnt(1)
	v_mul_f64 v[170:171], v[160:161], v[102:103]
	v_fma_f64 v[4:5], v[140:141], v[76:77], -v[4:5]
	s_waitcnt vmcnt(28)
	v_fmac_f64_e32 v[170:171], v[162:163], v[104:105]
	v_add_f64 v[2:3], v[2:3], v[4:5]
	v_mul_f64 v[4:5], v[146:147], v[86:87]
	v_add_f64 v[172:173], v[168:169], v[170:171]
	ds_read_b128 v[168:171], v1 offset:1136
	s_waitcnt lgkmcnt(1)
	v_mul_f64 v[174:175], v[164:165], v[98:99]
	v_fma_f64 v[4:5], v[144:145], v[88:89], -v[4:5]
	v_fmac_f64_e32 v[174:175], v[166:167], v[100:101]
	v_add_f64 v[2:3], v[2:3], v[4:5]
	v_mul_f64 v[4:5], v[150:151], v[82:83]
	v_add_f64 v[176:177], v[172:173], v[174:175]
	ds_read_b128 v[172:175], v1 offset:1152
	v_fma_f64 v[4:5], v[148:149], v[84:85], -v[4:5]
	v_add_f64 v[2:3], v[2:3], v[4:5]
	v_mul_f64 v[4:5], v[154:155], v[94:95]
	v_fma_f64 v[4:5], v[152:153], v[96:97], -v[4:5]
	s_waitcnt vmcnt(22) lgkmcnt(1)
	v_mul_f64 v[178:179], v[168:169], v[110:111]
	v_add_f64 v[2:3], v[2:3], v[4:5]
	v_mul_f64 v[4:5], v[158:159], v[90:91]
	s_waitcnt vmcnt(20)
	v_fmac_f64_e32 v[178:179], v[170:171], v[112:113]
	v_fma_f64 v[4:5], v[156:157], v[92:93], -v[4:5]
	v_add_f64 v[180:181], v[176:177], v[178:179]
	ds_read_b128 v[176:179], v1 offset:1168
	s_waitcnt lgkmcnt(1)
	v_mul_f64 v[182:183], v[172:173], v[106:107]
	v_add_f64 v[2:3], v[2:3], v[4:5]
	v_mul_f64 v[4:5], v[162:163], v[102:103]
	v_fmac_f64_e32 v[182:183], v[174:175], v[108:109]
	v_fma_f64 v[4:5], v[160:161], v[104:105], -v[4:5]
	v_add_f64 v[184:185], v[180:181], v[182:183]
	ds_read_b128 v[180:183], v1 offset:1184
	v_add_f64 v[2:3], v[2:3], v[4:5]
	v_mul_f64 v[4:5], v[166:167], v[98:99]
	v_fma_f64 v[4:5], v[164:165], v[100:101], -v[4:5]
	v_add_f64 v[2:3], v[2:3], v[4:5]
	v_mul_f64 v[4:5], v[170:171], v[110:111]
	s_waitcnt vmcnt(14) lgkmcnt(1)
	v_mul_f64 v[186:187], v[176:177], v[208:209]
	v_fma_f64 v[4:5], v[168:169], v[112:113], -v[4:5]
	s_waitcnt vmcnt(12)
	v_fmac_f64_e32 v[186:187], v[178:179], v[210:211]
	v_add_f64 v[2:3], v[2:3], v[4:5]
	v_mul_f64 v[4:5], v[174:175], v[106:107]
	v_add_f64 v[196:197], v[184:185], v[186:187]
	ds_read_b128 v[184:187], v1 offset:1200
	s_waitcnt lgkmcnt(1)
	v_mul_f64 v[198:199], v[180:181], v[204:205]
	v_fma_f64 v[4:5], v[172:173], v[108:109], -v[4:5]
	v_fmac_f64_e32 v[198:199], v[182:183], v[206:207]
	v_add_f64 v[2:3], v[2:3], v[4:5]
	v_mul_f64 v[4:5], v[178:179], v[208:209]
	v_add_f64 v[224:225], v[196:197], v[198:199]
	ds_read_b128 v[196:199], v1 offset:1216
	v_fma_f64 v[4:5], v[176:177], v[210:211], -v[4:5]
	v_add_f64 v[2:3], v[2:3], v[4:5]
	v_mul_f64 v[4:5], v[182:183], v[204:205]
	ds_read_b128 v[200:203], v1 offset:1232
	v_fma_f64 v[4:5], v[180:181], v[206:207], -v[4:5]
	v_add_f64 v[2:3], v[2:3], v[4:5]
	s_waitcnt vmcnt(6) lgkmcnt(2)
	v_mul_f64 v[4:5], v[186:187], v[216:217]
	v_mul_f64 v[226:227], v[184:185], v[216:217]
	s_waitcnt vmcnt(4)
	v_fma_f64 v[4:5], v[184:185], v[218:219], -v[4:5]
	v_fmac_f64_e32 v[226:227], v[186:187], v[218:219]
	v_add_f64 v[2:3], v[2:3], v[4:5]
	s_waitcnt lgkmcnt(1)
	v_mul_f64 v[4:5], v[198:199], v[212:213]
	v_add_f64 v[224:225], v[224:225], v[226:227]
	v_mul_f64 v[226:227], v[196:197], v[212:213]
	v_fma_f64 v[4:5], v[196:197], v[214:215], -v[4:5]
	v_fmac_f64_e32 v[226:227], v[198:199], v[214:215]
	v_add_f64 v[2:3], v[2:3], v[4:5]
	s_waitcnt vmcnt(2) lgkmcnt(0)
	v_mul_f64 v[4:5], v[202:203], v[220:221]
	v_add_f64 v[224:225], v[224:225], v[226:227]
	v_mul_f64 v[226:227], v[200:201], v[220:221]
	s_waitcnt vmcnt(0)
	v_fma_f64 v[4:5], v[200:201], v[222:223], -v[4:5]
	v_fmac_f64_e32 v[226:227], v[202:203], v[222:223]
	v_add_f64 v[2:3], v[2:3], v[4:5]
	v_add_f64 v[224:225], v[224:225], v[226:227]
	v_add_f64 v[2:3], v[36:37], -v[2:3]
	v_add_f64 v[4:5], v[34:35], -v[224:225]
	buffer_store_dword v3, off, s[0:3], 0 offset:212
	buffer_store_dword v2, off, s[0:3], 0 offset:208
	buffer_store_dword v5, off, s[0:3], 0 offset:220
	buffer_store_dword v4, off, s[0:3], 0 offset:216
	s_and_saveexec_b64 s[4:5], vcc
	s_cbranch_execz .LBB38_225
; %bb.224:
	v_accvgpr_read_b32 v1, a105
	buffer_load_dword v2, v1, s[0:3], 0 offen
	buffer_load_dword v3, v1, s[0:3], 0 offen offset:4
	buffer_load_dword v4, v1, s[0:3], 0 offen offset:8
	;; [unrolled: 1-line block ×3, first 2 shown]
	v_mov_b32_e32 v1, 0
	v_accvgpr_read_b32 v6, a116
	buffer_store_dword v1, off, s[0:3], 0 offset:192
	buffer_store_dword v1, off, s[0:3], 0 offset:196
	buffer_store_dword v1, off, s[0:3], 0 offset:200
	buffer_store_dword v1, off, s[0:3], 0 offset:204
	s_waitcnt vmcnt(4)
	ds_write_b128 v6, v[2:5]
.LBB38_225:
	s_or_b64 exec, exec, s[4:5]
	s_waitcnt lgkmcnt(0)
	; wave barrier
	s_waitcnt lgkmcnt(0)
	buffer_load_dword v30, off, s[0:3], 0 offset:208
	buffer_load_dword v31, off, s[0:3], 0 offset:212
	;; [unrolled: 1-line block ×56, first 2 shown]
	v_mov_b32_e32 v1, 0
	ds_read_b128 v[26:29], v1 offset:816
	ds_read_b128 v[22:25], v1 offset:832
	;; [unrolled: 1-line block ×7, first 2 shown]
	v_cmp_lt_u32_e32 vcc, 10, v0
	s_waitcnt vmcnt(52) lgkmcnt(6)
	v_mul_f64 v[86:87], v[26:27], v[34:35]
	v_fmac_f64_e32 v[86:87], v[28:29], v[30:31]
	v_add_f64 v[86:87], v[86:87], 0
	v_mul_f64 v[28:29], v[28:29], v[34:35]
	s_waitcnt vmcnt(48) lgkmcnt(5)
	v_mul_f64 v[88:89], v[22:23], v[36:37]
	v_fmac_f64_e32 v[88:89], v[24:25], v[32:33]
	s_waitcnt vmcnt(46) lgkmcnt(4)
	v_mul_f64 v[90:91], v[18:19], v[38:39]
	v_add_f64 v[86:87], v[86:87], v[88:89]
	s_waitcnt vmcnt(44) lgkmcnt(2)
	v_mul_f64 v[94:95], v[10:11], v[40:41]
	v_fma_f64 v[26:27], v[26:27], v[30:31], -v[28:29]
	s_waitcnt vmcnt(42)
	v_fmac_f64_e32 v[94:95], v[12:13], v[42:43]
	v_mul_f64 v[24:25], v[24:25], v[36:37]
	s_waitcnt vmcnt(40)
	v_mul_f64 v[92:93], v[14:15], v[48:49]
	v_add_f64 v[26:27], v[26:27], 0
	v_fma_f64 v[22:23], v[22:23], v[32:33], -v[24:25]
	v_add_f64 v[22:23], v[26:27], v[22:23]
	s_waitcnt vmcnt(36) lgkmcnt(1)
	v_mul_f64 v[110:111], v[6:7], v[54:55]
	v_mul_f64 v[12:13], v[12:13], v[40:41]
	s_waitcnt vmcnt(34)
	v_fmac_f64_e32 v[90:91], v[20:21], v[60:61]
	v_add_f64 v[86:87], v[86:87], v[90:91]
	s_waitcnt vmcnt(32)
	v_fmac_f64_e32 v[92:93], v[16:17], v[58:59]
	v_add_f64 v[86:87], v[86:87], v[92:93]
	v_add_f64 v[116:117], v[86:87], v[94:95]
	buffer_load_dword v87, off, s[0:3], 0 offset:444
	buffer_load_dword v86, off, s[0:3], 0 offset:440
	;; [unrolled: 1-line block ×56, first 2 shown]
	ds_read_b128 v[126:129], v1 offset:928
	ds_read_b128 v[130:133], v1 offset:944
	v_mul_f64 v[20:21], v[20:21], v[38:39]
	v_fma_f64 v[18:19], v[18:19], v[60:61], -v[20:21]
	v_mul_f64 v[16:17], v[16:17], v[48:49]
	s_waitcnt vmcnt(62)
	v_fmac_f64_e32 v[110:111], v[8:9], v[56:57]
	v_add_f64 v[18:19], v[22:23], v[18:19]
	v_fma_f64 v[14:15], v[14:15], v[58:59], -v[16:17]
	v_add_f64 v[110:111], v[116:117], v[110:111]
	s_waitcnt lgkmcnt(2)
	v_mul_f64 v[116:117], v[2:3], v[50:51]
	v_add_f64 v[14:15], v[18:19], v[14:15]
	v_fma_f64 v[10:11], v[10:11], v[42:43], -v[12:13]
	v_mul_f64 v[8:9], v[8:9], v[54:55]
	v_fmac_f64_e32 v[116:117], v[4:5], v[52:53]
	ds_read_b128 v[134:137], v1 offset:960
	ds_read_b128 v[138:141], v1 offset:976
	v_add_f64 v[10:11], v[14:15], v[10:11]
	v_fma_f64 v[6:7], v[6:7], v[56:57], -v[8:9]
	v_mul_f64 v[4:5], v[4:5], v[50:51]
	v_add_f64 v[6:7], v[10:11], v[6:7]
	v_fma_f64 v[2:3], v[2:3], v[52:53], -v[4:5]
	s_waitcnt lgkmcnt(3)
	v_mul_f64 v[4:5], v[128:129], v[66:67]
	v_add_f64 v[110:111], v[110:111], v[116:117]
	v_mul_f64 v[116:117], v[126:127], v[66:67]
	v_add_f64 v[2:3], v[6:7], v[2:3]
	v_fma_f64 v[4:5], v[126:127], v[68:69], -v[4:5]
	v_fmac_f64_e32 v[116:117], v[128:129], v[68:69]
	v_add_f64 v[2:3], v[2:3], v[4:5]
	s_waitcnt lgkmcnt(2)
	v_mul_f64 v[4:5], v[132:133], v[62:63]
	v_add_f64 v[110:111], v[110:111], v[116:117]
	v_mul_f64 v[116:117], v[130:131], v[62:63]
	ds_read_b128 v[142:145], v1 offset:992
	ds_read_b128 v[146:149], v1 offset:1008
	v_fma_f64 v[4:5], v[130:131], v[64:65], -v[4:5]
	v_fmac_f64_e32 v[116:117], v[132:133], v[64:65]
	v_add_f64 v[2:3], v[2:3], v[4:5]
	s_waitcnt lgkmcnt(3)
	v_mul_f64 v[4:5], v[136:137], v[74:75]
	v_add_f64 v[110:111], v[110:111], v[116:117]
	v_mul_f64 v[116:117], v[134:135], v[74:75]
	v_fma_f64 v[4:5], v[134:135], v[76:77], -v[4:5]
	v_fmac_f64_e32 v[116:117], v[136:137], v[76:77]
	v_add_f64 v[2:3], v[2:3], v[4:5]
	s_waitcnt lgkmcnt(2)
	v_mul_f64 v[4:5], v[140:141], v[70:71]
	v_add_f64 v[110:111], v[110:111], v[116:117]
	v_mul_f64 v[116:117], v[138:139], v[70:71]
	ds_read_b128 v[150:153], v1 offset:1024
	ds_read_b128 v[154:157], v1 offset:1040
	v_fma_f64 v[4:5], v[138:139], v[72:73], -v[4:5]
	v_fmac_f64_e32 v[116:117], v[140:141], v[72:73]
	v_add_f64 v[2:3], v[2:3], v[4:5]
	s_waitcnt vmcnt(58) lgkmcnt(3)
	v_mul_f64 v[4:5], v[144:145], v[82:83]
	v_add_f64 v[110:111], v[110:111], v[116:117]
	v_mul_f64 v[116:117], v[142:143], v[82:83]
	s_waitcnt vmcnt(56)
	v_fma_f64 v[4:5], v[142:143], v[84:85], -v[4:5]
	v_fmac_f64_e32 v[116:117], v[144:145], v[84:85]
	v_add_f64 v[2:3], v[2:3], v[4:5]
	s_waitcnt lgkmcnt(2)
	v_mul_f64 v[4:5], v[148:149], v[78:79]
	v_add_f64 v[110:111], v[110:111], v[116:117]
	v_mul_f64 v[116:117], v[146:147], v[78:79]
	ds_read_b128 v[158:161], v1 offset:1056
	ds_read_b128 v[162:165], v1 offset:1072
	v_fma_f64 v[4:5], v[146:147], v[80:81], -v[4:5]
	v_fmac_f64_e32 v[116:117], v[148:149], v[80:81]
	v_add_f64 v[2:3], v[2:3], v[4:5]
	s_waitcnt vmcnt(50) lgkmcnt(3)
	v_mul_f64 v[4:5], v[152:153], v[90:91]
	v_add_f64 v[110:111], v[110:111], v[116:117]
	v_mul_f64 v[116:117], v[150:151], v[90:91]
	s_waitcnt vmcnt(48)
	;; [unrolled: 17-line block ×7, first 2 shown]
	v_fma_f64 v[4:5], v[200:201], v[226:227], -v[4:5]
	v_fmac_f64_e32 v[116:117], v[202:203], v[226:227]
	v_add_f64 v[2:3], v[2:3], v[4:5]
	s_waitcnt lgkmcnt(2)
	v_mul_f64 v[4:5], v[206:207], v[220:221]
	v_add_f64 v[110:111], v[110:111], v[116:117]
	v_mul_f64 v[116:117], v[204:205], v[220:221]
	v_fma_f64 v[4:5], v[204:205], v[222:223], -v[4:5]
	v_fmac_f64_e32 v[116:117], v[206:207], v[222:223]
	v_add_f64 v[2:3], v[2:3], v[4:5]
	s_waitcnt vmcnt(2) lgkmcnt(1)
	v_mul_f64 v[4:5], v[210:211], v[232:233]
	v_add_f64 v[110:111], v[110:111], v[116:117]
	v_mul_f64 v[116:117], v[208:209], v[232:233]
	s_waitcnt vmcnt(0)
	v_fma_f64 v[4:5], v[208:209], v[234:235], -v[4:5]
	v_fmac_f64_e32 v[116:117], v[210:211], v[234:235]
	v_add_f64 v[2:3], v[2:3], v[4:5]
	s_waitcnt lgkmcnt(0)
	v_mul_f64 v[4:5], v[214:215], v[228:229]
	v_add_f64 v[110:111], v[110:111], v[116:117]
	v_mul_f64 v[116:117], v[212:213], v[228:229]
	v_fma_f64 v[4:5], v[212:213], v[230:231], -v[4:5]
	v_fmac_f64_e32 v[116:117], v[214:215], v[230:231]
	v_add_f64 v[2:3], v[2:3], v[4:5]
	v_add_f64 v[110:111], v[110:111], v[116:117]
	v_add_f64 v[2:3], v[46:47], -v[2:3]
	v_add_f64 v[4:5], v[44:45], -v[110:111]
	buffer_store_dword v3, off, s[0:3], 0 offset:196
	buffer_store_dword v2, off, s[0:3], 0 offset:192
	;; [unrolled: 1-line block ×4, first 2 shown]
	s_and_saveexec_b64 s[4:5], vcc
	s_cbranch_execz .LBB38_227
; %bb.226:
	v_accvgpr_read_b32 v5, a106
	buffer_load_dword v2, v5, s[0:3], 0 offen
	buffer_load_dword v3, v5, s[0:3], 0 offen offset:4
	buffer_load_dword v4, v5, s[0:3], 0 offen offset:8
	s_nop 0
	buffer_load_dword v5, v5, s[0:3], 0 offen offset:12
	v_accvgpr_read_b32 v6, a116
	buffer_store_dword v1, off, s[0:3], 0 offset:176
	buffer_store_dword v1, off, s[0:3], 0 offset:180
	;; [unrolled: 1-line block ×4, first 2 shown]
	s_waitcnt vmcnt(4)
	ds_write_b128 v6, v[2:5]
.LBB38_227:
	s_or_b64 exec, exec, s[4:5]
	s_waitcnt lgkmcnt(0)
	; wave barrier
	s_waitcnt lgkmcnt(0)
	buffer_load_dword v34, off, s[0:3], 0 offset:192
	buffer_load_dword v35, off, s[0:3], 0 offset:196
	buffer_load_dword v38, off, s[0:3], 0 offset:200
	buffer_load_dword v39, off, s[0:3], 0 offset:204
	buffer_load_dword v36, off, s[0:3], 0 offset:208
	buffer_load_dword v37, off, s[0:3], 0 offset:212
	buffer_load_dword v40, off, s[0:3], 0 offset:216
	buffer_load_dword v41, off, s[0:3], 0 offset:220
	buffer_load_dword v42, off, s[0:3], 0 offset:232
	buffer_load_dword v43, off, s[0:3], 0 offset:236
	buffer_load_dword v49, off, s[0:3], 0 offset:252
	buffer_load_dword v48, off, s[0:3], 0 offset:248
	buffer_load_dword v51, off, s[0:3], 0 offset:300
	buffer_load_dword v50, off, s[0:3], 0 offset:296
	buffer_load_dword v53, off, s[0:3], 0 offset:292
	buffer_load_dword v55, off, s[0:3], 0 offset:284
	buffer_load_dword v54, off, s[0:3], 0 offset:280
	buffer_load_dword v57, off, s[0:3], 0 offset:268
	buffer_load_dword v56, off, s[0:3], 0 offset:264
	buffer_load_dword v59, off, s[0:3], 0 offset:260
	buffer_load_dword v58, off, s[0:3], 0 offset:256
	buffer_load_dword v64, off, s[0:3], 0 offset:224
	buffer_load_dword v65, off, s[0:3], 0 offset:228
	buffer_load_dword v63, off, s[0:3], 0 offset:244
	buffer_load_dword v62, off, s[0:3], 0 offset:240
	buffer_load_dword v61, off, s[0:3], 0 offset:276
	buffer_load_dword v60, off, s[0:3], 0 offset:272
	buffer_load_dword v52, off, s[0:3], 0 offset:288
	buffer_load_dword v46, off, s[0:3], 0 offset:176
	buffer_load_dword v47, off, s[0:3], 0 offset:180
	buffer_load_dword v44, off, s[0:3], 0 offset:184
	buffer_load_dword v45, off, s[0:3], 0 offset:188
	ds_read_b128 v[30:33], v1 offset:800
	ds_read_b128 v[26:29], v1 offset:816
	;; [unrolled: 1-line block ×8, first 2 shown]
	buffer_load_dword v67, off, s[0:3], 0 offset:332
	buffer_load_dword v66, off, s[0:3], 0 offset:328
	;; [unrolled: 1-line block ×24, first 2 shown]
	v_cmp_lt_u32_e32 vcc, 9, v0
	s_waitcnt vmcnt(52) lgkmcnt(7)
	v_mul_f64 v[90:91], v[30:31], v[38:39]
	v_fmac_f64_e32 v[90:91], v[32:33], v[34:35]
	v_add_f64 v[90:91], v[90:91], 0
	v_mul_f64 v[32:33], v[32:33], v[38:39]
	s_waitcnt vmcnt(48) lgkmcnt(6)
	v_mul_f64 v[92:93], v[26:27], v[40:41]
	v_fmac_f64_e32 v[92:93], v[28:29], v[36:37]
	s_waitcnt vmcnt(46) lgkmcnt(5)
	v_mul_f64 v[94:95], v[22:23], v[42:43]
	v_add_f64 v[90:91], v[90:91], v[92:93]
	s_waitcnt vmcnt(44) lgkmcnt(4)
	v_mul_f64 v[96:97], v[18:19], v[48:49]
	v_fma_f64 v[30:31], v[30:31], v[34:35], -v[32:33]
	s_waitcnt vmcnt(42) lgkmcnt(1)
	v_mul_f64 v[124:125], v[2:3], v[50:51]
	v_mul_f64 v[28:29], v[28:29], v[40:41]
	s_waitcnt vmcnt(18) lgkmcnt(0)
	v_mul_f64 v[138:139], v[14:15], v[70:71]
	v_mul_f64 v[100:101], v[6:7], v[54:55]
	s_waitcnt vmcnt(16)
	v_fmac_f64_e32 v[138:139], v[16:17], v[72:73]
	v_mul_f64 v[98:99], v[10:11], v[56:57]
	v_add_f64 v[30:31], v[30:31], 0
	v_fmac_f64_e32 v[98:99], v[12:13], v[58:59]
	v_fma_f64 v[26:27], v[26:27], v[36:37], -v[28:29]
	v_fmac_f64_e32 v[94:95], v[24:25], v[64:65]
	v_add_f64 v[90:91], v[90:91], v[94:95]
	v_fmac_f64_e32 v[96:97], v[20:21], v[62:63]
	v_add_f64 v[90:91], v[90:91], v[96:97]
	;; [unrolled: 2-line block ×3, first 2 shown]
	v_add_f64 v[126:127], v[90:91], v[100:101]
	buffer_load_dword v91, off, s[0:3], 0 offset:428
	buffer_load_dword v90, off, s[0:3], 0 offset:424
	;; [unrolled: 1-line block ×56, first 2 shown]
	v_fmac_f64_e32 v[124:125], v[4:5], v[52:53]
	v_add_f64 v[136:137], v[126:127], v[124:125]
	ds_read_b128 v[124:127], v1 offset:928
	buffer_load_dword v237, off, s[0:3], 0 offset:636
	buffer_load_dword v236, off, s[0:3], 0 offset:632
	;; [unrolled: 1-line block ×4, first 2 shown]
	v_add_f64 v[140:141], v[136:137], v[138:139]
	ds_read_b128 v[136:139], v1 offset:944
	v_mul_f64 v[24:25], v[24:25], v[42:43]
	s_waitcnt lgkmcnt(1)
	v_mul_f64 v[142:143], v[124:125], v[66:67]
	v_fmac_f64_e32 v[142:143], v[126:127], v[68:69]
	v_add_f64 v[144:145], v[140:141], v[142:143]
	ds_read_b128 v[140:143], v1 offset:960
	s_waitcnt vmcnt(62) lgkmcnt(1)
	v_mul_f64 v[146:147], v[136:137], v[78:79]
	v_fmac_f64_e32 v[146:147], v[138:139], v[80:81]
	v_add_f64 v[148:149], v[144:145], v[146:147]
	ds_read_b128 v[144:147], v1 offset:976
	s_waitcnt lgkmcnt(1)
	v_mul_f64 v[150:151], v[140:141], v[74:75]
	v_fmac_f64_e32 v[150:151], v[142:143], v[76:77]
	v_add_f64 v[152:153], v[148:149], v[150:151]
	ds_read_b128 v[148:151], v1 offset:992
	s_waitcnt lgkmcnt(1)
	v_mul_f64 v[154:155], v[144:145], v[86:87]
	s_waitcnt vmcnt(60)
	v_fmac_f64_e32 v[154:155], v[146:147], v[88:89]
	v_add_f64 v[156:157], v[152:153], v[154:155]
	ds_read_b128 v[152:155], v1 offset:1008
	s_waitcnt lgkmcnt(1)
	v_mul_f64 v[158:159], v[148:149], v[82:83]
	v_fmac_f64_e32 v[158:159], v[150:151], v[84:85]
	v_add_f64 v[160:161], v[156:157], v[158:159]
	ds_read_b128 v[156:159], v1 offset:1024
	v_add_f64 v[26:27], v[30:31], v[26:27]
	v_fma_f64 v[22:23], v[22:23], v[64:65], -v[24:25]
	s_waitcnt vmcnt(54) lgkmcnt(1)
	v_mul_f64 v[162:163], v[152:153], v[94:95]
	v_mul_f64 v[20:21], v[20:21], v[48:49]
	s_waitcnt vmcnt(52)
	v_fmac_f64_e32 v[162:163], v[154:155], v[96:97]
	v_add_f64 v[164:165], v[160:161], v[162:163]
	ds_read_b128 v[160:163], v1 offset:1040
	s_waitcnt lgkmcnt(1)
	v_mul_f64 v[166:167], v[156:157], v[90:91]
	v_fmac_f64_e32 v[166:167], v[158:159], v[92:93]
	v_add_f64 v[22:23], v[26:27], v[22:23]
	v_fma_f64 v[18:19], v[18:19], v[62:63], -v[20:21]
	v_mul_f64 v[12:13], v[12:13], v[56:57]
	v_add_f64 v[168:169], v[164:165], v[166:167]
	ds_read_b128 v[164:167], v1 offset:1056
	v_add_f64 v[18:19], v[22:23], v[18:19]
	v_fma_f64 v[10:11], v[10:11], v[58:59], -v[12:13]
	v_mul_f64 v[8:9], v[8:9], v[54:55]
	v_add_f64 v[10:11], v[18:19], v[10:11]
	v_fma_f64 v[6:7], v[6:7], v[60:61], -v[8:9]
	v_mul_f64 v[4:5], v[4:5], v[50:51]
	v_add_f64 v[6:7], v[10:11], v[6:7]
	v_fma_f64 v[2:3], v[2:3], v[52:53], -v[4:5]
	v_mul_f64 v[4:5], v[16:17], v[70:71]
	s_waitcnt vmcnt(46) lgkmcnt(1)
	v_mul_f64 v[170:171], v[160:161], v[102:103]
	v_add_f64 v[2:3], v[6:7], v[2:3]
	v_fma_f64 v[4:5], v[14:15], v[72:73], -v[4:5]
	s_waitcnt vmcnt(44)
	v_fmac_f64_e32 v[170:171], v[162:163], v[104:105]
	v_add_f64 v[2:3], v[2:3], v[4:5]
	v_mul_f64 v[4:5], v[126:127], v[66:67]
	v_add_f64 v[172:173], v[168:169], v[170:171]
	ds_read_b128 v[168:171], v1 offset:1072
	s_waitcnt lgkmcnt(1)
	v_mul_f64 v[174:175], v[164:165], v[98:99]
	v_fma_f64 v[4:5], v[124:125], v[68:69], -v[4:5]
	v_fmac_f64_e32 v[174:175], v[166:167], v[100:101]
	v_add_f64 v[2:3], v[2:3], v[4:5]
	v_mul_f64 v[4:5], v[138:139], v[78:79]
	v_add_f64 v[176:177], v[172:173], v[174:175]
	ds_read_b128 v[172:175], v1 offset:1088
	v_fma_f64 v[4:5], v[136:137], v[80:81], -v[4:5]
	v_add_f64 v[2:3], v[2:3], v[4:5]
	v_mul_f64 v[4:5], v[142:143], v[74:75]
	v_fma_f64 v[4:5], v[140:141], v[76:77], -v[4:5]
	s_waitcnt vmcnt(38) lgkmcnt(1)
	v_mul_f64 v[178:179], v[168:169], v[110:111]
	v_add_f64 v[2:3], v[2:3], v[4:5]
	v_mul_f64 v[4:5], v[146:147], v[86:87]
	s_waitcnt vmcnt(36)
	v_fmac_f64_e32 v[178:179], v[170:171], v[112:113]
	v_fma_f64 v[4:5], v[144:145], v[88:89], -v[4:5]
	v_add_f64 v[180:181], v[176:177], v[178:179]
	ds_read_b128 v[176:179], v1 offset:1104
	s_waitcnt lgkmcnt(1)
	v_mul_f64 v[182:183], v[172:173], v[106:107]
	v_add_f64 v[2:3], v[2:3], v[4:5]
	v_mul_f64 v[4:5], v[150:151], v[82:83]
	v_fmac_f64_e32 v[182:183], v[174:175], v[108:109]
	v_fma_f64 v[4:5], v[148:149], v[84:85], -v[4:5]
	v_add_f64 v[184:185], v[180:181], v[182:183]
	ds_read_b128 v[180:183], v1 offset:1120
	v_add_f64 v[2:3], v[2:3], v[4:5]
	v_mul_f64 v[4:5], v[154:155], v[94:95]
	v_fma_f64 v[4:5], v[152:153], v[96:97], -v[4:5]
	v_add_f64 v[2:3], v[2:3], v[4:5]
	v_mul_f64 v[4:5], v[158:159], v[90:91]
	s_waitcnt vmcnt(30) lgkmcnt(1)
	v_mul_f64 v[186:187], v[176:177], v[120:121]
	v_fma_f64 v[4:5], v[156:157], v[92:93], -v[4:5]
	s_waitcnt vmcnt(28)
	v_fmac_f64_e32 v[186:187], v[178:179], v[122:123]
	v_add_f64 v[2:3], v[2:3], v[4:5]
	v_mul_f64 v[4:5], v[162:163], v[102:103]
	v_add_f64 v[196:197], v[184:185], v[186:187]
	ds_read_b128 v[184:187], v1 offset:1136
	s_waitcnt lgkmcnt(1)
	v_mul_f64 v[198:199], v[180:181], v[114:115]
	v_fma_f64 v[4:5], v[160:161], v[104:105], -v[4:5]
	v_fmac_f64_e32 v[198:199], v[182:183], v[116:117]
	v_add_f64 v[2:3], v[2:3], v[4:5]
	v_mul_f64 v[4:5], v[166:167], v[98:99]
	v_add_f64 v[200:201], v[196:197], v[198:199]
	ds_read_b128 v[196:199], v1 offset:1152
	v_fma_f64 v[4:5], v[164:165], v[100:101], -v[4:5]
	v_add_f64 v[2:3], v[2:3], v[4:5]
	v_mul_f64 v[4:5], v[170:171], v[110:111]
	v_fma_f64 v[4:5], v[168:169], v[112:113], -v[4:5]
	s_waitcnt vmcnt(22) lgkmcnt(1)
	v_mul_f64 v[202:203], v[184:185], v[132:133]
	v_add_f64 v[2:3], v[2:3], v[4:5]
	v_mul_f64 v[4:5], v[174:175], v[106:107]
	s_waitcnt vmcnt(20)
	v_fmac_f64_e32 v[202:203], v[186:187], v[134:135]
	v_fma_f64 v[4:5], v[172:173], v[108:109], -v[4:5]
	v_add_f64 v[204:205], v[200:201], v[202:203]
	ds_read_b128 v[200:203], v1 offset:1168
	s_waitcnt lgkmcnt(1)
	v_mul_f64 v[206:207], v[196:197], v[128:129]
	v_add_f64 v[2:3], v[2:3], v[4:5]
	v_mul_f64 v[4:5], v[178:179], v[120:121]
	v_fmac_f64_e32 v[206:207], v[198:199], v[130:131]
	v_fma_f64 v[4:5], v[176:177], v[122:123], -v[4:5]
	v_add_f64 v[208:209], v[204:205], v[206:207]
	ds_read_b128 v[204:207], v1 offset:1184
	v_add_f64 v[2:3], v[2:3], v[4:5]
	v_mul_f64 v[4:5], v[182:183], v[114:115]
	v_fma_f64 v[4:5], v[180:181], v[116:117], -v[4:5]
	v_add_f64 v[2:3], v[2:3], v[4:5]
	v_mul_f64 v[4:5], v[186:187], v[132:133]
	s_waitcnt vmcnt(14) lgkmcnt(1)
	v_mul_f64 v[210:211], v[200:201], v[224:225]
	v_fma_f64 v[4:5], v[184:185], v[134:135], -v[4:5]
	s_waitcnt vmcnt(12)
	v_fmac_f64_e32 v[210:211], v[202:203], v[226:227]
	v_add_f64 v[2:3], v[2:3], v[4:5]
	v_mul_f64 v[4:5], v[198:199], v[128:129]
	v_add_f64 v[212:213], v[208:209], v[210:211]
	ds_read_b128 v[208:211], v1 offset:1200
	s_waitcnt lgkmcnt(1)
	v_mul_f64 v[214:215], v[204:205], v[220:221]
	v_fma_f64 v[4:5], v[196:197], v[130:131], -v[4:5]
	v_fmac_f64_e32 v[214:215], v[206:207], v[222:223]
	v_add_f64 v[2:3], v[2:3], v[4:5]
	v_mul_f64 v[4:5], v[202:203], v[224:225]
	v_add_f64 v[240:241], v[212:213], v[214:215]
	ds_read_b128 v[212:215], v1 offset:1216
	v_fma_f64 v[4:5], v[200:201], v[226:227], -v[4:5]
	v_add_f64 v[2:3], v[2:3], v[4:5]
	v_mul_f64 v[4:5], v[206:207], v[220:221]
	ds_read_b128 v[216:219], v1 offset:1232
	v_fma_f64 v[4:5], v[204:205], v[222:223], -v[4:5]
	v_add_f64 v[2:3], v[2:3], v[4:5]
	s_waitcnt vmcnt(6) lgkmcnt(2)
	v_mul_f64 v[4:5], v[210:211], v[232:233]
	v_mul_f64 v[242:243], v[208:209], v[232:233]
	s_waitcnt vmcnt(4)
	v_fma_f64 v[4:5], v[208:209], v[234:235], -v[4:5]
	v_fmac_f64_e32 v[242:243], v[210:211], v[234:235]
	v_add_f64 v[2:3], v[2:3], v[4:5]
	s_waitcnt lgkmcnt(1)
	v_mul_f64 v[4:5], v[214:215], v[228:229]
	v_add_f64 v[240:241], v[240:241], v[242:243]
	v_mul_f64 v[242:243], v[212:213], v[228:229]
	v_fma_f64 v[4:5], v[212:213], v[230:231], -v[4:5]
	v_fmac_f64_e32 v[242:243], v[214:215], v[230:231]
	v_add_f64 v[2:3], v[2:3], v[4:5]
	s_waitcnt vmcnt(2) lgkmcnt(0)
	v_mul_f64 v[4:5], v[218:219], v[236:237]
	v_add_f64 v[240:241], v[240:241], v[242:243]
	v_mul_f64 v[242:243], v[216:217], v[236:237]
	s_waitcnt vmcnt(0)
	v_fma_f64 v[4:5], v[216:217], v[238:239], -v[4:5]
	v_fmac_f64_e32 v[242:243], v[218:219], v[238:239]
	v_add_f64 v[2:3], v[2:3], v[4:5]
	v_add_f64 v[240:241], v[240:241], v[242:243]
	v_add_f64 v[2:3], v[46:47], -v[2:3]
	v_add_f64 v[4:5], v[44:45], -v[240:241]
	buffer_store_dword v3, off, s[0:3], 0 offset:180
	buffer_store_dword v2, off, s[0:3], 0 offset:176
	;; [unrolled: 1-line block ×4, first 2 shown]
	s_and_saveexec_b64 s[4:5], vcc
	s_cbranch_execz .LBB38_229
; %bb.228:
	v_accvgpr_read_b32 v1, a107
	buffer_load_dword v2, v1, s[0:3], 0 offen
	buffer_load_dword v3, v1, s[0:3], 0 offen offset:4
	buffer_load_dword v4, v1, s[0:3], 0 offen offset:8
	;; [unrolled: 1-line block ×3, first 2 shown]
	v_mov_b32_e32 v1, 0
	v_accvgpr_read_b32 v6, a116
	buffer_store_dword v1, off, s[0:3], 0 offset:160
	buffer_store_dword v1, off, s[0:3], 0 offset:164
	;; [unrolled: 1-line block ×4, first 2 shown]
	s_waitcnt vmcnt(4)
	ds_write_b128 v6, v[2:5]
.LBB38_229:
	s_or_b64 exec, exec, s[4:5]
	s_waitcnt lgkmcnt(0)
	; wave barrier
	s_waitcnt lgkmcnt(0)
	buffer_load_dword v38, off, s[0:3], 0 offset:176
	buffer_load_dword v39, off, s[0:3], 0 offset:180
	;; [unrolled: 1-line block ×48, first 2 shown]
	v_mov_b32_e32 v1, 0
	ds_read_b128 v[34:37], v1 offset:784
	ds_read_b128 v[30:33], v1 offset:800
	;; [unrolled: 1-line block ×9, first 2 shown]
	v_cmp_lt_u32_e32 vcc, 8, v0
	s_waitcnt vmcnt(44) lgkmcnt(8)
	v_mul_f64 v[86:87], v[34:35], v[42:43]
	v_fmac_f64_e32 v[86:87], v[36:37], v[38:39]
	v_add_f64 v[86:87], v[86:87], 0
	v_mul_f64 v[36:37], v[36:37], v[42:43]
	s_waitcnt vmcnt(40) lgkmcnt(7)
	v_mul_f64 v[88:89], v[30:31], v[44:45]
	v_fmac_f64_e32 v[88:89], v[32:33], v[40:41]
	s_waitcnt vmcnt(38) lgkmcnt(6)
	v_mul_f64 v[90:91], v[26:27], v[46:47]
	v_add_f64 v[86:87], v[86:87], v[88:89]
	s_waitcnt vmcnt(36) lgkmcnt(4)
	v_mul_f64 v[94:95], v[18:19], v[48:49]
	v_fma_f64 v[34:35], v[34:35], v[38:39], -v[36:37]
	s_waitcnt vmcnt(34)
	v_fmac_f64_e32 v[94:95], v[20:21], v[50:51]
	v_mul_f64 v[32:33], v[32:33], v[44:45]
	s_waitcnt vmcnt(32)
	v_mul_f64 v[92:93], v[22:23], v[52:53]
	v_add_f64 v[34:35], v[34:35], 0
	s_waitcnt vmcnt(30) lgkmcnt(2)
	v_mul_f64 v[98:99], v[10:11], v[54:55]
	v_fma_f64 v[30:31], v[30:31], v[40:41], -v[32:33]
	s_waitcnt vmcnt(28)
	v_fmac_f64_e32 v[98:99], v[12:13], v[56:57]
	v_add_f64 v[30:31], v[34:35], v[30:31]
	s_waitcnt vmcnt(26)
	v_mul_f64 v[96:97], v[14:15], v[58:59]
	v_mul_f64 v[20:21], v[20:21], v[48:49]
	v_fma_f64 v[18:19], v[18:19], v[50:51], -v[20:21]
	v_mul_f64 v[12:13], v[12:13], v[54:55]
	s_waitcnt vmcnt(22) lgkmcnt(1)
	v_mul_f64 v[110:111], v[6:7], v[68:69]
	v_fma_f64 v[10:11], v[10:11], v[56:57], -v[12:13]
	s_waitcnt vmcnt(20)
	v_fmac_f64_e32 v[90:91], v[28:29], v[76:77]
	v_add_f64 v[86:87], v[86:87], v[90:91]
	s_waitcnt vmcnt(18)
	v_fmac_f64_e32 v[92:93], v[24:25], v[74:75]
	v_add_f64 v[86:87], v[86:87], v[92:93]
	;; [unrolled: 3-line block ×3, first 2 shown]
	v_add_f64 v[86:87], v[86:87], v[96:97]
	v_add_f64 v[112:113], v[86:87], v[98:99]
	buffer_load_dword v87, off, s[0:3], 0 offset:380
	buffer_load_dword v86, off, s[0:3], 0 offset:376
	;; [unrolled: 1-line block ×72, first 2 shown]
	s_waitcnt vmcnt(62)
	v_fmac_f64_e32 v[110:111], v[8:9], v[70:71]
	v_add_f64 v[144:145], v[112:113], v[110:111]
	ds_read_b128 v[110:113], v1 offset:928
	s_waitcnt lgkmcnt(1)
	v_mul_f64 v[146:147], v[2:3], v[64:65]
	v_fmac_f64_e32 v[146:147], v[4:5], v[66:67]
	v_add_f64 v[148:149], v[144:145], v[146:147]
	ds_read_b128 v[144:147], v1 offset:944
	s_waitcnt lgkmcnt(1)
	v_mul_f64 v[150:151], v[110:111], v[82:83]
	;; [unrolled: 5-line block ×5, first 2 shown]
	v_fmac_f64_e32 v[162:163], v[154:155], v[88:89]
	v_add_f64 v[164:165], v[160:161], v[162:163]
	ds_read_b128 v[160:163], v1 offset:1008
	s_waitcnt vmcnt(58) lgkmcnt(1)
	v_mul_f64 v[166:167], v[156:157], v[98:99]
	s_waitcnt vmcnt(56)
	v_fmac_f64_e32 v[166:167], v[158:159], v[100:101]
	v_add_f64 v[168:169], v[164:165], v[166:167]
	ds_read_b128 v[164:167], v1 offset:1024
	s_waitcnt lgkmcnt(1)
	v_mul_f64 v[170:171], v[160:161], v[94:95]
	v_fmac_f64_e32 v[170:171], v[162:163], v[96:97]
	v_mul_f64 v[28:29], v[28:29], v[46:47]
	v_add_f64 v[172:173], v[168:169], v[170:171]
	ds_read_b128 v[168:171], v1 offset:1040
	s_waitcnt vmcnt(50) lgkmcnt(1)
	v_mul_f64 v[174:175], v[164:165], v[106:107]
	v_fma_f64 v[26:27], v[26:27], v[76:77], -v[28:29]
	v_mul_f64 v[24:25], v[24:25], v[52:53]
	s_waitcnt vmcnt(48)
	v_fmac_f64_e32 v[174:175], v[166:167], v[108:109]
	v_add_f64 v[26:27], v[30:31], v[26:27]
	v_fma_f64 v[22:23], v[22:23], v[74:75], -v[24:25]
	v_add_f64 v[176:177], v[172:173], v[174:175]
	ds_read_b128 v[172:175], v1 offset:1056
	v_add_f64 v[22:23], v[26:27], v[22:23]
	v_mul_f64 v[16:17], v[16:17], v[58:59]
	v_add_f64 v[18:19], v[22:23], v[18:19]
	v_fma_f64 v[14:15], v[14:15], v[72:73], -v[16:17]
	v_add_f64 v[14:15], v[18:19], v[14:15]
	v_mul_f64 v[8:9], v[8:9], v[68:69]
	s_waitcnt lgkmcnt(1)
	v_mul_f64 v[178:179], v[168:169], v[102:103]
	v_add_f64 v[10:11], v[14:15], v[10:11]
	v_fma_f64 v[6:7], v[6:7], v[70:71], -v[8:9]
	v_mul_f64 v[4:5], v[4:5], v[64:65]
	v_fmac_f64_e32 v[178:179], v[170:171], v[104:105]
	v_add_f64 v[6:7], v[10:11], v[6:7]
	v_fma_f64 v[2:3], v[2:3], v[66:67], -v[4:5]
	v_mul_f64 v[4:5], v[112:113], v[82:83]
	v_add_f64 v[180:181], v[176:177], v[178:179]
	ds_read_b128 v[176:179], v1 offset:1072
	s_waitcnt vmcnt(42) lgkmcnt(1)
	v_mul_f64 v[182:183], v[172:173], v[120:121]
	v_add_f64 v[2:3], v[6:7], v[2:3]
	v_fma_f64 v[4:5], v[110:111], v[84:85], -v[4:5]
	s_waitcnt vmcnt(40)
	v_fmac_f64_e32 v[182:183], v[174:175], v[122:123]
	v_add_f64 v[2:3], v[2:3], v[4:5]
	v_mul_f64 v[4:5], v[146:147], v[78:79]
	v_add_f64 v[184:185], v[180:181], v[182:183]
	ds_read_b128 v[180:183], v1 offset:1088
	v_fma_f64 v[4:5], v[144:145], v[80:81], -v[4:5]
	v_add_f64 v[2:3], v[2:3], v[4:5]
	v_mul_f64 v[4:5], v[150:151], v[90:91]
	v_fma_f64 v[4:5], v[148:149], v[92:93], -v[4:5]
	s_waitcnt lgkmcnt(1)
	v_mul_f64 v[186:187], v[176:177], v[114:115]
	v_add_f64 v[2:3], v[2:3], v[4:5]
	v_mul_f64 v[4:5], v[154:155], v[86:87]
	v_fmac_f64_e32 v[186:187], v[178:179], v[116:117]
	v_fma_f64 v[4:5], v[152:153], v[88:89], -v[4:5]
	v_add_f64 v[196:197], v[184:185], v[186:187]
	ds_read_b128 v[184:187], v1 offset:1104
	s_waitcnt vmcnt(34) lgkmcnt(1)
	v_mul_f64 v[198:199], v[180:181], v[128:129]
	v_add_f64 v[2:3], v[2:3], v[4:5]
	v_mul_f64 v[4:5], v[158:159], v[98:99]
	s_waitcnt vmcnt(32)
	v_fmac_f64_e32 v[198:199], v[182:183], v[130:131]
	v_fma_f64 v[4:5], v[156:157], v[100:101], -v[4:5]
	v_add_f64 v[200:201], v[196:197], v[198:199]
	ds_read_b128 v[196:199], v1 offset:1120
	v_add_f64 v[2:3], v[2:3], v[4:5]
	v_mul_f64 v[4:5], v[162:163], v[94:95]
	v_fma_f64 v[4:5], v[160:161], v[96:97], -v[4:5]
	v_add_f64 v[2:3], v[2:3], v[4:5]
	v_mul_f64 v[4:5], v[166:167], v[106:107]
	s_waitcnt lgkmcnt(1)
	v_mul_f64 v[202:203], v[184:185], v[124:125]
	v_fma_f64 v[4:5], v[164:165], v[108:109], -v[4:5]
	v_fmac_f64_e32 v[202:203], v[186:187], v[126:127]
	v_add_f64 v[2:3], v[2:3], v[4:5]
	v_mul_f64 v[4:5], v[170:171], v[102:103]
	v_add_f64 v[204:205], v[200:201], v[202:203]
	ds_read_b128 v[200:203], v1 offset:1136
	s_waitcnt vmcnt(26) lgkmcnt(1)
	v_mul_f64 v[206:207], v[196:197], v[136:137]
	v_fma_f64 v[4:5], v[168:169], v[104:105], -v[4:5]
	s_waitcnt vmcnt(24)
	v_fmac_f64_e32 v[206:207], v[198:199], v[138:139]
	v_add_f64 v[2:3], v[2:3], v[4:5]
	v_mul_f64 v[4:5], v[174:175], v[120:121]
	v_add_f64 v[208:209], v[204:205], v[206:207]
	ds_read_b128 v[204:207], v1 offset:1152
	v_fma_f64 v[4:5], v[172:173], v[122:123], -v[4:5]
	v_add_f64 v[2:3], v[2:3], v[4:5]
	v_mul_f64 v[4:5], v[178:179], v[114:115]
	v_fma_f64 v[4:5], v[176:177], v[116:117], -v[4:5]
	s_waitcnt lgkmcnt(1)
	v_mul_f64 v[210:211], v[200:201], v[132:133]
	v_add_f64 v[2:3], v[2:3], v[4:5]
	v_mul_f64 v[4:5], v[182:183], v[128:129]
	v_fmac_f64_e32 v[210:211], v[202:203], v[134:135]
	v_fma_f64 v[4:5], v[180:181], v[130:131], -v[4:5]
	v_add_f64 v[212:213], v[208:209], v[210:211]
	ds_read_b128 v[208:211], v1 offset:1168
	s_waitcnt vmcnt(18) lgkmcnt(1)
	v_mul_f64 v[214:215], v[204:205], v[228:229]
	v_add_f64 v[2:3], v[2:3], v[4:5]
	v_mul_f64 v[4:5], v[186:187], v[124:125]
	s_waitcnt vmcnt(16)
	v_fmac_f64_e32 v[214:215], v[206:207], v[230:231]
	v_fma_f64 v[4:5], v[184:185], v[126:127], -v[4:5]
	v_add_f64 v[216:217], v[212:213], v[214:215]
	ds_read_b128 v[212:215], v1 offset:1184
	v_add_f64 v[2:3], v[2:3], v[4:5]
	v_mul_f64 v[4:5], v[198:199], v[136:137]
	v_fma_f64 v[4:5], v[196:197], v[138:139], -v[4:5]
	v_add_f64 v[2:3], v[2:3], v[4:5]
	v_mul_f64 v[4:5], v[202:203], v[132:133]
	s_waitcnt lgkmcnt(1)
	v_mul_f64 v[218:219], v[208:209], v[140:141]
	v_fma_f64 v[4:5], v[200:201], v[134:135], -v[4:5]
	v_fmac_f64_e32 v[218:219], v[210:211], v[142:143]
	v_add_f64 v[2:3], v[2:3], v[4:5]
	v_mul_f64 v[4:5], v[206:207], v[228:229]
	v_add_f64 v[220:221], v[216:217], v[218:219]
	ds_read_b128 v[216:219], v1 offset:1200
	s_waitcnt vmcnt(10) lgkmcnt(1)
	v_mul_f64 v[222:223], v[212:213], v[236:237]
	v_fma_f64 v[4:5], v[204:205], v[230:231], -v[4:5]
	s_waitcnt vmcnt(8)
	v_fmac_f64_e32 v[222:223], v[214:215], v[238:239]
	v_add_f64 v[2:3], v[2:3], v[4:5]
	v_mul_f64 v[4:5], v[210:211], v[140:141]
	v_add_f64 v[248:249], v[220:221], v[222:223]
	ds_read_b128 v[220:223], v1 offset:1216
	ds_read_b128 v[224:227], v1 offset:1232
	v_fma_f64 v[4:5], v[208:209], v[142:143], -v[4:5]
	v_add_f64 v[2:3], v[2:3], v[4:5]
	v_mul_f64 v[4:5], v[214:215], v[236:237]
	v_fma_f64 v[4:5], v[212:213], v[238:239], -v[4:5]
	v_add_f64 v[2:3], v[2:3], v[4:5]
	s_waitcnt lgkmcnt(2)
	v_mul_f64 v[4:5], v[218:219], v[232:233]
	v_mul_f64 v[250:251], v[216:217], v[232:233]
	v_fma_f64 v[4:5], v[216:217], v[234:235], -v[4:5]
	v_fmac_f64_e32 v[250:251], v[218:219], v[234:235]
	v_add_f64 v[2:3], v[2:3], v[4:5]
	s_waitcnt vmcnt(2) lgkmcnt(1)
	v_mul_f64 v[4:5], v[222:223], v[244:245]
	v_add_f64 v[248:249], v[248:249], v[250:251]
	v_mul_f64 v[250:251], v[220:221], v[244:245]
	s_waitcnt vmcnt(0)
	v_fma_f64 v[4:5], v[220:221], v[246:247], -v[4:5]
	v_fmac_f64_e32 v[250:251], v[222:223], v[246:247]
	v_add_f64 v[2:3], v[2:3], v[4:5]
	s_waitcnt lgkmcnt(0)
	v_mul_f64 v[4:5], v[226:227], v[240:241]
	v_add_f64 v[248:249], v[248:249], v[250:251]
	v_mul_f64 v[250:251], v[224:225], v[240:241]
	v_fma_f64 v[4:5], v[224:225], v[242:243], -v[4:5]
	v_fmac_f64_e32 v[250:251], v[226:227], v[242:243]
	v_add_f64 v[2:3], v[2:3], v[4:5]
	v_add_f64 v[248:249], v[248:249], v[250:251]
	v_add_f64 v[2:3], v[62:63], -v[2:3]
	v_add_f64 v[4:5], v[60:61], -v[248:249]
	buffer_store_dword v3, off, s[0:3], 0 offset:164
	buffer_store_dword v2, off, s[0:3], 0 offset:160
	;; [unrolled: 1-line block ×4, first 2 shown]
	s_and_saveexec_b64 s[4:5], vcc
	s_cbranch_execz .LBB38_231
; %bb.230:
	v_accvgpr_read_b32 v5, a108
	buffer_load_dword v2, v5, s[0:3], 0 offen
	buffer_load_dword v3, v5, s[0:3], 0 offen offset:4
	buffer_load_dword v4, v5, s[0:3], 0 offen offset:8
	s_nop 0
	buffer_load_dword v5, v5, s[0:3], 0 offen offset:12
	v_accvgpr_read_b32 v6, a116
	buffer_store_dword v1, off, s[0:3], 0 offset:144
	buffer_store_dword v1, off, s[0:3], 0 offset:148
	;; [unrolled: 1-line block ×4, first 2 shown]
	s_waitcnt vmcnt(4)
	ds_write_b128 v6, v[2:5]
.LBB38_231:
	s_or_b64 exec, exec, s[4:5]
	s_waitcnt lgkmcnt(0)
	; wave barrier
	s_waitcnt lgkmcnt(0)
	buffer_load_dword v48, off, s[0:3], 0 offset:160
	buffer_load_dword v49, off, s[0:3], 0 offset:164
	;; [unrolled: 1-line block ×40, first 2 shown]
	ds_read_b128 v[38:41], v1 offset:768
	ds_read_b128 v[34:37], v1 offset:784
	;; [unrolled: 1-line block ×10, first 2 shown]
	buffer_load_dword v83, off, s[0:3], 0 offset:332
	buffer_load_dword v82, off, s[0:3], 0 offset:328
	;; [unrolled: 1-line block ×8, first 2 shown]
	v_cmp_lt_u32_e32 vcc, 7, v0
	s_waitcnt vmcnt(44) lgkmcnt(9)
	v_mul_f64 v[90:91], v[38:39], v[50:51]
	v_fmac_f64_e32 v[90:91], v[40:41], v[48:49]
	v_add_f64 v[90:91], v[90:91], 0
	v_mul_f64 v[40:41], v[40:41], v[50:51]
	s_waitcnt vmcnt(40) lgkmcnt(8)
	v_mul_f64 v[92:93], v[34:35], v[44:45]
	v_fmac_f64_e32 v[92:93], v[36:37], v[42:43]
	s_waitcnt vmcnt(38) lgkmcnt(7)
	v_mul_f64 v[94:95], v[30:31], v[46:47]
	v_add_f64 v[90:91], v[90:91], v[92:93]
	s_waitcnt vmcnt(36) lgkmcnt(5)
	v_mul_f64 v[98:99], v[22:23], v[52:53]
	v_mul_f64 v[36:37], v[36:37], v[44:45]
	s_waitcnt vmcnt(34)
	v_fmac_f64_e32 v[98:99], v[24:25], v[54:55]
	v_fma_f64 v[34:35], v[34:35], v[42:43], -v[36:37]
	s_waitcnt vmcnt(32)
	v_mul_f64 v[96:97], v[26:27], v[56:57]
	v_mul_f64 v[24:25], v[24:25], v[52:53]
	s_waitcnt vmcnt(30) lgkmcnt(4)
	v_mul_f64 v[100:101], v[18:19], v[62:63]
	v_fma_f64 v[22:23], v[22:23], v[54:55], -v[24:25]
	s_waitcnt vmcnt(28) lgkmcnt(1)
	v_mul_f64 v[124:125], v[2:3], v[64:65]
	s_waitcnt vmcnt(25)
	v_mul_f64 v[104:105], v[6:7], v[68:69]
	s_waitcnt vmcnt(23)
	;; [unrolled: 2-line block ×3, first 2 shown]
	v_fmac_f64_e32 v[102:103], v[12:13], v[72:73]
	v_mul_f64 v[12:13], v[12:13], v[70:71]
	s_waitcnt vmcnt(19)
	v_fmac_f64_e32 v[94:95], v[32:33], v[80:81]
	v_add_f64 v[90:91], v[90:91], v[94:95]
	s_waitcnt vmcnt(17)
	v_fmac_f64_e32 v[96:97], v[28:29], v[78:79]
	v_add_f64 v[90:91], v[90:91], v[96:97]
	;; [unrolled: 3-line block ×3, first 2 shown]
	v_add_f64 v[90:91], v[90:91], v[100:101]
	s_waitcnt vmcnt(13)
	v_fmac_f64_e32 v[104:105], v[8:9], v[74:75]
	v_add_f64 v[90:91], v[90:91], v[102:103]
	v_add_f64 v[126:127], v[90:91], v[104:105]
	buffer_load_dword v91, off, s[0:3], 0 offset:364
	buffer_load_dword v90, off, s[0:3], 0 offset:360
	;; [unrolled: 1-line block ×72, first 2 shown]
	s_waitcnt vmcnt(62)
	v_fmac_f64_e32 v[124:125], v[4:5], v[66:67]
	v_add_f64 v[152:153], v[126:127], v[124:125]
	ds_read_b128 v[124:127], v1 offset:928
	s_waitcnt lgkmcnt(1)
	v_mul_f64 v[154:155], v[14:15], v[86:87]
	v_fmac_f64_e32 v[154:155], v[16:17], v[88:89]
	buffer_load_dword v245, off, s[0:3], 0 offset:636
	buffer_load_dword v244, off, s[0:3], 0 offset:632
	;; [unrolled: 1-line block ×4, first 2 shown]
	v_add_f64 v[156:157], v[152:153], v[154:155]
	s_waitcnt lgkmcnt(0)
	v_mul_f64 v[158:159], v[124:125], v[82:83]
	ds_read_b128 v[152:155], v1 offset:944
	v_fmac_f64_e32 v[158:159], v[126:127], v[84:85]
	v_add_f64 v[160:161], v[156:157], v[158:159]
	ds_read_b128 v[156:159], v1 offset:960
	v_mul_f64 v[32:33], v[32:33], v[46:47]
	s_waitcnt lgkmcnt(1)
	v_mul_f64 v[162:163], v[152:153], v[94:95]
	v_fma_f64 v[30:31], v[30:31], v[80:81], -v[32:33]
	v_fmac_f64_e32 v[162:163], v[154:155], v[96:97]
	s_waitcnt lgkmcnt(0)
	v_mul_f64 v[166:167], v[156:157], v[90:91]
	v_add_f64 v[164:165], v[160:161], v[162:163]
	ds_read_b128 v[160:163], v1 offset:976
	v_fmac_f64_e32 v[166:167], v[158:159], v[92:93]
	v_add_f64 v[168:169], v[164:165], v[166:167]
	ds_read_b128 v[164:167], v1 offset:992
	v_mul_f64 v[28:29], v[28:29], v[56:57]
	s_waitcnt vmcnt(62) lgkmcnt(1)
	v_mul_f64 v[170:171], v[160:161], v[102:103]
	s_waitcnt vmcnt(60)
	v_fmac_f64_e32 v[170:171], v[162:163], v[104:105]
	v_add_f64 v[172:173], v[168:169], v[170:171]
	s_waitcnt lgkmcnt(0)
	v_mul_f64 v[174:175], v[164:165], v[98:99]
	ds_read_b128 v[168:171], v1 offset:1008
	v_fmac_f64_e32 v[174:175], v[166:167], v[100:101]
	v_add_f64 v[176:177], v[172:173], v[174:175]
	ds_read_b128 v[172:175], v1 offset:1024
	v_fma_f64 v[26:27], v[26:27], v[78:79], -v[28:29]
	s_waitcnt vmcnt(54) lgkmcnt(1)
	v_mul_f64 v[178:179], v[168:169], v[110:111]
	s_waitcnt vmcnt(52)
	v_fmac_f64_e32 v[178:179], v[170:171], v[112:113]
	v_add_f64 v[180:181], v[176:177], v[178:179]
	s_waitcnt lgkmcnt(0)
	v_mul_f64 v[182:183], v[172:173], v[106:107]
	ds_read_b128 v[176:179], v1 offset:1040
	v_fmac_f64_e32 v[182:183], v[174:175], v[108:109]
	v_add_f64 v[184:185], v[180:181], v[182:183]
	ds_read_b128 v[180:183], v1 offset:1056
	v_mul_f64 v[20:21], v[20:21], v[62:63]
	s_waitcnt vmcnt(46) lgkmcnt(1)
	v_mul_f64 v[186:187], v[176:177], v[120:121]
	s_waitcnt vmcnt(44)
	v_fmac_f64_e32 v[186:187], v[178:179], v[122:123]
	v_add_f64 v[196:197], v[184:185], v[186:187]
	s_waitcnt lgkmcnt(0)
	v_mul_f64 v[198:199], v[180:181], v[114:115]
	ds_read_b128 v[184:187], v1 offset:1072
	v_fmac_f64_e32 v[198:199], v[182:183], v[116:117]
	v_add_f64 v[200:201], v[196:197], v[198:199]
	ds_read_b128 v[196:199], v1 offset:1088
	v_fma_f64 v[18:19], v[18:19], v[76:77], -v[20:21]
	s_waitcnt vmcnt(38) lgkmcnt(1)
	v_mul_f64 v[202:203], v[184:185], v[132:133]
	s_waitcnt vmcnt(36)
	v_fmac_f64_e32 v[202:203], v[186:187], v[134:135]
	v_add_f64 v[204:205], v[200:201], v[202:203]
	s_waitcnt lgkmcnt(0)
	v_mul_f64 v[206:207], v[196:197], v[128:129]
	ds_read_b128 v[200:203], v1 offset:1104
	v_fmac_f64_e32 v[206:207], v[198:199], v[130:131]
	v_add_f64 v[208:209], v[204:205], v[206:207]
	ds_read_b128 v[204:207], v1 offset:1120
	v_fma_f64 v[10:11], v[10:11], v[72:73], -v[12:13]
	s_waitcnt vmcnt(30) lgkmcnt(1)
	v_mul_f64 v[210:211], v[200:201], v[140:141]
	s_waitcnt vmcnt(28)
	v_fmac_f64_e32 v[210:211], v[202:203], v[142:143]
	v_add_f64 v[212:213], v[208:209], v[210:211]
	s_waitcnt lgkmcnt(0)
	v_mul_f64 v[214:215], v[204:205], v[136:137]
	ds_read_b128 v[208:211], v1 offset:1136
	v_fmac_f64_e32 v[214:215], v[206:207], v[138:139]
	v_add_f64 v[216:217], v[212:213], v[214:215]
	ds_read_b128 v[212:215], v1 offset:1152
	v_mul_f64 v[8:9], v[8:9], v[68:69]
	s_waitcnt vmcnt(22) lgkmcnt(1)
	v_mul_f64 v[218:219], v[208:209], v[148:149]
	s_waitcnt vmcnt(20)
	v_fmac_f64_e32 v[218:219], v[210:211], v[150:151]
	v_add_f64 v[220:221], v[216:217], v[218:219]
	s_waitcnt lgkmcnt(0)
	v_mul_f64 v[222:223], v[212:213], v[144:145]
	ds_read_b128 v[216:219], v1 offset:1168
	v_fmac_f64_e32 v[222:223], v[214:215], v[146:147]
	v_add_f64 v[224:225], v[220:221], v[222:223]
	ds_read_b128 v[220:223], v1 offset:1184
	v_fma_f64 v[6:7], v[6:7], v[74:75], -v[8:9]
	s_waitcnt vmcnt(14) lgkmcnt(1)
	v_mul_f64 v[226:227], v[216:217], v[232:233]
	s_waitcnt vmcnt(12)
	v_fmac_f64_e32 v[226:227], v[218:219], v[234:235]
	v_add_f64 v[248:249], v[224:225], v[226:227]
	s_waitcnt lgkmcnt(0)
	v_mul_f64 v[250:251], v[220:221], v[228:229]
	v_fmac_f64_e32 v[250:251], v[222:223], v[230:231]
	v_add_f64 v[248:249], v[248:249], v[250:251]
	v_fma_f64 v[250:251], v[38:39], v[48:49], -v[40:41]
	v_add_f64 v[250:251], v[250:251], 0
	v_add_f64 v[34:35], v[250:251], v[34:35]
	v_add_f64 v[30:31], v[34:35], v[30:31]
	v_add_f64 v[26:27], v[30:31], v[26:27]
	v_add_f64 v[22:23], v[26:27], v[22:23]
	v_add_f64 v[18:19], v[22:23], v[18:19]
	v_add_f64 v[10:11], v[18:19], v[10:11]
	v_mul_f64 v[4:5], v[4:5], v[64:65]
	v_add_f64 v[6:7], v[10:11], v[6:7]
	v_fma_f64 v[2:3], v[2:3], v[66:67], -v[4:5]
	v_mul_f64 v[4:5], v[16:17], v[86:87]
	v_add_f64 v[2:3], v[6:7], v[2:3]
	v_fma_f64 v[4:5], v[14:15], v[88:89], -v[4:5]
	v_add_f64 v[2:3], v[2:3], v[4:5]
	v_mul_f64 v[4:5], v[126:127], v[82:83]
	v_fma_f64 v[4:5], v[124:125], v[84:85], -v[4:5]
	v_add_f64 v[2:3], v[2:3], v[4:5]
	v_mul_f64 v[4:5], v[154:155], v[94:95]
	v_fma_f64 v[4:5], v[152:153], v[96:97], -v[4:5]
	v_add_f64 v[2:3], v[2:3], v[4:5]
	v_mul_f64 v[4:5], v[158:159], v[90:91]
	v_fma_f64 v[4:5], v[156:157], v[92:93], -v[4:5]
	v_add_f64 v[2:3], v[2:3], v[4:5]
	v_mul_f64 v[4:5], v[162:163], v[102:103]
	v_fma_f64 v[4:5], v[160:161], v[104:105], -v[4:5]
	v_add_f64 v[2:3], v[2:3], v[4:5]
	v_mul_f64 v[4:5], v[166:167], v[98:99]
	v_fma_f64 v[4:5], v[164:165], v[100:101], -v[4:5]
	v_add_f64 v[2:3], v[2:3], v[4:5]
	v_mul_f64 v[4:5], v[170:171], v[110:111]
	v_fma_f64 v[4:5], v[168:169], v[112:113], -v[4:5]
	v_add_f64 v[2:3], v[2:3], v[4:5]
	v_mul_f64 v[4:5], v[174:175], v[106:107]
	v_fma_f64 v[4:5], v[172:173], v[108:109], -v[4:5]
	v_add_f64 v[2:3], v[2:3], v[4:5]
	v_mul_f64 v[4:5], v[178:179], v[120:121]
	v_fma_f64 v[4:5], v[176:177], v[122:123], -v[4:5]
	v_add_f64 v[2:3], v[2:3], v[4:5]
	v_mul_f64 v[4:5], v[182:183], v[114:115]
	v_fma_f64 v[4:5], v[180:181], v[116:117], -v[4:5]
	v_add_f64 v[2:3], v[2:3], v[4:5]
	v_mul_f64 v[4:5], v[186:187], v[132:133]
	v_fma_f64 v[4:5], v[184:185], v[134:135], -v[4:5]
	v_add_f64 v[2:3], v[2:3], v[4:5]
	v_mul_f64 v[4:5], v[198:199], v[128:129]
	v_fma_f64 v[4:5], v[196:197], v[130:131], -v[4:5]
	v_add_f64 v[2:3], v[2:3], v[4:5]
	v_mul_f64 v[4:5], v[202:203], v[140:141]
	v_fma_f64 v[4:5], v[200:201], v[142:143], -v[4:5]
	v_add_f64 v[2:3], v[2:3], v[4:5]
	v_mul_f64 v[4:5], v[206:207], v[136:137]
	v_fma_f64 v[4:5], v[204:205], v[138:139], -v[4:5]
	v_add_f64 v[2:3], v[2:3], v[4:5]
	v_mul_f64 v[4:5], v[210:211], v[148:149]
	v_fma_f64 v[4:5], v[208:209], v[150:151], -v[4:5]
	v_add_f64 v[2:3], v[2:3], v[4:5]
	v_mul_f64 v[4:5], v[214:215], v[144:145]
	ds_read_b128 v[224:227], v1 offset:1200
	ds_read_b128 v[38:41], v1 offset:1216
	v_fma_f64 v[4:5], v[212:213], v[146:147], -v[4:5]
	v_add_f64 v[2:3], v[2:3], v[4:5]
	v_mul_f64 v[4:5], v[218:219], v[232:233]
	v_fma_f64 v[4:5], v[216:217], v[234:235], -v[4:5]
	v_add_f64 v[2:3], v[2:3], v[4:5]
	v_mul_f64 v[4:5], v[222:223], v[228:229]
	ds_read_b128 v[48:51], v1 offset:1232
	v_fma_f64 v[4:5], v[220:221], v[230:231], -v[4:5]
	v_add_f64 v[2:3], v[2:3], v[4:5]
	s_waitcnt vmcnt(6) lgkmcnt(2)
	v_mul_f64 v[4:5], v[226:227], v[240:241]
	v_mul_f64 v[252:253], v[224:225], v[240:241]
	s_waitcnt vmcnt(4)
	v_fma_f64 v[4:5], v[224:225], v[242:243], -v[4:5]
	v_fmac_f64_e32 v[252:253], v[226:227], v[242:243]
	v_add_f64 v[2:3], v[2:3], v[4:5]
	s_waitcnt lgkmcnt(1)
	v_mul_f64 v[4:5], v[40:41], v[236:237]
	v_add_f64 v[248:249], v[248:249], v[252:253]
	v_mul_f64 v[252:253], v[38:39], v[236:237]
	v_fma_f64 v[4:5], v[38:39], v[238:239], -v[4:5]
	v_fmac_f64_e32 v[252:253], v[40:41], v[238:239]
	v_add_f64 v[2:3], v[2:3], v[4:5]
	s_waitcnt vmcnt(2) lgkmcnt(0)
	v_mul_f64 v[4:5], v[50:51], v[244:245]
	v_add_f64 v[248:249], v[248:249], v[252:253]
	v_mul_f64 v[252:253], v[48:49], v[244:245]
	s_waitcnt vmcnt(0)
	v_fma_f64 v[4:5], v[48:49], v[246:247], -v[4:5]
	v_fmac_f64_e32 v[252:253], v[50:51], v[246:247]
	v_add_f64 v[2:3], v[2:3], v[4:5]
	v_add_f64 v[248:249], v[248:249], v[252:253]
	v_add_f64 v[2:3], v[60:61], -v[2:3]
	v_add_f64 v[4:5], v[58:59], -v[248:249]
	buffer_store_dword v3, off, s[0:3], 0 offset:148
	buffer_store_dword v2, off, s[0:3], 0 offset:144
	;; [unrolled: 1-line block ×4, first 2 shown]
	s_and_saveexec_b64 s[4:5], vcc
	s_cbranch_execz .LBB38_233
; %bb.232:
	v_accvgpr_read_b32 v1, a109
	buffer_load_dword v2, v1, s[0:3], 0 offen
	buffer_load_dword v3, v1, s[0:3], 0 offen offset:4
	buffer_load_dword v4, v1, s[0:3], 0 offen offset:8
	buffer_load_dword v5, v1, s[0:3], 0 offen offset:12
	v_mov_b32_e32 v1, 0
	v_accvgpr_read_b32 v6, a116
	buffer_store_dword v1, off, s[0:3], 0 offset:128
	buffer_store_dword v1, off, s[0:3], 0 offset:132
	buffer_store_dword v1, off, s[0:3], 0 offset:136
	buffer_store_dword v1, off, s[0:3], 0 offset:140
	s_waitcnt vmcnt(4)
	ds_write_b128 v6, v[2:5]
.LBB38_233:
	s_or_b64 exec, exec, s[4:5]
	s_waitcnt lgkmcnt(0)
	; wave barrier
	s_waitcnt lgkmcnt(0)
	buffer_load_dword v106, off, s[0:3], 0 offset:144
	buffer_load_dword v107, off, s[0:3], 0 offset:148
	;; [unrolled: 1-line block ×49, first 2 shown]
	v_mov_b32_e32 v1, 0
	ds_read_b128 v[110:113], v1 offset:752
	ds_read_b128 v[250:253], v1 offset:768
	;; [unrolled: 1-line block ×10, first 2 shown]
	buffer_load_dword v160, off, s[0:3], 0 offset:336
	buffer_load_dword v175, off, s[0:3], 0 offset:332
	;; [unrolled: 1-line block ×69, first 2 shown]
	v_cmp_lt_u32_e32 vcc, 6, v0
	s_waitcnt vmcnt(62) lgkmcnt(9)
	v_mul_f64 v[34:35], v[110:111], v[108:109]
	v_fmac_f64_e32 v[34:35], v[112:113], v[106:107]
	v_add_f64 v[34:35], v[34:35], 0
	v_mul_f64 v[108:109], v[112:113], v[108:109]
	s_waitcnt lgkmcnt(8)
	v_mul_f64 v[36:37], v[250:251], v[116:117]
	v_fmac_f64_e32 v[36:37], v[252:253], v[114:115]
	s_waitcnt lgkmcnt(7)
	v_mul_f64 v[38:39], v[30:31], v[120:121]
	v_add_f64 v[34:35], v[34:35], v[36:37]
	s_waitcnt lgkmcnt(5)
	v_mul_f64 v[42:43], v[22:23], v[122:123]
	v_mul_f64 v[116:117], v[252:253], v[116:117]
	v_fmac_f64_e32 v[42:43], v[24:25], v[124:125]
	v_fma_f64 v[250:251], v[250:251], v[114:115], -v[116:117]
	v_mul_f64 v[40:41], v[26:27], v[126:127]
	v_mul_f64 v[24:25], v[24:25], v[122:123]
	s_waitcnt lgkmcnt(3)
	v_mul_f64 v[46:47], v[14:15], v[128:129]
	v_fma_f64 v[22:23], v[22:23], v[124:125], -v[24:25]
	v_fmac_f64_e32 v[46:47], v[16:17], v[130:131]
	v_mul_f64 v[16:17], v[16:17], v[128:129]
	v_mul_f64 v[44:45], v[18:19], v[132:133]
	v_fma_f64 v[14:15], v[14:15], v[130:131], -v[16:17]
	s_waitcnt lgkmcnt(1)
	v_mul_f64 v[50:51], v[6:7], v[134:135]
	v_fmac_f64_e32 v[50:51], v[8:9], v[136:137]
	v_mul_f64 v[8:9], v[8:9], v[134:135]
	v_mul_f64 v[48:49], v[10:11], v[142:143]
	v_fma_f64 v[6:7], v[6:7], v[136:137], -v[8:9]
	s_waitcnt lgkmcnt(0)
	v_mul_f64 v[52:53], v[2:3], v[138:139]
	v_fmac_f64_e32 v[38:39], v[32:33], v[154:155]
	v_add_f64 v[34:35], v[34:35], v[38:39]
	v_fmac_f64_e32 v[40:41], v[28:29], v[152:153]
	v_add_f64 v[34:35], v[34:35], v[40:41]
	v_fmac_f64_e32 v[44:45], v[20:21], v[150:151]
	v_add_f64 v[34:35], v[34:35], v[42:43]
	v_add_f64 v[34:35], v[34:35], v[44:45]
	v_fmac_f64_e32 v[48:49], v[12:13], v[148:149]
	v_add_f64 v[34:35], v[34:35], v[46:47]
	v_add_f64 v[34:35], v[34:35], v[48:49]
	v_fmac_f64_e32 v[52:53], v[4:5], v[146:147]
	v_add_f64 v[34:35], v[34:35], v[50:51]
	v_add_f64 v[42:43], v[34:35], v[52:53]
	ds_read_b128 v[38:41], v1 offset:912
	ds_read_b128 v[34:37], v1 offset:928
	buffer_load_dword v231, off, s[0:3], 0 offset:636
	buffer_load_dword v230, off, s[0:3], 0 offset:632
	;; [unrolled: 1-line block ×8, first 2 shown]
	ds_read_b128 v[114:117], v1 offset:1232
	v_mul_f64 v[32:33], v[32:33], v[120:121]
	s_waitcnt lgkmcnt(2)
	v_mul_f64 v[44:45], v[38:39], v[144:145]
	v_fmac_f64_e32 v[44:45], v[40:41], v[156:157]
	v_add_f64 v[46:47], v[42:43], v[44:45]
	ds_read_b128 v[42:45], v1 offset:944
	s_waitcnt lgkmcnt(2)
	v_mul_f64 v[48:49], v[34:35], v[174:175]
	v_fmac_f64_e32 v[48:49], v[36:37], v[178:179]
	v_add_f64 v[50:51], v[46:47], v[48:49]
	ds_read_b128 v[46:49], v1 offset:960
	;; [unrolled: 5-line block ×3, first 2 shown]
	s_waitcnt vmcnt(62) lgkmcnt(1)
	v_mul_f64 v[56:57], v[46:47], v[182:183]
	v_fmac_f64_e32 v[56:57], v[48:49], v[186:187]
	v_add_f64 v[58:59], v[54:55], v[56:57]
	ds_read_b128 v[54:57], v1 offset:992
	s_waitcnt lgkmcnt(1)
	v_mul_f64 v[60:61], v[50:51], v[162:163]
	v_fmac_f64_e32 v[60:61], v[52:53], v[164:165]
	v_add_f64 v[62:63], v[58:59], v[60:61]
	ds_read_b128 v[58:61], v1 offset:1008
	s_waitcnt vmcnt(58) lgkmcnt(1)
	v_mul_f64 v[64:65], v[54:55], v[198:199]
	s_waitcnt vmcnt(56)
	v_fmac_f64_e32 v[64:65], v[56:57], v[202:203]
	v_add_f64 v[66:67], v[62:63], v[64:65]
	ds_read_b128 v[62:65], v1 offset:1024
	s_waitcnt lgkmcnt(1)
	v_mul_f64 v[68:69], v[58:59], v[166:167]
	v_fmac_f64_e32 v[68:69], v[60:61], v[168:169]
	v_add_f64 v[70:71], v[66:67], v[68:69]
	ds_read_b128 v[66:69], v1 offset:1040
	s_waitcnt vmcnt(50) lgkmcnt(1)
	v_mul_f64 v[72:73], v[62:63], v[206:207]
	s_waitcnt vmcnt(48)
	;; [unrolled: 11-line block ×5, first 2 shown]
	v_fmac_f64_e32 v[96:97], v[88:89], v[228:229]
	v_add_f64 v[98:99], v[94:95], v[96:97]
	ds_read_b128 v[94:97], v1 offset:1152
	s_waitcnt lgkmcnt(1)
	v_mul_f64 v[100:101], v[90:91], v[200:201]
	v_fmac_f64_e32 v[100:101], v[92:93], v[204:205]
	v_add_f64 v[246:247], v[98:99], v[100:101]
	ds_read_b128 v[98:101], v1 offset:1168
	ds_read_b128 v[102:105], v1 offset:1184
	s_waitcnt vmcnt(18) lgkmcnt(2)
	v_mul_f64 v[248:249], v[94:95], v[232:233]
	s_waitcnt vmcnt(16)
	v_fmac_f64_e32 v[248:249], v[96:97], v[236:237]
	v_add_f64 v[246:247], v[246:247], v[248:249]
	s_waitcnt lgkmcnt(1)
	v_mul_f64 v[248:249], v[98:99], v[208:209]
	v_fmac_f64_e32 v[248:249], v[100:101], v[212:213]
	v_add_f64 v[246:247], v[246:247], v[248:249]
	v_fma_f64 v[248:249], v[110:111], v[106:107], -v[108:109]
	ds_read_b128 v[110:113], v1 offset:1200
	ds_read_b128 v[106:109], v1 offset:1216
	s_waitcnt vmcnt(10) lgkmcnt(2)
	v_mul_f64 v[254:255], v[102:103], v[238:239]
	s_waitcnt vmcnt(8)
	v_fmac_f64_e32 v[254:255], v[104:105], v[240:241]
	v_add_f64 v[246:247], v[246:247], v[254:255]
	s_waitcnt lgkmcnt(1)
	v_mul_f64 v[252:253], v[110:111], v[216:217]
	v_fmac_f64_e32 v[252:253], v[112:113], v[220:221]
	v_add_f64 v[246:247], v[246:247], v[252:253]
	s_waitcnt vmcnt(2) lgkmcnt(0)
	v_mul_f64 v[252:253], v[106:107], v[242:243]
	s_waitcnt vmcnt(0)
	v_fmac_f64_e32 v[252:253], v[108:109], v[244:245]
	v_add_f64 v[246:247], v[246:247], v[252:253]
	v_mul_f64 v[252:253], v[114:115], v[230:231]
	v_fmac_f64_e32 v[252:253], v[116:117], v[234:235]
	v_add_f64 v[246:247], v[246:247], v[252:253]
	buffer_load_dword v252, off, s[0:3], 0 offset:136
	buffer_load_dword v253, off, s[0:3], 0 offset:140
	v_add_f64 v[248:249], v[248:249], 0
	v_add_f64 v[248:249], v[248:249], v[250:251]
	v_fma_f64 v[30:31], v[30:31], v[154:155], -v[32:33]
	v_mul_f64 v[28:29], v[28:29], v[126:127]
	v_add_f64 v[30:31], v[248:249], v[30:31]
	v_fma_f64 v[26:27], v[26:27], v[152:153], -v[28:29]
	v_add_f64 v[26:27], v[30:31], v[26:27]
	v_mul_f64 v[20:21], v[20:21], v[132:133]
	v_add_f64 v[22:23], v[26:27], v[22:23]
	v_fma_f64 v[18:19], v[18:19], v[150:151], -v[20:21]
	v_add_f64 v[18:19], v[22:23], v[18:19]
	v_mul_f64 v[12:13], v[12:13], v[142:143]
	v_add_f64 v[14:15], v[18:19], v[14:15]
	v_fma_f64 v[10:11], v[10:11], v[148:149], -v[12:13]
	v_add_f64 v[10:11], v[14:15], v[10:11]
	v_mul_f64 v[4:5], v[4:5], v[138:139]
	v_add_f64 v[6:7], v[10:11], v[6:7]
	v_fma_f64 v[2:3], v[2:3], v[146:147], -v[4:5]
	v_mul_f64 v[4:5], v[40:41], v[144:145]
	v_add_f64 v[2:3], v[6:7], v[2:3]
	v_fma_f64 v[4:5], v[38:39], v[156:157], -v[4:5]
	v_add_f64 v[2:3], v[2:3], v[4:5]
	v_mul_f64 v[4:5], v[36:37], v[174:175]
	v_fma_f64 v[4:5], v[34:35], v[178:179], -v[4:5]
	v_add_f64 v[2:3], v[2:3], v[4:5]
	v_mul_f64 v[4:5], v[44:45], v[158:159]
	;; [unrolled: 3-line block ×20, first 2 shown]
	v_fma_f64 v[4:5], v[114:115], v[234:235], -v[4:5]
	v_add_f64 v[2:3], v[2:3], v[4:5]
	v_add_f64 v[2:3], v[140:141], -v[2:3]
	s_waitcnt vmcnt(0)
	v_add_f64 v[4:5], v[252:253], -v[246:247]
	buffer_store_dword v3, off, s[0:3], 0 offset:132
	buffer_store_dword v2, off, s[0:3], 0 offset:128
	;; [unrolled: 1-line block ×4, first 2 shown]
	s_and_saveexec_b64 s[4:5], vcc
	s_cbranch_execz .LBB38_235
; %bb.234:
	v_accvgpr_read_b32 v5, a110
	buffer_load_dword v2, v5, s[0:3], 0 offen
	buffer_load_dword v3, v5, s[0:3], 0 offen offset:4
	buffer_load_dword v4, v5, s[0:3], 0 offen offset:8
	s_nop 0
	buffer_load_dword v5, v5, s[0:3], 0 offen offset:12
	v_accvgpr_read_b32 v6, a116
	buffer_store_dword v1, off, s[0:3], 0 offset:112
	buffer_store_dword v1, off, s[0:3], 0 offset:116
	;; [unrolled: 1-line block ×4, first 2 shown]
	s_waitcnt vmcnt(4)
	ds_write_b128 v6, v[2:5]
.LBB38_235:
	s_or_b64 exec, exec, s[4:5]
	s_waitcnt lgkmcnt(0)
	; wave barrier
	s_waitcnt lgkmcnt(0)
	buffer_load_dword v112, off, s[0:3], 0 offset:128
	buffer_load_dword v113, off, s[0:3], 0 offset:132
	;; [unrolled: 1-line block ×36, first 2 shown]
	ds_read_b128 v[102:105], v1 offset:736
	ds_read_b128 v[106:109], v1 offset:752
	;; [unrolled: 1-line block ×9, first 2 shown]
	buffer_load_dword v145, off, s[0:3], 0 offset:300
	buffer_load_dword v144, off, s[0:3], 0 offset:296
	;; [unrolled: 1-line block ×78, first 2 shown]
	v_cmp_lt_u32_e32 vcc, 5, v0
	s_waitcnt vmcnt(62) lgkmcnt(8)
	v_mul_f64 v[26:27], v[102:103], v[246:247]
	v_fmac_f64_e32 v[26:27], v[104:105], v[112:113]
	v_add_f64 v[26:27], v[26:27], 0
	v_mul_f64 v[104:105], v[104:105], v[246:247]
	s_waitcnt lgkmcnt(7)
	v_mul_f64 v[28:29], v[106:107], v[248:249]
	v_fmac_f64_e32 v[28:29], v[108:109], v[110:111]
	s_waitcnt lgkmcnt(6)
	v_mul_f64 v[30:31], v[114:115], v[244:245]
	v_add_f64 v[26:27], v[26:27], v[28:29]
	s_waitcnt lgkmcnt(4)
	v_mul_f64 v[34:35], v[18:19], v[120:121]
	v_fma_f64 v[246:247], v[102:103], v[112:113], -v[104:105]
	v_fmac_f64_e32 v[34:35], v[20:21], v[122:123]
	v_mul_f64 v[108:109], v[108:109], v[248:249]
	v_mul_f64 v[32:33], v[22:23], v[124:125]
	v_fma_f64 v[248:249], v[106:107], v[110:111], -v[108:109]
	s_waitcnt lgkmcnt(2)
	v_mul_f64 v[38:39], v[10:11], v[126:127]
	v_add_f64 v[246:247], v[246:247], 0
	v_fmac_f64_e32 v[38:39], v[12:13], v[128:129]
	v_add_f64 v[246:247], v[246:247], v[248:249]
	v_mul_f64 v[36:37], v[14:15], v[132:133]
	v_mul_f64 v[20:21], v[20:21], v[120:121]
	s_waitcnt lgkmcnt(1)
	v_mul_f64 v[40:41], v[6:7], v[130:131]
	v_fma_f64 v[18:19], v[18:19], v[122:123], -v[20:21]
	v_fmac_f64_e32 v[30:31], v[116:117], v[250:251]
	v_add_f64 v[26:27], v[26:27], v[30:31]
	v_fmac_f64_e32 v[32:33], v[24:25], v[140:141]
	v_add_f64 v[26:27], v[26:27], v[32:33]
	;; [unrolled: 2-line block ×3, first 2 shown]
	v_add_f64 v[26:27], v[26:27], v[36:37]
	v_fmac_f64_e32 v[40:41], v[8:9], v[136:137]
	v_add_f64 v[30:31], v[26:27], v[38:39]
	ds_read_b128 v[26:29], v1 offset:880
	s_waitcnt lgkmcnt(1)
	v_mul_f64 v[32:33], v[2:3], v[134:135]
	v_add_f64 v[30:31], v[30:31], v[40:41]
	v_fmac_f64_e32 v[32:33], v[4:5], v[142:143]
	v_add_f64 v[34:35], v[30:31], v[32:33]
	ds_read_b128 v[30:33], v1 offset:896
	s_waitcnt lgkmcnt(1)
	v_mul_f64 v[36:37], v[26:27], v[148:149]
	buffer_load_dword v233, off, s[0:3], 0 offset:564
	buffer_load_dword v232, off, s[0:3], 0 offset:560
	v_fmac_f64_e32 v[36:37], v[28:29], v[150:151]
	v_add_f64 v[38:39], v[34:35], v[36:37]
	s_waitcnt lgkmcnt(0)
	v_mul_f64 v[40:41], v[30:31], v[144:145]
	ds_read_b128 v[34:37], v1 offset:912
	v_fmac_f64_e32 v[40:41], v[32:33], v[146:147]
	v_add_f64 v[42:43], v[38:39], v[40:41]
	ds_read_b128 v[38:41], v1 offset:928
	v_mul_f64 v[116:117], v[116:117], v[244:245]
	s_waitcnt lgkmcnt(1)
	v_mul_f64 v[44:45], v[34:35], v[160:161]
	v_fmac_f64_e32 v[44:45], v[36:37], v[162:163]
	v_add_f64 v[46:47], v[42:43], v[44:45]
	s_waitcnt lgkmcnt(0)
	v_mul_f64 v[48:49], v[38:39], v[152:153]
	v_fmac_f64_e32 v[48:49], v[40:41], v[154:155]
	ds_read_b128 v[42:45], v1 offset:944
	v_add_f64 v[50:51], v[46:47], v[48:49]
	ds_read_b128 v[46:49], v1 offset:960
	buffer_load_dword v187, off, s[0:3], 0 offset:620
	buffer_load_dword v235, off, s[0:3], 0 offset:604
	;; [unrolled: 1-line block ×12, first 2 shown]
	ds_read_b128 v[106:109], v1 offset:1200
	s_waitcnt vmcnt(62) lgkmcnt(2)
	v_mul_f64 v[52:53], v[42:43], v[176:177]
	v_fmac_f64_e32 v[52:53], v[44:45], v[180:181]
	v_add_f64 v[54:55], v[50:51], v[52:53]
	ds_read_b128 v[50:53], v1 offset:976
	s_waitcnt lgkmcnt(2)
	v_mul_f64 v[56:57], v[46:47], v[156:157]
	v_fmac_f64_e32 v[56:57], v[48:49], v[158:159]
	v_add_f64 v[58:59], v[54:55], v[56:57]
	ds_read_b128 v[54:57], v1 offset:992
	s_waitcnt lgkmcnt(1)
	v_mul_f64 v[60:61], v[50:51], v[184:185]
	s_waitcnt vmcnt(60)
	v_fmac_f64_e32 v[60:61], v[52:53], v[198:199]
	v_add_f64 v[62:63], v[58:59], v[60:61]
	ds_read_b128 v[58:61], v1 offset:1008
	s_waitcnt lgkmcnt(1)
	v_mul_f64 v[64:65], v[54:55], v[164:165]
	v_fmac_f64_e32 v[64:65], v[56:57], v[166:167]
	v_add_f64 v[66:67], v[62:63], v[64:65]
	ds_read_b128 v[62:65], v1 offset:1024
	s_waitcnt vmcnt(54) lgkmcnt(1)
	v_mul_f64 v[68:69], v[58:59], v[202:203]
	s_waitcnt vmcnt(52)
	v_fmac_f64_e32 v[68:69], v[60:61], v[206:207]
	v_add_f64 v[70:71], v[66:67], v[68:69]
	ds_read_b128 v[66:69], v1 offset:1040
	s_waitcnt lgkmcnt(1)
	v_mul_f64 v[72:73], v[62:63], v[168:169]
	v_fmac_f64_e32 v[72:73], v[64:65], v[170:171]
	v_add_f64 v[74:75], v[70:71], v[72:73]
	ds_read_b128 v[70:73], v1 offset:1056
	s_waitcnt vmcnt(46) lgkmcnt(1)
	v_mul_f64 v[76:77], v[66:67], v[210:211]
	s_waitcnt vmcnt(44)
	v_fmac_f64_e32 v[76:77], v[68:69], v[214:215]
	v_add_f64 v[78:79], v[74:75], v[76:77]
	ds_read_b128 v[74:77], v1 offset:1072
	s_waitcnt lgkmcnt(1)
	v_mul_f64 v[80:81], v[70:71], v[172:173]
	v_fmac_f64_e32 v[80:81], v[72:73], v[174:175]
	v_add_f64 v[82:83], v[78:79], v[80:81]
	ds_read_b128 v[78:81], v1 offset:1088
	s_waitcnt vmcnt(38) lgkmcnt(1)
	v_mul_f64 v[84:85], v[74:75], v[218:219]
	s_waitcnt vmcnt(36)
	v_fmac_f64_e32 v[84:85], v[76:77], v[220:221]
	v_add_f64 v[86:87], v[82:83], v[84:85]
	ds_read_b128 v[82:85], v1 offset:1104
	s_waitcnt lgkmcnt(1)
	v_mul_f64 v[88:89], v[78:79], v[178:179]
	v_fmac_f64_e32 v[88:89], v[80:81], v[182:183]
	v_add_f64 v[90:91], v[86:87], v[88:89]
	ds_read_b128 v[86:89], v1 offset:1120
	s_waitcnt vmcnt(30) lgkmcnt(1)
	v_mul_f64 v[92:93], v[82:83], v[222:223]
	s_waitcnt vmcnt(28)
	v_fmac_f64_e32 v[92:93], v[84:85], v[224:225]
	v_add_f64 v[98:99], v[90:91], v[92:93]
	ds_read_b128 v[90:93], v1 offset:1136
	ds_read_b128 v[94:97], v1 offset:1152
	s_waitcnt lgkmcnt(2)
	v_mul_f64 v[100:101], v[86:87], v[196:197]
	v_fmac_f64_e32 v[100:101], v[88:89], v[200:201]
	v_add_f64 v[98:99], v[98:99], v[100:101]
	s_waitcnt vmcnt(22) lgkmcnt(1)
	v_mul_f64 v[100:101], v[90:91], v[226:227]
	s_waitcnt vmcnt(20)
	v_fmac_f64_e32 v[100:101], v[92:93], v[228:229]
	v_add_f64 v[98:99], v[98:99], v[100:101]
	s_waitcnt lgkmcnt(0)
	v_mul_f64 v[100:101], v[94:95], v[204:205]
	v_fmac_f64_e32 v[100:101], v[96:97], v[208:209]
	v_add_f64 v[252:253], v[98:99], v[100:101]
	ds_read_b128 v[98:101], v1 offset:1168
	ds_read_b128 v[102:105], v1 offset:1184
	v_fma_f64 v[250:251], v[114:115], v[250:251], -v[116:117]
	ds_read_b128 v[114:117], v1 offset:1232
	v_mul_f64 v[24:25], v[24:25], v[124:125]
	s_waitcnt vmcnt(14) lgkmcnt(2)
	v_mul_f64 v[112:113], v[98:99], v[230:231]
	s_waitcnt lgkmcnt(1)
	v_mul_f64 v[110:111], v[102:103], v[212:213]
	s_waitcnt vmcnt(12)
	v_fmac_f64_e32 v[112:113], v[100:101], v[232:233]
	v_add_f64 v[112:113], v[252:253], v[112:113]
	v_fmac_f64_e32 v[110:111], v[104:105], v[216:217]
	v_add_f64 v[252:253], v[112:113], v[110:111]
	ds_read_b128 v[110:113], v1 offset:1216
	v_add_f64 v[246:247], v[246:247], v[250:251]
	v_fma_f64 v[22:23], v[22:23], v[140:141], -v[24:25]
	v_add_f64 v[22:23], v[246:247], v[22:23]
	s_waitcnt vmcnt(9)
	v_mul_f64 v[244:245], v[106:107], v[234:235]
	v_mul_f64 v[16:17], v[16:17], v[132:133]
	s_waitcnt vmcnt(7)
	v_fmac_f64_e32 v[244:245], v[108:109], v[240:241]
	v_add_f64 v[244:245], v[252:253], v[244:245]
	s_waitcnt vmcnt(6) lgkmcnt(0)
	v_mul_f64 v[252:253], v[110:111], v[186:187]
	s_waitcnt vmcnt(4)
	v_fmac_f64_e32 v[252:253], v[112:113], v[238:239]
	v_add_f64 v[244:245], v[244:245], v[252:253]
	s_waitcnt vmcnt(2)
	v_mul_f64 v[252:253], v[114:115], v[236:237]
	v_add_f64 v[18:19], v[22:23], v[18:19]
	s_waitcnt vmcnt(0)
	v_fmac_f64_e32 v[252:253], v[116:117], v[242:243]
	v_add_f64 v[244:245], v[244:245], v[252:253]
	buffer_load_dword v254, off, s[0:3], 0 offset:112
	buffer_load_dword v255, off, s[0:3], 0 offset:116
	;; [unrolled: 1-line block ×4, first 2 shown]
	v_fma_f64 v[14:15], v[14:15], v[138:139], -v[16:17]
	v_mul_f64 v[12:13], v[12:13], v[126:127]
	v_add_f64 v[14:15], v[18:19], v[14:15]
	v_fma_f64 v[10:11], v[10:11], v[128:129], -v[12:13]
	v_mul_f64 v[8:9], v[8:9], v[130:131]
	v_add_f64 v[10:11], v[14:15], v[10:11]
	;; [unrolled: 3-line block ×4, first 2 shown]
	v_fma_f64 v[4:5], v[26:27], v[150:151], -v[4:5]
	v_add_f64 v[2:3], v[2:3], v[4:5]
	v_mul_f64 v[4:5], v[32:33], v[144:145]
	v_fma_f64 v[4:5], v[30:31], v[146:147], -v[4:5]
	v_add_f64 v[2:3], v[2:3], v[4:5]
	v_mul_f64 v[4:5], v[36:37], v[160:161]
	;; [unrolled: 3-line block ×22, first 2 shown]
	v_fma_f64 v[4:5], v[114:115], v[242:243], -v[4:5]
	v_add_f64 v[2:3], v[2:3], v[4:5]
	s_waitcnt vmcnt(2)
	v_add_f64 v[2:3], v[254:255], -v[2:3]
	s_waitcnt vmcnt(0)
	v_add_f64 v[4:5], v[252:253], -v[244:245]
	buffer_store_dword v3, off, s[0:3], 0 offset:116
	buffer_store_dword v2, off, s[0:3], 0 offset:112
	;; [unrolled: 1-line block ×4, first 2 shown]
	s_and_saveexec_b64 s[4:5], vcc
	s_cbranch_execz .LBB38_237
; %bb.236:
	v_accvgpr_read_b32 v1, a111
	buffer_load_dword v2, v1, s[0:3], 0 offen
	buffer_load_dword v3, v1, s[0:3], 0 offen offset:4
	buffer_load_dword v4, v1, s[0:3], 0 offen offset:8
	;; [unrolled: 1-line block ×3, first 2 shown]
	v_mov_b32_e32 v1, 0
	v_accvgpr_read_b32 v6, a116
	buffer_store_dword v1, off, s[0:3], 0 offset:96
	buffer_store_dword v1, off, s[0:3], 0 offset:100
	;; [unrolled: 1-line block ×4, first 2 shown]
	s_waitcnt vmcnt(4)
	ds_write_b128 v6, v[2:5]
.LBB38_237:
	s_or_b64 exec, exec, s[4:5]
	s_waitcnt lgkmcnt(0)
	; wave barrier
	s_waitcnt lgkmcnt(0)
	buffer_load_dword v94, off, s[0:3], 0 offset:112
	buffer_load_dword v95, off, s[0:3], 0 offset:116
	;; [unrolled: 1-line block ×52, first 2 shown]
	v_mov_b32_e32 v1, 0
	ds_read_b128 v[102:105], v1 offset:720
	ds_read_b128 v[114:117], v1 offset:736
	ds_read_b128 v[244:247], v1 offset:752
	ds_read_b128 v[250:253], v1 offset:768
	ds_read_b128 v[22:25], v1 offset:784
	ds_read_b128 v[18:21], v1 offset:800
	ds_read_b128 v[14:17], v1 offset:816
	ds_read_b128 v[10:13], v1 offset:832
	ds_read_b128 v[6:9], v1 offset:848
	ds_read_b128 v[2:5], v1 offset:864
	v_cmp_lt_u32_e32 vcc, 4, v0
	s_waitcnt vmcnt(48) lgkmcnt(9)
	v_mul_f64 v[26:27], v[102:103], v[96:97]
	v_fmac_f64_e32 v[26:27], v[104:105], v[94:95]
	v_add_f64 v[26:27], v[26:27], 0
	v_mul_f64 v[96:97], v[104:105], v[96:97]
	s_waitcnt vmcnt(44) lgkmcnt(8)
	v_mul_f64 v[28:29], v[114:115], v[100:101]
	v_fmac_f64_e32 v[28:29], v[116:117], v[98:99]
	s_waitcnt vmcnt(42) lgkmcnt(7)
	v_mul_f64 v[30:31], v[244:245], v[106:107]
	v_add_f64 v[26:27], v[26:27], v[28:29]
	s_waitcnt vmcnt(40) lgkmcnt(5)
	v_mul_f64 v[34:35], v[22:23], v[122:123]
	v_fma_f64 v[254:255], v[102:103], v[94:95], -v[96:97]
	s_waitcnt vmcnt(38)
	v_fmac_f64_e32 v[34:35], v[24:25], v[126:127]
	v_mul_f64 v[100:101], v[116:117], v[100:101]
	s_waitcnt vmcnt(36)
	v_mul_f64 v[32:33], v[250:251], v[110:111]
	v_fma_f64 v[188:189], v[114:115], v[98:99], -v[100:101]
	s_waitcnt vmcnt(34) lgkmcnt(3)
	v_mul_f64 v[38:39], v[14:15], v[120:121]
	v_mul_f64 v[106:107], v[246:247], v[106:107]
	s_waitcnt vmcnt(32)
	v_fmac_f64_e32 v[38:39], v[16:17], v[124:125]
	v_mul_f64 v[110:111], v[252:253], v[110:111]
	s_waitcnt vmcnt(30)
	v_mul_f64 v[36:37], v[18:19], v[132:133]
	v_mul_f64 v[24:25], v[24:25], v[122:123]
	v_fma_f64 v[22:23], v[22:23], v[126:127], -v[24:25]
	s_waitcnt vmcnt(27) lgkmcnt(2)
	v_mul_f64 v[40:41], v[10:11], v[130:131]
	s_waitcnt vmcnt(26) lgkmcnt(1)
	v_mul_f64 v[42:43], v[6:7], v[128:129]
	v_mul_f64 v[16:17], v[16:17], v[120:121]
	s_waitcnt vmcnt(24)
	v_fmac_f64_e32 v[30:31], v[246:247], v[108:109]
	v_add_f64 v[26:27], v[26:27], v[30:31]
	s_waitcnt vmcnt(22)
	v_fmac_f64_e32 v[32:33], v[252:253], v[112:113]
	v_add_f64 v[26:27], v[26:27], v[32:33]
	;; [unrolled: 3-line block ×3, first 2 shown]
	v_add_f64 v[26:27], v[26:27], v[36:37]
	s_waitcnt vmcnt(18)
	v_fmac_f64_e32 v[40:41], v[12:13], v[134:135]
	v_add_f64 v[26:27], v[26:27], v[38:39]
	v_add_f64 v[26:27], v[26:27], v[40:41]
	s_waitcnt vmcnt(16)
	v_fmac_f64_e32 v[42:43], v[8:9], v[140:141]
	v_add_f64 v[34:35], v[26:27], v[42:43]
	ds_read_b128 v[26:29], v1 offset:880
	ds_read_b128 v[30:33], v1 offset:896
	buffer_load_dword v157, off, s[0:3], 0 offset:348
	buffer_load_dword v156, off, s[0:3], 0 offset:344
	;; [unrolled: 1-line block ×56, first 2 shown]
	s_waitcnt vmcnt(62) lgkmcnt(2)
	v_mul_f64 v[36:37], v[2:3], v[144:145]
	v_fmac_f64_e32 v[36:37], v[4:5], v[146:147]
	v_add_f64 v[34:35], v[34:35], v[36:37]
	s_waitcnt lgkmcnt(1)
	v_mul_f64 v[36:37], v[26:27], v[138:139]
	v_fmac_f64_e32 v[36:37], v[28:29], v[142:143]
	v_add_f64 v[34:35], v[34:35], v[36:37]
	s_waitcnt lgkmcnt(0)
	v_mul_f64 v[36:37], v[30:31], v[148:149]
	s_waitcnt vmcnt(60)
	v_fmac_f64_e32 v[36:37], v[32:33], v[152:153]
	v_add_f64 v[42:43], v[34:35], v[36:37]
	ds_read_b128 v[34:37], v1 offset:912
	buffer_load_dword v211, off, s[0:3], 0 offset:572
	buffer_load_dword v210, off, s[0:3], 0 offset:568
	;; [unrolled: 1-line block ×16, first 2 shown]
	ds_read_b128 v[38:41], v1 offset:928
	buffer_load_dword v233, off, s[0:3], 0 offset:636
	buffer_load_dword v232, off, s[0:3], 0 offset:632
	;; [unrolled: 1-line block ×8, first 2 shown]
	ds_read_b128 v[98:101], v1 offset:1168
	s_waitcnt vmcnt(62) lgkmcnt(2)
	v_mul_f64 v[44:45], v[34:35], v[150:151]
	v_fmac_f64_e32 v[44:45], v[36:37], v[154:155]
	v_add_f64 v[46:47], v[42:43], v[44:45]
	ds_read_b128 v[42:45], v1 offset:944
	v_fma_f64 v[246:247], v[250:251], v[112:113], -v[110:111]
	v_mul_f64 v[20:21], v[20:21], v[132:133]
	v_fma_f64 v[18:19], v[18:19], v[136:137], -v[20:21]
	v_fma_f64 v[14:15], v[14:15], v[124:125], -v[16:17]
	v_mul_f64 v[12:13], v[12:13], v[130:131]
	v_fma_f64 v[10:11], v[10:11], v[134:135], -v[12:13]
	v_mul_f64 v[8:9], v[8:9], v[128:129]
	;; [unrolled: 2-line block ×4, first 2 shown]
	s_waitcnt lgkmcnt(2)
	v_mul_f64 v[48:49], v[38:39], v[172:173]
	v_fma_f64 v[4:5], v[26:27], v[142:143], -v[4:5]
	v_fmac_f64_e32 v[48:49], v[40:41], v[176:177]
	v_add_f64 v[50:51], v[46:47], v[48:49]
	ds_read_b128 v[46:49], v1 offset:960
	s_waitcnt lgkmcnt(1)
	v_mul_f64 v[52:53], v[42:43], v[156:157]
	v_fmac_f64_e32 v[52:53], v[44:45], v[158:159]
	v_add_f64 v[54:55], v[50:51], v[52:53]
	ds_read_b128 v[50:53], v1 offset:976
	s_waitcnt lgkmcnt(1)
	v_mul_f64 v[56:57], v[46:47], v[180:181]
	;; [unrolled: 5-line block ×3, first 2 shown]
	v_fmac_f64_e32 v[60:61], v[52:53], v[162:163]
	v_add_f64 v[62:63], v[58:59], v[60:61]
	ds_read_b128 v[58:61], v1 offset:1008
	s_waitcnt vmcnt(58) lgkmcnt(1)
	v_mul_f64 v[64:65], v[54:55], v[198:199]
	s_waitcnt vmcnt(56)
	v_fmac_f64_e32 v[64:65], v[56:57], v[202:203]
	v_add_f64 v[66:67], v[62:63], v[64:65]
	ds_read_b128 v[62:65], v1 offset:1024
	s_waitcnt lgkmcnt(1)
	v_mul_f64 v[68:69], v[58:59], v[164:165]
	v_fmac_f64_e32 v[68:69], v[60:61], v[166:167]
	v_add_f64 v[70:71], v[66:67], v[68:69]
	ds_read_b128 v[66:69], v1 offset:1040
	s_waitcnt vmcnt(50) lgkmcnt(1)
	v_mul_f64 v[72:73], v[62:63], v[206:207]
	s_waitcnt vmcnt(48)
	v_fmac_f64_e32 v[72:73], v[64:65], v[208:209]
	v_add_f64 v[74:75], v[70:71], v[72:73]
	ds_read_b128 v[70:73], v1 offset:1056
	s_waitcnt lgkmcnt(1)
	v_mul_f64 v[76:77], v[66:67], v[168:169]
	;; [unrolled: 11-line block ×3, first 2 shown]
	v_fmac_f64_e32 v[84:85], v[76:77], v[178:179]
	v_add_f64 v[90:91], v[82:83], v[84:85]
	ds_read_b128 v[82:85], v1 offset:1104
	ds_read_b128 v[86:89], v1 offset:1120
	s_waitcnt vmcnt(34) lgkmcnt(2)
	v_mul_f64 v[92:93], v[78:79], v[220:221]
	s_waitcnt vmcnt(32)
	v_fmac_f64_e32 v[92:93], v[80:81], v[226:227]
	v_add_f64 v[90:91], v[90:91], v[92:93]
	s_waitcnt lgkmcnt(1)
	v_mul_f64 v[92:93], v[82:83], v[182:183]
	v_fmac_f64_e32 v[92:93], v[84:85], v[196:197]
	v_add_f64 v[90:91], v[90:91], v[92:93]
	s_waitcnt vmcnt(27) lgkmcnt(0)
	v_mul_f64 v[92:93], v[86:87], v[224:225]
	s_waitcnt vmcnt(25)
	v_fmac_f64_e32 v[92:93], v[88:89], v[228:229]
	v_add_f64 v[248:249], v[90:91], v[92:93]
	ds_read_b128 v[90:93], v1 offset:1136
	ds_read_b128 v[94:97], v1 offset:1152
	;; [unrolled: 1-line block ×3, first 2 shown]
	s_waitcnt lgkmcnt(2)
	v_mul_f64 v[102:103], v[90:91], v[200:201]
	s_waitcnt vmcnt(24)
	v_fmac_f64_e32 v[102:103], v[92:93], v[204:205]
	s_waitcnt vmcnt(18) lgkmcnt(1)
	v_mul_f64 v[104:105], v[94:95], v[230:231]
	v_add_f64 v[102:103], v[248:249], v[102:103]
	s_waitcnt vmcnt(16)
	v_fmac_f64_e32 v[104:105], v[96:97], v[234:235]
	v_add_f64 v[102:103], v[102:103], v[104:105]
	v_fma_f64 v[248:249], v[244:245], v[108:109], -v[106:107]
	ds_read_b128 v[106:109], v1 offset:1200
	v_mul_f64 v[104:105], v[98:99], v[210:211]
	v_fmac_f64_e32 v[104:105], v[100:101], v[214:215]
	v_add_f64 v[114:115], v[102:103], v[104:105]
	ds_read_b128 v[102:105], v1 offset:1184
	s_waitcnt vmcnt(10) lgkmcnt(0)
	v_mul_f64 v[116:117], v[102:103], v[238:239]
	s_waitcnt vmcnt(8)
	v_fmac_f64_e32 v[116:117], v[104:105], v[240:241]
	v_add_f64 v[114:115], v[114:115], v[116:117]
	v_mul_f64 v[116:117], v[106:107], v[218:219]
	v_fmac_f64_e32 v[116:117], v[108:109], v[222:223]
	v_add_f64 v[114:115], v[114:115], v[116:117]
	s_waitcnt vmcnt(2)
	v_mul_f64 v[116:117], v[110:111], v[186:187]
	s_waitcnt vmcnt(0)
	v_fmac_f64_e32 v[116:117], v[112:113], v[242:243]
	v_add_f64 v[244:245], v[114:115], v[116:117]
	ds_read_b128 v[114:117], v1 offset:1232
	buffer_load_dword v252, off, s[0:3], 0 offset:96
	buffer_load_dword v253, off, s[0:3], 0 offset:100
	s_waitcnt lgkmcnt(0)
	v_mul_f64 v[250:251], v[114:115], v[232:233]
	v_fmac_f64_e32 v[250:251], v[116:117], v[236:237]
	v_add_f64 v[244:245], v[244:245], v[250:251]
	v_add_f64 v[250:251], v[254:255], 0
	;; [unrolled: 1-line block ×4, first 2 shown]
	buffer_load_dword v248, off, s[0:3], 0 offset:104
	buffer_load_dword v249, off, s[0:3], 0 offset:108
	v_add_f64 v[188:189], v[188:189], v[246:247]
	v_add_f64 v[22:23], v[188:189], v[22:23]
	;; [unrolled: 1-line block ×8, first 2 shown]
	v_mul_f64 v[4:5], v[32:33], v[148:149]
	v_fma_f64 v[4:5], v[30:31], v[152:153], -v[4:5]
	v_add_f64 v[2:3], v[2:3], v[4:5]
	v_mul_f64 v[4:5], v[36:37], v[150:151]
	v_fma_f64 v[4:5], v[34:35], v[154:155], -v[4:5]
	v_add_f64 v[2:3], v[2:3], v[4:5]
	;; [unrolled: 3-line block ×22, first 2 shown]
	s_waitcnt vmcnt(2)
	v_add_f64 v[2:3], v[252:253], -v[2:3]
	s_waitcnt vmcnt(0)
	v_add_f64 v[4:5], v[248:249], -v[244:245]
	buffer_store_dword v3, off, s[0:3], 0 offset:100
	buffer_store_dword v2, off, s[0:3], 0 offset:96
	;; [unrolled: 1-line block ×4, first 2 shown]
	s_and_saveexec_b64 s[4:5], vcc
	s_cbranch_execz .LBB38_239
; %bb.238:
	v_accvgpr_read_b32 v5, a112
	buffer_load_dword v2, v5, s[0:3], 0 offen
	buffer_load_dword v3, v5, s[0:3], 0 offen offset:4
	buffer_load_dword v4, v5, s[0:3], 0 offen offset:8
	s_nop 0
	buffer_load_dword v5, v5, s[0:3], 0 offen offset:12
	v_accvgpr_read_b32 v6, a116
	buffer_store_dword v1, off, s[0:3], 0 offset:80
	buffer_store_dword v1, off, s[0:3], 0 offset:84
	buffer_store_dword v1, off, s[0:3], 0 offset:88
	buffer_store_dword v1, off, s[0:3], 0 offset:92
	s_waitcnt vmcnt(4)
	ds_write_b128 v6, v[2:5]
.LBB38_239:
	s_or_b64 exec, exec, s[4:5]
	s_waitcnt lgkmcnt(0)
	; wave barrier
	s_waitcnt lgkmcnt(0)
	buffer_load_dword v86, off, s[0:3], 0 offset:96
	buffer_load_dword v87, off, s[0:3], 0 offset:100
	;; [unrolled: 1-line block ×42, first 2 shown]
	ds_read_b128 v[94:97], v1 offset:704
	ds_read_b128 v[106:109], v1 offset:720
	;; [unrolled: 1-line block ×10, first 2 shown]
	buffer_load_dword v147, off, s[0:3], 0 offset:244
	buffer_load_dword v146, off, s[0:3], 0 offset:240
	ds_read_b128 v[6:9], v1 offset:864
	buffer_load_dword v143, off, s[0:3], 0 offset:300
	buffer_load_dword v142, off, s[0:3], 0 offset:296
	;; [unrolled: 1-line block ×80, first 2 shown]
	v_cmp_lt_u32_e32 vcc, 3, v0
	s_waitcnt vmcnt(62) lgkmcnt(10)
	v_mul_f64 v[26:27], v[94:95], v[88:89]
	v_fmac_f64_e32 v[26:27], v[96:97], v[86:87]
	v_add_f64 v[26:27], v[26:27], 0
	v_mul_f64 v[88:89], v[96:97], v[88:89]
	s_waitcnt lgkmcnt(9)
	v_mul_f64 v[28:29], v[106:107], v[92:93]
	v_fmac_f64_e32 v[28:29], v[108:109], v[90:91]
	s_waitcnt lgkmcnt(8)
	v_mul_f64 v[30:31], v[114:115], v[98:99]
	v_add_f64 v[26:27], v[26:27], v[28:29]
	s_waitcnt lgkmcnt(6)
	v_mul_f64 v[34:35], v[250:251], v[110:111]
	v_fma_f64 v[188:189], v[94:95], v[86:87], -v[88:89]
	v_fmac_f64_e32 v[34:35], v[252:253], v[112:113]
	v_mul_f64 v[92:93], v[108:109], v[92:93]
	v_mul_f64 v[32:33], v[246:247], v[102:103]
	v_fma_f64 v[254:255], v[106:107], v[90:91], -v[92:93]
	s_waitcnt lgkmcnt(4)
	v_mul_f64 v[38:39], v[18:19], v[120:121]
	v_mul_f64 v[98:99], v[116:117], v[98:99]
	v_fmac_f64_e32 v[38:39], v[20:21], v[122:123]
	v_mul_f64 v[102:103], v[248:249], v[102:103]
	v_mul_f64 v[36:37], v[22:23], v[124:125]
	;; [unrolled: 1-line block ×3, first 2 shown]
	s_waitcnt lgkmcnt(2)
	v_mul_f64 v[42:43], v[10:11], v[126:127]
	v_add_f64 v[188:189], v[188:189], 0
	v_add_f64 v[188:189], v[188:189], v[254:255]
	v_mul_f64 v[40:41], v[14:15], v[132:133]
	v_mul_f64 v[20:21], v[20:21], v[120:121]
	s_waitcnt lgkmcnt(1)
	v_mul_f64 v[44:45], v[2:3], v[130:131]
	v_fma_f64 v[18:19], v[18:19], v[122:123], -v[20:21]
	v_fmac_f64_e32 v[30:31], v[116:117], v[100:101]
	v_add_f64 v[26:27], v[26:27], v[30:31]
	v_fmac_f64_e32 v[32:33], v[248:249], v[104:105]
	v_add_f64 v[26:27], v[26:27], v[32:33]
	;; [unrolled: 2-line block ×3, first 2 shown]
	v_add_f64 v[26:27], v[26:27], v[36:37]
	v_fmac_f64_e32 v[40:41], v[16:17], v[134:135]
	v_add_f64 v[26:27], v[26:27], v[38:39]
	v_fmac_f64_e32 v[42:43], v[12:13], v[128:129]
	v_add_f64 v[26:27], v[26:27], v[40:41]
	v_add_f64 v[26:27], v[26:27], v[42:43]
	s_waitcnt lgkmcnt(0)
	v_mul_f64 v[32:33], v[6:7], v[138:139]
	v_fmac_f64_e32 v[44:45], v[4:5], v[146:147]
	v_add_f64 v[30:31], v[26:27], v[44:45]
	ds_read_b128 v[26:29], v1 offset:880
	v_fmac_f64_e32 v[32:33], v[8:9], v[140:141]
	v_add_f64 v[34:35], v[30:31], v[32:33]
	ds_read_b128 v[30:33], v1 offset:896
	v_fma_f64 v[190:191], v[114:115], v[100:101], -v[98:99]
	s_waitcnt lgkmcnt(1)
	v_mul_f64 v[36:37], v[26:27], v[148:149]
	v_fmac_f64_e32 v[36:37], v[28:29], v[164:165]
	v_add_f64 v[38:39], v[34:35], v[36:37]
	ds_read_b128 v[34:37], v1 offset:912
	s_waitcnt lgkmcnt(1)
	v_mul_f64 v[40:41], v[30:31], v[142:143]
	v_fmac_f64_e32 v[40:41], v[32:33], v[144:145]
	v_add_f64 v[42:43], v[38:39], v[40:41]
	ds_read_b128 v[38:41], v1 offset:928
	;; [unrolled: 5-line block ×4, first 2 shown]
	s_waitcnt vmcnt(58) lgkmcnt(1)
	v_mul_f64 v[52:53], v[42:43], v[176:177]
	s_waitcnt vmcnt(56)
	v_fmac_f64_e32 v[52:53], v[44:45], v[180:181]
	v_add_f64 v[54:55], v[50:51], v[52:53]
	ds_read_b128 v[50:53], v1 offset:976
	buffer_load_dword v184, off, s[0:3], 0 offset:616
	buffer_load_dword v239, off, s[0:3], 0 offset:604
	;; [unrolled: 1-line block ×8, first 2 shown]
	s_waitcnt lgkmcnt(1)
	v_mul_f64 v[56:57], v[46:47], v[154:155]
	v_fmac_f64_e32 v[56:57], v[48:49], v[156:157]
	v_add_f64 v[58:59], v[54:55], v[56:57]
	ds_read_b128 v[54:57], v1 offset:992
	buffer_load_dword v243, off, s[0:3], 0 offset:636
	buffer_load_dword v242, off, s[0:3], 0 offset:632
	;; [unrolled: 1-line block ×4, first 2 shown]
	s_waitcnt vmcnt(62) lgkmcnt(1)
	v_mul_f64 v[60:61], v[50:51], v[196:197]
	s_waitcnt vmcnt(60)
	v_fmac_f64_e32 v[60:61], v[52:53], v[200:201]
	v_add_f64 v[62:63], v[58:59], v[60:61]
	ds_read_b128 v[58:61], v1 offset:1008
	s_waitcnt lgkmcnt(1)
	v_mul_f64 v[64:65], v[54:55], v[158:159]
	v_fmac_f64_e32 v[64:65], v[56:57], v[160:161]
	v_add_f64 v[66:67], v[62:63], v[64:65]
	ds_read_b128 v[62:65], v1 offset:1024
	s_waitcnt vmcnt(54) lgkmcnt(1)
	v_mul_f64 v[68:69], v[58:59], v[204:205]
	s_waitcnt vmcnt(52)
	v_fmac_f64_e32 v[68:69], v[60:61], v[208:209]
	v_add_f64 v[70:71], v[66:67], v[68:69]
	ds_read_b128 v[66:69], v1 offset:1040
	s_waitcnt lgkmcnt(1)
	v_mul_f64 v[72:73], v[62:63], v[162:163]
	v_fmac_f64_e32 v[72:73], v[64:65], v[166:167]
	v_add_f64 v[74:75], v[70:71], v[72:73]
	ds_read_b128 v[70:73], v1 offset:1056
	s_waitcnt vmcnt(46) lgkmcnt(1)
	v_mul_f64 v[76:77], v[66:67], v[212:213]
	s_waitcnt vmcnt(44)
	v_fmac_f64_e32 v[76:77], v[68:69], v[216:217]
	v_add_f64 v[82:83], v[74:75], v[76:77]
	ds_read_b128 v[74:77], v1 offset:1072
	ds_read_b128 v[78:81], v1 offset:1088
	s_waitcnt lgkmcnt(2)
	v_mul_f64 v[84:85], v[70:71], v[170:171]
	v_fmac_f64_e32 v[84:85], v[72:73], v[174:175]
	v_add_f64 v[82:83], v[82:83], v[84:85]
	s_waitcnt vmcnt(38) lgkmcnt(1)
	v_mul_f64 v[84:85], v[74:75], v[220:221]
	s_waitcnt vmcnt(36)
	v_fmac_f64_e32 v[84:85], v[76:77], v[222:223]
	v_add_f64 v[82:83], v[82:83], v[84:85]
	s_waitcnt lgkmcnt(0)
	v_mul_f64 v[84:85], v[78:79], v[178:179]
	v_fmac_f64_e32 v[84:85], v[80:81], v[182:183]
	v_add_f64 v[186:187], v[82:83], v[84:85]
	ds_read_b128 v[82:85], v1 offset:1104
	ds_read_b128 v[86:89], v1 offset:1120
	;; [unrolled: 1-line block ×4, first 2 shown]
	v_fma_f64 v[248:249], v[250:251], v[112:113], -v[110:111]
	s_waitcnt vmcnt(30) lgkmcnt(3)
	v_mul_f64 v[94:95], v[82:83], v[224:225]
	s_waitcnt vmcnt(28)
	v_fmac_f64_e32 v[94:95], v[84:85], v[226:227]
	s_waitcnt lgkmcnt(2)
	v_mul_f64 v[96:97], v[86:87], v[198:199]
	v_add_f64 v[94:95], v[186:187], v[94:95]
	v_fmac_f64_e32 v[96:97], v[88:89], v[202:203]
	v_add_f64 v[106:107], v[94:95], v[96:97]
	ds_read_b128 v[94:97], v1 offset:1152
	s_waitcnt vmcnt(22) lgkmcnt(2)
	v_mul_f64 v[108:109], v[90:91], v[228:229]
	s_waitcnt vmcnt(20)
	v_fmac_f64_e32 v[108:109], v[92:93], v[230:231]
	v_add_f64 v[106:107], v[106:107], v[108:109]
	v_fma_f64 v[186:187], v[246:247], v[104:105], -v[102:103]
	s_waitcnt lgkmcnt(0)
	v_mul_f64 v[108:109], v[94:95], v[206:207]
	v_fmac_f64_e32 v[108:109], v[96:97], v[210:211]
	v_add_f64 v[114:115], v[106:107], v[108:109]
	ds_read_b128 v[106:109], v1 offset:1184
	ds_read_b128 v[102:105], v1 offset:1200
	;; [unrolled: 1-line block ×3, first 2 shown]
	s_waitcnt vmcnt(14)
	v_mul_f64 v[116:117], v[98:99], v[232:233]
	s_waitcnt vmcnt(12)
	v_fmac_f64_e32 v[116:117], v[100:101], v[234:235]
	v_add_f64 v[114:115], v[114:115], v[116:117]
	s_waitcnt lgkmcnt(2)
	v_mul_f64 v[116:117], v[106:107], v[214:215]
	v_fmac_f64_e32 v[116:117], v[108:109], v[218:219]
	v_add_f64 v[114:115], v[114:115], v[116:117]
	v_mul_f64 v[24:25], v[24:25], v[124:125]
	v_fma_f64 v[22:23], v[22:23], v[136:137], -v[24:25]
	v_mul_f64 v[16:17], v[16:17], v[132:133]
	v_fma_f64 v[14:15], v[14:15], v[134:135], -v[16:17]
	;; [unrolled: 2-line block ×5, first 2 shown]
	s_waitcnt vmcnt(9) lgkmcnt(1)
	v_mul_f64 v[116:117], v[102:103], v[238:239]
	s_waitcnt vmcnt(7)
	v_fmac_f64_e32 v[116:117], v[104:105], v[240:241]
	v_add_f64 v[114:115], v[114:115], v[116:117]
	s_waitcnt vmcnt(5) lgkmcnt(0)
	v_mul_f64 v[116:117], v[110:111], v[184:185]
	s_waitcnt vmcnt(4)
	v_fmac_f64_e32 v[116:117], v[112:113], v[236:237]
	v_add_f64 v[246:247], v[114:115], v[116:117]
	ds_read_b128 v[114:117], v1 offset:1232
	buffer_load_dword v254, off, s[0:3], 0 offset:80
	buffer_load_dword v255, off, s[0:3], 0 offset:84
	;; [unrolled: 1-line block ×4, first 2 shown]
	s_waitcnt vmcnt(6) lgkmcnt(0)
	v_mul_f64 v[250:251], v[114:115], v[242:243]
	s_waitcnt vmcnt(4)
	v_fmac_f64_e32 v[250:251], v[116:117], v[244:245]
	v_add_f64 v[246:247], v[246:247], v[250:251]
	v_add_f64 v[250:251], v[188:189], v[190:191]
	;; [unrolled: 1-line block ×10, first 2 shown]
	v_mul_f64 v[4:5], v[28:29], v[148:149]
	v_fma_f64 v[4:5], v[26:27], v[164:165], -v[4:5]
	v_add_f64 v[2:3], v[2:3], v[4:5]
	v_mul_f64 v[4:5], v[32:33], v[142:143]
	v_fma_f64 v[4:5], v[30:31], v[144:145], -v[4:5]
	v_add_f64 v[2:3], v[2:3], v[4:5]
	;; [unrolled: 3-line block ×23, first 2 shown]
	s_waitcnt vmcnt(2)
	v_add_f64 v[2:3], v[254:255], -v[2:3]
	s_waitcnt vmcnt(0)
	v_add_f64 v[4:5], v[252:253], -v[246:247]
	buffer_store_dword v3, off, s[0:3], 0 offset:84
	buffer_store_dword v2, off, s[0:3], 0 offset:80
	;; [unrolled: 1-line block ×4, first 2 shown]
	s_and_saveexec_b64 s[4:5], vcc
	s_cbranch_execz .LBB38_241
; %bb.240:
	v_accvgpr_read_b32 v1, a113
	buffer_load_dword v2, v1, s[0:3], 0 offen
	buffer_load_dword v3, v1, s[0:3], 0 offen offset:4
	buffer_load_dword v4, v1, s[0:3], 0 offen offset:8
	;; [unrolled: 1-line block ×3, first 2 shown]
	v_mov_b32_e32 v1, 0
	v_accvgpr_read_b32 v6, a116
	buffer_store_dword v1, off, s[0:3], 0 offset:64
	buffer_store_dword v1, off, s[0:3], 0 offset:68
	;; [unrolled: 1-line block ×4, first 2 shown]
	s_waitcnt vmcnt(4)
	ds_write_b128 v6, v[2:5]
.LBB38_241:
	s_or_b64 exec, exec, s[4:5]
	s_waitcnt lgkmcnt(0)
	; wave barrier
	s_waitcnt lgkmcnt(0)
	buffer_load_dword v82, off, s[0:3], 0 offset:80
	buffer_load_dword v83, off, s[0:3], 0 offset:84
	;; [unrolled: 1-line block ×54, first 2 shown]
	v_mov_b32_e32 v1, 0
	ds_read_b128 v[90:93], v1 offset:688
	ds_read_b128 v[106:109], v1 offset:704
	;; [unrolled: 1-line block ×9, first 2 shown]
	buffer_load_dword v141, off, s[0:3], 0 offset:308
	buffer_load_dword v140, off, s[0:3], 0 offset:304
	;; [unrolled: 1-line block ×62, first 2 shown]
	v_cmp_lt_u32_e32 vcc, 2, v0
	s_waitcnt vmcnt(62) lgkmcnt(8)
	v_mul_f64 v[14:15], v[90:91], v[84:85]
	v_fmac_f64_e32 v[14:15], v[92:93], v[82:83]
	v_add_f64 v[14:15], v[14:15], 0
	v_mul_f64 v[84:85], v[92:93], v[84:85]
	s_waitcnt lgkmcnt(7)
	v_mul_f64 v[16:17], v[106:107], v[88:89]
	v_fmac_f64_e32 v[16:17], v[108:109], v[86:87]
	s_waitcnt lgkmcnt(6)
	v_mul_f64 v[18:19], v[114:115], v[94:95]
	v_add_f64 v[14:15], v[14:15], v[16:17]
	s_waitcnt lgkmcnt(4)
	v_mul_f64 v[22:23], v[248:249], v[102:103]
	v_fma_f64 v[188:189], v[90:91], v[82:83], -v[84:85]
	v_fmac_f64_e32 v[22:23], v[250:251], v[104:105]
	v_mul_f64 v[88:89], v[108:109], v[88:89]
	v_mul_f64 v[20:21], v[244:245], v[98:99]
	v_fma_f64 v[190:191], v[106:107], v[86:87], -v[88:89]
	s_waitcnt lgkmcnt(2)
	v_mul_f64 v[26:27], v[10:11], v[196:197]
	v_mul_f64 v[94:95], v[116:117], v[94:95]
	v_fmac_f64_e32 v[26:27], v[12:13], v[198:199]
	v_mul_f64 v[98:99], v[246:247], v[98:99]
	v_mul_f64 v[24:25], v[252:253], v[110:111]
	;; [unrolled: 1-line block ×3, first 2 shown]
	s_waitcnt lgkmcnt(1)
	v_mul_f64 v[28:29], v[6:7], v[200:201]
	v_mul_f64 v[110:111], v[254:255], v[110:111]
	v_fmac_f64_e32 v[18:19], v[116:117], v[96:97]
	v_add_f64 v[14:15], v[14:15], v[18:19]
	v_fmac_f64_e32 v[20:21], v[246:247], v[100:101]
	v_add_f64 v[14:15], v[14:15], v[20:21]
	;; [unrolled: 2-line block ×3, first 2 shown]
	v_add_f64 v[14:15], v[14:15], v[24:25]
	v_fmac_f64_e32 v[28:29], v[8:9], v[204:205]
	v_add_f64 v[14:15], v[14:15], v[26:27]
	v_add_f64 v[18:19], v[14:15], v[28:29]
	ds_read_b128 v[14:17], v1 offset:832
	s_waitcnt lgkmcnt(1)
	v_mul_f64 v[20:21], v[2:3], v[202:203]
	v_fmac_f64_e32 v[20:21], v[4:5], v[120:121]
	v_add_f64 v[22:23], v[18:19], v[20:21]
	ds_read_b128 v[18:21], v1 offset:848
	s_waitcnt lgkmcnt(1)
	v_mul_f64 v[24:25], v[14:15], v[126:127]
	v_fmac_f64_e32 v[24:25], v[16:17], v[128:129]
	;; [unrolled: 5-line block ×5, first 2 shown]
	v_add_f64 v[38:39], v[34:35], v[36:37]
	ds_read_b128 v[34:37], v1 offset:912
	s_waitcnt vmcnt(58) lgkmcnt(1)
	v_mul_f64 v[40:41], v[30:31], v[154:155]
	s_waitcnt vmcnt(56)
	v_fmac_f64_e32 v[40:41], v[32:33], v[158:159]
	v_add_f64 v[42:43], v[38:39], v[40:41]
	ds_read_b128 v[38:41], v1 offset:928
	s_waitcnt lgkmcnt(1)
	v_mul_f64 v[44:45], v[34:35], v[134:135]
	v_fmac_f64_e32 v[44:45], v[36:37], v[140:141]
	v_add_f64 v[46:47], v[42:43], v[44:45]
	ds_read_b128 v[42:45], v1 offset:944
	s_waitcnt vmcnt(50) lgkmcnt(1)
	v_mul_f64 v[48:49], v[38:39], v[162:163]
	s_waitcnt vmcnt(48)
	v_fmac_f64_e32 v[48:49], v[40:41], v[166:167]
	v_add_f64 v[50:51], v[46:47], v[48:49]
	ds_read_b128 v[46:49], v1 offset:960
	buffer_load_dword v183, off, s[0:3], 0 offset:556
	buffer_load_dword v182, off, s[0:3], 0 offset:552
	;; [unrolled: 1-line block ×8, first 2 shown]
	s_waitcnt lgkmcnt(1)
	v_mul_f64 v[52:53], v[42:43], v[142:143]
	v_fmac_f64_e32 v[52:53], v[44:45], v[144:145]
	v_add_f64 v[54:55], v[50:51], v[52:53]
	ds_read_b128 v[50:53], v1 offset:976
	s_waitcnt vmcnt(50) lgkmcnt(1)
	v_mul_f64 v[56:57], v[46:47], v[170:171]
	s_waitcnt vmcnt(48)
	v_fmac_f64_e32 v[56:57], v[48:49], v[174:175]
	buffer_load_dword v229, off, s[0:3], 0 offset:604
	buffer_load_dword v235, off, s[0:3], 0 offset:588
	;; [unrolled: 1-line block ×12, first 2 shown]
	v_add_f64 v[58:59], v[54:55], v[56:57]
	ds_read_b128 v[54:57], v1 offset:992
	s_waitcnt lgkmcnt(1)
	v_mul_f64 v[60:61], v[50:51], v[146:147]
	v_fmac_f64_e32 v[60:61], v[52:53], v[148:149]
	v_add_f64 v[62:63], v[58:59], v[60:61]
	ds_read_b128 v[58:61], v1 offset:1008
	s_waitcnt vmcnt(54) lgkmcnt(1)
	v_mul_f64 v[64:65], v[54:55], v[178:179]
	s_waitcnt vmcnt(52)
	v_fmac_f64_e32 v[64:65], v[56:57], v[206:207]
	v_add_f64 v[66:67], v[62:63], v[64:65]
	ds_read_b128 v[62:65], v1 offset:1024
	s_waitcnt lgkmcnt(1)
	v_mul_f64 v[68:69], v[58:59], v[150:151]
	v_fmac_f64_e32 v[68:69], v[60:61], v[152:153]
	v_add_f64 v[70:71], v[66:67], v[68:69]
	ds_read_b128 v[66:69], v1 offset:1040
	s_waitcnt vmcnt(46) lgkmcnt(1)
	v_mul_f64 v[72:73], v[62:63], v[210:211]
	s_waitcnt vmcnt(44)
	v_fmac_f64_e32 v[72:73], v[64:65], v[212:213]
	v_add_f64 v[78:79], v[70:71], v[72:73]
	ds_read_b128 v[70:73], v1 offset:1056
	ds_read_b128 v[74:77], v1 offset:1072
	s_waitcnt lgkmcnt(2)
	v_mul_f64 v[80:81], v[66:67], v[156:157]
	v_fmac_f64_e32 v[80:81], v[68:69], v[160:161]
	v_add_f64 v[78:79], v[78:79], v[80:81]
	s_waitcnt vmcnt(38) lgkmcnt(1)
	v_mul_f64 v[80:81], v[70:71], v[214:215]
	s_waitcnt vmcnt(36)
	v_fmac_f64_e32 v[80:81], v[72:73], v[216:217]
	v_add_f64 v[78:79], v[78:79], v[80:81]
	s_waitcnt lgkmcnt(0)
	v_mul_f64 v[80:81], v[74:75], v[164:165]
	v_fmac_f64_e32 v[80:81], v[76:77], v[168:169]
	v_add_f64 v[184:185], v[78:79], v[80:81]
	ds_read_b128 v[78:81], v1 offset:1088
	ds_read_b128 v[82:85], v1 offset:1104
	;; [unrolled: 1-line block ×3, first 2 shown]
	v_fma_f64 v[192:193], v[114:115], v[96:97], -v[94:95]
	ds_read_b128 v[94:97], v1 offset:1152
	s_waitcnt vmcnt(30) lgkmcnt(3)
	v_mul_f64 v[90:91], v[78:79], v[218:219]
	s_waitcnt vmcnt(28)
	v_fmac_f64_e32 v[90:91], v[80:81], v[220:221]
	s_waitcnt lgkmcnt(2)
	v_mul_f64 v[92:93], v[82:83], v[172:173]
	v_add_f64 v[90:91], v[184:185], v[90:91]
	v_fmac_f64_e32 v[92:93], v[84:85], v[176:177]
	v_add_f64 v[90:91], v[90:91], v[92:93]
	s_waitcnt vmcnt(22) lgkmcnt(1)
	v_mul_f64 v[92:93], v[86:87], v[222:223]
	s_waitcnt vmcnt(20)
	v_fmac_f64_e32 v[92:93], v[88:89], v[224:225]
	v_add_f64 v[106:107], v[90:91], v[92:93]
	ds_read_b128 v[90:93], v1 offset:1136
	v_fma_f64 v[194:195], v[244:245], v[100:101], -v[98:99]
	ds_read_b128 v[98:101], v1 offset:1168
	buffer_load_dword v184, off, s[0:3], 0 offset:632
	v_fma_f64 v[248:249], v[248:249], v[104:105], -v[102:103]
	s_waitcnt lgkmcnt(1)
	v_mul_f64 v[108:109], v[90:91], v[180:181]
	v_fmac_f64_e32 v[108:109], v[92:93], v[208:209]
	v_add_f64 v[106:107], v[106:107], v[108:109]
	ds_read_b128 v[102:105], v1 offset:1184
	v_fma_f64 v[186:187], v[252:253], v[112:113], -v[110:111]
	ds_read_b128 v[110:113], v1 offset:1216
	v_add_f64 v[188:189], v[188:189], 0
	v_add_f64 v[188:189], v[188:189], v[190:191]
	;; [unrolled: 1-line block ×5, first 2 shown]
	v_mul_f64 v[12:13], v[12:13], v[196:197]
	v_add_f64 v[186:187], v[252:253], v[186:187]
	v_fma_f64 v[10:11], v[10:11], v[198:199], -v[12:13]
	v_mul_f64 v[8:9], v[8:9], v[200:201]
	v_add_f64 v[10:11], v[186:187], v[10:11]
	v_fma_f64 v[6:7], v[6:7], v[204:205], -v[8:9]
	;; [unrolled: 3-line block ×3, first 2 shown]
	v_mul_f64 v[4:5], v[16:17], v[126:127]
	v_add_f64 v[2:3], v[6:7], v[2:3]
	s_waitcnt vmcnt(19)
	v_mul_f64 v[108:109], v[94:95], v[182:183]
	v_fma_f64 v[4:5], v[14:15], v[128:129], -v[4:5]
	s_waitcnt vmcnt(17)
	v_fmac_f64_e32 v[108:109], v[96:97], v[226:227]
	v_add_f64 v[106:107], v[106:107], v[108:109]
	s_waitcnt vmcnt(15) lgkmcnt(2)
	v_mul_f64 v[108:109], v[98:99], v[230:231]
	s_waitcnt vmcnt(13)
	v_fmac_f64_e32 v[108:109], v[100:101], v[232:233]
	v_add_f64 v[114:115], v[106:107], v[108:109]
	ds_read_b128 v[106:109], v1 offset:1200
	buffer_load_dword v246, off, s[0:3], 0 offset:624
	buffer_load_dword v185, off, s[0:3], 0 offset:636
	;; [unrolled: 1-line block ×3, first 2 shown]
	s_waitcnt vmcnt(13) lgkmcnt(2)
	v_mul_f64 v[116:117], v[102:103], v[234:235]
	s_waitcnt vmcnt(11)
	v_fmac_f64_e32 v[116:117], v[104:105], v[240:241]
	v_add_f64 v[114:115], v[114:115], v[116:117]
	s_waitcnt vmcnt(10) lgkmcnt(0)
	v_mul_f64 v[116:117], v[106:107], v[228:229]
	s_waitcnt vmcnt(8)
	v_fmac_f64_e32 v[116:117], v[108:109], v[238:239]
	v_add_f64 v[114:115], v[114:115], v[116:117]
	s_waitcnt vmcnt(6)
	v_mul_f64 v[116:117], v[110:111], v[236:237]
	s_waitcnt vmcnt(4)
	v_fmac_f64_e32 v[116:117], v[112:113], v[242:243]
	v_add_f64 v[244:245], v[114:115], v[116:117]
	ds_read_b128 v[114:117], v1 offset:1232
	v_add_f64 v[2:3], v[2:3], v[4:5]
	v_mul_f64 v[4:5], v[20:21], v[122:123]
	v_fma_f64 v[4:5], v[18:19], v[124:125], -v[4:5]
	v_add_f64 v[2:3], v[2:3], v[4:5]
	v_mul_f64 v[4:5], v[24:25], v[136:137]
	v_fma_f64 v[4:5], v[22:23], v[138:139], -v[4:5]
	v_add_f64 v[2:3], v[2:3], v[4:5]
	v_mul_f64 v[4:5], v[28:29], v[130:131]
	v_fma_f64 v[4:5], v[26:27], v[132:133], -v[4:5]
	v_add_f64 v[2:3], v[2:3], v[4:5]
	v_mul_f64 v[4:5], v[32:33], v[154:155]
	v_fma_f64 v[4:5], v[30:31], v[158:159], -v[4:5]
	v_add_f64 v[2:3], v[2:3], v[4:5]
	v_mul_f64 v[4:5], v[36:37], v[134:135]
	v_fma_f64 v[4:5], v[34:35], v[140:141], -v[4:5]
	v_add_f64 v[2:3], v[2:3], v[4:5]
	v_mul_f64 v[4:5], v[40:41], v[162:163]
	v_fma_f64 v[4:5], v[38:39], v[166:167], -v[4:5]
	v_add_f64 v[2:3], v[2:3], v[4:5]
	v_mul_f64 v[4:5], v[44:45], v[142:143]
	v_fma_f64 v[4:5], v[42:43], v[144:145], -v[4:5]
	v_add_f64 v[2:3], v[2:3], v[4:5]
	v_mul_f64 v[4:5], v[48:49], v[170:171]
	v_fma_f64 v[4:5], v[46:47], v[174:175], -v[4:5]
	v_add_f64 v[2:3], v[2:3], v[4:5]
	v_mul_f64 v[4:5], v[52:53], v[146:147]
	v_fma_f64 v[4:5], v[50:51], v[148:149], -v[4:5]
	v_add_f64 v[2:3], v[2:3], v[4:5]
	v_mul_f64 v[4:5], v[56:57], v[178:179]
	v_fma_f64 v[4:5], v[54:55], v[206:207], -v[4:5]
	v_add_f64 v[2:3], v[2:3], v[4:5]
	v_mul_f64 v[4:5], v[60:61], v[150:151]
	v_fma_f64 v[4:5], v[58:59], v[152:153], -v[4:5]
	v_add_f64 v[2:3], v[2:3], v[4:5]
	v_mul_f64 v[4:5], v[64:65], v[210:211]
	v_fma_f64 v[4:5], v[62:63], v[212:213], -v[4:5]
	v_add_f64 v[2:3], v[2:3], v[4:5]
	v_mul_f64 v[4:5], v[68:69], v[156:157]
	v_fma_f64 v[4:5], v[66:67], v[160:161], -v[4:5]
	v_add_f64 v[2:3], v[2:3], v[4:5]
	v_mul_f64 v[4:5], v[72:73], v[214:215]
	v_fma_f64 v[4:5], v[70:71], v[216:217], -v[4:5]
	v_add_f64 v[2:3], v[2:3], v[4:5]
	v_mul_f64 v[4:5], v[76:77], v[164:165]
	v_fma_f64 v[4:5], v[74:75], v[168:169], -v[4:5]
	v_add_f64 v[2:3], v[2:3], v[4:5]
	v_mul_f64 v[4:5], v[80:81], v[218:219]
	v_fma_f64 v[4:5], v[78:79], v[220:221], -v[4:5]
	v_add_f64 v[2:3], v[2:3], v[4:5]
	v_mul_f64 v[4:5], v[84:85], v[172:173]
	v_fma_f64 v[4:5], v[82:83], v[176:177], -v[4:5]
	v_add_f64 v[2:3], v[2:3], v[4:5]
	v_mul_f64 v[4:5], v[88:89], v[222:223]
	v_fma_f64 v[4:5], v[86:87], v[224:225], -v[4:5]
	v_add_f64 v[2:3], v[2:3], v[4:5]
	v_mul_f64 v[4:5], v[92:93], v[180:181]
	v_fma_f64 v[4:5], v[90:91], v[208:209], -v[4:5]
	v_add_f64 v[2:3], v[2:3], v[4:5]
	v_mul_f64 v[4:5], v[96:97], v[182:183]
	v_fma_f64 v[4:5], v[94:95], v[226:227], -v[4:5]
	v_add_f64 v[2:3], v[2:3], v[4:5]
	v_mul_f64 v[4:5], v[100:101], v[230:231]
	v_fma_f64 v[4:5], v[98:99], v[232:233], -v[4:5]
	v_add_f64 v[2:3], v[2:3], v[4:5]
	v_mul_f64 v[4:5], v[104:105], v[234:235]
	v_fma_f64 v[4:5], v[102:103], v[240:241], -v[4:5]
	v_add_f64 v[2:3], v[2:3], v[4:5]
	v_mul_f64 v[4:5], v[108:109], v[228:229]
	s_waitcnt vmcnt(1) lgkmcnt(0)
	v_mul_f64 v[250:251], v[114:115], v[184:185]
	s_waitcnt vmcnt(0)
	v_fmac_f64_e32 v[250:251], v[116:117], v[246:247]
	v_add_f64 v[244:245], v[244:245], v[250:251]
	buffer_load_dword v250, off, s[0:3], 0 offset:64
	buffer_load_dword v251, off, s[0:3], 0 offset:68
	;; [unrolled: 1-line block ×4, first 2 shown]
	v_fma_f64 v[4:5], v[106:107], v[238:239], -v[4:5]
	v_add_f64 v[2:3], v[2:3], v[4:5]
	v_mul_f64 v[4:5], v[112:113], v[236:237]
	v_fma_f64 v[4:5], v[110:111], v[242:243], -v[4:5]
	v_add_f64 v[2:3], v[2:3], v[4:5]
	v_mul_f64 v[4:5], v[116:117], v[184:185]
	v_fma_f64 v[4:5], v[114:115], v[246:247], -v[4:5]
	v_add_f64 v[2:3], v[2:3], v[4:5]
	s_waitcnt vmcnt(2)
	v_add_f64 v[2:3], v[250:251], -v[2:3]
	s_waitcnt vmcnt(0)
	v_add_f64 v[4:5], v[248:249], -v[244:245]
	buffer_store_dword v3, off, s[0:3], 0 offset:68
	buffer_store_dword v2, off, s[0:3], 0 offset:64
	;; [unrolled: 1-line block ×4, first 2 shown]
	s_and_saveexec_b64 s[4:5], vcc
	s_cbranch_execz .LBB38_243
; %bb.242:
	v_accvgpr_read_b32 v5, a114
	buffer_load_dword v2, v5, s[0:3], 0 offen
	buffer_load_dword v3, v5, s[0:3], 0 offen offset:4
	buffer_load_dword v4, v5, s[0:3], 0 offen offset:8
	s_nop 0
	buffer_load_dword v5, v5, s[0:3], 0 offen offset:12
	v_accvgpr_read_b32 v6, a116
	buffer_store_dword v1, off, s[0:3], 0 offset:48
	buffer_store_dword v1, off, s[0:3], 0 offset:52
	;; [unrolled: 1-line block ×4, first 2 shown]
	s_waitcnt vmcnt(4)
	ds_write_b128 v6, v[2:5]
.LBB38_243:
	s_or_b64 exec, exec, s[4:5]
	s_waitcnt lgkmcnt(0)
	; wave barrier
	s_waitcnt lgkmcnt(0)
	buffer_load_dword v84, off, s[0:3], 0 offset:64
	buffer_load_dword v85, off, s[0:3], 0 offset:68
	;; [unrolled: 1-line block ×34, first 2 shown]
	ds_read_b128 v[74:77], v1 offset:672
	ds_read_b128 v[78:81], v1 offset:688
	;; [unrolled: 1-line block ×8, first 2 shown]
	buffer_load_dword v125, off, s[0:3], 0 offset:180
	buffer_load_dword v124, off, s[0:3], 0 offset:176
	ds_read_b128 v[6:9], v1 offset:800
	buffer_load_dword v127, off, s[0:3], 0 offset:236
	buffer_load_dword v126, off, s[0:3], 0 offset:232
	;; [unrolled: 1-line block ×80, first 2 shown]
	v_cmp_lt_u32_e32 vcc, 1, v0
	s_waitcnt vmcnt(62) lgkmcnt(8)
	v_mul_f64 v[10:11], v[74:75], v[106:107]
	v_fmac_f64_e32 v[10:11], v[76:77], v[84:85]
	v_add_f64 v[10:11], v[10:11], 0
	v_mul_f64 v[76:77], v[76:77], v[106:107]
	s_waitcnt lgkmcnt(7)
	v_mul_f64 v[12:13], v[78:79], v[96:97]
	v_fmac_f64_e32 v[12:13], v[80:81], v[82:83]
	s_waitcnt lgkmcnt(6)
	v_mul_f64 v[14:15], v[86:87], v[94:95]
	v_add_f64 v[10:11], v[10:11], v[12:13]
	s_waitcnt lgkmcnt(4)
	v_mul_f64 v[18:19], v[98:99], v[108:109]
	v_fma_f64 v[190:191], v[74:75], v[84:85], -v[76:77]
	v_fmac_f64_e32 v[18:19], v[100:101], v[114:115]
	v_mul_f64 v[80:81], v[80:81], v[96:97]
	v_mul_f64 v[16:17], v[90:91], v[116:117]
	v_fma_f64 v[192:193], v[78:79], v[82:83], -v[80:81]
	s_waitcnt lgkmcnt(2)
	v_mul_f64 v[22:23], v[110:111], v[182:183]
	v_mul_f64 v[100:101], v[100:101], v[108:109]
	;; [unrolled: 1-line block ×3, first 2 shown]
	s_waitcnt lgkmcnt(1)
	v_mul_f64 v[24:25], v[2:3], v[196:197]
	v_fmac_f64_e32 v[14:15], v[88:89], v[250:251]
	v_add_f64 v[10:11], v[10:11], v[14:15]
	v_fmac_f64_e32 v[16:17], v[92:93], v[248:249]
	v_add_f64 v[10:11], v[10:11], v[16:17]
	v_fmac_f64_e32 v[20:21], v[104:105], v[246:247]
	v_add_f64 v[10:11], v[10:11], v[18:19]
	v_fmac_f64_e32 v[22:23], v[112:113], v[184:185]
	v_add_f64 v[10:11], v[10:11], v[20:21]
	v_add_f64 v[10:11], v[10:11], v[22:23]
	s_waitcnt lgkmcnt(0)
	v_mul_f64 v[16:17], v[6:7], v[120:121]
	v_fmac_f64_e32 v[16:17], v[8:9], v[122:123]
	v_fmac_f64_e32 v[24:25], v[4:5], v[124:125]
	v_add_f64 v[14:15], v[10:11], v[24:25]
	ds_read_b128 v[10:13], v1 offset:816
	v_add_f64 v[18:19], v[14:15], v[16:17]
	ds_read_b128 v[14:17], v1 offset:832
	v_mul_f64 v[88:89], v[88:89], v[94:95]
	v_mul_f64 v[92:93], v[92:93], v[116:117]
	s_waitcnt lgkmcnt(1)
	v_mul_f64 v[20:21], v[10:11], v[130:131]
	v_fmac_f64_e32 v[20:21], v[12:13], v[132:133]
	s_waitcnt lgkmcnt(0)
	v_mul_f64 v[24:25], v[14:15], v[126:127]
	v_add_f64 v[22:23], v[18:19], v[20:21]
	ds_read_b128 v[18:21], v1 offset:848
	v_fmac_f64_e32 v[24:25], v[16:17], v[128:129]
	v_add_f64 v[26:27], v[22:23], v[24:25]
	ds_read_b128 v[22:25], v1 offset:864
	v_fma_f64 v[194:195], v[90:91], v[248:249], -v[92:93]
	s_waitcnt lgkmcnt(1)
	v_mul_f64 v[28:29], v[18:19], v[142:143]
	v_fmac_f64_e32 v[28:29], v[20:21], v[144:145]
	v_add_f64 v[30:31], v[26:27], v[28:29]
	s_waitcnt lgkmcnt(0)
	v_mul_f64 v[32:33], v[22:23], v[134:135]
	ds_read_b128 v[26:29], v1 offset:880
	v_fmac_f64_e32 v[32:33], v[24:25], v[136:137]
	v_add_f64 v[34:35], v[30:31], v[32:33]
	ds_read_b128 v[30:33], v1 offset:896
	v_fma_f64 v[248:249], v[98:99], v[114:115], -v[100:101]
	s_waitcnt vmcnt(58) lgkmcnt(1)
	v_mul_f64 v[36:37], v[26:27], v[158:159]
	s_waitcnt vmcnt(56)
	v_fmac_f64_e32 v[36:37], v[28:29], v[162:163]
	v_add_f64 v[38:39], v[34:35], v[36:37]
	s_waitcnt lgkmcnt(0)
	v_mul_f64 v[40:41], v[30:31], v[138:139]
	ds_read_b128 v[34:37], v1 offset:912
	v_fmac_f64_e32 v[40:41], v[32:33], v[140:141]
	v_add_f64 v[42:43], v[38:39], v[40:41]
	ds_read_b128 v[38:41], v1 offset:928
	v_mul_f64 v[104:105], v[104:105], v[186:187]
	s_waitcnt vmcnt(50) lgkmcnt(1)
	v_mul_f64 v[44:45], v[34:35], v[166:167]
	s_waitcnt vmcnt(48)
	v_fmac_f64_e32 v[44:45], v[36:37], v[170:171]
	v_add_f64 v[46:47], v[42:43], v[44:45]
	s_waitcnt lgkmcnt(0)
	v_mul_f64 v[48:49], v[38:39], v[146:147]
	v_fmac_f64_e32 v[48:49], v[40:41], v[148:149]
	ds_read_b128 v[42:45], v1 offset:944
	v_add_f64 v[50:51], v[46:47], v[48:49]
	ds_read_b128 v[46:49], v1 offset:960
	buffer_load_dword v181, off, s[0:3], 0 offset:556
	buffer_load_dword v225, off, s[0:3], 0 offset:540
	;; [unrolled: 1-line block ×12, first 2 shown]
	v_mul_f64 v[112:113], v[112:113], v[182:183]
	s_waitcnt vmcnt(54) lgkmcnt(1)
	v_mul_f64 v[52:53], v[42:43], v[174:175]
	s_waitcnt vmcnt(52)
	v_fmac_f64_e32 v[52:53], v[44:45], v[178:179]
	v_add_f64 v[54:55], v[50:51], v[52:53]
	ds_read_b128 v[50:53], v1 offset:976
	s_waitcnt lgkmcnt(1)
	v_mul_f64 v[56:57], v[46:47], v[150:151]
	v_fmac_f64_e32 v[56:57], v[48:49], v[152:153]
	buffer_load_dword v237, off, s[0:3], 0 offset:588
	buffer_load_dword v236, off, s[0:3], 0 offset:584
	;; [unrolled: 1-line block ×12, first 2 shown]
	v_add_f64 v[58:59], v[54:55], v[56:57]
	ds_read_b128 v[54:57], v1 offset:992
	s_waitcnt vmcnt(58) lgkmcnt(1)
	v_mul_f64 v[60:61], v[50:51], v[200:201]
	s_waitcnt vmcnt(56)
	v_fmac_f64_e32 v[60:61], v[52:53], v[204:205]
	v_add_f64 v[62:63], v[58:59], v[60:61]
	ds_read_b128 v[58:61], v1 offset:1008
	s_waitcnt lgkmcnt(1)
	v_mul_f64 v[64:65], v[54:55], v[154:155]
	v_fmac_f64_e32 v[64:65], v[56:57], v[156:157]
	v_add_f64 v[70:71], v[62:63], v[64:65]
	ds_read_b128 v[62:65], v1 offset:1024
	ds_read_b128 v[66:69], v1 offset:1040
	s_waitcnt vmcnt(50) lgkmcnt(2)
	v_mul_f64 v[72:73], v[58:59], v[208:209]
	s_waitcnt vmcnt(48)
	v_fmac_f64_e32 v[72:73], v[60:61], v[210:211]
	v_add_f64 v[70:71], v[70:71], v[72:73]
	s_waitcnt lgkmcnt(1)
	v_mul_f64 v[72:73], v[62:63], v[160:161]
	v_fmac_f64_e32 v[72:73], v[64:65], v[164:165]
	v_add_f64 v[70:71], v[70:71], v[72:73]
	s_waitcnt vmcnt(42) lgkmcnt(0)
	v_mul_f64 v[72:73], v[66:67], v[212:213]
	s_waitcnt vmcnt(40)
	v_fmac_f64_e32 v[72:73], v[68:69], v[214:215]
	v_add_f64 v[188:189], v[70:71], v[72:73]
	ds_read_b128 v[70:73], v1 offset:1056
	ds_read_b128 v[74:77], v1 offset:1072
	;; [unrolled: 1-line block ×5, first 2 shown]
	s_waitcnt lgkmcnt(4)
	v_mul_f64 v[84:85], v[70:71], v[168:169]
	v_fmac_f64_e32 v[84:85], v[72:73], v[172:173]
	v_add_f64 v[82:83], v[188:189], v[84:85]
	s_waitcnt vmcnt(34) lgkmcnt(3)
	v_mul_f64 v[84:85], v[74:75], v[216:217]
	s_waitcnt vmcnt(32)
	v_fmac_f64_e32 v[84:85], v[76:77], v[218:219]
	v_add_f64 v[82:83], v[82:83], v[84:85]
	v_fma_f64 v[188:189], v[86:87], v[250:251], -v[88:89]
	ds_read_b128 v[86:89], v1 offset:1120
	s_waitcnt lgkmcnt(3)
	v_mul_f64 v[84:85], v[78:79], v[176:177]
	v_fmac_f64_e32 v[84:85], v[80:81], v[198:199]
	v_add_f64 v[96:97], v[82:83], v[84:85]
	ds_read_b128 v[82:85], v1 offset:1104
	v_fma_f64 v[252:253], v[102:103], v[246:247], -v[104:105]
	v_fma_f64 v[254:255], v[110:111], v[184:185], -v[112:113]
	ds_read_b128 v[110:113], v1 offset:1216
	v_mul_f64 v[4:5], v[4:5], v[196:197]
	s_waitcnt vmcnt(26) lgkmcnt(1)
	v_mul_f64 v[94:95], v[82:83], v[220:221]
	s_waitcnt vmcnt(24)
	v_fmac_f64_e32 v[94:95], v[84:85], v[222:223]
	v_add_f64 v[94:95], v[96:97], v[94:95]
	v_mul_f64 v[96:97], v[86:87], v[202:203]
	v_fmac_f64_e32 v[96:97], v[88:89], v[206:207]
	v_add_f64 v[106:107], v[94:95], v[96:97]
	ds_read_b128 v[94:97], v1 offset:1152
	v_fma_f64 v[2:3], v[2:3], v[124:125], -v[4:5]
	v_mul_f64 v[4:5], v[8:9], v[120:121]
	v_fma_f64 v[4:5], v[6:7], v[122:123], -v[4:5]
	ds_read_b128 v[102:105], v1 offset:1200
	s_waitcnt vmcnt(21)
	v_mul_f64 v[108:109], v[90:91], v[224:225]
	s_waitcnt vmcnt(19)
	v_fmac_f64_e32 v[108:109], v[92:93], v[230:231]
	v_add_f64 v[106:107], v[106:107], v[108:109]
	s_waitcnt vmcnt(18) lgkmcnt(1)
	v_mul_f64 v[108:109], v[94:95], v[180:181]
	s_waitcnt vmcnt(16)
	v_fmac_f64_e32 v[108:109], v[96:97], v[228:229]
	v_add_f64 v[114:115], v[106:107], v[108:109]
	ds_read_b128 v[106:109], v1 offset:1184
	buffer_load_dword v185, off, s[0:3], 0 offset:636
	buffer_load_dword v184, off, s[0:3], 0 offset:632
	;; [unrolled: 1-line block ×4, first 2 shown]
	s_waitcnt vmcnt(18)
	v_mul_f64 v[116:117], v[98:99], v[226:227]
	s_waitcnt vmcnt(16)
	v_fmac_f64_e32 v[116:117], v[100:101], v[232:233]
	v_add_f64 v[114:115], v[114:115], v[116:117]
	s_waitcnt vmcnt(14) lgkmcnt(0)
	v_mul_f64 v[116:117], v[106:107], v[236:237]
	s_waitcnt vmcnt(12)
	v_fmac_f64_e32 v[116:117], v[108:109], v[238:239]
	v_add_f64 v[114:115], v[114:115], v[116:117]
	s_waitcnt vmcnt(9)
	v_mul_f64 v[116:117], v[102:103], v[242:243]
	s_waitcnt vmcnt(7)
	v_fmac_f64_e32 v[116:117], v[104:105], v[244:245]
	v_add_f64 v[114:115], v[114:115], v[116:117]
	s_waitcnt vmcnt(5)
	v_mul_f64 v[116:117], v[110:111], v[234:235]
	s_waitcnt vmcnt(4)
	v_fmac_f64_e32 v[116:117], v[112:113], v[240:241]
	v_add_f64 v[182:183], v[114:115], v[116:117]
	ds_read_b128 v[114:117], v1 offset:1232
	s_waitcnt vmcnt(2) lgkmcnt(0)
	v_mul_f64 v[186:187], v[114:115], v[184:185]
	s_waitcnt vmcnt(0)
	v_fmac_f64_e32 v[186:187], v[116:117], v[246:247]
	v_add_f64 v[182:183], v[182:183], v[186:187]
	v_add_f64 v[186:187], v[190:191], 0
	v_add_f64 v[186:187], v[186:187], v[192:193]
	v_add_f64 v[186:187], v[186:187], v[188:189]
	v_add_f64 v[186:187], v[186:187], v[194:195]
	v_add_f64 v[186:187], v[186:187], v[248:249]
	buffer_load_dword v250, off, s[0:3], 0 offset:48
	buffer_load_dword v251, off, s[0:3], 0 offset:52
	;; [unrolled: 1-line block ×4, first 2 shown]
	v_add_f64 v[186:187], v[186:187], v[252:253]
	v_add_f64 v[186:187], v[186:187], v[254:255]
	;; [unrolled: 1-line block ×4, first 2 shown]
	v_mul_f64 v[4:5], v[12:13], v[130:131]
	v_fma_f64 v[4:5], v[10:11], v[132:133], -v[4:5]
	v_add_f64 v[2:3], v[2:3], v[4:5]
	v_mul_f64 v[4:5], v[16:17], v[126:127]
	v_fma_f64 v[4:5], v[14:15], v[128:129], -v[4:5]
	v_add_f64 v[2:3], v[2:3], v[4:5]
	;; [unrolled: 3-line block ×27, first 2 shown]
	s_waitcnt vmcnt(2)
	v_add_f64 v[2:3], v[250:251], -v[2:3]
	s_waitcnt vmcnt(0)
	v_add_f64 v[4:5], v[248:249], -v[182:183]
	buffer_store_dword v3, off, s[0:3], 0 offset:52
	buffer_store_dword v2, off, s[0:3], 0 offset:48
	;; [unrolled: 1-line block ×4, first 2 shown]
	s_and_saveexec_b64 s[4:5], vcc
	s_cbranch_execz .LBB38_245
; %bb.244:
	v_accvgpr_read_b32 v1, a115
	buffer_load_dword v2, v1, s[0:3], 0 offen
	buffer_load_dword v3, v1, s[0:3], 0 offen offset:4
	buffer_load_dword v4, v1, s[0:3], 0 offen offset:8
	;; [unrolled: 1-line block ×3, first 2 shown]
	v_mov_b32_e32 v1, 0
	v_accvgpr_read_b32 v6, a116
	buffer_store_dword v1, off, s[0:3], 0 offset:32
	buffer_store_dword v1, off, s[0:3], 0 offset:36
	;; [unrolled: 1-line block ×4, first 2 shown]
	s_waitcnt vmcnt(4)
	ds_write_b128 v6, v[2:5]
.LBB38_245:
	s_or_b64 exec, exec, s[4:5]
	s_waitcnt lgkmcnt(0)
	; wave barrier
	s_waitcnt lgkmcnt(0)
	buffer_load_dword v66, off, s[0:3], 0 offset:48
	buffer_load_dword v67, off, s[0:3], 0 offset:52
	;; [unrolled: 1-line block ×55, first 2 shown]
	v_mov_b32_e32 v186, 0
	ds_read_b128 v[74:77], v186 offset:656
	ds_read_b128 v[86:89], v186 offset:672
	;; [unrolled: 1-line block ×9, first 2 shown]
	buffer_load_dword v214, off, s[0:3], 0 offset:272
	buffer_load_dword v135, off, s[0:3], 0 offset:268
	buffer_load_dword v134, off, s[0:3], 0 offset:264
	buffer_load_dword v139, off, s[0:3], 0 offset:260
	buffer_load_dword v138, off, s[0:3], 0 offset:256
	buffer_load_dword v123, off, s[0:3], 0 offset:316
	buffer_load_dword v122, off, s[0:3], 0 offset:312
	buffer_load_dword v125, off, s[0:3], 0 offset:308
	buffer_load_dword v124, off, s[0:3], 0 offset:304
	buffer_load_dword v143, off, s[0:3], 0 offset:300
	buffer_load_dword v142, off, s[0:3], 0 offset:296
	buffer_load_dword v219, off, s[0:3], 0 offset:292
	buffer_load_dword v218, off, s[0:3], 0 offset:288
	buffer_load_dword v127, off, s[0:3], 0 offset:348
	buffer_load_dword v126, off, s[0:3], 0 offset:344
	buffer_load_dword v129, off, s[0:3], 0 offset:340
	buffer_load_dword v128, off, s[0:3], 0 offset:336
	buffer_load_dword v223, off, s[0:3], 0 offset:332
	buffer_load_dword v222, off, s[0:3], 0 offset:328
	buffer_load_dword v227, off, s[0:3], 0 offset:324
	buffer_load_dword v226, off, s[0:3], 0 offset:320
	buffer_load_dword v131, off, s[0:3], 0 offset:380
	buffer_load_dword v130, off, s[0:3], 0 offset:376
	buffer_load_dword v133, off, s[0:3], 0 offset:372
	buffer_load_dword v132, off, s[0:3], 0 offset:368
	buffer_load_dword v231, off, s[0:3], 0 offset:364
	buffer_load_dword v230, off, s[0:3], 0 offset:360
	buffer_load_dword v235, off, s[0:3], 0 offset:356
	buffer_load_dword v234, off, s[0:3], 0 offset:352
	buffer_load_dword v137, off, s[0:3], 0 offset:412
	buffer_load_dword v136, off, s[0:3], 0 offset:408
	buffer_load_dword v141, off, s[0:3], 0 offset:404
	buffer_load_dword v140, off, s[0:3], 0 offset:400
	buffer_load_dword v239, off, s[0:3], 0 offset:396
	buffer_load_dword v238, off, s[0:3], 0 offset:392
	buffer_load_dword v241, off, s[0:3], 0 offset:388
	buffer_load_dword v240, off, s[0:3], 0 offset:384
	buffer_load_dword v145, off, s[0:3], 0 offset:444
	buffer_load_dword v144, off, s[0:3], 0 offset:440
	buffer_load_dword v221, off, s[0:3], 0 offset:436
	buffer_load_dword v220, off, s[0:3], 0 offset:432
	buffer_load_dword v243, off, s[0:3], 0 offset:428
	buffer_load_dword v242, off, s[0:3], 0 offset:424
	buffer_load_dword v245, off, s[0:3], 0 offset:420
	buffer_load_dword v244, off, s[0:3], 0 offset:416
	buffer_load_dword v225, off, s[0:3], 0 offset:476
	buffer_load_dword v224, off, s[0:3], 0 offset:472
	buffer_load_dword v229, off, s[0:3], 0 offset:468
	buffer_load_dword v228, off, s[0:3], 0 offset:464
	buffer_load_dword v247, off, s[0:3], 0 offset:460
	buffer_load_dword v246, off, s[0:3], 0 offset:456
	buffer_load_dword v249, off, s[0:3], 0 offset:452
	buffer_load_dword v248, off, s[0:3], 0 offset:448
	buffer_load_dword v233, off, s[0:3], 0 offset:508
	buffer_load_dword v232, off, s[0:3], 0 offset:504
	buffer_load_dword v237, off, s[0:3], 0 offset:500
	buffer_load_dword v236, off, s[0:3], 0 offset:496
	buffer_load_dword v251, off, s[0:3], 0 offset:492
	buffer_load_dword v250, off, s[0:3], 0 offset:488
	buffer_load_dword v253, off, s[0:3], 0 offset:484
	buffer_load_dword v252, off, s[0:3], 0 offset:480
	v_cmp_ne_u32_e32 vcc, 0, v0
	s_waitcnt vmcnt(62) lgkmcnt(8)
	v_mul_f64 v[6:7], v[74:75], v[68:69]
	v_fmac_f64_e32 v[6:7], v[76:77], v[66:67]
	v_add_f64 v[6:7], v[6:7], 0
	v_mul_f64 v[68:69], v[76:77], v[68:69]
	s_waitcnt lgkmcnt(7)
	v_mul_f64 v[8:9], v[86:87], v[72:73]
	v_fmac_f64_e32 v[8:9], v[88:89], v[70:71]
	s_waitcnt lgkmcnt(6)
	v_mul_f64 v[10:11], v[98:99], v[78:79]
	v_add_f64 v[6:7], v[6:7], v[8:9]
	s_waitcnt lgkmcnt(4)
	v_mul_f64 v[14:15], v[114:115], v[90:91]
	v_fma_f64 v[188:189], v[74:75], v[66:67], -v[68:69]
	v_fmac_f64_e32 v[14:15], v[116:117], v[92:93]
	v_mul_f64 v[72:73], v[88:89], v[72:73]
	v_mul_f64 v[12:13], v[110:111], v[82:83]
	;; [unrolled: 1-line block ×3, first 2 shown]
	s_waitcnt lgkmcnt(2)
	v_mul_f64 v[18:19], v[176:177], v[102:103]
	v_mul_f64 v[82:83], v[112:113], v[82:83]
	;; [unrolled: 1-line block ×4, first 2 shown]
	v_fma_f64 v[194:195], v[114:115], v[92:93], -v[90:91]
	s_waitcnt lgkmcnt(1)
	v_mul_f64 v[20:21], v[180:181], v[106:107]
	v_fmac_f64_e32 v[20:21], v[182:183], v[108:109]
	v_fmac_f64_e32 v[10:11], v[100:101], v[80:81]
	v_add_f64 v[6:7], v[6:7], v[10:11]
	v_fmac_f64_e32 v[12:13], v[112:113], v[84:85]
	v_add_f64 v[6:7], v[6:7], v[12:13]
	;; [unrolled: 2-line block ×4, first 2 shown]
	v_add_f64 v[6:7], v[6:7], v[18:19]
	v_add_f64 v[10:11], v[6:7], v[20:21]
	ds_read_b128 v[6:9], v186 offset:800
	s_waitcnt lgkmcnt(1)
	v_mul_f64 v[12:13], v[2:3], v[196:197]
	v_fmac_f64_e32 v[12:13], v[4:5], v[198:199]
	v_add_f64 v[14:15], v[10:11], v[12:13]
	ds_read_b128 v[10:13], v186 offset:816
	s_waitcnt lgkmcnt(1)
	v_mul_f64 v[16:17], v[6:7], v[204:205]
	v_fmac_f64_e32 v[16:17], v[8:9], v[206:207]
	;; [unrolled: 5-line block ×5, first 2 shown]
	v_add_f64 v[30:31], v[26:27], v[28:29]
	ds_read_b128 v[26:29], v186 offset:880
	s_waitcnt vmcnt(58) lgkmcnt(1)
	v_mul_f64 v[32:33], v[22:23], v[134:135]
	s_waitcnt vmcnt(56)
	v_fmac_f64_e32 v[32:33], v[24:25], v[138:139]
	v_add_f64 v[34:35], v[30:31], v[32:33]
	ds_read_b128 v[30:33], v186 offset:896
	s_waitcnt lgkmcnt(1)
	v_mul_f64 v[36:37], v[26:27], v[212:213]
	v_fmac_f64_e32 v[36:37], v[28:29], v[214:215]
	v_add_f64 v[38:39], v[34:35], v[36:37]
	ds_read_b128 v[34:37], v186 offset:912
	s_waitcnt vmcnt(50) lgkmcnt(1)
	v_mul_f64 v[40:41], v[30:31], v[142:143]
	s_waitcnt vmcnt(48)
	v_fmac_f64_e32 v[40:41], v[32:33], v[218:219]
	v_add_f64 v[42:43], v[38:39], v[40:41]
	ds_read_b128 v[38:41], v186 offset:928
	s_waitcnt lgkmcnt(1)
	v_mul_f64 v[44:45], v[34:35], v[122:123]
	v_fmac_f64_e32 v[44:45], v[36:37], v[124:125]
	v_add_f64 v[46:47], v[42:43], v[44:45]
	ds_read_b128 v[42:45], v186 offset:944
	s_waitcnt vmcnt(42) lgkmcnt(1)
	v_mul_f64 v[48:49], v[38:39], v[222:223]
	s_waitcnt vmcnt(40)
	v_fmac_f64_e32 v[48:49], v[40:41], v[226:227]
	v_add_f64 v[50:51], v[46:47], v[48:49]
	ds_read_b128 v[46:49], v186 offset:960
	buffer_load_dword v147, off, s[0:3], 0 offset:524
	buffer_load_dword v146, off, s[0:3], 0 offset:520
	;; [unrolled: 1-line block ×4, first 2 shown]
	s_waitcnt lgkmcnt(1)
	v_mul_f64 v[52:53], v[42:43], v[126:127]
	v_fmac_f64_e32 v[52:53], v[44:45], v[128:129]
	v_add_f64 v[54:55], v[50:51], v[52:53]
	ds_read_b128 v[50:53], v186 offset:976
	buffer_load_dword v151, off, s[0:3], 0 offset:540
	buffer_load_dword v150, off, s[0:3], 0 offset:536
	;; [unrolled: 1-line block ×8, first 2 shown]
	s_waitcnt vmcnt(46) lgkmcnt(1)
	v_mul_f64 v[56:57], v[46:47], v[230:231]
	s_waitcnt vmcnt(44)
	v_fmac_f64_e32 v[56:57], v[48:49], v[234:235]
	v_add_f64 v[58:59], v[54:55], v[56:57]
	ds_read_b128 v[54:57], v186 offset:992
	buffer_load_dword v161, off, s[0:3], 0 offset:572
	buffer_load_dword v160, off, s[0:3], 0 offset:568
	;; [unrolled: 1-line block ×12, first 2 shown]
	s_waitcnt lgkmcnt(1)
	v_mul_f64 v[60:61], v[50:51], v[130:131]
	v_fmac_f64_e32 v[60:61], v[52:53], v[132:133]
	v_add_f64 v[62:63], v[58:59], v[60:61]
	ds_read_b128 v[58:61], v186 offset:1008
	s_waitcnt vmcnt(50) lgkmcnt(1)
	v_mul_f64 v[64:65], v[54:55], v[238:239]
	s_waitcnt vmcnt(48)
	v_fmac_f64_e32 v[64:65], v[56:57], v[240:241]
	v_add_f64 v[62:63], v[62:63], v[64:65]
	buffer_load_dword v255, off, s[0:3], 0 offset:620
	buffer_load_dword v254, off, s[0:3], 0 offset:616
	;; [unrolled: 1-line block ×4, first 2 shown]
	s_waitcnt lgkmcnt(0)
	v_mul_f64 v[64:65], v[58:59], v[136:137]
	v_fmac_f64_e32 v[64:65], v[60:61], v[140:141]
	v_add_f64 v[184:185], v[62:63], v[64:65]
	ds_read_b128 v[62:65], v186 offset:1024
	ds_read_b128 v[66:69], v186 offset:1040
	v_fma_f64 v[190:191], v[98:99], v[80:81], -v[78:79]
	ds_read_b128 v[78:81], v186 offset:1088
	v_fma_f64 v[192:193], v[110:111], v[84:85], -v[82:83]
	ds_read_b128 v[82:85], v186 offset:1104
	s_waitcnt vmcnt(46) lgkmcnt(3)
	v_mul_f64 v[74:75], v[62:63], v[242:243]
	s_waitcnt vmcnt(44)
	v_fmac_f64_e32 v[74:75], v[64:65], v[244:245]
	v_add_f64 v[74:75], v[184:185], v[74:75]
	v_fma_f64 v[184:185], v[86:87], v[70:71], -v[72:73]
	ds_read_b128 v[70:73], v186 offset:1056
	s_waitcnt lgkmcnt(3)
	v_mul_f64 v[76:77], v[66:67], v[144:145]
	v_fmac_f64_e32 v[76:77], v[68:69], v[220:221]
	v_add_f64 v[86:87], v[74:75], v[76:77]
	ds_read_b128 v[74:77], v186 offset:1072
	s_waitcnt vmcnt(38) lgkmcnt(1)
	v_mul_f64 v[88:89], v[70:71], v[246:247]
	s_waitcnt vmcnt(36)
	v_fmac_f64_e32 v[88:89], v[72:73], v[248:249]
	v_add_f64 v[86:87], v[86:87], v[88:89]
	ds_read_b128 v[90:93], v186 offset:1136
	s_waitcnt lgkmcnt(1)
	v_mul_f64 v[88:89], v[74:75], v[224:225]
	v_fmac_f64_e32 v[88:89], v[76:77], v[228:229]
	v_add_f64 v[86:87], v[86:87], v[88:89]
	s_waitcnt vmcnt(30)
	v_mul_f64 v[88:89], v[78:79], v[250:251]
	s_waitcnt vmcnt(28)
	v_fmac_f64_e32 v[88:89], v[80:81], v[252:253]
	v_add_f64 v[86:87], v[86:87], v[88:89]
	v_mul_f64 v[88:89], v[82:83], v[232:233]
	v_fmac_f64_e32 v[88:89], v[84:85], v[236:237]
	v_add_f64 v[98:99], v[86:87], v[88:89]
	ds_read_b128 v[86:89], v186 offset:1120
	v_mul_f64 v[94:95], v[174:175], v[94:95]
	v_fma_f64 v[118:119], v[172:173], v[96:97], -v[94:95]
	ds_read_b128 v[94:97], v186 offset:1152
	v_mul_f64 v[102:103], v[178:179], v[102:103]
	v_fma_f64 v[178:179], v[176:177], v[104:105], -v[102:103]
	;; [unrolled: 3-line block ×3, first 2 shown]
	v_mul_f64 v[4:5], v[4:5], v[196:197]
	v_fma_f64 v[2:3], v[2:3], v[198:199], -v[4:5]
	v_mul_f64 v[4:5], v[8:9], v[204:205]
	v_fma_f64 v[4:5], v[6:7], v[206:207], -v[4:5]
	ds_read_b128 v[106:109], v186 offset:1200
	s_waitcnt vmcnt(26) lgkmcnt(3)
	v_mul_f64 v[100:101], v[86:87], v[146:147]
	s_waitcnt vmcnt(24)
	v_fmac_f64_e32 v[100:101], v[88:89], v[148:149]
	v_add_f64 v[98:99], v[98:99], v[100:101]
	s_waitcnt vmcnt(22)
	v_mul_f64 v[100:101], v[90:91], v[150:151]
	s_waitcnt vmcnt(20)
	v_fmac_f64_e32 v[100:101], v[92:93], v[154:155]
	v_add_f64 v[98:99], v[98:99], v[100:101]
	s_waitcnt vmcnt(18) lgkmcnt(2)
	v_mul_f64 v[100:101], v[94:95], v[152:153]
	s_waitcnt vmcnt(16)
	v_fmac_f64_e32 v[100:101], v[96:97], v[156:157]
	v_add_f64 v[110:111], v[98:99], v[100:101]
	ds_read_b128 v[98:101], v186 offset:1168
	s_waitcnt vmcnt(14) lgkmcnt(0)
	v_mul_f64 v[112:113], v[98:99], v[160:161]
	s_waitcnt vmcnt(12)
	v_fmac_f64_e32 v[112:113], v[100:101], v[162:163]
	v_add_f64 v[110:111], v[110:111], v[112:113]
	s_waitcnt vmcnt(9)
	v_mul_f64 v[112:113], v[102:103], v[166:167]
	s_waitcnt vmcnt(7)
	v_fmac_f64_e32 v[112:113], v[104:105], v[168:169]
	v_add_f64 v[110:111], v[110:111], v[112:113]
	s_waitcnt vmcnt(5)
	v_mul_f64 v[112:113], v[106:107], v[158:159]
	s_waitcnt vmcnt(4)
	v_fmac_f64_e32 v[112:113], v[108:109], v[164:165]
	v_add_f64 v[114:115], v[110:111], v[112:113]
	ds_read_b128 v[110:113], v186 offset:1216
	buffer_load_dword v174, off, s[0:3], 0 offset:632
	buffer_load_dword v175, off, s[0:3], 0 offset:636
	;; [unrolled: 1-line block ×4, first 2 shown]
	s_waitcnt vmcnt(6) lgkmcnt(0)
	v_mul_f64 v[116:117], v[110:111], v[254:255]
	s_waitcnt vmcnt(4)
	v_fmac_f64_e32 v[116:117], v[112:113], v[170:171]
	v_add_f64 v[172:173], v[114:115], v[116:117]
	ds_read_b128 v[114:117], v186 offset:1232
	s_waitcnt vmcnt(2) lgkmcnt(0)
	v_mul_f64 v[180:181], v[114:115], v[174:175]
	s_waitcnt vmcnt(0)
	v_fmac_f64_e32 v[180:181], v[116:117], v[176:177]
	v_add_f64 v[172:173], v[172:173], v[180:181]
	v_add_f64 v[180:181], v[188:189], 0
	;; [unrolled: 1-line block ×7, first 2 shown]
	buffer_load_dword v180, off, s[0:3], 0 offset:32
	buffer_load_dword v181, off, s[0:3], 0 offset:36
	v_add_f64 v[184:185], v[118:119], v[178:179]
	buffer_load_dword v178, off, s[0:3], 0 offset:40
	buffer_load_dword v179, off, s[0:3], 0 offset:44
	v_add_f64 v[118:119], v[184:185], v[182:183]
	v_add_f64 v[2:3], v[118:119], v[2:3]
	;; [unrolled: 1-line block ×3, first 2 shown]
	v_mul_f64 v[4:5], v[12:13], v[200:201]
	v_fma_f64 v[4:5], v[10:11], v[202:203], -v[4:5]
	v_add_f64 v[2:3], v[2:3], v[4:5]
	v_mul_f64 v[4:5], v[16:17], v[216:217]
	v_fma_f64 v[4:5], v[14:15], v[120:121], -v[4:5]
	v_add_f64 v[2:3], v[2:3], v[4:5]
	v_mul_f64 v[4:5], v[20:21], v[208:209]
	v_fma_f64 v[4:5], v[18:19], v[210:211], -v[4:5]
	v_add_f64 v[2:3], v[2:3], v[4:5]
	v_mul_f64 v[4:5], v[24:25], v[134:135]
	v_fma_f64 v[4:5], v[22:23], v[138:139], -v[4:5]
	v_add_f64 v[2:3], v[2:3], v[4:5]
	v_mul_f64 v[4:5], v[28:29], v[212:213]
	v_fma_f64 v[4:5], v[26:27], v[214:215], -v[4:5]
	v_add_f64 v[2:3], v[2:3], v[4:5]
	v_mul_f64 v[4:5], v[32:33], v[142:143]
	v_fma_f64 v[4:5], v[30:31], v[218:219], -v[4:5]
	v_add_f64 v[2:3], v[2:3], v[4:5]
	v_mul_f64 v[4:5], v[36:37], v[122:123]
	v_fma_f64 v[4:5], v[34:35], v[124:125], -v[4:5]
	v_add_f64 v[2:3], v[2:3], v[4:5]
	v_mul_f64 v[4:5], v[40:41], v[222:223]
	v_fma_f64 v[4:5], v[38:39], v[226:227], -v[4:5]
	v_add_f64 v[2:3], v[2:3], v[4:5]
	v_mul_f64 v[4:5], v[44:45], v[126:127]
	v_fma_f64 v[4:5], v[42:43], v[128:129], -v[4:5]
	v_add_f64 v[2:3], v[2:3], v[4:5]
	v_mul_f64 v[4:5], v[48:49], v[230:231]
	v_fma_f64 v[4:5], v[46:47], v[234:235], -v[4:5]
	v_add_f64 v[2:3], v[2:3], v[4:5]
	v_mul_f64 v[4:5], v[52:53], v[130:131]
	v_fma_f64 v[4:5], v[50:51], v[132:133], -v[4:5]
	v_add_f64 v[2:3], v[2:3], v[4:5]
	v_mul_f64 v[4:5], v[56:57], v[238:239]
	v_fma_f64 v[4:5], v[54:55], v[240:241], -v[4:5]
	v_add_f64 v[2:3], v[2:3], v[4:5]
	v_mul_f64 v[4:5], v[60:61], v[136:137]
	v_fma_f64 v[4:5], v[58:59], v[140:141], -v[4:5]
	v_add_f64 v[2:3], v[2:3], v[4:5]
	v_mul_f64 v[4:5], v[64:65], v[242:243]
	v_fma_f64 v[4:5], v[62:63], v[244:245], -v[4:5]
	v_add_f64 v[2:3], v[2:3], v[4:5]
	v_mul_f64 v[4:5], v[68:69], v[144:145]
	v_fma_f64 v[4:5], v[66:67], v[220:221], -v[4:5]
	v_add_f64 v[2:3], v[2:3], v[4:5]
	v_mul_f64 v[4:5], v[72:73], v[246:247]
	v_fma_f64 v[4:5], v[70:71], v[248:249], -v[4:5]
	v_add_f64 v[2:3], v[2:3], v[4:5]
	v_mul_f64 v[4:5], v[76:77], v[224:225]
	v_fma_f64 v[4:5], v[74:75], v[228:229], -v[4:5]
	v_add_f64 v[2:3], v[2:3], v[4:5]
	v_mul_f64 v[4:5], v[80:81], v[250:251]
	v_fma_f64 v[4:5], v[78:79], v[252:253], -v[4:5]
	v_add_f64 v[2:3], v[2:3], v[4:5]
	v_mul_f64 v[4:5], v[84:85], v[232:233]
	v_fma_f64 v[4:5], v[82:83], v[236:237], -v[4:5]
	v_add_f64 v[2:3], v[2:3], v[4:5]
	v_mul_f64 v[4:5], v[88:89], v[146:147]
	v_fma_f64 v[4:5], v[86:87], v[148:149], -v[4:5]
	v_add_f64 v[2:3], v[2:3], v[4:5]
	v_mul_f64 v[4:5], v[92:93], v[150:151]
	v_fma_f64 v[4:5], v[90:91], v[154:155], -v[4:5]
	v_add_f64 v[2:3], v[2:3], v[4:5]
	v_mul_f64 v[4:5], v[96:97], v[152:153]
	v_fma_f64 v[4:5], v[94:95], v[156:157], -v[4:5]
	v_add_f64 v[2:3], v[2:3], v[4:5]
	v_mul_f64 v[4:5], v[100:101], v[160:161]
	v_fma_f64 v[4:5], v[98:99], v[162:163], -v[4:5]
	v_add_f64 v[2:3], v[2:3], v[4:5]
	v_mul_f64 v[4:5], v[104:105], v[166:167]
	v_fma_f64 v[4:5], v[102:103], v[168:169], -v[4:5]
	v_add_f64 v[2:3], v[2:3], v[4:5]
	v_mul_f64 v[4:5], v[108:109], v[158:159]
	v_fma_f64 v[4:5], v[106:107], v[164:165], -v[4:5]
	v_add_f64 v[2:3], v[2:3], v[4:5]
	v_mul_f64 v[4:5], v[112:113], v[254:255]
	v_fma_f64 v[4:5], v[110:111], v[170:171], -v[4:5]
	v_add_f64 v[2:3], v[2:3], v[4:5]
	v_mul_f64 v[4:5], v[116:117], v[174:175]
	v_fma_f64 v[4:5], v[114:115], v[176:177], -v[4:5]
	v_add_f64 v[2:3], v[2:3], v[4:5]
	s_waitcnt vmcnt(2)
	v_add_f64 v[2:3], v[180:181], -v[2:3]
	s_waitcnt vmcnt(0)
	v_add_f64 v[4:5], v[178:179], -v[172:173]
	buffer_store_dword v3, off, s[0:3], 0 offset:36
	buffer_store_dword v2, off, s[0:3], 0 offset:32
	;; [unrolled: 1-line block ×4, first 2 shown]
	s_and_saveexec_b64 s[4:5], vcc
	s_cbranch_execz .LBB38_247
; %bb.246:
	buffer_load_dword v0, off, s[0:3], 0 offset:16
	buffer_load_dword v1, off, s[0:3], 0 offset:20
	;; [unrolled: 1-line block ×4, first 2 shown]
	v_accvgpr_read_b32 v4, a116
	buffer_store_dword v186, off, s[0:3], 0 offset:16
	buffer_store_dword v186, off, s[0:3], 0 offset:20
	;; [unrolled: 1-line block ×4, first 2 shown]
	s_waitcnt vmcnt(4)
	ds_write_b128 v4, v[0:3]
.LBB38_247:
	s_or_b64 exec, exec, s[4:5]
	s_waitcnt lgkmcnt(0)
	; wave barrier
	s_waitcnt lgkmcnt(0)
	buffer_load_dword v60, off, s[0:3], 0 offset:32
	buffer_load_dword v61, off, s[0:3], 0 offset:36
	;; [unrolled: 1-line block ×42, first 2 shown]
	ds_read_b128 v[72:75], v186 offset:640
	ds_read_b128 v[84:87], v186 offset:656
	;; [unrolled: 1-line block ×10, first 2 shown]
	buffer_load_dword v205, off, s[0:3], 0 offset:180
	buffer_load_dword v204, off, s[0:3], 0 offset:176
	ds_read_b128 v[4:7], v186 offset:800
	buffer_load_dword v201, off, s[0:3], 0 offset:236
	buffer_load_dword v200, off, s[0:3], 0 offset:232
	;; [unrolled: 1-line block ×80, first 2 shown]
	s_and_b64 vcc, exec, s[20:21]
	s_waitcnt vmcnt(62) lgkmcnt(10)
	v_mul_f64 v[8:9], v[72:73], v[62:63]
	v_fmac_f64_e32 v[8:9], v[74:75], v[60:61]
	v_add_f64 v[8:9], v[8:9], 0
	v_mul_f64 v[62:63], v[74:75], v[62:63]
	s_waitcnt lgkmcnt(9)
	v_mul_f64 v[10:11], v[84:85], v[66:67]
	v_fmac_f64_e32 v[10:11], v[86:87], v[64:65]
	s_waitcnt lgkmcnt(8)
	v_mul_f64 v[12:13], v[96:97], v[68:69]
	v_add_f64 v[8:9], v[8:9], v[10:11]
	s_waitcnt lgkmcnt(6)
	v_mul_f64 v[16:17], v[112:113], v[80:81]
	v_fma_f64 v[190:191], v[72:73], v[60:61], -v[62:63]
	v_fmac_f64_e32 v[16:17], v[114:115], v[82:83]
	v_mul_f64 v[66:67], v[86:87], v[66:67]
	v_mul_f64 v[14:15], v[108:109], v[76:77]
	;; [unrolled: 1-line block ×3, first 2 shown]
	s_waitcnt lgkmcnt(4)
	v_mul_f64 v[20:21], v[174:175], v[92:93]
	v_mul_f64 v[76:77], v[110:111], v[76:77]
	v_fmac_f64_e32 v[20:21], v[176:177], v[94:95]
	v_mul_f64 v[80:81], v[114:115], v[80:81]
	v_mul_f64 v[18:19], v[170:171], v[88:89]
	v_fma_f64 v[194:195], v[112:113], v[82:83], -v[80:81]
	s_waitcnt lgkmcnt(2)
	v_mul_f64 v[24:25], v[182:183], v[104:105]
	v_mul_f64 v[88:89], v[172:173], v[88:89]
	;; [unrolled: 1-line block ×4, first 2 shown]
	v_fma_f64 v[176:177], v[174:175], v[94:95], -v[92:93]
	s_waitcnt lgkmcnt(1)
	v_mul_f64 v[26:27], v[0:1], v[116:117]
	v_mul_f64 v[100:101], v[180:181], v[100:101]
	v_fmac_f64_e32 v[12:13], v[98:99], v[70:71]
	v_add_f64 v[8:9], v[8:9], v[12:13]
	v_fmac_f64_e32 v[14:15], v[110:111], v[78:79]
	v_add_f64 v[8:9], v[8:9], v[14:15]
	;; [unrolled: 2-line block ×3, first 2 shown]
	v_add_f64 v[8:9], v[8:9], v[18:19]
	v_fmac_f64_e32 v[22:23], v[180:181], v[102:103]
	v_add_f64 v[8:9], v[8:9], v[20:21]
	v_fmac_f64_e32 v[24:25], v[184:185], v[106:107]
	v_add_f64 v[8:9], v[8:9], v[22:23]
	v_add_f64 v[8:9], v[8:9], v[24:25]
	s_waitcnt lgkmcnt(0)
	v_mul_f64 v[14:15], v[4:5], v[196:197]
	v_fmac_f64_e32 v[26:27], v[2:3], v[204:205]
	v_add_f64 v[12:13], v[8:9], v[26:27]
	ds_read_b128 v[8:11], v186 offset:816
	v_fmac_f64_e32 v[14:15], v[6:7], v[198:199]
	v_add_f64 v[16:17], v[12:13], v[14:15]
	ds_read_b128 v[12:15], v186 offset:832
	v_fma_f64 v[192:193], v[108:109], v[78:79], -v[76:77]
	s_waitcnt lgkmcnt(1)
	v_mul_f64 v[18:19], v[8:9], v[206:207]
	v_fmac_f64_e32 v[18:19], v[10:11], v[222:223]
	v_add_f64 v[20:21], v[16:17], v[18:19]
	ds_read_b128 v[16:19], v186 offset:848
	s_waitcnt lgkmcnt(1)
	v_mul_f64 v[22:23], v[12:13], v[200:201]
	v_fmac_f64_e32 v[22:23], v[14:15], v[202:203]
	v_add_f64 v[24:25], v[20:21], v[22:23]
	ds_read_b128 v[20:23], v186 offset:864
	;; [unrolled: 5-line block ×4, first 2 shown]
	s_waitcnt vmcnt(58) lgkmcnt(1)
	v_mul_f64 v[34:35], v[24:25], v[234:235]
	s_waitcnt vmcnt(56)
	v_fmac_f64_e32 v[34:35], v[26:27], v[238:239]
	v_add_f64 v[36:37], v[32:33], v[34:35]
	ds_read_b128 v[32:35], v186 offset:912
	s_waitcnt lgkmcnt(1)
	v_mul_f64 v[38:39], v[28:29], v[212:213]
	v_fmac_f64_e32 v[38:39], v[30:31], v[214:215]
	v_add_f64 v[40:41], v[36:37], v[38:39]
	ds_read_b128 v[36:39], v186 offset:928
	s_waitcnt vmcnt(50) lgkmcnt(1)
	v_mul_f64 v[42:43], v[32:33], v[242:243]
	s_waitcnt vmcnt(48)
	v_fmac_f64_e32 v[42:43], v[34:35], v[246:247]
	v_add_f64 v[44:45], v[40:41], v[42:43]
	ds_read_b128 v[40:43], v186 offset:944
	s_waitcnt lgkmcnt(1)
	v_mul_f64 v[46:47], v[36:37], v[216:217]
	v_fmac_f64_e32 v[46:47], v[38:39], v[218:219]
	v_add_f64 v[48:49], v[44:45], v[46:47]
	ds_read_b128 v[44:47], v186 offset:960
	s_waitcnt vmcnt(42) lgkmcnt(1)
	v_mul_f64 v[50:51], v[40:41], v[250:251]
	s_waitcnt vmcnt(40)
	v_fmac_f64_e32 v[50:51], v[42:43], v[254:255]
	v_add_f64 v[52:53], v[48:49], v[50:51]
	ds_read_b128 v[48:51], v186 offset:976
	buffer_load_dword v146, off, s[0:3], 0 offset:552
	buffer_load_dword v151, off, s[0:3], 0 offset:540
	;; [unrolled: 1-line block ×8, first 2 shown]
	s_waitcnt lgkmcnt(1)
	v_mul_f64 v[54:55], v[44:45], v[220:221]
	v_fmac_f64_e32 v[54:55], v[46:47], v[224:225]
	v_add_f64 v[56:57], v[52:53], v[54:55]
	ds_read_b128 v[52:55], v186 offset:992
	buffer_load_dword v155, off, s[0:3], 0 offset:572
	buffer_load_dword v154, off, s[0:3], 0 offset:568
	;; [unrolled: 1-line block ×4, first 2 shown]
	s_waitcnt vmcnt(46) lgkmcnt(1)
	v_mul_f64 v[58:59], v[48:49], v[122:123]
	s_waitcnt vmcnt(44)
	v_fmac_f64_e32 v[58:59], v[50:51], v[126:127]
	v_add_f64 v[118:119], v[56:57], v[58:59]
	ds_read_b128 v[56:59], v186 offset:1008
	buffer_load_dword v159, off, s[0:3], 0 offset:588
	buffer_load_dword v158, off, s[0:3], 0 offset:584
	;; [unrolled: 1-line block ×8, first 2 shown]
	s_waitcnt lgkmcnt(1)
	v_mul_f64 v[188:189], v[52:53], v[228:229]
	v_fmac_f64_e32 v[188:189], v[54:55], v[232:233]
	v_add_f64 v[60:61], v[118:119], v[188:189]
	s_waitcnt vmcnt(46) lgkmcnt(0)
	v_mul_f64 v[62:63], v[56:57], v[130:131]
	s_waitcnt vmcnt(44)
	v_fmac_f64_e32 v[62:63], v[58:59], v[132:133]
	buffer_load_dword v166, off, s[0:3], 0 offset:616
	buffer_load_dword v168, off, s[0:3], 0 offset:608
	;; [unrolled: 1-line block ×4, first 2 shown]
	v_add_f64 v[72:73], v[60:61], v[62:63]
	ds_read_b128 v[60:63], v186 offset:1024
	v_fma_f64 v[118:119], v[84:85], v[64:65], -v[66:67]
	ds_read_b128 v[64:67], v186 offset:1040
	v_fma_f64 v[188:189], v[96:97], v[70:71], -v[68:69]
	ds_read_b128 v[68:71], v186 offset:1056
	ds_read_b128 v[76:79], v186 offset:1088
	s_waitcnt lgkmcnt(3)
	v_mul_f64 v[74:75], v[60:61], v[236:237]
	v_fmac_f64_e32 v[74:75], v[62:63], v[240:241]
	v_add_f64 v[72:73], v[72:73], v[74:75]
	s_waitcnt vmcnt(42) lgkmcnt(2)
	v_mul_f64 v[74:75], v[64:65], v[134:135]
	s_waitcnt vmcnt(40)
	v_fmac_f64_e32 v[74:75], v[66:67], v[136:137]
	v_add_f64 v[72:73], v[72:73], v[74:75]
	s_waitcnt lgkmcnt(1)
	v_mul_f64 v[74:75], v[68:69], v[244:245]
	v_fmac_f64_e32 v[74:75], v[70:71], v[248:249]
	v_add_f64 v[84:85], v[72:73], v[74:75]
	ds_read_b128 v[72:75], v186 offset:1072
	ds_read_b128 v[80:83], v186 offset:1104
	v_fma_f64 v[170:171], v[170:171], v[90:91], -v[88:89]
	ds_read_b128 v[88:91], v186 offset:1136
	ds_read_b128 v[92:95], v186 offset:1152
	s_waitcnt vmcnt(34) lgkmcnt(3)
	v_mul_f64 v[86:87], v[72:73], v[138:139]
	s_waitcnt vmcnt(32)
	v_fmac_f64_e32 v[86:87], v[74:75], v[140:141]
	v_add_f64 v[84:85], v[84:85], v[86:87]
	v_mul_f64 v[86:87], v[76:77], v[252:253]
	v_fmac_f64_e32 v[86:87], v[78:79], v[120:121]
	v_add_f64 v[84:85], v[84:85], v[86:87]
	s_waitcnt vmcnt(26) lgkmcnt(2)
	v_mul_f64 v[86:87], v[80:81], v[142:143]
	s_waitcnt vmcnt(24)
	v_fmac_f64_e32 v[86:87], v[82:83], v[144:145]
	v_add_f64 v[96:97], v[84:85], v[86:87]
	ds_read_b128 v[84:87], v186 offset:1120
	v_fma_f64 v[180:181], v[178:179], v[102:103], -v[100:101]
	ds_read_b128 v[100:103], v186 offset:1184
	v_mul_f64 v[104:105], v[184:185], v[104:105]
	v_fma_f64 v[182:183], v[182:183], v[106:107], -v[104:105]
	s_waitcnt lgkmcnt(1)
	v_mul_f64 v[98:99], v[84:85], v[124:125]
	v_fmac_f64_e32 v[98:99], v[86:87], v[128:129]
	v_add_f64 v[96:97], v[96:97], v[98:99]
	v_mul_f64 v[2:3], v[2:3], v[116:117]
	v_fma_f64 v[0:1], v[0:1], v[204:205], -v[2:3]
	v_mul_f64 v[2:3], v[6:7], v[196:197]
	v_fma_f64 v[2:3], v[4:5], v[198:199], -v[2:3]
	ds_read_b128 v[104:107], v186 offset:1200
	s_waitcnt vmcnt(21)
	v_mul_f64 v[98:99], v[88:89], v[150:151]
	s_waitcnt vmcnt(19)
	v_fmac_f64_e32 v[98:99], v[90:91], v[152:153]
	v_add_f64 v[96:97], v[96:97], v[98:99]
	s_waitcnt vmcnt(17)
	v_mul_f64 v[98:99], v[92:93], v[146:147]
	s_waitcnt vmcnt(16)
	v_fmac_f64_e32 v[98:99], v[94:95], v[148:149]
	v_add_f64 v[108:109], v[96:97], v[98:99]
	ds_read_b128 v[96:99], v186 offset:1168
	s_waitcnt vmcnt(14) lgkmcnt(0)
	v_mul_f64 v[110:111], v[96:97], v[154:155]
	s_waitcnt vmcnt(12)
	v_fmac_f64_e32 v[110:111], v[98:99], v[156:157]
	v_add_f64 v[108:109], v[108:109], v[110:111]
	s_waitcnt vmcnt(10)
	v_mul_f64 v[110:111], v[100:101], v[158:159]
	s_waitcnt vmcnt(8)
	v_fmac_f64_e32 v[110:111], v[102:103], v[162:163]
	v_add_f64 v[108:109], v[108:109], v[110:111]
	s_waitcnt vmcnt(6)
	v_mul_f64 v[110:111], v[104:105], v[160:161]
	s_waitcnt vmcnt(4)
	v_fmac_f64_e32 v[110:111], v[106:107], v[164:165]
	v_add_f64 v[112:113], v[108:109], v[110:111]
	ds_read_b128 v[108:111], v186 offset:1216
	buffer_load_dword v173, off, s[0:3], 0 offset:636
	buffer_load_dword v172, off, s[0:3], 0 offset:632
	;; [unrolled: 1-line block ×4, first 2 shown]
	s_waitcnt vmcnt(5) lgkmcnt(0)
	v_mul_f64 v[114:115], v[108:109], v[166:167]
	s_waitcnt vmcnt(4)
	v_fmac_f64_e32 v[114:115], v[110:111], v[168:169]
	v_add_f64 v[178:179], v[112:113], v[114:115]
	ds_read_b128 v[112:115], v186 offset:1232
	s_waitcnt vmcnt(2) lgkmcnt(0)
	v_mul_f64 v[184:185], v[112:113], v[172:173]
	s_waitcnt vmcnt(0)
	v_fmac_f64_e32 v[184:185], v[114:115], v[174:175]
	v_add_f64 v[186:187], v[178:179], v[184:185]
	v_add_f64 v[178:179], v[190:191], 0
	;; [unrolled: 1-line block ×7, first 2 shown]
	buffer_load_dword v178, off, s[0:3], 0 offset:16
	buffer_load_dword v179, off, s[0:3], 0 offset:20
	v_add_f64 v[184:185], v[118:119], v[176:177]
	buffer_load_dword v176, off, s[0:3], 0 offset:24
	buffer_load_dword v177, off, s[0:3], 0 offset:28
	v_add_f64 v[118:119], v[184:185], v[180:181]
	v_add_f64 v[118:119], v[118:119], v[182:183]
	;; [unrolled: 1-line block ×4, first 2 shown]
	v_mul_f64 v[2:3], v[10:11], v[206:207]
	v_fma_f64 v[2:3], v[8:9], v[222:223], -v[2:3]
	v_add_f64 v[0:1], v[0:1], v[2:3]
	v_mul_f64 v[2:3], v[14:15], v[200:201]
	v_fma_f64 v[2:3], v[12:13], v[202:203], -v[2:3]
	v_add_f64 v[0:1], v[0:1], v[2:3]
	;; [unrolled: 3-line block ×27, first 2 shown]
	s_waitcnt vmcnt(2)
	v_add_f64 v[0:1], v[178:179], -v[0:1]
	s_waitcnt vmcnt(0)
	v_add_f64 v[2:3], v[176:177], -v[186:187]
	buffer_store_dword v1, off, s[0:3], 0 offset:20
	buffer_store_dword v0, off, s[0:3], 0 offset:16
	;; [unrolled: 1-line block ×4, first 2 shown]
	s_cbranch_vccz .LBB38_325
; %bb.248:
	v_pk_mov_b32 v[0:1], s[10:11], s[10:11] op_sel:[0,1]
	flat_load_dword v0, v[0:1] offset:148
	s_waitcnt vmcnt(0) lgkmcnt(0)
	v_add_u32_e32 v0, -1, v0
	v_cmp_ne_u32_e32 vcc, 37, v0
	s_and_saveexec_b64 s[4:5], vcc
	s_cbranch_execz .LBB38_250
; %bb.249:
	v_mov_b32_e32 v1, 16
	v_accvgpr_read_b32 v9, a79
	v_lshl_add_u32 v0, v0, 4, v1
	buffer_load_dword v1, v9, s[0:3], 0 offen offset:4
	buffer_load_dword v2, v9, s[0:3], 0 offen offset:8
	buffer_load_dword v3, v9, s[0:3], 0 offen offset:12
	buffer_load_dword v4, v0, s[0:3], 0 offen
	buffer_load_dword v5, v0, s[0:3], 0 offen offset:4
	buffer_load_dword v6, v0, s[0:3], 0 offen offset:8
	buffer_load_dword v7, v0, s[0:3], 0 offen offset:12
	buffer_load_dword v8, v9, s[0:3], 0 offen
	s_waitcnt vmcnt(4)
	buffer_store_dword v4, v9, s[0:3], 0 offen
	s_waitcnt vmcnt(4)
	buffer_store_dword v5, v9, s[0:3], 0 offen offset:4
	s_waitcnt vmcnt(4)
	buffer_store_dword v6, v9, s[0:3], 0 offen offset:8
	s_waitcnt vmcnt(4)
	buffer_store_dword v7, v9, s[0:3], 0 offen offset:12
	buffer_store_dword v3, v0, s[0:3], 0 offen offset:12
	buffer_store_dword v2, v0, s[0:3], 0 offen offset:8
	buffer_store_dword v1, v0, s[0:3], 0 offen offset:4
	s_waitcnt vmcnt(7)
	buffer_store_dword v8, v0, s[0:3], 0 offen
.LBB38_250:
	s_or_b64 exec, exec, s[4:5]
	v_pk_mov_b32 v[0:1], s[10:11], s[10:11] op_sel:[0,1]
	flat_load_dword v0, v[0:1] offset:144
	s_waitcnt vmcnt(0) lgkmcnt(0)
	v_add_u32_e32 v0, -1, v0
	v_cmp_ne_u32_e32 vcc, 36, v0
	s_and_saveexec_b64 s[4:5], vcc
	s_cbranch_execz .LBB38_252
; %bb.251:
	v_mov_b32_e32 v1, 16
	v_accvgpr_read_b32 v9, a80
	v_lshl_add_u32 v0, v0, 4, v1
	buffer_load_dword v1, v9, s[0:3], 0 offen offset:4
	buffer_load_dword v2, v9, s[0:3], 0 offen offset:8
	buffer_load_dword v3, v9, s[0:3], 0 offen offset:12
	buffer_load_dword v4, v0, s[0:3], 0 offen
	buffer_load_dword v5, v0, s[0:3], 0 offen offset:4
	buffer_load_dword v6, v0, s[0:3], 0 offen offset:8
	buffer_load_dword v7, v0, s[0:3], 0 offen offset:12
	buffer_load_dword v8, v9, s[0:3], 0 offen
	s_waitcnt vmcnt(4)
	buffer_store_dword v4, v9, s[0:3], 0 offen
	s_waitcnt vmcnt(4)
	buffer_store_dword v5, v9, s[0:3], 0 offen offset:4
	s_waitcnt vmcnt(4)
	buffer_store_dword v6, v9, s[0:3], 0 offen offset:8
	s_waitcnt vmcnt(4)
	buffer_store_dword v7, v9, s[0:3], 0 offen offset:12
	buffer_store_dword v3, v0, s[0:3], 0 offen offset:12
	buffer_store_dword v2, v0, s[0:3], 0 offen offset:8
	buffer_store_dword v1, v0, s[0:3], 0 offen offset:4
	s_waitcnt vmcnt(7)
	buffer_store_dword v8, v0, s[0:3], 0 offen
.LBB38_252:
	s_or_b64 exec, exec, s[4:5]
	;; [unrolled: 34-line block ×37, first 2 shown]
	v_pk_mov_b32 v[0:1], s[10:11], s[10:11] op_sel:[0,1]
	flat_load_dword v0, v[0:1]
	s_waitcnt vmcnt(0) lgkmcnt(0)
	v_add_u32_e32 v0, -1, v0
	v_cmp_ne_u32_e32 vcc, 0, v0
	s_and_saveexec_b64 s[4:5], vcc
	s_cbranch_execz .LBB38_324
; %bb.323:
	v_mov_b32_e32 v1, 16
	v_lshl_add_u32 v0, v0, 4, v1
	buffer_load_dword v1, v0, s[0:3], 0 offen
	buffer_load_dword v2, v0, s[0:3], 0 offen offset:4
	buffer_load_dword v3, v0, s[0:3], 0 offen offset:8
	;; [unrolled: 1-line block ×3, first 2 shown]
	buffer_load_dword v5, off, s[0:3], 0 offset:28
	buffer_load_dword v6, off, s[0:3], 0 offset:24
	buffer_load_dword v7, off, s[0:3], 0 offset:20
	buffer_load_dword v8, off, s[0:3], 0 offset:16
	s_waitcnt vmcnt(7)
	buffer_store_dword v1, off, s[0:3], 0 offset:16
	s_waitcnt vmcnt(7)
	buffer_store_dword v2, off, s[0:3], 0 offset:20
	;; [unrolled: 2-line block ×4, first 2 shown]
	s_waitcnt vmcnt(7)
	buffer_store_dword v5, v0, s[0:3], 0 offen offset:12
	s_waitcnt vmcnt(7)
	buffer_store_dword v6, v0, s[0:3], 0 offen offset:8
	;; [unrolled: 2-line block ×3, first 2 shown]
	s_waitcnt vmcnt(7)
	buffer_store_dword v8, v0, s[0:3], 0 offen
.LBB38_324:
	s_or_b64 exec, exec, s[4:5]
.LBB38_325:
	buffer_load_dword v0, off, s[0:3], 0 offset:16
	buffer_load_dword v1, off, s[0:3], 0 offset:20
	;; [unrolled: 1-line block ×4, first 2 shown]
	v_accvgpr_read_b32 v13, a115
	buffer_load_dword v4, v13, s[0:3], 0 offen
	buffer_load_dword v5, v13, s[0:3], 0 offen offset:4
	buffer_load_dword v6, v13, s[0:3], 0 offen offset:8
	;; [unrolled: 1-line block ×3, first 2 shown]
	v_accvgpr_read_b32 v8, a114
	buffer_load_dword v9, v8, s[0:3], 0 offen offset:4
	buffer_load_dword v10, v8, s[0:3], 0 offen offset:8
	;; [unrolled: 1-line block ×3, first 2 shown]
	v_accvgpr_read_b32 v15, a113
	buffer_load_dword v12, v15, s[0:3], 0 offen
                                        ; kill: killed $vgpr13
	buffer_load_dword v13, v15, s[0:3], 0 offen offset:4
	buffer_load_dword v14, v15, s[0:3], 0 offen offset:8
	s_nop 0
	buffer_load_dword v8, v8, s[0:3], 0 offen
	s_nop 0
	buffer_load_dword v15, v15, s[0:3], 0 offen offset:12
	v_accvgpr_read_b32 v16, a112
	buffer_load_dword v17, v16, s[0:3], 0 offen offset:4
	buffer_load_dword v18, v16, s[0:3], 0 offen offset:8
	buffer_load_dword v19, v16, s[0:3], 0 offen offset:12
	v_accvgpr_read_b32 v23, a111
	buffer_load_dword v20, v23, s[0:3], 0 offen
	buffer_load_dword v21, v23, s[0:3], 0 offen offset:4
	buffer_load_dword v22, v23, s[0:3], 0 offen offset:8
	s_nop 0
	buffer_load_dword v16, v16, s[0:3], 0 offen
	s_nop 0
	buffer_load_dword v23, v23, s[0:3], 0 offen offset:12
	v_accvgpr_read_b32 v24, a110
	buffer_load_dword v25, v24, s[0:3], 0 offen offset:4
	buffer_load_dword v26, v24, s[0:3], 0 offen offset:8
	buffer_load_dword v27, v24, s[0:3], 0 offen offset:12
	v_accvgpr_read_b32 v31, a109
	buffer_load_dword v28, v31, s[0:3], 0 offen
	;; [unrolled: 12-line block ×14, first 2 shown]
	buffer_load_dword v129, v116, s[0:3], 0 offen offset:4
	buffer_load_dword v130, v116, s[0:3], 0 offen offset:8
	buffer_load_dword v124, v117, s[0:3], 0 offen
	buffer_load_dword v131, v116, s[0:3], 0 offen offset:12
	v_accvgpr_read_b32 v117, a84
	buffer_load_dword v133, v117, s[0:3], 0 offen offset:4
	buffer_load_dword v134, v117, s[0:3], 0 offen offset:8
	buffer_load_dword v135, v117, s[0:3], 0 offen offset:12
	v_accvgpr_read_b32 v116, a83
	buffer_load_dword v136, v116, s[0:3], 0 offen
	buffer_load_dword v137, v116, s[0:3], 0 offen offset:4
	buffer_load_dword v138, v116, s[0:3], 0 offen offset:8
	buffer_load_dword v132, v117, s[0:3], 0 offen
	buffer_load_dword v139, v116, s[0:3], 0 offen offset:12
	v_accvgpr_read_b32 v117, a82
	buffer_load_dword v141, v117, s[0:3], 0 offen offset:4
	buffer_load_dword v142, v117, s[0:3], 0 offen offset:8
	buffer_load_dword v143, v117, s[0:3], 0 offen offset:12
	v_accvgpr_read_b32 v116, a81
	buffer_load_dword v144, v116, s[0:3], 0 offen
	;; [unrolled: 10-line block ×3, first 2 shown]
	buffer_load_dword v153, v116, s[0:3], 0 offen offset:4
	buffer_load_dword v154, v116, s[0:3], 0 offen offset:8
	buffer_load_dword v148, v117, s[0:3], 0 offen
	buffer_load_dword v155, v116, s[0:3], 0 offen offset:12
	v_accvgpr_read_b32 v116, a78
	buffer_load_dword v156, v116, s[0:3], 0 offen
	buffer_load_dword v157, v116, s[0:3], 0 offen offset:4
	buffer_load_dword v158, v116, s[0:3], 0 offen offset:8
	;; [unrolled: 1-line block ×3, first 2 shown]
	v_accvgpr_read_b32 v117, a1
	v_accvgpr_read_b32 v116, a0
	s_waitcnt vmcnt(62)
	global_store_dwordx4 v[116:117], v[0:3], off
	s_nop 0
	v_accvgpr_read_b32 v0, a2
	v_accvgpr_read_b32 v1, a3
	global_store_dwordx4 v[0:1], v[4:7], off
	v_accvgpr_read_b32 v0, a4
	v_accvgpr_read_b32 v1, a5
	global_store_dwordx4 v[0:1], v[8:11], off
	;; [unrolled: 3-line block ×21, first 2 shown]
	v_accvgpr_read_b32 v0, a44
	v_accvgpr_read_b32 v1, a45
	s_waitcnt vmcnt(62)
	global_store_dwordx4 v[0:1], v[88:91], off
	v_accvgpr_read_b32 v0, a46
	v_accvgpr_read_b32 v1, a47
	global_store_dwordx4 v[0:1], v[92:95], off
	v_accvgpr_read_b32 v0, a48
	v_accvgpr_read_b32 v1, a49
	;; [unrolled: 3-line block ×6, first 2 shown]
	s_waitcnt vmcnt(62)
	global_store_dwordx4 v[0:1], v[112:115], off
	v_accvgpr_read_b32 v0, a58
	v_accvgpr_read_b32 v1, a59
	global_store_dwordx4 v[0:1], v[120:123], off
	v_accvgpr_read_b32 v0, a60
	v_accvgpr_read_b32 v1, a61
	s_waitcnt vmcnt(59)
	global_store_dwordx4 v[0:1], v[124:127], off
	v_accvgpr_read_b32 v0, a62
	v_accvgpr_read_b32 v1, a63
	s_waitcnt vmcnt(59)
	;; [unrolled: 4-line block ×9, first 2 shown]
	global_store_dwordx4 v[0:1], v[156:159], off
	s_endpgm
	.section	.rodata,"a",@progbits
	.p2align	6, 0x0
	.amdhsa_kernel _ZN9rocsolver6v33100L18getri_kernel_smallILi39E19rocblas_complex_numIdEPS3_EEvT1_iilPiilS6_bb
		.amdhsa_group_segment_fixed_size 1256
		.amdhsa_private_segment_fixed_size 656
		.amdhsa_kernarg_size 60
		.amdhsa_user_sgpr_count 8
		.amdhsa_user_sgpr_private_segment_buffer 1
		.amdhsa_user_sgpr_dispatch_ptr 0
		.amdhsa_user_sgpr_queue_ptr 0
		.amdhsa_user_sgpr_kernarg_segment_ptr 1
		.amdhsa_user_sgpr_dispatch_id 0
		.amdhsa_user_sgpr_flat_scratch_init 1
		.amdhsa_user_sgpr_kernarg_preload_length 0
		.amdhsa_user_sgpr_kernarg_preload_offset 0
		.amdhsa_user_sgpr_private_segment_size 0
		.amdhsa_uses_dynamic_stack 0
		.amdhsa_system_sgpr_private_segment_wavefront_offset 1
		.amdhsa_system_sgpr_workgroup_id_x 1
		.amdhsa_system_sgpr_workgroup_id_y 0
		.amdhsa_system_sgpr_workgroup_id_z 0
		.amdhsa_system_sgpr_workgroup_info 0
		.amdhsa_system_vgpr_workitem_id 0
		.amdhsa_next_free_vgpr 373
		.amdhsa_next_free_sgpr 23
		.amdhsa_accum_offset 256
		.amdhsa_reserve_vcc 1
		.amdhsa_reserve_flat_scratch 1
		.amdhsa_float_round_mode_32 0
		.amdhsa_float_round_mode_16_64 0
		.amdhsa_float_denorm_mode_32 3
		.amdhsa_float_denorm_mode_16_64 3
		.amdhsa_dx10_clamp 1
		.amdhsa_ieee_mode 1
		.amdhsa_fp16_overflow 0
		.amdhsa_tg_split 0
		.amdhsa_exception_fp_ieee_invalid_op 0
		.amdhsa_exception_fp_denorm_src 0
		.amdhsa_exception_fp_ieee_div_zero 0
		.amdhsa_exception_fp_ieee_overflow 0
		.amdhsa_exception_fp_ieee_underflow 0
		.amdhsa_exception_fp_ieee_inexact 0
		.amdhsa_exception_int_div_zero 0
	.end_amdhsa_kernel
	.section	.text._ZN9rocsolver6v33100L18getri_kernel_smallILi39E19rocblas_complex_numIdEPS3_EEvT1_iilPiilS6_bb,"axG",@progbits,_ZN9rocsolver6v33100L18getri_kernel_smallILi39E19rocblas_complex_numIdEPS3_EEvT1_iilPiilS6_bb,comdat
.Lfunc_end38:
	.size	_ZN9rocsolver6v33100L18getri_kernel_smallILi39E19rocblas_complex_numIdEPS3_EEvT1_iilPiilS6_bb, .Lfunc_end38-_ZN9rocsolver6v33100L18getri_kernel_smallILi39E19rocblas_complex_numIdEPS3_EEvT1_iilPiilS6_bb
                                        ; -- End function
	.section	.AMDGPU.csdata,"",@progbits
; Kernel info:
; codeLenInByte = 102164
; NumSgprs: 29
; NumVgprs: 256
; NumAgprs: 117
; TotalNumVgprs: 373
; ScratchSize: 656
; MemoryBound: 0
; FloatMode: 240
; IeeeMode: 1
; LDSByteSize: 1256 bytes/workgroup (compile time only)
; SGPRBlocks: 3
; VGPRBlocks: 46
; NumSGPRsForWavesPerEU: 29
; NumVGPRsForWavesPerEU: 373
; AccumOffset: 256
; Occupancy: 1
; WaveLimiterHint : 1
; COMPUTE_PGM_RSRC2:SCRATCH_EN: 1
; COMPUTE_PGM_RSRC2:USER_SGPR: 8
; COMPUTE_PGM_RSRC2:TRAP_HANDLER: 0
; COMPUTE_PGM_RSRC2:TGID_X_EN: 1
; COMPUTE_PGM_RSRC2:TGID_Y_EN: 0
; COMPUTE_PGM_RSRC2:TGID_Z_EN: 0
; COMPUTE_PGM_RSRC2:TIDIG_COMP_CNT: 0
; COMPUTE_PGM_RSRC3_GFX90A:ACCUM_OFFSET: 63
; COMPUTE_PGM_RSRC3_GFX90A:TG_SPLIT: 0
	.section	.text._ZN9rocsolver6v33100L18getri_kernel_smallILi40E19rocblas_complex_numIdEPS3_EEvT1_iilPiilS6_bb,"axG",@progbits,_ZN9rocsolver6v33100L18getri_kernel_smallILi40E19rocblas_complex_numIdEPS3_EEvT1_iilPiilS6_bb,comdat
	.globl	_ZN9rocsolver6v33100L18getri_kernel_smallILi40E19rocblas_complex_numIdEPS3_EEvT1_iilPiilS6_bb ; -- Begin function _ZN9rocsolver6v33100L18getri_kernel_smallILi40E19rocblas_complex_numIdEPS3_EEvT1_iilPiilS6_bb
	.p2align	8
	.type	_ZN9rocsolver6v33100L18getri_kernel_smallILi40E19rocblas_complex_numIdEPS3_EEvT1_iilPiilS6_bb,@function
_ZN9rocsolver6v33100L18getri_kernel_smallILi40E19rocblas_complex_numIdEPS3_EEvT1_iilPiilS6_bb: ; @_ZN9rocsolver6v33100L18getri_kernel_smallILi40E19rocblas_complex_numIdEPS3_EEvT1_iilPiilS6_bb
; %bb.0:
	s_add_u32 flat_scratch_lo, s6, s9
	s_addc_u32 flat_scratch_hi, s7, 0
	s_add_u32 s0, s0, s9
	s_addc_u32 s1, s1, 0
	v_cmp_gt_u32_e32 vcc, 40, v0
	s_and_saveexec_b64 s[6:7], vcc
	s_cbranch_execz .LBB39_174
; %bb.1:
	s_load_dword s22, s[4:5], 0x38
	s_load_dwordx4 s[16:19], s[4:5], 0x10
	s_load_dwordx4 s[12:15], s[4:5], 0x28
                                        ; implicit-def: $sgpr10_sgpr11
	s_waitcnt lgkmcnt(0)
	s_bitcmp1_b32 s22, 8
	s_cselect_b64 s[20:21], -1, 0
	s_ashr_i32 s9, s8, 31
	s_bfe_u32 s6, s22, 0x10008
	s_cmp_eq_u32 s6, 0
	s_cbranch_scc1 .LBB39_3
; %bb.2:
	s_load_dword s6, s[4:5], 0x20
	s_mul_i32 s7, s8, s13
	s_mul_hi_u32 s10, s8, s12
	s_mul_i32 s11, s9, s12
	s_add_i32 s10, s10, s7
	s_add_i32 s11, s10, s11
	s_mul_i32 s10, s8, s12
	s_waitcnt lgkmcnt(0)
	s_ashr_i32 s7, s6, 31
	s_lshl_b64 s[10:11], s[10:11], 2
	s_add_u32 s10, s18, s10
	s_addc_u32 s11, s19, s11
	s_lshl_b64 s[6:7], s[6:7], 2
	s_add_u32 s10, s10, s6
	s_addc_u32 s11, s11, s7
.LBB39_3:
	s_load_dwordx4 s[4:7], s[4:5], 0x0
	s_mul_i32 s12, s8, s17
	s_mul_hi_u32 s13, s8, s16
	s_add_i32 s17, s13, s12
	v_lshlrev_b32_e32 v1, 4, v0
	s_waitcnt lgkmcnt(0)
	s_ashr_i32 s13, s6, 31
	s_mov_b32 s12, s6
	s_mul_i32 s6, s9, s16
	s_add_i32 s17, s17, s6
	s_mul_i32 s16, s8, s16
	s_lshl_b64 s[16:17], s[16:17], 4
	s_add_u32 s6, s4, s16
	s_addc_u32 s16, s5, s17
	s_lshl_b64 s[4:5], s[12:13], 4
	s_add_u32 s4, s6, s4
	s_addc_u32 s5, s16, s5
	s_add_i32 s6, s7, s7
	v_add_u32_e32 v4, s6, v0
	v_add_u32_e32 v2, s7, v4
	;; [unrolled: 1-line block ×34, first 2 shown]
	v_ashrrev_i32_e32 v5, 31, v4
	v_add_u32_e32 v70, s7, v68
	v_lshlrev_b64 v[4:5], 4, v[4:5]
	v_add_u32_e32 v72, s7, v70
	v_mov_b32_e32 v3, s5
	v_add_co_u32_e32 v4, vcc, s4, v4
	v_add_u32_e32 v74, s7, v72
	v_addc_co_u32_e32 v5, vcc, v3, v5, vcc
	v_add_u32_e32 v126, s7, v74
	global_load_dwordx4 v[76:79], v1, s[4:5]
	v_add_co_u32_e32 v80, vcc, s4, v1
	s_mov_b32 s6, s7
	s_ashr_i32 s7, s7, 31
	v_addc_co_u32_e32 v81, vcc, 0, v3, vcc
	s_lshl_b64 s[6:7], s[6:7], 4
	v_mov_b32_e32 v3, s7
	v_add_co_u32_e32 v82, vcc, s6, v80
	v_accvgpr_write_b32 a2, v80
	v_addc_co_u32_e32 v83, vcc, v81, v3, vcc
	v_accvgpr_write_b32 a4, v82
	v_accvgpr_write_b32 a3, v81
	;; [unrolled: 1-line block ×3, first 2 shown]
	global_load_dwordx4 v[80:83], v[82:83], off
	v_ashrrev_i32_e32 v3, 31, v2
	global_load_dwordx4 v[84:87], v[4:5], off
	v_accvgpr_write_b32 a0, v4
	v_lshlrev_b64 v[2:3], 4, v[2:3]
	v_accvgpr_write_b32 a1, v5
	v_mov_b32_e32 v4, s5
	v_add_co_u32_e32 v88, vcc, s4, v2
	v_addc_co_u32_e32 v89, vcc, v4, v3, vcc
	v_accvgpr_write_b32 a6, v88
	v_ashrrev_i32_e32 v7, 31, v6
	v_accvgpr_write_b32 a7, v89
	global_load_dwordx4 v[88:91], v[88:89], off
	v_lshlrev_b64 v[2:3], 4, v[6:7]
	v_add_co_u32_e32 v2, vcc, s4, v2
	v_addc_co_u32_e32 v3, vcc, v4, v3, vcc
	v_accvgpr_write_b32 a9, v3
	global_load_dwordx4 v[92:95], v[2:3], off
	v_ashrrev_i32_e32 v9, 31, v8
	v_accvgpr_write_b32 a8, v2
	v_lshlrev_b64 v[2:3], 4, v[8:9]
	v_add_co_u32_e32 v6, vcc, s4, v2
	v_addc_co_u32_e32 v7, vcc, v4, v3, vcc
	v_ashrrev_i32_e32 v13, 31, v12
	global_load_dwordx4 v[96:99], v[6:7], off
	v_lshlrev_b64 v[2:3], 4, v[12:13]
	v_add_co_u32_e32 v2, vcc, s4, v2
	v_addc_co_u32_e32 v3, vcc, v4, v3, vcc
	global_load_dwordx4 v[100:103], v[2:3], off
	v_accvgpr_write_b32 a13, v3
	v_ashrrev_i32_e32 v15, 31, v14
	v_accvgpr_write_b32 a11, v7
	v_accvgpr_write_b32 a12, v2
	v_lshlrev_b64 v[2:3], 4, v[14:15]
	v_accvgpr_write_b32 a10, v6
	v_add_co_u32_e32 v6, vcc, s4, v2
	v_addc_co_u32_e32 v7, vcc, v4, v3, vcc
	v_ashrrev_i32_e32 v21, 31, v20
	global_load_dwordx4 v[12:15], v[6:7], off
	v_lshlrev_b64 v[2:3], 4, v[20:21]
	v_add_co_u32_e32 v2, vcc, s4, v2
	v_addc_co_u32_e32 v3, vcc, v4, v3, vcc
	global_load_dwordx4 v[104:107], v[2:3], off
	v_accvgpr_write_b32 a17, v3
	v_ashrrev_i32_e32 v23, 31, v22
	v_accvgpr_write_b32 a15, v7
	v_accvgpr_write_b32 a16, v2
	v_lshlrev_b64 v[2:3], 4, v[22:23]
	v_accvgpr_write_b32 a14, v6
	;; [unrolled: 14-line block ×6, first 2 shown]
	v_add_co_u32_e32 v6, vcc, s4, v2
	v_addc_co_u32_e32 v7, vcc, v4, v3, vcc
	v_ashrrev_i32_e32 v61, 31, v60
	global_load_dwordx4 v[52:55], v[6:7], off
	v_lshlrev_b64 v[2:3], 4, v[60:61]
	v_add_co_u32_e32 v2, vcc, s4, v2
	v_accvgpr_write_b32 a37, v7
	v_addc_co_u32_e32 v3, vcc, v4, v3, vcc
	v_accvgpr_write_b32 a36, v6
	global_load_dwordx4 v[6:9], v[2:3], off
	v_ashrrev_i32_e32 v127, 31, v126
	v_accvgpr_write_b32 a39, v3
	v_accvgpr_write_b32 a38, v2
	v_lshlrev_b64 v[2:3], 4, v[126:127]
	v_add_co_u32_e32 v2, vcc, s4, v2
	v_addc_co_u32_e32 v3, vcc, v4, v3, vcc
	v_ashrrev_i32_e32 v11, 31, v10
	v_accvgpr_write_b32 a35, v3
	v_lshlrev_b64 v[10:11], 4, v[10:11]
	v_accvgpr_write_b32 a34, v2
	global_load_dwordx4 v[2:5], v[2:3], off
	s_waitcnt vmcnt(19)
	buffer_store_dword v79, off, s[0:3], 0 offset:28
	buffer_store_dword v78, off, s[0:3], 0 offset:24
	buffer_store_dword v77, off, s[0:3], 0 offset:20
	buffer_store_dword v76, off, s[0:3], 0 offset:16
	s_waitcnt vmcnt(22)
	buffer_store_dword v83, off, s[0:3], 0 offset:44
	buffer_store_dword v82, off, s[0:3], 0 offset:40
	buffer_store_dword v81, off, s[0:3], 0 offset:36
	buffer_store_dword v80, off, s[0:3], 0 offset:32
	;; [unrolled: 5-line block ×16, first 2 shown]
	buffer_store_dword v125, off, s[0:3], 0 offset:284
	buffer_store_dword v124, off, s[0:3], 0 offset:280
	;; [unrolled: 1-line block ×8, first 2 shown]
	s_waitcnt vmcnt(62)
	buffer_store_dword v9, off, s[0:3], 0 offset:316
	v_mov_b32_e32 v9, s5
	v_add_co_u32_e32 v12, vcc, s4, v10
	v_ashrrev_i32_e32 v17, 31, v16
	v_addc_co_u32_e32 v13, vcc, v9, v11, vcc
	v_lshlrev_b64 v[10:11], 4, v[16:17]
	v_add_co_u32_e32 v14, vcc, s4, v10
	v_accvgpr_write_b32 a41, v13
	v_addc_co_u32_e32 v15, vcc, v9, v11, vcc
	v_accvgpr_write_b32 a40, v12
	global_load_dwordx4 v[10:13], v[12:13], off
	v_accvgpr_write_b32 a43, v15
	v_ashrrev_i32_e32 v19, 31, v18
	v_accvgpr_write_b32 a42, v14
	global_load_dwordx4 v[14:17], v[14:15], off
	v_lshlrev_b64 v[18:19], 4, v[18:19]
	v_add_co_u32_e32 v20, vcc, s4, v18
	v_ashrrev_i32_e32 v25, 31, v24
	v_addc_co_u32_e32 v21, vcc, v9, v19, vcc
	v_lshlrev_b64 v[18:19], 4, v[24:25]
	v_add_co_u32_e32 v22, vcc, s4, v18
	v_accvgpr_write_b32 a45, v21
	v_addc_co_u32_e32 v23, vcc, v9, v19, vcc
	v_accvgpr_write_b32 a44, v20
	global_load_dwordx4 v[18:21], v[20:21], off
	v_accvgpr_write_b32 a47, v23
	v_ashrrev_i32_e32 v27, 31, v26
	v_accvgpr_write_b32 a46, v22
	global_load_dwordx4 v[22:25], v[22:23], off
	v_lshlrev_b64 v[26:27], 4, v[26:27]
	;; [unrolled: 14-line block ×6, first 2 shown]
	v_add_co_u32_e32 v60, vcc, s4, v58
	v_ashrrev_i32_e32 v63, 31, v62
	v_addc_co_u32_e32 v61, vcc, v9, v59, vcc
	v_lshlrev_b64 v[58:59], 4, v[62:63]
	v_add_co_u32_e32 v62, vcc, s4, v58
	v_accvgpr_write_b32 a65, v61
	v_addc_co_u32_e32 v63, vcc, v9, v59, vcc
	v_accvgpr_write_b32 a64, v60
	global_load_dwordx4 v[58:61], v[60:61], off
	v_accvgpr_write_b32 a67, v63
	global_load_dwordx4 v[76:79], v[62:63], off
	v_ashrrev_i32_e32 v65, 31, v64
	v_accvgpr_write_b32 a66, v62
	v_lshlrev_b64 v[62:63], 4, v[64:65]
	v_add_co_u32_e32 v64, vcc, s4, v62
	v_ashrrev_i32_e32 v67, 31, v66
	v_addc_co_u32_e32 v65, vcc, v9, v63, vcc
	v_lshlrev_b64 v[62:63], 4, v[66:67]
	v_add_co_u32_e32 v66, vcc, s4, v62
	v_accvgpr_write_b32 a69, v65
	v_addc_co_u32_e32 v67, vcc, v9, v63, vcc
	v_accvgpr_write_b32 a68, v64
	global_load_dwordx4 v[62:65], v[64:65], off
	v_accvgpr_write_b32 a71, v67
	global_load_dwordx4 v[80:83], v[66:67], off
	v_ashrrev_i32_e32 v69, 31, v68
	v_accvgpr_write_b32 a70, v66
	v_lshlrev_b64 v[66:67], 4, v[68:69]
	;; [unrolled: 14-line block ×3, first 2 shown]
	v_add_co_u32_e32 v70, vcc, s4, v70
	v_addc_co_u32_e32 v71, vcc, v9, v71, vcc
	v_accvgpr_write_b32 a77, v71
	v_ashrrev_i32_e32 v75, 31, v74
	v_accvgpr_write_b32 a76, v70
	global_load_dwordx4 v[70:73], v[70:71], off
	v_lshlrev_b64 v[74:75], 4, v[74:75]
	v_add_co_u32_e32 v74, vcc, s4, v74
	v_addc_co_u32_e32 v75, vcc, v9, v75, vcc
	global_load_dwordx4 v[88:91], v[74:75], off
	s_nop 0
	buffer_store_dword v8, off, s[0:3], 0 offset:312
	buffer_store_dword v7, off, s[0:3], 0 offset:308
	buffer_store_dword v6, off, s[0:3], 0 offset:304
	s_waitcnt vmcnt(22)
	buffer_store_dword v13, off, s[0:3], 0 offset:332
	buffer_store_dword v12, off, s[0:3], 0 offset:328
	buffer_store_dword v11, off, s[0:3], 0 offset:324
	buffer_store_dword v10, off, s[0:3], 0 offset:320
	s_waitcnt vmcnt(25)
	buffer_store_dword v17, off, s[0:3], 0 offset:348
	;; [unrolled: 5-line block ×15, first 2 shown]
	buffer_store_dword v64, off, s[0:3], 0 offset:552
	buffer_store_dword v63, off, s[0:3], 0 offset:548
	;; [unrolled: 1-line block ×11, first 2 shown]
	s_waitcnt vmcnt(62)
	buffer_store_dword v87, off, s[0:3], 0 offset:604
	buffer_store_dword v86, off, s[0:3], 0 offset:600
	;; [unrolled: 1-line block ×16, first 2 shown]
	v_mov_b32_e32 v2, 16
	v_add_u32_e32 v3, 16, v2
	v_accvgpr_write_b32 a118, v3
	v_add_u32_e32 v3, 32, v2
	v_accvgpr_write_b32 a117, v3
	;; [unrolled: 2-line block ×37, first 2 shown]
	v_accvgpr_write_b32 a82, v3
	v_add_u32_e32 v3, 0x260, v2
	v_add_u32_e32 v2, 0x270, v2
	v_accvgpr_write_b32 a78, v74
	v_accvgpr_write_b32 a81, v3
	;; [unrolled: 1-line block ×3, first 2 shown]
	s_bitcmp0_b32 s22, 0
	s_mov_b64 s[6:7], -1
	s_cbranch_scc1 .LBB39_172
; %bb.4:
	v_cmp_eq_u32_e64 s[4:5], 0, v0
	s_and_saveexec_b64 s[6:7], s[4:5]
	s_cbranch_execz .LBB39_6
; %bb.5:
	v_mov_b32_e32 v2, 0
	ds_write_b32 v2, v2 offset:1280
.LBB39_6:
	s_or_b64 exec, exec, s[6:7]
	v_mov_b32_e32 v2, 16
	v_lshl_add_u32 v12, v0, 4, v2
	s_waitcnt lgkmcnt(0)
	; wave barrier
	s_waitcnt lgkmcnt(0)
	buffer_load_dword v2, v12, s[0:3], 0 offen
	buffer_load_dword v3, v12, s[0:3], 0 offen offset:4
	buffer_load_dword v4, v12, s[0:3], 0 offen offset:8
	;; [unrolled: 1-line block ×3, first 2 shown]
	s_waitcnt vmcnt(2)
	v_cmp_eq_f64_e32 vcc, 0, v[2:3]
	s_waitcnt vmcnt(0)
	v_cmp_eq_f64_e64 s[6:7], 0, v[4:5]
	s_and_b64 s[6:7], vcc, s[6:7]
	s_and_saveexec_b64 s[12:13], s[6:7]
	s_cbranch_execz .LBB39_10
; %bb.7:
	v_mov_b32_e32 v2, 0
	ds_read_b32 v4, v2 offset:1280
	v_add_u32_e32 v3, 1, v0
	s_waitcnt lgkmcnt(0)
	v_readfirstlane_b32 s6, v4
	s_cmp_eq_u32 s6, 0
	s_cselect_b64 s[16:17], -1, 0
	v_cmp_gt_i32_e32 vcc, s6, v3
	s_or_b64 s[16:17], s[16:17], vcc
	s_and_b64 exec, exec, s[16:17]
	s_cbranch_execz .LBB39_10
; %bb.8:
	s_mov_b64 s[16:17], 0
	v_mov_b32_e32 v4, s6
.LBB39_9:                               ; =>This Inner Loop Header: Depth=1
	ds_cmpst_rtn_b32 v4, v2, v4, v3 offset:1280
	s_waitcnt lgkmcnt(0)
	v_cmp_ne_u32_e32 vcc, 0, v4
	v_cmp_le_i32_e64 s[6:7], v4, v3
	s_and_b64 s[6:7], vcc, s[6:7]
	s_and_b64 s[6:7], exec, s[6:7]
	s_or_b64 s[16:17], s[6:7], s[16:17]
	s_andn2_b64 exec, exec, s[16:17]
	s_cbranch_execnz .LBB39_9
.LBB39_10:
	s_or_b64 exec, exec, s[12:13]
	v_mov_b32_e32 v3, 0
	s_waitcnt lgkmcnt(0)
	; wave barrier
	ds_read_b32 v2, v3 offset:1280
	s_and_saveexec_b64 s[6:7], s[4:5]
	s_cbranch_execz .LBB39_12
; %bb.11:
	s_lshl_b64 s[12:13], s[8:9], 2
	s_add_u32 s12, s14, s12
	s_addc_u32 s13, s15, s13
	s_waitcnt lgkmcnt(0)
	global_store_dword v3, v2, s[12:13]
.LBB39_12:
	s_or_b64 exec, exec, s[6:7]
	s_waitcnt lgkmcnt(0)
	v_cmp_ne_u32_e32 vcc, 0, v2
	s_mov_b64 s[6:7], 0
	s_cbranch_vccnz .LBB39_172
; %bb.13:
	buffer_load_dword v7, v12, s[0:3], 0 offen offset:4
	buffer_load_dword v6, v12, s[0:3], 0 offen
	buffer_load_dword v9, v12, s[0:3], 0 offen offset:12
	buffer_load_dword v8, v12, s[0:3], 0 offen offset:8
                                        ; implicit-def: $vgpr10_vgpr11
	s_waitcnt vmcnt(3)
	v_xor_b32_e32 v3, 0x80000000, v7
	s_waitcnt vmcnt(2)
	v_cmp_gt_f64_e32 vcc, 0, v[6:7]
	s_waitcnt vmcnt(1)
	v_xor_b32_e32 v4, 0x80000000, v9
	v_cndmask_b32_e32 v3, v7, v3, vcc
	s_waitcnt vmcnt(0)
	v_cmp_gt_f64_e32 vcc, 0, v[8:9]
	v_mov_b32_e32 v2, v6
	v_cndmask_b32_e32 v5, v9, v4, vcc
	v_mov_b32_e32 v4, v8
	v_cmp_ngt_f64_e32 vcc, v[2:3], v[4:5]
                                        ; implicit-def: $vgpr4_vgpr5
	s_and_saveexec_b64 s[6:7], vcc
	s_xor_b64 s[6:7], exec, s[6:7]
	s_cbranch_execz .LBB39_15
; %bb.14:
	v_div_scale_f64 v[2:3], s[12:13], v[8:9], v[8:9], v[6:7]
	v_rcp_f64_e32 v[4:5], v[2:3]
	v_div_scale_f64 v[10:11], vcc, v[6:7], v[8:9], v[6:7]
	v_fma_f64 v[14:15], -v[2:3], v[4:5], 1.0
	v_fmac_f64_e32 v[4:5], v[4:5], v[14:15]
	v_fma_f64 v[14:15], -v[2:3], v[4:5], 1.0
	v_fmac_f64_e32 v[4:5], v[4:5], v[14:15]
	v_mul_f64 v[14:15], v[10:11], v[4:5]
	v_fma_f64 v[2:3], -v[2:3], v[14:15], v[10:11]
	v_div_fmas_f64 v[2:3], v[2:3], v[4:5], v[14:15]
	v_div_fixup_f64 v[2:3], v[2:3], v[8:9], v[6:7]
	v_fmac_f64_e32 v[8:9], v[6:7], v[2:3]
	v_div_scale_f64 v[4:5], s[12:13], v[8:9], v[8:9], 1.0
	v_rcp_f64_e32 v[6:7], v[4:5]
	v_fma_f64 v[10:11], -v[4:5], v[6:7], 1.0
	v_fmac_f64_e32 v[6:7], v[6:7], v[10:11]
	v_fma_f64 v[10:11], -v[4:5], v[6:7], 1.0
	v_fmac_f64_e32 v[6:7], v[6:7], v[10:11]
	v_div_scale_f64 v[10:11], vcc, 1.0, v[8:9], 1.0
	v_mul_f64 v[14:15], v[10:11], v[6:7]
	v_fma_f64 v[4:5], -v[4:5], v[14:15], v[10:11]
	s_nop 1
	v_div_fmas_f64 v[4:5], v[4:5], v[6:7], v[14:15]
	v_div_fixup_f64 v[4:5], v[4:5], v[8:9], 1.0
	v_mul_f64 v[10:11], v[2:3], v[4:5]
	v_xor_b32_e32 v5, 0x80000000, v5
	v_xor_b32_e32 v3, 0x80000000, v11
	v_mov_b32_e32 v2, v10
                                        ; implicit-def: $vgpr6_vgpr7
                                        ; implicit-def: $vgpr8_vgpr9
.LBB39_15:
	s_andn2_saveexec_b64 s[6:7], s[6:7]
	s_cbranch_execz .LBB39_17
; %bb.16:
	v_div_scale_f64 v[2:3], s[12:13], v[6:7], v[6:7], v[8:9]
	v_rcp_f64_e32 v[4:5], v[2:3]
	v_div_scale_f64 v[10:11], vcc, v[8:9], v[6:7], v[8:9]
	v_fma_f64 v[14:15], -v[2:3], v[4:5], 1.0
	v_fmac_f64_e32 v[4:5], v[4:5], v[14:15]
	v_fma_f64 v[14:15], -v[2:3], v[4:5], 1.0
	v_fmac_f64_e32 v[4:5], v[4:5], v[14:15]
	v_mul_f64 v[14:15], v[10:11], v[4:5]
	v_fma_f64 v[2:3], -v[2:3], v[14:15], v[10:11]
	v_div_fmas_f64 v[2:3], v[2:3], v[4:5], v[14:15]
	v_div_fixup_f64 v[4:5], v[2:3], v[6:7], v[8:9]
	v_fmac_f64_e32 v[6:7], v[8:9], v[4:5]
	v_div_scale_f64 v[2:3], s[12:13], v[6:7], v[6:7], 1.0
	v_rcp_f64_e32 v[8:9], v[2:3]
	v_fma_f64 v[10:11], -v[2:3], v[8:9], 1.0
	v_fmac_f64_e32 v[8:9], v[8:9], v[10:11]
	v_fma_f64 v[10:11], -v[2:3], v[8:9], 1.0
	v_fmac_f64_e32 v[8:9], v[8:9], v[10:11]
	v_div_scale_f64 v[10:11], vcc, 1.0, v[6:7], 1.0
	v_mul_f64 v[14:15], v[10:11], v[8:9]
	v_fma_f64 v[2:3], -v[2:3], v[14:15], v[10:11]
	s_nop 1
	v_div_fmas_f64 v[2:3], v[2:3], v[8:9], v[14:15]
	v_div_fixup_f64 v[10:11], v[2:3], v[6:7], 1.0
	v_xor_b32_e32 v3, 0x80000000, v11
	v_mov_b32_e32 v2, v10
	v_mul_f64 v[4:5], v[4:5], -v[10:11]
.LBB39_17:
	s_or_b64 exec, exec, s[6:7]
	buffer_store_dword v11, v12, s[0:3], 0 offen offset:4
	buffer_store_dword v10, v12, s[0:3], 0 offen
	buffer_store_dword v5, v12, s[0:3], 0 offen offset:12
	buffer_store_dword v4, v12, s[0:3], 0 offen offset:8
	v_accvgpr_read_b32 v6, a118
	buffer_load_dword v11, v6, s[0:3], 0 offen offset:12
	buffer_load_dword v10, v6, s[0:3], 0 offen offset:8
	;; [unrolled: 1-line block ×3, first 2 shown]
	buffer_load_dword v8, v6, s[0:3], 0 offen
	v_xor_b32_e32 v5, 0x80000000, v5
	v_add_u32_e32 v6, 0x280, v1
	ds_write_b128 v1, v[2:5]
	s_waitcnt vmcnt(0)
	ds_write_b128 v1, v[8:11] offset:640
	s_waitcnt lgkmcnt(0)
	; wave barrier
	s_waitcnt lgkmcnt(0)
	s_and_saveexec_b64 s[6:7], s[4:5]
	s_cbranch_execz .LBB39_19
; %bb.18:
	buffer_load_dword v14, v12, s[0:3], 0 offen offset:8
	buffer_load_dword v15, v12, s[0:3], 0 offen offset:12
	buffer_load_dword v16, v12, s[0:3], 0 offen
	buffer_load_dword v17, v12, s[0:3], 0 offen offset:4
	ds_read_b128 v[2:5], v6
	v_mov_b32_e32 v7, 0
	ds_read_b128 v[8:11], v7 offset:16
	s_waitcnt vmcnt(2) lgkmcnt(1)
	v_mul_f64 v[18:19], v[4:5], v[14:15]
	v_mul_f64 v[14:15], v[2:3], v[14:15]
	s_waitcnt vmcnt(0)
	v_fmac_f64_e32 v[14:15], v[4:5], v[16:17]
	v_fma_f64 v[2:3], v[2:3], v[16:17], -v[18:19]
	v_add_f64 v[4:5], v[14:15], 0
	v_add_f64 v[2:3], v[2:3], 0
	s_waitcnt lgkmcnt(0)
	v_mul_f64 v[14:15], v[4:5], v[10:11]
	v_mul_f64 v[10:11], v[2:3], v[10:11]
	v_fma_f64 v[2:3], v[2:3], v[8:9], -v[14:15]
	v_fmac_f64_e32 v[10:11], v[4:5], v[8:9]
	buffer_store_dword v2, off, s[0:3], 0 offset:32
	buffer_store_dword v3, off, s[0:3], 0 offset:36
	buffer_store_dword v10, off, s[0:3], 0 offset:40
	buffer_store_dword v11, off, s[0:3], 0 offset:44
.LBB39_19:
	s_or_b64 exec, exec, s[6:7]
	v_accvgpr_read_b32 v5, a117
	s_waitcnt lgkmcnt(0)
	; wave barrier
	buffer_load_dword v2, v5, s[0:3], 0 offen
	buffer_load_dword v3, v5, s[0:3], 0 offen offset:4
	buffer_load_dword v4, v5, s[0:3], 0 offen offset:8
	s_nop 0
	buffer_load_dword v5, v5, s[0:3], 0 offen offset:12
	v_cmp_gt_u32_e32 vcc, 2, v0
	s_waitcnt vmcnt(0)
	ds_write_b128 v6, v[2:5]
	s_waitcnt lgkmcnt(0)
	; wave barrier
	s_waitcnt lgkmcnt(0)
	s_and_saveexec_b64 s[6:7], vcc
	s_cbranch_execz .LBB39_23
; %bb.20:
	buffer_load_dword v8, v12, s[0:3], 0 offen offset:8
	buffer_load_dword v9, v12, s[0:3], 0 offen offset:12
	buffer_load_dword v10, v12, s[0:3], 0 offen
	buffer_load_dword v11, v12, s[0:3], 0 offen offset:4
	ds_read_b128 v[2:5], v6
	s_waitcnt vmcnt(2) lgkmcnt(0)
	v_mul_f64 v[12:13], v[4:5], v[8:9]
	v_mul_f64 v[8:9], v[2:3], v[8:9]
	s_waitcnt vmcnt(0)
	v_fma_f64 v[2:3], v[2:3], v[10:11], -v[12:13]
	v_fmac_f64_e32 v[8:9], v[4:5], v[10:11]
	v_add_f64 v[4:5], v[2:3], 0
	v_add_f64 v[2:3], v[8:9], 0
	s_and_saveexec_b64 s[12:13], s[4:5]
	s_cbranch_execz .LBB39_22
; %bb.21:
	buffer_load_dword v12, off, s[0:3], 0 offset:40
	buffer_load_dword v13, off, s[0:3], 0 offset:44
	;; [unrolled: 1-line block ×4, first 2 shown]
	v_mov_b32_e32 v7, 0
	ds_read_b128 v[8:11], v7 offset:656
	s_waitcnt vmcnt(2) lgkmcnt(0)
	v_mul_f64 v[16:17], v[8:9], v[12:13]
	v_mul_f64 v[12:13], v[10:11], v[12:13]
	s_waitcnt vmcnt(0)
	v_fmac_f64_e32 v[16:17], v[10:11], v[14:15]
	v_fma_f64 v[8:9], v[8:9], v[14:15], -v[12:13]
	v_add_f64 v[2:3], v[2:3], v[16:17]
	v_add_f64 v[4:5], v[4:5], v[8:9]
.LBB39_22:
	s_or_b64 exec, exec, s[12:13]
	v_mov_b32_e32 v7, 0
	ds_read_b128 v[8:11], v7 offset:32
	s_waitcnt lgkmcnt(0)
	v_mul_f64 v[12:13], v[2:3], v[10:11]
	v_mul_f64 v[10:11], v[4:5], v[10:11]
	v_fma_f64 v[4:5], v[4:5], v[8:9], -v[12:13]
	v_fmac_f64_e32 v[10:11], v[2:3], v[8:9]
	buffer_store_dword v5, off, s[0:3], 0 offset:52
	buffer_store_dword v4, off, s[0:3], 0 offset:48
	buffer_store_dword v11, off, s[0:3], 0 offset:60
	buffer_store_dword v10, off, s[0:3], 0 offset:56
.LBB39_23:
	s_or_b64 exec, exec, s[6:7]
	v_accvgpr_read_b32 v5, a116
	s_waitcnt lgkmcnt(0)
	; wave barrier
	buffer_load_dword v2, v5, s[0:3], 0 offen
	buffer_load_dword v3, v5, s[0:3], 0 offen offset:4
	buffer_load_dword v4, v5, s[0:3], 0 offen offset:8
	s_nop 0
	buffer_load_dword v5, v5, s[0:3], 0 offen offset:12
	v_cmp_gt_u32_e32 vcc, 3, v0
	v_add_u32_e32 v7, -1, v0
	s_waitcnt vmcnt(0)
	ds_write_b128 v6, v[2:5]
	s_waitcnt lgkmcnt(0)
	; wave barrier
	s_waitcnt lgkmcnt(0)
	s_and_saveexec_b64 s[4:5], vcc
	s_cbranch_execz .LBB39_27
; %bb.24:
	v_pk_mov_b32 v[2:3], 0, 0
	v_add_u32_e32 v8, -1, v0
	v_add_u32_e32 v9, 0x280, v1
	v_add_u32_e32 v10, 16, v1
	s_mov_b64 s[6:7], 0
	v_pk_mov_b32 v[4:5], v[2:3], v[2:3] op_sel:[0,1]
.LBB39_25:                              ; =>This Inner Loop Header: Depth=1
	buffer_load_dword v16, v10, s[0:3], 0 offen offset:8
	buffer_load_dword v17, v10, s[0:3], 0 offen offset:12
	buffer_load_dword v18, v10, s[0:3], 0 offen
	buffer_load_dword v19, v10, s[0:3], 0 offen offset:4
	ds_read_b128 v[12:15], v9
	v_add_u32_e32 v8, 1, v8
	v_cmp_lt_u32_e32 vcc, 1, v8
	v_add_u32_e32 v9, 16, v9
	v_add_u32_e32 v10, 16, v10
	s_or_b64 s[6:7], vcc, s[6:7]
	s_waitcnt vmcnt(2) lgkmcnt(0)
	v_mul_f64 v[20:21], v[14:15], v[16:17]
	v_mul_f64 v[16:17], v[12:13], v[16:17]
	s_waitcnt vmcnt(0)
	v_fma_f64 v[12:13], v[12:13], v[18:19], -v[20:21]
	v_fmac_f64_e32 v[16:17], v[14:15], v[18:19]
	v_add_f64 v[4:5], v[4:5], v[12:13]
	v_add_f64 v[2:3], v[2:3], v[16:17]
	s_andn2_b64 exec, exec, s[6:7]
	s_cbranch_execnz .LBB39_25
; %bb.26:
	s_or_b64 exec, exec, s[6:7]
	v_mov_b32_e32 v8, 0
	ds_read_b128 v[8:11], v8 offset:48
	s_waitcnt lgkmcnt(0)
	v_mul_f64 v[12:13], v[2:3], v[10:11]
	v_mul_f64 v[10:11], v[4:5], v[10:11]
	v_fma_f64 v[4:5], v[4:5], v[8:9], -v[12:13]
	v_fmac_f64_e32 v[10:11], v[2:3], v[8:9]
	buffer_store_dword v5, off, s[0:3], 0 offset:68
	buffer_store_dword v4, off, s[0:3], 0 offset:64
	buffer_store_dword v11, off, s[0:3], 0 offset:76
	buffer_store_dword v10, off, s[0:3], 0 offset:72
.LBB39_27:
	s_or_b64 exec, exec, s[4:5]
	v_accvgpr_read_b32 v5, a115
	s_waitcnt lgkmcnt(0)
	; wave barrier
	buffer_load_dword v2, v5, s[0:3], 0 offen
	buffer_load_dword v3, v5, s[0:3], 0 offen offset:4
	buffer_load_dword v4, v5, s[0:3], 0 offen offset:8
	s_nop 0
	buffer_load_dword v5, v5, s[0:3], 0 offen offset:12
	v_cmp_gt_u32_e32 vcc, 4, v0
	s_waitcnt vmcnt(0)
	ds_write_b128 v6, v[2:5]
	s_waitcnt lgkmcnt(0)
	; wave barrier
	s_waitcnt lgkmcnt(0)
	s_and_saveexec_b64 s[4:5], vcc
	s_cbranch_execz .LBB39_31
; %bb.28:
	v_pk_mov_b32 v[2:3], 0, 0
	v_add_u32_e32 v8, -1, v0
	v_add_u32_e32 v9, 0x280, v1
	v_add_u32_e32 v10, 16, v1
	s_mov_b64 s[6:7], 0
	v_pk_mov_b32 v[4:5], v[2:3], v[2:3] op_sel:[0,1]
.LBB39_29:                              ; =>This Inner Loop Header: Depth=1
	buffer_load_dword v16, v10, s[0:3], 0 offen offset:8
	buffer_load_dword v17, v10, s[0:3], 0 offen offset:12
	buffer_load_dword v18, v10, s[0:3], 0 offen
	buffer_load_dword v19, v10, s[0:3], 0 offen offset:4
	ds_read_b128 v[12:15], v9
	v_add_u32_e32 v8, 1, v8
	v_cmp_lt_u32_e32 vcc, 2, v8
	v_add_u32_e32 v9, 16, v9
	v_add_u32_e32 v10, 16, v10
	s_or_b64 s[6:7], vcc, s[6:7]
	s_waitcnt vmcnt(2) lgkmcnt(0)
	v_mul_f64 v[20:21], v[14:15], v[16:17]
	v_mul_f64 v[16:17], v[12:13], v[16:17]
	s_waitcnt vmcnt(0)
	v_fma_f64 v[12:13], v[12:13], v[18:19], -v[20:21]
	v_fmac_f64_e32 v[16:17], v[14:15], v[18:19]
	v_add_f64 v[4:5], v[4:5], v[12:13]
	v_add_f64 v[2:3], v[2:3], v[16:17]
	s_andn2_b64 exec, exec, s[6:7]
	s_cbranch_execnz .LBB39_29
; %bb.30:
	s_or_b64 exec, exec, s[6:7]
	v_mov_b32_e32 v8, 0
	ds_read_b128 v[8:11], v8 offset:64
	s_waitcnt lgkmcnt(0)
	v_mul_f64 v[12:13], v[2:3], v[10:11]
	v_mul_f64 v[10:11], v[4:5], v[10:11]
	v_fma_f64 v[4:5], v[4:5], v[8:9], -v[12:13]
	v_fmac_f64_e32 v[10:11], v[2:3], v[8:9]
	buffer_store_dword v5, off, s[0:3], 0 offset:84
	buffer_store_dword v4, off, s[0:3], 0 offset:80
	buffer_store_dword v11, off, s[0:3], 0 offset:92
	buffer_store_dword v10, off, s[0:3], 0 offset:88
.LBB39_31:
	s_or_b64 exec, exec, s[4:5]
	v_accvgpr_read_b32 v5, a114
	s_waitcnt lgkmcnt(0)
	; wave barrier
	buffer_load_dword v2, v5, s[0:3], 0 offen
	buffer_load_dword v3, v5, s[0:3], 0 offen offset:4
	buffer_load_dword v4, v5, s[0:3], 0 offen offset:8
	s_nop 0
	buffer_load_dword v5, v5, s[0:3], 0 offen offset:12
	v_cmp_gt_u32_e32 vcc, 5, v0
	;; [unrolled: 59-line block ×19, first 2 shown]
	s_waitcnt vmcnt(0)
	ds_write_b128 v6, v[2:5]
	s_waitcnt lgkmcnt(0)
	; wave barrier
	s_waitcnt lgkmcnt(0)
	s_and_saveexec_b64 s[4:5], vcc
	s_cbranch_execz .LBB39_103
; %bb.100:
	v_pk_mov_b32 v[2:3], 0, 0
	v_add_u32_e32 v8, -1, v0
	v_add_u32_e32 v9, 0x280, v1
	v_add_u32_e32 v10, 16, v1
	s_mov_b64 s[6:7], 0
	v_pk_mov_b32 v[4:5], v[2:3], v[2:3] op_sel:[0,1]
.LBB39_101:                             ; =>This Inner Loop Header: Depth=1
	buffer_load_dword v16, v10, s[0:3], 0 offen offset:8
	buffer_load_dword v17, v10, s[0:3], 0 offen offset:12
	buffer_load_dword v18, v10, s[0:3], 0 offen
	buffer_load_dword v19, v10, s[0:3], 0 offen offset:4
	ds_read_b128 v[12:15], v9
	v_add_u32_e32 v8, 1, v8
	v_cmp_lt_u32_e32 vcc, 20, v8
	v_add_u32_e32 v9, 16, v9
	v_add_u32_e32 v10, 16, v10
	s_or_b64 s[6:7], vcc, s[6:7]
	s_waitcnt vmcnt(2) lgkmcnt(0)
	v_mul_f64 v[20:21], v[14:15], v[16:17]
	v_mul_f64 v[16:17], v[12:13], v[16:17]
	s_waitcnt vmcnt(0)
	v_fma_f64 v[12:13], v[12:13], v[18:19], -v[20:21]
	v_fmac_f64_e32 v[16:17], v[14:15], v[18:19]
	v_add_f64 v[4:5], v[4:5], v[12:13]
	v_add_f64 v[2:3], v[2:3], v[16:17]
	s_andn2_b64 exec, exec, s[6:7]
	s_cbranch_execnz .LBB39_101
; %bb.102:
	s_or_b64 exec, exec, s[6:7]
	v_mov_b32_e32 v8, 0
	ds_read_b128 v[8:11], v8 offset:352
	s_waitcnt lgkmcnt(0)
	v_mul_f64 v[12:13], v[2:3], v[10:11]
	v_mul_f64 v[10:11], v[4:5], v[10:11]
	v_fma_f64 v[4:5], v[4:5], v[8:9], -v[12:13]
	v_fmac_f64_e32 v[10:11], v[2:3], v[8:9]
	buffer_store_dword v5, off, s[0:3], 0 offset:372
	buffer_store_dword v4, off, s[0:3], 0 offset:368
	buffer_store_dword v11, off, s[0:3], 0 offset:380
	buffer_store_dword v10, off, s[0:3], 0 offset:376
.LBB39_103:
	s_or_b64 exec, exec, s[4:5]
	v_accvgpr_read_b32 v5, a96
	s_waitcnt lgkmcnt(0)
	; wave barrier
	buffer_load_dword v2, v5, s[0:3], 0 offen
	buffer_load_dword v3, v5, s[0:3], 0 offen offset:4
	buffer_load_dword v4, v5, s[0:3], 0 offen offset:8
	s_nop 0
	buffer_load_dword v5, v5, s[0:3], 0 offen offset:12
	v_cmp_gt_u32_e32 vcc, 23, v0
	s_waitcnt vmcnt(0)
	ds_write_b128 v6, v[2:5]
	s_waitcnt lgkmcnt(0)
	; wave barrier
	s_waitcnt lgkmcnt(0)
	s_and_saveexec_b64 s[4:5], vcc
	s_cbranch_execz .LBB39_107
; %bb.104:
	v_pk_mov_b32 v[2:3], 0, 0
	v_add_u32_e32 v8, -1, v0
	v_add_u32_e32 v9, 0x280, v1
	v_add_u32_e32 v10, 16, v1
	s_mov_b64 s[6:7], 0
	v_pk_mov_b32 v[4:5], v[2:3], v[2:3] op_sel:[0,1]
.LBB39_105:                             ; =>This Inner Loop Header: Depth=1
	buffer_load_dword v16, v10, s[0:3], 0 offen offset:8
	buffer_load_dword v17, v10, s[0:3], 0 offen offset:12
	buffer_load_dword v18, v10, s[0:3], 0 offen
	buffer_load_dword v19, v10, s[0:3], 0 offen offset:4
	ds_read_b128 v[12:15], v9
	v_add_u32_e32 v8, 1, v8
	v_cmp_lt_u32_e32 vcc, 21, v8
	v_add_u32_e32 v9, 16, v9
	v_add_u32_e32 v10, 16, v10
	s_or_b64 s[6:7], vcc, s[6:7]
	s_waitcnt vmcnt(2) lgkmcnt(0)
	v_mul_f64 v[20:21], v[14:15], v[16:17]
	v_mul_f64 v[16:17], v[12:13], v[16:17]
	s_waitcnt vmcnt(0)
	v_fma_f64 v[12:13], v[12:13], v[18:19], -v[20:21]
	v_fmac_f64_e32 v[16:17], v[14:15], v[18:19]
	v_add_f64 v[4:5], v[4:5], v[12:13]
	v_add_f64 v[2:3], v[2:3], v[16:17]
	s_andn2_b64 exec, exec, s[6:7]
	s_cbranch_execnz .LBB39_105
; %bb.106:
	s_or_b64 exec, exec, s[6:7]
	v_mov_b32_e32 v8, 0
	ds_read_b128 v[8:11], v8 offset:368
	s_waitcnt lgkmcnt(0)
	v_mul_f64 v[12:13], v[2:3], v[10:11]
	v_mul_f64 v[10:11], v[4:5], v[10:11]
	v_fma_f64 v[4:5], v[4:5], v[8:9], -v[12:13]
	v_fmac_f64_e32 v[10:11], v[2:3], v[8:9]
	buffer_store_dword v5, off, s[0:3], 0 offset:388
	buffer_store_dword v4, off, s[0:3], 0 offset:384
	buffer_store_dword v11, off, s[0:3], 0 offset:396
	buffer_store_dword v10, off, s[0:3], 0 offset:392
.LBB39_107:
	s_or_b64 exec, exec, s[4:5]
	v_accvgpr_read_b32 v5, a95
	s_waitcnt lgkmcnt(0)
	; wave barrier
	buffer_load_dword v2, v5, s[0:3], 0 offen
	buffer_load_dword v3, v5, s[0:3], 0 offen offset:4
	buffer_load_dword v4, v5, s[0:3], 0 offen offset:8
	s_nop 0
	buffer_load_dword v5, v5, s[0:3], 0 offen offset:12
	v_cmp_gt_u32_e32 vcc, 24, v0
	;; [unrolled: 59-line block ×16, first 2 shown]
	s_waitcnt vmcnt(0)
	ds_write_b128 v6, v[2:5]
	s_waitcnt lgkmcnt(0)
	; wave barrier
	s_waitcnt lgkmcnt(0)
	s_and_saveexec_b64 s[4:5], vcc
	s_cbranch_execz .LBB39_167
; %bb.164:
	v_pk_mov_b32 v[2:3], 0, 0
	v_add_u32_e32 v8, -1, v0
	v_add_u32_e32 v9, 0x280, v1
	v_add_u32_e32 v10, 16, v1
	s_mov_b64 s[6:7], 0
	v_pk_mov_b32 v[4:5], v[2:3], v[2:3] op_sel:[0,1]
.LBB39_165:                             ; =>This Inner Loop Header: Depth=1
	buffer_load_dword v16, v10, s[0:3], 0 offen offset:8
	buffer_load_dword v17, v10, s[0:3], 0 offen offset:12
	buffer_load_dword v18, v10, s[0:3], 0 offen
	buffer_load_dword v19, v10, s[0:3], 0 offen offset:4
	ds_read_b128 v[12:15], v9
	v_add_u32_e32 v8, 1, v8
	v_cmp_lt_u32_e32 vcc, 36, v8
	v_add_u32_e32 v9, 16, v9
	v_add_u32_e32 v10, 16, v10
	s_or_b64 s[6:7], vcc, s[6:7]
	s_waitcnt vmcnt(2) lgkmcnt(0)
	v_mul_f64 v[20:21], v[14:15], v[16:17]
	v_mul_f64 v[16:17], v[12:13], v[16:17]
	s_waitcnt vmcnt(0)
	v_fma_f64 v[12:13], v[12:13], v[18:19], -v[20:21]
	v_fmac_f64_e32 v[16:17], v[14:15], v[18:19]
	v_add_f64 v[4:5], v[4:5], v[12:13]
	v_add_f64 v[2:3], v[2:3], v[16:17]
	s_andn2_b64 exec, exec, s[6:7]
	s_cbranch_execnz .LBB39_165
; %bb.166:
	s_or_b64 exec, exec, s[6:7]
	v_mov_b32_e32 v8, 0
	ds_read_b128 v[8:11], v8 offset:608
	s_waitcnt lgkmcnt(0)
	v_mul_f64 v[12:13], v[2:3], v[10:11]
	v_mul_f64 v[10:11], v[4:5], v[10:11]
	v_fma_f64 v[4:5], v[4:5], v[8:9], -v[12:13]
	v_fmac_f64_e32 v[10:11], v[2:3], v[8:9]
	buffer_store_dword v5, off, s[0:3], 0 offset:628
	buffer_store_dword v4, off, s[0:3], 0 offset:624
	buffer_store_dword v11, off, s[0:3], 0 offset:636
	buffer_store_dword v10, off, s[0:3], 0 offset:632
.LBB39_167:
	s_or_b64 exec, exec, s[4:5]
	v_accvgpr_read_b32 v5, a80
	s_waitcnt lgkmcnt(0)
	; wave barrier
	buffer_load_dword v2, v5, s[0:3], 0 offen
	buffer_load_dword v3, v5, s[0:3], 0 offen offset:4
	buffer_load_dword v4, v5, s[0:3], 0 offen offset:8
	s_nop 0
	buffer_load_dword v5, v5, s[0:3], 0 offen offset:12
	v_cmp_ne_u32_e32 vcc, 39, v0
	s_waitcnt vmcnt(0)
	ds_write_b128 v6, v[2:5]
	s_waitcnt lgkmcnt(0)
	; wave barrier
	s_waitcnt lgkmcnt(0)
	s_and_saveexec_b64 s[4:5], vcc
	s_cbranch_execz .LBB39_171
; %bb.168:
	v_pk_mov_b32 v[2:3], 0, 0
	v_add_u32_e32 v6, 0x280, v1
	v_add_u32_e32 v1, 16, v1
	s_mov_b64 s[6:7], 0
	v_pk_mov_b32 v[4:5], v[2:3], v[2:3] op_sel:[0,1]
.LBB39_169:                             ; =>This Inner Loop Header: Depth=1
	buffer_load_dword v12, v1, s[0:3], 0 offen offset:8
	buffer_load_dword v13, v1, s[0:3], 0 offen offset:12
	buffer_load_dword v14, v1, s[0:3], 0 offen
	buffer_load_dword v15, v1, s[0:3], 0 offen offset:4
	ds_read_b128 v[8:11], v6
	v_add_u32_e32 v7, 1, v7
	v_cmp_lt_u32_e32 vcc, 37, v7
	v_add_u32_e32 v6, 16, v6
	v_add_u32_e32 v1, 16, v1
	s_or_b64 s[6:7], vcc, s[6:7]
	s_waitcnt vmcnt(2) lgkmcnt(0)
	v_mul_f64 v[16:17], v[10:11], v[12:13]
	v_mul_f64 v[12:13], v[8:9], v[12:13]
	s_waitcnt vmcnt(0)
	v_fma_f64 v[8:9], v[8:9], v[14:15], -v[16:17]
	v_fmac_f64_e32 v[12:13], v[10:11], v[14:15]
	v_add_f64 v[4:5], v[4:5], v[8:9]
	v_add_f64 v[2:3], v[2:3], v[12:13]
	s_andn2_b64 exec, exec, s[6:7]
	s_cbranch_execnz .LBB39_169
; %bb.170:
	s_or_b64 exec, exec, s[6:7]
	v_mov_b32_e32 v1, 0
	ds_read_b128 v[6:9], v1 offset:624
	s_waitcnt lgkmcnt(0)
	v_mul_f64 v[10:11], v[2:3], v[8:9]
	v_mul_f64 v[8:9], v[4:5], v[8:9]
	v_fma_f64 v[4:5], v[4:5], v[6:7], -v[10:11]
	v_fmac_f64_e32 v[8:9], v[2:3], v[6:7]
	buffer_store_dword v5, off, s[0:3], 0 offset:644
	buffer_store_dword v4, off, s[0:3], 0 offset:640
	;; [unrolled: 1-line block ×4, first 2 shown]
.LBB39_171:
	s_or_b64 exec, exec, s[4:5]
	s_mov_b64 s[6:7], -1
	s_waitcnt lgkmcnt(0)
	; wave barrier
.LBB39_172:
	s_and_b64 vcc, exec, s[6:7]
	s_cbranch_vccz .LBB39_174
; %bb.173:
	s_lshl_b64 s[4:5], s[8:9], 2
	s_add_u32 s4, s14, s4
	s_addc_u32 s5, s15, s5
	v_mov_b32_e32 v1, 0
	global_load_dword v1, v1, s[4:5]
	s_waitcnt vmcnt(0)
	v_cmp_ne_u32_e32 vcc, 0, v1
	s_cbranch_vccz .LBB39_175
.LBB39_174:
	s_endpgm
.LBB39_175:
	v_mov_b32_e32 v1, 0x280
	v_lshl_add_u32 v1, v0, 4, v1
	v_accvgpr_write_b32 a119, v1
	v_cmp_eq_u32_e32 vcc, 39, v0
	s_and_saveexec_b64 s[4:5], vcc
	s_cbranch_execz .LBB39_177
; %bb.176:
	v_accvgpr_read_b32 v1, a81
	buffer_load_dword v2, v1, s[0:3], 0 offen
	buffer_load_dword v3, v1, s[0:3], 0 offen offset:4
	buffer_load_dword v4, v1, s[0:3], 0 offen offset:8
	;; [unrolled: 1-line block ×3, first 2 shown]
	v_mov_b32_e32 v1, 0
	v_accvgpr_read_b32 v6, a119
	buffer_store_dword v1, off, s[0:3], 0 offset:624
	buffer_store_dword v1, off, s[0:3], 0 offset:628
	;; [unrolled: 1-line block ×4, first 2 shown]
	s_waitcnt vmcnt(4)
	ds_write_b128 v6, v[2:5]
.LBB39_177:
	s_or_b64 exec, exec, s[4:5]
	s_waitcnt lgkmcnt(0)
	; wave barrier
	s_waitcnt lgkmcnt(0)
	buffer_load_dword v6, off, s[0:3], 0 offset:648
	buffer_load_dword v7, off, s[0:3], 0 offset:652
	;; [unrolled: 1-line block ×8, first 2 shown]
	v_mov_b32_e32 v1, 0
	ds_read_b128 v[2:5], v1 offset:1264
	v_cmp_lt_u32_e32 vcc, 37, v0
	s_waitcnt vmcnt(6) lgkmcnt(0)
	v_mul_f64 v[14:15], v[2:3], v[6:7]
	v_mul_f64 v[6:7], v[4:5], v[6:7]
	s_waitcnt vmcnt(4)
	v_fma_f64 v[2:3], v[2:3], v[8:9], -v[6:7]
	v_fmac_f64_e32 v[14:15], v[4:5], v[8:9]
	v_add_f64 v[2:3], v[2:3], 0
	v_add_f64 v[4:5], v[14:15], 0
	s_waitcnt vmcnt(2)
	v_add_f64 v[2:3], v[10:11], -v[2:3]
	s_waitcnt vmcnt(0)
	v_add_f64 v[4:5], v[12:13], -v[4:5]
	buffer_store_dword v2, off, s[0:3], 0 offset:624
	buffer_store_dword v3, off, s[0:3], 0 offset:628
	;; [unrolled: 1-line block ×4, first 2 shown]
	s_and_saveexec_b64 s[4:5], vcc
	s_cbranch_execz .LBB39_179
; %bb.178:
	v_accvgpr_read_b32 v5, a82
	buffer_load_dword v2, v5, s[0:3], 0 offen
	buffer_load_dword v3, v5, s[0:3], 0 offen offset:4
	buffer_load_dword v4, v5, s[0:3], 0 offen offset:8
	s_nop 0
	buffer_load_dword v5, v5, s[0:3], 0 offen offset:12
	v_accvgpr_read_b32 v6, a119
	buffer_store_dword v1, off, s[0:3], 0 offset:608
	buffer_store_dword v1, off, s[0:3], 0 offset:612
	;; [unrolled: 1-line block ×4, first 2 shown]
	s_waitcnt vmcnt(4)
	ds_write_b128 v6, v[2:5]
.LBB39_179:
	s_or_b64 exec, exec, s[4:5]
	s_waitcnt lgkmcnt(0)
	; wave barrier
	s_waitcnt lgkmcnt(0)
	buffer_load_dword v10, off, s[0:3], 0 offset:632
	buffer_load_dword v11, off, s[0:3], 0 offset:636
	;; [unrolled: 1-line block ×12, first 2 shown]
	ds_read_b128 v[2:5], v1 offset:1248
	ds_read_b128 v[6:9], v1 offset:1264
	v_cmp_lt_u32_e32 vcc, 36, v0
	s_waitcnt vmcnt(10) lgkmcnt(1)
	v_mul_f64 v[22:23], v[2:3], v[10:11]
	v_mul_f64 v[10:11], v[4:5], v[10:11]
	s_waitcnt vmcnt(8) lgkmcnt(0)
	v_mul_f64 v[24:25], v[6:7], v[12:13]
	v_mul_f64 v[12:13], v[8:9], v[12:13]
	s_waitcnt vmcnt(6)
	v_fma_f64 v[2:3], v[2:3], v[14:15], -v[10:11]
	v_fmac_f64_e32 v[22:23], v[4:5], v[14:15]
	s_waitcnt vmcnt(4)
	v_fma_f64 v[4:5], v[6:7], v[16:17], -v[12:13]
	v_add_f64 v[2:3], v[2:3], 0
	v_fmac_f64_e32 v[24:25], v[8:9], v[16:17]
	v_add_f64 v[6:7], v[22:23], 0
	v_add_f64 v[2:3], v[2:3], v[4:5]
	;; [unrolled: 1-line block ×3, first 2 shown]
	s_waitcnt vmcnt(2)
	v_add_f64 v[2:3], v[18:19], -v[2:3]
	s_waitcnt vmcnt(0)
	v_add_f64 v[4:5], v[20:21], -v[6:7]
	buffer_store_dword v2, off, s[0:3], 0 offset:608
	buffer_store_dword v3, off, s[0:3], 0 offset:612
	;; [unrolled: 1-line block ×4, first 2 shown]
	s_and_saveexec_b64 s[4:5], vcc
	s_cbranch_execz .LBB39_181
; %bb.180:
	v_accvgpr_read_b32 v1, a83
	buffer_load_dword v2, v1, s[0:3], 0 offen
	buffer_load_dword v3, v1, s[0:3], 0 offen offset:4
	buffer_load_dword v4, v1, s[0:3], 0 offen offset:8
	;; [unrolled: 1-line block ×3, first 2 shown]
	v_mov_b32_e32 v1, 0
	v_accvgpr_read_b32 v6, a119
	buffer_store_dword v1, off, s[0:3], 0 offset:592
	buffer_store_dword v1, off, s[0:3], 0 offset:596
	;; [unrolled: 1-line block ×4, first 2 shown]
	s_waitcnt vmcnt(4)
	ds_write_b128 v6, v[2:5]
.LBB39_181:
	s_or_b64 exec, exec, s[4:5]
	s_waitcnt lgkmcnt(0)
	; wave barrier
	s_waitcnt lgkmcnt(0)
	buffer_load_dword v14, off, s[0:3], 0 offset:616
	buffer_load_dword v15, off, s[0:3], 0 offset:620
	;; [unrolled: 1-line block ×16, first 2 shown]
	v_mov_b32_e32 v1, 0
	ds_read_b128 v[2:5], v1 offset:1232
	ds_read_b128 v[6:9], v1 offset:1248
	;; [unrolled: 1-line block ×3, first 2 shown]
	v_cmp_lt_u32_e32 vcc, 35, v0
	s_waitcnt vmcnt(14) lgkmcnt(2)
	v_mul_f64 v[30:31], v[2:3], v[14:15]
	v_mul_f64 v[14:15], v[4:5], v[14:15]
	s_waitcnt vmcnt(12) lgkmcnt(1)
	v_mul_f64 v[32:33], v[6:7], v[16:17]
	v_mul_f64 v[16:17], v[8:9], v[16:17]
	;; [unrolled: 3-line block ×3, first 2 shown]
	s_waitcnt vmcnt(8)
	v_fma_f64 v[2:3], v[2:3], v[20:21], -v[14:15]
	v_fmac_f64_e32 v[30:31], v[4:5], v[20:21]
	s_waitcnt vmcnt(6)
	v_fma_f64 v[4:5], v[6:7], v[22:23], -v[16:17]
	v_add_f64 v[2:3], v[2:3], 0
	v_fmac_f64_e32 v[32:33], v[8:9], v[22:23]
	s_waitcnt vmcnt(4)
	v_fma_f64 v[6:7], v[10:11], v[24:25], -v[18:19]
	v_add_f64 v[8:9], v[30:31], 0
	v_add_f64 v[2:3], v[2:3], v[4:5]
	v_fmac_f64_e32 v[34:35], v[12:13], v[24:25]
	v_add_f64 v[8:9], v[8:9], v[32:33]
	v_add_f64 v[2:3], v[2:3], v[6:7]
	;; [unrolled: 1-line block ×3, first 2 shown]
	s_waitcnt vmcnt(2)
	v_add_f64 v[2:3], v[26:27], -v[2:3]
	s_waitcnt vmcnt(0)
	v_add_f64 v[4:5], v[28:29], -v[4:5]
	buffer_store_dword v2, off, s[0:3], 0 offset:592
	buffer_store_dword v3, off, s[0:3], 0 offset:596
	buffer_store_dword v4, off, s[0:3], 0 offset:600
	buffer_store_dword v5, off, s[0:3], 0 offset:604
	s_and_saveexec_b64 s[4:5], vcc
	s_cbranch_execz .LBB39_183
; %bb.182:
	v_accvgpr_read_b32 v5, a84
	buffer_load_dword v2, v5, s[0:3], 0 offen
	buffer_load_dword v3, v5, s[0:3], 0 offen offset:4
	buffer_load_dword v4, v5, s[0:3], 0 offen offset:8
	s_nop 0
	buffer_load_dword v5, v5, s[0:3], 0 offen offset:12
	v_accvgpr_read_b32 v6, a119
	buffer_store_dword v1, off, s[0:3], 0 offset:576
	buffer_store_dword v1, off, s[0:3], 0 offset:580
	buffer_store_dword v1, off, s[0:3], 0 offset:584
	buffer_store_dword v1, off, s[0:3], 0 offset:588
	s_waitcnt vmcnt(4)
	ds_write_b128 v6, v[2:5]
.LBB39_183:
	s_or_b64 exec, exec, s[4:5]
	s_waitcnt lgkmcnt(0)
	; wave barrier
	s_waitcnt lgkmcnt(0)
	buffer_load_dword v18, off, s[0:3], 0 offset:600
	buffer_load_dword v19, off, s[0:3], 0 offset:604
	buffer_load_dword v20, off, s[0:3], 0 offset:616
	buffer_load_dword v21, off, s[0:3], 0 offset:620
	buffer_load_dword v22, off, s[0:3], 0 offset:632
	buffer_load_dword v23, off, s[0:3], 0 offset:636
	buffer_load_dword v25, off, s[0:3], 0 offset:652
	buffer_load_dword v24, off, s[0:3], 0 offset:648
	buffer_load_dword v26, off, s[0:3], 0 offset:592
	buffer_load_dword v27, off, s[0:3], 0 offset:596
	buffer_load_dword v28, off, s[0:3], 0 offset:608
	buffer_load_dword v29, off, s[0:3], 0 offset:612
	buffer_load_dword v30, off, s[0:3], 0 offset:624
	buffer_load_dword v31, off, s[0:3], 0 offset:628
	buffer_load_dword v33, off, s[0:3], 0 offset:644
	buffer_load_dword v32, off, s[0:3], 0 offset:640
	buffer_load_dword v34, off, s[0:3], 0 offset:576
	buffer_load_dword v35, off, s[0:3], 0 offset:580
	buffer_load_dword v36, off, s[0:3], 0 offset:584
	buffer_load_dword v37, off, s[0:3], 0 offset:588
	ds_read_b128 v[2:5], v1 offset:1216
	ds_read_b128 v[6:9], v1 offset:1232
	;; [unrolled: 1-line block ×4, first 2 shown]
	v_cmp_lt_u32_e32 vcc, 34, v0
	s_waitcnt vmcnt(18) lgkmcnt(3)
	v_mul_f64 v[38:39], v[2:3], v[18:19]
	v_mul_f64 v[18:19], v[4:5], v[18:19]
	s_waitcnt vmcnt(16) lgkmcnt(2)
	v_mul_f64 v[40:41], v[6:7], v[20:21]
	v_mul_f64 v[20:21], v[8:9], v[20:21]
	;; [unrolled: 3-line block ×4, first 2 shown]
	s_waitcnt vmcnt(10)
	v_fma_f64 v[2:3], v[2:3], v[26:27], -v[18:19]
	v_fmac_f64_e32 v[38:39], v[4:5], v[26:27]
	s_waitcnt vmcnt(8)
	v_fma_f64 v[4:5], v[6:7], v[28:29], -v[20:21]
	v_add_f64 v[2:3], v[2:3], 0
	v_fmac_f64_e32 v[40:41], v[8:9], v[28:29]
	s_waitcnt vmcnt(6)
	v_fma_f64 v[6:7], v[10:11], v[30:31], -v[22:23]
	v_add_f64 v[10:11], v[38:39], 0
	v_add_f64 v[2:3], v[2:3], v[4:5]
	v_fmac_f64_e32 v[42:43], v[12:13], v[30:31]
	s_waitcnt vmcnt(4)
	v_fma_f64 v[8:9], v[14:15], v[32:33], -v[24:25]
	v_add_f64 v[10:11], v[10:11], v[40:41]
	v_add_f64 v[2:3], v[2:3], v[6:7]
	v_fmac_f64_e32 v[44:45], v[16:17], v[32:33]
	v_add_f64 v[4:5], v[10:11], v[42:43]
	v_add_f64 v[2:3], v[2:3], v[8:9]
	;; [unrolled: 1-line block ×3, first 2 shown]
	s_waitcnt vmcnt(2)
	v_add_f64 v[2:3], v[34:35], -v[2:3]
	s_waitcnt vmcnt(0)
	v_add_f64 v[4:5], v[36:37], -v[4:5]
	buffer_store_dword v2, off, s[0:3], 0 offset:576
	buffer_store_dword v3, off, s[0:3], 0 offset:580
	;; [unrolled: 1-line block ×4, first 2 shown]
	s_and_saveexec_b64 s[4:5], vcc
	s_cbranch_execz .LBB39_185
; %bb.184:
	v_accvgpr_read_b32 v1, a85
	buffer_load_dword v2, v1, s[0:3], 0 offen
	buffer_load_dword v3, v1, s[0:3], 0 offen offset:4
	buffer_load_dword v4, v1, s[0:3], 0 offen offset:8
	;; [unrolled: 1-line block ×3, first 2 shown]
	v_mov_b32_e32 v1, 0
	v_accvgpr_read_b32 v6, a119
	buffer_store_dword v1, off, s[0:3], 0 offset:560
	buffer_store_dword v1, off, s[0:3], 0 offset:564
	;; [unrolled: 1-line block ×4, first 2 shown]
	s_waitcnt vmcnt(4)
	ds_write_b128 v6, v[2:5]
.LBB39_185:
	s_or_b64 exec, exec, s[4:5]
	s_waitcnt lgkmcnt(0)
	; wave barrier
	s_waitcnt lgkmcnt(0)
	buffer_load_dword v22, off, s[0:3], 0 offset:584
	buffer_load_dword v23, off, s[0:3], 0 offset:588
	;; [unrolled: 1-line block ×24, first 2 shown]
	v_mov_b32_e32 v1, 0
	ds_read_b128 v[2:5], v1 offset:1200
	ds_read_b128 v[6:9], v1 offset:1216
	;; [unrolled: 1-line block ×5, first 2 shown]
	v_cmp_lt_u32_e32 vcc, 33, v0
	s_waitcnt vmcnt(22) lgkmcnt(4)
	v_mul_f64 v[46:47], v[2:3], v[22:23]
	v_mul_f64 v[22:23], v[4:5], v[22:23]
	s_waitcnt vmcnt(20) lgkmcnt(3)
	v_mul_f64 v[48:49], v[6:7], v[24:25]
	v_mul_f64 v[24:25], v[8:9], v[24:25]
	;; [unrolled: 3-line block ×4, first 2 shown]
	s_waitcnt vmcnt(13) lgkmcnt(0)
	v_mul_f64 v[54:55], v[18:19], v[28:29]
	s_waitcnt vmcnt(11)
	v_fma_f64 v[2:3], v[2:3], v[34:35], -v[22:23]
	v_fmac_f64_e32 v[46:47], v[4:5], v[34:35]
	s_waitcnt vmcnt(9)
	v_fma_f64 v[4:5], v[6:7], v[36:37], -v[24:25]
	v_add_f64 v[2:3], v[2:3], 0
	v_fmac_f64_e32 v[48:49], v[8:9], v[36:37]
	s_waitcnt vmcnt(7)
	v_fmac_f64_e32 v[50:51], v[12:13], v[38:39]
	v_fma_f64 v[6:7], v[10:11], v[38:39], -v[26:27]
	v_add_f64 v[12:13], v[46:47], 0
	v_add_f64 v[2:3], v[2:3], v[4:5]
	v_mul_f64 v[28:29], v[20:21], v[28:29]
	s_waitcnt vmcnt(5)
	v_fma_f64 v[8:9], v[14:15], v[40:41], -v[32:33]
	v_add_f64 v[12:13], v[12:13], v[48:49]
	v_add_f64 v[2:3], v[2:3], v[6:7]
	v_fmac_f64_e32 v[52:53], v[16:17], v[40:41]
	s_waitcnt vmcnt(4)
	v_fma_f64 v[10:11], v[18:19], v[30:31], -v[28:29]
	v_add_f64 v[4:5], v[12:13], v[50:51]
	v_add_f64 v[2:3], v[2:3], v[8:9]
	v_fmac_f64_e32 v[54:55], v[20:21], v[30:31]
	v_add_f64 v[4:5], v[4:5], v[52:53]
	v_add_f64 v[2:3], v[2:3], v[10:11]
	v_add_f64 v[4:5], v[4:5], v[54:55]
	s_waitcnt vmcnt(2)
	v_add_f64 v[2:3], v[42:43], -v[2:3]
	s_waitcnt vmcnt(0)
	v_add_f64 v[4:5], v[44:45], -v[4:5]
	buffer_store_dword v3, off, s[0:3], 0 offset:564
	buffer_store_dword v2, off, s[0:3], 0 offset:560
	;; [unrolled: 1-line block ×4, first 2 shown]
	s_and_saveexec_b64 s[4:5], vcc
	s_cbranch_execz .LBB39_187
; %bb.186:
	v_accvgpr_read_b32 v5, a86
	buffer_load_dword v2, v5, s[0:3], 0 offen
	buffer_load_dword v3, v5, s[0:3], 0 offen offset:4
	buffer_load_dword v4, v5, s[0:3], 0 offen offset:8
	s_nop 0
	buffer_load_dword v5, v5, s[0:3], 0 offen offset:12
	v_accvgpr_read_b32 v6, a119
	buffer_store_dword v1, off, s[0:3], 0 offset:544
	buffer_store_dword v1, off, s[0:3], 0 offset:548
	;; [unrolled: 1-line block ×4, first 2 shown]
	s_waitcnt vmcnt(4)
	ds_write_b128 v6, v[2:5]
.LBB39_187:
	s_or_b64 exec, exec, s[4:5]
	s_waitcnt lgkmcnt(0)
	; wave barrier
	s_waitcnt lgkmcnt(0)
	buffer_load_dword v26, off, s[0:3], 0 offset:568
	buffer_load_dword v27, off, s[0:3], 0 offset:572
	buffer_load_dword v28, off, s[0:3], 0 offset:584
	buffer_load_dword v29, off, s[0:3], 0 offset:588
	buffer_load_dword v30, off, s[0:3], 0 offset:600
	buffer_load_dword v31, off, s[0:3], 0 offset:604
	buffer_load_dword v33, off, s[0:3], 0 offset:636
	buffer_load_dword v32, off, s[0:3], 0 offset:632
	buffer_load_dword v34, off, s[0:3], 0 offset:624
	buffer_load_dword v37, off, s[0:3], 0 offset:620
	buffer_load_dword v36, off, s[0:3], 0 offset:616
	buffer_load_dword v39, off, s[0:3], 0 offset:652
	buffer_load_dword v38, off, s[0:3], 0 offset:648
	buffer_load_dword v35, off, s[0:3], 0 offset:628
	buffer_load_dword v40, off, s[0:3], 0 offset:560
	buffer_load_dword v41, off, s[0:3], 0 offset:564
	buffer_load_dword v42, off, s[0:3], 0 offset:576
	buffer_load_dword v43, off, s[0:3], 0 offset:580
	buffer_load_dword v44, off, s[0:3], 0 offset:592
	buffer_load_dword v45, off, s[0:3], 0 offset:596
	buffer_load_dword v47, off, s[0:3], 0 offset:612
	buffer_load_dword v46, off, s[0:3], 0 offset:608
	buffer_load_dword v49, off, s[0:3], 0 offset:644
	buffer_load_dword v48, off, s[0:3], 0 offset:640
	buffer_load_dword v50, off, s[0:3], 0 offset:544
	buffer_load_dword v51, off, s[0:3], 0 offset:548
	buffer_load_dword v52, off, s[0:3], 0 offset:552
	buffer_load_dword v53, off, s[0:3], 0 offset:556
	ds_read_b128 v[2:5], v1 offset:1184
	ds_read_b128 v[6:9], v1 offset:1200
	;; [unrolled: 1-line block ×6, first 2 shown]
	v_cmp_lt_u32_e32 vcc, 32, v0
	s_waitcnt vmcnt(26) lgkmcnt(5)
	v_mul_f64 v[54:55], v[2:3], v[26:27]
	v_mul_f64 v[26:27], v[4:5], v[26:27]
	s_waitcnt vmcnt(24) lgkmcnt(4)
	v_mul_f64 v[56:57], v[6:7], v[28:29]
	v_mul_f64 v[28:29], v[8:9], v[28:29]
	;; [unrolled: 3-line block ×4, first 2 shown]
	s_waitcnt vmcnt(17)
	v_mul_f64 v[60:61], v[14:15], v[36:37]
	v_mul_f64 v[36:37], v[16:17], v[36:37]
	s_waitcnt vmcnt(15) lgkmcnt(0)
	v_mul_f64 v[64:65], v[22:23], v[38:39]
	v_mul_f64 v[38:39], v[24:25], v[38:39]
	s_waitcnt vmcnt(14)
	v_fmac_f64_e32 v[62:63], v[20:21], v[34:35]
	s_waitcnt vmcnt(12)
	v_fma_f64 v[2:3], v[2:3], v[40:41], -v[26:27]
	v_fmac_f64_e32 v[54:55], v[4:5], v[40:41]
	s_waitcnt vmcnt(10)
	v_fma_f64 v[4:5], v[6:7], v[42:43], -v[28:29]
	v_add_f64 v[2:3], v[2:3], 0
	v_fmac_f64_e32 v[56:57], v[8:9], v[42:43]
	s_waitcnt vmcnt(8)
	v_fma_f64 v[6:7], v[10:11], v[44:45], -v[30:31]
	s_waitcnt vmcnt(6)
	v_fma_f64 v[8:9], v[14:15], v[46:47], -v[36:37]
	v_add_f64 v[14:15], v[54:55], 0
	v_add_f64 v[2:3], v[2:3], v[4:5]
	v_fmac_f64_e32 v[58:59], v[12:13], v[44:45]
	v_add_f64 v[14:15], v[14:15], v[56:57]
	v_add_f64 v[2:3], v[2:3], v[6:7]
	v_fmac_f64_e32 v[60:61], v[16:17], v[46:47]
	v_fma_f64 v[10:11], v[18:19], v[34:35], -v[32:33]
	v_add_f64 v[4:5], v[14:15], v[58:59]
	v_add_f64 v[2:3], v[2:3], v[8:9]
	s_waitcnt vmcnt(4)
	v_fma_f64 v[12:13], v[22:23], v[48:49], -v[38:39]
	v_add_f64 v[4:5], v[4:5], v[60:61]
	v_add_f64 v[2:3], v[2:3], v[10:11]
	v_fmac_f64_e32 v[64:65], v[24:25], v[48:49]
	v_add_f64 v[4:5], v[4:5], v[62:63]
	v_add_f64 v[2:3], v[2:3], v[12:13]
	;; [unrolled: 1-line block ×3, first 2 shown]
	s_waitcnt vmcnt(2)
	v_add_f64 v[2:3], v[50:51], -v[2:3]
	s_waitcnt vmcnt(0)
	v_add_f64 v[4:5], v[52:53], -v[4:5]
	buffer_store_dword v3, off, s[0:3], 0 offset:548
	buffer_store_dword v2, off, s[0:3], 0 offset:544
	buffer_store_dword v5, off, s[0:3], 0 offset:556
	buffer_store_dword v4, off, s[0:3], 0 offset:552
	s_and_saveexec_b64 s[4:5], vcc
	s_cbranch_execz .LBB39_189
; %bb.188:
	v_accvgpr_read_b32 v1, a87
	buffer_load_dword v2, v1, s[0:3], 0 offen
	buffer_load_dword v3, v1, s[0:3], 0 offen offset:4
	buffer_load_dword v4, v1, s[0:3], 0 offen offset:8
	;; [unrolled: 1-line block ×3, first 2 shown]
	v_mov_b32_e32 v1, 0
	v_accvgpr_read_b32 v6, a119
	buffer_store_dword v1, off, s[0:3], 0 offset:528
	buffer_store_dword v1, off, s[0:3], 0 offset:532
	;; [unrolled: 1-line block ×4, first 2 shown]
	s_waitcnt vmcnt(4)
	ds_write_b128 v6, v[2:5]
.LBB39_189:
	s_or_b64 exec, exec, s[4:5]
	s_waitcnt lgkmcnt(0)
	; wave barrier
	s_waitcnt lgkmcnt(0)
	buffer_load_dword v30, off, s[0:3], 0 offset:552
	buffer_load_dword v31, off, s[0:3], 0 offset:556
	;; [unrolled: 1-line block ×32, first 2 shown]
	v_mov_b32_e32 v1, 0
	ds_read_b128 v[2:5], v1 offset:1168
	ds_read_b128 v[6:9], v1 offset:1184
	;; [unrolled: 1-line block ×7, first 2 shown]
	v_cmp_lt_u32_e32 vcc, 31, v0
	s_waitcnt vmcnt(30) lgkmcnt(6)
	v_mul_f64 v[62:63], v[2:3], v[30:31]
	v_mul_f64 v[30:31], v[4:5], v[30:31]
	s_waitcnt vmcnt(28) lgkmcnt(5)
	v_mul_f64 v[64:65], v[6:7], v[32:33]
	v_mul_f64 v[32:33], v[8:9], v[32:33]
	;; [unrolled: 3-line block ×4, first 2 shown]
	s_waitcnt vmcnt(21)
	v_mul_f64 v[68:69], v[14:15], v[40:41]
	v_mul_f64 v[40:41], v[16:17], v[40:41]
	s_waitcnt vmcnt(17) lgkmcnt(1)
	v_mul_f64 v[72:73], v[22:23], v[46:47]
	v_mul_f64 v[46:47], v[24:25], v[46:47]
	s_waitcnt vmcnt(16) lgkmcnt(0)
	v_mul_f64 v[74:75], v[26:27], v[42:43]
	v_mul_f64 v[42:43], v[28:29], v[42:43]
	s_waitcnt vmcnt(13)
	v_fma_f64 v[2:3], v[2:3], v[48:49], -v[30:31]
	v_fmac_f64_e32 v[62:63], v[4:5], v[48:49]
	s_waitcnt vmcnt(11)
	v_fma_f64 v[4:5], v[6:7], v[50:51], -v[32:33]
	v_add_f64 v[2:3], v[2:3], 0
	v_fmac_f64_e32 v[64:65], v[8:9], v[50:51]
	s_waitcnt vmcnt(9)
	v_fma_f64 v[6:7], v[10:11], v[52:53], -v[34:35]
	s_waitcnt vmcnt(7)
	v_fmac_f64_e32 v[68:69], v[16:17], v[54:55]
	v_add_f64 v[16:17], v[62:63], 0
	v_add_f64 v[2:3], v[2:3], v[4:5]
	v_fmac_f64_e32 v[66:67], v[12:13], v[52:53]
	v_fma_f64 v[8:9], v[14:15], v[54:55], -v[40:41]
	v_add_f64 v[16:17], v[16:17], v[64:65]
	v_add_f64 v[2:3], v[2:3], v[6:7]
	v_fma_f64 v[10:11], v[18:19], v[38:39], -v[36:37]
	v_add_f64 v[4:5], v[16:17], v[66:67]
	v_add_f64 v[2:3], v[2:3], v[8:9]
	v_fmac_f64_e32 v[70:71], v[20:21], v[38:39]
	s_waitcnt vmcnt(5)
	v_fma_f64 v[12:13], v[22:23], v[56:57], -v[46:47]
	v_add_f64 v[4:5], v[4:5], v[68:69]
	v_add_f64 v[2:3], v[2:3], v[10:11]
	v_fmac_f64_e32 v[72:73], v[24:25], v[56:57]
	s_waitcnt vmcnt(4)
	v_fma_f64 v[14:15], v[26:27], v[44:45], -v[42:43]
	v_add_f64 v[4:5], v[4:5], v[70:71]
	v_add_f64 v[2:3], v[2:3], v[12:13]
	v_fmac_f64_e32 v[74:75], v[28:29], v[44:45]
	v_add_f64 v[4:5], v[4:5], v[72:73]
	v_add_f64 v[2:3], v[2:3], v[14:15]
	;; [unrolled: 1-line block ×3, first 2 shown]
	s_waitcnt vmcnt(2)
	v_add_f64 v[2:3], v[58:59], -v[2:3]
	s_waitcnt vmcnt(0)
	v_add_f64 v[4:5], v[60:61], -v[4:5]
	buffer_store_dword v3, off, s[0:3], 0 offset:532
	buffer_store_dword v2, off, s[0:3], 0 offset:528
	;; [unrolled: 1-line block ×4, first 2 shown]
	s_and_saveexec_b64 s[4:5], vcc
	s_cbranch_execz .LBB39_191
; %bb.190:
	v_accvgpr_read_b32 v5, a88
	buffer_load_dword v2, v5, s[0:3], 0 offen
	buffer_load_dword v3, v5, s[0:3], 0 offen offset:4
	buffer_load_dword v4, v5, s[0:3], 0 offen offset:8
	s_nop 0
	buffer_load_dword v5, v5, s[0:3], 0 offen offset:12
	v_accvgpr_read_b32 v6, a119
	buffer_store_dword v1, off, s[0:3], 0 offset:512
	buffer_store_dword v1, off, s[0:3], 0 offset:516
	;; [unrolled: 1-line block ×4, first 2 shown]
	s_waitcnt vmcnt(4)
	ds_write_b128 v6, v[2:5]
.LBB39_191:
	s_or_b64 exec, exec, s[4:5]
	s_waitcnt lgkmcnt(0)
	; wave barrier
	s_waitcnt lgkmcnt(0)
	buffer_load_dword v34, off, s[0:3], 0 offset:536
	buffer_load_dword v35, off, s[0:3], 0 offset:540
	;; [unrolled: 1-line block ×36, first 2 shown]
	ds_read_b128 v[2:5], v1 offset:1152
	ds_read_b128 v[6:9], v1 offset:1168
	;; [unrolled: 1-line block ×8, first 2 shown]
	v_cmp_lt_u32_e32 vcc, 30, v0
	s_waitcnt vmcnt(34) lgkmcnt(7)
	v_mul_f64 v[70:71], v[2:3], v[34:35]
	v_mul_f64 v[34:35], v[4:5], v[34:35]
	s_waitcnt vmcnt(32) lgkmcnt(6)
	v_mul_f64 v[72:73], v[6:7], v[36:37]
	v_mul_f64 v[36:37], v[8:9], v[36:37]
	;; [unrolled: 3-line block ×4, first 2 shown]
	s_waitcnt vmcnt(25)
	v_mul_f64 v[76:77], v[14:15], v[44:45]
	v_mul_f64 v[44:45], v[16:17], v[44:45]
	s_waitcnt vmcnt(23) lgkmcnt(1)
	v_mul_f64 v[82:83], v[26:27], v[46:47]
	v_mul_f64 v[46:47], v[28:29], v[46:47]
	s_waitcnt vmcnt(20)
	v_mul_f64 v[80:81], v[22:23], v[50:51]
	v_mul_f64 v[50:51], v[24:25], v[50:51]
	s_waitcnt vmcnt(18) lgkmcnt(0)
	v_mul_f64 v[84:85], v[30:31], v[52:53]
	s_waitcnt vmcnt(17)
	v_fmac_f64_e32 v[78:79], v[20:21], v[42:43]
	s_waitcnt vmcnt(16)
	v_fmac_f64_e32 v[82:83], v[28:29], v[48:49]
	s_waitcnt vmcnt(14)
	v_fma_f64 v[2:3], v[2:3], v[54:55], -v[34:35]
	v_fmac_f64_e32 v[70:71], v[4:5], v[54:55]
	s_waitcnt vmcnt(12)
	v_fma_f64 v[4:5], v[6:7], v[56:57], -v[36:37]
	v_add_f64 v[2:3], v[2:3], 0
	v_fmac_f64_e32 v[72:73], v[8:9], v[56:57]
	s_waitcnt vmcnt(10)
	v_fma_f64 v[6:7], v[10:11], v[58:59], -v[38:39]
	s_waitcnt vmcnt(8)
	v_fmac_f64_e32 v[76:77], v[16:17], v[60:61]
	v_add_f64 v[16:17], v[70:71], 0
	v_add_f64 v[2:3], v[2:3], v[4:5]
	v_fmac_f64_e32 v[74:75], v[12:13], v[58:59]
	v_fma_f64 v[8:9], v[14:15], v[60:61], -v[44:45]
	v_add_f64 v[16:17], v[16:17], v[72:73]
	v_add_f64 v[2:3], v[2:3], v[6:7]
	v_fma_f64 v[10:11], v[18:19], v[42:43], -v[40:41]
	v_add_f64 v[4:5], v[16:17], v[74:75]
	v_add_f64 v[2:3], v[2:3], v[8:9]
	s_waitcnt vmcnt(6)
	v_fma_f64 v[12:13], v[22:23], v[62:63], -v[50:51]
	v_add_f64 v[4:5], v[4:5], v[76:77]
	v_add_f64 v[2:3], v[2:3], v[10:11]
	v_fmac_f64_e32 v[80:81], v[24:25], v[62:63]
	v_fma_f64 v[14:15], v[26:27], v[48:49], -v[46:47]
	v_add_f64 v[4:5], v[4:5], v[78:79]
	v_add_f64 v[2:3], v[2:3], v[12:13]
	v_mul_f64 v[6:7], v[32:33], v[52:53]
	v_add_f64 v[4:5], v[4:5], v[80:81]
	v_add_f64 v[2:3], v[2:3], v[14:15]
	s_waitcnt vmcnt(4)
	v_fma_f64 v[6:7], v[30:31], v[64:65], -v[6:7]
	v_fmac_f64_e32 v[84:85], v[32:33], v[64:65]
	v_add_f64 v[4:5], v[4:5], v[82:83]
	v_add_f64 v[2:3], v[2:3], v[6:7]
	;; [unrolled: 1-line block ×3, first 2 shown]
	s_waitcnt vmcnt(2)
	v_add_f64 v[2:3], v[66:67], -v[2:3]
	s_waitcnt vmcnt(0)
	v_add_f64 v[4:5], v[68:69], -v[4:5]
	buffer_store_dword v3, off, s[0:3], 0 offset:516
	buffer_store_dword v2, off, s[0:3], 0 offset:512
	;; [unrolled: 1-line block ×4, first 2 shown]
	s_and_saveexec_b64 s[4:5], vcc
	s_cbranch_execz .LBB39_193
; %bb.192:
	v_accvgpr_read_b32 v1, a89
	buffer_load_dword v2, v1, s[0:3], 0 offen
	buffer_load_dword v3, v1, s[0:3], 0 offen offset:4
	buffer_load_dword v4, v1, s[0:3], 0 offen offset:8
	buffer_load_dword v5, v1, s[0:3], 0 offen offset:12
	v_mov_b32_e32 v1, 0
	v_accvgpr_read_b32 v6, a119
	buffer_store_dword v1, off, s[0:3], 0 offset:496
	buffer_store_dword v1, off, s[0:3], 0 offset:500
	;; [unrolled: 1-line block ×4, first 2 shown]
	s_waitcnt vmcnt(4)
	ds_write_b128 v6, v[2:5]
.LBB39_193:
	s_or_b64 exec, exec, s[4:5]
	s_waitcnt lgkmcnt(0)
	; wave barrier
	s_waitcnt lgkmcnt(0)
	buffer_load_dword v38, off, s[0:3], 0 offset:520
	buffer_load_dword v39, off, s[0:3], 0 offset:524
	;; [unrolled: 1-line block ×40, first 2 shown]
	v_mov_b32_e32 v1, 0
	ds_read_b128 v[2:5], v1 offset:1136
	ds_read_b128 v[6:9], v1 offset:1152
	;; [unrolled: 1-line block ×9, first 2 shown]
	v_cmp_lt_u32_e32 vcc, 29, v0
	s_waitcnt vmcnt(38) lgkmcnt(8)
	v_mul_f64 v[78:79], v[2:3], v[38:39]
	v_mul_f64 v[38:39], v[4:5], v[38:39]
	s_waitcnt vmcnt(36) lgkmcnt(7)
	v_mul_f64 v[80:81], v[6:7], v[40:41]
	v_mul_f64 v[40:41], v[8:9], v[40:41]
	;; [unrolled: 3-line block ×3, first 2 shown]
	s_waitcnt vmcnt(32) lgkmcnt(4)
	v_mul_f64 v[86:87], v[18:19], v[44:45]
	s_waitcnt vmcnt(30)
	v_fmac_f64_e32 v[86:87], v[20:21], v[46:47]
	s_waitcnt vmcnt(28)
	v_mul_f64 v[84:85], v[14:15], v[48:49]
	v_mul_f64 v[48:49], v[16:17], v[48:49]
	s_waitcnt vmcnt(26) lgkmcnt(2)
	v_mul_f64 v[90:91], v[26:27], v[50:51]
	s_waitcnt vmcnt(24)
	v_fmac_f64_e32 v[90:91], v[28:29], v[52:53]
	s_waitcnt vmcnt(22)
	v_mul_f64 v[88:89], v[22:23], v[54:55]
	s_waitcnt vmcnt(18) lgkmcnt(1)
	v_mul_f64 v[92:93], v[30:31], v[60:61]
	s_waitcnt vmcnt(17) lgkmcnt(0)
	v_mul_f64 v[94:95], v[34:35], v[56:57]
	s_waitcnt vmcnt(15)
	v_fma_f64 v[2:3], v[2:3], v[62:63], -v[38:39]
	v_fmac_f64_e32 v[78:79], v[4:5], v[62:63]
	s_waitcnt vmcnt(13)
	v_fma_f64 v[4:5], v[6:7], v[64:65], -v[40:41]
	v_add_f64 v[2:3], v[2:3], 0
	s_waitcnt vmcnt(11)
	v_fma_f64 v[6:7], v[10:11], v[66:67], -v[42:43]
	v_add_f64 v[2:3], v[2:3], v[4:5]
	v_fmac_f64_e32 v[80:81], v[8:9], v[64:65]
	s_waitcnt vmcnt(9)
	v_fma_f64 v[8:9], v[14:15], v[68:69], -v[48:49]
	v_add_f64 v[2:3], v[2:3], v[6:7]
	v_mul_f64 v[6:7], v[20:21], v[44:45]
	v_add_f64 v[2:3], v[2:3], v[8:9]
	v_fma_f64 v[6:7], v[18:19], v[46:47], -v[6:7]
	v_add_f64 v[2:3], v[2:3], v[6:7]
	v_mul_f64 v[6:7], v[24:25], v[54:55]
	v_add_f64 v[10:11], v[78:79], 0
	s_waitcnt vmcnt(7)
	v_fma_f64 v[6:7], v[22:23], v[70:71], -v[6:7]
	v_fmac_f64_e32 v[82:83], v[12:13], v[66:67]
	v_add_f64 v[10:11], v[10:11], v[80:81]
	v_add_f64 v[2:3], v[2:3], v[6:7]
	v_mul_f64 v[6:7], v[28:29], v[50:51]
	v_fmac_f64_e32 v[84:85], v[16:17], v[68:69]
	v_add_f64 v[4:5], v[10:11], v[82:83]
	v_fma_f64 v[6:7], v[26:27], v[52:53], -v[6:7]
	v_add_f64 v[4:5], v[4:5], v[84:85]
	v_add_f64 v[2:3], v[2:3], v[6:7]
	v_mul_f64 v[6:7], v[32:33], v[60:61]
	v_fmac_f64_e32 v[88:89], v[24:25], v[70:71]
	v_add_f64 v[4:5], v[4:5], v[86:87]
	s_waitcnt vmcnt(5)
	v_fma_f64 v[6:7], v[30:31], v[72:73], -v[6:7]
	v_add_f64 v[4:5], v[4:5], v[88:89]
	v_add_f64 v[2:3], v[2:3], v[6:7]
	v_mul_f64 v[6:7], v[36:37], v[56:57]
	v_fmac_f64_e32 v[92:93], v[32:33], v[72:73]
	v_add_f64 v[4:5], v[4:5], v[90:91]
	s_waitcnt vmcnt(4)
	v_fma_f64 v[6:7], v[34:35], v[58:59], -v[6:7]
	v_fmac_f64_e32 v[94:95], v[36:37], v[58:59]
	v_add_f64 v[4:5], v[4:5], v[92:93]
	v_add_f64 v[2:3], v[2:3], v[6:7]
	;; [unrolled: 1-line block ×3, first 2 shown]
	s_waitcnt vmcnt(2)
	v_add_f64 v[2:3], v[74:75], -v[2:3]
	s_waitcnt vmcnt(0)
	v_add_f64 v[4:5], v[76:77], -v[4:5]
	buffer_store_dword v3, off, s[0:3], 0 offset:500
	buffer_store_dword v2, off, s[0:3], 0 offset:496
	;; [unrolled: 1-line block ×4, first 2 shown]
	s_and_saveexec_b64 s[4:5], vcc
	s_cbranch_execz .LBB39_195
; %bb.194:
	v_accvgpr_read_b32 v5, a90
	buffer_load_dword v2, v5, s[0:3], 0 offen
	buffer_load_dword v3, v5, s[0:3], 0 offen offset:4
	buffer_load_dword v4, v5, s[0:3], 0 offen offset:8
	s_nop 0
	buffer_load_dword v5, v5, s[0:3], 0 offen offset:12
	v_accvgpr_read_b32 v6, a119
	buffer_store_dword v1, off, s[0:3], 0 offset:480
	buffer_store_dword v1, off, s[0:3], 0 offset:484
	;; [unrolled: 1-line block ×4, first 2 shown]
	s_waitcnt vmcnt(4)
	ds_write_b128 v6, v[2:5]
.LBB39_195:
	s_or_b64 exec, exec, s[4:5]
	s_waitcnt lgkmcnt(0)
	; wave barrier
	s_waitcnt lgkmcnt(0)
	buffer_load_dword v4, off, s[0:3], 0 offset:496
	buffer_load_dword v5, off, s[0:3], 0 offset:500
	;; [unrolled: 1-line block ×44, first 2 shown]
	ds_read_b128 v[6:9], v1 offset:1120
	ds_read_b128 v[10:13], v1 offset:1136
	;; [unrolled: 1-line block ×10, first 2 shown]
	v_cmp_lt_u32_e32 vcc, 28, v0
	s_waitcnt vmcnt(40) lgkmcnt(9)
	v_mul_f64 v[86:87], v[6:7], v[46:47]
	v_mul_f64 v[46:47], v[8:9], v[46:47]
	s_waitcnt vmcnt(38) lgkmcnt(8)
	v_mul_f64 v[88:89], v[10:11], v[48:49]
	v_mul_f64 v[48:49], v[12:13], v[48:49]
	v_fmac_f64_e32 v[86:87], v[8:9], v[4:5]
	v_fma_f64 v[4:5], v[6:7], v[4:5], -v[46:47]
	s_waitcnt vmcnt(36) lgkmcnt(7)
	v_mul_f64 v[90:91], v[14:15], v[2:3]
	v_add_f64 v[4:5], v[4:5], 0
	v_mul_f64 v[2:3], v[16:17], v[2:3]
	v_add_f64 v[8:9], v[86:87], 0
	s_waitcnt vmcnt(30) lgkmcnt(6)
	v_mul_f64 v[92:93], v[18:19], v[54:55]
	s_waitcnt lgkmcnt(5)
	v_mul_f64 v[94:95], v[22:23], v[50:51]
	v_fmac_f64_e32 v[94:95], v[24:25], v[52:53]
	s_waitcnt vmcnt(28) lgkmcnt(3)
	v_mul_f64 v[98:99], v[30:31], v[56:57]
	s_waitcnt vmcnt(26)
	v_fmac_f64_e32 v[98:99], v[32:33], v[58:59]
	s_waitcnt vmcnt(24)
	v_mul_f64 v[96:97], v[26:27], v[60:61]
	s_waitcnt vmcnt(22) lgkmcnt(1)
	v_mul_f64 v[102:103], v[38:39], v[62:63]
	s_waitcnt vmcnt(20)
	v_fmac_f64_e32 v[102:103], v[40:41], v[64:65]
	s_waitcnt vmcnt(18)
	v_mul_f64 v[100:101], v[34:35], v[66:67]
	s_waitcnt vmcnt(16) lgkmcnt(0)
	v_mul_f64 v[104:105], v[42:43], v[68:69]
	s_waitcnt vmcnt(14)
	v_fma_f64 v[6:7], v[10:11], v[70:71], -v[48:49]
	v_add_f64 v[4:5], v[4:5], v[6:7]
	s_waitcnt vmcnt(12)
	v_fma_f64 v[2:3], v[14:15], v[72:73], -v[2:3]
	v_add_f64 v[2:3], v[4:5], v[2:3]
	v_mul_f64 v[4:5], v[20:21], v[54:55]
	s_waitcnt vmcnt(10)
	v_fma_f64 v[4:5], v[18:19], v[74:75], -v[4:5]
	v_add_f64 v[2:3], v[2:3], v[4:5]
	v_mul_f64 v[4:5], v[24:25], v[50:51]
	v_fma_f64 v[4:5], v[22:23], v[52:53], -v[4:5]
	v_add_f64 v[2:3], v[2:3], v[4:5]
	v_mul_f64 v[4:5], v[28:29], v[60:61]
	s_waitcnt vmcnt(8)
	v_fma_f64 v[4:5], v[26:27], v[76:77], -v[4:5]
	v_fmac_f64_e32 v[88:89], v[12:13], v[70:71]
	v_add_f64 v[2:3], v[2:3], v[4:5]
	v_mul_f64 v[4:5], v[32:33], v[56:57]
	v_fmac_f64_e32 v[90:91], v[16:17], v[72:73]
	v_add_f64 v[8:9], v[8:9], v[88:89]
	v_fma_f64 v[4:5], v[30:31], v[58:59], -v[4:5]
	v_fmac_f64_e32 v[92:93], v[20:21], v[74:75]
	v_add_f64 v[6:7], v[8:9], v[90:91]
	v_add_f64 v[2:3], v[2:3], v[4:5]
	v_mul_f64 v[4:5], v[36:37], v[66:67]
	v_add_f64 v[6:7], v[6:7], v[92:93]
	s_waitcnt vmcnt(6)
	v_fma_f64 v[4:5], v[34:35], v[78:79], -v[4:5]
	v_fmac_f64_e32 v[96:97], v[28:29], v[76:77]
	v_add_f64 v[6:7], v[6:7], v[94:95]
	v_add_f64 v[2:3], v[2:3], v[4:5]
	v_mul_f64 v[4:5], v[40:41], v[62:63]
	v_add_f64 v[6:7], v[6:7], v[96:97]
	v_fma_f64 v[4:5], v[38:39], v[64:65], -v[4:5]
	v_fmac_f64_e32 v[100:101], v[36:37], v[78:79]
	v_add_f64 v[6:7], v[6:7], v[98:99]
	v_add_f64 v[2:3], v[2:3], v[4:5]
	v_mul_f64 v[4:5], v[44:45], v[68:69]
	v_add_f64 v[6:7], v[6:7], v[100:101]
	s_waitcnt vmcnt(4)
	v_fma_f64 v[4:5], v[42:43], v[80:81], -v[4:5]
	v_fmac_f64_e32 v[104:105], v[44:45], v[80:81]
	v_add_f64 v[6:7], v[6:7], v[102:103]
	v_add_f64 v[2:3], v[2:3], v[4:5]
	v_add_f64 v[6:7], v[6:7], v[104:105]
	s_waitcnt vmcnt(2)
	v_add_f64 v[2:3], v[82:83], -v[2:3]
	s_waitcnt vmcnt(0)
	v_add_f64 v[4:5], v[84:85], -v[6:7]
	buffer_store_dword v3, off, s[0:3], 0 offset:484
	buffer_store_dword v2, off, s[0:3], 0 offset:480
	;; [unrolled: 1-line block ×4, first 2 shown]
	s_and_saveexec_b64 s[4:5], vcc
	s_cbranch_execz .LBB39_197
; %bb.196:
	v_accvgpr_read_b32 v1, a91
	buffer_load_dword v2, v1, s[0:3], 0 offen
	buffer_load_dword v3, v1, s[0:3], 0 offen offset:4
	buffer_load_dword v4, v1, s[0:3], 0 offen offset:8
	;; [unrolled: 1-line block ×3, first 2 shown]
	v_mov_b32_e32 v1, 0
	v_accvgpr_read_b32 v6, a119
	buffer_store_dword v1, off, s[0:3], 0 offset:464
	buffer_store_dword v1, off, s[0:3], 0 offset:468
	;; [unrolled: 1-line block ×4, first 2 shown]
	s_waitcnt vmcnt(4)
	ds_write_b128 v6, v[2:5]
.LBB39_197:
	s_or_b64 exec, exec, s[4:5]
	s_waitcnt lgkmcnt(0)
	; wave barrier
	s_waitcnt lgkmcnt(0)
	buffer_load_dword v2, off, s[0:3], 0 offset:480
	buffer_load_dword v3, off, s[0:3], 0 offset:484
	;; [unrolled: 1-line block ×48, first 2 shown]
	v_mov_b32_e32 v1, 0
	ds_read_b128 v[12:15], v1 offset:1104
	ds_read_b128 v[16:19], v1 offset:1120
	;; [unrolled: 1-line block ×11, first 2 shown]
	v_cmp_lt_u32_e32 vcc, 27, v0
	s_waitcnt vmcnt(44) lgkmcnt(10)
	v_mul_f64 v[94:95], v[12:13], v[6:7]
	v_mul_f64 v[6:7], v[14:15], v[6:7]
	v_fmac_f64_e32 v[94:95], v[14:15], v[2:3]
	v_fma_f64 v[2:3], v[12:13], v[2:3], -v[6:7]
	s_waitcnt vmcnt(40) lgkmcnt(9)
	v_mul_f64 v[96:97], v[16:17], v[8:9]
	v_mul_f64 v[6:7], v[18:19], v[8:9]
	v_fmac_f64_e32 v[96:97], v[18:19], v[4:5]
	v_add_f64 v[2:3], v[2:3], 0
	v_fma_f64 v[4:5], v[16:17], v[4:5], -v[6:7]
	v_add_f64 v[2:3], v[2:3], v[4:5]
	s_waitcnt vmcnt(38) lgkmcnt(8)
	v_mul_f64 v[4:5], v[22:23], v[10:11]
	v_mul_f64 v[98:99], v[20:21], v[10:11]
	v_add_f64 v[94:95], v[94:95], 0
	s_waitcnt vmcnt(32) lgkmcnt(7)
	v_mul_f64 v[100:101], v[24:25], v[60:61]
	v_add_f64 v[94:95], v[94:95], v[96:97]
	s_waitcnt lgkmcnt(6)
	v_mul_f64 v[102:103], v[28:29], v[56:57]
	v_fmac_f64_e32 v[102:103], v[30:31], v[58:59]
	s_waitcnt vmcnt(30) lgkmcnt(4)
	v_mul_f64 v[106:107], v[36:37], v[62:63]
	s_waitcnt vmcnt(26)
	v_mul_f64 v[104:105], v[32:33], v[66:67]
	v_fmac_f64_e32 v[106:107], v[38:39], v[64:65]
	s_waitcnt vmcnt(24) lgkmcnt(2)
	v_mul_f64 v[110:111], v[44:45], v[68:69]
	s_waitcnt vmcnt(22)
	v_fmac_f64_e32 v[110:111], v[46:47], v[70:71]
	s_waitcnt vmcnt(20)
	v_mul_f64 v[108:109], v[40:41], v[72:73]
	s_waitcnt vmcnt(16) lgkmcnt(1)
	v_mul_f64 v[112:113], v[48:49], v[78:79]
	s_waitcnt vmcnt(14)
	v_fma_f64 v[4:5], v[20:21], v[80:81], -v[4:5]
	v_add_f64 v[2:3], v[2:3], v[4:5]
	v_mul_f64 v[4:5], v[26:27], v[60:61]
	s_waitcnt vmcnt(12)
	v_fma_f64 v[4:5], v[24:25], v[82:83], -v[4:5]
	v_add_f64 v[2:3], v[2:3], v[4:5]
	v_mul_f64 v[4:5], v[30:31], v[56:57]
	v_fma_f64 v[4:5], v[28:29], v[58:59], -v[4:5]
	v_add_f64 v[2:3], v[2:3], v[4:5]
	v_mul_f64 v[4:5], v[34:35], v[66:67]
	s_waitcnt vmcnt(10)
	v_fma_f64 v[4:5], v[32:33], v[84:85], -v[4:5]
	v_add_f64 v[2:3], v[2:3], v[4:5]
	v_mul_f64 v[4:5], v[38:39], v[62:63]
	v_fma_f64 v[4:5], v[36:37], v[64:65], -v[4:5]
	v_fmac_f64_e32 v[98:99], v[22:23], v[80:81]
	v_add_f64 v[2:3], v[2:3], v[4:5]
	v_mul_f64 v[4:5], v[42:43], v[72:73]
	v_fmac_f64_e32 v[100:101], v[26:27], v[82:83]
	v_add_f64 v[94:95], v[94:95], v[98:99]
	s_waitcnt vmcnt(8)
	v_fma_f64 v[4:5], v[40:41], v[86:87], -v[4:5]
	v_add_f64 v[94:95], v[94:95], v[100:101]
	v_add_f64 v[2:3], v[2:3], v[4:5]
	v_mul_f64 v[4:5], v[46:47], v[68:69]
	v_fmac_f64_e32 v[104:105], v[34:35], v[84:85]
	v_add_f64 v[94:95], v[94:95], v[102:103]
	v_fma_f64 v[4:5], v[44:45], v[70:71], -v[4:5]
	v_add_f64 v[94:95], v[94:95], v[104:105]
	v_add_f64 v[2:3], v[2:3], v[4:5]
	v_mul_f64 v[4:5], v[50:51], v[78:79]
	v_fmac_f64_e32 v[108:109], v[42:43], v[86:87]
	v_add_f64 v[94:95], v[94:95], v[106:107]
	s_waitcnt vmcnt(6)
	v_fma_f64 v[4:5], v[48:49], v[88:89], -v[4:5]
	v_add_f64 v[94:95], v[94:95], v[108:109]
	v_add_f64 v[2:3], v[2:3], v[4:5]
	s_waitcnt vmcnt(5) lgkmcnt(0)
	v_mul_f64 v[4:5], v[54:55], v[74:75]
	v_fmac_f64_e32 v[112:113], v[50:51], v[88:89]
	v_add_f64 v[94:95], v[94:95], v[110:111]
	v_mul_f64 v[96:97], v[52:53], v[74:75]
	s_waitcnt vmcnt(4)
	v_fma_f64 v[4:5], v[52:53], v[76:77], -v[4:5]
	v_add_f64 v[94:95], v[94:95], v[112:113]
	v_fmac_f64_e32 v[96:97], v[54:55], v[76:77]
	v_add_f64 v[2:3], v[2:3], v[4:5]
	v_add_f64 v[94:95], v[94:95], v[96:97]
	s_waitcnt vmcnt(2)
	v_add_f64 v[2:3], v[90:91], -v[2:3]
	s_waitcnt vmcnt(0)
	v_add_f64 v[4:5], v[92:93], -v[94:95]
	buffer_store_dword v3, off, s[0:3], 0 offset:468
	buffer_store_dword v2, off, s[0:3], 0 offset:464
	;; [unrolled: 1-line block ×4, first 2 shown]
	s_and_saveexec_b64 s[4:5], vcc
	s_cbranch_execz .LBB39_199
; %bb.198:
	v_accvgpr_read_b32 v5, a92
	buffer_load_dword v2, v5, s[0:3], 0 offen
	buffer_load_dword v3, v5, s[0:3], 0 offen offset:4
	buffer_load_dword v4, v5, s[0:3], 0 offen offset:8
	s_nop 0
	buffer_load_dword v5, v5, s[0:3], 0 offen offset:12
	v_accvgpr_read_b32 v6, a119
	buffer_store_dword v1, off, s[0:3], 0 offset:448
	buffer_store_dword v1, off, s[0:3], 0 offset:452
	;; [unrolled: 1-line block ×4, first 2 shown]
	s_waitcnt vmcnt(4)
	ds_write_b128 v6, v[2:5]
.LBB39_199:
	s_or_b64 exec, exec, s[4:5]
	s_waitcnt lgkmcnt(0)
	; wave barrier
	s_waitcnt lgkmcnt(0)
	buffer_load_dword v2, off, s[0:3], 0 offset:464
	buffer_load_dword v3, off, s[0:3], 0 offset:468
	;; [unrolled: 1-line block ×52, first 2 shown]
	ds_read_b128 v[12:15], v1 offset:1088
	ds_read_b128 v[16:19], v1 offset:1104
	;; [unrolled: 1-line block ×10, first 2 shown]
	v_cmp_lt_u32_e32 vcc, 26, v0
	s_waitcnt vmcnt(48) lgkmcnt(9)
	v_mul_f64 v[52:53], v[12:13], v[6:7]
	v_mul_f64 v[6:7], v[14:15], v[6:7]
	v_fmac_f64_e32 v[52:53], v[14:15], v[2:3]
	v_fma_f64 v[2:3], v[12:13], v[2:3], -v[6:7]
	s_waitcnt vmcnt(44) lgkmcnt(8)
	v_mul_f64 v[54:55], v[16:17], v[8:9]
	v_mul_f64 v[6:7], v[18:19], v[8:9]
	v_fmac_f64_e32 v[54:55], v[18:19], v[4:5]
	v_add_f64 v[2:3], v[2:3], 0
	v_fma_f64 v[4:5], v[16:17], v[4:5], -v[6:7]
	v_add_f64 v[2:3], v[2:3], v[4:5]
	s_waitcnt vmcnt(42) lgkmcnt(7)
	v_mul_f64 v[4:5], v[22:23], v[10:11]
	v_mul_f64 v[56:57], v[20:21], v[10:11]
	v_add_f64 v[52:53], v[52:53], 0
	s_waitcnt vmcnt(36) lgkmcnt(6)
	v_mul_f64 v[58:59], v[24:25], v[64:65]
	v_add_f64 v[52:53], v[52:53], v[54:55]
	s_waitcnt lgkmcnt(5)
	v_mul_f64 v[102:103], v[28:29], v[60:61]
	v_fmac_f64_e32 v[102:103], v[30:31], v[62:63]
	s_waitcnt vmcnt(34) lgkmcnt(3)
	v_mul_f64 v[106:107], v[36:37], v[66:67]
	s_waitcnt vmcnt(30)
	v_mul_f64 v[104:105], v[32:33], v[70:71]
	v_fmac_f64_e32 v[106:107], v[38:39], v[68:69]
	s_waitcnt vmcnt(26) lgkmcnt(2)
	v_mul_f64 v[108:109], v[40:41], v[76:77]
	s_waitcnt vmcnt(25) lgkmcnt(1)
	v_mul_f64 v[110:111], v[44:45], v[72:73]
	s_waitcnt vmcnt(23)
	v_fma_f64 v[4:5], v[20:21], v[78:79], -v[4:5]
	v_add_f64 v[2:3], v[2:3], v[4:5]
	v_mul_f64 v[4:5], v[26:27], v[64:65]
	s_waitcnt vmcnt(21)
	v_fma_f64 v[4:5], v[24:25], v[80:81], -v[4:5]
	v_fmac_f64_e32 v[56:57], v[22:23], v[78:79]
	v_add_f64 v[2:3], v[2:3], v[4:5]
	v_mul_f64 v[4:5], v[30:31], v[60:61]
	v_fmac_f64_e32 v[58:59], v[26:27], v[80:81]
	v_add_f64 v[52:53], v[52:53], v[56:57]
	v_fma_f64 v[4:5], v[28:29], v[62:63], -v[4:5]
	v_add_f64 v[52:53], v[52:53], v[58:59]
	v_add_f64 v[2:3], v[2:3], v[4:5]
	v_mul_f64 v[4:5], v[34:35], v[70:71]
	s_waitcnt vmcnt(19)
	v_fmac_f64_e32 v[104:105], v[34:35], v[82:83]
	v_add_f64 v[52:53], v[52:53], v[102:103]
	v_fma_f64 v[4:5], v[32:33], v[82:83], -v[4:5]
	v_add_f64 v[52:53], v[52:53], v[104:105]
	v_add_f64 v[2:3], v[2:3], v[4:5]
	v_mul_f64 v[4:5], v[38:39], v[66:67]
	s_waitcnt vmcnt(17)
	v_fmac_f64_e32 v[108:109], v[42:43], v[84:85]
	v_add_f64 v[52:53], v[52:53], v[106:107]
	v_fma_f64 v[4:5], v[36:37], v[68:69], -v[4:5]
	s_waitcnt vmcnt(16)
	v_fmac_f64_e32 v[110:111], v[46:47], v[74:75]
	v_add_f64 v[52:53], v[52:53], v[108:109]
	v_add_f64 v[2:3], v[2:3], v[4:5]
	v_mul_f64 v[4:5], v[42:43], v[76:77]
	v_add_f64 v[102:103], v[52:53], v[110:111]
	ds_read_b128 v[52:55], v1 offset:1248
	ds_read_b128 v[56:59], v1 offset:1264
	v_fma_f64 v[4:5], v[40:41], v[84:85], -v[4:5]
	v_add_f64 v[2:3], v[2:3], v[4:5]
	v_mul_f64 v[4:5], v[46:47], v[72:73]
	v_fma_f64 v[4:5], v[44:45], v[74:75], -v[4:5]
	v_add_f64 v[2:3], v[2:3], v[4:5]
	s_waitcnt vmcnt(12) lgkmcnt(2)
	v_mul_f64 v[4:5], v[50:51], v[90:91]
	v_mul_f64 v[104:105], v[48:49], v[90:91]
	s_waitcnt vmcnt(10)
	v_fma_f64 v[4:5], v[48:49], v[92:93], -v[4:5]
	v_fmac_f64_e32 v[104:105], v[50:51], v[92:93]
	v_add_f64 v[2:3], v[2:3], v[4:5]
	s_waitcnt vmcnt(8) lgkmcnt(1)
	v_mul_f64 v[4:5], v[54:55], v[86:87]
	v_add_f64 v[102:103], v[102:103], v[104:105]
	v_mul_f64 v[104:105], v[52:53], v[86:87]
	v_fma_f64 v[4:5], v[52:53], v[88:89], -v[4:5]
	v_fmac_f64_e32 v[104:105], v[54:55], v[88:89]
	v_add_f64 v[2:3], v[2:3], v[4:5]
	s_waitcnt vmcnt(6) lgkmcnt(0)
	v_mul_f64 v[4:5], v[58:59], v[94:95]
	v_add_f64 v[102:103], v[102:103], v[104:105]
	v_mul_f64 v[104:105], v[56:57], v[94:95]
	s_waitcnt vmcnt(4)
	v_fma_f64 v[4:5], v[56:57], v[96:97], -v[4:5]
	v_fmac_f64_e32 v[104:105], v[58:59], v[96:97]
	v_add_f64 v[2:3], v[2:3], v[4:5]
	v_add_f64 v[102:103], v[102:103], v[104:105]
	s_waitcnt vmcnt(2)
	v_add_f64 v[2:3], v[98:99], -v[2:3]
	s_waitcnt vmcnt(0)
	v_add_f64 v[4:5], v[100:101], -v[102:103]
	buffer_store_dword v3, off, s[0:3], 0 offset:452
	buffer_store_dword v2, off, s[0:3], 0 offset:448
	;; [unrolled: 1-line block ×4, first 2 shown]
	s_and_saveexec_b64 s[4:5], vcc
	s_cbranch_execz .LBB39_201
; %bb.200:
	v_accvgpr_read_b32 v1, a93
	buffer_load_dword v2, v1, s[0:3], 0 offen
	buffer_load_dword v3, v1, s[0:3], 0 offen offset:4
	buffer_load_dword v4, v1, s[0:3], 0 offen offset:8
	;; [unrolled: 1-line block ×3, first 2 shown]
	v_mov_b32_e32 v1, 0
	v_accvgpr_read_b32 v6, a119
	buffer_store_dword v1, off, s[0:3], 0 offset:432
	buffer_store_dword v1, off, s[0:3], 0 offset:436
	;; [unrolled: 1-line block ×4, first 2 shown]
	s_waitcnt vmcnt(4)
	ds_write_b128 v6, v[2:5]
.LBB39_201:
	s_or_b64 exec, exec, s[4:5]
	s_waitcnt lgkmcnt(0)
	; wave barrier
	s_waitcnt lgkmcnt(0)
	buffer_load_dword v2, off, s[0:3], 0 offset:448
	buffer_load_dword v3, off, s[0:3], 0 offset:452
	;; [unrolled: 1-line block ×56, first 2 shown]
	v_mov_b32_e32 v1, 0
	ds_read_b128 v[18:21], v1 offset:1072
	ds_read_b128 v[22:25], v1 offset:1088
	;; [unrolled: 1-line block ×9, first 2 shown]
	v_cmp_lt_u32_e32 vcc, 25, v0
	s_waitcnt vmcnt(52) lgkmcnt(8)
	v_mul_f64 v[50:51], v[18:19], v[6:7]
	v_fmac_f64_e32 v[50:51], v[20:21], v[2:3]
	v_mul_f64 v[6:7], v[20:21], v[6:7]
	v_add_f64 v[50:51], v[50:51], 0
	s_waitcnt vmcnt(48) lgkmcnt(7)
	v_mul_f64 v[52:53], v[22:23], v[8:9]
	v_fmac_f64_e32 v[52:53], v[24:25], v[4:5]
	s_waitcnt vmcnt(46) lgkmcnt(6)
	v_mul_f64 v[54:55], v[26:27], v[10:11]
	v_fma_f64 v[2:3], v[18:19], v[2:3], -v[6:7]
	v_mul_f64 v[6:7], v[24:25], v[8:9]
	v_add_f64 v[50:51], v[50:51], v[52:53]
	v_add_f64 v[2:3], v[2:3], 0
	v_fma_f64 v[4:5], v[22:23], v[4:5], -v[6:7]
	s_waitcnt vmcnt(40) lgkmcnt(5)
	v_mul_f64 v[56:57], v[30:31], v[16:17]
	s_waitcnt lgkmcnt(4)
	v_mul_f64 v[58:59], v[34:35], v[12:13]
	v_add_f64 v[2:3], v[2:3], v[4:5]
	v_mul_f64 v[4:5], v[28:29], v[10:11]
	s_waitcnt vmcnt(36) lgkmcnt(3)
	v_mul_f64 v[60:61], v[38:39], v[74:75]
	v_fmac_f64_e32 v[58:59], v[36:37], v[14:15]
	s_waitcnt vmcnt(35) lgkmcnt(2)
	v_mul_f64 v[62:63], v[42:43], v[70:71]
	s_waitcnt vmcnt(33)
	v_fmac_f64_e32 v[54:55], v[28:29], v[76:77]
	v_add_f64 v[50:51], v[50:51], v[54:55]
	s_waitcnt vmcnt(31)
	v_fmac_f64_e32 v[56:57], v[32:33], v[78:79]
	v_add_f64 v[50:51], v[50:51], v[56:57]
	v_fma_f64 v[4:5], v[26:27], v[76:77], -v[4:5]
	s_waitcnt vmcnt(29)
	v_fmac_f64_e32 v[60:61], v[40:41], v[80:81]
	v_add_f64 v[50:51], v[50:51], v[58:59]
	v_add_f64 v[2:3], v[2:3], v[4:5]
	v_mul_f64 v[4:5], v[32:33], v[16:17]
	s_waitcnt vmcnt(28)
	v_fmac_f64_e32 v[62:63], v[44:45], v[72:73]
	v_add_f64 v[50:51], v[50:51], v[60:61]
	v_fma_f64 v[4:5], v[30:31], v[78:79], -v[4:5]
	v_add_f64 v[54:55], v[50:51], v[62:63]
	ds_read_b128 v[50:53], v1 offset:1200
	s_waitcnt vmcnt(24) lgkmcnt(2)
	v_mul_f64 v[56:57], v[46:47], v[86:87]
	v_add_f64 v[2:3], v[2:3], v[4:5]
	v_mul_f64 v[4:5], v[36:37], v[12:13]
	s_waitcnt vmcnt(22)
	v_fmac_f64_e32 v[56:57], v[48:49], v[88:89]
	v_fma_f64 v[4:5], v[34:35], v[14:15], -v[4:5]
	v_add_f64 v[58:59], v[54:55], v[56:57]
	ds_read_b128 v[54:57], v1 offset:1216
	v_add_f64 v[2:3], v[2:3], v[4:5]
	v_mul_f64 v[4:5], v[40:41], v[74:75]
	v_fma_f64 v[4:5], v[38:39], v[80:81], -v[4:5]
	v_add_f64 v[2:3], v[2:3], v[4:5]
	v_mul_f64 v[4:5], v[44:45], v[70:71]
	s_waitcnt vmcnt(20) lgkmcnt(1)
	v_mul_f64 v[60:61], v[50:51], v[82:83]
	v_fma_f64 v[4:5], v[42:43], v[72:73], -v[4:5]
	v_fmac_f64_e32 v[60:61], v[52:53], v[84:85]
	v_add_f64 v[2:3], v[2:3], v[4:5]
	v_mul_f64 v[4:5], v[48:49], v[86:87]
	v_add_f64 v[62:63], v[58:59], v[60:61]
	ds_read_b128 v[58:61], v1 offset:1232
	s_waitcnt vmcnt(16) lgkmcnt(1)
	v_mul_f64 v[64:65], v[54:55], v[94:95]
	v_fma_f64 v[4:5], v[46:47], v[88:89], -v[4:5]
	s_waitcnt vmcnt(14)
	v_fmac_f64_e32 v[64:65], v[56:57], v[96:97]
	v_add_f64 v[2:3], v[2:3], v[4:5]
	v_mul_f64 v[4:5], v[52:53], v[82:83]
	v_add_f64 v[110:111], v[62:63], v[64:65]
	ds_read_b128 v[62:65], v1 offset:1248
	v_fma_f64 v[4:5], v[50:51], v[84:85], -v[4:5]
	v_add_f64 v[2:3], v[2:3], v[4:5]
	v_mul_f64 v[4:5], v[56:57], v[94:95]
	v_fma_f64 v[4:5], v[54:55], v[96:97], -v[4:5]
	v_add_f64 v[2:3], v[2:3], v[4:5]
	s_waitcnt vmcnt(12) lgkmcnt(1)
	v_mul_f64 v[4:5], v[60:61], v[90:91]
	v_mul_f64 v[112:113], v[58:59], v[90:91]
	v_fma_f64 v[4:5], v[58:59], v[92:93], -v[4:5]
	v_fmac_f64_e32 v[112:113], v[60:61], v[92:93]
	v_add_f64 v[2:3], v[2:3], v[4:5]
	s_waitcnt vmcnt(8) lgkmcnt(0)
	v_mul_f64 v[4:5], v[64:65], v[102:103]
	v_add_f64 v[110:111], v[110:111], v[112:113]
	v_mul_f64 v[112:113], v[62:63], v[102:103]
	s_waitcnt vmcnt(6)
	v_fma_f64 v[4:5], v[62:63], v[104:105], -v[4:5]
	v_fmac_f64_e32 v[112:113], v[64:65], v[104:105]
	v_add_f64 v[2:3], v[2:3], v[4:5]
	s_waitcnt vmcnt(5)
	v_mul_f64 v[4:5], v[68:69], v[98:99]
	v_add_f64 v[110:111], v[110:111], v[112:113]
	v_mul_f64 v[112:113], v[66:67], v[98:99]
	s_waitcnt vmcnt(4)
	v_fma_f64 v[4:5], v[66:67], v[100:101], -v[4:5]
	v_fmac_f64_e32 v[112:113], v[68:69], v[100:101]
	v_add_f64 v[2:3], v[2:3], v[4:5]
	v_add_f64 v[110:111], v[110:111], v[112:113]
	s_waitcnt vmcnt(2)
	v_add_f64 v[2:3], v[106:107], -v[2:3]
	s_waitcnt vmcnt(0)
	v_add_f64 v[4:5], v[108:109], -v[110:111]
	buffer_store_dword v3, off, s[0:3], 0 offset:436
	buffer_store_dword v2, off, s[0:3], 0 offset:432
	;; [unrolled: 1-line block ×4, first 2 shown]
	s_and_saveexec_b64 s[4:5], vcc
	s_cbranch_execz .LBB39_203
; %bb.202:
	v_accvgpr_read_b32 v5, a94
	buffer_load_dword v2, v5, s[0:3], 0 offen
	buffer_load_dword v3, v5, s[0:3], 0 offen offset:4
	buffer_load_dword v4, v5, s[0:3], 0 offen offset:8
	s_nop 0
	buffer_load_dword v5, v5, s[0:3], 0 offen offset:12
	v_accvgpr_read_b32 v6, a119
	buffer_store_dword v1, off, s[0:3], 0 offset:416
	buffer_store_dword v1, off, s[0:3], 0 offset:420
	;; [unrolled: 1-line block ×4, first 2 shown]
	s_waitcnt vmcnt(4)
	ds_write_b128 v6, v[2:5]
.LBB39_203:
	s_or_b64 exec, exec, s[4:5]
	s_waitcnt lgkmcnt(0)
	; wave barrier
	s_waitcnt lgkmcnt(0)
	buffer_load_dword v2, off, s[0:3], 0 offset:432
	buffer_load_dword v3, off, s[0:3], 0 offset:436
	buffer_load_dword v6, off, s[0:3], 0 offset:440
	buffer_load_dword v7, off, s[0:3], 0 offset:444
	buffer_load_dword v4, off, s[0:3], 0 offset:448
	buffer_load_dword v5, off, s[0:3], 0 offset:452
	buffer_load_dword v8, off, s[0:3], 0 offset:456
	buffer_load_dword v9, off, s[0:3], 0 offset:460
	buffer_load_dword v10, off, s[0:3], 0 offset:472
	buffer_load_dword v11, off, s[0:3], 0 offset:476
	buffer_load_dword v13, off, s[0:3], 0 offset:508
	buffer_load_dword v12, off, s[0:3], 0 offset:504
	buffer_load_dword v15, off, s[0:3], 0 offset:500
	buffer_load_dword v14, off, s[0:3], 0 offset:496
	buffer_load_dword v17, off, s[0:3], 0 offset:492
	buffer_load_dword v16, off, s[0:3], 0 offset:488
	buffer_load_dword v18, off, s[0:3], 0 offset:536
	buffer_load_dword v20, off, s[0:3], 0 offset:528
	buffer_load_dword v23, off, s[0:3], 0 offset:524
	buffer_load_dword v22, off, s[0:3], 0 offset:520
	buffer_load_dword v80, off, s[0:3], 0 offset:464
	buffer_load_dword v81, off, s[0:3], 0 offset:468
	buffer_load_dword v83, off, s[0:3], 0 offset:484
	buffer_load_dword v82, off, s[0:3], 0 offset:480
	buffer_load_dword v85, off, s[0:3], 0 offset:516
	buffer_load_dword v84, off, s[0:3], 0 offset:512
	buffer_load_dword v21, off, s[0:3], 0 offset:532
	buffer_load_dword v19, off, s[0:3], 0 offset:540
	buffer_load_dword v86, off, s[0:3], 0 offset:568
	buffer_load_dword v88, off, s[0:3], 0 offset:560
	buffer_load_dword v91, off, s[0:3], 0 offset:556
	buffer_load_dword v90, off, s[0:3], 0 offset:552
	buffer_load_dword v93, off, s[0:3], 0 offset:548
	buffer_load_dword v92, off, s[0:3], 0 offset:544
	buffer_load_dword v89, off, s[0:3], 0 offset:564
	buffer_load_dword v87, off, s[0:3], 0 offset:572
	buffer_load_dword v94, off, s[0:3], 0 offset:600
	buffer_load_dword v96, off, s[0:3], 0 offset:592
	buffer_load_dword v99, off, s[0:3], 0 offset:588
	buffer_load_dword v98, off, s[0:3], 0 offset:584
	buffer_load_dword v101, off, s[0:3], 0 offset:580
	buffer_load_dword v100, off, s[0:3], 0 offset:576
	buffer_load_dword v97, off, s[0:3], 0 offset:596
	buffer_load_dword v95, off, s[0:3], 0 offset:604
	buffer_load_dword v102, off, s[0:3], 0 offset:632
	buffer_load_dword v104, off, s[0:3], 0 offset:624
	buffer_load_dword v107, off, s[0:3], 0 offset:620
	buffer_load_dword v106, off, s[0:3], 0 offset:616
	buffer_load_dword v109, off, s[0:3], 0 offset:612
	buffer_load_dword v108, off, s[0:3], 0 offset:608
	buffer_load_dword v105, off, s[0:3], 0 offset:628
	buffer_load_dword v103, off, s[0:3], 0 offset:636
	buffer_load_dword v111, off, s[0:3], 0 offset:652
	buffer_load_dword v110, off, s[0:3], 0 offset:648
	buffer_load_dword v113, off, s[0:3], 0 offset:644
	buffer_load_dword v112, off, s[0:3], 0 offset:640
	buffer_load_dword v114, off, s[0:3], 0 offset:416
	buffer_load_dword v115, off, s[0:3], 0 offset:420
	buffer_load_dword v116, off, s[0:3], 0 offset:424
	buffer_load_dword v117, off, s[0:3], 0 offset:428
	ds_read_b128 v[24:27], v1 offset:1056
	ds_read_b128 v[28:31], v1 offset:1072
	;; [unrolled: 1-line block ×8, first 2 shown]
	v_cmp_lt_u32_e32 vcc, 24, v0
	ds_read_b128 v[76:79], v1 offset:1264
	s_waitcnt vmcnt(56) lgkmcnt(8)
	v_mul_f64 v[56:57], v[24:25], v[6:7]
	v_fmac_f64_e32 v[56:57], v[26:27], v[2:3]
	v_add_f64 v[56:57], v[56:57], 0
	v_mul_f64 v[6:7], v[26:27], v[6:7]
	s_waitcnt vmcnt(52) lgkmcnt(7)
	v_mul_f64 v[58:59], v[28:29], v[8:9]
	v_fmac_f64_e32 v[58:59], v[30:31], v[4:5]
	s_waitcnt vmcnt(50) lgkmcnt(6)
	v_mul_f64 v[60:61], v[32:33], v[10:11]
	v_add_f64 v[56:57], v[56:57], v[58:59]
	s_waitcnt vmcnt(48) lgkmcnt(4)
	v_mul_f64 v[64:65], v[40:41], v[12:13]
	v_fma_f64 v[2:3], v[24:25], v[2:3], -v[6:7]
	s_waitcnt vmcnt(46)
	v_fmac_f64_e32 v[64:65], v[42:43], v[14:15]
	v_mul_f64 v[6:7], v[30:31], v[8:9]
	s_waitcnt vmcnt(44)
	v_mul_f64 v[62:63], v[36:37], v[16:17]
	v_add_f64 v[2:3], v[2:3], 0
	v_fma_f64 v[4:5], v[28:29], v[4:5], -v[6:7]
	v_add_f64 v[2:3], v[2:3], v[4:5]
	s_waitcnt vmcnt(40) lgkmcnt(3)
	v_mul_f64 v[66:67], v[44:45], v[22:23]
	v_mul_f64 v[4:5], v[34:35], v[10:11]
	s_waitcnt vmcnt(38)
	v_fmac_f64_e32 v[60:61], v[34:35], v[80:81]
	v_add_f64 v[56:57], v[56:57], v[60:61]
	s_waitcnt vmcnt(36)
	v_fmac_f64_e32 v[62:63], v[38:39], v[82:83]
	v_add_f64 v[56:57], v[56:57], v[62:63]
	;; [unrolled: 3-line block ×3, first 2 shown]
	s_waitcnt vmcnt(32) lgkmcnt(2)
	v_mul_f64 v[58:59], v[48:49], v[18:19]
	v_add_f64 v[56:57], v[56:57], v[66:67]
	v_fmac_f64_e32 v[58:59], v[50:51], v[20:21]
	v_add_f64 v[60:61], v[56:57], v[58:59]
	ds_read_b128 v[56:59], v1 offset:1184
	v_fma_f64 v[4:5], v[32:33], v[80:81], -v[4:5]
	v_add_f64 v[2:3], v[2:3], v[4:5]
	v_mul_f64 v[4:5], v[38:39], v[16:17]
	v_fma_f64 v[4:5], v[36:37], v[82:83], -v[4:5]
	s_waitcnt vmcnt(28) lgkmcnt(2)
	v_mul_f64 v[62:63], v[52:53], v[90:91]
	v_add_f64 v[2:3], v[2:3], v[4:5]
	v_mul_f64 v[4:5], v[42:43], v[12:13]
	s_waitcnt vmcnt(26)
	v_fmac_f64_e32 v[62:63], v[54:55], v[92:93]
	v_fma_f64 v[4:5], v[40:41], v[14:15], -v[4:5]
	v_add_f64 v[64:65], v[60:61], v[62:63]
	ds_read_b128 v[60:63], v1 offset:1200
	s_waitcnt vmcnt(24) lgkmcnt(1)
	v_mul_f64 v[66:67], v[56:57], v[86:87]
	v_add_f64 v[2:3], v[2:3], v[4:5]
	v_mul_f64 v[4:5], v[46:47], v[22:23]
	v_fmac_f64_e32 v[66:67], v[58:59], v[88:89]
	v_fma_f64 v[4:5], v[44:45], v[84:85], -v[4:5]
	v_add_f64 v[68:69], v[64:65], v[66:67]
	ds_read_b128 v[64:67], v1 offset:1216
	v_add_f64 v[2:3], v[2:3], v[4:5]
	v_mul_f64 v[4:5], v[50:51], v[18:19]
	v_fma_f64 v[4:5], v[48:49], v[20:21], -v[4:5]
	v_add_f64 v[2:3], v[2:3], v[4:5]
	v_mul_f64 v[4:5], v[54:55], v[90:91]
	s_waitcnt vmcnt(20) lgkmcnt(1)
	v_mul_f64 v[70:71], v[60:61], v[98:99]
	v_fma_f64 v[4:5], v[52:53], v[92:93], -v[4:5]
	s_waitcnt vmcnt(18)
	v_fmac_f64_e32 v[70:71], v[62:63], v[100:101]
	v_add_f64 v[2:3], v[2:3], v[4:5]
	v_mul_f64 v[4:5], v[58:59], v[86:87]
	v_add_f64 v[72:73], v[68:69], v[70:71]
	ds_read_b128 v[68:71], v1 offset:1232
	s_waitcnt vmcnt(16) lgkmcnt(1)
	v_mul_f64 v[74:75], v[64:65], v[94:95]
	v_fma_f64 v[4:5], v[56:57], v[88:89], -v[4:5]
	v_fmac_f64_e32 v[74:75], v[66:67], v[96:97]
	v_add_f64 v[2:3], v[2:3], v[4:5]
	v_mul_f64 v[4:5], v[62:63], v[98:99]
	v_add_f64 v[118:119], v[72:73], v[74:75]
	ds_read_b128 v[72:75], v1 offset:1248
	v_fma_f64 v[4:5], v[60:61], v[100:101], -v[4:5]
	v_add_f64 v[2:3], v[2:3], v[4:5]
	v_mul_f64 v[4:5], v[66:67], v[94:95]
	v_fma_f64 v[4:5], v[64:65], v[96:97], -v[4:5]
	v_add_f64 v[2:3], v[2:3], v[4:5]
	s_waitcnt vmcnt(12) lgkmcnt(1)
	v_mul_f64 v[4:5], v[70:71], v[106:107]
	v_mul_f64 v[122:123], v[68:69], v[106:107]
	s_waitcnt vmcnt(10)
	v_fma_f64 v[4:5], v[68:69], v[108:109], -v[4:5]
	v_fmac_f64_e32 v[122:123], v[70:71], v[108:109]
	v_add_f64 v[2:3], v[2:3], v[4:5]
	s_waitcnt vmcnt(8) lgkmcnt(0)
	v_mul_f64 v[4:5], v[74:75], v[102:103]
	v_add_f64 v[118:119], v[118:119], v[122:123]
	v_mul_f64 v[122:123], v[72:73], v[102:103]
	v_fma_f64 v[4:5], v[72:73], v[104:105], -v[4:5]
	v_fmac_f64_e32 v[122:123], v[74:75], v[104:105]
	v_add_f64 v[2:3], v[2:3], v[4:5]
	s_waitcnt vmcnt(6)
	v_mul_f64 v[4:5], v[78:79], v[110:111]
	v_add_f64 v[118:119], v[118:119], v[122:123]
	v_mul_f64 v[122:123], v[76:77], v[110:111]
	s_waitcnt vmcnt(4)
	v_fma_f64 v[4:5], v[76:77], v[112:113], -v[4:5]
	v_fmac_f64_e32 v[122:123], v[78:79], v[112:113]
	v_add_f64 v[2:3], v[2:3], v[4:5]
	v_add_f64 v[118:119], v[118:119], v[122:123]
	s_waitcnt vmcnt(2)
	v_add_f64 v[2:3], v[114:115], -v[2:3]
	s_waitcnt vmcnt(0)
	v_add_f64 v[4:5], v[116:117], -v[118:119]
	buffer_store_dword v3, off, s[0:3], 0 offset:420
	buffer_store_dword v2, off, s[0:3], 0 offset:416
	;; [unrolled: 1-line block ×4, first 2 shown]
	s_and_saveexec_b64 s[4:5], vcc
	s_cbranch_execz .LBB39_205
; %bb.204:
	v_accvgpr_read_b32 v1, a95
	buffer_load_dword v2, v1, s[0:3], 0 offen
	buffer_load_dword v3, v1, s[0:3], 0 offen offset:4
	buffer_load_dword v4, v1, s[0:3], 0 offen offset:8
	buffer_load_dword v5, v1, s[0:3], 0 offen offset:12
	v_mov_b32_e32 v1, 0
	v_accvgpr_read_b32 v6, a119
	buffer_store_dword v1, off, s[0:3], 0 offset:400
	buffer_store_dword v1, off, s[0:3], 0 offset:404
	;; [unrolled: 1-line block ×4, first 2 shown]
	s_waitcnt vmcnt(4)
	ds_write_b128 v6, v[2:5]
.LBB39_205:
	s_or_b64 exec, exec, s[4:5]
	s_waitcnt lgkmcnt(0)
	; wave barrier
	s_waitcnt lgkmcnt(0)
	buffer_load_dword v2, off, s[0:3], 0 offset:416
	buffer_load_dword v3, off, s[0:3], 0 offset:420
	;; [unrolled: 1-line block ×64, first 2 shown]
	v_mov_b32_e32 v1, 0
	ds_read_b128 v[30:33], v1 offset:1040
	ds_read_b128 v[34:37], v1 offset:1056
	;; [unrolled: 1-line block ×7, first 2 shown]
	v_cmp_lt_u32_e32 vcc, 23, v0
	s_waitcnt vmcnt(60) lgkmcnt(6)
	v_mul_f64 v[54:55], v[30:31], v[6:7]
	v_fmac_f64_e32 v[54:55], v[32:33], v[2:3]
	v_add_f64 v[54:55], v[54:55], 0
	v_mul_f64 v[6:7], v[32:33], v[6:7]
	s_waitcnt vmcnt(56) lgkmcnt(5)
	v_mul_f64 v[56:57], v[34:35], v[8:9]
	v_fmac_f64_e32 v[56:57], v[36:37], v[4:5]
	s_waitcnt vmcnt(54) lgkmcnt(4)
	v_mul_f64 v[58:59], v[38:39], v[10:11]
	v_add_f64 v[54:55], v[54:55], v[56:57]
	v_fma_f64 v[2:3], v[30:31], v[2:3], -v[6:7]
	v_mul_f64 v[6:7], v[36:37], v[8:9]
	s_waitcnt vmcnt(50) lgkmcnt(3)
	v_mul_f64 v[60:61], v[42:43], v[16:17]
	s_waitcnt vmcnt(49) lgkmcnt(2)
	v_mul_f64 v[62:63], v[46:47], v[12:13]
	v_add_f64 v[2:3], v[2:3], 0
	s_waitcnt vmcnt(47)
	v_fmac_f64_e32 v[58:59], v[40:41], v[20:21]
	v_add_f64 v[54:55], v[54:55], v[58:59]
	s_waitcnt vmcnt(45)
	v_fmac_f64_e32 v[60:61], v[44:45], v[18:19]
	v_add_f64 v[54:55], v[54:55], v[60:61]
	s_waitcnt vmcnt(44)
	v_fmac_f64_e32 v[62:63], v[48:49], v[14:15]
	v_add_f64 v[58:59], v[54:55], v[62:63]
	ds_read_b128 v[54:57], v1 offset:1136
	s_waitcnt vmcnt(40) lgkmcnt(2)
	v_mul_f64 v[60:61], v[50:51], v[26:27]
	v_fma_f64 v[4:5], v[34:35], v[4:5], -v[6:7]
	s_waitcnt vmcnt(38)
	v_fmac_f64_e32 v[60:61], v[52:53], v[28:29]
	v_add_f64 v[62:63], v[58:59], v[60:61]
	ds_read_b128 v[58:61], v1 offset:1152
	s_waitcnt vmcnt(36) lgkmcnt(1)
	v_mul_f64 v[64:65], v[54:55], v[22:23]
	v_fmac_f64_e32 v[64:65], v[56:57], v[24:25]
	v_add_f64 v[2:3], v[2:3], v[4:5]
	v_mul_f64 v[4:5], v[40:41], v[10:11]
	v_add_f64 v[66:67], v[62:63], v[64:65]
	ds_read_b128 v[62:65], v1 offset:1168
	s_waitcnt vmcnt(32) lgkmcnt(1)
	v_mul_f64 v[68:69], v[58:59], v[94:95]
	v_fma_f64 v[4:5], v[38:39], v[20:21], -v[4:5]
	s_waitcnt vmcnt(30)
	v_fmac_f64_e32 v[68:69], v[60:61], v[96:97]
	v_add_f64 v[2:3], v[2:3], v[4:5]
	v_mul_f64 v[4:5], v[44:45], v[16:17]
	v_add_f64 v[70:71], v[66:67], v[68:69]
	ds_read_b128 v[66:69], v1 offset:1184
	v_fma_f64 v[4:5], v[42:43], v[18:19], -v[4:5]
	v_add_f64 v[2:3], v[2:3], v[4:5]
	v_mul_f64 v[4:5], v[48:49], v[12:13]
	v_fma_f64 v[4:5], v[46:47], v[14:15], -v[4:5]
	s_waitcnt vmcnt(28) lgkmcnt(1)
	v_mul_f64 v[72:73], v[62:63], v[90:91]
	v_add_f64 v[2:3], v[2:3], v[4:5]
	v_mul_f64 v[4:5], v[52:53], v[26:27]
	v_fmac_f64_e32 v[72:73], v[64:65], v[92:93]
	v_fma_f64 v[4:5], v[50:51], v[28:29], -v[4:5]
	v_add_f64 v[74:75], v[70:71], v[72:73]
	ds_read_b128 v[70:73], v1 offset:1200
	s_waitcnt vmcnt(24) lgkmcnt(1)
	v_mul_f64 v[76:77], v[66:67], v[102:103]
	v_add_f64 v[2:3], v[2:3], v[4:5]
	v_mul_f64 v[4:5], v[56:57], v[22:23]
	s_waitcnt vmcnt(22)
	v_fmac_f64_e32 v[76:77], v[68:69], v[104:105]
	v_fma_f64 v[4:5], v[54:55], v[24:25], -v[4:5]
	v_add_f64 v[78:79], v[74:75], v[76:77]
	ds_read_b128 v[74:77], v1 offset:1216
	v_add_f64 v[2:3], v[2:3], v[4:5]
	v_mul_f64 v[4:5], v[60:61], v[94:95]
	v_fma_f64 v[4:5], v[58:59], v[96:97], -v[4:5]
	v_add_f64 v[2:3], v[2:3], v[4:5]
	v_mul_f64 v[4:5], v[64:65], v[90:91]
	s_waitcnt vmcnt(20) lgkmcnt(1)
	v_mul_f64 v[80:81], v[70:71], v[98:99]
	v_fma_f64 v[4:5], v[62:63], v[92:93], -v[4:5]
	v_fmac_f64_e32 v[80:81], v[72:73], v[100:101]
	v_add_f64 v[2:3], v[2:3], v[4:5]
	v_mul_f64 v[4:5], v[68:69], v[102:103]
	v_add_f64 v[82:83], v[78:79], v[80:81]
	ds_read_b128 v[78:81], v1 offset:1232
	s_waitcnt vmcnt(16) lgkmcnt(1)
	v_mul_f64 v[84:85], v[74:75], v[110:111]
	v_fma_f64 v[4:5], v[66:67], v[104:105], -v[4:5]
	s_waitcnt vmcnt(14)
	v_fmac_f64_e32 v[84:85], v[76:77], v[112:113]
	v_add_f64 v[2:3], v[2:3], v[4:5]
	v_mul_f64 v[4:5], v[72:73], v[98:99]
	v_add_f64 v[128:129], v[82:83], v[84:85]
	ds_read_b128 v[82:85], v1 offset:1248
	v_fma_f64 v[4:5], v[70:71], v[100:101], -v[4:5]
	v_add_f64 v[2:3], v[2:3], v[4:5]
	v_mul_f64 v[4:5], v[76:77], v[110:111]
	v_fma_f64 v[4:5], v[74:75], v[112:113], -v[4:5]
	v_add_f64 v[2:3], v[2:3], v[4:5]
	s_waitcnt vmcnt(12) lgkmcnt(1)
	v_mul_f64 v[4:5], v[80:81], v[106:107]
	v_mul_f64 v[130:131], v[78:79], v[106:107]
	v_fma_f64 v[4:5], v[78:79], v[108:109], -v[4:5]
	v_fmac_f64_e32 v[130:131], v[80:81], v[108:109]
	v_add_f64 v[2:3], v[2:3], v[4:5]
	s_waitcnt vmcnt(8) lgkmcnt(0)
	v_mul_f64 v[4:5], v[84:85], v[118:119]
	v_add_f64 v[128:129], v[128:129], v[130:131]
	v_mul_f64 v[130:131], v[82:83], v[118:119]
	s_waitcnt vmcnt(6)
	v_fma_f64 v[4:5], v[82:83], v[122:123], -v[4:5]
	v_fmac_f64_e32 v[130:131], v[84:85], v[122:123]
	v_add_f64 v[2:3], v[2:3], v[4:5]
	s_waitcnt vmcnt(5)
	v_mul_f64 v[4:5], v[88:89], v[114:115]
	v_add_f64 v[128:129], v[128:129], v[130:131]
	v_mul_f64 v[130:131], v[86:87], v[114:115]
	s_waitcnt vmcnt(4)
	v_fma_f64 v[4:5], v[86:87], v[116:117], -v[4:5]
	v_fmac_f64_e32 v[130:131], v[88:89], v[116:117]
	v_add_f64 v[2:3], v[2:3], v[4:5]
	v_add_f64 v[128:129], v[128:129], v[130:131]
	s_waitcnt vmcnt(2)
	v_add_f64 v[2:3], v[124:125], -v[2:3]
	s_waitcnt vmcnt(0)
	v_add_f64 v[4:5], v[126:127], -v[128:129]
	buffer_store_dword v3, off, s[0:3], 0 offset:404
	buffer_store_dword v2, off, s[0:3], 0 offset:400
	;; [unrolled: 1-line block ×4, first 2 shown]
	s_and_saveexec_b64 s[4:5], vcc
	s_cbranch_execz .LBB39_207
; %bb.206:
	v_accvgpr_read_b32 v5, a96
	buffer_load_dword v2, v5, s[0:3], 0 offen
	buffer_load_dword v3, v5, s[0:3], 0 offen offset:4
	buffer_load_dword v4, v5, s[0:3], 0 offen offset:8
	s_nop 0
	buffer_load_dword v5, v5, s[0:3], 0 offen offset:12
	v_accvgpr_read_b32 v6, a119
	buffer_store_dword v1, off, s[0:3], 0 offset:384
	buffer_store_dword v1, off, s[0:3], 0 offset:388
	;; [unrolled: 1-line block ×4, first 2 shown]
	s_waitcnt vmcnt(4)
	ds_write_b128 v6, v[2:5]
.LBB39_207:
	s_or_b64 exec, exec, s[4:5]
	s_waitcnt lgkmcnt(0)
	; wave barrier
	s_waitcnt lgkmcnt(0)
	buffer_load_dword v2, off, s[0:3], 0 offset:400
	buffer_load_dword v3, off, s[0:3], 0 offset:404
	;; [unrolled: 1-line block ×64, first 2 shown]
	ds_read_b128 v[46:49], v1 offset:1024
	ds_read_b128 v[50:53], v1 offset:1040
	;; [unrolled: 1-line block ×4, first 2 shown]
	buffer_load_dword v132, off, s[0:3], 0 offset:384
	buffer_load_dword v133, off, s[0:3], 0 offset:388
	;; [unrolled: 1-line block ×4, first 2 shown]
	v_cmp_lt_u32_e32 vcc, 22, v0
	ds_read_b128 v[106:109], v1 offset:1264
	s_waitcnt vmcnt(62) lgkmcnt(4)
	v_mul_f64 v[62:63], v[46:47], v[4:5]
	v_fmac_f64_e32 v[62:63], v[48:49], v[2:3]
	v_add_f64 v[62:63], v[62:63], 0
	s_waitcnt lgkmcnt(2)
	v_mul_f64 v[66:67], v[54:55], v[6:7]
	v_mul_f64 v[4:5], v[48:49], v[4:5]
	v_fma_f64 v[2:3], v[46:47], v[2:3], -v[4:5]
	s_waitcnt vmcnt(58) lgkmcnt(1)
	v_mul_f64 v[68:69], v[58:59], v[12:13]
	v_add_f64 v[2:3], v[2:3], 0
	s_waitcnt vmcnt(56)
	v_mul_f64 v[64:65], v[50:51], v[18:19]
	v_mul_f64 v[4:5], v[52:53], v[18:19]
	s_waitcnt vmcnt(53)
	v_fmac_f64_e32 v[66:67], v[56:57], v[16:17]
	s_waitcnt vmcnt(52)
	v_fmac_f64_e32 v[64:65], v[52:53], v[20:21]
	v_add_f64 v[70:71], v[62:63], v[64:65]
	ds_read_b128 v[62:65], v1 offset:1088
	v_add_f64 v[66:67], v[70:71], v[66:67]
	s_waitcnt vmcnt(50)
	v_fmac_f64_e32 v[68:69], v[60:61], v[14:15]
	v_add_f64 v[70:71], v[66:67], v[68:69]
	ds_read_b128 v[66:69], v1 offset:1104
	s_waitcnt vmcnt(49) lgkmcnt(1)
	v_mul_f64 v[72:73], v[62:63], v[8:9]
	s_waitcnt vmcnt(48)
	v_fmac_f64_e32 v[72:73], v[64:65], v[10:11]
	v_add_f64 v[74:75], v[70:71], v[72:73]
	ds_read_b128 v[70:73], v1 offset:1120
	s_waitcnt vmcnt(44) lgkmcnt(1)
	v_mul_f64 v[76:77], v[66:67], v[26:27]
	s_waitcnt vmcnt(42)
	v_fmac_f64_e32 v[76:77], v[68:69], v[28:29]
	v_add_f64 v[78:79], v[74:75], v[76:77]
	ds_read_b128 v[74:77], v1 offset:1136
	s_waitcnt vmcnt(41) lgkmcnt(1)
	v_mul_f64 v[80:81], v[70:71], v[22:23]
	s_waitcnt vmcnt(40)
	v_fmac_f64_e32 v[80:81], v[72:73], v[24:25]
	v_add_f64 v[82:83], v[78:79], v[80:81]
	ds_read_b128 v[78:81], v1 offset:1152
	v_fma_f64 v[4:5], v[50:51], v[20:21], -v[4:5]
	v_add_f64 v[2:3], v[2:3], v[4:5]
	v_mul_f64 v[4:5], v[56:57], v[6:7]
	s_waitcnt vmcnt(36) lgkmcnt(1)
	v_mul_f64 v[84:85], v[74:75], v[34:35]
	v_fma_f64 v[4:5], v[54:55], v[16:17], -v[4:5]
	s_waitcnt vmcnt(34)
	v_fmac_f64_e32 v[84:85], v[76:77], v[36:37]
	v_add_f64 v[2:3], v[2:3], v[4:5]
	v_mul_f64 v[4:5], v[60:61], v[12:13]
	v_add_f64 v[86:87], v[82:83], v[84:85]
	ds_read_b128 v[82:85], v1 offset:1168
	s_waitcnt vmcnt(33) lgkmcnt(1)
	v_mul_f64 v[88:89], v[78:79], v[30:31]
	v_fma_f64 v[4:5], v[58:59], v[14:15], -v[4:5]
	s_waitcnt vmcnt(32)
	v_fmac_f64_e32 v[88:89], v[80:81], v[32:33]
	v_add_f64 v[2:3], v[2:3], v[4:5]
	v_mul_f64 v[4:5], v[64:65], v[8:9]
	v_add_f64 v[90:91], v[86:87], v[88:89]
	ds_read_b128 v[86:89], v1 offset:1184
	v_fma_f64 v[4:5], v[62:63], v[10:11], -v[4:5]
	v_add_f64 v[2:3], v[2:3], v[4:5]
	v_mul_f64 v[4:5], v[68:69], v[26:27]
	v_fma_f64 v[4:5], v[66:67], v[28:29], -v[4:5]
	s_waitcnt vmcnt(28) lgkmcnt(1)
	v_mul_f64 v[92:93], v[82:83], v[42:43]
	v_add_f64 v[2:3], v[2:3], v[4:5]
	v_mul_f64 v[4:5], v[72:73], v[22:23]
	s_waitcnt vmcnt(26)
	v_fmac_f64_e32 v[92:93], v[84:85], v[44:45]
	v_fma_f64 v[4:5], v[70:71], v[24:25], -v[4:5]
	v_add_f64 v[94:95], v[90:91], v[92:93]
	ds_read_b128 v[90:93], v1 offset:1200
	s_waitcnt vmcnt(25) lgkmcnt(1)
	v_mul_f64 v[96:97], v[86:87], v[38:39]
	v_add_f64 v[2:3], v[2:3], v[4:5]
	v_mul_f64 v[4:5], v[76:77], v[34:35]
	s_waitcnt vmcnt(24)
	v_fmac_f64_e32 v[96:97], v[88:89], v[40:41]
	v_fma_f64 v[4:5], v[74:75], v[36:37], -v[4:5]
	v_add_f64 v[98:99], v[94:95], v[96:97]
	ds_read_b128 v[94:97], v1 offset:1216
	v_add_f64 v[2:3], v[2:3], v[4:5]
	v_mul_f64 v[4:5], v[80:81], v[30:31]
	v_fma_f64 v[4:5], v[78:79], v[32:33], -v[4:5]
	v_add_f64 v[2:3], v[2:3], v[4:5]
	v_mul_f64 v[4:5], v[84:85], v[42:43]
	s_waitcnt vmcnt(20) lgkmcnt(1)
	v_mul_f64 v[100:101], v[90:91], v[114:115]
	v_fma_f64 v[4:5], v[82:83], v[44:45], -v[4:5]
	s_waitcnt vmcnt(18)
	v_fmac_f64_e32 v[100:101], v[92:93], v[116:117]
	v_add_f64 v[2:3], v[2:3], v[4:5]
	v_mul_f64 v[4:5], v[88:89], v[38:39]
	v_add_f64 v[102:103], v[98:99], v[100:101]
	ds_read_b128 v[98:101], v1 offset:1232
	s_waitcnt vmcnt(17) lgkmcnt(1)
	v_mul_f64 v[104:105], v[94:95], v[110:111]
	v_fma_f64 v[4:5], v[86:87], v[40:41], -v[4:5]
	s_waitcnt vmcnt(16)
	v_fmac_f64_e32 v[104:105], v[96:97], v[112:113]
	v_add_f64 v[2:3], v[2:3], v[4:5]
	v_mul_f64 v[4:5], v[92:93], v[114:115]
	v_add_f64 v[136:137], v[102:103], v[104:105]
	ds_read_b128 v[102:105], v1 offset:1248
	v_fma_f64 v[4:5], v[90:91], v[116:117], -v[4:5]
	v_add_f64 v[2:3], v[2:3], v[4:5]
	v_mul_f64 v[4:5], v[96:97], v[110:111]
	v_fma_f64 v[4:5], v[94:95], v[112:113], -v[4:5]
	v_add_f64 v[2:3], v[2:3], v[4:5]
	s_waitcnt vmcnt(12) lgkmcnt(1)
	v_mul_f64 v[4:5], v[100:101], v[124:125]
	v_mul_f64 v[138:139], v[98:99], v[124:125]
	s_waitcnt vmcnt(10)
	v_fma_f64 v[4:5], v[98:99], v[126:127], -v[4:5]
	v_fmac_f64_e32 v[138:139], v[100:101], v[126:127]
	v_add_f64 v[2:3], v[2:3], v[4:5]
	s_waitcnt vmcnt(9) lgkmcnt(0)
	v_mul_f64 v[4:5], v[104:105], v[118:119]
	v_add_f64 v[136:137], v[136:137], v[138:139]
	v_mul_f64 v[138:139], v[102:103], v[118:119]
	s_waitcnt vmcnt(8)
	v_fma_f64 v[4:5], v[102:103], v[122:123], -v[4:5]
	v_fmac_f64_e32 v[138:139], v[104:105], v[122:123]
	v_add_f64 v[2:3], v[2:3], v[4:5]
	s_waitcnt vmcnt(6)
	v_mul_f64 v[4:5], v[108:109], v[128:129]
	v_add_f64 v[136:137], v[136:137], v[138:139]
	v_mul_f64 v[138:139], v[106:107], v[128:129]
	s_waitcnt vmcnt(4)
	v_fma_f64 v[4:5], v[106:107], v[130:131], -v[4:5]
	v_fmac_f64_e32 v[138:139], v[108:109], v[130:131]
	v_add_f64 v[2:3], v[2:3], v[4:5]
	v_add_f64 v[136:137], v[136:137], v[138:139]
	s_waitcnt vmcnt(2)
	v_add_f64 v[2:3], v[132:133], -v[2:3]
	s_waitcnt vmcnt(0)
	v_add_f64 v[4:5], v[134:135], -v[136:137]
	buffer_store_dword v3, off, s[0:3], 0 offset:388
	buffer_store_dword v2, off, s[0:3], 0 offset:384
	;; [unrolled: 1-line block ×4, first 2 shown]
	s_and_saveexec_b64 s[4:5], vcc
	s_cbranch_execz .LBB39_209
; %bb.208:
	v_accvgpr_read_b32 v1, a97
	buffer_load_dword v2, v1, s[0:3], 0 offen
	buffer_load_dword v3, v1, s[0:3], 0 offen offset:4
	buffer_load_dword v4, v1, s[0:3], 0 offen offset:8
	;; [unrolled: 1-line block ×3, first 2 shown]
	v_mov_b32_e32 v1, 0
	v_accvgpr_read_b32 v6, a119
	buffer_store_dword v1, off, s[0:3], 0 offset:368
	buffer_store_dword v1, off, s[0:3], 0 offset:372
	;; [unrolled: 1-line block ×4, first 2 shown]
	s_waitcnt vmcnt(4)
	ds_write_b128 v6, v[2:5]
.LBB39_209:
	s_or_b64 exec, exec, s[4:5]
	s_waitcnt lgkmcnt(0)
	; wave barrier
	s_waitcnt lgkmcnt(0)
	buffer_load_dword v2, off, s[0:3], 0 offset:384
	buffer_load_dword v3, off, s[0:3], 0 offset:388
	;; [unrolled: 1-line block ×68, first 2 shown]
	v_mov_b32_e32 v1, 0
	buffer_load_dword v140, off, s[0:3], 0 offset:368
	buffer_load_dword v141, off, s[0:3], 0 offset:372
	;; [unrolled: 1-line block ×3, first 2 shown]
	ds_read_b128 v[46:49], v1 offset:1008
	ds_read_b128 v[50:53], v1 offset:1024
	buffer_load_dword v143, off, s[0:3], 0 offset:380
	ds_read_b128 v[54:57], v1 offset:1040
	ds_read_b128 v[58:61], v1 offset:1056
	;; [unrolled: 1-line block ×3, first 2 shown]
	v_cmp_lt_u32_e32 vcc, 21, v0
	s_waitcnt vmcnt(62) lgkmcnt(4)
	v_mul_f64 v[62:63], v[46:47], v[6:7]
	v_fmac_f64_e32 v[62:63], v[48:49], v[2:3]
	v_add_f64 v[62:63], v[62:63], 0
	v_mul_f64 v[6:7], v[48:49], v[6:7]
	s_waitcnt lgkmcnt(3)
	v_mul_f64 v[64:65], v[50:51], v[10:11]
	v_fmac_f64_e32 v[64:65], v[52:53], v[4:5]
	v_add_f64 v[62:63], v[62:63], v[64:65]
	v_fma_f64 v[2:3], v[46:47], v[2:3], -v[6:7]
	s_waitcnt vmcnt(60) lgkmcnt(2)
	v_mul_f64 v[64:65], v[54:55], v[12:13]
	v_fmac_f64_e32 v[64:65], v[56:57], v[8:9]
	v_add_f64 v[66:67], v[62:63], v[64:65]
	ds_read_b128 v[62:65], v1 offset:1072
	s_waitcnt vmcnt(56) lgkmcnt(2)
	v_mul_f64 v[68:69], v[58:59], v[18:19]
	v_mul_f64 v[6:7], v[52:53], v[10:11]
	s_waitcnt vmcnt(54)
	v_fmac_f64_e32 v[68:69], v[60:61], v[20:21]
	v_add_f64 v[70:71], v[66:67], v[68:69]
	ds_read_b128 v[66:69], v1 offset:1088
	s_waitcnt vmcnt(53) lgkmcnt(1)
	v_mul_f64 v[72:73], v[62:63], v[14:15]
	s_waitcnt vmcnt(52)
	v_fmac_f64_e32 v[72:73], v[64:65], v[16:17]
	v_add_f64 v[74:75], v[70:71], v[72:73]
	ds_read_b128 v[70:73], v1 offset:1104
	s_waitcnt vmcnt(48) lgkmcnt(1)
	;; [unrolled: 6-line block ×4, first 2 shown]
	v_mul_f64 v[84:85], v[74:75], v[34:35]
	s_waitcnt vmcnt(38)
	v_fmac_f64_e32 v[84:85], v[76:77], v[36:37]
	v_add_f64 v[2:3], v[2:3], 0
	v_fma_f64 v[4:5], v[50:51], v[4:5], -v[6:7]
	v_add_f64 v[86:87], v[82:83], v[84:85]
	ds_read_b128 v[82:85], v1 offset:1152
	v_add_f64 v[2:3], v[2:3], v[4:5]
	v_mul_f64 v[4:5], v[56:57], v[12:13]
	v_fma_f64 v[4:5], v[54:55], v[8:9], -v[4:5]
	v_add_f64 v[2:3], v[2:3], v[4:5]
	v_mul_f64 v[4:5], v[60:61], v[18:19]
	s_waitcnt vmcnt(37) lgkmcnt(1)
	v_mul_f64 v[88:89], v[78:79], v[30:31]
	v_fma_f64 v[4:5], v[58:59], v[20:21], -v[4:5]
	s_waitcnt vmcnt(36)
	v_fmac_f64_e32 v[88:89], v[80:81], v[32:33]
	v_add_f64 v[2:3], v[2:3], v[4:5]
	v_mul_f64 v[4:5], v[64:65], v[14:15]
	v_add_f64 v[90:91], v[86:87], v[88:89]
	ds_read_b128 v[86:89], v1 offset:1168
	s_waitcnt vmcnt(32) lgkmcnt(1)
	v_mul_f64 v[92:93], v[82:83], v[42:43]
	v_fma_f64 v[4:5], v[62:63], v[16:17], -v[4:5]
	s_waitcnt vmcnt(30)
	v_fmac_f64_e32 v[92:93], v[84:85], v[44:45]
	v_add_f64 v[2:3], v[2:3], v[4:5]
	v_mul_f64 v[4:5], v[68:69], v[26:27]
	v_add_f64 v[94:95], v[90:91], v[92:93]
	ds_read_b128 v[90:93], v1 offset:1184
	v_fma_f64 v[4:5], v[66:67], v[28:29], -v[4:5]
	v_add_f64 v[2:3], v[2:3], v[4:5]
	v_mul_f64 v[4:5], v[72:73], v[22:23]
	v_fma_f64 v[4:5], v[70:71], v[24:25], -v[4:5]
	s_waitcnt vmcnt(29) lgkmcnt(1)
	v_mul_f64 v[96:97], v[86:87], v[38:39]
	v_add_f64 v[2:3], v[2:3], v[4:5]
	v_mul_f64 v[4:5], v[76:77], v[34:35]
	s_waitcnt vmcnt(28)
	v_fmac_f64_e32 v[96:97], v[88:89], v[40:41]
	v_fma_f64 v[4:5], v[74:75], v[36:37], -v[4:5]
	v_add_f64 v[98:99], v[94:95], v[96:97]
	ds_read_b128 v[94:97], v1 offset:1200
	s_waitcnt vmcnt(24) lgkmcnt(1)
	v_mul_f64 v[100:101], v[90:91], v[118:119]
	v_add_f64 v[2:3], v[2:3], v[4:5]
	v_mul_f64 v[4:5], v[80:81], v[30:31]
	s_waitcnt vmcnt(22)
	v_fmac_f64_e32 v[100:101], v[92:93], v[122:123]
	v_fma_f64 v[4:5], v[78:79], v[32:33], -v[4:5]
	v_add_f64 v[102:103], v[98:99], v[100:101]
	ds_read_b128 v[98:101], v1 offset:1216
	v_add_f64 v[2:3], v[2:3], v[4:5]
	v_mul_f64 v[4:5], v[84:85], v[42:43]
	v_fma_f64 v[4:5], v[82:83], v[44:45], -v[4:5]
	v_add_f64 v[2:3], v[2:3], v[4:5]
	v_mul_f64 v[4:5], v[88:89], v[38:39]
	s_waitcnt vmcnt(21) lgkmcnt(1)
	v_mul_f64 v[104:105], v[94:95], v[114:115]
	v_fma_f64 v[4:5], v[86:87], v[40:41], -v[4:5]
	s_waitcnt vmcnt(20)
	v_fmac_f64_e32 v[104:105], v[96:97], v[116:117]
	v_add_f64 v[2:3], v[2:3], v[4:5]
	v_mul_f64 v[4:5], v[92:93], v[118:119]
	v_add_f64 v[106:107], v[102:103], v[104:105]
	ds_read_b128 v[102:105], v1 offset:1232
	s_waitcnt vmcnt(16) lgkmcnt(1)
	v_mul_f64 v[108:109], v[98:99], v[128:129]
	v_fma_f64 v[4:5], v[90:91], v[122:123], -v[4:5]
	s_waitcnt vmcnt(14)
	v_fmac_f64_e32 v[108:109], v[100:101], v[130:131]
	v_add_f64 v[2:3], v[2:3], v[4:5]
	v_mul_f64 v[4:5], v[96:97], v[114:115]
	v_add_f64 v[144:145], v[106:107], v[108:109]
	ds_read_b128 v[106:109], v1 offset:1248
	v_fma_f64 v[4:5], v[94:95], v[116:117], -v[4:5]
	v_add_f64 v[2:3], v[2:3], v[4:5]
	v_mul_f64 v[4:5], v[100:101], v[128:129]
	v_fma_f64 v[4:5], v[98:99], v[130:131], -v[4:5]
	v_add_f64 v[2:3], v[2:3], v[4:5]
	s_waitcnt vmcnt(13) lgkmcnt(1)
	v_mul_f64 v[4:5], v[104:105], v[124:125]
	v_mul_f64 v[146:147], v[102:103], v[124:125]
	s_waitcnt vmcnt(12)
	v_fma_f64 v[4:5], v[102:103], v[126:127], -v[4:5]
	v_fmac_f64_e32 v[146:147], v[104:105], v[126:127]
	v_add_f64 v[2:3], v[2:3], v[4:5]
	s_waitcnt vmcnt(8) lgkmcnt(0)
	v_mul_f64 v[4:5], v[108:109], v[136:137]
	v_add_f64 v[144:145], v[144:145], v[146:147]
	v_mul_f64 v[146:147], v[106:107], v[136:137]
	s_waitcnt vmcnt(6)
	v_fma_f64 v[4:5], v[106:107], v[138:139], -v[4:5]
	v_fmac_f64_e32 v[146:147], v[108:109], v[138:139]
	v_add_f64 v[2:3], v[2:3], v[4:5]
	s_waitcnt vmcnt(5)
	v_mul_f64 v[4:5], v[112:113], v[132:133]
	v_add_f64 v[144:145], v[144:145], v[146:147]
	v_mul_f64 v[146:147], v[110:111], v[132:133]
	s_waitcnt vmcnt(4)
	v_fma_f64 v[4:5], v[110:111], v[134:135], -v[4:5]
	v_fmac_f64_e32 v[146:147], v[112:113], v[134:135]
	v_add_f64 v[2:3], v[2:3], v[4:5]
	v_add_f64 v[144:145], v[144:145], v[146:147]
	s_waitcnt vmcnt(2)
	v_add_f64 v[2:3], v[140:141], -v[2:3]
	s_waitcnt vmcnt(0)
	v_add_f64 v[4:5], v[142:143], -v[144:145]
	buffer_store_dword v3, off, s[0:3], 0 offset:372
	buffer_store_dword v2, off, s[0:3], 0 offset:368
	;; [unrolled: 1-line block ×4, first 2 shown]
	s_and_saveexec_b64 s[4:5], vcc
	s_cbranch_execz .LBB39_211
; %bb.210:
	v_accvgpr_read_b32 v5, a98
	buffer_load_dword v2, v5, s[0:3], 0 offen
	buffer_load_dword v3, v5, s[0:3], 0 offen offset:4
	buffer_load_dword v4, v5, s[0:3], 0 offen offset:8
	s_nop 0
	buffer_load_dword v5, v5, s[0:3], 0 offen offset:12
	v_accvgpr_read_b32 v6, a119
	buffer_store_dword v1, off, s[0:3], 0 offset:352
	buffer_store_dword v1, off, s[0:3], 0 offset:356
	;; [unrolled: 1-line block ×4, first 2 shown]
	s_waitcnt vmcnt(4)
	ds_write_b128 v6, v[2:5]
.LBB39_211:
	s_or_b64 exec, exec, s[4:5]
	s_waitcnt lgkmcnt(0)
	; wave barrier
	s_waitcnt lgkmcnt(0)
	buffer_load_dword v2, off, s[0:3], 0 offset:368
	buffer_load_dword v3, off, s[0:3], 0 offset:372
	;; [unrolled: 1-line block ×72, first 2 shown]
	ds_read_b128 v[52:55], v1 offset:992
	buffer_load_dword v148, off, s[0:3], 0 offset:352
	buffer_load_dword v149, off, s[0:3], 0 offset:356
	;; [unrolled: 1-line block ×4, first 2 shown]
	ds_read_b128 v[56:59], v1 offset:1008
	ds_read_b128 v[60:63], v1 offset:1024
	;; [unrolled: 1-line block ×3, first 2 shown]
	v_cmp_lt_u32_e32 vcc, 20, v0
	ds_read_b128 v[122:125], v1 offset:1264
	s_waitcnt vmcnt(62) lgkmcnt(4)
	v_mul_f64 v[68:69], v[52:53], v[8:9]
	v_fmac_f64_e32 v[68:69], v[54:55], v[2:3]
	v_add_f64 v[68:69], v[68:69], 0
	v_mul_f64 v[8:9], v[54:55], v[8:9]
	s_waitcnt lgkmcnt(3)
	v_mul_f64 v[70:71], v[56:57], v[10:11]
	v_fmac_f64_e32 v[70:71], v[58:59], v[4:5]
	v_add_f64 v[68:69], v[68:69], v[70:71]
	v_fma_f64 v[2:3], v[52:53], v[2:3], -v[8:9]
	s_waitcnt lgkmcnt(2)
	v_mul_f64 v[70:71], v[60:61], v[12:13]
	v_fmac_f64_e32 v[70:71], v[62:63], v[6:7]
	v_add_f64 v[72:73], v[68:69], v[70:71]
	ds_read_b128 v[68:71], v1 offset:1056
	s_waitcnt vmcnt(60) lgkmcnt(2)
	v_mul_f64 v[74:75], v[64:65], v[18:19]
	v_mul_f64 v[8:9], v[58:59], v[10:11]
	s_waitcnt vmcnt(58)
	v_fmac_f64_e32 v[74:75], v[66:67], v[20:21]
	v_add_f64 v[76:77], v[72:73], v[74:75]
	ds_read_b128 v[72:75], v1 offset:1072
	s_waitcnt vmcnt(57) lgkmcnt(1)
	v_mul_f64 v[78:79], v[68:69], v[14:15]
	s_waitcnt vmcnt(56)
	v_fmac_f64_e32 v[78:79], v[70:71], v[16:17]
	v_add_f64 v[80:81], v[76:77], v[78:79]
	ds_read_b128 v[76:79], v1 offset:1088
	s_waitcnt vmcnt(52) lgkmcnt(1)
	;; [unrolled: 6-line block ×4, first 2 shown]
	v_mul_f64 v[90:91], v[80:81], v[34:35]
	s_waitcnt vmcnt(42)
	v_fmac_f64_e32 v[90:91], v[82:83], v[36:37]
	v_add_f64 v[2:3], v[2:3], 0
	v_fma_f64 v[4:5], v[56:57], v[4:5], -v[8:9]
	v_add_f64 v[92:93], v[88:89], v[90:91]
	ds_read_b128 v[88:91], v1 offset:1136
	s_waitcnt vmcnt(41) lgkmcnt(1)
	v_mul_f64 v[94:95], v[84:85], v[30:31]
	v_add_f64 v[2:3], v[2:3], v[4:5]
	v_mul_f64 v[4:5], v[62:63], v[12:13]
	s_waitcnt vmcnt(40)
	v_fmac_f64_e32 v[94:95], v[86:87], v[32:33]
	v_fma_f64 v[4:5], v[60:61], v[6:7], -v[4:5]
	v_add_f64 v[96:97], v[92:93], v[94:95]
	ds_read_b128 v[92:95], v1 offset:1152
	v_add_f64 v[2:3], v[2:3], v[4:5]
	v_mul_f64 v[4:5], v[66:67], v[18:19]
	v_fma_f64 v[4:5], v[64:65], v[20:21], -v[4:5]
	v_add_f64 v[2:3], v[2:3], v[4:5]
	v_mul_f64 v[4:5], v[70:71], v[14:15]
	s_waitcnt vmcnt(36) lgkmcnt(1)
	v_mul_f64 v[98:99], v[88:89], v[42:43]
	v_fma_f64 v[4:5], v[68:69], v[16:17], -v[4:5]
	s_waitcnt vmcnt(34)
	v_fmac_f64_e32 v[98:99], v[90:91], v[44:45]
	v_add_f64 v[2:3], v[2:3], v[4:5]
	v_mul_f64 v[4:5], v[74:75], v[26:27]
	v_add_f64 v[100:101], v[96:97], v[98:99]
	ds_read_b128 v[96:99], v1 offset:1168
	s_waitcnt vmcnt(33) lgkmcnt(1)
	v_mul_f64 v[102:103], v[92:93], v[38:39]
	v_fma_f64 v[4:5], v[72:73], v[28:29], -v[4:5]
	s_waitcnt vmcnt(32)
	v_fmac_f64_e32 v[102:103], v[94:95], v[40:41]
	v_add_f64 v[2:3], v[2:3], v[4:5]
	v_mul_f64 v[4:5], v[78:79], v[22:23]
	v_add_f64 v[104:105], v[100:101], v[102:103]
	ds_read_b128 v[100:103], v1 offset:1184
	v_fma_f64 v[4:5], v[76:77], v[24:25], -v[4:5]
	v_add_f64 v[2:3], v[2:3], v[4:5]
	v_mul_f64 v[4:5], v[82:83], v[34:35]
	v_fma_f64 v[4:5], v[80:81], v[36:37], -v[4:5]
	s_waitcnt vmcnt(28) lgkmcnt(1)
	v_mul_f64 v[106:107], v[96:97], v[50:51]
	v_add_f64 v[2:3], v[2:3], v[4:5]
	v_mul_f64 v[4:5], v[86:87], v[30:31]
	s_waitcnt vmcnt(26)
	v_fmac_f64_e32 v[106:107], v[98:99], v[126:127]
	v_fma_f64 v[4:5], v[84:85], v[32:33], -v[4:5]
	v_add_f64 v[108:109], v[104:105], v[106:107]
	ds_read_b128 v[104:107], v1 offset:1200
	s_waitcnt vmcnt(25) lgkmcnt(1)
	v_mul_f64 v[110:111], v[100:101], v[46:47]
	v_add_f64 v[2:3], v[2:3], v[4:5]
	v_mul_f64 v[4:5], v[90:91], v[42:43]
	s_waitcnt vmcnt(24)
	v_fmac_f64_e32 v[110:111], v[102:103], v[48:49]
	v_fma_f64 v[4:5], v[88:89], v[44:45], -v[4:5]
	v_add_f64 v[112:113], v[108:109], v[110:111]
	ds_read_b128 v[108:111], v1 offset:1216
	v_add_f64 v[2:3], v[2:3], v[4:5]
	v_mul_f64 v[4:5], v[94:95], v[38:39]
	v_fma_f64 v[4:5], v[92:93], v[40:41], -v[4:5]
	v_add_f64 v[2:3], v[2:3], v[4:5]
	v_mul_f64 v[4:5], v[98:99], v[50:51]
	s_waitcnt vmcnt(20) lgkmcnt(1)
	v_mul_f64 v[114:115], v[104:105], v[132:133]
	v_fma_f64 v[4:5], v[96:97], v[126:127], -v[4:5]
	s_waitcnt vmcnt(18)
	v_fmac_f64_e32 v[114:115], v[106:107], v[134:135]
	v_add_f64 v[2:3], v[2:3], v[4:5]
	v_mul_f64 v[4:5], v[102:103], v[46:47]
	v_add_f64 v[116:117], v[112:113], v[114:115]
	ds_read_b128 v[112:115], v1 offset:1232
	s_waitcnt vmcnt(17) lgkmcnt(1)
	v_mul_f64 v[118:119], v[108:109], v[128:129]
	v_fma_f64 v[4:5], v[100:101], v[48:49], -v[4:5]
	s_waitcnt vmcnt(16)
	v_fmac_f64_e32 v[118:119], v[110:111], v[130:131]
	v_add_f64 v[2:3], v[2:3], v[4:5]
	v_mul_f64 v[4:5], v[106:107], v[132:133]
	v_add_f64 v[152:153], v[116:117], v[118:119]
	ds_read_b128 v[116:119], v1 offset:1248
	v_fma_f64 v[4:5], v[104:105], v[134:135], -v[4:5]
	v_add_f64 v[2:3], v[2:3], v[4:5]
	v_mul_f64 v[4:5], v[110:111], v[128:129]
	v_fma_f64 v[4:5], v[108:109], v[130:131], -v[4:5]
	v_add_f64 v[2:3], v[2:3], v[4:5]
	s_waitcnt vmcnt(12) lgkmcnt(1)
	v_mul_f64 v[4:5], v[114:115], v[140:141]
	v_mul_f64 v[154:155], v[112:113], v[140:141]
	s_waitcnt vmcnt(10)
	v_fma_f64 v[4:5], v[112:113], v[142:143], -v[4:5]
	v_fmac_f64_e32 v[154:155], v[114:115], v[142:143]
	v_add_f64 v[2:3], v[2:3], v[4:5]
	s_waitcnt vmcnt(9) lgkmcnt(0)
	v_mul_f64 v[4:5], v[118:119], v[136:137]
	v_add_f64 v[152:153], v[152:153], v[154:155]
	v_mul_f64 v[154:155], v[116:117], v[136:137]
	s_waitcnt vmcnt(8)
	v_fma_f64 v[4:5], v[116:117], v[138:139], -v[4:5]
	v_fmac_f64_e32 v[154:155], v[118:119], v[138:139]
	v_add_f64 v[2:3], v[2:3], v[4:5]
	s_waitcnt vmcnt(6)
	v_mul_f64 v[4:5], v[124:125], v[144:145]
	v_add_f64 v[152:153], v[152:153], v[154:155]
	v_mul_f64 v[154:155], v[122:123], v[144:145]
	s_waitcnt vmcnt(4)
	v_fma_f64 v[4:5], v[122:123], v[146:147], -v[4:5]
	v_fmac_f64_e32 v[154:155], v[124:125], v[146:147]
	v_add_f64 v[2:3], v[2:3], v[4:5]
	v_add_f64 v[152:153], v[152:153], v[154:155]
	s_waitcnt vmcnt(2)
	v_add_f64 v[2:3], v[148:149], -v[2:3]
	s_waitcnt vmcnt(0)
	v_add_f64 v[4:5], v[150:151], -v[152:153]
	buffer_store_dword v3, off, s[0:3], 0 offset:356
	buffer_store_dword v2, off, s[0:3], 0 offset:352
	;; [unrolled: 1-line block ×4, first 2 shown]
	s_and_saveexec_b64 s[4:5], vcc
	s_cbranch_execz .LBB39_213
; %bb.212:
	v_accvgpr_read_b32 v1, a99
	buffer_load_dword v2, v1, s[0:3], 0 offen
	buffer_load_dword v3, v1, s[0:3], 0 offen offset:4
	buffer_load_dword v4, v1, s[0:3], 0 offen offset:8
	;; [unrolled: 1-line block ×3, first 2 shown]
	v_mov_b32_e32 v1, 0
	v_accvgpr_read_b32 v6, a119
	buffer_store_dword v1, off, s[0:3], 0 offset:336
	buffer_store_dword v1, off, s[0:3], 0 offset:340
	;; [unrolled: 1-line block ×4, first 2 shown]
	s_waitcnt vmcnt(4)
	ds_write_b128 v6, v[2:5]
.LBB39_213:
	s_or_b64 exec, exec, s[4:5]
	s_waitcnt lgkmcnt(0)
	; wave barrier
	s_waitcnt lgkmcnt(0)
	buffer_load_dword v2, off, s[0:3], 0 offset:352
	buffer_load_dword v3, off, s[0:3], 0 offset:356
	;; [unrolled: 1-line block ×76, first 2 shown]
	v_mov_b32_e32 v1, 0
	ds_read_b128 v[54:57], v1 offset:976
	buffer_load_dword v156, off, s[0:3], 0 offset:336
	buffer_load_dword v157, off, s[0:3], 0 offset:340
	;; [unrolled: 1-line block ×4, first 2 shown]
	ds_read_b128 v[58:61], v1 offset:992
	ds_read_b128 v[62:65], v1 offset:1008
	;; [unrolled: 1-line block ×4, first 2 shown]
	v_cmp_lt_u32_e32 vcc, 19, v0
	s_waitcnt vmcnt(62) lgkmcnt(4)
	v_mul_f64 v[70:71], v[54:55], v[8:9]
	v_fmac_f64_e32 v[70:71], v[56:57], v[2:3]
	v_add_f64 v[70:71], v[70:71], 0
	v_mul_f64 v[8:9], v[56:57], v[8:9]
	s_waitcnt lgkmcnt(3)
	v_mul_f64 v[72:73], v[58:59], v[10:11]
	v_fmac_f64_e32 v[72:73], v[60:61], v[4:5]
	v_add_f64 v[70:71], v[70:71], v[72:73]
	v_fma_f64 v[2:3], v[54:55], v[2:3], -v[8:9]
	s_waitcnt lgkmcnt(2)
	v_mul_f64 v[72:73], v[62:63], v[12:13]
	v_fmac_f64_e32 v[72:73], v[64:65], v[6:7]
	v_add_f64 v[74:75], v[70:71], v[72:73]
	ds_read_b128 v[70:73], v1 offset:1040
	s_waitcnt lgkmcnt(2)
	v_mul_f64 v[76:77], v[66:67], v[18:19]
	v_mul_f64 v[8:9], v[60:61], v[10:11]
	v_fmac_f64_e32 v[76:77], v[68:69], v[20:21]
	v_add_f64 v[78:79], v[74:75], v[76:77]
	ds_read_b128 v[74:77], v1 offset:1056
	s_waitcnt vmcnt(61) lgkmcnt(1)
	v_mul_f64 v[80:81], v[70:71], v[14:15]
	s_waitcnt vmcnt(60)
	v_fmac_f64_e32 v[80:81], v[72:73], v[16:17]
	v_add_f64 v[82:83], v[78:79], v[80:81]
	ds_read_b128 v[78:81], v1 offset:1072
	s_waitcnt vmcnt(56) lgkmcnt(1)
	v_mul_f64 v[84:85], v[74:75], v[26:27]
	s_waitcnt vmcnt(54)
	;; [unrolled: 6-line block ×4, first 2 shown]
	v_fmac_f64_e32 v[92:93], v[84:85], v[36:37]
	v_add_f64 v[94:95], v[90:91], v[92:93]
	ds_read_b128 v[90:93], v1 offset:1120
	v_add_f64 v[2:3], v[2:3], 0
	v_fma_f64 v[4:5], v[58:59], v[4:5], -v[8:9]
	s_waitcnt vmcnt(45) lgkmcnt(1)
	v_mul_f64 v[96:97], v[86:87], v[30:31]
	v_add_f64 v[2:3], v[2:3], v[4:5]
	v_mul_f64 v[4:5], v[64:65], v[12:13]
	s_waitcnt vmcnt(44)
	v_fmac_f64_e32 v[96:97], v[88:89], v[32:33]
	v_fma_f64 v[4:5], v[62:63], v[6:7], -v[4:5]
	v_add_f64 v[98:99], v[94:95], v[96:97]
	ds_read_b128 v[94:97], v1 offset:1136
	s_waitcnt vmcnt(40) lgkmcnt(1)
	v_mul_f64 v[100:101], v[90:91], v[42:43]
	v_add_f64 v[2:3], v[2:3], v[4:5]
	v_mul_f64 v[4:5], v[68:69], v[18:19]
	s_waitcnt vmcnt(38)
	v_fmac_f64_e32 v[100:101], v[92:93], v[44:45]
	v_fma_f64 v[4:5], v[66:67], v[20:21], -v[4:5]
	v_add_f64 v[102:103], v[98:99], v[100:101]
	ds_read_b128 v[98:101], v1 offset:1152
	v_add_f64 v[2:3], v[2:3], v[4:5]
	v_mul_f64 v[4:5], v[72:73], v[14:15]
	v_fma_f64 v[4:5], v[70:71], v[16:17], -v[4:5]
	v_add_f64 v[2:3], v[2:3], v[4:5]
	v_mul_f64 v[4:5], v[76:77], v[26:27]
	s_waitcnt vmcnt(37) lgkmcnt(1)
	v_mul_f64 v[104:105], v[94:95], v[38:39]
	v_fma_f64 v[4:5], v[74:75], v[28:29], -v[4:5]
	s_waitcnt vmcnt(36)
	v_fmac_f64_e32 v[104:105], v[96:97], v[40:41]
	v_add_f64 v[2:3], v[2:3], v[4:5]
	v_mul_f64 v[4:5], v[80:81], v[22:23]
	v_add_f64 v[106:107], v[102:103], v[104:105]
	ds_read_b128 v[102:105], v1 offset:1168
	s_waitcnt vmcnt(32) lgkmcnt(1)
	v_mul_f64 v[108:109], v[98:99], v[50:51]
	v_fma_f64 v[4:5], v[78:79], v[24:25], -v[4:5]
	s_waitcnt vmcnt(30)
	v_fmac_f64_e32 v[108:109], v[100:101], v[52:53]
	v_add_f64 v[2:3], v[2:3], v[4:5]
	v_mul_f64 v[4:5], v[84:85], v[34:35]
	v_add_f64 v[110:111], v[106:107], v[108:109]
	ds_read_b128 v[106:109], v1 offset:1184
	v_fma_f64 v[4:5], v[82:83], v[36:37], -v[4:5]
	v_add_f64 v[2:3], v[2:3], v[4:5]
	v_mul_f64 v[4:5], v[88:89], v[30:31]
	v_fma_f64 v[4:5], v[86:87], v[32:33], -v[4:5]
	s_waitcnt vmcnt(29) lgkmcnt(1)
	v_mul_f64 v[112:113], v[102:103], v[46:47]
	v_add_f64 v[2:3], v[2:3], v[4:5]
	v_mul_f64 v[4:5], v[92:93], v[42:43]
	s_waitcnt vmcnt(28)
	v_fmac_f64_e32 v[112:113], v[104:105], v[48:49]
	v_fma_f64 v[4:5], v[90:91], v[44:45], -v[4:5]
	v_add_f64 v[114:115], v[110:111], v[112:113]
	ds_read_b128 v[110:113], v1 offset:1200
	s_waitcnt vmcnt(24) lgkmcnt(1)
	v_mul_f64 v[116:117], v[106:107], v[136:137]
	v_add_f64 v[2:3], v[2:3], v[4:5]
	v_mul_f64 v[4:5], v[96:97], v[38:39]
	s_waitcnt vmcnt(22)
	v_fmac_f64_e32 v[116:117], v[108:109], v[138:139]
	v_fma_f64 v[4:5], v[94:95], v[40:41], -v[4:5]
	v_add_f64 v[122:123], v[114:115], v[116:117]
	ds_read_b128 v[114:117], v1 offset:1216
	v_add_f64 v[2:3], v[2:3], v[4:5]
	v_mul_f64 v[4:5], v[100:101], v[50:51]
	v_fma_f64 v[4:5], v[98:99], v[52:53], -v[4:5]
	v_add_f64 v[2:3], v[2:3], v[4:5]
	v_mul_f64 v[4:5], v[104:105], v[46:47]
	s_waitcnt vmcnt(21) lgkmcnt(1)
	v_mul_f64 v[124:125], v[110:111], v[118:119]
	v_fma_f64 v[4:5], v[102:103], v[48:49], -v[4:5]
	s_waitcnt vmcnt(20)
	v_fmac_f64_e32 v[124:125], v[112:113], v[134:135]
	v_add_f64 v[2:3], v[2:3], v[4:5]
	v_mul_f64 v[4:5], v[108:109], v[136:137]
	v_add_f64 v[126:127], v[122:123], v[124:125]
	ds_read_b128 v[122:125], v1 offset:1232
	s_waitcnt vmcnt(16) lgkmcnt(1)
	v_mul_f64 v[128:129], v[114:115], v[144:145]
	v_fma_f64 v[4:5], v[106:107], v[138:139], -v[4:5]
	s_waitcnt vmcnt(14)
	v_fmac_f64_e32 v[128:129], v[116:117], v[146:147]
	v_add_f64 v[2:3], v[2:3], v[4:5]
	v_mul_f64 v[4:5], v[112:113], v[118:119]
	v_add_f64 v[160:161], v[126:127], v[128:129]
	ds_read_b128 v[126:129], v1 offset:1248
	v_fma_f64 v[4:5], v[110:111], v[134:135], -v[4:5]
	v_add_f64 v[2:3], v[2:3], v[4:5]
	v_mul_f64 v[4:5], v[116:117], v[144:145]
	v_fma_f64 v[4:5], v[114:115], v[146:147], -v[4:5]
	v_add_f64 v[2:3], v[2:3], v[4:5]
	s_waitcnt vmcnt(13) lgkmcnt(1)
	v_mul_f64 v[4:5], v[124:125], v[140:141]
	v_mul_f64 v[162:163], v[122:123], v[140:141]
	s_waitcnt vmcnt(12)
	v_fma_f64 v[4:5], v[122:123], v[142:143], -v[4:5]
	v_fmac_f64_e32 v[162:163], v[124:125], v[142:143]
	v_add_f64 v[2:3], v[2:3], v[4:5]
	s_waitcnt vmcnt(8) lgkmcnt(0)
	v_mul_f64 v[4:5], v[128:129], v[152:153]
	v_add_f64 v[160:161], v[160:161], v[162:163]
	v_mul_f64 v[162:163], v[126:127], v[152:153]
	s_waitcnt vmcnt(6)
	v_fma_f64 v[4:5], v[126:127], v[154:155], -v[4:5]
	v_fmac_f64_e32 v[162:163], v[128:129], v[154:155]
	v_add_f64 v[2:3], v[2:3], v[4:5]
	s_waitcnt vmcnt(5)
	v_mul_f64 v[4:5], v[132:133], v[148:149]
	v_add_f64 v[160:161], v[160:161], v[162:163]
	v_mul_f64 v[162:163], v[130:131], v[148:149]
	s_waitcnt vmcnt(4)
	v_fma_f64 v[4:5], v[130:131], v[150:151], -v[4:5]
	v_fmac_f64_e32 v[162:163], v[132:133], v[150:151]
	v_add_f64 v[2:3], v[2:3], v[4:5]
	v_add_f64 v[160:161], v[160:161], v[162:163]
	s_waitcnt vmcnt(2)
	v_add_f64 v[2:3], v[156:157], -v[2:3]
	s_waitcnt vmcnt(0)
	v_add_f64 v[4:5], v[158:159], -v[160:161]
	buffer_store_dword v3, off, s[0:3], 0 offset:340
	buffer_store_dword v2, off, s[0:3], 0 offset:336
	;; [unrolled: 1-line block ×4, first 2 shown]
	s_and_saveexec_b64 s[4:5], vcc
	s_cbranch_execz .LBB39_215
; %bb.214:
	v_accvgpr_read_b32 v5, a100
	buffer_load_dword v2, v5, s[0:3], 0 offen
	buffer_load_dword v3, v5, s[0:3], 0 offen offset:4
	buffer_load_dword v4, v5, s[0:3], 0 offen offset:8
	s_nop 0
	buffer_load_dword v5, v5, s[0:3], 0 offen offset:12
	v_accvgpr_read_b32 v6, a119
	buffer_store_dword v1, off, s[0:3], 0 offset:320
	buffer_store_dword v1, off, s[0:3], 0 offset:324
	;; [unrolled: 1-line block ×4, first 2 shown]
	s_waitcnt vmcnt(4)
	ds_write_b128 v6, v[2:5]
.LBB39_215:
	s_or_b64 exec, exec, s[4:5]
	s_waitcnt lgkmcnt(0)
	; wave barrier
	s_waitcnt lgkmcnt(0)
	buffer_load_dword v2, off, s[0:3], 0 offset:336
	buffer_load_dword v3, off, s[0:3], 0 offset:340
	;; [unrolled: 1-line block ×76, first 2 shown]
	ds_read_b128 v[54:57], v1 offset:960
	buffer_load_dword v161, off, s[0:3], 0 offset:652
	buffer_load_dword v160, off, s[0:3], 0 offset:648
	;; [unrolled: 1-line block ×8, first 2 shown]
	ds_read_b128 v[58:61], v1 offset:976
	ds_read_b128 v[62:65], v1 offset:992
	;; [unrolled: 1-line block ×3, first 2 shown]
	v_cmp_lt_u32_e32 vcc, 18, v0
	ds_read_b128 v[134:137], v1 offset:1264
	s_waitcnt vmcnt(62) lgkmcnt(4)
	v_mul_f64 v[70:71], v[54:55], v[8:9]
	v_fmac_f64_e32 v[70:71], v[56:57], v[2:3]
	v_add_f64 v[70:71], v[70:71], 0
	v_mul_f64 v[8:9], v[56:57], v[8:9]
	s_waitcnt lgkmcnt(3)
	v_mul_f64 v[72:73], v[58:59], v[10:11]
	v_fmac_f64_e32 v[72:73], v[60:61], v[4:5]
	v_add_f64 v[70:71], v[70:71], v[72:73]
	v_fma_f64 v[2:3], v[54:55], v[2:3], -v[8:9]
	s_waitcnt lgkmcnt(2)
	v_mul_f64 v[72:73], v[62:63], v[12:13]
	v_fmac_f64_e32 v[72:73], v[64:65], v[6:7]
	v_add_f64 v[74:75], v[70:71], v[72:73]
	ds_read_b128 v[70:73], v1 offset:1024
	v_mul_f64 v[8:9], v[60:61], v[10:11]
	v_add_f64 v[2:3], v[2:3], 0
	s_waitcnt lgkmcnt(2)
	v_mul_f64 v[76:77], v[66:67], v[18:19]
	v_fma_f64 v[4:5], v[58:59], v[4:5], -v[8:9]
	v_fmac_f64_e32 v[76:77], v[68:69], v[20:21]
	v_add_f64 v[78:79], v[74:75], v[76:77]
	ds_read_b128 v[74:77], v1 offset:1040
	s_waitcnt lgkmcnt(1)
	v_mul_f64 v[80:81], v[70:71], v[14:15]
	v_fmac_f64_e32 v[80:81], v[72:73], v[16:17]
	v_add_f64 v[82:83], v[78:79], v[80:81]
	ds_read_b128 v[78:81], v1 offset:1056
	s_waitcnt vmcnt(58) lgkmcnt(1)
	v_mul_f64 v[84:85], v[74:75], v[26:27]
	s_waitcnt vmcnt(56)
	v_fmac_f64_e32 v[84:85], v[76:77], v[28:29]
	v_add_f64 v[86:87], v[82:83], v[84:85]
	ds_read_b128 v[82:85], v1 offset:1072
	s_waitcnt lgkmcnt(1)
	v_mul_f64 v[88:89], v[78:79], v[22:23]
	v_fmac_f64_e32 v[88:89], v[80:81], v[24:25]
	v_add_f64 v[90:91], v[86:87], v[88:89]
	ds_read_b128 v[86:89], v1 offset:1088
	s_waitcnt vmcnt(50) lgkmcnt(1)
	v_mul_f64 v[92:93], v[82:83], v[34:35]
	s_waitcnt vmcnt(48)
	v_fmac_f64_e32 v[92:93], v[84:85], v[36:37]
	v_add_f64 v[94:95], v[90:91], v[92:93]
	ds_read_b128 v[90:93], v1 offset:1104
	s_waitcnt lgkmcnt(1)
	v_mul_f64 v[96:97], v[86:87], v[30:31]
	v_fmac_f64_e32 v[96:97], v[88:89], v[32:33]
	v_add_f64 v[98:99], v[94:95], v[96:97]
	ds_read_b128 v[94:97], v1 offset:1120
	v_add_f64 v[2:3], v[2:3], v[4:5]
	v_mul_f64 v[4:5], v[64:65], v[12:13]
	v_fma_f64 v[4:5], v[62:63], v[6:7], -v[4:5]
	s_waitcnt vmcnt(42) lgkmcnt(1)
	v_mul_f64 v[100:101], v[90:91], v[42:43]
	v_add_f64 v[2:3], v[2:3], v[4:5]
	v_mul_f64 v[4:5], v[68:69], v[18:19]
	s_waitcnt vmcnt(40)
	v_fmac_f64_e32 v[100:101], v[92:93], v[44:45]
	v_fma_f64 v[4:5], v[66:67], v[20:21], -v[4:5]
	v_add_f64 v[102:103], v[98:99], v[100:101]
	ds_read_b128 v[98:101], v1 offset:1136
	s_waitcnt lgkmcnt(1)
	v_mul_f64 v[104:105], v[94:95], v[38:39]
	v_add_f64 v[2:3], v[2:3], v[4:5]
	v_mul_f64 v[4:5], v[72:73], v[14:15]
	v_fmac_f64_e32 v[104:105], v[96:97], v[40:41]
	v_fma_f64 v[4:5], v[70:71], v[16:17], -v[4:5]
	v_add_f64 v[106:107], v[102:103], v[104:105]
	ds_read_b128 v[102:105], v1 offset:1152
	v_add_f64 v[2:3], v[2:3], v[4:5]
	v_mul_f64 v[4:5], v[76:77], v[26:27]
	v_fma_f64 v[4:5], v[74:75], v[28:29], -v[4:5]
	v_add_f64 v[2:3], v[2:3], v[4:5]
	v_mul_f64 v[4:5], v[80:81], v[22:23]
	s_waitcnt vmcnt(34) lgkmcnt(1)
	v_mul_f64 v[108:109], v[98:99], v[50:51]
	v_fma_f64 v[4:5], v[78:79], v[24:25], -v[4:5]
	s_waitcnt vmcnt(32)
	v_fmac_f64_e32 v[108:109], v[100:101], v[52:53]
	v_add_f64 v[2:3], v[2:3], v[4:5]
	v_mul_f64 v[4:5], v[84:85], v[34:35]
	v_add_f64 v[110:111], v[106:107], v[108:109]
	ds_read_b128 v[106:109], v1 offset:1168
	s_waitcnt lgkmcnt(1)
	v_mul_f64 v[112:113], v[102:103], v[46:47]
	v_fma_f64 v[4:5], v[82:83], v[36:37], -v[4:5]
	v_fmac_f64_e32 v[112:113], v[104:105], v[48:49]
	v_add_f64 v[2:3], v[2:3], v[4:5]
	v_mul_f64 v[4:5], v[88:89], v[30:31]
	v_add_f64 v[114:115], v[110:111], v[112:113]
	ds_read_b128 v[110:113], v1 offset:1184
	v_fma_f64 v[4:5], v[86:87], v[32:33], -v[4:5]
	v_add_f64 v[2:3], v[2:3], v[4:5]
	v_mul_f64 v[4:5], v[92:93], v[42:43]
	v_fma_f64 v[4:5], v[90:91], v[44:45], -v[4:5]
	s_waitcnt vmcnt(26) lgkmcnt(1)
	v_mul_f64 v[116:117], v[106:107], v[140:141]
	v_add_f64 v[2:3], v[2:3], v[4:5]
	v_mul_f64 v[4:5], v[96:97], v[38:39]
	s_waitcnt vmcnt(24)
	v_fmac_f64_e32 v[116:117], v[108:109], v[142:143]
	v_fma_f64 v[4:5], v[94:95], v[40:41], -v[4:5]
	v_add_f64 v[122:123], v[114:115], v[116:117]
	ds_read_b128 v[114:117], v1 offset:1200
	s_waitcnt lgkmcnt(1)
	v_mul_f64 v[124:125], v[110:111], v[118:119]
	v_add_f64 v[2:3], v[2:3], v[4:5]
	v_mul_f64 v[4:5], v[100:101], v[50:51]
	v_fmac_f64_e32 v[124:125], v[112:113], v[138:139]
	v_fma_f64 v[4:5], v[98:99], v[52:53], -v[4:5]
	v_add_f64 v[126:127], v[122:123], v[124:125]
	ds_read_b128 v[122:125], v1 offset:1216
	v_add_f64 v[2:3], v[2:3], v[4:5]
	v_mul_f64 v[4:5], v[104:105], v[46:47]
	v_fma_f64 v[4:5], v[102:103], v[48:49], -v[4:5]
	v_add_f64 v[2:3], v[2:3], v[4:5]
	v_mul_f64 v[4:5], v[108:109], v[140:141]
	s_waitcnt vmcnt(18) lgkmcnt(1)
	v_mul_f64 v[128:129], v[114:115], v[148:149]
	v_fma_f64 v[4:5], v[106:107], v[142:143], -v[4:5]
	s_waitcnt vmcnt(16)
	v_fmac_f64_e32 v[128:129], v[116:117], v[150:151]
	v_add_f64 v[2:3], v[2:3], v[4:5]
	v_mul_f64 v[4:5], v[112:113], v[118:119]
	v_add_f64 v[130:131], v[126:127], v[128:129]
	ds_read_b128 v[126:129], v1 offset:1232
	s_waitcnt lgkmcnt(1)
	v_mul_f64 v[132:133], v[122:123], v[144:145]
	v_fma_f64 v[4:5], v[110:111], v[138:139], -v[4:5]
	v_fmac_f64_e32 v[132:133], v[124:125], v[146:147]
	v_add_f64 v[2:3], v[2:3], v[4:5]
	v_mul_f64 v[4:5], v[116:117], v[148:149]
	v_add_f64 v[168:169], v[130:131], v[132:133]
	ds_read_b128 v[130:133], v1 offset:1248
	v_fma_f64 v[4:5], v[114:115], v[150:151], -v[4:5]
	v_add_f64 v[2:3], v[2:3], v[4:5]
	v_mul_f64 v[4:5], v[124:125], v[144:145]
	v_fma_f64 v[4:5], v[122:123], v[146:147], -v[4:5]
	v_add_f64 v[2:3], v[2:3], v[4:5]
	s_waitcnt vmcnt(10) lgkmcnt(1)
	v_mul_f64 v[4:5], v[128:129], v[156:157]
	v_mul_f64 v[170:171], v[126:127], v[156:157]
	s_waitcnt vmcnt(8)
	v_fma_f64 v[4:5], v[126:127], v[158:159], -v[4:5]
	v_fmac_f64_e32 v[170:171], v[128:129], v[158:159]
	v_add_f64 v[2:3], v[2:3], v[4:5]
	s_waitcnt lgkmcnt(0)
	v_mul_f64 v[4:5], v[132:133], v[152:153]
	v_add_f64 v[168:169], v[168:169], v[170:171]
	v_mul_f64 v[170:171], v[130:131], v[152:153]
	v_fma_f64 v[4:5], v[130:131], v[154:155], -v[4:5]
	v_fmac_f64_e32 v[170:171], v[132:133], v[154:155]
	v_add_f64 v[2:3], v[2:3], v[4:5]
	s_waitcnt vmcnt(6)
	v_mul_f64 v[4:5], v[136:137], v[160:161]
	v_add_f64 v[168:169], v[168:169], v[170:171]
	v_mul_f64 v[170:171], v[134:135], v[160:161]
	s_waitcnt vmcnt(4)
	v_fma_f64 v[4:5], v[134:135], v[162:163], -v[4:5]
	v_fmac_f64_e32 v[170:171], v[136:137], v[162:163]
	v_add_f64 v[2:3], v[2:3], v[4:5]
	v_add_f64 v[168:169], v[168:169], v[170:171]
	s_waitcnt vmcnt(2)
	v_add_f64 v[2:3], v[164:165], -v[2:3]
	s_waitcnt vmcnt(0)
	v_add_f64 v[4:5], v[166:167], -v[168:169]
	buffer_store_dword v3, off, s[0:3], 0 offset:324
	buffer_store_dword v2, off, s[0:3], 0 offset:320
	;; [unrolled: 1-line block ×4, first 2 shown]
	s_and_saveexec_b64 s[4:5], vcc
	s_cbranch_execz .LBB39_217
; %bb.216:
	v_accvgpr_read_b32 v1, a101
	buffer_load_dword v2, v1, s[0:3], 0 offen
	buffer_load_dword v3, v1, s[0:3], 0 offen offset:4
	buffer_load_dword v4, v1, s[0:3], 0 offen offset:8
	;; [unrolled: 1-line block ×3, first 2 shown]
	v_mov_b32_e32 v1, 0
	v_accvgpr_read_b32 v6, a119
	buffer_store_dword v1, off, s[0:3], 0 offset:304
	buffer_store_dword v1, off, s[0:3], 0 offset:308
	;; [unrolled: 1-line block ×4, first 2 shown]
	s_waitcnt vmcnt(4)
	ds_write_b128 v6, v[2:5]
.LBB39_217:
	s_or_b64 exec, exec, s[4:5]
	s_waitcnt lgkmcnt(0)
	; wave barrier
	s_waitcnt lgkmcnt(0)
	buffer_load_dword v4, off, s[0:3], 0 offset:304
	buffer_load_dword v5, off, s[0:3], 0 offset:308
	;; [unrolled: 1-line block ×84, first 2 shown]
	v_mov_b32_e32 v1, 0
	ds_read_b128 v[66:69], v1 offset:944
	buffer_load_dword v173, off, s[0:3], 0 offset:652
	buffer_load_dword v172, off, s[0:3], 0 offset:648
	;; [unrolled: 1-line block ×4, first 2 shown]
	ds_read_b128 v[70:73], v1 offset:960
	ds_read_b128 v[74:77], v1 offset:976
	;; [unrolled: 1-line block ×4, first 2 shown]
	v_cmp_lt_u32_e32 vcc, 17, v0
	s_waitcnt vmcnt(62) lgkmcnt(4)
	v_mul_f64 v[82:83], v[66:67], v[12:13]
	v_fmac_f64_e32 v[82:83], v[68:69], v[6:7]
	s_waitcnt lgkmcnt(3)
	v_mul_f64 v[84:85], v[70:71], v[14:15]
	v_add_f64 v[82:83], v[82:83], 0
	v_fmac_f64_e32 v[84:85], v[72:73], v[8:9]
	v_add_f64 v[82:83], v[82:83], v[84:85]
	s_waitcnt lgkmcnt(2)
	v_mul_f64 v[84:85], v[74:75], v[16:17]
	v_fmac_f64_e32 v[84:85], v[76:77], v[10:11]
	v_add_f64 v[86:87], v[82:83], v[84:85]
	ds_read_b128 v[82:85], v1 offset:1008
	v_mul_f64 v[12:13], v[68:69], v[12:13]
	s_waitcnt lgkmcnt(2)
	v_mul_f64 v[88:89], v[78:79], v[22:23]
	v_fma_f64 v[6:7], v[66:67], v[6:7], -v[12:13]
	v_fmac_f64_e32 v[88:89], v[80:81], v[24:25]
	v_add_f64 v[90:91], v[86:87], v[88:89]
	ds_read_b128 v[86:89], v1 offset:1024
	s_waitcnt lgkmcnt(1)
	v_mul_f64 v[92:93], v[82:83], v[18:19]
	v_fmac_f64_e32 v[92:93], v[84:85], v[20:21]
	v_add_f64 v[94:95], v[90:91], v[92:93]
	ds_read_b128 v[90:93], v1 offset:1040
	s_waitcnt vmcnt(58) lgkmcnt(1)
	v_mul_f64 v[96:97], v[86:87], v[30:31]
	s_waitcnt vmcnt(56)
	v_fmac_f64_e32 v[96:97], v[88:89], v[32:33]
	v_add_f64 v[98:99], v[94:95], v[96:97]
	ds_read_b128 v[94:97], v1 offset:1056
	s_waitcnt lgkmcnt(1)
	v_mul_f64 v[100:101], v[90:91], v[26:27]
	v_fmac_f64_e32 v[100:101], v[92:93], v[28:29]
	v_add_f64 v[102:103], v[98:99], v[100:101]
	ds_read_b128 v[98:101], v1 offset:1072
	s_waitcnt vmcnt(50) lgkmcnt(1)
	v_mul_f64 v[104:105], v[94:95], v[38:39]
	s_waitcnt vmcnt(48)
	v_fmac_f64_e32 v[104:105], v[96:97], v[40:41]
	v_add_f64 v[106:107], v[102:103], v[104:105]
	ds_read_b128 v[102:105], v1 offset:1088
	s_waitcnt lgkmcnt(1)
	v_mul_f64 v[108:109], v[98:99], v[34:35]
	v_fmac_f64_e32 v[108:109], v[100:101], v[36:37]
	v_mul_f64 v[12:13], v[72:73], v[14:15]
	v_add_f64 v[110:111], v[106:107], v[108:109]
	ds_read_b128 v[106:109], v1 offset:1104
	s_waitcnt vmcnt(42) lgkmcnt(1)
	v_mul_f64 v[112:113], v[102:103], v[46:47]
	v_add_f64 v[6:7], v[6:7], 0
	v_fma_f64 v[8:9], v[70:71], v[8:9], -v[12:13]
	s_waitcnt vmcnt(40)
	v_fmac_f64_e32 v[112:113], v[104:105], v[48:49]
	v_add_f64 v[6:7], v[6:7], v[8:9]
	v_mul_f64 v[8:9], v[76:77], v[16:17]
	v_add_f64 v[114:115], v[110:111], v[112:113]
	ds_read_b128 v[110:113], v1 offset:1120
	v_fma_f64 v[8:9], v[74:75], v[10:11], -v[8:9]
	v_add_f64 v[6:7], v[6:7], v[8:9]
	v_mul_f64 v[8:9], v[80:81], v[22:23]
	v_fma_f64 v[8:9], v[78:79], v[24:25], -v[8:9]
	s_waitcnt lgkmcnt(1)
	v_mul_f64 v[116:117], v[106:107], v[42:43]
	v_add_f64 v[6:7], v[6:7], v[8:9]
	v_mul_f64 v[8:9], v[84:85], v[18:19]
	v_fmac_f64_e32 v[116:117], v[108:109], v[44:45]
	v_fma_f64 v[8:9], v[82:83], v[20:21], -v[8:9]
	v_add_f64 v[122:123], v[114:115], v[116:117]
	ds_read_b128 v[114:117], v1 offset:1136
	s_waitcnt vmcnt(34) lgkmcnt(1)
	v_mul_f64 v[124:125], v[110:111], v[54:55]
	v_add_f64 v[6:7], v[6:7], v[8:9]
	v_mul_f64 v[8:9], v[88:89], v[30:31]
	s_waitcnt vmcnt(32)
	v_fmac_f64_e32 v[124:125], v[112:113], v[56:57]
	v_fma_f64 v[8:9], v[86:87], v[32:33], -v[8:9]
	v_add_f64 v[126:127], v[122:123], v[124:125]
	ds_read_b128 v[122:125], v1 offset:1152
	v_add_f64 v[6:7], v[6:7], v[8:9]
	v_mul_f64 v[8:9], v[92:93], v[26:27]
	v_fma_f64 v[8:9], v[90:91], v[28:29], -v[8:9]
	v_add_f64 v[6:7], v[6:7], v[8:9]
	v_mul_f64 v[8:9], v[96:97], v[38:39]
	s_waitcnt lgkmcnt(1)
	v_mul_f64 v[128:129], v[114:115], v[50:51]
	v_fma_f64 v[8:9], v[94:95], v[40:41], -v[8:9]
	v_fmac_f64_e32 v[128:129], v[116:117], v[52:53]
	v_add_f64 v[6:7], v[6:7], v[8:9]
	v_mul_f64 v[8:9], v[100:101], v[34:35]
	v_add_f64 v[130:131], v[126:127], v[128:129]
	ds_read_b128 v[126:129], v1 offset:1168
	s_waitcnt vmcnt(26) lgkmcnt(1)
	v_mul_f64 v[132:133], v[122:123], v[62:63]
	v_fma_f64 v[8:9], v[98:99], v[36:37], -v[8:9]
	s_waitcnt vmcnt(24)
	v_fmac_f64_e32 v[132:133], v[124:125], v[64:65]
	v_add_f64 v[6:7], v[6:7], v[8:9]
	v_mul_f64 v[8:9], v[104:105], v[46:47]
	v_add_f64 v[134:135], v[130:131], v[132:133]
	ds_read_b128 v[130:133], v1 offset:1184
	v_fma_f64 v[8:9], v[102:103], v[48:49], -v[8:9]
	v_add_f64 v[6:7], v[6:7], v[8:9]
	v_mul_f64 v[8:9], v[108:109], v[42:43]
	v_fma_f64 v[8:9], v[106:107], v[44:45], -v[8:9]
	s_waitcnt lgkmcnt(1)
	v_mul_f64 v[136:137], v[126:127], v[58:59]
	v_add_f64 v[6:7], v[6:7], v[8:9]
	v_mul_f64 v[8:9], v[112:113], v[54:55]
	v_fmac_f64_e32 v[136:137], v[128:129], v[60:61]
	v_fma_f64 v[8:9], v[110:111], v[56:57], -v[8:9]
	v_add_f64 v[138:139], v[134:135], v[136:137]
	ds_read_b128 v[134:137], v1 offset:1200
	s_waitcnt vmcnt(18) lgkmcnt(1)
	v_mul_f64 v[140:141], v[130:131], v[156:157]
	v_add_f64 v[6:7], v[6:7], v[8:9]
	v_mul_f64 v[8:9], v[116:117], v[50:51]
	s_waitcnt vmcnt(16)
	v_fmac_f64_e32 v[140:141], v[132:133], v[158:159]
	v_fma_f64 v[8:9], v[114:115], v[52:53], -v[8:9]
	v_add_f64 v[142:143], v[138:139], v[140:141]
	ds_read_b128 v[138:141], v1 offset:1216
	v_add_f64 v[6:7], v[6:7], v[8:9]
	v_mul_f64 v[8:9], v[124:125], v[62:63]
	v_fma_f64 v[8:9], v[122:123], v[64:65], -v[8:9]
	v_add_f64 v[6:7], v[6:7], v[8:9]
	v_mul_f64 v[8:9], v[128:129], v[58:59]
	s_waitcnt lgkmcnt(1)
	v_mul_f64 v[144:145], v[134:135], v[118:119]
	v_fma_f64 v[8:9], v[126:127], v[60:61], -v[8:9]
	v_fmac_f64_e32 v[144:145], v[136:137], v[154:155]
	v_add_f64 v[6:7], v[6:7], v[8:9]
	v_mul_f64 v[8:9], v[132:133], v[156:157]
	v_add_f64 v[146:147], v[142:143], v[144:145]
	ds_read_b128 v[142:145], v1 offset:1232
	s_waitcnt vmcnt(10) lgkmcnt(1)
	v_mul_f64 v[148:149], v[138:139], v[164:165]
	v_fma_f64 v[8:9], v[130:131], v[158:159], -v[8:9]
	s_waitcnt vmcnt(8)
	v_fmac_f64_e32 v[148:149], v[140:141], v[166:167]
	v_add_f64 v[6:7], v[6:7], v[8:9]
	v_mul_f64 v[8:9], v[136:137], v[118:119]
	v_add_f64 v[176:177], v[146:147], v[148:149]
	ds_read_b128 v[146:149], v1 offset:1248
	v_fma_f64 v[8:9], v[134:135], v[154:155], -v[8:9]
	v_add_f64 v[6:7], v[6:7], v[8:9]
	v_mul_f64 v[8:9], v[140:141], v[164:165]
	v_fma_f64 v[8:9], v[138:139], v[166:167], -v[8:9]
	v_add_f64 v[6:7], v[6:7], v[8:9]
	s_waitcnt lgkmcnt(1)
	v_mul_f64 v[8:9], v[144:145], v[160:161]
	v_mul_f64 v[178:179], v[142:143], v[160:161]
	v_fma_f64 v[8:9], v[142:143], v[162:163], -v[8:9]
	v_fmac_f64_e32 v[178:179], v[144:145], v[162:163]
	v_add_f64 v[6:7], v[6:7], v[8:9]
	s_waitcnt vmcnt(6) lgkmcnt(0)
	v_mul_f64 v[8:9], v[148:149], v[168:169]
	v_add_f64 v[176:177], v[176:177], v[178:179]
	v_mul_f64 v[178:179], v[146:147], v[168:169]
	s_waitcnt vmcnt(4)
	v_fma_f64 v[8:9], v[146:147], v[170:171], -v[8:9]
	v_fmac_f64_e32 v[178:179], v[148:149], v[170:171]
	v_add_f64 v[6:7], v[6:7], v[8:9]
	s_waitcnt vmcnt(2)
	v_mul_f64 v[8:9], v[152:153], v[172:173]
	v_add_f64 v[176:177], v[176:177], v[178:179]
	v_mul_f64 v[178:179], v[150:151], v[172:173]
	s_waitcnt vmcnt(0)
	v_fma_f64 v[8:9], v[150:151], v[174:175], -v[8:9]
	v_fmac_f64_e32 v[178:179], v[152:153], v[174:175]
	v_add_f64 v[6:7], v[6:7], v[8:9]
	v_add_f64 v[176:177], v[176:177], v[178:179]
	v_add_f64 v[4:5], v[4:5], -v[6:7]
	v_add_f64 v[2:3], v[2:3], -v[176:177]
	buffer_store_dword v5, off, s[0:3], 0 offset:308
	buffer_store_dword v4, off, s[0:3], 0 offset:304
	;; [unrolled: 1-line block ×4, first 2 shown]
	s_and_saveexec_b64 s[4:5], vcc
	s_cbranch_execz .LBB39_219
; %bb.218:
	v_accvgpr_read_b32 v5, a102
	buffer_load_dword v2, v5, s[0:3], 0 offen
	buffer_load_dword v3, v5, s[0:3], 0 offen offset:4
	buffer_load_dword v4, v5, s[0:3], 0 offen offset:8
	s_nop 0
	buffer_load_dword v5, v5, s[0:3], 0 offen offset:12
	v_accvgpr_read_b32 v6, a119
	buffer_store_dword v1, off, s[0:3], 0 offset:288
	buffer_store_dword v1, off, s[0:3], 0 offset:292
	;; [unrolled: 1-line block ×4, first 2 shown]
	s_waitcnt vmcnt(4)
	ds_write_b128 v6, v[2:5]
.LBB39_219:
	s_or_b64 exec, exec, s[4:5]
	s_waitcnt lgkmcnt(0)
	; wave barrier
	s_waitcnt lgkmcnt(0)
	ds_read_b128 v[14:17], v1 offset:928
	ds_read_b128 v[10:13], v1 offset:944
	;; [unrolled: 1-line block ×4, first 2 shown]
	buffer_load_dword v20, off, s[0:3], 0 offset:288
	buffer_load_dword v21, off, s[0:3], 0 offset:292
	;; [unrolled: 1-line block ×92, first 2 shown]
	s_waitcnt vmcnt(62) lgkmcnt(3)
	v_mul_f64 v[86:87], v[14:15], v[28:29]
	v_fmac_f64_e32 v[86:87], v[16:17], v[22:23]
	s_waitcnt lgkmcnt(2)
	v_mul_f64 v[88:89], v[10:11], v[30:31]
	v_add_f64 v[86:87], v[86:87], 0
	v_fmac_f64_e32 v[88:89], v[12:13], v[24:25]
	v_add_f64 v[86:87], v[86:87], v[88:89]
	s_waitcnt lgkmcnt(1)
	v_mul_f64 v[88:89], v[6:7], v[32:33]
	v_fmac_f64_e32 v[88:89], v[8:9], v[26:27]
	v_add_f64 v[90:91], v[86:87], v[88:89]
	ds_read_b128 v[86:89], v1 offset:992
	v_mul_f64 v[16:17], v[16:17], v[28:29]
	v_fma_f64 v[14:15], v[14:15], v[22:23], -v[16:17]
	s_waitcnt lgkmcnt(1)
	v_mul_f64 v[92:93], v[2:3], v[38:39]
	v_mul_f64 v[12:13], v[12:13], v[30:31]
	v_fmac_f64_e32 v[92:93], v[4:5], v[40:41]
	v_add_f64 v[94:95], v[90:91], v[92:93]
	ds_read_b128 v[90:93], v1 offset:1008
	s_waitcnt lgkmcnt(1)
	v_mul_f64 v[96:97], v[86:87], v[34:35]
	v_fmac_f64_e32 v[96:97], v[88:89], v[36:37]
	v_add_f64 v[98:99], v[94:95], v[96:97]
	ds_read_b128 v[94:97], v1 offset:1024
	s_waitcnt lgkmcnt(1)
	v_mul_f64 v[100:101], v[90:91], v[46:47]
	s_waitcnt vmcnt(60)
	v_fmac_f64_e32 v[100:101], v[92:93], v[48:49]
	v_add_f64 v[102:103], v[98:99], v[100:101]
	ds_read_b128 v[98:101], v1 offset:1040
	s_waitcnt lgkmcnt(1)
	v_mul_f64 v[104:105], v[94:95], v[42:43]
	v_fmac_f64_e32 v[104:105], v[96:97], v[44:45]
	v_add_f64 v[106:107], v[102:103], v[104:105]
	ds_read_b128 v[102:105], v1 offset:1056
	s_waitcnt vmcnt(54) lgkmcnt(1)
	v_mul_f64 v[108:109], v[98:99], v[54:55]
	s_waitcnt vmcnt(52)
	v_fmac_f64_e32 v[108:109], v[100:101], v[56:57]
	v_add_f64 v[110:111], v[106:107], v[108:109]
	ds_read_b128 v[106:109], v1 offset:1072
	s_waitcnt lgkmcnt(1)
	v_mul_f64 v[112:113], v[102:103], v[50:51]
	v_fmac_f64_e32 v[112:113], v[104:105], v[52:53]
	v_add_f64 v[114:115], v[110:111], v[112:113]
	ds_read_b128 v[110:113], v1 offset:1088
	s_waitcnt vmcnt(46) lgkmcnt(1)
	v_mul_f64 v[116:117], v[106:107], v[62:63]
	s_waitcnt vmcnt(44)
	v_fmac_f64_e32 v[116:117], v[108:109], v[64:65]
	v_add_f64 v[122:123], v[114:115], v[116:117]
	ds_read_b128 v[114:117], v1 offset:1104
	s_waitcnt lgkmcnt(1)
	v_mul_f64 v[124:125], v[110:111], v[58:59]
	v_fmac_f64_e32 v[124:125], v[112:113], v[60:61]
	v_add_f64 v[14:15], v[14:15], 0
	v_fma_f64 v[10:11], v[10:11], v[24:25], -v[12:13]
	v_mul_f64 v[8:9], v[8:9], v[32:33]
	v_add_f64 v[126:127], v[122:123], v[124:125]
	ds_read_b128 v[122:125], v1 offset:1120
	v_add_f64 v[10:11], v[14:15], v[10:11]
	v_fma_f64 v[6:7], v[6:7], v[26:27], -v[8:9]
	v_mul_f64 v[4:5], v[4:5], v[38:39]
	v_add_f64 v[6:7], v[10:11], v[6:7]
	v_fma_f64 v[2:3], v[2:3], v[40:41], -v[4:5]
	v_mul_f64 v[4:5], v[88:89], v[34:35]
	v_add_f64 v[2:3], v[6:7], v[2:3]
	v_fma_f64 v[4:5], v[86:87], v[36:37], -v[4:5]
	s_waitcnt vmcnt(38) lgkmcnt(1)
	v_mul_f64 v[128:129], v[114:115], v[70:71]
	v_add_f64 v[2:3], v[2:3], v[4:5]
	v_mul_f64 v[4:5], v[92:93], v[46:47]
	s_waitcnt vmcnt(36)
	v_fmac_f64_e32 v[128:129], v[116:117], v[72:73]
	v_fma_f64 v[4:5], v[90:91], v[48:49], -v[4:5]
	v_add_f64 v[130:131], v[126:127], v[128:129]
	ds_read_b128 v[126:129], v1 offset:1136
	s_waitcnt lgkmcnt(1)
	v_mul_f64 v[132:133], v[122:123], v[66:67]
	v_add_f64 v[2:3], v[2:3], v[4:5]
	v_mul_f64 v[4:5], v[96:97], v[42:43]
	v_fmac_f64_e32 v[132:133], v[124:125], v[68:69]
	v_fma_f64 v[4:5], v[94:95], v[44:45], -v[4:5]
	v_add_f64 v[134:135], v[130:131], v[132:133]
	ds_read_b128 v[130:133], v1 offset:1152
	v_add_f64 v[2:3], v[2:3], v[4:5]
	v_mul_f64 v[4:5], v[100:101], v[54:55]
	v_fma_f64 v[4:5], v[98:99], v[56:57], -v[4:5]
	v_add_f64 v[2:3], v[2:3], v[4:5]
	v_mul_f64 v[4:5], v[104:105], v[50:51]
	s_waitcnt vmcnt(30) lgkmcnt(1)
	v_mul_f64 v[136:137], v[126:127], v[78:79]
	v_fma_f64 v[4:5], v[102:103], v[52:53], -v[4:5]
	s_waitcnt vmcnt(28)
	v_fmac_f64_e32 v[136:137], v[128:129], v[80:81]
	v_add_f64 v[2:3], v[2:3], v[4:5]
	v_mul_f64 v[4:5], v[108:109], v[62:63]
	v_add_f64 v[138:139], v[134:135], v[136:137]
	ds_read_b128 v[134:137], v1 offset:1168
	s_waitcnt lgkmcnt(1)
	v_mul_f64 v[140:141], v[130:131], v[74:75]
	v_fma_f64 v[4:5], v[106:107], v[64:65], -v[4:5]
	v_fmac_f64_e32 v[140:141], v[132:133], v[76:77]
	v_add_f64 v[2:3], v[2:3], v[4:5]
	v_mul_f64 v[4:5], v[112:113], v[58:59]
	v_add_f64 v[142:143], v[138:139], v[140:141]
	ds_read_b128 v[138:141], v1 offset:1184
	v_fma_f64 v[4:5], v[110:111], v[60:61], -v[4:5]
	v_add_f64 v[2:3], v[2:3], v[4:5]
	v_mul_f64 v[4:5], v[116:117], v[70:71]
	v_fma_f64 v[4:5], v[114:115], v[72:73], -v[4:5]
	s_waitcnt vmcnt(22) lgkmcnt(1)
	v_mul_f64 v[144:145], v[134:135], v[118:119]
	v_add_f64 v[2:3], v[2:3], v[4:5]
	v_mul_f64 v[4:5], v[124:125], v[66:67]
	s_waitcnt vmcnt(20)
	v_fmac_f64_e32 v[144:145], v[136:137], v[162:163]
	v_fma_f64 v[4:5], v[122:123], v[68:69], -v[4:5]
	v_add_f64 v[146:147], v[142:143], v[144:145]
	ds_read_b128 v[142:145], v1 offset:1200
	s_waitcnt lgkmcnt(1)
	v_mul_f64 v[148:149], v[138:139], v[82:83]
	v_add_f64 v[2:3], v[2:3], v[4:5]
	v_mul_f64 v[4:5], v[128:129], v[78:79]
	v_fmac_f64_e32 v[148:149], v[140:141], v[84:85]
	v_fma_f64 v[4:5], v[126:127], v[80:81], -v[4:5]
	v_add_f64 v[150:151], v[146:147], v[148:149]
	ds_read_b128 v[146:149], v1 offset:1216
	v_add_f64 v[2:3], v[2:3], v[4:5]
	v_mul_f64 v[4:5], v[132:133], v[74:75]
	v_fma_f64 v[4:5], v[130:131], v[76:77], -v[4:5]
	v_add_f64 v[2:3], v[2:3], v[4:5]
	v_mul_f64 v[4:5], v[136:137], v[118:119]
	s_waitcnt vmcnt(14) lgkmcnt(1)
	v_mul_f64 v[152:153], v[142:143], v[168:169]
	v_fma_f64 v[4:5], v[134:135], v[162:163], -v[4:5]
	s_waitcnt vmcnt(12)
	v_fmac_f64_e32 v[152:153], v[144:145], v[170:171]
	v_add_f64 v[2:3], v[2:3], v[4:5]
	v_mul_f64 v[4:5], v[140:141], v[82:83]
	v_add_f64 v[154:155], v[150:151], v[152:153]
	ds_read_b128 v[150:153], v1 offset:1232
	s_waitcnt lgkmcnt(1)
	v_mul_f64 v[156:157], v[146:147], v[164:165]
	v_fma_f64 v[4:5], v[138:139], v[84:85], -v[4:5]
	v_fmac_f64_e32 v[156:157], v[148:149], v[166:167]
	v_add_f64 v[2:3], v[2:3], v[4:5]
	v_mul_f64 v[4:5], v[144:145], v[168:169]
	v_add_f64 v[184:185], v[154:155], v[156:157]
	ds_read_b128 v[154:157], v1 offset:1248
	ds_read_b128 v[158:161], v1 offset:1264
	v_fma_f64 v[4:5], v[142:143], v[170:171], -v[4:5]
	v_add_f64 v[2:3], v[2:3], v[4:5]
	v_mul_f64 v[4:5], v[148:149], v[164:165]
	v_fma_f64 v[4:5], v[146:147], v[166:167], -v[4:5]
	v_add_f64 v[2:3], v[2:3], v[4:5]
	s_waitcnt vmcnt(6) lgkmcnt(2)
	v_mul_f64 v[4:5], v[152:153], v[176:177]
	v_mul_f64 v[186:187], v[150:151], v[176:177]
	s_waitcnt vmcnt(4)
	v_fma_f64 v[4:5], v[150:151], v[178:179], -v[4:5]
	v_fmac_f64_e32 v[186:187], v[152:153], v[178:179]
	v_add_f64 v[2:3], v[2:3], v[4:5]
	s_waitcnt lgkmcnt(1)
	v_mul_f64 v[4:5], v[156:157], v[172:173]
	v_add_f64 v[184:185], v[184:185], v[186:187]
	v_mul_f64 v[186:187], v[154:155], v[172:173]
	v_fma_f64 v[4:5], v[154:155], v[174:175], -v[4:5]
	v_fmac_f64_e32 v[186:187], v[156:157], v[174:175]
	v_add_f64 v[2:3], v[2:3], v[4:5]
	s_waitcnt vmcnt(2) lgkmcnt(0)
	v_mul_f64 v[4:5], v[160:161], v[180:181]
	v_add_f64 v[184:185], v[184:185], v[186:187]
	v_mul_f64 v[186:187], v[158:159], v[180:181]
	s_waitcnt vmcnt(0)
	v_fma_f64 v[4:5], v[158:159], v[182:183], -v[4:5]
	v_fmac_f64_e32 v[186:187], v[160:161], v[182:183]
	v_add_f64 v[2:3], v[2:3], v[4:5]
	v_add_f64 v[184:185], v[184:185], v[186:187]
	v_add_f64 v[2:3], v[20:21], -v[2:3]
	v_cmp_lt_u32_e32 vcc, 16, v0
	v_add_f64 v[4:5], v[18:19], -v[184:185]
	buffer_store_dword v3, off, s[0:3], 0 offset:292
	buffer_store_dword v2, off, s[0:3], 0 offset:288
	buffer_store_dword v5, off, s[0:3], 0 offset:300
	buffer_store_dword v4, off, s[0:3], 0 offset:296
	s_and_saveexec_b64 s[4:5], vcc
	s_cbranch_execz .LBB39_221
; %bb.220:
	v_accvgpr_read_b32 v1, a103
	buffer_load_dword v2, v1, s[0:3], 0 offen
	buffer_load_dword v3, v1, s[0:3], 0 offen offset:4
	buffer_load_dword v4, v1, s[0:3], 0 offen offset:8
	;; [unrolled: 1-line block ×3, first 2 shown]
	v_mov_b32_e32 v1, 0
	v_accvgpr_read_b32 v6, a119
	buffer_store_dword v1, off, s[0:3], 0 offset:272
	buffer_store_dword v1, off, s[0:3], 0 offset:276
	;; [unrolled: 1-line block ×4, first 2 shown]
	s_waitcnt vmcnt(4)
	ds_write_b128 v6, v[2:5]
.LBB39_221:
	s_or_b64 exec, exec, s[4:5]
	s_waitcnt lgkmcnt(0)
	; wave barrier
	s_waitcnt lgkmcnt(0)
	buffer_load_dword v9, off, s[0:3], 0 offset:300
	buffer_load_dword v6, off, s[0:3], 0 offset:312
	;; [unrolled: 1-line block ×64, first 2 shown]
	v_mov_b32_e32 v1, 0
	ds_read_b128 v[74:77], v1 offset:912
	ds_read_b128 v[78:81], v1 offset:928
	buffer_load_dword v67, off, s[0:3], 0 offset:556
	buffer_load_dword v66, off, s[0:3], 0 offset:552
	;; [unrolled: 1-line block ×8, first 2 shown]
	ds_read_b128 v[82:85], v1 offset:944
	ds_read_b128 v[86:89], v1 offset:960
	buffer_load_dword v119, off, s[0:3], 0 offset:588
	buffer_load_dword v118, off, s[0:3], 0 offset:584
	;; [unrolled: 1-line block ×24, first 2 shown]
	ds_read_b128 v[166:169], v1 offset:1264
	v_cmp_lt_u32_e32 vcc, 15, v0
	s_waitcnt vmcnt(62) lgkmcnt(1)
	v_mul_f64 v[96:97], v[86:87], v[22:23]
	v_fmac_f64_e32 v[96:97], v[88:89], v[24:25]
	v_mul_f64 v[92:93], v[78:79], v[6:7]
	v_mul_f64 v[90:91], v[74:75], v[8:9]
	;; [unrolled: 1-line block ×3, first 2 shown]
	v_fmac_f64_e32 v[90:91], v[76:77], v[10:11]
	v_add_f64 v[90:91], v[90:91], 0
	v_fma_f64 v[8:9], v[74:75], v[10:11], -v[8:9]
	v_mul_f64 v[6:7], v[80:81], v[6:7]
	v_add_f64 v[8:9], v[8:9], 0
	v_fmac_f64_e32 v[92:93], v[80:81], v[14:15]
	v_add_f64 v[90:91], v[90:91], v[92:93]
	v_mul_f64 v[92:93], v[82:83], v[16:17]
	v_fmac_f64_e32 v[92:93], v[84:85], v[12:13]
	v_add_f64 v[94:95], v[90:91], v[92:93]
	ds_read_b128 v[90:93], v1 offset:976
	v_add_f64 v[98:99], v[94:95], v[96:97]
	ds_read_b128 v[94:97], v1 offset:992
	v_fma_f64 v[6:7], v[78:79], v[14:15], -v[6:7]
	v_add_f64 v[6:7], v[8:9], v[6:7]
	s_waitcnt lgkmcnt(1)
	v_mul_f64 v[100:101], v[90:91], v[18:19]
	v_fmac_f64_e32 v[100:101], v[92:93], v[20:21]
	v_add_f64 v[102:103], v[98:99], v[100:101]
	ds_read_b128 v[98:101], v1 offset:1008
	s_waitcnt lgkmcnt(1)
	v_mul_f64 v[104:105], v[94:95], v[30:31]
	v_fmac_f64_e32 v[104:105], v[96:97], v[32:33]
	v_add_f64 v[106:107], v[102:103], v[104:105]
	ds_read_b128 v[102:105], v1 offset:1024
	;; [unrolled: 5-line block ×3, first 2 shown]
	s_waitcnt vmcnt(58) lgkmcnt(1)
	v_mul_f64 v[112:113], v[102:103], v[38:39]
	s_waitcnt vmcnt(56)
	v_fmac_f64_e32 v[112:113], v[104:105], v[40:41]
	v_add_f64 v[114:115], v[110:111], v[112:113]
	ds_read_b128 v[110:113], v1 offset:1056
	s_waitcnt lgkmcnt(1)
	v_mul_f64 v[116:117], v[106:107], v[34:35]
	v_fmac_f64_e32 v[116:117], v[108:109], v[36:37]
	v_add_f64 v[122:123], v[114:115], v[116:117]
	ds_read_b128 v[114:117], v1 offset:1072
	s_waitcnt vmcnt(50) lgkmcnt(1)
	v_mul_f64 v[124:125], v[110:111], v[46:47]
	s_waitcnt vmcnt(48)
	v_fmac_f64_e32 v[124:125], v[112:113], v[48:49]
	v_add_f64 v[126:127], v[122:123], v[124:125]
	ds_read_b128 v[122:125], v1 offset:1088
	v_mul_f64 v[8:9], v[84:85], v[16:17]
	s_waitcnt lgkmcnt(1)
	v_mul_f64 v[128:129], v[114:115], v[42:43]
	v_fma_f64 v[8:9], v[82:83], v[12:13], -v[8:9]
	v_fmac_f64_e32 v[128:129], v[116:117], v[44:45]
	v_add_f64 v[6:7], v[6:7], v[8:9]
	v_mul_f64 v[8:9], v[88:89], v[22:23]
	v_add_f64 v[130:131], v[126:127], v[128:129]
	ds_read_b128 v[126:129], v1 offset:1104
	s_waitcnt vmcnt(42) lgkmcnt(1)
	v_mul_f64 v[132:133], v[122:123], v[54:55]
	v_fma_f64 v[8:9], v[86:87], v[24:25], -v[8:9]
	s_waitcnt vmcnt(40)
	v_fmac_f64_e32 v[132:133], v[124:125], v[56:57]
	v_add_f64 v[6:7], v[6:7], v[8:9]
	v_mul_f64 v[8:9], v[92:93], v[18:19]
	v_add_f64 v[134:135], v[130:131], v[132:133]
	ds_read_b128 v[130:133], v1 offset:1120
	v_fma_f64 v[8:9], v[90:91], v[20:21], -v[8:9]
	v_add_f64 v[6:7], v[6:7], v[8:9]
	v_mul_f64 v[8:9], v[96:97], v[30:31]
	v_fma_f64 v[8:9], v[94:95], v[32:33], -v[8:9]
	s_waitcnt lgkmcnt(1)
	v_mul_f64 v[136:137], v[126:127], v[50:51]
	v_add_f64 v[6:7], v[6:7], v[8:9]
	v_mul_f64 v[8:9], v[100:101], v[26:27]
	v_fmac_f64_e32 v[136:137], v[128:129], v[52:53]
	v_fma_f64 v[8:9], v[98:99], v[28:29], -v[8:9]
	v_add_f64 v[138:139], v[134:135], v[136:137]
	ds_read_b128 v[134:137], v1 offset:1136
	s_waitcnt vmcnt(34) lgkmcnt(1)
	v_mul_f64 v[140:141], v[130:131], v[62:63]
	v_add_f64 v[6:7], v[6:7], v[8:9]
	v_mul_f64 v[8:9], v[104:105], v[38:39]
	s_waitcnt vmcnt(32)
	v_fmac_f64_e32 v[140:141], v[132:133], v[64:65]
	v_fma_f64 v[8:9], v[102:103], v[40:41], -v[8:9]
	v_add_f64 v[142:143], v[138:139], v[140:141]
	ds_read_b128 v[138:141], v1 offset:1152
	v_add_f64 v[6:7], v[6:7], v[8:9]
	v_mul_f64 v[8:9], v[108:109], v[34:35]
	v_fma_f64 v[8:9], v[106:107], v[36:37], -v[8:9]
	v_add_f64 v[6:7], v[6:7], v[8:9]
	v_mul_f64 v[8:9], v[112:113], v[46:47]
	s_waitcnt lgkmcnt(1)
	v_mul_f64 v[144:145], v[134:135], v[58:59]
	v_fma_f64 v[8:9], v[110:111], v[48:49], -v[8:9]
	v_fmac_f64_e32 v[144:145], v[136:137], v[60:61]
	v_add_f64 v[6:7], v[6:7], v[8:9]
	v_mul_f64 v[8:9], v[116:117], v[42:43]
	v_add_f64 v[146:147], v[142:143], v[144:145]
	ds_read_b128 v[142:145], v1 offset:1168
	s_waitcnt vmcnt(26) lgkmcnt(1)
	v_mul_f64 v[148:149], v[138:139], v[70:71]
	v_fma_f64 v[8:9], v[114:115], v[44:45], -v[8:9]
	s_waitcnt vmcnt(24)
	v_fmac_f64_e32 v[148:149], v[140:141], v[72:73]
	v_add_f64 v[6:7], v[6:7], v[8:9]
	v_mul_f64 v[8:9], v[124:125], v[54:55]
	v_add_f64 v[150:151], v[146:147], v[148:149]
	ds_read_b128 v[146:149], v1 offset:1184
	v_fma_f64 v[8:9], v[122:123], v[56:57], -v[8:9]
	v_add_f64 v[6:7], v[6:7], v[8:9]
	v_mul_f64 v[8:9], v[128:129], v[50:51]
	v_fma_f64 v[8:9], v[126:127], v[52:53], -v[8:9]
	s_waitcnt lgkmcnt(1)
	v_mul_f64 v[152:153], v[142:143], v[66:67]
	v_add_f64 v[6:7], v[6:7], v[8:9]
	v_mul_f64 v[8:9], v[132:133], v[62:63]
	v_fmac_f64_e32 v[152:153], v[144:145], v[68:69]
	v_fma_f64 v[8:9], v[130:131], v[64:65], -v[8:9]
	v_add_f64 v[154:155], v[150:151], v[152:153]
	ds_read_b128 v[150:153], v1 offset:1200
	s_waitcnt vmcnt(18) lgkmcnt(1)
	v_mul_f64 v[156:157], v[146:147], v[172:173]
	v_add_f64 v[6:7], v[6:7], v[8:9]
	v_mul_f64 v[8:9], v[136:137], v[58:59]
	s_waitcnt vmcnt(16)
	v_fmac_f64_e32 v[156:157], v[148:149], v[174:175]
	v_fma_f64 v[8:9], v[134:135], v[60:61], -v[8:9]
	v_add_f64 v[158:159], v[154:155], v[156:157]
	ds_read_b128 v[154:157], v1 offset:1216
	v_add_f64 v[6:7], v[6:7], v[8:9]
	v_mul_f64 v[8:9], v[140:141], v[70:71]
	v_fma_f64 v[8:9], v[138:139], v[72:73], -v[8:9]
	v_add_f64 v[6:7], v[6:7], v[8:9]
	v_mul_f64 v[8:9], v[144:145], v[66:67]
	s_waitcnt lgkmcnt(1)
	v_mul_f64 v[160:161], v[150:151], v[118:119]
	v_fma_f64 v[8:9], v[142:143], v[68:69], -v[8:9]
	v_fmac_f64_e32 v[160:161], v[152:153], v[170:171]
	v_add_f64 v[6:7], v[6:7], v[8:9]
	v_mul_f64 v[8:9], v[148:149], v[172:173]
	v_add_f64 v[162:163], v[158:159], v[160:161]
	ds_read_b128 v[158:161], v1 offset:1232
	s_waitcnt vmcnt(10) lgkmcnt(1)
	v_mul_f64 v[164:165], v[154:155], v[180:181]
	v_fma_f64 v[8:9], v[146:147], v[174:175], -v[8:9]
	s_waitcnt vmcnt(8)
	v_fmac_f64_e32 v[164:165], v[156:157], v[182:183]
	v_add_f64 v[6:7], v[6:7], v[8:9]
	v_mul_f64 v[8:9], v[152:153], v[118:119]
	v_add_f64 v[192:193], v[162:163], v[164:165]
	ds_read_b128 v[162:165], v1 offset:1248
	v_fma_f64 v[8:9], v[150:151], v[170:171], -v[8:9]
	v_add_f64 v[6:7], v[6:7], v[8:9]
	v_mul_f64 v[8:9], v[156:157], v[180:181]
	v_fma_f64 v[8:9], v[154:155], v[182:183], -v[8:9]
	v_add_f64 v[6:7], v[6:7], v[8:9]
	s_waitcnt lgkmcnt(1)
	v_mul_f64 v[8:9], v[160:161], v[176:177]
	v_mul_f64 v[198:199], v[158:159], v[176:177]
	v_fma_f64 v[8:9], v[158:159], v[178:179], -v[8:9]
	v_fmac_f64_e32 v[198:199], v[160:161], v[178:179]
	v_add_f64 v[6:7], v[6:7], v[8:9]
	s_waitcnt vmcnt(2) lgkmcnt(0)
	v_mul_f64 v[8:9], v[164:165], v[188:189]
	v_add_f64 v[192:193], v[192:193], v[198:199]
	v_mul_f64 v[198:199], v[162:163], v[188:189]
	s_waitcnt vmcnt(0)
	v_fma_f64 v[8:9], v[162:163], v[190:191], -v[8:9]
	v_fmac_f64_e32 v[198:199], v[164:165], v[190:191]
	v_add_f64 v[6:7], v[6:7], v[8:9]
	v_mul_f64 v[8:9], v[168:169], v[184:185]
	v_add_f64 v[192:193], v[192:193], v[198:199]
	v_mul_f64 v[198:199], v[166:167], v[184:185]
	v_fma_f64 v[8:9], v[166:167], v[186:187], -v[8:9]
	v_fmac_f64_e32 v[198:199], v[168:169], v[186:187]
	v_add_f64 v[6:7], v[6:7], v[8:9]
	v_add_f64 v[192:193], v[192:193], v[198:199]
	v_add_f64 v[4:5], v[4:5], -v[6:7]
	v_add_f64 v[2:3], v[2:3], -v[192:193]
	buffer_store_dword v5, off, s[0:3], 0 offset:276
	buffer_store_dword v4, off, s[0:3], 0 offset:272
	;; [unrolled: 1-line block ×4, first 2 shown]
	s_and_saveexec_b64 s[4:5], vcc
	s_cbranch_execz .LBB39_223
; %bb.222:
	v_accvgpr_read_b32 v5, a104
	buffer_load_dword v2, v5, s[0:3], 0 offen
	buffer_load_dword v3, v5, s[0:3], 0 offen offset:4
	buffer_load_dword v4, v5, s[0:3], 0 offen offset:8
	s_nop 0
	buffer_load_dword v5, v5, s[0:3], 0 offen offset:12
	v_accvgpr_read_b32 v6, a119
	buffer_store_dword v1, off, s[0:3], 0 offset:256
	buffer_store_dword v1, off, s[0:3], 0 offset:260
	;; [unrolled: 1-line block ×4, first 2 shown]
	s_waitcnt vmcnt(4)
	ds_write_b128 v6, v[2:5]
.LBB39_223:
	s_or_b64 exec, exec, s[4:5]
	s_waitcnt lgkmcnt(0)
	; wave barrier
	s_waitcnt lgkmcnt(0)
	buffer_load_dword v22, off, s[0:3], 0 offset:272
	buffer_load_dword v23, off, s[0:3], 0 offset:276
	;; [unrolled: 1-line block ×16, first 2 shown]
	ds_read_b128 v[2:5], v1 offset:896
	ds_read_b128 v[6:9], v1 offset:912
	;; [unrolled: 1-line block ×4, first 2 shown]
	buffer_load_dword v35, off, s[0:3], 0 offset:348
	buffer_load_dword v34, off, s[0:3], 0 offset:344
	;; [unrolled: 1-line block ×48, first 2 shown]
	v_cmp_lt_u32_e32 vcc, 14, v0
	s_waitcnt vmcnt(42) lgkmcnt(0)
	v_mul_f64 v[104:105], v[14:15], v[38:39]
	s_waitcnt vmcnt(40)
	v_fmac_f64_e32 v[104:105], v[16:17], v[40:41]
	v_mul_f64 v[82:83], v[2:3], v[24:25]
	v_fmac_f64_e32 v[82:83], v[4:5], v[22:23]
	v_add_f64 v[82:83], v[82:83], 0
	v_mul_f64 v[4:5], v[4:5], v[24:25]
	v_mul_f64 v[84:85], v[6:7], v[32:33]
	v_fma_f64 v[2:3], v[2:3], v[22:23], -v[4:5]
	v_mul_f64 v[98:99], v[10:11], v[26:27]
	v_fmac_f64_e32 v[98:99], v[12:13], v[30:31]
	v_fmac_f64_e32 v[84:85], v[8:9], v[28:29]
	v_add_f64 v[100:101], v[82:83], v[84:85]
	buffer_load_dword v83, off, s[0:3], 0 offset:540
	buffer_load_dword v82, off, s[0:3], 0 offset:536
	;; [unrolled: 1-line block ×32, first 2 shown]
	v_add_f64 v[102:103], v[100:101], v[98:99]
	ds_read_b128 v[98:101], v1 offset:960
	buffer_load_dword v201, off, s[0:3], 0 offset:652
	buffer_load_dword v200, off, s[0:3], 0 offset:648
	;; [unrolled: 1-line block ×4, first 2 shown]
	v_add_f64 v[106:107], v[102:103], v[104:105]
	ds_read_b128 v[102:105], v1 offset:976
	v_mul_f64 v[4:5], v[8:9], v[32:33]
	s_waitcnt lgkmcnt(1)
	v_mul_f64 v[108:109], v[98:99], v[34:35]
	v_fmac_f64_e32 v[108:109], v[100:101], v[36:37]
	v_add_f64 v[110:111], v[106:107], v[108:109]
	ds_read_b128 v[106:109], v1 offset:992
	s_waitcnt vmcnt(62) lgkmcnt(1)
	v_mul_f64 v[112:113], v[102:103], v[46:47]
	v_fmac_f64_e32 v[112:113], v[104:105], v[48:49]
	v_add_f64 v[114:115], v[110:111], v[112:113]
	ds_read_b128 v[110:113], v1 offset:1008
	s_waitcnt lgkmcnt(1)
	v_mul_f64 v[116:117], v[106:107], v[42:43]
	v_fmac_f64_e32 v[116:117], v[108:109], v[44:45]
	v_add_f64 v[122:123], v[114:115], v[116:117]
	ds_read_b128 v[114:117], v1 offset:1024
	s_waitcnt lgkmcnt(1)
	v_mul_f64 v[124:125], v[110:111], v[54:55]
	s_waitcnt vmcnt(60)
	v_fmac_f64_e32 v[124:125], v[112:113], v[56:57]
	v_add_f64 v[126:127], v[122:123], v[124:125]
	ds_read_b128 v[122:125], v1 offset:1040
	s_waitcnt lgkmcnt(1)
	v_mul_f64 v[128:129], v[114:115], v[50:51]
	v_fmac_f64_e32 v[128:129], v[116:117], v[52:53]
	v_add_f64 v[130:131], v[126:127], v[128:129]
	ds_read_b128 v[126:129], v1 offset:1056
	s_waitcnt vmcnt(54) lgkmcnt(1)
	v_mul_f64 v[132:133], v[122:123], v[62:63]
	s_waitcnt vmcnt(52)
	v_fmac_f64_e32 v[132:133], v[124:125], v[64:65]
	v_add_f64 v[134:135], v[130:131], v[132:133]
	ds_read_b128 v[130:133], v1 offset:1072
	s_waitcnt lgkmcnt(1)
	v_mul_f64 v[136:137], v[126:127], v[58:59]
	v_fmac_f64_e32 v[136:137], v[128:129], v[60:61]
	v_add_f64 v[2:3], v[2:3], 0
	v_fma_f64 v[4:5], v[6:7], v[28:29], -v[4:5]
	v_add_f64 v[138:139], v[134:135], v[136:137]
	ds_read_b128 v[134:137], v1 offset:1088
	v_add_f64 v[2:3], v[2:3], v[4:5]
	v_mul_f64 v[4:5], v[12:13], v[26:27]
	v_fma_f64 v[4:5], v[10:11], v[30:31], -v[4:5]
	v_add_f64 v[2:3], v[2:3], v[4:5]
	v_mul_f64 v[4:5], v[16:17], v[38:39]
	s_waitcnt vmcnt(46) lgkmcnt(1)
	v_mul_f64 v[140:141], v[130:131], v[70:71]
	v_fma_f64 v[4:5], v[14:15], v[40:41], -v[4:5]
	s_waitcnt vmcnt(44)
	v_fmac_f64_e32 v[140:141], v[132:133], v[72:73]
	v_add_f64 v[2:3], v[2:3], v[4:5]
	v_mul_f64 v[4:5], v[100:101], v[34:35]
	v_add_f64 v[142:143], v[138:139], v[140:141]
	ds_read_b128 v[138:141], v1 offset:1104
	s_waitcnt lgkmcnt(1)
	v_mul_f64 v[144:145], v[134:135], v[66:67]
	v_fma_f64 v[4:5], v[98:99], v[36:37], -v[4:5]
	v_fmac_f64_e32 v[144:145], v[136:137], v[68:69]
	v_add_f64 v[2:3], v[2:3], v[4:5]
	v_mul_f64 v[4:5], v[104:105], v[46:47]
	v_add_f64 v[146:147], v[142:143], v[144:145]
	ds_read_b128 v[142:145], v1 offset:1120
	v_fma_f64 v[4:5], v[102:103], v[48:49], -v[4:5]
	v_add_f64 v[2:3], v[2:3], v[4:5]
	v_mul_f64 v[4:5], v[108:109], v[42:43]
	v_fma_f64 v[4:5], v[106:107], v[44:45], -v[4:5]
	s_waitcnt vmcnt(38) lgkmcnt(1)
	v_mul_f64 v[148:149], v[138:139], v[78:79]
	v_add_f64 v[2:3], v[2:3], v[4:5]
	v_mul_f64 v[4:5], v[112:113], v[54:55]
	s_waitcnt vmcnt(36)
	v_fmac_f64_e32 v[148:149], v[140:141], v[80:81]
	v_fma_f64 v[4:5], v[110:111], v[56:57], -v[4:5]
	v_add_f64 v[150:151], v[146:147], v[148:149]
	ds_read_b128 v[146:149], v1 offset:1136
	s_waitcnt lgkmcnt(1)
	v_mul_f64 v[152:153], v[142:143], v[74:75]
	v_add_f64 v[2:3], v[2:3], v[4:5]
	v_mul_f64 v[4:5], v[116:117], v[50:51]
	v_fmac_f64_e32 v[152:153], v[144:145], v[76:77]
	v_fma_f64 v[4:5], v[114:115], v[52:53], -v[4:5]
	v_add_f64 v[154:155], v[150:151], v[152:153]
	ds_read_b128 v[150:153], v1 offset:1152
	v_add_f64 v[2:3], v[2:3], v[4:5]
	v_mul_f64 v[4:5], v[124:125], v[62:63]
	v_fma_f64 v[4:5], v[122:123], v[64:65], -v[4:5]
	v_add_f64 v[2:3], v[2:3], v[4:5]
	v_mul_f64 v[4:5], v[128:129], v[58:59]
	s_waitcnt vmcnt(30) lgkmcnt(1)
	v_mul_f64 v[156:157], v[146:147], v[86:87]
	v_fma_f64 v[4:5], v[126:127], v[60:61], -v[4:5]
	s_waitcnt vmcnt(28)
	v_fmac_f64_e32 v[156:157], v[148:149], v[88:89]
	v_add_f64 v[2:3], v[2:3], v[4:5]
	v_mul_f64 v[4:5], v[132:133], v[70:71]
	v_add_f64 v[158:159], v[154:155], v[156:157]
	ds_read_b128 v[154:157], v1 offset:1168
	s_waitcnt lgkmcnt(1)
	v_mul_f64 v[160:161], v[150:151], v[82:83]
	v_fma_f64 v[4:5], v[130:131], v[72:73], -v[4:5]
	v_fmac_f64_e32 v[160:161], v[152:153], v[84:85]
	v_add_f64 v[2:3], v[2:3], v[4:5]
	v_mul_f64 v[4:5], v[136:137], v[66:67]
	v_add_f64 v[162:163], v[158:159], v[160:161]
	ds_read_b128 v[158:161], v1 offset:1184
	v_fma_f64 v[4:5], v[134:135], v[68:69], -v[4:5]
	v_add_f64 v[2:3], v[2:3], v[4:5]
	v_mul_f64 v[4:5], v[140:141], v[78:79]
	v_fma_f64 v[4:5], v[138:139], v[80:81], -v[4:5]
	s_waitcnt vmcnt(22) lgkmcnt(1)
	v_mul_f64 v[164:165], v[154:155], v[94:95]
	v_add_f64 v[2:3], v[2:3], v[4:5]
	v_mul_f64 v[4:5], v[144:145], v[74:75]
	s_waitcnt vmcnt(20)
	v_fmac_f64_e32 v[164:165], v[156:157], v[96:97]
	v_fma_f64 v[4:5], v[142:143], v[76:77], -v[4:5]
	v_add_f64 v[166:167], v[162:163], v[164:165]
	ds_read_b128 v[162:165], v1 offset:1200
	s_waitcnt lgkmcnt(1)
	v_mul_f64 v[168:169], v[158:159], v[90:91]
	v_add_f64 v[2:3], v[2:3], v[4:5]
	v_mul_f64 v[4:5], v[148:149], v[86:87]
	v_fmac_f64_e32 v[168:169], v[160:161], v[92:93]
	v_fma_f64 v[4:5], v[146:147], v[88:89], -v[4:5]
	v_add_f64 v[170:171], v[166:167], v[168:169]
	ds_read_b128 v[166:169], v1 offset:1216
	v_add_f64 v[2:3], v[2:3], v[4:5]
	v_mul_f64 v[4:5], v[152:153], v[82:83]
	v_fma_f64 v[4:5], v[150:151], v[84:85], -v[4:5]
	v_add_f64 v[2:3], v[2:3], v[4:5]
	v_mul_f64 v[4:5], v[156:157], v[94:95]
	s_waitcnt vmcnt(14) lgkmcnt(1)
	v_mul_f64 v[172:173], v[162:163], v[184:185]
	v_fma_f64 v[4:5], v[154:155], v[96:97], -v[4:5]
	s_waitcnt vmcnt(12)
	v_fmac_f64_e32 v[172:173], v[164:165], v[186:187]
	v_add_f64 v[2:3], v[2:3], v[4:5]
	v_mul_f64 v[4:5], v[160:161], v[90:91]
	v_add_f64 v[174:175], v[170:171], v[172:173]
	ds_read_b128 v[170:173], v1 offset:1232
	s_waitcnt lgkmcnt(1)
	v_mul_f64 v[176:177], v[166:167], v[118:119]
	v_fma_f64 v[4:5], v[158:159], v[92:93], -v[4:5]
	v_fmac_f64_e32 v[176:177], v[168:169], v[182:183]
	v_add_f64 v[2:3], v[2:3], v[4:5]
	v_mul_f64 v[4:5], v[164:165], v[184:185]
	v_add_f64 v[204:205], v[174:175], v[176:177]
	ds_read_b128 v[174:177], v1 offset:1248
	v_fma_f64 v[4:5], v[162:163], v[186:187], -v[4:5]
	v_add_f64 v[2:3], v[2:3], v[4:5]
	v_mul_f64 v[4:5], v[168:169], v[118:119]
	ds_read_b128 v[178:181], v1 offset:1264
	v_fma_f64 v[4:5], v[166:167], v[182:183], -v[4:5]
	v_add_f64 v[2:3], v[2:3], v[4:5]
	s_waitcnt vmcnt(6) lgkmcnt(2)
	v_mul_f64 v[4:5], v[172:173], v[192:193]
	v_mul_f64 v[206:207], v[170:171], v[192:193]
	s_waitcnt vmcnt(4)
	v_fma_f64 v[4:5], v[170:171], v[198:199], -v[4:5]
	v_fmac_f64_e32 v[206:207], v[172:173], v[198:199]
	v_add_f64 v[2:3], v[2:3], v[4:5]
	s_waitcnt lgkmcnt(1)
	v_mul_f64 v[4:5], v[176:177], v[188:189]
	v_add_f64 v[204:205], v[204:205], v[206:207]
	v_mul_f64 v[206:207], v[174:175], v[188:189]
	v_fma_f64 v[4:5], v[174:175], v[190:191], -v[4:5]
	v_fmac_f64_e32 v[206:207], v[176:177], v[190:191]
	v_add_f64 v[2:3], v[2:3], v[4:5]
	s_waitcnt vmcnt(2) lgkmcnt(0)
	v_mul_f64 v[4:5], v[180:181], v[200:201]
	v_add_f64 v[204:205], v[204:205], v[206:207]
	v_mul_f64 v[206:207], v[178:179], v[200:201]
	s_waitcnt vmcnt(0)
	v_fma_f64 v[4:5], v[178:179], v[202:203], -v[4:5]
	v_fmac_f64_e32 v[206:207], v[180:181], v[202:203]
	v_add_f64 v[2:3], v[2:3], v[4:5]
	v_add_f64 v[204:205], v[204:205], v[206:207]
	v_add_f64 v[2:3], v[20:21], -v[2:3]
	v_add_f64 v[4:5], v[18:19], -v[204:205]
	buffer_store_dword v3, off, s[0:3], 0 offset:260
	buffer_store_dword v2, off, s[0:3], 0 offset:256
	;; [unrolled: 1-line block ×4, first 2 shown]
	s_and_saveexec_b64 s[4:5], vcc
	s_cbranch_execz .LBB39_225
; %bb.224:
	v_accvgpr_read_b32 v1, a105
	buffer_load_dword v2, v1, s[0:3], 0 offen
	buffer_load_dword v3, v1, s[0:3], 0 offen offset:4
	buffer_load_dword v4, v1, s[0:3], 0 offen offset:8
	;; [unrolled: 1-line block ×3, first 2 shown]
	v_mov_b32_e32 v1, 0
	v_accvgpr_read_b32 v6, a119
	buffer_store_dword v1, off, s[0:3], 0 offset:240
	buffer_store_dword v1, off, s[0:3], 0 offset:244
	;; [unrolled: 1-line block ×4, first 2 shown]
	s_waitcnt vmcnt(4)
	ds_write_b128 v6, v[2:5]
.LBB39_225:
	s_or_b64 exec, exec, s[4:5]
	s_waitcnt lgkmcnt(0)
	; wave barrier
	s_waitcnt lgkmcnt(0)
	buffer_load_dword v22, off, s[0:3], 0 offset:256
	buffer_load_dword v23, off, s[0:3], 0 offset:260
	buffer_load_dword v26, off, s[0:3], 0 offset:264
	buffer_load_dword v27, off, s[0:3], 0 offset:268
	buffer_load_dword v24, off, s[0:3], 0 offset:272
	buffer_load_dword v25, off, s[0:3], 0 offset:276
	buffer_load_dword v28, off, s[0:3], 0 offset:280
	buffer_load_dword v29, off, s[0:3], 0 offset:284
	buffer_load_dword v30, off, s[0:3], 0 offset:296
	buffer_load_dword v31, off, s[0:3], 0 offset:300
	buffer_load_dword v37, off, s[0:3], 0 offset:332
	buffer_load_dword v39, off, s[0:3], 0 offset:324
	buffer_load_dword v41, off, s[0:3], 0 offset:316
	buffer_load_dword v40, off, s[0:3], 0 offset:312
	buffer_load_dword v44, off, s[0:3], 0 offset:288
	buffer_load_dword v45, off, s[0:3], 0 offset:292
	buffer_load_dword v43, off, s[0:3], 0 offset:308
	buffer_load_dword v42, off, s[0:3], 0 offset:304
	buffer_load_dword v36, off, s[0:3], 0 offset:328
	buffer_load_dword v38, off, s[0:3], 0 offset:320
	buffer_load_dword v34, off, s[0:3], 0 offset:240
	buffer_load_dword v35, off, s[0:3], 0 offset:244
	buffer_load_dword v32, off, s[0:3], 0 offset:248
	buffer_load_dword v33, off, s[0:3], 0 offset:252
	buffer_load_dword v47, off, s[0:3], 0 offset:364
	buffer_load_dword v46, off, s[0:3], 0 offset:360
	buffer_load_dword v49, off, s[0:3], 0 offset:356
	buffer_load_dword v48, off, s[0:3], 0 offset:352
	buffer_load_dword v51, off, s[0:3], 0 offset:348
	buffer_load_dword v50, off, s[0:3], 0 offset:344
	buffer_load_dword v53, off, s[0:3], 0 offset:340
	buffer_load_dword v52, off, s[0:3], 0 offset:336
	buffer_load_dword v55, off, s[0:3], 0 offset:396
	buffer_load_dword v54, off, s[0:3], 0 offset:392
	buffer_load_dword v57, off, s[0:3], 0 offset:388
	buffer_load_dword v56, off, s[0:3], 0 offset:384
	buffer_load_dword v59, off, s[0:3], 0 offset:380
	buffer_load_dword v58, off, s[0:3], 0 offset:376
	buffer_load_dword v61, off, s[0:3], 0 offset:372
	buffer_load_dword v60, off, s[0:3], 0 offset:368
	buffer_load_dword v63, off, s[0:3], 0 offset:428
	buffer_load_dword v62, off, s[0:3], 0 offset:424
	buffer_load_dword v65, off, s[0:3], 0 offset:420
	buffer_load_dword v64, off, s[0:3], 0 offset:416
	buffer_load_dword v67, off, s[0:3], 0 offset:412
	buffer_load_dword v66, off, s[0:3], 0 offset:408
	buffer_load_dword v69, off, s[0:3], 0 offset:404
	buffer_load_dword v68, off, s[0:3], 0 offset:400
	buffer_load_dword v71, off, s[0:3], 0 offset:460
	buffer_load_dword v70, off, s[0:3], 0 offset:456
	buffer_load_dword v73, off, s[0:3], 0 offset:452
	buffer_load_dword v72, off, s[0:3], 0 offset:448
	buffer_load_dword v75, off, s[0:3], 0 offset:444
	buffer_load_dword v74, off, s[0:3], 0 offset:440
	buffer_load_dword v77, off, s[0:3], 0 offset:436
	buffer_load_dword v76, off, s[0:3], 0 offset:432
	buffer_load_dword v79, off, s[0:3], 0 offset:492
	buffer_load_dword v78, off, s[0:3], 0 offset:488
	buffer_load_dword v81, off, s[0:3], 0 offset:484
	buffer_load_dword v80, off, s[0:3], 0 offset:480
	buffer_load_dword v83, off, s[0:3], 0 offset:476
	buffer_load_dword v82, off, s[0:3], 0 offset:472
	buffer_load_dword v85, off, s[0:3], 0 offset:468
	buffer_load_dword v84, off, s[0:3], 0 offset:464
	v_mov_b32_e32 v1, 0
	ds_read_b128 v[18:21], v1 offset:880
	ds_read_b128 v[14:17], v1 offset:896
	ds_read_b128 v[10:13], v1 offset:912
	ds_read_b128 v[6:9], v1 offset:928
	ds_read_b128 v[2:5], v1 offset:944
	v_cmp_lt_u32_e32 vcc, 13, v0
	s_waitcnt vmcnt(60) lgkmcnt(4)
	v_mul_f64 v[86:87], v[18:19], v[26:27]
	v_fmac_f64_e32 v[86:87], v[20:21], v[22:23]
	v_add_f64 v[86:87], v[86:87], 0
	v_mul_f64 v[20:21], v[20:21], v[26:27]
	s_waitcnt vmcnt(56) lgkmcnt(3)
	v_mul_f64 v[88:89], v[14:15], v[28:29]
	v_fmac_f64_e32 v[88:89], v[16:17], v[24:25]
	s_waitcnt vmcnt(54) lgkmcnt(2)
	v_mul_f64 v[90:91], v[10:11], v[30:31]
	v_add_f64 v[86:87], v[86:87], v[88:89]
	v_fma_f64 v[18:19], v[18:19], v[22:23], -v[20:21]
	v_mul_f64 v[16:17], v[16:17], v[28:29]
	s_waitcnt vmcnt(50) lgkmcnt(1)
	v_mul_f64 v[102:103], v[6:7], v[40:41]
	v_add_f64 v[18:19], v[18:19], 0
	s_waitcnt vmcnt(48)
	v_fmac_f64_e32 v[90:91], v[12:13], v[44:45]
	v_add_f64 v[104:105], v[86:87], v[90:91]
	buffer_load_dword v87, off, s[0:3], 0 offset:524
	buffer_load_dword v86, off, s[0:3], 0 offset:520
	;; [unrolled: 1-line block ×40, first 2 shown]
	s_waitcnt vmcnt(62)
	v_fmac_f64_e32 v[102:103], v[8:9], v[42:43]
	v_add_f64 v[106:107], v[104:105], v[102:103]
	ds_read_b128 v[102:105], v1 offset:960
	s_waitcnt lgkmcnt(1)
	v_mul_f64 v[108:109], v[2:3], v[36:37]
	v_fmac_f64_e32 v[108:109], v[4:5], v[38:39]
	v_add_f64 v[110:111], v[106:107], v[108:109]
	ds_read_b128 v[106:109], v1 offset:976
	s_waitcnt lgkmcnt(1)
	v_mul_f64 v[112:113], v[102:103], v[50:51]
	v_fmac_f64_e32 v[112:113], v[104:105], v[52:53]
	v_add_f64 v[114:115], v[110:111], v[112:113]
	ds_read_b128 v[110:113], v1 offset:992
	s_waitcnt lgkmcnt(1)
	v_mul_f64 v[116:117], v[106:107], v[46:47]
	v_fmac_f64_e32 v[116:117], v[108:109], v[48:49]
	v_add_f64 v[122:123], v[114:115], v[116:117]
	ds_read_b128 v[114:117], v1 offset:1008
	s_waitcnt lgkmcnt(1)
	v_mul_f64 v[124:125], v[110:111], v[58:59]
	v_fmac_f64_e32 v[124:125], v[112:113], v[60:61]
	v_add_f64 v[126:127], v[122:123], v[124:125]
	ds_read_b128 v[122:125], v1 offset:1024
	s_waitcnt lgkmcnt(1)
	v_mul_f64 v[128:129], v[114:115], v[54:55]
	v_fmac_f64_e32 v[128:129], v[116:117], v[56:57]
	v_add_f64 v[130:131], v[126:127], v[128:129]
	ds_read_b128 v[126:129], v1 offset:1040
	s_waitcnt vmcnt(58) lgkmcnt(1)
	v_mul_f64 v[132:133], v[122:123], v[66:67]
	s_waitcnt vmcnt(56)
	v_fmac_f64_e32 v[132:133], v[124:125], v[68:69]
	v_add_f64 v[134:135], v[130:131], v[132:133]
	ds_read_b128 v[130:133], v1 offset:1056
	s_waitcnt lgkmcnt(1)
	v_mul_f64 v[136:137], v[126:127], v[62:63]
	v_fmac_f64_e32 v[136:137], v[128:129], v[64:65]
	v_add_f64 v[138:139], v[134:135], v[136:137]
	ds_read_b128 v[134:137], v1 offset:1072
	s_waitcnt vmcnt(50) lgkmcnt(1)
	v_mul_f64 v[140:141], v[130:131], v[74:75]
	s_waitcnt vmcnt(48)
	v_fmac_f64_e32 v[140:141], v[132:133], v[76:77]
	v_add_f64 v[142:143], v[138:139], v[140:141]
	ds_read_b128 v[138:141], v1 offset:1088
	v_fma_f64 v[14:15], v[14:15], v[24:25], -v[16:17]
	v_mul_f64 v[12:13], v[12:13], v[30:31]
	v_add_f64 v[14:15], v[18:19], v[14:15]
	v_fma_f64 v[10:11], v[10:11], v[44:45], -v[12:13]
	v_mul_f64 v[8:9], v[8:9], v[40:41]
	s_waitcnt lgkmcnt(1)
	v_mul_f64 v[144:145], v[134:135], v[70:71]
	v_add_f64 v[10:11], v[14:15], v[10:11]
	v_fma_f64 v[6:7], v[6:7], v[42:43], -v[8:9]
	v_mul_f64 v[4:5], v[4:5], v[36:37]
	v_fmac_f64_e32 v[144:145], v[136:137], v[72:73]
	v_add_f64 v[6:7], v[10:11], v[6:7]
	v_fma_f64 v[2:3], v[2:3], v[38:39], -v[4:5]
	v_mul_f64 v[4:5], v[104:105], v[50:51]
	v_add_f64 v[146:147], v[142:143], v[144:145]
	ds_read_b128 v[142:145], v1 offset:1104
	s_waitcnt vmcnt(42) lgkmcnt(1)
	v_mul_f64 v[148:149], v[138:139], v[82:83]
	v_add_f64 v[2:3], v[6:7], v[2:3]
	v_fma_f64 v[4:5], v[102:103], v[52:53], -v[4:5]
	s_waitcnt vmcnt(40)
	v_fmac_f64_e32 v[148:149], v[140:141], v[84:85]
	v_add_f64 v[2:3], v[2:3], v[4:5]
	v_mul_f64 v[4:5], v[108:109], v[46:47]
	v_add_f64 v[150:151], v[146:147], v[148:149]
	ds_read_b128 v[146:149], v1 offset:1120
	v_fma_f64 v[4:5], v[106:107], v[48:49], -v[4:5]
	v_add_f64 v[2:3], v[2:3], v[4:5]
	v_mul_f64 v[4:5], v[112:113], v[58:59]
	v_fma_f64 v[4:5], v[110:111], v[60:61], -v[4:5]
	s_waitcnt lgkmcnt(1)
	v_mul_f64 v[152:153], v[142:143], v[78:79]
	v_add_f64 v[2:3], v[2:3], v[4:5]
	v_mul_f64 v[4:5], v[116:117], v[54:55]
	v_fmac_f64_e32 v[152:153], v[144:145], v[80:81]
	v_fma_f64 v[4:5], v[114:115], v[56:57], -v[4:5]
	v_add_f64 v[154:155], v[150:151], v[152:153]
	ds_read_b128 v[150:153], v1 offset:1136
	s_waitcnt vmcnt(34) lgkmcnt(1)
	v_mul_f64 v[156:157], v[146:147], v[90:91]
	v_add_f64 v[2:3], v[2:3], v[4:5]
	v_mul_f64 v[4:5], v[124:125], v[66:67]
	s_waitcnt vmcnt(32)
	v_fmac_f64_e32 v[156:157], v[148:149], v[92:93]
	v_fma_f64 v[4:5], v[122:123], v[68:69], -v[4:5]
	v_add_f64 v[158:159], v[154:155], v[156:157]
	ds_read_b128 v[154:157], v1 offset:1152
	v_add_f64 v[2:3], v[2:3], v[4:5]
	v_mul_f64 v[4:5], v[128:129], v[62:63]
	v_fma_f64 v[4:5], v[126:127], v[64:65], -v[4:5]
	v_add_f64 v[2:3], v[2:3], v[4:5]
	v_mul_f64 v[4:5], v[132:133], v[74:75]
	s_waitcnt lgkmcnt(1)
	v_mul_f64 v[160:161], v[150:151], v[86:87]
	v_fma_f64 v[4:5], v[130:131], v[76:77], -v[4:5]
	v_fmac_f64_e32 v[160:161], v[152:153], v[88:89]
	v_add_f64 v[2:3], v[2:3], v[4:5]
	v_mul_f64 v[4:5], v[136:137], v[70:71]
	v_add_f64 v[162:163], v[158:159], v[160:161]
	ds_read_b128 v[158:161], v1 offset:1168
	s_waitcnt vmcnt(26) lgkmcnt(1)
	v_mul_f64 v[164:165], v[154:155], v[98:99]
	v_fma_f64 v[4:5], v[134:135], v[72:73], -v[4:5]
	s_waitcnt vmcnt(24)
	v_fmac_f64_e32 v[164:165], v[156:157], v[100:101]
	v_add_f64 v[2:3], v[2:3], v[4:5]
	v_mul_f64 v[4:5], v[140:141], v[82:83]
	v_add_f64 v[166:167], v[162:163], v[164:165]
	ds_read_b128 v[162:165], v1 offset:1184
	v_fma_f64 v[4:5], v[138:139], v[84:85], -v[4:5]
	v_add_f64 v[2:3], v[2:3], v[4:5]
	v_mul_f64 v[4:5], v[144:145], v[78:79]
	v_fma_f64 v[4:5], v[142:143], v[80:81], -v[4:5]
	s_waitcnt lgkmcnt(1)
	v_mul_f64 v[168:169], v[158:159], v[94:95]
	v_add_f64 v[2:3], v[2:3], v[4:5]
	v_mul_f64 v[4:5], v[148:149], v[90:91]
	v_fmac_f64_e32 v[168:169], v[160:161], v[96:97]
	v_fma_f64 v[4:5], v[146:147], v[92:93], -v[4:5]
	v_add_f64 v[170:171], v[166:167], v[168:169]
	ds_read_b128 v[166:169], v1 offset:1200
	s_waitcnt vmcnt(18) lgkmcnt(1)
	v_mul_f64 v[172:173], v[162:163], v[188:189]
	v_add_f64 v[2:3], v[2:3], v[4:5]
	v_mul_f64 v[4:5], v[152:153], v[86:87]
	s_waitcnt vmcnt(16)
	v_fmac_f64_e32 v[172:173], v[164:165], v[190:191]
	v_fma_f64 v[4:5], v[150:151], v[88:89], -v[4:5]
	v_add_f64 v[174:175], v[170:171], v[172:173]
	ds_read_b128 v[170:173], v1 offset:1216
	v_add_f64 v[2:3], v[2:3], v[4:5]
	v_mul_f64 v[4:5], v[156:157], v[98:99]
	v_fma_f64 v[4:5], v[154:155], v[100:101], -v[4:5]
	v_add_f64 v[2:3], v[2:3], v[4:5]
	v_mul_f64 v[4:5], v[160:161], v[94:95]
	s_waitcnt lgkmcnt(1)
	v_mul_f64 v[176:177], v[166:167], v[118:119]
	v_fma_f64 v[4:5], v[158:159], v[96:97], -v[4:5]
	v_fmac_f64_e32 v[176:177], v[168:169], v[186:187]
	v_add_f64 v[2:3], v[2:3], v[4:5]
	v_mul_f64 v[4:5], v[164:165], v[188:189]
	v_add_f64 v[178:179], v[174:175], v[176:177]
	ds_read_b128 v[174:177], v1 offset:1232
	s_waitcnt vmcnt(10) lgkmcnt(1)
	v_mul_f64 v[180:181], v[170:171], v[200:201]
	v_fma_f64 v[4:5], v[162:163], v[190:191], -v[4:5]
	s_waitcnt vmcnt(8)
	v_fmac_f64_e32 v[180:181], v[172:173], v[202:203]
	v_add_f64 v[2:3], v[2:3], v[4:5]
	v_mul_f64 v[4:5], v[168:169], v[118:119]
	v_add_f64 v[212:213], v[178:179], v[180:181]
	ds_read_b128 v[178:181], v1 offset:1248
	ds_read_b128 v[182:185], v1 offset:1264
	v_fma_f64 v[4:5], v[166:167], v[186:187], -v[4:5]
	v_add_f64 v[2:3], v[2:3], v[4:5]
	v_mul_f64 v[4:5], v[172:173], v[200:201]
	v_fma_f64 v[4:5], v[170:171], v[202:203], -v[4:5]
	v_add_f64 v[2:3], v[2:3], v[4:5]
	s_waitcnt lgkmcnt(2)
	v_mul_f64 v[4:5], v[176:177], v[192:193]
	v_mul_f64 v[214:215], v[174:175], v[192:193]
	v_fma_f64 v[4:5], v[174:175], v[198:199], -v[4:5]
	v_fmac_f64_e32 v[214:215], v[176:177], v[198:199]
	v_add_f64 v[2:3], v[2:3], v[4:5]
	s_waitcnt vmcnt(2) lgkmcnt(1)
	v_mul_f64 v[4:5], v[180:181], v[208:209]
	v_add_f64 v[212:213], v[212:213], v[214:215]
	v_mul_f64 v[214:215], v[178:179], v[208:209]
	s_waitcnt vmcnt(0)
	v_fma_f64 v[4:5], v[178:179], v[210:211], -v[4:5]
	v_fmac_f64_e32 v[214:215], v[180:181], v[210:211]
	v_add_f64 v[2:3], v[2:3], v[4:5]
	s_waitcnt lgkmcnt(0)
	v_mul_f64 v[4:5], v[184:185], v[204:205]
	v_add_f64 v[212:213], v[212:213], v[214:215]
	v_mul_f64 v[214:215], v[182:183], v[204:205]
	v_fma_f64 v[4:5], v[182:183], v[206:207], -v[4:5]
	v_fmac_f64_e32 v[214:215], v[184:185], v[206:207]
	v_add_f64 v[2:3], v[2:3], v[4:5]
	v_add_f64 v[212:213], v[212:213], v[214:215]
	v_add_f64 v[2:3], v[34:35], -v[2:3]
	v_add_f64 v[4:5], v[32:33], -v[212:213]
	buffer_store_dword v3, off, s[0:3], 0 offset:244
	buffer_store_dword v2, off, s[0:3], 0 offset:240
	;; [unrolled: 1-line block ×4, first 2 shown]
	s_and_saveexec_b64 s[4:5], vcc
	s_cbranch_execz .LBB39_227
; %bb.226:
	v_accvgpr_read_b32 v5, a106
	buffer_load_dword v2, v5, s[0:3], 0 offen
	buffer_load_dword v3, v5, s[0:3], 0 offen offset:4
	buffer_load_dword v4, v5, s[0:3], 0 offen offset:8
	s_nop 0
	buffer_load_dword v5, v5, s[0:3], 0 offen offset:12
	v_accvgpr_read_b32 v6, a119
	buffer_store_dword v1, off, s[0:3], 0 offset:224
	buffer_store_dword v1, off, s[0:3], 0 offset:228
	;; [unrolled: 1-line block ×4, first 2 shown]
	s_waitcnt vmcnt(4)
	ds_write_b128 v6, v[2:5]
.LBB39_227:
	s_or_b64 exec, exec, s[4:5]
	s_waitcnt lgkmcnt(0)
	; wave barrier
	s_waitcnt lgkmcnt(0)
	buffer_load_dword v26, off, s[0:3], 0 offset:240
	buffer_load_dword v27, off, s[0:3], 0 offset:244
	;; [unrolled: 1-line block ×24, first 2 shown]
	ds_read_b128 v[22:25], v1 offset:864
	ds_read_b128 v[18:21], v1 offset:880
	;; [unrolled: 1-line block ×6, first 2 shown]
	buffer_load_dword v51, off, s[0:3], 0 offset:348
	buffer_load_dword v50, off, s[0:3], 0 offset:344
	;; [unrolled: 1-line block ×40, first 2 shown]
	v_cmp_lt_u32_e32 vcc, 12, v0
	s_waitcnt vmcnt(34) lgkmcnt(0)
	v_mul_f64 v[124:125], v[14:15], v[54:55]
	s_waitcnt vmcnt(32)
	v_fmac_f64_e32 v[124:125], v[16:17], v[56:57]
	v_mul_f64 v[90:91], v[22:23], v[28:29]
	v_fmac_f64_e32 v[90:91], v[24:25], v[26:27]
	v_mul_f64 v[92:93], v[18:19], v[30:31]
	v_add_f64 v[90:91], v[90:91], 0
	v_mul_f64 v[94:95], v[10:11], v[32:33]
	v_mul_f64 v[24:25], v[24:25], v[28:29]
	;; [unrolled: 1-line block ×3, first 2 shown]
	v_fma_f64 v[22:23], v[22:23], v[26:27], -v[24:25]
	v_add_f64 v[22:23], v[22:23], 0
	v_mul_f64 v[96:97], v[6:7], v[42:43]
	v_fmac_f64_e32 v[92:93], v[20:21], v[48:49]
	v_add_f64 v[90:91], v[90:91], v[92:93]
	v_fmac_f64_e32 v[94:95], v[12:13], v[46:47]
	v_add_f64 v[90:91], v[90:91], v[94:95]
	;; [unrolled: 2-line block ×3, first 2 shown]
	buffer_load_dword v91, off, s[0:3], 0 offset:508
	buffer_load_dword v90, off, s[0:3], 0 offset:504
	buffer_load_dword v93, off, s[0:3], 0 offset:500
	buffer_load_dword v92, off, s[0:3], 0 offset:496
	buffer_load_dword v95, off, s[0:3], 0 offset:492
	buffer_load_dword v94, off, s[0:3], 0 offset:488
	buffer_load_dword v97, off, s[0:3], 0 offset:484
	buffer_load_dword v96, off, s[0:3], 0 offset:480
	buffer_load_dword v99, off, s[0:3], 0 offset:540
	buffer_load_dword v98, off, s[0:3], 0 offset:536
	buffer_load_dword v101, off, s[0:3], 0 offset:532
	buffer_load_dword v100, off, s[0:3], 0 offset:528
	buffer_load_dword v103, off, s[0:3], 0 offset:524
	buffer_load_dword v102, off, s[0:3], 0 offset:520
	buffer_load_dword v105, off, s[0:3], 0 offset:516
	buffer_load_dword v104, off, s[0:3], 0 offset:512
	buffer_load_dword v107, off, s[0:3], 0 offset:572
	buffer_load_dword v106, off, s[0:3], 0 offset:568
	buffer_load_dword v109, off, s[0:3], 0 offset:564
	buffer_load_dword v108, off, s[0:3], 0 offset:560
	buffer_load_dword v111, off, s[0:3], 0 offset:556
	buffer_load_dword v110, off, s[0:3], 0 offset:552
	buffer_load_dword v113, off, s[0:3], 0 offset:548
	buffer_load_dword v112, off, s[0:3], 0 offset:544
	buffer_load_dword v119, off, s[0:3], 0 offset:604
	buffer_load_dword v118, off, s[0:3], 0 offset:600
	buffer_load_dword v191, off, s[0:3], 0 offset:596
	buffer_load_dword v190, off, s[0:3], 0 offset:592
	buffer_load_dword v193, off, s[0:3], 0 offset:588
	buffer_load_dword v192, off, s[0:3], 0 offset:584
	buffer_load_dword v207, off, s[0:3], 0 offset:580
	buffer_load_dword v206, off, s[0:3], 0 offset:576
	buffer_load_dword v209, off, s[0:3], 0 offset:636
	buffer_load_dword v208, off, s[0:3], 0 offset:632
	buffer_load_dword v211, off, s[0:3], 0 offset:628
	buffer_load_dword v210, off, s[0:3], 0 offset:624
	buffer_load_dword v213, off, s[0:3], 0 offset:620
	buffer_load_dword v212, off, s[0:3], 0 offset:616
	buffer_load_dword v215, off, s[0:3], 0 offset:612
	buffer_load_dword v214, off, s[0:3], 0 offset:608
	v_fmac_f64_e32 v[114:115], v[4:5], v[40:41]
	v_add_f64 v[122:123], v[116:117], v[114:115]
	ds_read_b128 v[114:117], v1 offset:960
	buffer_load_dword v217, off, s[0:3], 0 offset:652
	buffer_load_dword v216, off, s[0:3], 0 offset:648
	;; [unrolled: 1-line block ×4, first 2 shown]
	v_add_f64 v[126:127], v[122:123], v[124:125]
	ds_read_b128 v[122:125], v1 offset:976
	v_mul_f64 v[20:21], v[20:21], v[30:31]
	s_waitcnt lgkmcnt(1)
	v_mul_f64 v[128:129], v[114:115], v[50:51]
	v_fmac_f64_e32 v[128:129], v[116:117], v[52:53]
	v_add_f64 v[130:131], v[126:127], v[128:129]
	ds_read_b128 v[126:129], v1 offset:992
	s_waitcnt vmcnt(62) lgkmcnt(1)
	v_mul_f64 v[132:133], v[122:123], v[62:63]
	v_fmac_f64_e32 v[132:133], v[124:125], v[64:65]
	v_add_f64 v[134:135], v[130:131], v[132:133]
	ds_read_b128 v[130:133], v1 offset:1008
	s_waitcnt lgkmcnt(1)
	v_mul_f64 v[136:137], v[126:127], v[58:59]
	v_fmac_f64_e32 v[136:137], v[128:129], v[60:61]
	v_add_f64 v[138:139], v[134:135], v[136:137]
	ds_read_b128 v[134:137], v1 offset:1024
	s_waitcnt lgkmcnt(1)
	v_mul_f64 v[140:141], v[130:131], v[70:71]
	s_waitcnt vmcnt(60)
	v_fmac_f64_e32 v[140:141], v[132:133], v[72:73]
	v_add_f64 v[142:143], v[138:139], v[140:141]
	ds_read_b128 v[138:141], v1 offset:1040
	s_waitcnt lgkmcnt(1)
	v_mul_f64 v[144:145], v[134:135], v[66:67]
	v_fmac_f64_e32 v[144:145], v[136:137], v[68:69]
	v_add_f64 v[146:147], v[142:143], v[144:145]
	ds_read_b128 v[142:145], v1 offset:1056
	s_waitcnt vmcnt(54) lgkmcnt(1)
	v_mul_f64 v[148:149], v[138:139], v[78:79]
	s_waitcnt vmcnt(52)
	v_fmac_f64_e32 v[148:149], v[140:141], v[80:81]
	v_add_f64 v[150:151], v[146:147], v[148:149]
	ds_read_b128 v[146:149], v1 offset:1072
	s_waitcnt lgkmcnt(1)
	v_mul_f64 v[152:153], v[142:143], v[74:75]
	v_fmac_f64_e32 v[152:153], v[144:145], v[76:77]
	v_fma_f64 v[18:19], v[18:19], v[48:49], -v[20:21]
	v_mul_f64 v[12:13], v[12:13], v[32:33]
	v_add_f64 v[154:155], v[150:151], v[152:153]
	ds_read_b128 v[150:153], v1 offset:1088
	v_add_f64 v[18:19], v[22:23], v[18:19]
	v_fma_f64 v[10:11], v[10:11], v[46:47], -v[12:13]
	v_mul_f64 v[8:9], v[8:9], v[42:43]
	v_add_f64 v[10:11], v[18:19], v[10:11]
	v_fma_f64 v[6:7], v[6:7], v[44:45], -v[8:9]
	v_mul_f64 v[4:5], v[4:5], v[38:39]
	;; [unrolled: 3-line block ×3, first 2 shown]
	s_waitcnt vmcnt(46) lgkmcnt(1)
	v_mul_f64 v[156:157], v[146:147], v[86:87]
	v_add_f64 v[2:3], v[6:7], v[2:3]
	v_fma_f64 v[4:5], v[14:15], v[56:57], -v[4:5]
	s_waitcnt vmcnt(44)
	v_fmac_f64_e32 v[156:157], v[148:149], v[88:89]
	v_add_f64 v[2:3], v[2:3], v[4:5]
	v_mul_f64 v[4:5], v[116:117], v[50:51]
	v_add_f64 v[158:159], v[154:155], v[156:157]
	ds_read_b128 v[154:157], v1 offset:1104
	s_waitcnt lgkmcnt(1)
	v_mul_f64 v[160:161], v[150:151], v[82:83]
	v_fma_f64 v[4:5], v[114:115], v[52:53], -v[4:5]
	v_fmac_f64_e32 v[160:161], v[152:153], v[84:85]
	v_add_f64 v[2:3], v[2:3], v[4:5]
	v_mul_f64 v[4:5], v[124:125], v[62:63]
	v_add_f64 v[162:163], v[158:159], v[160:161]
	ds_read_b128 v[158:161], v1 offset:1120
	v_fma_f64 v[4:5], v[122:123], v[64:65], -v[4:5]
	v_add_f64 v[2:3], v[2:3], v[4:5]
	v_mul_f64 v[4:5], v[128:129], v[58:59]
	v_fma_f64 v[4:5], v[126:127], v[60:61], -v[4:5]
	s_waitcnt vmcnt(38) lgkmcnt(1)
	v_mul_f64 v[164:165], v[154:155], v[94:95]
	v_add_f64 v[2:3], v[2:3], v[4:5]
	v_mul_f64 v[4:5], v[132:133], v[70:71]
	s_waitcnt vmcnt(36)
	v_fmac_f64_e32 v[164:165], v[156:157], v[96:97]
	v_fma_f64 v[4:5], v[130:131], v[72:73], -v[4:5]
	v_add_f64 v[166:167], v[162:163], v[164:165]
	ds_read_b128 v[162:165], v1 offset:1136
	s_waitcnt lgkmcnt(1)
	v_mul_f64 v[168:169], v[158:159], v[90:91]
	v_add_f64 v[2:3], v[2:3], v[4:5]
	v_mul_f64 v[4:5], v[136:137], v[66:67]
	v_fmac_f64_e32 v[168:169], v[160:161], v[92:93]
	v_fma_f64 v[4:5], v[134:135], v[68:69], -v[4:5]
	v_add_f64 v[170:171], v[166:167], v[168:169]
	ds_read_b128 v[166:169], v1 offset:1152
	v_add_f64 v[2:3], v[2:3], v[4:5]
	v_mul_f64 v[4:5], v[140:141], v[78:79]
	v_fma_f64 v[4:5], v[138:139], v[80:81], -v[4:5]
	v_add_f64 v[2:3], v[2:3], v[4:5]
	v_mul_f64 v[4:5], v[144:145], v[74:75]
	s_waitcnt vmcnt(30) lgkmcnt(1)
	v_mul_f64 v[172:173], v[162:163], v[102:103]
	v_fma_f64 v[4:5], v[142:143], v[76:77], -v[4:5]
	s_waitcnt vmcnt(28)
	v_fmac_f64_e32 v[172:173], v[164:165], v[104:105]
	v_add_f64 v[2:3], v[2:3], v[4:5]
	v_mul_f64 v[4:5], v[148:149], v[86:87]
	v_add_f64 v[174:175], v[170:171], v[172:173]
	ds_read_b128 v[170:173], v1 offset:1168
	s_waitcnt lgkmcnt(1)
	v_mul_f64 v[176:177], v[166:167], v[98:99]
	v_fma_f64 v[4:5], v[146:147], v[88:89], -v[4:5]
	v_fmac_f64_e32 v[176:177], v[168:169], v[100:101]
	v_add_f64 v[2:3], v[2:3], v[4:5]
	v_mul_f64 v[4:5], v[152:153], v[82:83]
	v_add_f64 v[178:179], v[174:175], v[176:177]
	ds_read_b128 v[174:177], v1 offset:1184
	v_fma_f64 v[4:5], v[150:151], v[84:85], -v[4:5]
	v_add_f64 v[2:3], v[2:3], v[4:5]
	v_mul_f64 v[4:5], v[156:157], v[94:95]
	v_fma_f64 v[4:5], v[154:155], v[96:97], -v[4:5]
	s_waitcnt vmcnt(22) lgkmcnt(1)
	v_mul_f64 v[180:181], v[170:171], v[110:111]
	v_add_f64 v[2:3], v[2:3], v[4:5]
	v_mul_f64 v[4:5], v[160:161], v[90:91]
	s_waitcnt vmcnt(20)
	v_fmac_f64_e32 v[180:181], v[172:173], v[112:113]
	v_fma_f64 v[4:5], v[158:159], v[92:93], -v[4:5]
	v_add_f64 v[182:183], v[178:179], v[180:181]
	ds_read_b128 v[178:181], v1 offset:1200
	s_waitcnt lgkmcnt(1)
	v_mul_f64 v[184:185], v[174:175], v[106:107]
	v_add_f64 v[2:3], v[2:3], v[4:5]
	v_mul_f64 v[4:5], v[164:165], v[102:103]
	v_fmac_f64_e32 v[184:185], v[176:177], v[108:109]
	v_fma_f64 v[4:5], v[162:163], v[104:105], -v[4:5]
	v_add_f64 v[186:187], v[182:183], v[184:185]
	ds_read_b128 v[182:185], v1 offset:1216
	v_add_f64 v[2:3], v[2:3], v[4:5]
	v_mul_f64 v[4:5], v[168:169], v[98:99]
	v_fma_f64 v[4:5], v[166:167], v[100:101], -v[4:5]
	v_add_f64 v[2:3], v[2:3], v[4:5]
	v_mul_f64 v[4:5], v[172:173], v[110:111]
	s_waitcnt vmcnt(14) lgkmcnt(1)
	v_mul_f64 v[188:189], v[178:179], v[192:193]
	v_fma_f64 v[4:5], v[170:171], v[112:113], -v[4:5]
	s_waitcnt vmcnt(12)
	v_fmac_f64_e32 v[188:189], v[180:181], v[206:207]
	v_add_f64 v[2:3], v[2:3], v[4:5]
	v_mul_f64 v[4:5], v[176:177], v[106:107]
	v_add_f64 v[198:199], v[186:187], v[188:189]
	ds_read_b128 v[186:189], v1 offset:1232
	s_waitcnt lgkmcnt(1)
	v_mul_f64 v[200:201], v[182:183], v[118:119]
	v_fma_f64 v[4:5], v[174:175], v[108:109], -v[4:5]
	v_fmac_f64_e32 v[200:201], v[184:185], v[190:191]
	v_add_f64 v[2:3], v[2:3], v[4:5]
	v_mul_f64 v[4:5], v[180:181], v[192:193]
	v_add_f64 v[220:221], v[198:199], v[200:201]
	ds_read_b128 v[198:201], v1 offset:1248
	v_fma_f64 v[4:5], v[178:179], v[206:207], -v[4:5]
	v_add_f64 v[2:3], v[2:3], v[4:5]
	v_mul_f64 v[4:5], v[184:185], v[118:119]
	ds_read_b128 v[202:205], v1 offset:1264
	v_fma_f64 v[4:5], v[182:183], v[190:191], -v[4:5]
	v_add_f64 v[2:3], v[2:3], v[4:5]
	s_waitcnt vmcnt(6) lgkmcnt(2)
	v_mul_f64 v[4:5], v[188:189], v[212:213]
	v_mul_f64 v[222:223], v[186:187], v[212:213]
	s_waitcnt vmcnt(4)
	v_fma_f64 v[4:5], v[186:187], v[214:215], -v[4:5]
	v_fmac_f64_e32 v[222:223], v[188:189], v[214:215]
	v_add_f64 v[2:3], v[2:3], v[4:5]
	s_waitcnt lgkmcnt(1)
	v_mul_f64 v[4:5], v[200:201], v[208:209]
	v_add_f64 v[220:221], v[220:221], v[222:223]
	v_mul_f64 v[222:223], v[198:199], v[208:209]
	v_fma_f64 v[4:5], v[198:199], v[210:211], -v[4:5]
	v_fmac_f64_e32 v[222:223], v[200:201], v[210:211]
	v_add_f64 v[2:3], v[2:3], v[4:5]
	s_waitcnt vmcnt(2) lgkmcnt(0)
	v_mul_f64 v[4:5], v[204:205], v[216:217]
	v_add_f64 v[220:221], v[220:221], v[222:223]
	v_mul_f64 v[222:223], v[202:203], v[216:217]
	s_waitcnt vmcnt(0)
	v_fma_f64 v[4:5], v[202:203], v[218:219], -v[4:5]
	v_fmac_f64_e32 v[222:223], v[204:205], v[218:219]
	v_add_f64 v[2:3], v[2:3], v[4:5]
	v_add_f64 v[220:221], v[220:221], v[222:223]
	v_add_f64 v[2:3], v[36:37], -v[2:3]
	v_add_f64 v[4:5], v[34:35], -v[220:221]
	buffer_store_dword v3, off, s[0:3], 0 offset:228
	buffer_store_dword v2, off, s[0:3], 0 offset:224
	;; [unrolled: 1-line block ×4, first 2 shown]
	s_and_saveexec_b64 s[4:5], vcc
	s_cbranch_execz .LBB39_229
; %bb.228:
	v_accvgpr_read_b32 v1, a107
	buffer_load_dword v2, v1, s[0:3], 0 offen
	buffer_load_dword v3, v1, s[0:3], 0 offen offset:4
	buffer_load_dword v4, v1, s[0:3], 0 offen offset:8
	;; [unrolled: 1-line block ×3, first 2 shown]
	v_mov_b32_e32 v1, 0
	v_accvgpr_read_b32 v6, a119
	buffer_store_dword v1, off, s[0:3], 0 offset:208
	buffer_store_dword v1, off, s[0:3], 0 offset:212
	;; [unrolled: 1-line block ×4, first 2 shown]
	s_waitcnt vmcnt(4)
	ds_write_b128 v6, v[2:5]
.LBB39_229:
	s_or_b64 exec, exec, s[4:5]
	s_waitcnt lgkmcnt(0)
	; wave barrier
	s_waitcnt lgkmcnt(0)
	buffer_load_dword v30, off, s[0:3], 0 offset:224
	buffer_load_dword v31, off, s[0:3], 0 offset:228
	;; [unrolled: 1-line block ×56, first 2 shown]
	v_mov_b32_e32 v1, 0
	ds_read_b128 v[26:29], v1 offset:848
	ds_read_b128 v[22:25], v1 offset:864
	;; [unrolled: 1-line block ×7, first 2 shown]
	v_cmp_lt_u32_e32 vcc, 11, v0
	s_waitcnt vmcnt(52) lgkmcnt(6)
	v_mul_f64 v[86:87], v[26:27], v[34:35]
	v_fmac_f64_e32 v[86:87], v[28:29], v[30:31]
	v_add_f64 v[86:87], v[86:87], 0
	v_mul_f64 v[28:29], v[28:29], v[34:35]
	s_waitcnt vmcnt(48) lgkmcnt(5)
	v_mul_f64 v[88:89], v[22:23], v[36:37]
	v_fmac_f64_e32 v[88:89], v[24:25], v[32:33]
	s_waitcnt vmcnt(46) lgkmcnt(4)
	v_mul_f64 v[90:91], v[18:19], v[38:39]
	v_add_f64 v[86:87], v[86:87], v[88:89]
	s_waitcnt vmcnt(44) lgkmcnt(2)
	v_mul_f64 v[94:95], v[10:11], v[40:41]
	v_fma_f64 v[26:27], v[26:27], v[30:31], -v[28:29]
	s_waitcnt vmcnt(42)
	v_fmac_f64_e32 v[94:95], v[12:13], v[42:43]
	v_mul_f64 v[24:25], v[24:25], v[36:37]
	s_waitcnt vmcnt(40)
	v_mul_f64 v[92:93], v[14:15], v[48:49]
	v_add_f64 v[26:27], v[26:27], 0
	v_fma_f64 v[22:23], v[22:23], v[32:33], -v[24:25]
	v_add_f64 v[22:23], v[26:27], v[22:23]
	s_waitcnt vmcnt(36) lgkmcnt(1)
	v_mul_f64 v[110:111], v[6:7], v[54:55]
	v_mul_f64 v[12:13], v[12:13], v[40:41]
	s_waitcnt vmcnt(34)
	v_fmac_f64_e32 v[90:91], v[20:21], v[60:61]
	v_add_f64 v[86:87], v[86:87], v[90:91]
	s_waitcnt vmcnt(32)
	v_fmac_f64_e32 v[92:93], v[16:17], v[58:59]
	v_add_f64 v[86:87], v[86:87], v[92:93]
	v_add_f64 v[116:117], v[86:87], v[94:95]
	buffer_load_dword v87, off, s[0:3], 0 offset:460
	buffer_load_dword v86, off, s[0:3], 0 offset:456
	;; [unrolled: 1-line block ×56, first 2 shown]
	ds_read_b128 v[126:129], v1 offset:960
	ds_read_b128 v[130:133], v1 offset:976
	v_mul_f64 v[20:21], v[20:21], v[38:39]
	v_fma_f64 v[18:19], v[18:19], v[60:61], -v[20:21]
	v_mul_f64 v[16:17], v[16:17], v[48:49]
	s_waitcnt vmcnt(62)
	v_fmac_f64_e32 v[110:111], v[8:9], v[56:57]
	v_add_f64 v[18:19], v[22:23], v[18:19]
	v_fma_f64 v[14:15], v[14:15], v[58:59], -v[16:17]
	v_add_f64 v[110:111], v[116:117], v[110:111]
	s_waitcnt lgkmcnt(2)
	v_mul_f64 v[116:117], v[2:3], v[50:51]
	v_add_f64 v[14:15], v[18:19], v[14:15]
	v_fma_f64 v[10:11], v[10:11], v[42:43], -v[12:13]
	v_mul_f64 v[8:9], v[8:9], v[54:55]
	v_fmac_f64_e32 v[116:117], v[4:5], v[52:53]
	ds_read_b128 v[134:137], v1 offset:992
	ds_read_b128 v[138:141], v1 offset:1008
	v_add_f64 v[10:11], v[14:15], v[10:11]
	v_fma_f64 v[6:7], v[6:7], v[56:57], -v[8:9]
	v_mul_f64 v[4:5], v[4:5], v[50:51]
	v_add_f64 v[6:7], v[10:11], v[6:7]
	v_fma_f64 v[2:3], v[2:3], v[52:53], -v[4:5]
	s_waitcnt lgkmcnt(3)
	v_mul_f64 v[4:5], v[128:129], v[66:67]
	v_add_f64 v[110:111], v[110:111], v[116:117]
	v_mul_f64 v[116:117], v[126:127], v[66:67]
	v_add_f64 v[2:3], v[6:7], v[2:3]
	v_fma_f64 v[4:5], v[126:127], v[68:69], -v[4:5]
	v_fmac_f64_e32 v[116:117], v[128:129], v[68:69]
	v_add_f64 v[2:3], v[2:3], v[4:5]
	s_waitcnt lgkmcnt(2)
	v_mul_f64 v[4:5], v[132:133], v[62:63]
	v_add_f64 v[110:111], v[110:111], v[116:117]
	v_mul_f64 v[116:117], v[130:131], v[62:63]
	ds_read_b128 v[142:145], v1 offset:1024
	ds_read_b128 v[146:149], v1 offset:1040
	v_fma_f64 v[4:5], v[130:131], v[64:65], -v[4:5]
	v_fmac_f64_e32 v[116:117], v[132:133], v[64:65]
	v_add_f64 v[2:3], v[2:3], v[4:5]
	s_waitcnt lgkmcnt(3)
	v_mul_f64 v[4:5], v[136:137], v[74:75]
	v_add_f64 v[110:111], v[110:111], v[116:117]
	v_mul_f64 v[116:117], v[134:135], v[74:75]
	v_fma_f64 v[4:5], v[134:135], v[76:77], -v[4:5]
	v_fmac_f64_e32 v[116:117], v[136:137], v[76:77]
	v_add_f64 v[2:3], v[2:3], v[4:5]
	s_waitcnt lgkmcnt(2)
	v_mul_f64 v[4:5], v[140:141], v[70:71]
	v_add_f64 v[110:111], v[110:111], v[116:117]
	v_mul_f64 v[116:117], v[138:139], v[70:71]
	ds_read_b128 v[150:153], v1 offset:1056
	ds_read_b128 v[154:157], v1 offset:1072
	v_fma_f64 v[4:5], v[138:139], v[72:73], -v[4:5]
	v_fmac_f64_e32 v[116:117], v[140:141], v[72:73]
	v_add_f64 v[2:3], v[2:3], v[4:5]
	s_waitcnt vmcnt(58) lgkmcnt(3)
	v_mul_f64 v[4:5], v[144:145], v[82:83]
	v_add_f64 v[110:111], v[110:111], v[116:117]
	v_mul_f64 v[116:117], v[142:143], v[82:83]
	s_waitcnt vmcnt(56)
	v_fma_f64 v[4:5], v[142:143], v[84:85], -v[4:5]
	v_fmac_f64_e32 v[116:117], v[144:145], v[84:85]
	v_add_f64 v[2:3], v[2:3], v[4:5]
	s_waitcnt lgkmcnt(2)
	v_mul_f64 v[4:5], v[148:149], v[78:79]
	v_add_f64 v[110:111], v[110:111], v[116:117]
	v_mul_f64 v[116:117], v[146:147], v[78:79]
	ds_read_b128 v[158:161], v1 offset:1088
	ds_read_b128 v[162:165], v1 offset:1104
	v_fma_f64 v[4:5], v[146:147], v[80:81], -v[4:5]
	v_fmac_f64_e32 v[116:117], v[148:149], v[80:81]
	v_add_f64 v[2:3], v[2:3], v[4:5]
	s_waitcnt vmcnt(50) lgkmcnt(3)
	v_mul_f64 v[4:5], v[152:153], v[90:91]
	v_add_f64 v[110:111], v[110:111], v[116:117]
	v_mul_f64 v[116:117], v[150:151], v[90:91]
	s_waitcnt vmcnt(48)
	;; [unrolled: 17-line block ×7, first 2 shown]
	v_fma_f64 v[4:5], v[198:199], v[222:223], -v[4:5]
	v_fmac_f64_e32 v[116:117], v[200:201], v[222:223]
	v_add_f64 v[2:3], v[2:3], v[4:5]
	s_waitcnt lgkmcnt(2)
	v_mul_f64 v[4:5], v[204:205], v[216:217]
	v_add_f64 v[110:111], v[110:111], v[116:117]
	v_mul_f64 v[116:117], v[202:203], v[216:217]
	v_fma_f64 v[4:5], v[202:203], v[218:219], -v[4:5]
	v_fmac_f64_e32 v[116:117], v[204:205], v[218:219]
	v_add_f64 v[2:3], v[2:3], v[4:5]
	s_waitcnt vmcnt(2) lgkmcnt(1)
	v_mul_f64 v[4:5], v[208:209], v[228:229]
	v_add_f64 v[110:111], v[110:111], v[116:117]
	v_mul_f64 v[116:117], v[206:207], v[228:229]
	s_waitcnt vmcnt(0)
	v_fma_f64 v[4:5], v[206:207], v[230:231], -v[4:5]
	v_fmac_f64_e32 v[116:117], v[208:209], v[230:231]
	v_add_f64 v[2:3], v[2:3], v[4:5]
	s_waitcnt lgkmcnt(0)
	v_mul_f64 v[4:5], v[212:213], v[224:225]
	v_add_f64 v[110:111], v[110:111], v[116:117]
	v_mul_f64 v[116:117], v[210:211], v[224:225]
	v_fma_f64 v[4:5], v[210:211], v[226:227], -v[4:5]
	v_fmac_f64_e32 v[116:117], v[212:213], v[226:227]
	v_add_f64 v[2:3], v[2:3], v[4:5]
	v_add_f64 v[110:111], v[110:111], v[116:117]
	v_add_f64 v[2:3], v[46:47], -v[2:3]
	v_add_f64 v[4:5], v[44:45], -v[110:111]
	buffer_store_dword v3, off, s[0:3], 0 offset:212
	buffer_store_dword v2, off, s[0:3], 0 offset:208
	;; [unrolled: 1-line block ×4, first 2 shown]
	s_and_saveexec_b64 s[4:5], vcc
	s_cbranch_execz .LBB39_231
; %bb.230:
	v_accvgpr_read_b32 v5, a108
	buffer_load_dword v2, v5, s[0:3], 0 offen
	buffer_load_dword v3, v5, s[0:3], 0 offen offset:4
	buffer_load_dword v4, v5, s[0:3], 0 offen offset:8
	s_nop 0
	buffer_load_dword v5, v5, s[0:3], 0 offen offset:12
	v_accvgpr_read_b32 v6, a119
	buffer_store_dword v1, off, s[0:3], 0 offset:192
	buffer_store_dword v1, off, s[0:3], 0 offset:196
	;; [unrolled: 1-line block ×4, first 2 shown]
	s_waitcnt vmcnt(4)
	ds_write_b128 v6, v[2:5]
.LBB39_231:
	s_or_b64 exec, exec, s[4:5]
	s_waitcnt lgkmcnt(0)
	; wave barrier
	s_waitcnt lgkmcnt(0)
	buffer_load_dword v34, off, s[0:3], 0 offset:208
	buffer_load_dword v35, off, s[0:3], 0 offset:212
	;; [unrolled: 1-line block ×32, first 2 shown]
	ds_read_b128 v[30:33], v1 offset:832
	ds_read_b128 v[26:29], v1 offset:848
	;; [unrolled: 1-line block ×8, first 2 shown]
	buffer_load_dword v67, off, s[0:3], 0 offset:348
	buffer_load_dword v66, off, s[0:3], 0 offset:344
	;; [unrolled: 1-line block ×24, first 2 shown]
	v_cmp_lt_u32_e32 vcc, 10, v0
	s_waitcnt vmcnt(52) lgkmcnt(7)
	v_mul_f64 v[90:91], v[30:31], v[38:39]
	v_fmac_f64_e32 v[90:91], v[32:33], v[34:35]
	v_add_f64 v[90:91], v[90:91], 0
	v_mul_f64 v[32:33], v[32:33], v[38:39]
	s_waitcnt vmcnt(48) lgkmcnt(6)
	v_mul_f64 v[92:93], v[26:27], v[40:41]
	v_fmac_f64_e32 v[92:93], v[28:29], v[36:37]
	s_waitcnt vmcnt(46) lgkmcnt(5)
	v_mul_f64 v[94:95], v[22:23], v[42:43]
	v_add_f64 v[90:91], v[90:91], v[92:93]
	s_waitcnt vmcnt(44) lgkmcnt(4)
	v_mul_f64 v[96:97], v[18:19], v[48:49]
	v_fma_f64 v[30:31], v[30:31], v[34:35], -v[32:33]
	s_waitcnt vmcnt(42) lgkmcnt(1)
	v_mul_f64 v[124:125], v[2:3], v[50:51]
	v_mul_f64 v[28:29], v[28:29], v[40:41]
	s_waitcnt vmcnt(18) lgkmcnt(0)
	v_mul_f64 v[138:139], v[14:15], v[70:71]
	v_mul_f64 v[100:101], v[6:7], v[54:55]
	s_waitcnt vmcnt(16)
	v_fmac_f64_e32 v[138:139], v[16:17], v[72:73]
	v_mul_f64 v[98:99], v[10:11], v[56:57]
	v_add_f64 v[30:31], v[30:31], 0
	v_fmac_f64_e32 v[98:99], v[12:13], v[58:59]
	v_fma_f64 v[26:27], v[26:27], v[36:37], -v[28:29]
	v_fmac_f64_e32 v[94:95], v[24:25], v[64:65]
	v_add_f64 v[90:91], v[90:91], v[94:95]
	v_fmac_f64_e32 v[96:97], v[20:21], v[62:63]
	v_add_f64 v[90:91], v[90:91], v[96:97]
	v_fmac_f64_e32 v[100:101], v[8:9], v[60:61]
	v_add_f64 v[90:91], v[90:91], v[98:99]
	v_add_f64 v[126:127], v[90:91], v[100:101]
	buffer_load_dword v91, off, s[0:3], 0 offset:444
	buffer_load_dword v90, off, s[0:3], 0 offset:440
	;; [unrolled: 1-line block ×56, first 2 shown]
	v_fmac_f64_e32 v[124:125], v[4:5], v[52:53]
	v_add_f64 v[136:137], v[126:127], v[124:125]
	ds_read_b128 v[124:127], v1 offset:960
	buffer_load_dword v233, off, s[0:3], 0 offset:652
	buffer_load_dword v232, off, s[0:3], 0 offset:648
	;; [unrolled: 1-line block ×4, first 2 shown]
	v_add_f64 v[140:141], v[136:137], v[138:139]
	ds_read_b128 v[136:139], v1 offset:976
	v_mul_f64 v[24:25], v[24:25], v[42:43]
	s_waitcnt lgkmcnt(1)
	v_mul_f64 v[142:143], v[124:125], v[66:67]
	v_fmac_f64_e32 v[142:143], v[126:127], v[68:69]
	v_add_f64 v[144:145], v[140:141], v[142:143]
	ds_read_b128 v[140:143], v1 offset:992
	s_waitcnt vmcnt(62) lgkmcnt(1)
	v_mul_f64 v[146:147], v[136:137], v[78:79]
	v_fmac_f64_e32 v[146:147], v[138:139], v[80:81]
	v_add_f64 v[148:149], v[144:145], v[146:147]
	ds_read_b128 v[144:147], v1 offset:1008
	s_waitcnt lgkmcnt(1)
	v_mul_f64 v[150:151], v[140:141], v[74:75]
	v_fmac_f64_e32 v[150:151], v[142:143], v[76:77]
	v_add_f64 v[152:153], v[148:149], v[150:151]
	ds_read_b128 v[148:151], v1 offset:1024
	s_waitcnt lgkmcnt(1)
	v_mul_f64 v[154:155], v[144:145], v[86:87]
	s_waitcnt vmcnt(60)
	v_fmac_f64_e32 v[154:155], v[146:147], v[88:89]
	v_add_f64 v[156:157], v[152:153], v[154:155]
	ds_read_b128 v[152:155], v1 offset:1040
	s_waitcnt lgkmcnt(1)
	v_mul_f64 v[158:159], v[148:149], v[82:83]
	v_fmac_f64_e32 v[158:159], v[150:151], v[84:85]
	v_add_f64 v[160:161], v[156:157], v[158:159]
	ds_read_b128 v[156:159], v1 offset:1056
	v_add_f64 v[26:27], v[30:31], v[26:27]
	v_fma_f64 v[22:23], v[22:23], v[64:65], -v[24:25]
	s_waitcnt vmcnt(54) lgkmcnt(1)
	v_mul_f64 v[162:163], v[152:153], v[94:95]
	v_mul_f64 v[20:21], v[20:21], v[48:49]
	s_waitcnt vmcnt(52)
	v_fmac_f64_e32 v[162:163], v[154:155], v[96:97]
	v_add_f64 v[164:165], v[160:161], v[162:163]
	ds_read_b128 v[160:163], v1 offset:1072
	s_waitcnt lgkmcnt(1)
	v_mul_f64 v[166:167], v[156:157], v[90:91]
	v_fmac_f64_e32 v[166:167], v[158:159], v[92:93]
	v_add_f64 v[22:23], v[26:27], v[22:23]
	v_fma_f64 v[18:19], v[18:19], v[62:63], -v[20:21]
	v_mul_f64 v[12:13], v[12:13], v[56:57]
	v_add_f64 v[168:169], v[164:165], v[166:167]
	ds_read_b128 v[164:167], v1 offset:1088
	v_add_f64 v[18:19], v[22:23], v[18:19]
	v_fma_f64 v[10:11], v[10:11], v[58:59], -v[12:13]
	v_mul_f64 v[8:9], v[8:9], v[54:55]
	v_add_f64 v[10:11], v[18:19], v[10:11]
	v_fma_f64 v[6:7], v[6:7], v[60:61], -v[8:9]
	v_mul_f64 v[4:5], v[4:5], v[50:51]
	;; [unrolled: 3-line block ×3, first 2 shown]
	s_waitcnt vmcnt(46) lgkmcnt(1)
	v_mul_f64 v[170:171], v[160:161], v[102:103]
	v_add_f64 v[2:3], v[6:7], v[2:3]
	v_fma_f64 v[4:5], v[14:15], v[72:73], -v[4:5]
	s_waitcnt vmcnt(44)
	v_fmac_f64_e32 v[170:171], v[162:163], v[104:105]
	v_add_f64 v[2:3], v[2:3], v[4:5]
	v_mul_f64 v[4:5], v[126:127], v[66:67]
	v_add_f64 v[172:173], v[168:169], v[170:171]
	ds_read_b128 v[168:171], v1 offset:1104
	s_waitcnt lgkmcnt(1)
	v_mul_f64 v[174:175], v[164:165], v[98:99]
	v_fma_f64 v[4:5], v[124:125], v[68:69], -v[4:5]
	v_fmac_f64_e32 v[174:175], v[166:167], v[100:101]
	v_add_f64 v[2:3], v[2:3], v[4:5]
	v_mul_f64 v[4:5], v[138:139], v[78:79]
	v_add_f64 v[176:177], v[172:173], v[174:175]
	ds_read_b128 v[172:175], v1 offset:1120
	v_fma_f64 v[4:5], v[136:137], v[80:81], -v[4:5]
	v_add_f64 v[2:3], v[2:3], v[4:5]
	v_mul_f64 v[4:5], v[142:143], v[74:75]
	v_fma_f64 v[4:5], v[140:141], v[76:77], -v[4:5]
	s_waitcnt vmcnt(38) lgkmcnt(1)
	v_mul_f64 v[178:179], v[168:169], v[110:111]
	v_add_f64 v[2:3], v[2:3], v[4:5]
	v_mul_f64 v[4:5], v[146:147], v[86:87]
	s_waitcnt vmcnt(36)
	v_fmac_f64_e32 v[178:179], v[170:171], v[112:113]
	v_fma_f64 v[4:5], v[144:145], v[88:89], -v[4:5]
	v_add_f64 v[180:181], v[176:177], v[178:179]
	ds_read_b128 v[176:179], v1 offset:1136
	s_waitcnt lgkmcnt(1)
	v_mul_f64 v[182:183], v[172:173], v[106:107]
	v_add_f64 v[2:3], v[2:3], v[4:5]
	v_mul_f64 v[4:5], v[150:151], v[82:83]
	v_fmac_f64_e32 v[182:183], v[174:175], v[108:109]
	v_fma_f64 v[4:5], v[148:149], v[84:85], -v[4:5]
	v_add_f64 v[184:185], v[180:181], v[182:183]
	ds_read_b128 v[180:183], v1 offset:1152
	v_add_f64 v[2:3], v[2:3], v[4:5]
	v_mul_f64 v[4:5], v[154:155], v[94:95]
	v_fma_f64 v[4:5], v[152:153], v[96:97], -v[4:5]
	v_add_f64 v[2:3], v[2:3], v[4:5]
	v_mul_f64 v[4:5], v[158:159], v[90:91]
	s_waitcnt vmcnt(30) lgkmcnt(1)
	v_mul_f64 v[186:187], v[176:177], v[118:119]
	v_fma_f64 v[4:5], v[156:157], v[92:93], -v[4:5]
	s_waitcnt vmcnt(28)
	v_fmac_f64_e32 v[186:187], v[178:179], v[122:123]
	v_add_f64 v[2:3], v[2:3], v[4:5]
	v_mul_f64 v[4:5], v[162:163], v[102:103]
	v_add_f64 v[198:199], v[184:185], v[186:187]
	ds_read_b128 v[184:187], v1 offset:1168
	s_waitcnt lgkmcnt(1)
	v_mul_f64 v[200:201], v[180:181], v[114:115]
	v_fma_f64 v[4:5], v[160:161], v[104:105], -v[4:5]
	v_fmac_f64_e32 v[200:201], v[182:183], v[116:117]
	v_add_f64 v[2:3], v[2:3], v[4:5]
	v_mul_f64 v[4:5], v[166:167], v[98:99]
	v_add_f64 v[202:203], v[198:199], v[200:201]
	ds_read_b128 v[198:201], v1 offset:1184
	v_fma_f64 v[4:5], v[164:165], v[100:101], -v[4:5]
	v_add_f64 v[2:3], v[2:3], v[4:5]
	v_mul_f64 v[4:5], v[170:171], v[110:111]
	v_fma_f64 v[4:5], v[168:169], v[112:113], -v[4:5]
	s_waitcnt vmcnt(22) lgkmcnt(1)
	v_mul_f64 v[204:205], v[184:185], v[132:133]
	v_add_f64 v[2:3], v[2:3], v[4:5]
	v_mul_f64 v[4:5], v[174:175], v[106:107]
	s_waitcnt vmcnt(20)
	v_fmac_f64_e32 v[204:205], v[186:187], v[134:135]
	v_fma_f64 v[4:5], v[172:173], v[108:109], -v[4:5]
	v_add_f64 v[206:207], v[202:203], v[204:205]
	ds_read_b128 v[202:205], v1 offset:1200
	s_waitcnt lgkmcnt(1)
	v_mul_f64 v[208:209], v[198:199], v[128:129]
	v_add_f64 v[2:3], v[2:3], v[4:5]
	v_mul_f64 v[4:5], v[178:179], v[118:119]
	v_fmac_f64_e32 v[208:209], v[200:201], v[130:131]
	v_fma_f64 v[4:5], v[176:177], v[122:123], -v[4:5]
	v_add_f64 v[210:211], v[206:207], v[208:209]
	ds_read_b128 v[206:209], v1 offset:1216
	v_add_f64 v[2:3], v[2:3], v[4:5]
	v_mul_f64 v[4:5], v[182:183], v[114:115]
	v_fma_f64 v[4:5], v[180:181], v[116:117], -v[4:5]
	v_add_f64 v[2:3], v[2:3], v[4:5]
	v_mul_f64 v[4:5], v[186:187], v[132:133]
	s_waitcnt vmcnt(14) lgkmcnt(1)
	v_mul_f64 v[212:213], v[202:203], v[192:193]
	v_fma_f64 v[4:5], v[184:185], v[134:135], -v[4:5]
	s_waitcnt vmcnt(12)
	v_fmac_f64_e32 v[212:213], v[204:205], v[222:223]
	v_add_f64 v[2:3], v[2:3], v[4:5]
	v_mul_f64 v[4:5], v[200:201], v[128:129]
	v_add_f64 v[214:215], v[210:211], v[212:213]
	ds_read_b128 v[210:213], v1 offset:1232
	s_waitcnt lgkmcnt(1)
	v_mul_f64 v[216:217], v[206:207], v[188:189]
	v_fma_f64 v[4:5], v[198:199], v[130:131], -v[4:5]
	v_fmac_f64_e32 v[216:217], v[208:209], v[190:191]
	v_add_f64 v[2:3], v[2:3], v[4:5]
	v_mul_f64 v[4:5], v[204:205], v[192:193]
	v_add_f64 v[236:237], v[214:215], v[216:217]
	ds_read_b128 v[214:217], v1 offset:1248
	v_fma_f64 v[4:5], v[202:203], v[222:223], -v[4:5]
	v_add_f64 v[2:3], v[2:3], v[4:5]
	v_mul_f64 v[4:5], v[208:209], v[188:189]
	ds_read_b128 v[218:221], v1 offset:1264
	v_fma_f64 v[4:5], v[206:207], v[190:191], -v[4:5]
	v_add_f64 v[2:3], v[2:3], v[4:5]
	s_waitcnt vmcnt(6) lgkmcnt(2)
	v_mul_f64 v[4:5], v[212:213], v[228:229]
	v_mul_f64 v[238:239], v[210:211], v[228:229]
	s_waitcnt vmcnt(4)
	v_fma_f64 v[4:5], v[210:211], v[230:231], -v[4:5]
	v_fmac_f64_e32 v[238:239], v[212:213], v[230:231]
	v_add_f64 v[2:3], v[2:3], v[4:5]
	s_waitcnt lgkmcnt(1)
	v_mul_f64 v[4:5], v[216:217], v[224:225]
	v_add_f64 v[236:237], v[236:237], v[238:239]
	v_mul_f64 v[238:239], v[214:215], v[224:225]
	v_fma_f64 v[4:5], v[214:215], v[226:227], -v[4:5]
	v_fmac_f64_e32 v[238:239], v[216:217], v[226:227]
	v_add_f64 v[2:3], v[2:3], v[4:5]
	s_waitcnt vmcnt(2) lgkmcnt(0)
	v_mul_f64 v[4:5], v[220:221], v[232:233]
	v_add_f64 v[236:237], v[236:237], v[238:239]
	v_mul_f64 v[238:239], v[218:219], v[232:233]
	s_waitcnt vmcnt(0)
	v_fma_f64 v[4:5], v[218:219], v[234:235], -v[4:5]
	v_fmac_f64_e32 v[238:239], v[220:221], v[234:235]
	v_add_f64 v[2:3], v[2:3], v[4:5]
	v_add_f64 v[236:237], v[236:237], v[238:239]
	v_add_f64 v[2:3], v[46:47], -v[2:3]
	v_add_f64 v[4:5], v[44:45], -v[236:237]
	buffer_store_dword v3, off, s[0:3], 0 offset:196
	buffer_store_dword v2, off, s[0:3], 0 offset:192
	;; [unrolled: 1-line block ×4, first 2 shown]
	s_and_saveexec_b64 s[4:5], vcc
	s_cbranch_execz .LBB39_233
; %bb.232:
	v_accvgpr_read_b32 v1, a109
	buffer_load_dword v2, v1, s[0:3], 0 offen
	buffer_load_dword v3, v1, s[0:3], 0 offen offset:4
	buffer_load_dword v4, v1, s[0:3], 0 offen offset:8
	;; [unrolled: 1-line block ×3, first 2 shown]
	v_mov_b32_e32 v1, 0
	v_accvgpr_read_b32 v6, a119
	buffer_store_dword v1, off, s[0:3], 0 offset:176
	buffer_store_dword v1, off, s[0:3], 0 offset:180
	;; [unrolled: 1-line block ×4, first 2 shown]
	s_waitcnt vmcnt(4)
	ds_write_b128 v6, v[2:5]
.LBB39_233:
	s_or_b64 exec, exec, s[4:5]
	s_waitcnt lgkmcnt(0)
	; wave barrier
	s_waitcnt lgkmcnt(0)
	buffer_load_dword v38, off, s[0:3], 0 offset:192
	buffer_load_dword v39, off, s[0:3], 0 offset:196
	;; [unrolled: 1-line block ×48, first 2 shown]
	v_mov_b32_e32 v1, 0
	ds_read_b128 v[34:37], v1 offset:816
	ds_read_b128 v[30:33], v1 offset:832
	;; [unrolled: 1-line block ×9, first 2 shown]
	v_cmp_lt_u32_e32 vcc, 9, v0
	s_waitcnt vmcnt(44) lgkmcnt(8)
	v_mul_f64 v[86:87], v[34:35], v[42:43]
	v_fmac_f64_e32 v[86:87], v[36:37], v[38:39]
	v_add_f64 v[86:87], v[86:87], 0
	v_mul_f64 v[36:37], v[36:37], v[42:43]
	s_waitcnt vmcnt(40) lgkmcnt(7)
	v_mul_f64 v[88:89], v[30:31], v[44:45]
	v_fmac_f64_e32 v[88:89], v[32:33], v[40:41]
	s_waitcnt vmcnt(38) lgkmcnt(6)
	v_mul_f64 v[90:91], v[26:27], v[46:47]
	v_add_f64 v[86:87], v[86:87], v[88:89]
	s_waitcnt vmcnt(36) lgkmcnt(4)
	v_mul_f64 v[94:95], v[18:19], v[48:49]
	v_fma_f64 v[34:35], v[34:35], v[38:39], -v[36:37]
	s_waitcnt vmcnt(34)
	v_fmac_f64_e32 v[94:95], v[20:21], v[50:51]
	v_mul_f64 v[32:33], v[32:33], v[44:45]
	s_waitcnt vmcnt(32)
	v_mul_f64 v[92:93], v[22:23], v[52:53]
	v_add_f64 v[34:35], v[34:35], 0
	s_waitcnt vmcnt(30) lgkmcnt(2)
	v_mul_f64 v[98:99], v[10:11], v[54:55]
	v_fma_f64 v[30:31], v[30:31], v[40:41], -v[32:33]
	s_waitcnt vmcnt(28)
	v_fmac_f64_e32 v[98:99], v[12:13], v[56:57]
	v_add_f64 v[30:31], v[34:35], v[30:31]
	s_waitcnt vmcnt(26)
	v_mul_f64 v[96:97], v[14:15], v[58:59]
	v_mul_f64 v[20:21], v[20:21], v[48:49]
	v_fma_f64 v[18:19], v[18:19], v[50:51], -v[20:21]
	v_mul_f64 v[12:13], v[12:13], v[54:55]
	s_waitcnt vmcnt(22) lgkmcnt(1)
	v_mul_f64 v[110:111], v[6:7], v[68:69]
	v_fma_f64 v[10:11], v[10:11], v[56:57], -v[12:13]
	s_waitcnt vmcnt(20)
	v_fmac_f64_e32 v[90:91], v[28:29], v[76:77]
	v_add_f64 v[86:87], v[86:87], v[90:91]
	s_waitcnt vmcnt(18)
	v_fmac_f64_e32 v[92:93], v[24:25], v[74:75]
	v_add_f64 v[86:87], v[86:87], v[92:93]
	;; [unrolled: 3-line block ×3, first 2 shown]
	v_add_f64 v[86:87], v[86:87], v[96:97]
	v_add_f64 v[112:113], v[86:87], v[98:99]
	buffer_load_dword v87, off, s[0:3], 0 offset:396
	buffer_load_dword v86, off, s[0:3], 0 offset:392
	;; [unrolled: 1-line block ×72, first 2 shown]
	s_waitcnt vmcnt(62)
	v_fmac_f64_e32 v[110:111], v[8:9], v[70:71]
	v_add_f64 v[144:145], v[112:113], v[110:111]
	ds_read_b128 v[110:113], v1 offset:960
	s_waitcnt lgkmcnt(1)
	v_mul_f64 v[146:147], v[2:3], v[64:65]
	v_fmac_f64_e32 v[146:147], v[4:5], v[66:67]
	v_add_f64 v[148:149], v[144:145], v[146:147]
	ds_read_b128 v[144:147], v1 offset:976
	s_waitcnt lgkmcnt(1)
	v_mul_f64 v[150:151], v[110:111], v[82:83]
	;; [unrolled: 5-line block ×5, first 2 shown]
	v_fmac_f64_e32 v[162:163], v[154:155], v[88:89]
	v_add_f64 v[164:165], v[160:161], v[162:163]
	ds_read_b128 v[160:163], v1 offset:1040
	s_waitcnt vmcnt(58) lgkmcnt(1)
	v_mul_f64 v[166:167], v[156:157], v[98:99]
	s_waitcnt vmcnt(56)
	v_fmac_f64_e32 v[166:167], v[158:159], v[100:101]
	v_add_f64 v[168:169], v[164:165], v[166:167]
	ds_read_b128 v[164:167], v1 offset:1056
	s_waitcnt lgkmcnt(1)
	v_mul_f64 v[170:171], v[160:161], v[94:95]
	v_fmac_f64_e32 v[170:171], v[162:163], v[96:97]
	v_mul_f64 v[28:29], v[28:29], v[46:47]
	v_add_f64 v[172:173], v[168:169], v[170:171]
	ds_read_b128 v[168:171], v1 offset:1072
	s_waitcnt vmcnt(50) lgkmcnt(1)
	v_mul_f64 v[174:175], v[164:165], v[106:107]
	v_fma_f64 v[26:27], v[26:27], v[76:77], -v[28:29]
	v_mul_f64 v[24:25], v[24:25], v[52:53]
	s_waitcnt vmcnt(48)
	v_fmac_f64_e32 v[174:175], v[166:167], v[108:109]
	v_add_f64 v[26:27], v[30:31], v[26:27]
	v_fma_f64 v[22:23], v[22:23], v[74:75], -v[24:25]
	v_add_f64 v[176:177], v[172:173], v[174:175]
	ds_read_b128 v[172:175], v1 offset:1088
	v_add_f64 v[22:23], v[26:27], v[22:23]
	v_mul_f64 v[16:17], v[16:17], v[58:59]
	v_add_f64 v[18:19], v[22:23], v[18:19]
	v_fma_f64 v[14:15], v[14:15], v[72:73], -v[16:17]
	v_add_f64 v[14:15], v[18:19], v[14:15]
	v_mul_f64 v[8:9], v[8:9], v[68:69]
	s_waitcnt lgkmcnt(1)
	v_mul_f64 v[178:179], v[168:169], v[102:103]
	v_add_f64 v[10:11], v[14:15], v[10:11]
	v_fma_f64 v[6:7], v[6:7], v[70:71], -v[8:9]
	v_mul_f64 v[4:5], v[4:5], v[64:65]
	v_fmac_f64_e32 v[178:179], v[170:171], v[104:105]
	v_add_f64 v[6:7], v[10:11], v[6:7]
	v_fma_f64 v[2:3], v[2:3], v[66:67], -v[4:5]
	v_mul_f64 v[4:5], v[112:113], v[82:83]
	v_add_f64 v[180:181], v[176:177], v[178:179]
	ds_read_b128 v[176:179], v1 offset:1104
	s_waitcnt vmcnt(42) lgkmcnt(1)
	v_mul_f64 v[182:183], v[172:173], v[118:119]
	v_add_f64 v[2:3], v[6:7], v[2:3]
	v_fma_f64 v[4:5], v[110:111], v[84:85], -v[4:5]
	s_waitcnt vmcnt(40)
	v_fmac_f64_e32 v[182:183], v[174:175], v[122:123]
	v_add_f64 v[2:3], v[2:3], v[4:5]
	v_mul_f64 v[4:5], v[146:147], v[78:79]
	v_add_f64 v[184:185], v[180:181], v[182:183]
	ds_read_b128 v[180:183], v1 offset:1120
	v_fma_f64 v[4:5], v[144:145], v[80:81], -v[4:5]
	v_add_f64 v[2:3], v[2:3], v[4:5]
	v_mul_f64 v[4:5], v[150:151], v[90:91]
	v_fma_f64 v[4:5], v[148:149], v[92:93], -v[4:5]
	s_waitcnt lgkmcnt(1)
	v_mul_f64 v[186:187], v[176:177], v[114:115]
	v_add_f64 v[2:3], v[2:3], v[4:5]
	v_mul_f64 v[4:5], v[154:155], v[86:87]
	v_fmac_f64_e32 v[186:187], v[178:179], v[116:117]
	v_fma_f64 v[4:5], v[152:153], v[88:89], -v[4:5]
	v_add_f64 v[198:199], v[184:185], v[186:187]
	ds_read_b128 v[184:187], v1 offset:1136
	s_waitcnt vmcnt(34) lgkmcnt(1)
	v_mul_f64 v[200:201], v[180:181], v[128:129]
	v_add_f64 v[2:3], v[2:3], v[4:5]
	v_mul_f64 v[4:5], v[158:159], v[98:99]
	s_waitcnt vmcnt(32)
	v_fmac_f64_e32 v[200:201], v[182:183], v[130:131]
	v_fma_f64 v[4:5], v[156:157], v[100:101], -v[4:5]
	v_add_f64 v[202:203], v[198:199], v[200:201]
	ds_read_b128 v[198:201], v1 offset:1152
	v_add_f64 v[2:3], v[2:3], v[4:5]
	v_mul_f64 v[4:5], v[162:163], v[94:95]
	v_fma_f64 v[4:5], v[160:161], v[96:97], -v[4:5]
	v_add_f64 v[2:3], v[2:3], v[4:5]
	v_mul_f64 v[4:5], v[166:167], v[106:107]
	s_waitcnt lgkmcnt(1)
	v_mul_f64 v[204:205], v[184:185], v[124:125]
	v_fma_f64 v[4:5], v[164:165], v[108:109], -v[4:5]
	v_fmac_f64_e32 v[204:205], v[186:187], v[126:127]
	v_add_f64 v[2:3], v[2:3], v[4:5]
	v_mul_f64 v[4:5], v[170:171], v[102:103]
	v_add_f64 v[206:207], v[202:203], v[204:205]
	ds_read_b128 v[202:205], v1 offset:1168
	s_waitcnt vmcnt(26) lgkmcnt(1)
	v_mul_f64 v[208:209], v[198:199], v[136:137]
	v_fma_f64 v[4:5], v[168:169], v[104:105], -v[4:5]
	s_waitcnt vmcnt(24)
	v_fmac_f64_e32 v[208:209], v[200:201], v[138:139]
	v_add_f64 v[2:3], v[2:3], v[4:5]
	v_mul_f64 v[4:5], v[174:175], v[118:119]
	v_add_f64 v[210:211], v[206:207], v[208:209]
	ds_read_b128 v[206:209], v1 offset:1184
	v_fma_f64 v[4:5], v[172:173], v[122:123], -v[4:5]
	v_add_f64 v[2:3], v[2:3], v[4:5]
	v_mul_f64 v[4:5], v[178:179], v[114:115]
	v_fma_f64 v[4:5], v[176:177], v[116:117], -v[4:5]
	s_waitcnt lgkmcnt(1)
	v_mul_f64 v[212:213], v[202:203], v[132:133]
	v_add_f64 v[2:3], v[2:3], v[4:5]
	v_mul_f64 v[4:5], v[182:183], v[128:129]
	v_fmac_f64_e32 v[212:213], v[204:205], v[134:135]
	v_fma_f64 v[4:5], v[180:181], v[130:131], -v[4:5]
	v_add_f64 v[214:215], v[210:211], v[212:213]
	ds_read_b128 v[210:213], v1 offset:1200
	s_waitcnt vmcnt(18) lgkmcnt(1)
	v_mul_f64 v[216:217], v[206:207], v[188:189]
	v_add_f64 v[2:3], v[2:3], v[4:5]
	v_mul_f64 v[4:5], v[186:187], v[124:125]
	s_waitcnt vmcnt(16)
	v_fmac_f64_e32 v[216:217], v[208:209], v[190:191]
	v_fma_f64 v[4:5], v[184:185], v[126:127], -v[4:5]
	v_add_f64 v[218:219], v[214:215], v[216:217]
	ds_read_b128 v[214:217], v1 offset:1216
	v_add_f64 v[2:3], v[2:3], v[4:5]
	v_mul_f64 v[4:5], v[200:201], v[136:137]
	v_fma_f64 v[4:5], v[198:199], v[138:139], -v[4:5]
	v_add_f64 v[2:3], v[2:3], v[4:5]
	v_mul_f64 v[4:5], v[204:205], v[132:133]
	s_waitcnt lgkmcnt(1)
	v_mul_f64 v[220:221], v[210:211], v[140:141]
	v_fma_f64 v[4:5], v[202:203], v[134:135], -v[4:5]
	v_fmac_f64_e32 v[220:221], v[212:213], v[142:143]
	v_add_f64 v[2:3], v[2:3], v[4:5]
	v_mul_f64 v[4:5], v[208:209], v[188:189]
	v_add_f64 v[222:223], v[218:219], v[220:221]
	ds_read_b128 v[218:221], v1 offset:1232
	s_waitcnt vmcnt(10) lgkmcnt(1)
	v_mul_f64 v[224:225], v[214:215], v[232:233]
	v_fma_f64 v[4:5], v[206:207], v[190:191], -v[4:5]
	s_waitcnt vmcnt(8)
	v_fmac_f64_e32 v[224:225], v[216:217], v[234:235]
	v_add_f64 v[2:3], v[2:3], v[4:5]
	v_mul_f64 v[4:5], v[212:213], v[140:141]
	v_add_f64 v[244:245], v[222:223], v[224:225]
	ds_read_b128 v[222:225], v1 offset:1248
	ds_read_b128 v[226:229], v1 offset:1264
	v_fma_f64 v[4:5], v[210:211], v[142:143], -v[4:5]
	v_add_f64 v[2:3], v[2:3], v[4:5]
	v_mul_f64 v[4:5], v[216:217], v[232:233]
	v_fma_f64 v[4:5], v[214:215], v[234:235], -v[4:5]
	v_add_f64 v[2:3], v[2:3], v[4:5]
	s_waitcnt lgkmcnt(2)
	v_mul_f64 v[4:5], v[220:221], v[192:193]
	v_mul_f64 v[246:247], v[218:219], v[192:193]
	v_fma_f64 v[4:5], v[218:219], v[230:231], -v[4:5]
	v_fmac_f64_e32 v[246:247], v[220:221], v[230:231]
	v_add_f64 v[2:3], v[2:3], v[4:5]
	s_waitcnt vmcnt(2) lgkmcnt(1)
	v_mul_f64 v[4:5], v[224:225], v[240:241]
	v_add_f64 v[244:245], v[244:245], v[246:247]
	v_mul_f64 v[246:247], v[222:223], v[240:241]
	s_waitcnt vmcnt(0)
	v_fma_f64 v[4:5], v[222:223], v[242:243], -v[4:5]
	v_fmac_f64_e32 v[246:247], v[224:225], v[242:243]
	v_add_f64 v[2:3], v[2:3], v[4:5]
	s_waitcnt lgkmcnt(0)
	v_mul_f64 v[4:5], v[228:229], v[236:237]
	v_add_f64 v[244:245], v[244:245], v[246:247]
	v_mul_f64 v[246:247], v[226:227], v[236:237]
	v_fma_f64 v[4:5], v[226:227], v[238:239], -v[4:5]
	v_fmac_f64_e32 v[246:247], v[228:229], v[238:239]
	v_add_f64 v[2:3], v[2:3], v[4:5]
	v_add_f64 v[244:245], v[244:245], v[246:247]
	v_add_f64 v[2:3], v[62:63], -v[2:3]
	v_add_f64 v[4:5], v[60:61], -v[244:245]
	buffer_store_dword v3, off, s[0:3], 0 offset:180
	buffer_store_dword v2, off, s[0:3], 0 offset:176
	;; [unrolled: 1-line block ×4, first 2 shown]
	s_and_saveexec_b64 s[4:5], vcc
	s_cbranch_execz .LBB39_235
; %bb.234:
	v_accvgpr_read_b32 v5, a110
	buffer_load_dword v2, v5, s[0:3], 0 offen
	buffer_load_dword v3, v5, s[0:3], 0 offen offset:4
	buffer_load_dword v4, v5, s[0:3], 0 offen offset:8
	s_nop 0
	buffer_load_dword v5, v5, s[0:3], 0 offen offset:12
	v_accvgpr_read_b32 v6, a119
	buffer_store_dword v1, off, s[0:3], 0 offset:160
	buffer_store_dword v1, off, s[0:3], 0 offset:164
	;; [unrolled: 1-line block ×4, first 2 shown]
	s_waitcnt vmcnt(4)
	ds_write_b128 v6, v[2:5]
.LBB39_235:
	s_or_b64 exec, exec, s[4:5]
	s_waitcnt lgkmcnt(0)
	; wave barrier
	s_waitcnt lgkmcnt(0)
	buffer_load_dword v48, off, s[0:3], 0 offset:176
	buffer_load_dword v49, off, s[0:3], 0 offset:180
	;; [unrolled: 1-line block ×40, first 2 shown]
	ds_read_b128 v[38:41], v1 offset:800
	ds_read_b128 v[34:37], v1 offset:816
	;; [unrolled: 1-line block ×10, first 2 shown]
	buffer_load_dword v83, off, s[0:3], 0 offset:348
	buffer_load_dword v82, off, s[0:3], 0 offset:344
	;; [unrolled: 1-line block ×8, first 2 shown]
	v_cmp_lt_u32_e32 vcc, 8, v0
	s_waitcnt vmcnt(44) lgkmcnt(9)
	v_mul_f64 v[90:91], v[38:39], v[50:51]
	v_fmac_f64_e32 v[90:91], v[40:41], v[48:49]
	v_add_f64 v[90:91], v[90:91], 0
	v_mul_f64 v[40:41], v[40:41], v[50:51]
	s_waitcnt vmcnt(40) lgkmcnt(8)
	v_mul_f64 v[92:93], v[34:35], v[44:45]
	v_fmac_f64_e32 v[92:93], v[36:37], v[42:43]
	s_waitcnt vmcnt(38) lgkmcnt(7)
	v_mul_f64 v[94:95], v[30:31], v[46:47]
	v_add_f64 v[90:91], v[90:91], v[92:93]
	s_waitcnt vmcnt(36) lgkmcnt(5)
	v_mul_f64 v[98:99], v[22:23], v[52:53]
	v_mul_f64 v[36:37], v[36:37], v[44:45]
	s_waitcnt vmcnt(34)
	v_fmac_f64_e32 v[98:99], v[24:25], v[54:55]
	v_fma_f64 v[34:35], v[34:35], v[42:43], -v[36:37]
	s_waitcnt vmcnt(32)
	v_mul_f64 v[96:97], v[26:27], v[56:57]
	v_mul_f64 v[24:25], v[24:25], v[52:53]
	s_waitcnt vmcnt(30) lgkmcnt(4)
	v_mul_f64 v[100:101], v[18:19], v[62:63]
	v_fma_f64 v[22:23], v[22:23], v[54:55], -v[24:25]
	s_waitcnt vmcnt(28) lgkmcnt(1)
	v_mul_f64 v[124:125], v[2:3], v[64:65]
	s_waitcnt vmcnt(25)
	v_mul_f64 v[104:105], v[6:7], v[68:69]
	s_waitcnt vmcnt(23)
	;; [unrolled: 2-line block ×3, first 2 shown]
	v_fmac_f64_e32 v[102:103], v[12:13], v[72:73]
	v_mul_f64 v[12:13], v[12:13], v[70:71]
	s_waitcnt vmcnt(19)
	v_fmac_f64_e32 v[94:95], v[32:33], v[80:81]
	v_add_f64 v[90:91], v[90:91], v[94:95]
	s_waitcnt vmcnt(17)
	v_fmac_f64_e32 v[96:97], v[28:29], v[78:79]
	v_add_f64 v[90:91], v[90:91], v[96:97]
	;; [unrolled: 3-line block ×3, first 2 shown]
	v_add_f64 v[90:91], v[90:91], v[100:101]
	s_waitcnt vmcnt(13)
	v_fmac_f64_e32 v[104:105], v[8:9], v[74:75]
	v_add_f64 v[90:91], v[90:91], v[102:103]
	v_add_f64 v[126:127], v[90:91], v[104:105]
	buffer_load_dword v91, off, s[0:3], 0 offset:380
	buffer_load_dword v90, off, s[0:3], 0 offset:376
	;; [unrolled: 1-line block ×72, first 2 shown]
	s_waitcnt vmcnt(62)
	v_fmac_f64_e32 v[124:125], v[4:5], v[66:67]
	v_add_f64 v[152:153], v[126:127], v[124:125]
	ds_read_b128 v[124:127], v1 offset:960
	s_waitcnt lgkmcnt(1)
	v_mul_f64 v[154:155], v[14:15], v[86:87]
	v_fmac_f64_e32 v[154:155], v[16:17], v[88:89]
	buffer_load_dword v241, off, s[0:3], 0 offset:652
	buffer_load_dword v240, off, s[0:3], 0 offset:648
	;; [unrolled: 1-line block ×4, first 2 shown]
	v_add_f64 v[156:157], v[152:153], v[154:155]
	s_waitcnt lgkmcnt(0)
	v_mul_f64 v[158:159], v[124:125], v[82:83]
	ds_read_b128 v[152:155], v1 offset:976
	v_fmac_f64_e32 v[158:159], v[126:127], v[84:85]
	v_add_f64 v[160:161], v[156:157], v[158:159]
	ds_read_b128 v[156:159], v1 offset:992
	v_mul_f64 v[32:33], v[32:33], v[46:47]
	s_waitcnt lgkmcnt(1)
	v_mul_f64 v[162:163], v[152:153], v[94:95]
	v_fma_f64 v[30:31], v[30:31], v[80:81], -v[32:33]
	v_fmac_f64_e32 v[162:163], v[154:155], v[96:97]
	s_waitcnt lgkmcnt(0)
	v_mul_f64 v[166:167], v[156:157], v[90:91]
	v_add_f64 v[164:165], v[160:161], v[162:163]
	ds_read_b128 v[160:163], v1 offset:1008
	v_fmac_f64_e32 v[166:167], v[158:159], v[92:93]
	v_add_f64 v[168:169], v[164:165], v[166:167]
	ds_read_b128 v[164:167], v1 offset:1024
	v_mul_f64 v[28:29], v[28:29], v[56:57]
	s_waitcnt vmcnt(62) lgkmcnt(1)
	v_mul_f64 v[170:171], v[160:161], v[102:103]
	s_waitcnt vmcnt(60)
	v_fmac_f64_e32 v[170:171], v[162:163], v[104:105]
	v_add_f64 v[172:173], v[168:169], v[170:171]
	s_waitcnt lgkmcnt(0)
	v_mul_f64 v[174:175], v[164:165], v[98:99]
	ds_read_b128 v[168:171], v1 offset:1040
	v_fmac_f64_e32 v[174:175], v[166:167], v[100:101]
	v_add_f64 v[176:177], v[172:173], v[174:175]
	ds_read_b128 v[172:175], v1 offset:1056
	v_fma_f64 v[26:27], v[26:27], v[78:79], -v[28:29]
	s_waitcnt vmcnt(54) lgkmcnt(1)
	v_mul_f64 v[178:179], v[168:169], v[110:111]
	s_waitcnt vmcnt(52)
	v_fmac_f64_e32 v[178:179], v[170:171], v[112:113]
	v_add_f64 v[180:181], v[176:177], v[178:179]
	s_waitcnt lgkmcnt(0)
	v_mul_f64 v[182:183], v[172:173], v[106:107]
	ds_read_b128 v[176:179], v1 offset:1072
	v_fmac_f64_e32 v[182:183], v[174:175], v[108:109]
	v_add_f64 v[184:185], v[180:181], v[182:183]
	ds_read_b128 v[180:183], v1 offset:1088
	v_mul_f64 v[20:21], v[20:21], v[62:63]
	s_waitcnt vmcnt(46) lgkmcnt(1)
	v_mul_f64 v[186:187], v[176:177], v[118:119]
	s_waitcnt vmcnt(44)
	v_fmac_f64_e32 v[186:187], v[178:179], v[122:123]
	v_add_f64 v[198:199], v[184:185], v[186:187]
	s_waitcnt lgkmcnt(0)
	v_mul_f64 v[200:201], v[180:181], v[114:115]
	ds_read_b128 v[184:187], v1 offset:1104
	v_fmac_f64_e32 v[200:201], v[182:183], v[116:117]
	v_add_f64 v[202:203], v[198:199], v[200:201]
	ds_read_b128 v[198:201], v1 offset:1120
	v_fma_f64 v[18:19], v[18:19], v[76:77], -v[20:21]
	s_waitcnt vmcnt(38) lgkmcnt(1)
	v_mul_f64 v[204:205], v[184:185], v[132:133]
	s_waitcnt vmcnt(36)
	v_fmac_f64_e32 v[204:205], v[186:187], v[134:135]
	v_add_f64 v[206:207], v[202:203], v[204:205]
	s_waitcnt lgkmcnt(0)
	v_mul_f64 v[208:209], v[198:199], v[128:129]
	ds_read_b128 v[202:205], v1 offset:1136
	v_fmac_f64_e32 v[208:209], v[200:201], v[130:131]
	v_add_f64 v[210:211], v[206:207], v[208:209]
	ds_read_b128 v[206:209], v1 offset:1152
	v_fma_f64 v[10:11], v[10:11], v[72:73], -v[12:13]
	s_waitcnt vmcnt(30) lgkmcnt(1)
	v_mul_f64 v[212:213], v[202:203], v[140:141]
	s_waitcnt vmcnt(28)
	v_fmac_f64_e32 v[212:213], v[204:205], v[142:143]
	v_add_f64 v[214:215], v[210:211], v[212:213]
	s_waitcnt lgkmcnt(0)
	v_mul_f64 v[216:217], v[206:207], v[136:137]
	ds_read_b128 v[210:213], v1 offset:1168
	v_fmac_f64_e32 v[216:217], v[208:209], v[138:139]
	v_add_f64 v[218:219], v[214:215], v[216:217]
	ds_read_b128 v[214:217], v1 offset:1184
	v_mul_f64 v[8:9], v[8:9], v[68:69]
	s_waitcnt vmcnt(22) lgkmcnt(1)
	v_mul_f64 v[220:221], v[210:211], v[148:149]
	s_waitcnt vmcnt(20)
	v_fmac_f64_e32 v[220:221], v[212:213], v[150:151]
	v_add_f64 v[222:223], v[218:219], v[220:221]
	s_waitcnt lgkmcnt(0)
	v_mul_f64 v[224:225], v[214:215], v[144:145]
	ds_read_b128 v[218:221], v1 offset:1200
	v_fmac_f64_e32 v[224:225], v[216:217], v[146:147]
	v_add_f64 v[226:227], v[222:223], v[224:225]
	ds_read_b128 v[222:225], v1 offset:1216
	v_fma_f64 v[6:7], v[6:7], v[74:75], -v[8:9]
	s_waitcnt vmcnt(14) lgkmcnt(1)
	v_mul_f64 v[228:229], v[218:219], v[192:193]
	s_waitcnt vmcnt(12)
	v_fmac_f64_e32 v[228:229], v[220:221], v[230:231]
	v_add_f64 v[244:245], v[226:227], v[228:229]
	s_waitcnt lgkmcnt(0)
	v_mul_f64 v[246:247], v[222:223], v[188:189]
	v_fmac_f64_e32 v[246:247], v[224:225], v[190:191]
	v_add_f64 v[244:245], v[244:245], v[246:247]
	v_fma_f64 v[246:247], v[38:39], v[48:49], -v[40:41]
	v_add_f64 v[246:247], v[246:247], 0
	v_add_f64 v[34:35], v[246:247], v[34:35]
	;; [unrolled: 1-line block ×7, first 2 shown]
	v_mul_f64 v[4:5], v[4:5], v[64:65]
	v_add_f64 v[6:7], v[10:11], v[6:7]
	v_fma_f64 v[2:3], v[2:3], v[66:67], -v[4:5]
	v_mul_f64 v[4:5], v[16:17], v[86:87]
	v_add_f64 v[2:3], v[6:7], v[2:3]
	v_fma_f64 v[4:5], v[14:15], v[88:89], -v[4:5]
	v_add_f64 v[2:3], v[2:3], v[4:5]
	v_mul_f64 v[4:5], v[126:127], v[82:83]
	v_fma_f64 v[4:5], v[124:125], v[84:85], -v[4:5]
	v_add_f64 v[2:3], v[2:3], v[4:5]
	v_mul_f64 v[4:5], v[154:155], v[94:95]
	;; [unrolled: 3-line block ×15, first 2 shown]
	ds_read_b128 v[226:229], v1 offset:1232
	ds_read_b128 v[38:41], v1 offset:1248
	v_fma_f64 v[4:5], v[214:215], v[146:147], -v[4:5]
	v_add_f64 v[2:3], v[2:3], v[4:5]
	v_mul_f64 v[4:5], v[220:221], v[192:193]
	v_fma_f64 v[4:5], v[218:219], v[230:231], -v[4:5]
	v_add_f64 v[2:3], v[2:3], v[4:5]
	v_mul_f64 v[4:5], v[224:225], v[188:189]
	ds_read_b128 v[48:51], v1 offset:1264
	v_fma_f64 v[4:5], v[222:223], v[190:191], -v[4:5]
	v_add_f64 v[2:3], v[2:3], v[4:5]
	s_waitcnt vmcnt(6) lgkmcnt(2)
	v_mul_f64 v[4:5], v[228:229], v[236:237]
	v_mul_f64 v[248:249], v[226:227], v[236:237]
	s_waitcnt vmcnt(4)
	v_fma_f64 v[4:5], v[226:227], v[238:239], -v[4:5]
	v_fmac_f64_e32 v[248:249], v[228:229], v[238:239]
	v_add_f64 v[2:3], v[2:3], v[4:5]
	s_waitcnt lgkmcnt(1)
	v_mul_f64 v[4:5], v[40:41], v[232:233]
	v_add_f64 v[244:245], v[244:245], v[248:249]
	v_mul_f64 v[248:249], v[38:39], v[232:233]
	v_fma_f64 v[4:5], v[38:39], v[234:235], -v[4:5]
	v_fmac_f64_e32 v[248:249], v[40:41], v[234:235]
	v_add_f64 v[2:3], v[2:3], v[4:5]
	s_waitcnt vmcnt(2) lgkmcnt(0)
	v_mul_f64 v[4:5], v[50:51], v[240:241]
	v_add_f64 v[244:245], v[244:245], v[248:249]
	v_mul_f64 v[248:249], v[48:49], v[240:241]
	s_waitcnt vmcnt(0)
	v_fma_f64 v[4:5], v[48:49], v[242:243], -v[4:5]
	v_fmac_f64_e32 v[248:249], v[50:51], v[242:243]
	v_add_f64 v[2:3], v[2:3], v[4:5]
	v_add_f64 v[244:245], v[244:245], v[248:249]
	v_add_f64 v[2:3], v[60:61], -v[2:3]
	v_add_f64 v[4:5], v[58:59], -v[244:245]
	buffer_store_dword v3, off, s[0:3], 0 offset:164
	buffer_store_dword v2, off, s[0:3], 0 offset:160
	;; [unrolled: 1-line block ×4, first 2 shown]
	s_and_saveexec_b64 s[4:5], vcc
	s_cbranch_execz .LBB39_237
; %bb.236:
	v_accvgpr_read_b32 v1, a111
	buffer_load_dword v2, v1, s[0:3], 0 offen
	buffer_load_dword v3, v1, s[0:3], 0 offen offset:4
	buffer_load_dword v4, v1, s[0:3], 0 offen offset:8
	;; [unrolled: 1-line block ×3, first 2 shown]
	v_mov_b32_e32 v1, 0
	v_accvgpr_read_b32 v6, a119
	buffer_store_dword v1, off, s[0:3], 0 offset:144
	buffer_store_dword v1, off, s[0:3], 0 offset:148
	;; [unrolled: 1-line block ×4, first 2 shown]
	s_waitcnt vmcnt(4)
	ds_write_b128 v6, v[2:5]
.LBB39_237:
	s_or_b64 exec, exec, s[4:5]
	s_waitcnt lgkmcnt(0)
	; wave barrier
	s_waitcnt lgkmcnt(0)
	buffer_load_dword v106, off, s[0:3], 0 offset:160
	buffer_load_dword v107, off, s[0:3], 0 offset:164
	;; [unrolled: 1-line block ×49, first 2 shown]
	v_mov_b32_e32 v1, 0
	ds_read_b128 v[110:113], v1 offset:784
	ds_read_b128 v[250:253], v1 offset:800
	;; [unrolled: 1-line block ×10, first 2 shown]
	buffer_load_dword v160, off, s[0:3], 0 offset:352
	buffer_load_dword v175, off, s[0:3], 0 offset:348
	;; [unrolled: 1-line block ×69, first 2 shown]
	v_cmp_lt_u32_e32 vcc, 7, v0
	s_waitcnt vmcnt(62) lgkmcnt(9)
	v_mul_f64 v[34:35], v[110:111], v[108:109]
	v_fmac_f64_e32 v[34:35], v[112:113], v[106:107]
	v_add_f64 v[34:35], v[34:35], 0
	v_mul_f64 v[108:109], v[112:113], v[108:109]
	s_waitcnt lgkmcnt(8)
	v_mul_f64 v[36:37], v[250:251], v[116:117]
	v_fmac_f64_e32 v[36:37], v[252:253], v[114:115]
	s_waitcnt lgkmcnt(7)
	v_mul_f64 v[38:39], v[30:31], v[118:119]
	v_add_f64 v[34:35], v[34:35], v[36:37]
	s_waitcnt lgkmcnt(5)
	v_mul_f64 v[42:43], v[22:23], v[122:123]
	v_mul_f64 v[116:117], v[252:253], v[116:117]
	v_fmac_f64_e32 v[42:43], v[24:25], v[124:125]
	v_fma_f64 v[248:249], v[110:111], v[106:107], -v[108:109]
	v_mul_f64 v[40:41], v[26:27], v[126:127]
	v_fma_f64 v[250:251], v[250:251], v[114:115], -v[116:117]
	s_waitcnt lgkmcnt(3)
	v_mul_f64 v[46:47], v[14:15], v[128:129]
	v_mul_f64 v[24:25], v[24:25], v[122:123]
	v_fmac_f64_e32 v[46:47], v[16:17], v[130:131]
	v_fma_f64 v[22:23], v[22:23], v[124:125], -v[24:25]
	v_mul_f64 v[44:45], v[18:19], v[132:133]
	v_mul_f64 v[16:17], v[16:17], v[128:129]
	s_waitcnt lgkmcnt(1)
	v_mul_f64 v[50:51], v[6:7], v[134:135]
	v_fma_f64 v[14:15], v[14:15], v[130:131], -v[16:17]
	v_fmac_f64_e32 v[50:51], v[8:9], v[136:137]
	v_mul_f64 v[8:9], v[8:9], v[134:135]
	v_mul_f64 v[48:49], v[10:11], v[142:143]
	v_fma_f64 v[6:7], v[6:7], v[136:137], -v[8:9]
	s_waitcnt lgkmcnt(0)
	v_mul_f64 v[52:53], v[2:3], v[138:139]
	v_fmac_f64_e32 v[38:39], v[32:33], v[154:155]
	v_add_f64 v[34:35], v[34:35], v[38:39]
	v_fmac_f64_e32 v[40:41], v[28:29], v[152:153]
	v_add_f64 v[34:35], v[34:35], v[40:41]
	;; [unrolled: 2-line block ×3, first 2 shown]
	v_add_f64 v[34:35], v[34:35], v[44:45]
	v_fmac_f64_e32 v[48:49], v[12:13], v[148:149]
	v_add_f64 v[34:35], v[34:35], v[46:47]
	v_add_f64 v[34:35], v[34:35], v[48:49]
	v_fmac_f64_e32 v[52:53], v[4:5], v[146:147]
	v_add_f64 v[34:35], v[34:35], v[50:51]
	v_add_f64 v[42:43], v[34:35], v[52:53]
	ds_read_b128 v[38:41], v1 offset:944
	ds_read_b128 v[34:37], v1 offset:960
	buffer_load_dword v231, off, s[0:3], 0 offset:652
	buffer_load_dword v230, off, s[0:3], 0 offset:648
	;; [unrolled: 1-line block ×8, first 2 shown]
	ds_read_b128 v[110:113], v1 offset:1232
	ds_read_b128 v[106:109], v1 offset:1248
	s_waitcnt lgkmcnt(3)
	v_mul_f64 v[44:45], v[38:39], v[144:145]
	v_fmac_f64_e32 v[44:45], v[40:41], v[156:157]
	v_add_f64 v[46:47], v[42:43], v[44:45]
	ds_read_b128 v[42:45], v1 offset:976
	s_waitcnt lgkmcnt(3)
	v_mul_f64 v[48:49], v[34:35], v[174:175]
	v_fmac_f64_e32 v[48:49], v[36:37], v[178:179]
	v_add_f64 v[50:51], v[46:47], v[48:49]
	;; [unrolled: 5-line block ×3, first 2 shown]
	ds_read_b128 v[50:53], v1 offset:1008
	s_waitcnt vmcnt(62) lgkmcnt(1)
	v_mul_f64 v[56:57], v[46:47], v[182:183]
	v_fmac_f64_e32 v[56:57], v[48:49], v[186:187]
	v_add_f64 v[58:59], v[54:55], v[56:57]
	ds_read_b128 v[54:57], v1 offset:1024
	s_waitcnt lgkmcnt(1)
	v_mul_f64 v[60:61], v[50:51], v[162:163]
	v_fmac_f64_e32 v[60:61], v[52:53], v[164:165]
	v_add_f64 v[62:63], v[58:59], v[60:61]
	ds_read_b128 v[58:61], v1 offset:1040
	s_waitcnt vmcnt(58) lgkmcnt(1)
	v_mul_f64 v[64:65], v[54:55], v[198:199]
	s_waitcnt vmcnt(56)
	v_fmac_f64_e32 v[64:65], v[56:57], v[202:203]
	v_add_f64 v[66:67], v[62:63], v[64:65]
	ds_read_b128 v[62:65], v1 offset:1056
	s_waitcnt lgkmcnt(1)
	v_mul_f64 v[68:69], v[58:59], v[166:167]
	v_fmac_f64_e32 v[68:69], v[60:61], v[168:169]
	v_add_f64 v[70:71], v[66:67], v[68:69]
	ds_read_b128 v[66:69], v1 offset:1072
	s_waitcnt vmcnt(50) lgkmcnt(1)
	v_mul_f64 v[72:73], v[62:63], v[206:207]
	s_waitcnt vmcnt(48)
	;; [unrolled: 11-line block ×5, first 2 shown]
	v_fmac_f64_e32 v[96:97], v[88:89], v[228:229]
	v_add_f64 v[98:99], v[94:95], v[96:97]
	ds_read_b128 v[94:97], v1 offset:1184
	s_waitcnt lgkmcnt(1)
	v_mul_f64 v[100:101], v[90:91], v[200:201]
	v_fmac_f64_e32 v[100:101], v[92:93], v[204:205]
	v_add_f64 v[190:191], v[98:99], v[100:101]
	ds_read_b128 v[98:101], v1 offset:1200
	ds_read_b128 v[102:105], v1 offset:1216
	;; [unrolled: 1-line block ×3, first 2 shown]
	buffer_load_dword v252, off, s[0:3], 0 offset:152
	buffer_load_dword v253, off, s[0:3], 0 offset:156
	s_waitcnt vmcnt(20) lgkmcnt(3)
	v_mul_f64 v[192:193], v[94:95], v[232:233]
	s_waitcnt vmcnt(18)
	v_fmac_f64_e32 v[192:193], v[96:97], v[236:237]
	v_add_f64 v[190:191], v[190:191], v[192:193]
	s_waitcnt lgkmcnt(2)
	v_mul_f64 v[192:193], v[98:99], v[208:209]
	v_fmac_f64_e32 v[192:193], v[100:101], v[212:213]
	v_add_f64 v[190:191], v[190:191], v[192:193]
	s_waitcnt vmcnt(12) lgkmcnt(1)
	v_mul_f64 v[192:193], v[102:103], v[238:239]
	s_waitcnt vmcnt(10)
	v_fmac_f64_e32 v[192:193], v[104:105], v[240:241]
	v_add_f64 v[190:191], v[190:191], v[192:193]
	v_mul_f64 v[192:193], v[110:111], v[216:217]
	v_fmac_f64_e32 v[192:193], v[112:113], v[220:221]
	v_add_f64 v[190:191], v[190:191], v[192:193]
	s_waitcnt vmcnt(4)
	v_mul_f64 v[192:193], v[106:107], v[242:243]
	v_mul_f64 v[32:33], v[32:33], v[118:119]
	s_waitcnt vmcnt(2)
	v_fmac_f64_e32 v[192:193], v[108:109], v[244:245]
	v_add_f64 v[190:191], v[190:191], v[192:193]
	s_waitcnt lgkmcnt(0)
	v_mul_f64 v[192:193], v[114:115], v[230:231]
	v_fmac_f64_e32 v[192:193], v[116:117], v[234:235]
	v_add_f64 v[246:247], v[190:191], v[192:193]
	v_add_f64 v[190:191], v[248:249], 0
	;; [unrolled: 1-line block ×3, first 2 shown]
	v_fma_f64 v[30:31], v[30:31], v[154:155], -v[32:33]
	v_mul_f64 v[28:29], v[28:29], v[126:127]
	v_add_f64 v[30:31], v[190:191], v[30:31]
	v_fma_f64 v[26:27], v[26:27], v[152:153], -v[28:29]
	v_add_f64 v[26:27], v[30:31], v[26:27]
	v_mul_f64 v[20:21], v[20:21], v[132:133]
	v_add_f64 v[22:23], v[26:27], v[22:23]
	v_fma_f64 v[18:19], v[18:19], v[150:151], -v[20:21]
	v_add_f64 v[18:19], v[22:23], v[18:19]
	v_mul_f64 v[12:13], v[12:13], v[142:143]
	v_add_f64 v[14:15], v[18:19], v[14:15]
	v_fma_f64 v[10:11], v[10:11], v[148:149], -v[12:13]
	v_add_f64 v[10:11], v[14:15], v[10:11]
	v_mul_f64 v[4:5], v[4:5], v[138:139]
	v_add_f64 v[6:7], v[10:11], v[6:7]
	v_fma_f64 v[2:3], v[2:3], v[146:147], -v[4:5]
	v_mul_f64 v[4:5], v[40:41], v[144:145]
	v_add_f64 v[2:3], v[6:7], v[2:3]
	v_fma_f64 v[4:5], v[38:39], v[156:157], -v[4:5]
	v_add_f64 v[2:3], v[2:3], v[4:5]
	v_mul_f64 v[4:5], v[36:37], v[174:175]
	v_fma_f64 v[4:5], v[34:35], v[178:179], -v[4:5]
	v_add_f64 v[2:3], v[2:3], v[4:5]
	v_mul_f64 v[4:5], v[44:45], v[158:159]
	;; [unrolled: 3-line block ×20, first 2 shown]
	v_fma_f64 v[4:5], v[114:115], v[234:235], -v[4:5]
	v_add_f64 v[2:3], v[2:3], v[4:5]
	v_add_f64 v[2:3], v[140:141], -v[2:3]
	s_waitcnt vmcnt(0)
	v_add_f64 v[4:5], v[252:253], -v[246:247]
	buffer_store_dword v3, off, s[0:3], 0 offset:148
	buffer_store_dword v2, off, s[0:3], 0 offset:144
	;; [unrolled: 1-line block ×4, first 2 shown]
	s_and_saveexec_b64 s[4:5], vcc
	s_cbranch_execz .LBB39_239
; %bb.238:
	v_accvgpr_read_b32 v5, a112
	buffer_load_dword v2, v5, s[0:3], 0 offen
	buffer_load_dword v3, v5, s[0:3], 0 offen offset:4
	buffer_load_dword v4, v5, s[0:3], 0 offen offset:8
	s_nop 0
	buffer_load_dword v5, v5, s[0:3], 0 offen offset:12
	v_accvgpr_read_b32 v6, a119
	buffer_store_dword v1, off, s[0:3], 0 offset:128
	buffer_store_dword v1, off, s[0:3], 0 offset:132
	;; [unrolled: 1-line block ×4, first 2 shown]
	s_waitcnt vmcnt(4)
	ds_write_b128 v6, v[2:5]
.LBB39_239:
	s_or_b64 exec, exec, s[4:5]
	s_waitcnt lgkmcnt(0)
	; wave barrier
	s_waitcnt lgkmcnt(0)
	buffer_load_dword v112, off, s[0:3], 0 offset:144
	buffer_load_dword v113, off, s[0:3], 0 offset:148
	;; [unrolled: 1-line block ×36, first 2 shown]
	ds_read_b128 v[102:105], v1 offset:768
	ds_read_b128 v[106:109], v1 offset:784
	ds_read_b128 v[114:117], v1 offset:800
	ds_read_b128 v[22:25], v1 offset:816
	ds_read_b128 v[18:21], v1 offset:832
	ds_read_b128 v[14:17], v1 offset:848
	ds_read_b128 v[10:13], v1 offset:864
	ds_read_b128 v[6:9], v1 offset:880
	ds_read_b128 v[2:5], v1 offset:896
	buffer_load_dword v145, off, s[0:3], 0 offset:316
	buffer_load_dword v144, off, s[0:3], 0 offset:312
	;; [unrolled: 1-line block ×78, first 2 shown]
	v_cmp_lt_u32_e32 vcc, 6, v0
	s_waitcnt vmcnt(62) lgkmcnt(8)
	v_mul_f64 v[26:27], v[102:103], v[246:247]
	v_fmac_f64_e32 v[26:27], v[104:105], v[112:113]
	v_add_f64 v[26:27], v[26:27], 0
	v_mul_f64 v[104:105], v[104:105], v[246:247]
	s_waitcnt lgkmcnt(7)
	v_mul_f64 v[28:29], v[106:107], v[248:249]
	v_fmac_f64_e32 v[28:29], v[108:109], v[110:111]
	s_waitcnt lgkmcnt(6)
	v_mul_f64 v[30:31], v[114:115], v[244:245]
	v_add_f64 v[26:27], v[26:27], v[28:29]
	s_waitcnt lgkmcnt(4)
	v_mul_f64 v[34:35], v[18:19], v[118:119]
	v_fma_f64 v[246:247], v[102:103], v[112:113], -v[104:105]
	v_fmac_f64_e32 v[34:35], v[20:21], v[122:123]
	v_mul_f64 v[108:109], v[108:109], v[248:249]
	v_mul_f64 v[32:33], v[22:23], v[124:125]
	v_fma_f64 v[248:249], v[106:107], v[110:111], -v[108:109]
	s_waitcnt lgkmcnt(2)
	v_mul_f64 v[38:39], v[10:11], v[126:127]
	v_mul_f64 v[20:21], v[20:21], v[118:119]
	v_fmac_f64_e32 v[38:39], v[12:13], v[128:129]
	v_fma_f64 v[18:19], v[18:19], v[122:123], -v[20:21]
	v_mul_f64 v[36:37], v[14:15], v[132:133]
	v_mul_f64 v[12:13], v[12:13], v[126:127]
	s_waitcnt lgkmcnt(1)
	v_mul_f64 v[40:41], v[6:7], v[130:131]
	v_fma_f64 v[10:11], v[10:11], v[128:129], -v[12:13]
	v_fmac_f64_e32 v[30:31], v[116:117], v[250:251]
	v_add_f64 v[26:27], v[26:27], v[30:31]
	v_fmac_f64_e32 v[32:33], v[24:25], v[140:141]
	v_add_f64 v[26:27], v[26:27], v[32:33]
	;; [unrolled: 2-line block ×3, first 2 shown]
	v_add_f64 v[26:27], v[26:27], v[36:37]
	v_fmac_f64_e32 v[40:41], v[8:9], v[136:137]
	v_add_f64 v[30:31], v[26:27], v[38:39]
	v_add_f64 v[30:31], v[30:31], v[40:41]
	s_waitcnt lgkmcnt(0)
	v_mul_f64 v[32:33], v[2:3], v[134:135]
	v_fmac_f64_e32 v[32:33], v[4:5], v[142:143]
	ds_read_b128 v[26:29], v1 offset:912
	v_add_f64 v[34:35], v[30:31], v[32:33]
	ds_read_b128 v[30:33], v1 offset:928
	buffer_load_dword v231, off, s[0:3], 0 offset:580
	buffer_load_dword v230, off, s[0:3], 0 offset:576
	v_mul_f64 v[116:117], v[116:117], v[244:245]
	s_waitcnt lgkmcnt(1)
	v_mul_f64 v[36:37], v[26:27], v[148:149]
	v_fmac_f64_e32 v[36:37], v[28:29], v[150:151]
	v_add_f64 v[38:39], v[34:35], v[36:37]
	ds_read_b128 v[34:37], v1 offset:944
	s_waitcnt lgkmcnt(1)
	v_mul_f64 v[40:41], v[30:31], v[144:145]
	v_fmac_f64_e32 v[40:41], v[32:33], v[146:147]
	v_add_f64 v[42:43], v[38:39], v[40:41]
	ds_read_b128 v[38:41], v1 offset:960
	;; [unrolled: 5-line block ×4, first 2 shown]
	buffer_load_dword v233, off, s[0:3], 0 offset:636
	buffer_load_dword v235, off, s[0:3], 0 offset:620
	;; [unrolled: 1-line block ×12, first 2 shown]
	s_waitcnt vmcnt(62) lgkmcnt(1)
	v_mul_f64 v[52:53], v[42:43], v[176:177]
	v_fmac_f64_e32 v[52:53], v[44:45], v[180:181]
	v_add_f64 v[54:55], v[50:51], v[52:53]
	ds_read_b128 v[50:53], v1 offset:1008
	s_waitcnt lgkmcnt(1)
	v_mul_f64 v[56:57], v[46:47], v[156:157]
	v_fmac_f64_e32 v[56:57], v[48:49], v[158:159]
	v_add_f64 v[58:59], v[54:55], v[56:57]
	ds_read_b128 v[54:57], v1 offset:1024
	s_waitcnt lgkmcnt(1)
	v_mul_f64 v[60:61], v[50:51], v[184:185]
	s_waitcnt vmcnt(60)
	v_fmac_f64_e32 v[60:61], v[52:53], v[188:189]
	v_add_f64 v[62:63], v[58:59], v[60:61]
	ds_read_b128 v[58:61], v1 offset:1040
	s_waitcnt lgkmcnt(1)
	v_mul_f64 v[64:65], v[54:55], v[164:165]
	v_fmac_f64_e32 v[64:65], v[56:57], v[166:167]
	v_add_f64 v[66:67], v[62:63], v[64:65]
	ds_read_b128 v[62:65], v1 offset:1056
	s_waitcnt vmcnt(54) lgkmcnt(1)
	v_mul_f64 v[68:69], v[58:59], v[200:201]
	s_waitcnt vmcnt(52)
	v_fmac_f64_e32 v[68:69], v[60:61], v[204:205]
	v_add_f64 v[70:71], v[66:67], v[68:69]
	ds_read_b128 v[66:69], v1 offset:1072
	s_waitcnt lgkmcnt(1)
	v_mul_f64 v[72:73], v[62:63], v[168:169]
	v_fmac_f64_e32 v[72:73], v[64:65], v[170:171]
	v_add_f64 v[74:75], v[70:71], v[72:73]
	ds_read_b128 v[70:73], v1 offset:1088
	s_waitcnt vmcnt(46) lgkmcnt(1)
	;; [unrolled: 11-line block ×4, first 2 shown]
	v_mul_f64 v[92:93], v[82:83], v[220:221]
	s_waitcnt vmcnt(28)
	v_fmac_f64_e32 v[92:93], v[84:85], v[222:223]
	v_add_f64 v[98:99], v[90:91], v[92:93]
	ds_read_b128 v[90:93], v1 offset:1168
	ds_read_b128 v[94:97], v1 offset:1184
	s_waitcnt lgkmcnt(2)
	v_mul_f64 v[100:101], v[86:87], v[186:187]
	v_fmac_f64_e32 v[100:101], v[88:89], v[198:199]
	v_add_f64 v[98:99], v[98:99], v[100:101]
	s_waitcnt vmcnt(22) lgkmcnt(1)
	v_mul_f64 v[100:101], v[90:91], v[224:225]
	s_waitcnt vmcnt(20)
	v_fmac_f64_e32 v[100:101], v[92:93], v[226:227]
	v_add_f64 v[98:99], v[98:99], v[100:101]
	s_waitcnt lgkmcnt(0)
	v_mul_f64 v[100:101], v[94:95], v[202:203]
	v_fmac_f64_e32 v[100:101], v[96:97], v[206:207]
	v_add_f64 v[190:191], v[98:99], v[100:101]
	ds_read_b128 v[98:101], v1 offset:1200
	ds_read_b128 v[102:105], v1 offset:1216
	;; [unrolled: 1-line block ×3, first 2 shown]
	v_fma_f64 v[250:251], v[114:115], v[250:251], -v[116:117]
	ds_read_b128 v[114:117], v1 offset:1264
	s_waitcnt vmcnt(14) lgkmcnt(3)
	v_mul_f64 v[112:113], v[98:99], v[228:229]
	s_waitcnt lgkmcnt(2)
	v_mul_f64 v[110:111], v[102:103], v[210:211]
	s_waitcnt vmcnt(12)
	v_fmac_f64_e32 v[112:113], v[100:101], v[230:231]
	v_add_f64 v[112:113], v[190:191], v[112:113]
	v_fmac_f64_e32 v[110:111], v[104:105], v[214:215]
	v_add_f64 v[190:191], v[112:113], v[110:111]
	ds_read_b128 v[110:113], v1 offset:1248
	buffer_load_dword v254, off, s[0:3], 0 offset:128
	buffer_load_dword v255, off, s[0:3], 0 offset:132
	;; [unrolled: 1-line block ×4, first 2 shown]
	v_mul_f64 v[24:25], v[24:25], v[124:125]
	v_fma_f64 v[22:23], v[22:23], v[140:141], -v[24:25]
	v_mul_f64 v[16:17], v[16:17], v[132:133]
	s_waitcnt vmcnt(13) lgkmcnt(2)
	v_mul_f64 v[192:193], v[106:107], v[234:235]
	v_fma_f64 v[14:15], v[14:15], v[138:139], -v[16:17]
	s_waitcnt vmcnt(11)
	v_fmac_f64_e32 v[192:193], v[108:109], v[240:241]
	v_add_f64 v[190:191], v[190:191], v[192:193]
	s_waitcnt vmcnt(10) lgkmcnt(0)
	v_mul_f64 v[192:193], v[110:111], v[232:233]
	s_waitcnt vmcnt(8)
	v_fmac_f64_e32 v[192:193], v[112:113], v[238:239]
	v_add_f64 v[190:191], v[190:191], v[192:193]
	s_waitcnt vmcnt(6)
	v_mul_f64 v[192:193], v[114:115], v[236:237]
	v_mul_f64 v[8:9], v[8:9], v[130:131]
	s_waitcnt vmcnt(4)
	v_fmac_f64_e32 v[192:193], v[116:117], v[242:243]
	v_add_f64 v[244:245], v[190:191], v[192:193]
	v_add_f64 v[190:191], v[246:247], 0
	;; [unrolled: 1-line block ×8, first 2 shown]
	v_fma_f64 v[6:7], v[6:7], v[136:137], -v[8:9]
	v_mul_f64 v[4:5], v[4:5], v[134:135]
	v_add_f64 v[6:7], v[10:11], v[6:7]
	v_fma_f64 v[2:3], v[2:3], v[142:143], -v[4:5]
	v_mul_f64 v[4:5], v[28:29], v[148:149]
	v_add_f64 v[2:3], v[6:7], v[2:3]
	v_fma_f64 v[4:5], v[26:27], v[150:151], -v[4:5]
	v_add_f64 v[2:3], v[2:3], v[4:5]
	v_mul_f64 v[4:5], v[32:33], v[144:145]
	v_fma_f64 v[4:5], v[30:31], v[146:147], -v[4:5]
	v_add_f64 v[2:3], v[2:3], v[4:5]
	v_mul_f64 v[4:5], v[36:37], v[160:161]
	v_fma_f64 v[4:5], v[34:35], v[162:163], -v[4:5]
	v_add_f64 v[2:3], v[2:3], v[4:5]
	v_mul_f64 v[4:5], v[40:41], v[152:153]
	v_fma_f64 v[4:5], v[38:39], v[154:155], -v[4:5]
	v_add_f64 v[2:3], v[2:3], v[4:5]
	v_mul_f64 v[4:5], v[44:45], v[176:177]
	v_fma_f64 v[4:5], v[42:43], v[180:181], -v[4:5]
	v_add_f64 v[2:3], v[2:3], v[4:5]
	v_mul_f64 v[4:5], v[48:49], v[156:157]
	v_fma_f64 v[4:5], v[46:47], v[158:159], -v[4:5]
	v_add_f64 v[2:3], v[2:3], v[4:5]
	v_mul_f64 v[4:5], v[52:53], v[184:185]
	v_fma_f64 v[4:5], v[50:51], v[188:189], -v[4:5]
	v_add_f64 v[2:3], v[2:3], v[4:5]
	v_mul_f64 v[4:5], v[56:57], v[164:165]
	v_fma_f64 v[4:5], v[54:55], v[166:167], -v[4:5]
	v_add_f64 v[2:3], v[2:3], v[4:5]
	v_mul_f64 v[4:5], v[60:61], v[200:201]
	v_fma_f64 v[4:5], v[58:59], v[204:205], -v[4:5]
	v_add_f64 v[2:3], v[2:3], v[4:5]
	v_mul_f64 v[4:5], v[64:65], v[168:169]
	v_fma_f64 v[4:5], v[62:63], v[170:171], -v[4:5]
	v_add_f64 v[2:3], v[2:3], v[4:5]
	v_mul_f64 v[4:5], v[68:69], v[208:209]
	v_fma_f64 v[4:5], v[66:67], v[212:213], -v[4:5]
	v_add_f64 v[2:3], v[2:3], v[4:5]
	v_mul_f64 v[4:5], v[72:73], v[172:173]
	v_fma_f64 v[4:5], v[70:71], v[174:175], -v[4:5]
	v_add_f64 v[2:3], v[2:3], v[4:5]
	v_mul_f64 v[4:5], v[76:77], v[216:217]
	v_fma_f64 v[4:5], v[74:75], v[218:219], -v[4:5]
	v_add_f64 v[2:3], v[2:3], v[4:5]
	v_mul_f64 v[4:5], v[80:81], v[178:179]
	v_fma_f64 v[4:5], v[78:79], v[182:183], -v[4:5]
	v_add_f64 v[2:3], v[2:3], v[4:5]
	v_mul_f64 v[4:5], v[84:85], v[220:221]
	v_fma_f64 v[4:5], v[82:83], v[222:223], -v[4:5]
	v_add_f64 v[2:3], v[2:3], v[4:5]
	v_mul_f64 v[4:5], v[88:89], v[186:187]
	v_fma_f64 v[4:5], v[86:87], v[198:199], -v[4:5]
	v_add_f64 v[2:3], v[2:3], v[4:5]
	v_mul_f64 v[4:5], v[92:93], v[224:225]
	v_fma_f64 v[4:5], v[90:91], v[226:227], -v[4:5]
	v_add_f64 v[2:3], v[2:3], v[4:5]
	v_mul_f64 v[4:5], v[96:97], v[202:203]
	v_fma_f64 v[4:5], v[94:95], v[206:207], -v[4:5]
	v_add_f64 v[2:3], v[2:3], v[4:5]
	v_mul_f64 v[4:5], v[100:101], v[228:229]
	v_fma_f64 v[4:5], v[98:99], v[230:231], -v[4:5]
	v_add_f64 v[2:3], v[2:3], v[4:5]
	v_mul_f64 v[4:5], v[104:105], v[210:211]
	v_fma_f64 v[4:5], v[102:103], v[214:215], -v[4:5]
	v_add_f64 v[2:3], v[2:3], v[4:5]
	v_mul_f64 v[4:5], v[108:109], v[234:235]
	v_fma_f64 v[4:5], v[106:107], v[240:241], -v[4:5]
	v_add_f64 v[2:3], v[2:3], v[4:5]
	v_mul_f64 v[4:5], v[112:113], v[232:233]
	v_fma_f64 v[4:5], v[110:111], v[238:239], -v[4:5]
	v_add_f64 v[2:3], v[2:3], v[4:5]
	v_mul_f64 v[4:5], v[116:117], v[236:237]
	v_fma_f64 v[4:5], v[114:115], v[242:243], -v[4:5]
	v_add_f64 v[2:3], v[2:3], v[4:5]
	s_waitcnt vmcnt(2)
	v_add_f64 v[2:3], v[254:255], -v[2:3]
	s_waitcnt vmcnt(0)
	v_add_f64 v[4:5], v[252:253], -v[244:245]
	buffer_store_dword v3, off, s[0:3], 0 offset:132
	buffer_store_dword v2, off, s[0:3], 0 offset:128
	buffer_store_dword v5, off, s[0:3], 0 offset:140
	buffer_store_dword v4, off, s[0:3], 0 offset:136
	s_and_saveexec_b64 s[4:5], vcc
	s_cbranch_execz .LBB39_241
; %bb.240:
	v_accvgpr_read_b32 v1, a113
	buffer_load_dword v2, v1, s[0:3], 0 offen
	buffer_load_dword v3, v1, s[0:3], 0 offen offset:4
	buffer_load_dword v4, v1, s[0:3], 0 offen offset:8
	;; [unrolled: 1-line block ×3, first 2 shown]
	v_mov_b32_e32 v1, 0
	v_accvgpr_read_b32 v6, a119
	buffer_store_dword v1, off, s[0:3], 0 offset:112
	buffer_store_dword v1, off, s[0:3], 0 offset:116
	;; [unrolled: 1-line block ×4, first 2 shown]
	s_waitcnt vmcnt(4)
	ds_write_b128 v6, v[2:5]
.LBB39_241:
	s_or_b64 exec, exec, s[4:5]
	s_waitcnt lgkmcnt(0)
	; wave barrier
	s_waitcnt lgkmcnt(0)
	buffer_load_dword v94, off, s[0:3], 0 offset:128
	buffer_load_dword v95, off, s[0:3], 0 offset:132
	;; [unrolled: 1-line block ×52, first 2 shown]
	v_mov_b32_e32 v1, 0
	ds_read_b128 v[102:105], v1 offset:752
	ds_read_b128 v[114:117], v1 offset:768
	;; [unrolled: 1-line block ×10, first 2 shown]
	v_cmp_lt_u32_e32 vcc, 5, v0
	s_waitcnt vmcnt(48) lgkmcnt(9)
	v_mul_f64 v[26:27], v[102:103], v[96:97]
	v_fmac_f64_e32 v[26:27], v[104:105], v[94:95]
	v_add_f64 v[26:27], v[26:27], 0
	v_mul_f64 v[96:97], v[104:105], v[96:97]
	s_waitcnt vmcnt(44) lgkmcnt(8)
	v_mul_f64 v[28:29], v[114:115], v[100:101]
	v_fmac_f64_e32 v[28:29], v[116:117], v[98:99]
	s_waitcnt vmcnt(42) lgkmcnt(7)
	v_mul_f64 v[30:31], v[244:245], v[106:107]
	v_add_f64 v[26:27], v[26:27], v[28:29]
	s_waitcnt vmcnt(40) lgkmcnt(5)
	v_mul_f64 v[34:35], v[22:23], v[122:123]
	v_fma_f64 v[192:193], v[102:103], v[94:95], -v[96:97]
	s_waitcnt vmcnt(38)
	v_fmac_f64_e32 v[34:35], v[24:25], v[126:127]
	v_mul_f64 v[100:101], v[116:117], v[100:101]
	s_waitcnt vmcnt(36)
	v_mul_f64 v[32:33], v[250:251], v[110:111]
	v_fma_f64 v[254:255], v[114:115], v[98:99], -v[100:101]
	s_waitcnt vmcnt(34) lgkmcnt(3)
	v_mul_f64 v[38:39], v[14:15], v[118:119]
	v_mul_f64 v[106:107], v[246:247], v[106:107]
	s_waitcnt vmcnt(32)
	v_fmac_f64_e32 v[38:39], v[16:17], v[124:125]
	v_mul_f64 v[110:111], v[252:253], v[110:111]
	s_waitcnt vmcnt(30)
	v_mul_f64 v[36:37], v[18:19], v[132:133]
	v_mul_f64 v[24:25], v[24:25], v[122:123]
	v_fma_f64 v[22:23], v[22:23], v[126:127], -v[24:25]
	s_waitcnt vmcnt(27) lgkmcnt(2)
	v_mul_f64 v[40:41], v[10:11], v[130:131]
	s_waitcnt vmcnt(26) lgkmcnt(1)
	v_mul_f64 v[42:43], v[6:7], v[128:129]
	v_mul_f64 v[16:17], v[16:17], v[118:119]
	s_waitcnt vmcnt(24)
	v_fmac_f64_e32 v[30:31], v[246:247], v[108:109]
	v_add_f64 v[26:27], v[26:27], v[30:31]
	s_waitcnt vmcnt(22)
	v_fmac_f64_e32 v[32:33], v[252:253], v[112:113]
	v_add_f64 v[26:27], v[26:27], v[32:33]
	;; [unrolled: 3-line block ×3, first 2 shown]
	v_add_f64 v[26:27], v[26:27], v[36:37]
	s_waitcnt vmcnt(18)
	v_fmac_f64_e32 v[40:41], v[12:13], v[134:135]
	v_add_f64 v[26:27], v[26:27], v[38:39]
	v_add_f64 v[26:27], v[26:27], v[40:41]
	s_waitcnt vmcnt(16)
	v_fmac_f64_e32 v[42:43], v[8:9], v[140:141]
	v_add_f64 v[34:35], v[26:27], v[42:43]
	ds_read_b128 v[26:29], v1 offset:912
	ds_read_b128 v[30:33], v1 offset:928
	buffer_load_dword v157, off, s[0:3], 0 offset:364
	buffer_load_dword v156, off, s[0:3], 0 offset:360
	;; [unrolled: 1-line block ×56, first 2 shown]
	s_waitcnt vmcnt(62) lgkmcnt(2)
	v_mul_f64 v[36:37], v[2:3], v[144:145]
	v_fmac_f64_e32 v[36:37], v[4:5], v[146:147]
	v_add_f64 v[34:35], v[34:35], v[36:37]
	s_waitcnt lgkmcnt(1)
	v_mul_f64 v[36:37], v[26:27], v[138:139]
	v_fmac_f64_e32 v[36:37], v[28:29], v[142:143]
	v_add_f64 v[34:35], v[34:35], v[36:37]
	s_waitcnt lgkmcnt(0)
	v_mul_f64 v[36:37], v[30:31], v[148:149]
	s_waitcnt vmcnt(60)
	v_fmac_f64_e32 v[36:37], v[32:33], v[152:153]
	v_add_f64 v[42:43], v[34:35], v[36:37]
	ds_read_b128 v[34:37], v1 offset:944
	buffer_load_dword v209, off, s[0:3], 0 offset:588
	buffer_load_dword v208, off, s[0:3], 0 offset:584
	;; [unrolled: 1-line block ×16, first 2 shown]
	ds_read_b128 v[38:41], v1 offset:960
	buffer_load_dword v231, off, s[0:3], 0 offset:652
	buffer_load_dword v230, off, s[0:3], 0 offset:648
	;; [unrolled: 1-line block ×8, first 2 shown]
	ds_read_b128 v[98:101], v1 offset:1200
	s_waitcnt vmcnt(62) lgkmcnt(2)
	v_mul_f64 v[44:45], v[34:35], v[150:151]
	v_fmac_f64_e32 v[44:45], v[36:37], v[154:155]
	v_add_f64 v[46:47], v[42:43], v[44:45]
	ds_read_b128 v[42:45], v1 offset:976
	v_fma_f64 v[248:249], v[244:245], v[108:109], -v[106:107]
	ds_read_b128 v[106:109], v1 offset:1232
	v_fma_f64 v[246:247], v[250:251], v[112:113], -v[110:111]
	v_mul_f64 v[20:21], v[20:21], v[132:133]
	v_fma_f64 v[18:19], v[18:19], v[136:137], -v[20:21]
	v_fma_f64 v[14:15], v[14:15], v[124:125], -v[16:17]
	v_mul_f64 v[12:13], v[12:13], v[130:131]
	v_fma_f64 v[10:11], v[10:11], v[134:135], -v[12:13]
	v_mul_f64 v[8:9], v[8:9], v[128:129]
	v_fma_f64 v[6:7], v[6:7], v[140:141], -v[8:9]
	v_mul_f64 v[4:5], v[4:5], v[144:145]
	s_waitcnt lgkmcnt(3)
	v_mul_f64 v[48:49], v[38:39], v[172:173]
	v_fma_f64 v[2:3], v[2:3], v[146:147], -v[4:5]
	v_fmac_f64_e32 v[48:49], v[40:41], v[176:177]
	v_add_f64 v[50:51], v[46:47], v[48:49]
	ds_read_b128 v[46:49], v1 offset:992
	s_waitcnt lgkmcnt(2)
	v_mul_f64 v[52:53], v[42:43], v[156:157]
	v_fmac_f64_e32 v[52:53], v[44:45], v[158:159]
	v_add_f64 v[54:55], v[50:51], v[52:53]
	ds_read_b128 v[50:53], v1 offset:1008
	s_waitcnt lgkmcnt(1)
	v_mul_f64 v[56:57], v[46:47], v[180:181]
	;; [unrolled: 5-line block ×3, first 2 shown]
	v_fmac_f64_e32 v[60:61], v[52:53], v[162:163]
	v_add_f64 v[62:63], v[58:59], v[60:61]
	ds_read_b128 v[58:61], v1 offset:1040
	s_waitcnt vmcnt(58) lgkmcnt(1)
	v_mul_f64 v[64:65], v[54:55], v[188:189]
	s_waitcnt vmcnt(56)
	v_fmac_f64_e32 v[64:65], v[56:57], v[200:201]
	v_add_f64 v[66:67], v[62:63], v[64:65]
	ds_read_b128 v[62:65], v1 offset:1056
	s_waitcnt lgkmcnt(1)
	v_mul_f64 v[68:69], v[58:59], v[164:165]
	v_fmac_f64_e32 v[68:69], v[60:61], v[166:167]
	v_add_f64 v[70:71], v[66:67], v[68:69]
	ds_read_b128 v[66:69], v1 offset:1072
	s_waitcnt vmcnt(50) lgkmcnt(1)
	v_mul_f64 v[72:73], v[62:63], v[204:205]
	s_waitcnt vmcnt(48)
	v_fmac_f64_e32 v[72:73], v[64:65], v[206:207]
	v_add_f64 v[74:75], v[70:71], v[72:73]
	ds_read_b128 v[70:73], v1 offset:1088
	s_waitcnt lgkmcnt(1)
	v_mul_f64 v[76:77], v[66:67], v[168:169]
	;; [unrolled: 11-line block ×3, first 2 shown]
	v_fmac_f64_e32 v[84:85], v[76:77], v[178:179]
	v_add_f64 v[90:91], v[82:83], v[84:85]
	ds_read_b128 v[82:85], v1 offset:1136
	ds_read_b128 v[86:89], v1 offset:1152
	s_waitcnt vmcnt(34) lgkmcnt(2)
	v_mul_f64 v[92:93], v[78:79], v[218:219]
	s_waitcnt vmcnt(32)
	v_fmac_f64_e32 v[92:93], v[80:81], v[224:225]
	v_add_f64 v[90:91], v[90:91], v[92:93]
	s_waitcnt lgkmcnt(1)
	v_mul_f64 v[92:93], v[82:83], v[182:183]
	v_fmac_f64_e32 v[92:93], v[84:85], v[186:187]
	v_add_f64 v[90:91], v[90:91], v[92:93]
	s_waitcnt vmcnt(27) lgkmcnt(0)
	v_mul_f64 v[92:93], v[86:87], v[222:223]
	s_waitcnt vmcnt(25)
	v_fmac_f64_e32 v[92:93], v[88:89], v[226:227]
	v_add_f64 v[190:191], v[90:91], v[92:93]
	ds_read_b128 v[90:93], v1 offset:1168
	ds_read_b128 v[94:97], v1 offset:1184
	;; [unrolled: 1-line block ×3, first 2 shown]
	v_mul_f64 v[4:5], v[28:29], v[138:139]
	v_fma_f64 v[4:5], v[26:27], v[142:143], -v[4:5]
	s_waitcnt lgkmcnt(2)
	v_mul_f64 v[102:103], v[90:91], v[198:199]
	s_waitcnt vmcnt(24)
	v_fmac_f64_e32 v[102:103], v[92:93], v[202:203]
	s_waitcnt vmcnt(18) lgkmcnt(1)
	v_mul_f64 v[104:105], v[94:95], v[228:229]
	v_add_f64 v[102:103], v[190:191], v[102:103]
	s_waitcnt vmcnt(16)
	v_fmac_f64_e32 v[104:105], v[96:97], v[232:233]
	v_add_f64 v[102:103], v[102:103], v[104:105]
	v_mul_f64 v[104:105], v[98:99], v[208:209]
	v_fmac_f64_e32 v[104:105], v[100:101], v[212:213]
	v_add_f64 v[114:115], v[102:103], v[104:105]
	ds_read_b128 v[102:105], v1 offset:1216
	s_waitcnt vmcnt(10) lgkmcnt(0)
	v_mul_f64 v[116:117], v[102:103], v[236:237]
	s_waitcnt vmcnt(8)
	v_fmac_f64_e32 v[116:117], v[104:105], v[238:239]
	v_add_f64 v[114:115], v[114:115], v[116:117]
	v_mul_f64 v[116:117], v[106:107], v[216:217]
	v_fmac_f64_e32 v[116:117], v[108:109], v[220:221]
	v_add_f64 v[114:115], v[114:115], v[116:117]
	s_waitcnt vmcnt(2)
	v_mul_f64 v[116:117], v[110:111], v[240:241]
	s_waitcnt vmcnt(0)
	v_fmac_f64_e32 v[116:117], v[112:113], v[242:243]
	v_add_f64 v[190:191], v[114:115], v[116:117]
	ds_read_b128 v[114:117], v1 offset:1264
	buffer_load_dword v252, off, s[0:3], 0 offset:112
	buffer_load_dword v253, off, s[0:3], 0 offset:116
	s_waitcnt lgkmcnt(0)
	v_mul_f64 v[244:245], v[114:115], v[230:231]
	v_fmac_f64_e32 v[244:245], v[116:117], v[234:235]
	v_add_f64 v[244:245], v[190:191], v[244:245]
	v_add_f64 v[190:191], v[192:193], 0
	;; [unrolled: 1-line block ×4, first 2 shown]
	buffer_load_dword v248, off, s[0:3], 0 offset:120
	buffer_load_dword v249, off, s[0:3], 0 offset:124
	v_add_f64 v[190:191], v[190:191], v[246:247]
	v_add_f64 v[22:23], v[190:191], v[22:23]
	;; [unrolled: 1-line block ×8, first 2 shown]
	v_mul_f64 v[4:5], v[32:33], v[148:149]
	v_fma_f64 v[4:5], v[30:31], v[152:153], -v[4:5]
	v_add_f64 v[2:3], v[2:3], v[4:5]
	v_mul_f64 v[4:5], v[36:37], v[150:151]
	v_fma_f64 v[4:5], v[34:35], v[154:155], -v[4:5]
	v_add_f64 v[2:3], v[2:3], v[4:5]
	;; [unrolled: 3-line block ×22, first 2 shown]
	s_waitcnt vmcnt(2)
	v_add_f64 v[2:3], v[252:253], -v[2:3]
	s_waitcnt vmcnt(0)
	v_add_f64 v[4:5], v[248:249], -v[244:245]
	buffer_store_dword v3, off, s[0:3], 0 offset:116
	buffer_store_dword v2, off, s[0:3], 0 offset:112
	;; [unrolled: 1-line block ×4, first 2 shown]
	s_and_saveexec_b64 s[4:5], vcc
	s_cbranch_execz .LBB39_243
; %bb.242:
	v_accvgpr_read_b32 v5, a114
	buffer_load_dword v2, v5, s[0:3], 0 offen
	buffer_load_dword v3, v5, s[0:3], 0 offen offset:4
	buffer_load_dword v4, v5, s[0:3], 0 offen offset:8
	s_nop 0
	buffer_load_dword v5, v5, s[0:3], 0 offen offset:12
	v_accvgpr_read_b32 v6, a119
	buffer_store_dword v1, off, s[0:3], 0 offset:96
	buffer_store_dword v1, off, s[0:3], 0 offset:100
	;; [unrolled: 1-line block ×4, first 2 shown]
	s_waitcnt vmcnt(4)
	ds_write_b128 v6, v[2:5]
.LBB39_243:
	s_or_b64 exec, exec, s[4:5]
	s_waitcnt lgkmcnt(0)
	; wave barrier
	s_waitcnt lgkmcnt(0)
	buffer_load_dword v86, off, s[0:3], 0 offset:112
	buffer_load_dword v87, off, s[0:3], 0 offset:116
	;; [unrolled: 1-line block ×42, first 2 shown]
	ds_read_b128 v[94:97], v1 offset:736
	ds_read_b128 v[106:109], v1 offset:752
	;; [unrolled: 1-line block ×10, first 2 shown]
	buffer_load_dword v147, off, s[0:3], 0 offset:260
	buffer_load_dword v146, off, s[0:3], 0 offset:256
	ds_read_b128 v[6:9], v1 offset:896
	buffer_load_dword v143, off, s[0:3], 0 offset:316
	buffer_load_dword v142, off, s[0:3], 0 offset:312
	;; [unrolled: 1-line block ×80, first 2 shown]
	v_cmp_lt_u32_e32 vcc, 4, v0
	s_waitcnt vmcnt(62) lgkmcnt(10)
	v_mul_f64 v[26:27], v[94:95], v[88:89]
	v_fmac_f64_e32 v[26:27], v[96:97], v[86:87]
	v_add_f64 v[26:27], v[26:27], 0
	v_mul_f64 v[88:89], v[96:97], v[88:89]
	s_waitcnt lgkmcnt(9)
	v_mul_f64 v[28:29], v[106:107], v[92:93]
	v_fmac_f64_e32 v[28:29], v[108:109], v[90:91]
	s_waitcnt lgkmcnt(8)
	v_mul_f64 v[30:31], v[114:115], v[98:99]
	v_add_f64 v[26:27], v[26:27], v[28:29]
	s_waitcnt lgkmcnt(6)
	v_mul_f64 v[34:35], v[248:249], v[110:111]
	v_fma_f64 v[192:193], v[94:95], v[86:87], -v[88:89]
	v_fmac_f64_e32 v[34:35], v[250:251], v[112:113]
	v_mul_f64 v[92:93], v[108:109], v[92:93]
	v_mul_f64 v[32:33], v[244:245], v[102:103]
	;; [unrolled: 1-line block ×3, first 2 shown]
	s_waitcnt lgkmcnt(4)
	v_mul_f64 v[38:39], v[18:19], v[118:119]
	v_mul_f64 v[102:103], v[246:247], v[102:103]
	v_fmac_f64_e32 v[38:39], v[20:21], v[122:123]
	v_mul_f64 v[110:111], v[250:251], v[110:111]
	v_mul_f64 v[36:37], v[22:23], v[124:125]
	v_fma_f64 v[248:249], v[248:249], v[112:113], -v[110:111]
	s_waitcnt lgkmcnt(2)
	v_mul_f64 v[42:43], v[10:11], v[126:127]
	v_add_f64 v[192:193], v[192:193], 0
	v_mul_f64 v[20:21], v[20:21], v[118:119]
	v_mul_f64 v[40:41], v[14:15], v[132:133]
	v_fma_f64 v[18:19], v[18:19], v[122:123], -v[20:21]
	s_waitcnt lgkmcnt(1)
	v_mul_f64 v[44:45], v[2:3], v[130:131]
	v_fmac_f64_e32 v[30:31], v[116:117], v[100:101]
	v_add_f64 v[26:27], v[26:27], v[30:31]
	v_fmac_f64_e32 v[32:33], v[246:247], v[104:105]
	v_add_f64 v[26:27], v[26:27], v[32:33]
	;; [unrolled: 2-line block ×3, first 2 shown]
	v_add_f64 v[26:27], v[26:27], v[36:37]
	v_fmac_f64_e32 v[40:41], v[16:17], v[134:135]
	v_add_f64 v[26:27], v[26:27], v[38:39]
	v_fmac_f64_e32 v[42:43], v[12:13], v[128:129]
	v_add_f64 v[26:27], v[26:27], v[40:41]
	v_add_f64 v[26:27], v[26:27], v[42:43]
	s_waitcnt lgkmcnt(0)
	v_mul_f64 v[32:33], v[6:7], v[138:139]
	v_fmac_f64_e32 v[44:45], v[4:5], v[146:147]
	v_add_f64 v[30:31], v[26:27], v[44:45]
	ds_read_b128 v[26:29], v1 offset:912
	v_fmac_f64_e32 v[32:33], v[8:9], v[140:141]
	v_add_f64 v[34:35], v[30:31], v[32:33]
	ds_read_b128 v[30:33], v1 offset:928
	v_fma_f64 v[252:253], v[114:115], v[100:101], -v[98:99]
	s_waitcnt lgkmcnt(1)
	v_mul_f64 v[36:37], v[26:27], v[148:149]
	v_fmac_f64_e32 v[36:37], v[28:29], v[164:165]
	v_add_f64 v[38:39], v[34:35], v[36:37]
	ds_read_b128 v[34:37], v1 offset:944
	s_waitcnt lgkmcnt(1)
	v_mul_f64 v[40:41], v[30:31], v[142:143]
	v_fmac_f64_e32 v[40:41], v[32:33], v[144:145]
	v_add_f64 v[42:43], v[38:39], v[40:41]
	ds_read_b128 v[38:41], v1 offset:960
	;; [unrolled: 5-line block ×4, first 2 shown]
	s_waitcnt vmcnt(58) lgkmcnt(1)
	v_mul_f64 v[52:53], v[42:43], v[176:177]
	s_waitcnt vmcnt(56)
	v_fmac_f64_e32 v[52:53], v[44:45], v[180:181]
	v_add_f64 v[54:55], v[50:51], v[52:53]
	ds_read_b128 v[50:53], v1 offset:1008
	buffer_load_dword v232, off, s[0:3], 0 offset:632
	buffer_load_dword v237, off, s[0:3], 0 offset:620
	;; [unrolled: 1-line block ×8, first 2 shown]
	s_waitcnt lgkmcnt(1)
	v_mul_f64 v[56:57], v[46:47], v[154:155]
	v_fmac_f64_e32 v[56:57], v[48:49], v[156:157]
	v_add_f64 v[58:59], v[54:55], v[56:57]
	ds_read_b128 v[54:57], v1 offset:1024
	buffer_load_dword v241, off, s[0:3], 0 offset:652
	buffer_load_dword v240, off, s[0:3], 0 offset:648
	buffer_load_dword v243, off, s[0:3], 0 offset:644
	buffer_load_dword v242, off, s[0:3], 0 offset:640
	s_waitcnt vmcnt(62) lgkmcnt(1)
	v_mul_f64 v[60:61], v[50:51], v[184:185]
	s_waitcnt vmcnt(60)
	v_fmac_f64_e32 v[60:61], v[52:53], v[198:199]
	v_add_f64 v[62:63], v[58:59], v[60:61]
	ds_read_b128 v[58:61], v1 offset:1040
	s_waitcnt lgkmcnt(1)
	v_mul_f64 v[64:65], v[54:55], v[158:159]
	v_fmac_f64_e32 v[64:65], v[56:57], v[160:161]
	v_add_f64 v[66:67], v[62:63], v[64:65]
	ds_read_b128 v[62:65], v1 offset:1056
	s_waitcnt vmcnt(54) lgkmcnt(1)
	v_mul_f64 v[68:69], v[58:59], v[202:203]
	s_waitcnt vmcnt(52)
	v_fmac_f64_e32 v[68:69], v[60:61], v[206:207]
	v_add_f64 v[70:71], v[66:67], v[68:69]
	ds_read_b128 v[66:69], v1 offset:1072
	s_waitcnt lgkmcnt(1)
	v_mul_f64 v[72:73], v[62:63], v[162:163]
	v_fmac_f64_e32 v[72:73], v[64:65], v[166:167]
	v_add_f64 v[74:75], v[70:71], v[72:73]
	ds_read_b128 v[70:73], v1 offset:1088
	s_waitcnt vmcnt(46) lgkmcnt(1)
	v_mul_f64 v[76:77], v[66:67], v[210:211]
	s_waitcnt vmcnt(44)
	v_fmac_f64_e32 v[76:77], v[68:69], v[214:215]
	v_add_f64 v[82:83], v[74:75], v[76:77]
	ds_read_b128 v[74:77], v1 offset:1104
	ds_read_b128 v[78:81], v1 offset:1120
	s_waitcnt lgkmcnt(2)
	v_mul_f64 v[84:85], v[70:71], v[170:171]
	v_fmac_f64_e32 v[84:85], v[72:73], v[174:175]
	v_add_f64 v[82:83], v[82:83], v[84:85]
	s_waitcnt vmcnt(38) lgkmcnt(1)
	v_mul_f64 v[84:85], v[74:75], v[218:219]
	s_waitcnt vmcnt(36)
	v_fmac_f64_e32 v[84:85], v[76:77], v[220:221]
	v_add_f64 v[82:83], v[82:83], v[84:85]
	s_waitcnt lgkmcnt(0)
	v_mul_f64 v[84:85], v[78:79], v[178:179]
	v_fmac_f64_e32 v[84:85], v[80:81], v[182:183]
	v_add_f64 v[190:191], v[82:83], v[84:85]
	ds_read_b128 v[82:85], v1 offset:1136
	ds_read_b128 v[86:89], v1 offset:1152
	ds_read_b128 v[98:101], v1 offset:1200
	v_fma_f64 v[246:247], v[244:245], v[104:105], -v[102:103]
	ds_read_b128 v[102:105], v1 offset:1232
	ds_read_b128 v[110:113], v1 offset:1248
	s_waitcnt vmcnt(30) lgkmcnt(4)
	v_mul_f64 v[94:95], v[82:83], v[222:223]
	s_waitcnt vmcnt(28)
	v_fmac_f64_e32 v[94:95], v[84:85], v[224:225]
	v_add_f64 v[94:95], v[190:191], v[94:95]
	v_fma_f64 v[190:191], v[106:107], v[90:91], -v[92:93]
	ds_read_b128 v[90:93], v1 offset:1168
	s_waitcnt lgkmcnt(4)
	v_mul_f64 v[96:97], v[86:87], v[186:187]
	v_fmac_f64_e32 v[96:97], v[88:89], v[200:201]
	v_add_f64 v[106:107], v[94:95], v[96:97]
	ds_read_b128 v[94:97], v1 offset:1184
	s_waitcnt vmcnt(22) lgkmcnt(1)
	v_mul_f64 v[108:109], v[90:91], v[226:227]
	s_waitcnt vmcnt(20)
	v_fmac_f64_e32 v[108:109], v[92:93], v[228:229]
	v_add_f64 v[106:107], v[106:107], v[108:109]
	v_add_f64 v[190:191], v[192:193], v[190:191]
	s_waitcnt lgkmcnt(0)
	v_mul_f64 v[108:109], v[94:95], v[204:205]
	v_fmac_f64_e32 v[108:109], v[96:97], v[208:209]
	v_add_f64 v[114:115], v[106:107], v[108:109]
	ds_read_b128 v[106:109], v1 offset:1216
	s_waitcnt vmcnt(14)
	v_mul_f64 v[116:117], v[98:99], v[230:231]
	s_waitcnt vmcnt(12)
	v_fmac_f64_e32 v[116:117], v[100:101], v[188:189]
	v_add_f64 v[114:115], v[114:115], v[116:117]
	v_mul_f64 v[24:25], v[24:25], v[124:125]
	s_waitcnt lgkmcnt(0)
	v_mul_f64 v[116:117], v[106:107], v[212:213]
	v_fmac_f64_e32 v[116:117], v[108:109], v[216:217]
	v_add_f64 v[114:115], v[114:115], v[116:117]
	v_fma_f64 v[22:23], v[22:23], v[136:137], -v[24:25]
	v_mul_f64 v[16:17], v[16:17], v[132:133]
	v_fma_f64 v[14:15], v[14:15], v[134:135], -v[16:17]
	v_mul_f64 v[12:13], v[12:13], v[126:127]
	;; [unrolled: 2-line block ×4, first 2 shown]
	v_fma_f64 v[4:5], v[6:7], v[140:141], -v[4:5]
	s_waitcnt vmcnt(9)
	v_mul_f64 v[116:117], v[102:103], v[236:237]
	s_waitcnt vmcnt(7)
	v_fmac_f64_e32 v[116:117], v[104:105], v[238:239]
	v_add_f64 v[114:115], v[114:115], v[116:117]
	s_waitcnt vmcnt(5)
	v_mul_f64 v[116:117], v[110:111], v[232:233]
	s_waitcnt vmcnt(4)
	v_fmac_f64_e32 v[116:117], v[112:113], v[234:235]
	v_add_f64 v[244:245], v[114:115], v[116:117]
	ds_read_b128 v[114:117], v1 offset:1264
	s_waitcnt vmcnt(2) lgkmcnt(0)
	v_mul_f64 v[250:251], v[114:115], v[240:241]
	s_waitcnt vmcnt(0)
	v_fmac_f64_e32 v[250:251], v[116:117], v[242:243]
	v_add_f64 v[244:245], v[244:245], v[250:251]
	v_add_f64 v[250:251], v[190:191], v[252:253]
	buffer_load_dword v254, off, s[0:3], 0 offset:96
	buffer_load_dword v255, off, s[0:3], 0 offset:100
	;; [unrolled: 1-line block ×4, first 2 shown]
	v_add_f64 v[190:191], v[250:251], v[246:247]
	v_add_f64 v[190:191], v[190:191], v[248:249]
	;; [unrolled: 1-line block ×8, first 2 shown]
	v_mul_f64 v[4:5], v[28:29], v[148:149]
	v_fma_f64 v[4:5], v[26:27], v[164:165], -v[4:5]
	v_add_f64 v[2:3], v[2:3], v[4:5]
	v_mul_f64 v[4:5], v[32:33], v[142:143]
	v_fma_f64 v[4:5], v[30:31], v[144:145], -v[4:5]
	v_add_f64 v[2:3], v[2:3], v[4:5]
	;; [unrolled: 3-line block ×23, first 2 shown]
	s_waitcnt vmcnt(2)
	v_add_f64 v[2:3], v[254:255], -v[2:3]
	s_waitcnt vmcnt(0)
	v_add_f64 v[4:5], v[252:253], -v[244:245]
	buffer_store_dword v3, off, s[0:3], 0 offset:100
	buffer_store_dword v2, off, s[0:3], 0 offset:96
	;; [unrolled: 1-line block ×4, first 2 shown]
	s_and_saveexec_b64 s[4:5], vcc
	s_cbranch_execz .LBB39_245
; %bb.244:
	v_accvgpr_read_b32 v1, a115
	buffer_load_dword v2, v1, s[0:3], 0 offen
	buffer_load_dword v3, v1, s[0:3], 0 offen offset:4
	buffer_load_dword v4, v1, s[0:3], 0 offen offset:8
	;; [unrolled: 1-line block ×3, first 2 shown]
	v_mov_b32_e32 v1, 0
	v_accvgpr_read_b32 v6, a119
	buffer_store_dword v1, off, s[0:3], 0 offset:80
	buffer_store_dword v1, off, s[0:3], 0 offset:84
	;; [unrolled: 1-line block ×4, first 2 shown]
	s_waitcnt vmcnt(4)
	ds_write_b128 v6, v[2:5]
.LBB39_245:
	s_or_b64 exec, exec, s[4:5]
	s_waitcnt lgkmcnt(0)
	; wave barrier
	s_waitcnt lgkmcnt(0)
	buffer_load_dword v82, off, s[0:3], 0 offset:96
	buffer_load_dword v83, off, s[0:3], 0 offset:100
	;; [unrolled: 1-line block ×54, first 2 shown]
	v_mov_b32_e32 v1, 0
	ds_read_b128 v[90:93], v1 offset:720
	ds_read_b128 v[106:109], v1 offset:736
	;; [unrolled: 1-line block ×9, first 2 shown]
	buffer_load_dword v151, off, s[0:3], 0 offset:324
	buffer_load_dword v150, off, s[0:3], 0 offset:320
	;; [unrolled: 1-line block ×62, first 2 shown]
	v_cmp_lt_u32_e32 vcc, 3, v0
	s_waitcnt vmcnt(62) lgkmcnt(8)
	v_mul_f64 v[14:15], v[90:91], v[84:85]
	v_fmac_f64_e32 v[14:15], v[92:93], v[82:83]
	v_add_f64 v[14:15], v[14:15], 0
	v_mul_f64 v[84:85], v[92:93], v[84:85]
	s_waitcnt lgkmcnt(7)
	v_mul_f64 v[16:17], v[106:107], v[88:89]
	v_fmac_f64_e32 v[16:17], v[108:109], v[86:87]
	s_waitcnt lgkmcnt(6)
	v_mul_f64 v[18:19], v[114:115], v[94:95]
	v_add_f64 v[14:15], v[14:15], v[16:17]
	s_waitcnt lgkmcnt(4)
	v_mul_f64 v[22:23], v[246:247], v[102:103]
	v_fma_f64 v[190:191], v[90:91], v[82:83], -v[84:85]
	v_fmac_f64_e32 v[22:23], v[248:249], v[104:105]
	v_mul_f64 v[88:89], v[108:109], v[88:89]
	v_mul_f64 v[20:21], v[242:243], v[98:99]
	v_fma_f64 v[192:193], v[106:107], v[86:87], -v[88:89]
	s_waitcnt lgkmcnt(2)
	v_mul_f64 v[26:27], v[10:11], v[118:119]
	v_mul_f64 v[94:95], v[116:117], v[94:95]
	v_fmac_f64_e32 v[26:27], v[12:13], v[122:123]
	v_mul_f64 v[98:99], v[244:245], v[98:99]
	v_mul_f64 v[24:25], v[250:251], v[110:111]
	;; [unrolled: 1-line block ×3, first 2 shown]
	s_waitcnt lgkmcnt(1)
	v_mul_f64 v[28:29], v[6:7], v[124:125]
	v_mul_f64 v[110:111], v[252:253], v[110:111]
	v_fmac_f64_e32 v[18:19], v[116:117], v[96:97]
	v_add_f64 v[14:15], v[14:15], v[18:19]
	v_fmac_f64_e32 v[20:21], v[244:245], v[100:101]
	v_add_f64 v[14:15], v[14:15], v[20:21]
	v_fmac_f64_e32 v[24:25], v[252:253], v[112:113]
	v_add_f64 v[14:15], v[14:15], v[22:23]
	v_add_f64 v[14:15], v[14:15], v[24:25]
	v_fmac_f64_e32 v[28:29], v[8:9], v[128:129]
	v_add_f64 v[14:15], v[14:15], v[26:27]
	v_add_f64 v[18:19], v[14:15], v[28:29]
	ds_read_b128 v[14:17], v1 offset:864
	s_waitcnt lgkmcnt(1)
	v_mul_f64 v[20:21], v[2:3], v[126:127]
	v_fmac_f64_e32 v[20:21], v[4:5], v[130:131]
	v_add_f64 v[22:23], v[18:19], v[20:21]
	ds_read_b128 v[18:21], v1 offset:880
	s_waitcnt lgkmcnt(1)
	v_mul_f64 v[24:25], v[14:15], v[136:137]
	v_fmac_f64_e32 v[24:25], v[16:17], v[138:139]
	;; [unrolled: 5-line block ×5, first 2 shown]
	v_add_f64 v[38:39], v[34:35], v[36:37]
	ds_read_b128 v[34:37], v1 offset:944
	s_waitcnt vmcnt(58) lgkmcnt(1)
	v_mul_f64 v[40:41], v[30:31], v[164:165]
	s_waitcnt vmcnt(56)
	v_fmac_f64_e32 v[40:41], v[32:33], v[168:169]
	v_add_f64 v[42:43], v[38:39], v[40:41]
	ds_read_b128 v[38:41], v1 offset:960
	s_waitcnt lgkmcnt(1)
	v_mul_f64 v[44:45], v[34:35], v[144:145]
	v_fmac_f64_e32 v[44:45], v[36:37], v[150:151]
	v_add_f64 v[46:47], v[42:43], v[44:45]
	ds_read_b128 v[42:45], v1 offset:976
	s_waitcnt vmcnt(50) lgkmcnt(1)
	v_mul_f64 v[48:49], v[38:39], v[172:173]
	s_waitcnt vmcnt(48)
	v_fmac_f64_e32 v[48:49], v[40:41], v[176:177]
	v_add_f64 v[50:51], v[46:47], v[48:49]
	ds_read_b128 v[46:49], v1 offset:992
	buffer_load_dword v223, off, s[0:3], 0 offset:572
	buffer_load_dword v222, off, s[0:3], 0 offset:568
	;; [unrolled: 1-line block ×8, first 2 shown]
	s_waitcnt lgkmcnt(1)
	v_mul_f64 v[52:53], v[42:43], v[152:153]
	v_fmac_f64_e32 v[52:53], v[44:45], v[154:155]
	v_add_f64 v[54:55], v[50:51], v[52:53]
	ds_read_b128 v[50:53], v1 offset:1008
	s_waitcnt vmcnt(50) lgkmcnt(1)
	v_mul_f64 v[56:57], v[46:47], v[180:181]
	s_waitcnt vmcnt(48)
	v_fmac_f64_e32 v[56:57], v[48:49], v[184:185]
	buffer_load_dword v227, off, s[0:3], 0 offset:620
	buffer_load_dword v233, off, s[0:3], 0 offset:604
	;; [unrolled: 1-line block ×12, first 2 shown]
	v_add_f64 v[58:59], v[54:55], v[56:57]
	ds_read_b128 v[54:57], v1 offset:1024
	s_waitcnt lgkmcnt(1)
	v_mul_f64 v[60:61], v[50:51], v[156:157]
	v_fmac_f64_e32 v[60:61], v[52:53], v[158:159]
	v_add_f64 v[62:63], v[58:59], v[60:61]
	ds_read_b128 v[58:61], v1 offset:1040
	s_waitcnt vmcnt(54) lgkmcnt(1)
	v_mul_f64 v[64:65], v[54:55], v[198:199]
	s_waitcnt vmcnt(52)
	v_fmac_f64_e32 v[64:65], v[56:57], v[202:203]
	v_add_f64 v[66:67], v[62:63], v[64:65]
	ds_read_b128 v[62:65], v1 offset:1056
	s_waitcnt lgkmcnt(1)
	v_mul_f64 v[68:69], v[58:59], v[160:161]
	v_fmac_f64_e32 v[68:69], v[60:61], v[162:163]
	v_add_f64 v[70:71], v[66:67], v[68:69]
	ds_read_b128 v[66:69], v1 offset:1072
	s_waitcnt vmcnt(46) lgkmcnt(1)
	v_mul_f64 v[72:73], v[62:63], v[206:207]
	s_waitcnt vmcnt(44)
	v_fmac_f64_e32 v[72:73], v[64:65], v[208:209]
	v_add_f64 v[78:79], v[70:71], v[72:73]
	ds_read_b128 v[70:73], v1 offset:1088
	ds_read_b128 v[74:77], v1 offset:1104
	s_waitcnt lgkmcnt(2)
	v_mul_f64 v[80:81], v[66:67], v[166:167]
	v_fmac_f64_e32 v[80:81], v[68:69], v[170:171]
	v_add_f64 v[78:79], v[78:79], v[80:81]
	s_waitcnt vmcnt(38) lgkmcnt(1)
	v_mul_f64 v[80:81], v[70:71], v[210:211]
	s_waitcnt vmcnt(36)
	v_fmac_f64_e32 v[80:81], v[72:73], v[212:213]
	v_add_f64 v[78:79], v[78:79], v[80:81]
	s_waitcnt lgkmcnt(0)
	v_mul_f64 v[80:81], v[74:75], v[174:175]
	v_fmac_f64_e32 v[80:81], v[76:77], v[178:179]
	v_add_f64 v[188:189], v[78:79], v[80:81]
	ds_read_b128 v[78:81], v1 offset:1120
	ds_read_b128 v[82:85], v1 offset:1136
	;; [unrolled: 1-line block ×3, first 2 shown]
	v_fma_f64 v[254:255], v[114:115], v[96:97], -v[94:95]
	ds_read_b128 v[94:97], v1 offset:1184
	s_waitcnt vmcnt(30) lgkmcnt(3)
	v_mul_f64 v[90:91], v[78:79], v[214:215]
	s_waitcnt vmcnt(28)
	v_fmac_f64_e32 v[90:91], v[80:81], v[216:217]
	s_waitcnt lgkmcnt(2)
	v_mul_f64 v[92:93], v[82:83], v[182:183]
	v_add_f64 v[90:91], v[188:189], v[90:91]
	v_fmac_f64_e32 v[92:93], v[84:85], v[186:187]
	v_add_f64 v[90:91], v[90:91], v[92:93]
	s_waitcnt vmcnt(22) lgkmcnt(1)
	v_mul_f64 v[92:93], v[86:87], v[218:219]
	s_waitcnt vmcnt(20)
	v_fmac_f64_e32 v[92:93], v[88:89], v[220:221]
	v_add_f64 v[106:107], v[90:91], v[92:93]
	ds_read_b128 v[90:93], v1 offset:1168
	v_fma_f64 v[194:195], v[242:243], v[100:101], -v[98:99]
	ds_read_b128 v[98:101], v1 offset:1200
	buffer_load_dword v188, off, s[0:3], 0 offset:648
	v_fma_f64 v[246:247], v[246:247], v[104:105], -v[102:103]
	s_waitcnt lgkmcnt(1)
	v_mul_f64 v[108:109], v[90:91], v[200:201]
	v_fmac_f64_e32 v[108:109], v[92:93], v[204:205]
	v_add_f64 v[106:107], v[106:107], v[108:109]
	ds_read_b128 v[102:105], v1 offset:1216
	v_fma_f64 v[250:251], v[250:251], v[112:113], -v[110:111]
	ds_read_b128 v[110:113], v1 offset:1248
	v_add_f64 v[190:191], v[190:191], 0
	v_add_f64 v[190:191], v[190:191], v[192:193]
	;; [unrolled: 1-line block ×5, first 2 shown]
	v_mul_f64 v[12:13], v[12:13], v[118:119]
	v_add_f64 v[190:191], v[252:253], v[250:251]
	v_fma_f64 v[10:11], v[10:11], v[122:123], -v[12:13]
	v_mul_f64 v[8:9], v[8:9], v[124:125]
	v_add_f64 v[10:11], v[190:191], v[10:11]
	v_fma_f64 v[6:7], v[6:7], v[128:129], -v[8:9]
	;; [unrolled: 3-line block ×3, first 2 shown]
	v_mul_f64 v[4:5], v[16:17], v[136:137]
	v_add_f64 v[2:3], v[6:7], v[2:3]
	s_waitcnt vmcnt(19)
	v_mul_f64 v[108:109], v[94:95], v[222:223]
	v_fma_f64 v[4:5], v[14:15], v[138:139], -v[4:5]
	s_waitcnt vmcnt(17)
	v_fmac_f64_e32 v[108:109], v[96:97], v[224:225]
	v_add_f64 v[106:107], v[106:107], v[108:109]
	s_waitcnt vmcnt(15) lgkmcnt(2)
	v_mul_f64 v[108:109], v[98:99], v[228:229]
	s_waitcnt vmcnt(13)
	v_fmac_f64_e32 v[108:109], v[100:101], v[230:231]
	v_add_f64 v[114:115], v[106:107], v[108:109]
	ds_read_b128 v[106:109], v1 offset:1232
	buffer_load_dword v244, off, s[0:3], 0 offset:640
	buffer_load_dword v189, off, s[0:3], 0 offset:652
	buffer_load_dword v245, off, s[0:3], 0 offset:644
	s_waitcnt vmcnt(13) lgkmcnt(2)
	v_mul_f64 v[116:117], v[102:103], v[232:233]
	s_waitcnt vmcnt(11)
	v_fmac_f64_e32 v[116:117], v[104:105], v[238:239]
	v_add_f64 v[114:115], v[114:115], v[116:117]
	s_waitcnt vmcnt(10) lgkmcnt(0)
	v_mul_f64 v[116:117], v[106:107], v[226:227]
	s_waitcnt vmcnt(8)
	v_fmac_f64_e32 v[116:117], v[108:109], v[236:237]
	v_add_f64 v[114:115], v[114:115], v[116:117]
	s_waitcnt vmcnt(6)
	v_mul_f64 v[116:117], v[110:111], v[234:235]
	s_waitcnt vmcnt(4)
	v_fmac_f64_e32 v[116:117], v[112:113], v[240:241]
	v_add_f64 v[242:243], v[114:115], v[116:117]
	ds_read_b128 v[114:117], v1 offset:1264
	v_add_f64 v[2:3], v[2:3], v[4:5]
	v_mul_f64 v[4:5], v[20:21], v[132:133]
	v_fma_f64 v[4:5], v[18:19], v[134:135], -v[4:5]
	v_add_f64 v[2:3], v[2:3], v[4:5]
	v_mul_f64 v[4:5], v[24:25], v[146:147]
	v_fma_f64 v[4:5], v[22:23], v[148:149], -v[4:5]
	;; [unrolled: 3-line block ×22, first 2 shown]
	v_add_f64 v[2:3], v[2:3], v[4:5]
	v_mul_f64 v[4:5], v[108:109], v[226:227]
	s_waitcnt vmcnt(1) lgkmcnt(0)
	v_mul_f64 v[248:249], v[114:115], v[188:189]
	s_waitcnt vmcnt(0)
	v_fmac_f64_e32 v[248:249], v[116:117], v[244:245]
	v_add_f64 v[242:243], v[242:243], v[248:249]
	buffer_load_dword v248, off, s[0:3], 0 offset:80
	buffer_load_dword v249, off, s[0:3], 0 offset:84
	buffer_load_dword v246, off, s[0:3], 0 offset:88
	buffer_load_dword v247, off, s[0:3], 0 offset:92
	v_fma_f64 v[4:5], v[106:107], v[236:237], -v[4:5]
	v_add_f64 v[2:3], v[2:3], v[4:5]
	v_mul_f64 v[4:5], v[112:113], v[234:235]
	v_fma_f64 v[4:5], v[110:111], v[240:241], -v[4:5]
	v_add_f64 v[2:3], v[2:3], v[4:5]
	v_mul_f64 v[4:5], v[116:117], v[188:189]
	v_fma_f64 v[4:5], v[114:115], v[244:245], -v[4:5]
	v_add_f64 v[2:3], v[2:3], v[4:5]
	s_waitcnt vmcnt(2)
	v_add_f64 v[2:3], v[248:249], -v[2:3]
	s_waitcnt vmcnt(0)
	v_add_f64 v[4:5], v[246:247], -v[242:243]
	buffer_store_dword v3, off, s[0:3], 0 offset:84
	buffer_store_dword v2, off, s[0:3], 0 offset:80
	;; [unrolled: 1-line block ×4, first 2 shown]
	s_and_saveexec_b64 s[4:5], vcc
	s_cbranch_execz .LBB39_247
; %bb.246:
	v_accvgpr_read_b32 v5, a116
	buffer_load_dword v2, v5, s[0:3], 0 offen
	buffer_load_dword v3, v5, s[0:3], 0 offen offset:4
	buffer_load_dword v4, v5, s[0:3], 0 offen offset:8
	s_nop 0
	buffer_load_dword v5, v5, s[0:3], 0 offen offset:12
	v_accvgpr_read_b32 v6, a119
	buffer_store_dword v1, off, s[0:3], 0 offset:64
	buffer_store_dword v1, off, s[0:3], 0 offset:68
	;; [unrolled: 1-line block ×4, first 2 shown]
	s_waitcnt vmcnt(4)
	ds_write_b128 v6, v[2:5]
.LBB39_247:
	s_or_b64 exec, exec, s[4:5]
	s_waitcnt lgkmcnt(0)
	; wave barrier
	s_waitcnt lgkmcnt(0)
	buffer_load_dword v84, off, s[0:3], 0 offset:80
	buffer_load_dword v85, off, s[0:3], 0 offset:84
	;; [unrolled: 1-line block ×34, first 2 shown]
	ds_read_b128 v[74:77], v1 offset:704
	ds_read_b128 v[78:81], v1 offset:720
	;; [unrolled: 1-line block ×8, first 2 shown]
	buffer_load_dword v127, off, s[0:3], 0 offset:196
	buffer_load_dword v126, off, s[0:3], 0 offset:192
	ds_read_b128 v[6:9], v1 offset:832
	buffer_load_dword v129, off, s[0:3], 0 offset:252
	buffer_load_dword v128, off, s[0:3], 0 offset:248
	;; [unrolled: 1-line block ×80, first 2 shown]
	v_cmp_lt_u32_e32 vcc, 2, v0
	s_waitcnt vmcnt(62) lgkmcnt(8)
	v_mul_f64 v[10:11], v[74:75], v[106:107]
	v_fmac_f64_e32 v[10:11], v[76:77], v[84:85]
	v_add_f64 v[10:11], v[10:11], 0
	v_mul_f64 v[76:77], v[76:77], v[106:107]
	s_waitcnt lgkmcnt(7)
	v_mul_f64 v[12:13], v[78:79], v[96:97]
	v_fmac_f64_e32 v[12:13], v[80:81], v[82:83]
	s_waitcnt lgkmcnt(6)
	v_mul_f64 v[14:15], v[86:87], v[94:95]
	v_add_f64 v[10:11], v[10:11], v[12:13]
	s_waitcnt lgkmcnt(4)
	v_mul_f64 v[18:19], v[98:99], v[108:109]
	v_fma_f64 v[192:193], v[74:75], v[84:85], -v[76:77]
	v_fmac_f64_e32 v[18:19], v[100:101], v[114:115]
	v_mul_f64 v[80:81], v[80:81], v[96:97]
	v_mul_f64 v[16:17], v[90:91], v[116:117]
	v_fma_f64 v[194:195], v[78:79], v[82:83], -v[80:81]
	s_waitcnt lgkmcnt(2)
	v_mul_f64 v[22:23], v[110:111], v[188:189]
	v_mul_f64 v[100:101], v[100:101], v[108:109]
	v_fma_f64 v[254:255], v[98:99], v[114:115], -v[100:101]
	v_mul_f64 v[20:21], v[102:103], v[244:245]
	v_add_f64 v[192:193], v[192:193], 0
	s_waitcnt lgkmcnt(1)
	v_mul_f64 v[24:25], v[2:3], v[118:119]
	v_add_f64 v[192:193], v[192:193], v[194:195]
	v_fmac_f64_e32 v[14:15], v[88:89], v[250:251]
	v_add_f64 v[10:11], v[10:11], v[14:15]
	v_fmac_f64_e32 v[16:17], v[92:93], v[248:249]
	;; [unrolled: 2-line block ×4, first 2 shown]
	v_add_f64 v[10:11], v[10:11], v[20:21]
	v_add_f64 v[10:11], v[10:11], v[22:23]
	s_waitcnt lgkmcnt(0)
	v_mul_f64 v[16:17], v[6:7], v[122:123]
	v_fmac_f64_e32 v[16:17], v[8:9], v[124:125]
	v_fmac_f64_e32 v[24:25], v[4:5], v[126:127]
	v_add_f64 v[14:15], v[10:11], v[24:25]
	ds_read_b128 v[10:13], v1 offset:848
	v_add_f64 v[18:19], v[14:15], v[16:17]
	ds_read_b128 v[14:17], v1 offset:864
	v_mul_f64 v[88:89], v[88:89], v[94:95]
	v_mul_f64 v[92:93], v[92:93], v[116:117]
	s_waitcnt lgkmcnt(1)
	v_mul_f64 v[20:21], v[10:11], v[132:133]
	v_fmac_f64_e32 v[20:21], v[12:13], v[134:135]
	s_waitcnt lgkmcnt(0)
	v_mul_f64 v[24:25], v[14:15], v[128:129]
	v_add_f64 v[22:23], v[18:19], v[20:21]
	ds_read_b128 v[18:21], v1 offset:880
	v_fmac_f64_e32 v[24:25], v[16:17], v[130:131]
	v_add_f64 v[26:27], v[22:23], v[24:25]
	ds_read_b128 v[22:25], v1 offset:896
	v_fma_f64 v[248:249], v[90:91], v[248:249], -v[92:93]
	s_waitcnt lgkmcnt(1)
	v_mul_f64 v[28:29], v[18:19], v[144:145]
	v_fmac_f64_e32 v[28:29], v[20:21], v[146:147]
	v_add_f64 v[30:31], v[26:27], v[28:29]
	s_waitcnt lgkmcnt(0)
	v_mul_f64 v[32:33], v[22:23], v[136:137]
	ds_read_b128 v[26:29], v1 offset:912
	v_fmac_f64_e32 v[32:33], v[24:25], v[138:139]
	v_add_f64 v[34:35], v[30:31], v[32:33]
	ds_read_b128 v[30:33], v1 offset:928
	v_mul_f64 v[104:105], v[104:105], v[244:245]
	s_waitcnt vmcnt(58) lgkmcnt(1)
	v_mul_f64 v[36:37], v[26:27], v[160:161]
	s_waitcnt vmcnt(56)
	v_fmac_f64_e32 v[36:37], v[28:29], v[164:165]
	v_add_f64 v[38:39], v[34:35], v[36:37]
	s_waitcnt lgkmcnt(0)
	v_mul_f64 v[40:41], v[30:31], v[140:141]
	ds_read_b128 v[34:37], v1 offset:944
	v_fmac_f64_e32 v[40:41], v[32:33], v[142:143]
	v_add_f64 v[42:43], v[38:39], v[40:41]
	ds_read_b128 v[38:41], v1 offset:960
	v_mul_f64 v[112:113], v[112:113], v[188:189]
	s_waitcnt vmcnt(50) lgkmcnt(1)
	v_mul_f64 v[44:45], v[34:35], v[168:169]
	s_waitcnt vmcnt(48)
	v_fmac_f64_e32 v[44:45], v[36:37], v[172:173]
	v_add_f64 v[46:47], v[42:43], v[44:45]
	s_waitcnt lgkmcnt(0)
	v_mul_f64 v[48:49], v[38:39], v[148:149]
	v_fmac_f64_e32 v[48:49], v[40:41], v[150:151]
	ds_read_b128 v[42:45], v1 offset:976
	v_add_f64 v[50:51], v[46:47], v[48:49]
	ds_read_b128 v[46:49], v1 offset:992
	buffer_load_dword v219, off, s[0:3], 0 offset:572
	buffer_load_dword v221, off, s[0:3], 0 offset:556
	;; [unrolled: 1-line block ×12, first 2 shown]
	v_fma_f64 v[252:253], v[110:111], v[242:243], -v[112:113]
	s_waitcnt vmcnt(54) lgkmcnt(1)
	v_mul_f64 v[52:53], v[42:43], v[176:177]
	s_waitcnt vmcnt(52)
	v_fmac_f64_e32 v[52:53], v[44:45], v[180:181]
	v_add_f64 v[54:55], v[50:51], v[52:53]
	ds_read_b128 v[50:53], v1 offset:1008
	s_waitcnt lgkmcnt(1)
	v_mul_f64 v[56:57], v[46:47], v[152:153]
	v_fmac_f64_e32 v[56:57], v[48:49], v[154:155]
	buffer_load_dword v233, off, s[0:3], 0 offset:604
	buffer_load_dword v232, off, s[0:3], 0 offset:600
	;; [unrolled: 1-line block ×12, first 2 shown]
	v_add_f64 v[58:59], v[54:55], v[56:57]
	ds_read_b128 v[54:57], v1 offset:1024
	s_waitcnt vmcnt(58) lgkmcnt(1)
	v_mul_f64 v[60:61], v[50:51], v[184:185]
	s_waitcnt vmcnt(56)
	v_fmac_f64_e32 v[60:61], v[52:53], v[198:199]
	v_add_f64 v[62:63], v[58:59], v[60:61]
	ds_read_b128 v[58:61], v1 offset:1040
	s_waitcnt lgkmcnt(1)
	v_mul_f64 v[64:65], v[54:55], v[156:157]
	v_fmac_f64_e32 v[64:65], v[56:57], v[158:159]
	v_add_f64 v[70:71], v[62:63], v[64:65]
	ds_read_b128 v[62:65], v1 offset:1056
	ds_read_b128 v[66:69], v1 offset:1072
	s_waitcnt vmcnt(50) lgkmcnt(2)
	v_mul_f64 v[72:73], v[58:59], v[202:203]
	s_waitcnt vmcnt(48)
	v_fmac_f64_e32 v[72:73], v[60:61], v[204:205]
	v_add_f64 v[70:71], v[70:71], v[72:73]
	s_waitcnt lgkmcnt(1)
	v_mul_f64 v[72:73], v[62:63], v[162:163]
	v_fmac_f64_e32 v[72:73], v[64:65], v[166:167]
	v_add_f64 v[70:71], v[70:71], v[72:73]
	s_waitcnt vmcnt(42) lgkmcnt(0)
	v_mul_f64 v[72:73], v[66:67], v[206:207]
	s_waitcnt vmcnt(40)
	v_fmac_f64_e32 v[72:73], v[68:69], v[208:209]
	v_add_f64 v[190:191], v[70:71], v[72:73]
	ds_read_b128 v[70:73], v1 offset:1088
	ds_read_b128 v[74:77], v1 offset:1104
	;; [unrolled: 1-line block ×5, first 2 shown]
	s_waitcnt lgkmcnt(4)
	v_mul_f64 v[84:85], v[70:71], v[170:171]
	v_fmac_f64_e32 v[84:85], v[72:73], v[174:175]
	v_add_f64 v[82:83], v[190:191], v[84:85]
	s_waitcnt vmcnt(34) lgkmcnt(3)
	v_mul_f64 v[84:85], v[74:75], v[210:211]
	s_waitcnt vmcnt(32)
	v_fmac_f64_e32 v[84:85], v[76:77], v[212:213]
	v_add_f64 v[82:83], v[82:83], v[84:85]
	v_fma_f64 v[190:191], v[86:87], v[250:251], -v[88:89]
	ds_read_b128 v[86:89], v1 offset:1152
	s_waitcnt lgkmcnt(3)
	v_mul_f64 v[84:85], v[78:79], v[178:179]
	v_fmac_f64_e32 v[84:85], v[80:81], v[182:183]
	v_add_f64 v[96:97], v[82:83], v[84:85]
	ds_read_b128 v[82:85], v1 offset:1136
	v_fma_f64 v[250:251], v[102:103], v[246:247], -v[104:105]
	ds_read_b128 v[110:113], v1 offset:1248
	v_add_f64 v[190:191], v[192:193], v[190:191]
	v_add_f64 v[190:191], v[190:191], v[248:249]
	s_waitcnt vmcnt(26) lgkmcnt(1)
	v_mul_f64 v[94:95], v[82:83], v[214:215]
	s_waitcnt vmcnt(24)
	v_fmac_f64_e32 v[94:95], v[84:85], v[216:217]
	v_add_f64 v[94:95], v[96:97], v[94:95]
	v_mul_f64 v[96:97], v[86:87], v[186:187]
	v_fmac_f64_e32 v[96:97], v[88:89], v[200:201]
	v_add_f64 v[106:107], v[94:95], v[96:97]
	ds_read_b128 v[94:97], v1 offset:1184
	v_add_f64 v[254:255], v[190:191], v[254:255]
	v_add_f64 v[190:191], v[254:255], v[250:251]
	v_mul_f64 v[4:5], v[4:5], v[118:119]
	v_add_f64 v[190:191], v[190:191], v[252:253]
	ds_read_b128 v[102:105], v1 offset:1232
	v_fma_f64 v[2:3], v[2:3], v[126:127], -v[4:5]
	v_mul_f64 v[4:5], v[8:9], v[122:123]
	v_add_f64 v[2:3], v[190:191], v[2:3]
	v_fma_f64 v[4:5], v[6:7], v[124:125], -v[4:5]
	v_add_f64 v[2:3], v[2:3], v[4:5]
	v_mul_f64 v[4:5], v[12:13], v[132:133]
	v_fma_f64 v[4:5], v[10:11], v[134:135], -v[4:5]
	v_add_f64 v[2:3], v[2:3], v[4:5]
	v_mul_f64 v[4:5], v[16:17], v[128:129]
	s_waitcnt vmcnt(21)
	v_mul_f64 v[108:109], v[90:91], v[220:221]
	v_fma_f64 v[4:5], v[14:15], v[130:131], -v[4:5]
	s_waitcnt vmcnt(19)
	v_fmac_f64_e32 v[108:109], v[92:93], v[226:227]
	v_add_f64 v[106:107], v[106:107], v[108:109]
	s_waitcnt vmcnt(18) lgkmcnt(1)
	v_mul_f64 v[108:109], v[94:95], v[218:219]
	s_waitcnt vmcnt(16)
	v_fmac_f64_e32 v[108:109], v[96:97], v[224:225]
	v_add_f64 v[114:115], v[106:107], v[108:109]
	ds_read_b128 v[106:109], v1 offset:1216
	buffer_load_dword v243, off, s[0:3], 0 offset:652
	buffer_load_dword v242, off, s[0:3], 0 offset:648
	;; [unrolled: 1-line block ×4, first 2 shown]
	s_waitcnt vmcnt(18)
	v_mul_f64 v[116:117], v[98:99], v[222:223]
	s_waitcnt vmcnt(16)
	v_fmac_f64_e32 v[116:117], v[100:101], v[228:229]
	v_add_f64 v[114:115], v[114:115], v[116:117]
	s_waitcnt vmcnt(14) lgkmcnt(0)
	v_mul_f64 v[116:117], v[106:107], v[232:233]
	s_waitcnt vmcnt(12)
	v_fmac_f64_e32 v[116:117], v[108:109], v[234:235]
	v_add_f64 v[114:115], v[114:115], v[116:117]
	s_waitcnt vmcnt(9)
	v_mul_f64 v[116:117], v[102:103], v[238:239]
	s_waitcnt vmcnt(7)
	v_fmac_f64_e32 v[116:117], v[104:105], v[240:241]
	v_add_f64 v[114:115], v[114:115], v[116:117]
	s_waitcnt vmcnt(5)
	v_mul_f64 v[116:117], v[110:111], v[230:231]
	s_waitcnt vmcnt(4)
	v_fmac_f64_e32 v[116:117], v[112:113], v[236:237]
	v_add_f64 v[188:189], v[114:115], v[116:117]
	ds_read_b128 v[114:117], v1 offset:1264
	v_add_f64 v[2:3], v[2:3], v[4:5]
	v_mul_f64 v[4:5], v[20:21], v[144:145]
	v_fma_f64 v[4:5], v[18:19], v[146:147], -v[4:5]
	v_add_f64 v[2:3], v[2:3], v[4:5]
	v_mul_f64 v[4:5], v[24:25], v[136:137]
	v_fma_f64 v[4:5], v[22:23], v[138:139], -v[4:5]
	v_add_f64 v[2:3], v[2:3], v[4:5]
	v_mul_f64 v[4:5], v[28:29], v[160:161]
	v_fma_f64 v[4:5], v[26:27], v[164:165], -v[4:5]
	v_add_f64 v[2:3], v[2:3], v[4:5]
	v_mul_f64 v[4:5], v[32:33], v[140:141]
	v_fma_f64 v[4:5], v[30:31], v[142:143], -v[4:5]
	v_add_f64 v[2:3], v[2:3], v[4:5]
	v_mul_f64 v[4:5], v[36:37], v[168:169]
	v_fma_f64 v[4:5], v[34:35], v[172:173], -v[4:5]
	v_add_f64 v[2:3], v[2:3], v[4:5]
	v_mul_f64 v[4:5], v[40:41], v[148:149]
	v_fma_f64 v[4:5], v[38:39], v[150:151], -v[4:5]
	v_add_f64 v[2:3], v[2:3], v[4:5]
	v_mul_f64 v[4:5], v[44:45], v[176:177]
	v_fma_f64 v[4:5], v[42:43], v[180:181], -v[4:5]
	v_add_f64 v[2:3], v[2:3], v[4:5]
	v_mul_f64 v[4:5], v[48:49], v[152:153]
	v_fma_f64 v[4:5], v[46:47], v[154:155], -v[4:5]
	v_add_f64 v[2:3], v[2:3], v[4:5]
	v_mul_f64 v[4:5], v[52:53], v[184:185]
	v_fma_f64 v[4:5], v[50:51], v[198:199], -v[4:5]
	v_add_f64 v[2:3], v[2:3], v[4:5]
	v_mul_f64 v[4:5], v[56:57], v[156:157]
	v_fma_f64 v[4:5], v[54:55], v[158:159], -v[4:5]
	v_add_f64 v[2:3], v[2:3], v[4:5]
	v_mul_f64 v[4:5], v[60:61], v[202:203]
	v_fma_f64 v[4:5], v[58:59], v[204:205], -v[4:5]
	v_add_f64 v[2:3], v[2:3], v[4:5]
	v_mul_f64 v[4:5], v[64:65], v[162:163]
	v_fma_f64 v[4:5], v[62:63], v[166:167], -v[4:5]
	v_add_f64 v[2:3], v[2:3], v[4:5]
	v_mul_f64 v[4:5], v[68:69], v[206:207]
	v_fma_f64 v[4:5], v[66:67], v[208:209], -v[4:5]
	v_add_f64 v[2:3], v[2:3], v[4:5]
	v_mul_f64 v[4:5], v[72:73], v[170:171]
	v_fma_f64 v[4:5], v[70:71], v[174:175], -v[4:5]
	v_add_f64 v[2:3], v[2:3], v[4:5]
	v_mul_f64 v[4:5], v[76:77], v[210:211]
	v_fma_f64 v[4:5], v[74:75], v[212:213], -v[4:5]
	v_add_f64 v[2:3], v[2:3], v[4:5]
	v_mul_f64 v[4:5], v[80:81], v[178:179]
	v_fma_f64 v[4:5], v[78:79], v[182:183], -v[4:5]
	v_add_f64 v[2:3], v[2:3], v[4:5]
	v_mul_f64 v[4:5], v[84:85], v[214:215]
	v_fma_f64 v[4:5], v[82:83], v[216:217], -v[4:5]
	v_add_f64 v[2:3], v[2:3], v[4:5]
	v_mul_f64 v[4:5], v[88:89], v[186:187]
	v_fma_f64 v[4:5], v[86:87], v[200:201], -v[4:5]
	v_add_f64 v[2:3], v[2:3], v[4:5]
	v_mul_f64 v[4:5], v[92:93], v[220:221]
	v_fma_f64 v[4:5], v[90:91], v[226:227], -v[4:5]
	v_add_f64 v[2:3], v[2:3], v[4:5]
	v_mul_f64 v[4:5], v[96:97], v[218:219]
	v_fma_f64 v[4:5], v[94:95], v[224:225], -v[4:5]
	v_add_f64 v[2:3], v[2:3], v[4:5]
	v_mul_f64 v[4:5], v[100:101], v[222:223]
	v_fma_f64 v[4:5], v[98:99], v[228:229], -v[4:5]
	v_add_f64 v[2:3], v[2:3], v[4:5]
	s_waitcnt vmcnt(2) lgkmcnt(0)
	v_mul_f64 v[246:247], v[114:115], v[242:243]
	v_mul_f64 v[4:5], v[108:109], v[232:233]
	s_waitcnt vmcnt(0)
	v_fmac_f64_e32 v[246:247], v[116:117], v[244:245]
	v_add_f64 v[188:189], v[188:189], v[246:247]
	buffer_load_dword v248, off, s[0:3], 0 offset:64
	buffer_load_dword v249, off, s[0:3], 0 offset:68
	;; [unrolled: 1-line block ×4, first 2 shown]
	v_fma_f64 v[4:5], v[106:107], v[234:235], -v[4:5]
	v_add_f64 v[2:3], v[2:3], v[4:5]
	v_mul_f64 v[4:5], v[104:105], v[238:239]
	v_fma_f64 v[4:5], v[102:103], v[240:241], -v[4:5]
	v_add_f64 v[2:3], v[2:3], v[4:5]
	v_mul_f64 v[4:5], v[112:113], v[230:231]
	;; [unrolled: 3-line block ×3, first 2 shown]
	v_fma_f64 v[4:5], v[114:115], v[244:245], -v[4:5]
	v_add_f64 v[2:3], v[2:3], v[4:5]
	s_waitcnt vmcnt(2)
	v_add_f64 v[2:3], v[248:249], -v[2:3]
	s_waitcnt vmcnt(0)
	v_add_f64 v[4:5], v[246:247], -v[188:189]
	buffer_store_dword v3, off, s[0:3], 0 offset:68
	buffer_store_dword v2, off, s[0:3], 0 offset:64
	;; [unrolled: 1-line block ×4, first 2 shown]
	s_and_saveexec_b64 s[4:5], vcc
	s_cbranch_execz .LBB39_249
; %bb.248:
	v_accvgpr_read_b32 v1, a117
	buffer_load_dword v2, v1, s[0:3], 0 offen
	buffer_load_dword v3, v1, s[0:3], 0 offen offset:4
	buffer_load_dword v4, v1, s[0:3], 0 offen offset:8
	;; [unrolled: 1-line block ×3, first 2 shown]
	v_mov_b32_e32 v1, 0
	v_accvgpr_read_b32 v6, a119
	buffer_store_dword v1, off, s[0:3], 0 offset:48
	buffer_store_dword v1, off, s[0:3], 0 offset:52
	;; [unrolled: 1-line block ×4, first 2 shown]
	s_waitcnt vmcnt(4)
	ds_write_b128 v6, v[2:5]
.LBB39_249:
	s_or_b64 exec, exec, s[4:5]
	s_waitcnt lgkmcnt(0)
	; wave barrier
	s_waitcnt lgkmcnt(0)
	buffer_load_dword v66, off, s[0:3], 0 offset:64
	buffer_load_dword v67, off, s[0:3], 0 offset:68
	;; [unrolled: 1-line block ×55, first 2 shown]
	v_mov_b32_e32 v1, 0
	ds_read_b128 v[74:77], v1 offset:688
	ds_read_b128 v[86:89], v1 offset:704
	;; [unrolled: 1-line block ×9, first 2 shown]
	buffer_load_dword v138, off, s[0:3], 0 offset:288
	buffer_load_dword v157, off, s[0:3], 0 offset:284
	;; [unrolled: 1-line block ×61, first 2 shown]
	v_cmp_lt_u32_e32 vcc, 1, v0
	s_waitcnt vmcnt(62) lgkmcnt(8)
	v_mul_f64 v[6:7], v[74:75], v[68:69]
	v_fmac_f64_e32 v[6:7], v[76:77], v[66:67]
	v_add_f64 v[6:7], v[6:7], 0
	v_mul_f64 v[68:69], v[76:77], v[68:69]
	s_waitcnt lgkmcnt(7)
	v_mul_f64 v[8:9], v[86:87], v[72:73]
	v_fmac_f64_e32 v[8:9], v[88:89], v[70:71]
	s_waitcnt lgkmcnt(6)
	v_mul_f64 v[10:11], v[98:99], v[78:79]
	v_add_f64 v[6:7], v[6:7], v[8:9]
	s_waitcnt lgkmcnt(4)
	v_mul_f64 v[14:15], v[114:115], v[90:91]
	v_fma_f64 v[192:193], v[74:75], v[66:67], -v[68:69]
	v_fmac_f64_e32 v[14:15], v[116:117], v[92:93]
	v_mul_f64 v[72:73], v[88:89], v[72:73]
	v_mul_f64 v[12:13], v[110:111], v[82:83]
	;; [unrolled: 1-line block ×3, first 2 shown]
	s_waitcnt lgkmcnt(2)
	v_mul_f64 v[18:19], v[244:245], v[102:103]
	v_mul_f64 v[82:83], v[112:113], v[82:83]
	v_mul_f64 v[90:91], v[116:117], v[90:91]
	v_mul_f64 v[16:17], v[186:187], v[94:95]
	v_fma_f64 v[254:255], v[114:115], v[92:93], -v[90:91]
	s_waitcnt lgkmcnt(1)
	v_mul_f64 v[20:21], v[248:249], v[106:107]
	v_fmac_f64_e32 v[20:21], v[250:251], v[108:109]
	v_fmac_f64_e32 v[10:11], v[100:101], v[80:81]
	v_add_f64 v[6:7], v[6:7], v[10:11]
	v_fmac_f64_e32 v[12:13], v[112:113], v[84:85]
	v_add_f64 v[6:7], v[6:7], v[12:13]
	;; [unrolled: 2-line block ×4, first 2 shown]
	v_add_f64 v[6:7], v[6:7], v[18:19]
	v_add_f64 v[10:11], v[6:7], v[20:21]
	ds_read_b128 v[6:9], v1 offset:832
	s_waitcnt lgkmcnt(1)
	v_mul_f64 v[12:13], v[2:3], v[118:119]
	v_fmac_f64_e32 v[12:13], v[4:5], v[122:123]
	v_add_f64 v[14:15], v[10:11], v[12:13]
	ds_read_b128 v[10:13], v1 offset:848
	s_waitcnt lgkmcnt(1)
	v_mul_f64 v[16:17], v[6:7], v[128:129]
	v_fmac_f64_e32 v[16:17], v[8:9], v[130:131]
	;; [unrolled: 5-line block ×5, first 2 shown]
	v_add_f64 v[30:31], v[26:27], v[28:29]
	ds_read_b128 v[26:29], v1 offset:912
	s_waitcnt vmcnt(58) lgkmcnt(1)
	v_mul_f64 v[32:33], v[22:23], v[156:157]
	s_waitcnt vmcnt(56)
	v_fmac_f64_e32 v[32:33], v[24:25], v[160:161]
	v_add_f64 v[34:35], v[30:31], v[32:33]
	ds_read_b128 v[30:33], v1 offset:928
	s_waitcnt lgkmcnt(1)
	v_mul_f64 v[36:37], v[26:27], v[136:137]
	v_fmac_f64_e32 v[36:37], v[28:29], v[138:139]
	v_add_f64 v[38:39], v[34:35], v[36:37]
	ds_read_b128 v[34:37], v1 offset:944
	s_waitcnt vmcnt(50) lgkmcnt(1)
	v_mul_f64 v[40:41], v[30:31], v[164:165]
	s_waitcnt vmcnt(48)
	v_fmac_f64_e32 v[40:41], v[32:33], v[168:169]
	v_add_f64 v[42:43], v[38:39], v[40:41]
	ds_read_b128 v[38:41], v1 offset:960
	s_waitcnt lgkmcnt(1)
	v_mul_f64 v[44:45], v[34:35], v[144:145]
	v_fmac_f64_e32 v[44:45], v[36:37], v[146:147]
	v_add_f64 v[46:47], v[42:43], v[44:45]
	ds_read_b128 v[42:45], v1 offset:976
	s_waitcnt vmcnt(42) lgkmcnt(1)
	v_mul_f64 v[48:49], v[38:39], v[172:173]
	s_waitcnt vmcnt(40)
	v_fmac_f64_e32 v[48:49], v[40:41], v[176:177]
	v_add_f64 v[50:51], v[46:47], v[48:49]
	ds_read_b128 v[46:49], v1 offset:992
	buffer_load_dword v221, off, s[0:3], 0 offset:540
	buffer_load_dword v220, off, s[0:3], 0 offset:536
	;; [unrolled: 1-line block ×4, first 2 shown]
	s_waitcnt lgkmcnt(1)
	v_mul_f64 v[52:53], v[42:43], v[148:149]
	v_fmac_f64_e32 v[52:53], v[44:45], v[150:151]
	v_add_f64 v[54:55], v[50:51], v[52:53]
	ds_read_b128 v[50:53], v1 offset:1008
	buffer_load_dword v225, off, s[0:3], 0 offset:556
	buffer_load_dword v224, off, s[0:3], 0 offset:552
	;; [unrolled: 1-line block ×8, first 2 shown]
	s_waitcnt vmcnt(46) lgkmcnt(1)
	v_mul_f64 v[56:57], v[46:47], v[200:201]
	s_waitcnt vmcnt(44)
	v_fmac_f64_e32 v[56:57], v[48:49], v[180:181]
	v_add_f64 v[58:59], v[54:55], v[56:57]
	ds_read_b128 v[54:57], v1 offset:1024
	buffer_load_dword v233, off, s[0:3], 0 offset:588
	buffer_load_dword v232, off, s[0:3], 0 offset:584
	;; [unrolled: 1-line block ×12, first 2 shown]
	s_waitcnt lgkmcnt(1)
	v_mul_f64 v[60:61], v[50:51], v[152:153]
	v_fmac_f64_e32 v[60:61], v[52:53], v[154:155]
	v_add_f64 v[62:63], v[58:59], v[60:61]
	ds_read_b128 v[58:61], v1 offset:1040
	s_waitcnt vmcnt(50) lgkmcnt(1)
	v_mul_f64 v[64:65], v[54:55], v[204:205]
	s_waitcnt vmcnt(48)
	v_fmac_f64_e32 v[64:65], v[56:57], v[206:207]
	v_add_f64 v[62:63], v[62:63], v[64:65]
	buffer_load_dword v241, off, s[0:3], 0 offset:636
	buffer_load_dword v240, off, s[0:3], 0 offset:632
	buffer_load_dword v243, off, s[0:3], 0 offset:628
	buffer_load_dword v242, off, s[0:3], 0 offset:624
	s_waitcnt lgkmcnt(0)
	v_mul_f64 v[64:65], v[58:59], v[158:159]
	v_fmac_f64_e32 v[64:65], v[60:61], v[162:163]
	v_add_f64 v[190:191], v[62:63], v[64:65]
	ds_read_b128 v[62:65], v1 offset:1056
	ds_read_b128 v[66:69], v1 offset:1072
	v_fma_f64 v[194:195], v[98:99], v[80:81], -v[78:79]
	ds_read_b128 v[78:81], v1 offset:1120
	v_fma_f64 v[252:253], v[110:111], v[84:85], -v[82:83]
	ds_read_b128 v[82:85], v1 offset:1136
	s_waitcnt vmcnt(46) lgkmcnt(3)
	v_mul_f64 v[74:75], v[62:63], v[208:209]
	s_waitcnt vmcnt(44)
	v_fmac_f64_e32 v[74:75], v[64:65], v[210:211]
	v_add_f64 v[74:75], v[190:191], v[74:75]
	v_fma_f64 v[190:191], v[86:87], v[70:71], -v[72:73]
	ds_read_b128 v[70:73], v1 offset:1088
	s_waitcnt lgkmcnt(3)
	v_mul_f64 v[76:77], v[66:67], v[166:167]
	v_fmac_f64_e32 v[76:77], v[68:69], v[170:171]
	v_add_f64 v[86:87], v[74:75], v[76:77]
	ds_read_b128 v[74:77], v1 offset:1104
	s_waitcnt vmcnt(38) lgkmcnt(1)
	v_mul_f64 v[88:89], v[70:71], v[212:213]
	s_waitcnt vmcnt(36)
	v_fmac_f64_e32 v[88:89], v[72:73], v[214:215]
	v_add_f64 v[86:87], v[86:87], v[88:89]
	ds_read_b128 v[90:93], v1 offset:1168
	s_waitcnt lgkmcnt(1)
	v_mul_f64 v[88:89], v[74:75], v[174:175]
	v_fmac_f64_e32 v[88:89], v[76:77], v[198:199]
	v_add_f64 v[86:87], v[86:87], v[88:89]
	s_waitcnt vmcnt(30)
	v_mul_f64 v[88:89], v[78:79], v[216:217]
	s_waitcnt vmcnt(28)
	v_fmac_f64_e32 v[88:89], v[80:81], v[218:219]
	v_add_f64 v[86:87], v[86:87], v[88:89]
	v_mul_f64 v[88:89], v[82:83], v[178:179]
	v_fmac_f64_e32 v[88:89], v[84:85], v[202:203]
	v_add_f64 v[98:99], v[86:87], v[88:89]
	ds_read_b128 v[86:89], v1 offset:1152
	v_mul_f64 v[94:95], v[188:189], v[94:95]
	v_fma_f64 v[196:197], v[186:187], v[96:97], -v[94:95]
	ds_read_b128 v[94:97], v1 offset:1184
	v_mul_f64 v[102:103], v[246:247], v[102:103]
	v_fma_f64 v[120:121], v[244:245], v[104:105], -v[102:103]
	;; [unrolled: 3-line block ×3, first 2 shown]
	v_add_f64 v[192:193], v[192:193], 0
	v_add_f64 v[190:191], v[192:193], v[190:191]
	;; [unrolled: 1-line block ×7, first 2 shown]
	v_mul_f64 v[4:5], v[4:5], v[118:119]
	v_add_f64 v[120:121], v[252:253], v[188:189]
	v_fma_f64 v[2:3], v[2:3], v[122:123], -v[4:5]
	v_mul_f64 v[4:5], v[8:9], v[128:129]
	v_add_f64 v[2:3], v[120:121], v[2:3]
	v_fma_f64 v[4:5], v[6:7], v[130:131], -v[4:5]
	v_add_f64 v[2:3], v[2:3], v[4:5]
	ds_read_b128 v[106:109], v1 offset:1232
	v_mul_f64 v[4:5], v[12:13], v[124:125]
	v_fma_f64 v[4:5], v[10:11], v[126:127], -v[4:5]
	v_add_f64 v[2:3], v[2:3], v[4:5]
	s_waitcnt vmcnt(26) lgkmcnt(3)
	v_mul_f64 v[100:101], v[86:87], v[220:221]
	v_mul_f64 v[4:5], v[16:17], v[140:141]
	s_waitcnt vmcnt(24)
	v_fmac_f64_e32 v[100:101], v[88:89], v[222:223]
	v_add_f64 v[98:99], v[98:99], v[100:101]
	s_waitcnt vmcnt(22)
	v_mul_f64 v[100:101], v[90:91], v[224:225]
	s_waitcnt vmcnt(20)
	v_fmac_f64_e32 v[100:101], v[92:93], v[228:229]
	v_add_f64 v[98:99], v[98:99], v[100:101]
	s_waitcnt vmcnt(18) lgkmcnt(2)
	v_mul_f64 v[100:101], v[94:95], v[226:227]
	s_waitcnt vmcnt(16)
	v_fmac_f64_e32 v[100:101], v[96:97], v[230:231]
	v_add_f64 v[110:111], v[98:99], v[100:101]
	ds_read_b128 v[98:101], v1 offset:1200
	v_fma_f64 v[4:5], v[14:15], v[142:143], -v[4:5]
	v_add_f64 v[2:3], v[2:3], v[4:5]
	v_mul_f64 v[4:5], v[20:21], v[132:133]
	v_fma_f64 v[4:5], v[18:19], v[134:135], -v[4:5]
	s_waitcnt vmcnt(14) lgkmcnt(0)
	v_mul_f64 v[112:113], v[98:99], v[232:233]
	s_waitcnt vmcnt(12)
	v_fmac_f64_e32 v[112:113], v[100:101], v[184:185]
	v_add_f64 v[110:111], v[110:111], v[112:113]
	s_waitcnt vmcnt(9)
	v_mul_f64 v[112:113], v[102:103], v[236:237]
	s_waitcnt vmcnt(7)
	v_fmac_f64_e32 v[112:113], v[104:105], v[238:239]
	v_add_f64 v[110:111], v[110:111], v[112:113]
	s_waitcnt vmcnt(5)
	v_mul_f64 v[112:113], v[106:107], v[182:183]
	s_waitcnt vmcnt(4)
	v_fmac_f64_e32 v[112:113], v[108:109], v[234:235]
	v_add_f64 v[114:115], v[110:111], v[112:113]
	ds_read_b128 v[110:113], v1 offset:1248
	buffer_load_dword v244, off, s[0:3], 0 offset:648
	buffer_load_dword v245, off, s[0:3], 0 offset:652
	;; [unrolled: 1-line block ×4, first 2 shown]
	v_add_f64 v[2:3], v[2:3], v[4:5]
	v_mul_f64 v[4:5], v[24:25], v[156:157]
	v_fma_f64 v[4:5], v[22:23], v[160:161], -v[4:5]
	s_waitcnt vmcnt(6) lgkmcnt(0)
	v_mul_f64 v[116:117], v[110:111], v[240:241]
	s_waitcnt vmcnt(4)
	v_fmac_f64_e32 v[116:117], v[112:113], v[242:243]
	v_add_f64 v[186:187], v[114:115], v[116:117]
	ds_read_b128 v[114:117], v1 offset:1264
	buffer_load_dword v250, off, s[0:3], 0 offset:48
	buffer_load_dword v251, off, s[0:3], 0 offset:52
	v_add_f64 v[2:3], v[2:3], v[4:5]
	v_mul_f64 v[4:5], v[28:29], v[136:137]
	v_fma_f64 v[4:5], v[26:27], v[138:139], -v[4:5]
	v_add_f64 v[2:3], v[2:3], v[4:5]
	v_mul_f64 v[4:5], v[32:33], v[164:165]
	v_fma_f64 v[4:5], v[30:31], v[168:169], -v[4:5]
	v_add_f64 v[2:3], v[2:3], v[4:5]
	v_mul_f64 v[4:5], v[36:37], v[144:145]
	v_fma_f64 v[4:5], v[34:35], v[146:147], -v[4:5]
	v_add_f64 v[2:3], v[2:3], v[4:5]
	v_mul_f64 v[4:5], v[40:41], v[172:173]
	v_fma_f64 v[4:5], v[38:39], v[176:177], -v[4:5]
	v_add_f64 v[2:3], v[2:3], v[4:5]
	v_mul_f64 v[4:5], v[44:45], v[148:149]
	v_fma_f64 v[4:5], v[42:43], v[150:151], -v[4:5]
	v_add_f64 v[2:3], v[2:3], v[4:5]
	v_mul_f64 v[4:5], v[48:49], v[200:201]
	v_fma_f64 v[4:5], v[46:47], v[180:181], -v[4:5]
	v_add_f64 v[2:3], v[2:3], v[4:5]
	v_mul_f64 v[4:5], v[52:53], v[152:153]
	v_fma_f64 v[4:5], v[50:51], v[154:155], -v[4:5]
	v_add_f64 v[2:3], v[2:3], v[4:5]
	v_mul_f64 v[4:5], v[56:57], v[204:205]
	v_fma_f64 v[4:5], v[54:55], v[206:207], -v[4:5]
	v_add_f64 v[2:3], v[2:3], v[4:5]
	v_mul_f64 v[4:5], v[60:61], v[158:159]
	v_fma_f64 v[4:5], v[58:59], v[162:163], -v[4:5]
	v_add_f64 v[2:3], v[2:3], v[4:5]
	v_mul_f64 v[4:5], v[64:65], v[208:209]
	v_fma_f64 v[4:5], v[62:63], v[210:211], -v[4:5]
	v_add_f64 v[2:3], v[2:3], v[4:5]
	v_mul_f64 v[4:5], v[68:69], v[166:167]
	v_fma_f64 v[4:5], v[66:67], v[170:171], -v[4:5]
	v_add_f64 v[2:3], v[2:3], v[4:5]
	v_mul_f64 v[4:5], v[72:73], v[212:213]
	v_fma_f64 v[4:5], v[70:71], v[214:215], -v[4:5]
	v_add_f64 v[2:3], v[2:3], v[4:5]
	v_mul_f64 v[4:5], v[76:77], v[174:175]
	v_fma_f64 v[4:5], v[74:75], v[198:199], -v[4:5]
	v_add_f64 v[2:3], v[2:3], v[4:5]
	v_mul_f64 v[4:5], v[80:81], v[216:217]
	v_fma_f64 v[4:5], v[78:79], v[218:219], -v[4:5]
	v_add_f64 v[2:3], v[2:3], v[4:5]
	v_mul_f64 v[4:5], v[84:85], v[178:179]
	v_fma_f64 v[4:5], v[82:83], v[202:203], -v[4:5]
	v_add_f64 v[2:3], v[2:3], v[4:5]
	v_mul_f64 v[4:5], v[88:89], v[220:221]
	v_fma_f64 v[4:5], v[86:87], v[222:223], -v[4:5]
	v_add_f64 v[2:3], v[2:3], v[4:5]
	v_mul_f64 v[4:5], v[92:93], v[224:225]
	v_fma_f64 v[4:5], v[90:91], v[228:229], -v[4:5]
	v_add_f64 v[2:3], v[2:3], v[4:5]
	v_mul_f64 v[4:5], v[96:97], v[226:227]
	v_fma_f64 v[4:5], v[94:95], v[230:231], -v[4:5]
	v_add_f64 v[2:3], v[2:3], v[4:5]
	v_mul_f64 v[4:5], v[100:101], v[232:233]
	v_fma_f64 v[4:5], v[98:99], v[184:185], -v[4:5]
	v_add_f64 v[2:3], v[2:3], v[4:5]
	v_mul_f64 v[4:5], v[104:105], v[236:237]
	v_fma_f64 v[4:5], v[102:103], v[238:239], -v[4:5]
	v_add_f64 v[2:3], v[2:3], v[4:5]
	v_mul_f64 v[4:5], v[108:109], v[182:183]
	v_fma_f64 v[4:5], v[106:107], v[234:235], -v[4:5]
	v_add_f64 v[2:3], v[2:3], v[4:5]
	v_mul_f64 v[4:5], v[112:113], v[240:241]
	v_fma_f64 v[4:5], v[110:111], v[242:243], -v[4:5]
	v_add_f64 v[2:3], v[2:3], v[4:5]
	s_waitcnt vmcnt(4) lgkmcnt(0)
	v_mul_f64 v[248:249], v[114:115], v[244:245]
	v_mul_f64 v[4:5], v[116:117], v[244:245]
	s_waitcnt vmcnt(2)
	v_fmac_f64_e32 v[248:249], v[116:117], v[246:247]
	v_add_f64 v[186:187], v[186:187], v[248:249]
	buffer_load_dword v248, off, s[0:3], 0 offset:56
	buffer_load_dword v249, off, s[0:3], 0 offset:60
	v_fma_f64 v[4:5], v[114:115], v[246:247], -v[4:5]
	v_add_f64 v[2:3], v[2:3], v[4:5]
	s_waitcnt vmcnt(2)
	v_add_f64 v[2:3], v[250:251], -v[2:3]
	s_waitcnt vmcnt(0)
	v_add_f64 v[4:5], v[248:249], -v[186:187]
	buffer_store_dword v3, off, s[0:3], 0 offset:52
	buffer_store_dword v2, off, s[0:3], 0 offset:48
	;; [unrolled: 1-line block ×4, first 2 shown]
	s_and_saveexec_b64 s[4:5], vcc
	s_cbranch_execz .LBB39_251
; %bb.250:
	v_accvgpr_read_b32 v5, a118
	buffer_load_dword v2, v5, s[0:3], 0 offen
	buffer_load_dword v3, v5, s[0:3], 0 offen offset:4
	buffer_load_dword v4, v5, s[0:3], 0 offen offset:8
	s_nop 0
	buffer_load_dword v5, v5, s[0:3], 0 offen offset:12
	v_accvgpr_read_b32 v6, a119
	buffer_store_dword v1, off, s[0:3], 0 offset:32
	buffer_store_dword v1, off, s[0:3], 0 offset:36
	;; [unrolled: 1-line block ×4, first 2 shown]
	s_waitcnt vmcnt(4)
	ds_write_b128 v6, v[2:5]
.LBB39_251:
	s_or_b64 exec, exec, s[4:5]
	s_waitcnt lgkmcnt(0)
	; wave barrier
	s_waitcnt lgkmcnt(0)
	buffer_load_dword v66, off, s[0:3], 0 offset:48
	buffer_load_dword v67, off, s[0:3], 0 offset:52
	;; [unrolled: 1-line block ×42, first 2 shown]
	ds_read_b128 v[78:81], v1 offset:672
	ds_read_b128 v[90:93], v1 offset:688
	;; [unrolled: 1-line block ×10, first 2 shown]
	buffer_load_dword v129, off, s[0:3], 0 offset:196
	buffer_load_dword v128, off, s[0:3], 0 offset:192
	ds_read_b128 v[6:9], v1 offset:832
	buffer_load_dword v119, off, s[0:3], 0 offset:252
	buffer_load_dword v118, off, s[0:3], 0 offset:248
	;; [unrolled: 1-line block ×80, first 2 shown]
	v_cmp_ne_u32_e32 vcc, 0, v0
	s_waitcnt vmcnt(62) lgkmcnt(10)
	v_mul_f64 v[10:11], v[78:79], v[68:69]
	v_fmac_f64_e32 v[10:11], v[80:81], v[66:67]
	v_add_f64 v[10:11], v[10:11], 0
	v_mul_f64 v[68:69], v[80:81], v[68:69]
	s_waitcnt lgkmcnt(9)
	v_mul_f64 v[12:13], v[90:91], v[64:65]
	v_fmac_f64_e32 v[12:13], v[92:93], v[62:63]
	s_waitcnt lgkmcnt(8)
	v_mul_f64 v[14:15], v[102:103], v[70:71]
	v_add_f64 v[10:11], v[10:11], v[12:13]
	s_waitcnt lgkmcnt(6)
	v_mul_f64 v[18:19], v[114:115], v[82:83]
	v_mul_f64 v[64:65], v[92:93], v[64:65]
	v_fmac_f64_e32 v[18:19], v[116:117], v[84:85]
	v_fma_f64 v[196:197], v[90:91], v[62:63], -v[64:65]
	v_mul_f64 v[16:17], v[110:111], v[74:75]
	v_fma_f64 v[194:195], v[78:79], v[66:67], -v[68:69]
	s_waitcnt lgkmcnt(4)
	v_mul_f64 v[22:23], v[186:187], v[94:95]
	v_mul_f64 v[70:71], v[104:105], v[70:71]
	v_fmac_f64_e32 v[22:23], v[188:189], v[96:97]
	v_mul_f64 v[74:75], v[112:113], v[74:75]
	v_mul_f64 v[20:21], v[182:183], v[86:87]
	;; [unrolled: 1-line block ×3, first 2 shown]
	s_waitcnt lgkmcnt(2)
	v_mul_f64 v[26:27], v[190:191], v[106:107]
	v_fma_f64 v[4:5], v[114:115], v[84:85], -v[82:83]
	v_mul_f64 v[86:87], v[184:185], v[86:87]
	v_mul_f64 v[24:25], v[248:249], v[98:99]
	;; [unrolled: 1-line block ×3, first 2 shown]
	s_waitcnt lgkmcnt(1)
	v_mul_f64 v[28:29], v[122:123], v[2:3]
	v_accvgpr_write_b32 a121, v3
	v_fmac_f64_e32 v[14:15], v[104:105], v[72:73]
	v_add_f64 v[10:11], v[10:11], v[14:15]
	v_fmac_f64_e32 v[16:17], v[112:113], v[76:77]
	v_add_f64 v[10:11], v[10:11], v[16:17]
	;; [unrolled: 2-line block ×3, first 2 shown]
	v_add_f64 v[10:11], v[10:11], v[20:21]
	v_fmac_f64_e32 v[24:25], v[250:251], v[100:101]
	v_add_f64 v[10:11], v[10:11], v[22:23]
	v_fmac_f64_e32 v[26:27], v[192:193], v[108:109]
	v_add_f64 v[10:11], v[10:11], v[24:25]
	v_add_f64 v[10:11], v[10:11], v[26:27]
	s_waitcnt lgkmcnt(0)
	v_mul_f64 v[16:17], v[6:7], v[252:253]
	v_fmac_f64_e32 v[28:29], v[124:125], v[128:129]
	v_add_f64 v[14:15], v[10:11], v[28:29]
	ds_read_b128 v[10:13], v1 offset:848
	v_fmac_f64_e32 v[16:17], v[8:9], v[198:199]
	v_add_f64 v[18:19], v[14:15], v[16:17]
	ds_read_b128 v[14:17], v1 offset:864
	v_fma_f64 v[254:255], v[110:111], v[76:77], -v[74:75]
	s_waitcnt lgkmcnt(1)
	v_mul_f64 v[20:21], v[10:11], v[130:131]
	v_fmac_f64_e32 v[20:21], v[12:13], v[146:147]
	v_add_f64 v[22:23], v[18:19], v[20:21]
	ds_read_b128 v[18:21], v1 offset:880
	s_waitcnt lgkmcnt(1)
	v_mul_f64 v[24:25], v[14:15], v[118:119]
	v_fmac_f64_e32 v[24:25], v[16:17], v[126:127]
	v_add_f64 v[26:27], v[22:23], v[24:25]
	ds_read_b128 v[22:25], v1 offset:896
	;; [unrolled: 5-line block ×4, first 2 shown]
	s_waitcnt vmcnt(58) lgkmcnt(1)
	v_mul_f64 v[36:37], v[26:27], v[158:159]
	s_waitcnt vmcnt(56)
	v_fmac_f64_e32 v[36:37], v[28:29], v[162:163]
	v_add_f64 v[38:39], v[34:35], v[36:37]
	ds_read_b128 v[34:37], v1 offset:944
	s_waitcnt lgkmcnt(1)
	v_mul_f64 v[40:41], v[30:31], v[136:137]
	v_fmac_f64_e32 v[40:41], v[32:33], v[138:139]
	v_add_f64 v[42:43], v[38:39], v[40:41]
	ds_read_b128 v[38:41], v1 offset:960
	s_waitcnt vmcnt(50) lgkmcnt(1)
	v_mul_f64 v[44:45], v[34:35], v[166:167]
	s_waitcnt vmcnt(48)
	v_fmac_f64_e32 v[44:45], v[36:37], v[170:171]
	v_add_f64 v[46:47], v[42:43], v[44:45]
	ds_read_b128 v[42:45], v1 offset:976
	s_waitcnt lgkmcnt(1)
	v_mul_f64 v[48:49], v[38:39], v[140:141]
	v_fmac_f64_e32 v[48:49], v[40:41], v[142:143]
	v_add_f64 v[50:51], v[46:47], v[48:49]
	ds_read_b128 v[46:49], v1 offset:992
	s_waitcnt vmcnt(42) lgkmcnt(1)
	v_mul_f64 v[52:53], v[42:43], v[202:203]
	s_waitcnt vmcnt(40)
	v_fmac_f64_e32 v[52:53], v[44:45], v[206:207]
	v_add_f64 v[54:55], v[50:51], v[52:53]
	ds_read_b128 v[50:53], v1 offset:1008
	s_waitcnt lgkmcnt(1)
	v_mul_f64 v[56:57], v[46:47], v[144:145]
	buffer_load_dword v173, off, s[0:3], 0 offset:556
	buffer_load_dword v172, off, s[0:3], 0 offset:552
	;; [unrolled: 1-line block ×4, first 2 shown]
	v_fmac_f64_e32 v[56:57], v[48:49], v[148:149]
	v_add_f64 v[58:59], v[54:55], v[56:57]
	ds_read_b128 v[54:57], v1 offset:1024
	buffer_load_dword v178, off, s[0:3], 0 offset:568
	buffer_load_dword v180, off, s[0:3], 0 offset:560
	;; [unrolled: 1-line block ×16, first 2 shown]
	s_waitcnt vmcnt(54) lgkmcnt(1)
	v_mul_f64 v[60:61], v[50:51], v[210:211]
	s_waitcnt vmcnt(52)
	v_fmac_f64_e32 v[60:61], v[52:53], v[214:215]
	v_add_f64 v[120:121], v[58:59], v[60:61]
	ds_read_b128 v[58:61], v1 offset:1040
	buffer_load_dword v244, off, s[0:3], 0 offset:632
	buffer_load_dword v246, off, s[0:3], 0 offset:624
	buffer_load_dword v245, off, s[0:3], 0 offset:636
	buffer_load_dword v247, off, s[0:3], 0 offset:628
	ds_read_b128 v[62:65], v1 offset:1056
	s_waitcnt lgkmcnt(2)
	v_mul_f64 v[66:67], v[54:55], v[152:153]
	v_fmac_f64_e32 v[66:67], v[56:57], v[156:157]
	s_waitcnt vmcnt(50) lgkmcnt(1)
	v_mul_f64 v[68:69], v[58:59], v[218:219]
	v_add_f64 v[66:67], v[120:121], v[66:67]
	s_waitcnt vmcnt(48)
	v_fmac_f64_e32 v[68:69], v[60:61], v[220:221]
	v_add_f64 v[66:67], v[66:67], v[68:69]
	v_fma_f64 v[120:121], v[102:103], v[72:73], -v[70:71]
	ds_read_b128 v[70:73], v1 offset:1088
	s_waitcnt lgkmcnt(1)
	v_mul_f64 v[68:69], v[62:63], v[160:161]
	v_fmac_f64_e32 v[68:69], v[64:65], v[164:165]
	v_add_f64 v[78:79], v[66:67], v[68:69]
	ds_read_b128 v[66:69], v1 offset:1072
	ds_read_b128 v[74:77], v1 offset:1104
	;; [unrolled: 1-line block ×3, first 2 shown]
	v_accvgpr_write_b32 a120, v2
	v_fma_f64 v[2:3], v[182:183], v[88:89], -v[86:87]
	s_waitcnt vmcnt(42) lgkmcnt(2)
	v_mul_f64 v[80:81], v[66:67], v[222:223]
	s_waitcnt vmcnt(40)
	v_fmac_f64_e32 v[80:81], v[68:69], v[224:225]
	v_add_f64 v[78:79], v[78:79], v[80:81]
	v_mul_f64 v[80:81], v[70:71], v[168:169]
	v_fmac_f64_e32 v[80:81], v[72:73], v[200:201]
	v_add_f64 v[90:91], v[78:79], v[80:81]
	ds_read_b128 v[78:81], v1 offset:1120
	s_waitcnt vmcnt(34) lgkmcnt(2)
	v_mul_f64 v[92:93], v[74:75], v[226:227]
	s_waitcnt vmcnt(32)
	v_fmac_f64_e32 v[92:93], v[76:77], v[228:229]
	ds_read_b128 v[86:89], v1 offset:1152
	v_add_f64 v[90:91], v[90:91], v[92:93]
	s_waitcnt lgkmcnt(1)
	v_mul_f64 v[92:93], v[78:79], v[204:205]
	v_fmac_f64_e32 v[92:93], v[80:81], v[208:209]
	v_add_f64 v[90:91], v[90:91], v[92:93]
	s_waitcnt vmcnt(26)
	v_mul_f64 v[92:93], v[82:83], v[230:231]
	s_waitcnt vmcnt(24)
	v_fmac_f64_e32 v[92:93], v[84:85], v[232:233]
	v_add_f64 v[90:91], v[90:91], v[92:93]
	v_fma_f64 v[188:189], v[186:187], v[96:97], -v[94:95]
	ds_read_b128 v[94:97], v1 offset:1184
	s_waitcnt lgkmcnt(1)
	v_mul_f64 v[92:93], v[86:87], v[212:213]
	v_fmac_f64_e32 v[92:93], v[88:89], v[216:217]
	v_add_f64 v[102:103], v[90:91], v[92:93]
	ds_read_b128 v[90:93], v1 offset:1168
	v_mul_f64 v[98:99], v[250:251], v[98:99]
	v_fma_f64 v[182:183], v[248:249], v[100:101], -v[98:99]
	ds_read_b128 v[98:101], v1 offset:1200
	v_mul_f64 v[106:107], v[192:193], v[106:107]
	v_fma_f64 v[190:191], v[190:191], v[108:109], -v[106:107]
	v_add_f64 v[194:195], v[194:195], 0
	v_add_f64 v[194:195], v[194:195], v[196:197]
	;; [unrolled: 1-line block ×6, first 2 shown]
	v_accvgpr_read_b32 v4, a120
	v_add_f64 v[188:189], v[2:3], v[188:189]
	v_accvgpr_read_b32 v5, a121
	v_add_f64 v[2:3], v[188:189], v[182:183]
	v_mul_f64 v[4:5], v[124:125], v[4:5]
	v_add_f64 v[2:3], v[2:3], v[190:191]
	v_fma_f64 v[4:5], v[122:123], v[128:129], -v[4:5]
	v_add_f64 v[2:3], v[2:3], v[4:5]
	v_mul_f64 v[4:5], v[8:9], v[252:253]
	ds_read_b128 v[106:109], v1 offset:1232
	v_fma_f64 v[4:5], v[6:7], v[198:199], -v[4:5]
	v_add_f64 v[2:3], v[2:3], v[4:5]
	v_mul_f64 v[4:5], v[12:13], v[130:131]
	v_fma_f64 v[4:5], v[10:11], v[146:147], -v[4:5]
	s_waitcnt vmcnt(13) lgkmcnt(1)
	v_mul_f64 v[112:113], v[98:99], v[234:235]
	v_add_f64 v[2:3], v[2:3], v[4:5]
	v_mul_f64 v[104:105], v[90:91], v[172:173]
	s_waitcnt vmcnt(11)
	v_fmac_f64_e32 v[112:113], v[100:101], v[240:241]
	v_fmac_f64_e32 v[104:105], v[92:93], v[174:175]
	v_add_f64 v[102:103], v[102:103], v[104:105]
	v_mul_f64 v[4:5], v[16:17], v[118:119]
	v_mul_f64 v[104:105], v[94:95], v[178:179]
	v_fmac_f64_e32 v[104:105], v[96:97], v[180:181]
	v_add_f64 v[110:111], v[102:103], v[104:105]
	ds_read_b128 v[102:105], v1 offset:1216
	v_add_f64 v[110:111], v[110:111], v[112:113]
	v_fma_f64 v[4:5], v[14:15], v[126:127], -v[4:5]
	v_add_f64 v[2:3], v[2:3], v[4:5]
	v_mul_f64 v[4:5], v[20:21], v[150:151]
	s_waitcnt vmcnt(10) lgkmcnt(0)
	v_mul_f64 v[112:113], v[102:103], v[176:177]
	s_waitcnt vmcnt(8)
	v_fmac_f64_e32 v[112:113], v[104:105], v[238:239]
	v_add_f64 v[110:111], v[110:111], v[112:113]
	s_waitcnt vmcnt(6)
	v_mul_f64 v[112:113], v[106:107], v[236:237]
	s_waitcnt vmcnt(4)
	v_fmac_f64_e32 v[112:113], v[108:109], v[242:243]
	v_add_f64 v[114:115], v[110:111], v[112:113]
	ds_read_b128 v[110:113], v1 offset:1248
	buffer_load_dword v185, off, s[0:3], 0 offset:652
	buffer_load_dword v184, off, s[0:3], 0 offset:648
	;; [unrolled: 1-line block ×4, first 2 shown]
	v_fma_f64 v[4:5], v[18:19], v[154:155], -v[4:5]
	v_add_f64 v[2:3], v[2:3], v[4:5]
	v_mul_f64 v[4:5], v[24:25], v[132:133]
	s_waitcnt vmcnt(5) lgkmcnt(0)
	v_mul_f64 v[116:117], v[110:111], v[244:245]
	s_waitcnt vmcnt(4)
	v_fmac_f64_e32 v[116:117], v[112:113], v[246:247]
	v_add_f64 v[192:193], v[114:115], v[116:117]
	ds_read_b128 v[114:117], v1 offset:1264
	v_fma_f64 v[4:5], v[22:23], v[134:135], -v[4:5]
	v_add_f64 v[2:3], v[2:3], v[4:5]
	v_mul_f64 v[4:5], v[28:29], v[158:159]
	v_fma_f64 v[4:5], v[26:27], v[162:163], -v[4:5]
	v_add_f64 v[2:3], v[2:3], v[4:5]
	v_mul_f64 v[4:5], v[32:33], v[136:137]
	;; [unrolled: 3-line block ×22, first 2 shown]
	v_fma_f64 v[4:5], v[110:111], v[246:247], -v[4:5]
	v_add_f64 v[2:3], v[2:3], v[4:5]
	s_waitcnt vmcnt(2) lgkmcnt(0)
	v_mul_f64 v[248:249], v[114:115], v[184:185]
	v_mul_f64 v[4:5], v[116:117], v[184:185]
	s_waitcnt vmcnt(0)
	v_fmac_f64_e32 v[248:249], v[116:117], v[186:187]
	v_add_f64 v[192:193], v[192:193], v[248:249]
	buffer_load_dword v250, off, s[0:3], 0 offset:32
	buffer_load_dword v251, off, s[0:3], 0 offset:36
	;; [unrolled: 1-line block ×4, first 2 shown]
	v_fma_f64 v[4:5], v[114:115], v[186:187], -v[4:5]
	v_add_f64 v[2:3], v[2:3], v[4:5]
	s_waitcnt vmcnt(2)
	v_add_f64 v[2:3], v[250:251], -v[2:3]
	s_waitcnt vmcnt(0)
	v_add_f64 v[4:5], v[248:249], -v[192:193]
	buffer_store_dword v3, off, s[0:3], 0 offset:36
	buffer_store_dword v2, off, s[0:3], 0 offset:32
	;; [unrolled: 1-line block ×4, first 2 shown]
	s_and_saveexec_b64 s[4:5], vcc
	s_cbranch_execz .LBB39_253
; %bb.252:
	buffer_load_dword v0, off, s[0:3], 0 offset:16
	buffer_load_dword v1, off, s[0:3], 0 offset:20
	buffer_load_dword v2, off, s[0:3], 0 offset:24
	buffer_load_dword v3, off, s[0:3], 0 offset:28
	v_mov_b32_e32 v4, 0
	v_accvgpr_read_b32 v5, a119
	buffer_store_dword v4, off, s[0:3], 0 offset:16
	buffer_store_dword v4, off, s[0:3], 0 offset:20
	buffer_store_dword v4, off, s[0:3], 0 offset:24
	buffer_store_dword v4, off, s[0:3], 0 offset:28
	s_waitcnt vmcnt(4)
	ds_write_b128 v5, v[0:3]
.LBB39_253:
	s_or_b64 exec, exec, s[4:5]
	s_waitcnt lgkmcnt(0)
	; wave barrier
	s_waitcnt lgkmcnt(0)
	buffer_load_dword v56, off, s[0:3], 0 offset:32
	buffer_load_dword v57, off, s[0:3], 0 offset:36
	;; [unrolled: 1-line block ×49, first 2 shown]
	s_and_b64 vcc, exec, s[20:21]
	s_waitcnt vmcnt(8)
	v_accvgpr_write_b32 a121, v3
	s_waitcnt vmcnt(7)
	v_pk_mov_b32 v[24:25], v[0:1], v[0:1] op_sel:[0,1]
	v_mov_b32_e32 v0, 0
	ds_read_b128 v[76:79], v0 offset:656
	ds_read_b128 v[88:91], v0 offset:672
	;; [unrolled: 1-line block ×11, first 2 shown]
	s_waitcnt lgkmcnt(10)
	v_mul_f64 v[4:5], v[76:77], v[58:59]
	s_waitcnt lgkmcnt(9)
	v_mul_f64 v[6:7], v[88:89], v[64:65]
	v_fmac_f64_e32 v[4:5], v[78:79], v[56:57]
	s_waitcnt lgkmcnt(8)
	v_mul_f64 v[8:9], v[100:101], v[60:61]
	v_fmac_f64_e32 v[6:7], v[90:91], v[62:63]
	v_add_f64 v[4:5], v[4:5], 0
	s_waitcnt lgkmcnt(7)
	v_mul_f64 v[10:11], v[108:109], v[68:69]
	v_fmac_f64_e32 v[8:9], v[102:103], v[66:67]
	v_add_f64 v[4:5], v[4:5], v[6:7]
	;; [unrolled: 4-line block ×3, first 2 shown]
	buffer_load_dword v204, off, s[0:3], 0 offset:216
	buffer_load_dword v221, off, s[0:3], 0 offset:212
	;; [unrolled: 1-line block ×75, first 2 shown]
	s_waitcnt lgkmcnt(5)
	v_mul_f64 v[14:15], v[172:173], v[80:81]
	v_fmac_f64_e32 v[12:13], v[114:115], v[74:75]
	v_add_f64 v[4:5], v[4:5], v[10:11]
	s_waitcnt lgkmcnt(4)
	v_mul_f64 v[16:17], v[176:177], v[84:85]
	v_fmac_f64_e32 v[14:15], v[174:175], v[82:83]
	v_add_f64 v[4:5], v[4:5], v[12:13]
	;; [unrolled: 4-line block ×5, first 2 shown]
	v_add_f64 v[4:5], v[4:5], v[20:21]
	s_waitcnt vmcnt(62)
	v_fmac_f64_e32 v[22:23], v[190:191], v[106:107]
	v_add_f64 v[8:9], v[4:5], v[22:23]
	ds_read_b128 v[4:7], v0 offset:832
	s_waitcnt lgkmcnt(1)
	v_mul_f64 v[10:11], v[198:199], v[24:25]
	v_fmac_f64_e32 v[10:11], v[200:201], v[2:3]
	v_add_f64 v[12:13], v[8:9], v[10:11]
	ds_read_b128 v[8:11], v0 offset:848
	s_waitcnt lgkmcnt(1)
	v_mul_f64 v[14:15], v[4:5], v[204:205]
	;; [unrolled: 5-line block ×4, first 2 shown]
	v_accvgpr_write_b32 a123, v25
	v_fmac_f64_e32 v[22:23], v[14:15], v[228:229]
	v_accvgpr_write_b32 a122, v24
	v_add_f64 v[24:25], v[20:21], v[22:23]
	ds_read_b128 v[20:23], v0 offset:896
	s_waitcnt lgkmcnt(1)
	v_mul_f64 v[26:27], v[16:17], v[206:207]
	v_fmac_f64_e32 v[26:27], v[18:19], v[208:209]
	v_add_f64 v[28:29], v[24:25], v[26:27]
	ds_read_b128 v[24:27], v0 offset:912
	s_waitcnt vmcnt(58) lgkmcnt(1)
	v_mul_f64 v[30:31], v[20:21], v[232:233]
	s_waitcnt vmcnt(56)
	v_fmac_f64_e32 v[30:31], v[22:23], v[236:237]
	v_add_f64 v[32:33], v[28:29], v[30:31]
	ds_read_b128 v[28:31], v0 offset:928
	s_waitcnt lgkmcnt(1)
	v_mul_f64 v[34:35], v[24:25], v[210:211]
	v_fmac_f64_e32 v[34:35], v[26:27], v[212:213]
	v_add_f64 v[36:37], v[32:33], v[34:35]
	ds_read_b128 v[32:35], v0 offset:944
	s_waitcnt vmcnt(50) lgkmcnt(1)
	v_mul_f64 v[38:39], v[28:29], v[240:241]
	s_waitcnt vmcnt(48)
	v_fmac_f64_e32 v[38:39], v[30:31], v[244:245]
	;; [unrolled: 11-line block ×4, first 2 shown]
	v_add_f64 v[120:121], v[52:53], v[54:55]
	ds_read_b128 v[52:55], v0 offset:1024
	buffer_load_dword v144, off, s[0:3], 0 offset:552
	buffer_load_dword v149, off, s[0:3], 0 offset:540
	;; [unrolled: 1-line block ×24, first 2 shown]
	v_mul_f64 v[58:59], v[78:79], v[58:59]
	s_waitcnt lgkmcnt(1)
	v_mul_f64 v[168:169], v[48:49], v[226:227]
	v_fma_f64 v[192:193], v[76:77], v[56:57], -v[58:59]
	ds_read_b128 v[56:59], v0 offset:1040
	v_fmac_f64_e32 v[168:169], v[50:51], v[230:231]
	v_mul_f64 v[64:65], v[90:91], v[64:65]
	v_mul_f64 v[60:61], v[102:103], v[60:61]
	v_add_f64 v[76:77], v[120:121], v[168:169]
	v_fma_f64 v[120:121], v[88:89], v[62:63], -v[64:65]
	buffer_load_dword v169, off, s[0:3], 0 offset:636
	buffer_load_dword v168, off, s[0:3], 0 offset:632
	;; [unrolled: 1-line block ×4, first 2 shown]
	v_fma_f64 v[194:195], v[100:101], v[66:67], -v[60:61]
	ds_read_b128 v[60:63], v0 offset:1056
	s_waitcnt vmcnt(54) lgkmcnt(2)
	v_mul_f64 v[64:65], v[52:53], v[128:129]
	s_waitcnt vmcnt(52)
	v_fmac_f64_e32 v[64:65], v[54:55], v[130:131]
	s_waitcnt lgkmcnt(1)
	v_mul_f64 v[66:67], v[56:57], v[234:235]
	v_add_f64 v[64:65], v[76:77], v[64:65]
	v_fmac_f64_e32 v[66:67], v[58:59], v[238:239]
	v_mul_f64 v[68:69], v[110:111], v[68:69]
	v_add_f64 v[64:65], v[64:65], v[66:67]
	v_fma_f64 v[196:197], v[108:109], v[70:71], -v[68:69]
	ds_read_b128 v[68:71], v0 offset:1088
	s_waitcnt vmcnt(46) lgkmcnt(1)
	v_mul_f64 v[66:67], v[60:61], v[132:133]
	s_waitcnt vmcnt(44)
	v_fmac_f64_e32 v[66:67], v[62:63], v[134:135]
	v_add_f64 v[76:77], v[64:65], v[66:67]
	ds_read_b128 v[64:67], v0 offset:1072
	v_mul_f64 v[72:73], v[114:115], v[72:73]
	v_accvgpr_write_b32 a120, v2
	v_fma_f64 v[2:3], v[112:113], v[74:75], -v[72:73]
	ds_read_b128 v[72:75], v0 offset:1104
	s_waitcnt lgkmcnt(1)
	v_mul_f64 v[78:79], v[64:65], v[242:243]
	v_fmac_f64_e32 v[78:79], v[66:67], v[246:247]
	v_add_f64 v[76:77], v[76:77], v[78:79]
	s_waitcnt vmcnt(38)
	v_mul_f64 v[78:79], v[68:69], v[136:137]
	s_waitcnt vmcnt(36)
	v_fmac_f64_e32 v[78:79], v[70:71], v[138:139]
	v_add_f64 v[76:77], v[76:77], v[78:79]
	s_waitcnt lgkmcnt(0)
	v_mul_f64 v[78:79], v[72:73], v[250:251]
	v_fmac_f64_e32 v[78:79], v[74:75], v[254:255]
	v_add_f64 v[88:89], v[76:77], v[78:79]
	ds_read_b128 v[76:79], v0 offset:1120
	v_mul_f64 v[80:81], v[174:175], v[80:81]
	v_fma_f64 v[172:173], v[172:173], v[82:83], -v[80:81]
	ds_read_b128 v[80:83], v0 offset:1136
	v_mul_f64 v[84:85], v[178:179], v[84:85]
	s_waitcnt vmcnt(30) lgkmcnt(1)
	v_mul_f64 v[90:91], v[76:77], v[140:141]
	s_waitcnt vmcnt(28)
	v_fmac_f64_e32 v[90:91], v[78:79], v[142:143]
	v_add_f64 v[88:89], v[88:89], v[90:91]
	v_fma_f64 v[178:179], v[176:177], v[86:87], -v[84:85]
	ds_read_b128 v[84:87], v0 offset:1152
	s_waitcnt lgkmcnt(1)
	v_mul_f64 v[90:91], v[80:81], v[122:123]
	v_fmac_f64_e32 v[90:91], v[82:83], v[126:127]
	v_add_f64 v[100:101], v[88:89], v[90:91]
	ds_read_b128 v[88:91], v0 offset:1168
	v_mul_f64 v[92:93], v[182:183], v[92:93]
	v_fma_f64 v[180:181], v[180:181], v[94:95], -v[92:93]
	ds_read_b128 v[92:95], v0 offset:1184
	v_mul_f64 v[96:97], v[186:187], v[96:97]
	v_fma_f64 v[182:183], v[184:185], v[98:99], -v[96:97]
	;; [unrolled: 3-line block ×4, first 2 shown]
	s_waitcnt vmcnt(25) lgkmcnt(4)
	v_mul_f64 v[102:103], v[84:85], v[148:149]
	s_waitcnt vmcnt(23)
	v_fmac_f64_e32 v[102:103], v[86:87], v[152:153]
	v_add_f64 v[100:101], v[100:101], v[102:103]
	s_waitcnt vmcnt(21) lgkmcnt(3)
	v_mul_f64 v[102:103], v[88:89], v[144:145]
	s_waitcnt vmcnt(20)
	v_fmac_f64_e32 v[102:103], v[90:91], v[146:147]
	v_add_f64 v[108:109], v[100:101], v[102:103]
	ds_read_b128 v[100:103], v0 offset:1200
	s_waitcnt vmcnt(18) lgkmcnt(3)
	v_mul_f64 v[110:111], v[92:93], v[150:151]
	s_waitcnt vmcnt(16)
	v_fmac_f64_e32 v[110:111], v[94:95], v[154:155]
	v_add_f64 v[108:109], v[108:109], v[110:111]
	s_waitcnt vmcnt(14) lgkmcnt(0)
	v_mul_f64 v[110:111], v[100:101], v[158:159]
	s_waitcnt vmcnt(12)
	v_fmac_f64_e32 v[110:111], v[102:103], v[160:161]
	v_add_f64 v[108:109], v[108:109], v[110:111]
	s_waitcnt vmcnt(9)
	v_mul_f64 v[110:111], v[96:97], v[164:165]
	s_waitcnt vmcnt(7)
	v_fmac_f64_e32 v[110:111], v[98:99], v[166:167]
	v_add_f64 v[108:109], v[108:109], v[110:111]
	s_waitcnt vmcnt(5)
	v_mul_f64 v[110:111], v[104:105], v[156:157]
	s_waitcnt vmcnt(4)
	v_fmac_f64_e32 v[110:111], v[106:107], v[162:163]
	v_add_f64 v[112:113], v[108:109], v[110:111]
	ds_read_b128 v[108:111], v0 offset:1248
	buffer_load_dword v174, off, s[0:3], 0 offset:648
	buffer_load_dword v175, off, s[0:3], 0 offset:652
	;; [unrolled: 1-line block ×4, first 2 shown]
	s_waitcnt vmcnt(6) lgkmcnt(0)
	v_mul_f64 v[114:115], v[108:109], v[168:169]
	s_waitcnt vmcnt(4)
	v_fmac_f64_e32 v[114:115], v[110:111], v[170:171]
	v_add_f64 v[186:187], v[112:113], v[114:115]
	ds_read_b128 v[112:115], v0 offset:1264
	s_waitcnt vmcnt(2) lgkmcnt(0)
	v_mul_f64 v[188:189], v[112:113], v[174:175]
	s_waitcnt vmcnt(0)
	v_fmac_f64_e32 v[188:189], v[114:115], v[176:177]
	v_add_f64 v[188:189], v[186:187], v[188:189]
	v_add_f64 v[186:187], v[192:193], 0
	;; [unrolled: 1-line block ×8, first 2 shown]
	buffer_load_dword v0, off, s[0:3], 0 offset:16
	buffer_load_dword v1, off, s[0:3], 0 offset:20
	;; [unrolled: 1-line block ×4, first 2 shown]
	v_accvgpr_read_b32 v2, a122
	v_accvgpr_read_b32 v3, a123
	v_add_f64 v[186:187], v[120:121], v[180:181]
	v_mul_f64 v[172:173], v[200:201], v[2:3]
	v_accvgpr_read_b32 v2, a120
	v_add_f64 v[120:121], v[186:187], v[182:183]
	v_accvgpr_read_b32 v3, a121
	v_add_f64 v[120:121], v[120:121], v[184:185]
	v_fma_f64 v[2:3], v[198:199], v[2:3], -v[172:173]
	v_add_f64 v[2:3], v[120:121], v[2:3]
	v_add_f64 v[2:3], v[2:3], v[4:5]
	v_mul_f64 v[4:5], v[10:11], v[116:117]
	v_fma_f64 v[4:5], v[8:9], v[202:203], -v[4:5]
	v_add_f64 v[2:3], v[2:3], v[4:5]
	v_mul_f64 v[4:5], v[14:15], v[224:225]
	v_fma_f64 v[4:5], v[12:13], v[228:229], -v[4:5]
	;; [unrolled: 3-line block ×27, first 2 shown]
	v_add_f64 v[2:3], v[2:3], v[4:5]
	s_waitcnt vmcnt(2)
	v_add_f64 v[0:1], v[0:1], -v[2:3]
	s_waitcnt vmcnt(0)
	v_add_f64 v[2:3], v[178:179], -v[188:189]
	buffer_store_dword v1, off, s[0:3], 0 offset:20
	buffer_store_dword v0, off, s[0:3], 0 offset:16
	;; [unrolled: 1-line block ×4, first 2 shown]
	s_cbranch_vccz .LBB39_333
; %bb.254:
	v_pk_mov_b32 v[0:1], s[10:11], s[10:11] op_sel:[0,1]
	flat_load_dword v0, v[0:1] offset:152
	s_waitcnt vmcnt(0) lgkmcnt(0)
	v_add_u32_e32 v0, -1, v0
	v_cmp_ne_u32_e32 vcc, 38, v0
	s_and_saveexec_b64 s[4:5], vcc
	s_cbranch_execz .LBB39_256
; %bb.255:
	v_mov_b32_e32 v1, 16
	v_accvgpr_read_b32 v9, a81
	v_lshl_add_u32 v0, v0, 4, v1
	buffer_load_dword v1, v9, s[0:3], 0 offen offset:4
	buffer_load_dword v2, v9, s[0:3], 0 offen offset:8
	buffer_load_dword v3, v9, s[0:3], 0 offen offset:12
	buffer_load_dword v4, v0, s[0:3], 0 offen
	buffer_load_dword v5, v0, s[0:3], 0 offen offset:4
	buffer_load_dword v6, v0, s[0:3], 0 offen offset:8
	buffer_load_dword v7, v0, s[0:3], 0 offen offset:12
	buffer_load_dword v8, v9, s[0:3], 0 offen
	s_waitcnt vmcnt(4)
	buffer_store_dword v4, v9, s[0:3], 0 offen
	s_waitcnt vmcnt(4)
	buffer_store_dword v5, v9, s[0:3], 0 offen offset:4
	s_waitcnt vmcnt(4)
	buffer_store_dword v6, v9, s[0:3], 0 offen offset:8
	s_waitcnt vmcnt(4)
	buffer_store_dword v7, v9, s[0:3], 0 offen offset:12
	buffer_store_dword v3, v0, s[0:3], 0 offen offset:12
	buffer_store_dword v2, v0, s[0:3], 0 offen offset:8
	buffer_store_dword v1, v0, s[0:3], 0 offen offset:4
	s_waitcnt vmcnt(7)
	buffer_store_dword v8, v0, s[0:3], 0 offen
.LBB39_256:
	s_or_b64 exec, exec, s[4:5]
	v_pk_mov_b32 v[0:1], s[10:11], s[10:11] op_sel:[0,1]
	flat_load_dword v0, v[0:1] offset:148
	s_waitcnt vmcnt(0) lgkmcnt(0)
	v_add_u32_e32 v0, -1, v0
	v_cmp_ne_u32_e32 vcc, 37, v0
	s_and_saveexec_b64 s[4:5], vcc
	s_cbranch_execz .LBB39_258
; %bb.257:
	v_mov_b32_e32 v1, 16
	v_accvgpr_read_b32 v9, a82
	v_lshl_add_u32 v0, v0, 4, v1
	buffer_load_dword v1, v9, s[0:3], 0 offen offset:4
	buffer_load_dword v2, v9, s[0:3], 0 offen offset:8
	buffer_load_dword v3, v9, s[0:3], 0 offen offset:12
	buffer_load_dword v4, v0, s[0:3], 0 offen
	buffer_load_dword v5, v0, s[0:3], 0 offen offset:4
	buffer_load_dword v6, v0, s[0:3], 0 offen offset:8
	buffer_load_dword v7, v0, s[0:3], 0 offen offset:12
	buffer_load_dword v8, v9, s[0:3], 0 offen
	s_waitcnt vmcnt(4)
	buffer_store_dword v4, v9, s[0:3], 0 offen
	s_waitcnt vmcnt(4)
	buffer_store_dword v5, v9, s[0:3], 0 offen offset:4
	s_waitcnt vmcnt(4)
	buffer_store_dword v6, v9, s[0:3], 0 offen offset:8
	s_waitcnt vmcnt(4)
	buffer_store_dword v7, v9, s[0:3], 0 offen offset:12
	buffer_store_dword v3, v0, s[0:3], 0 offen offset:12
	buffer_store_dword v2, v0, s[0:3], 0 offen offset:8
	buffer_store_dword v1, v0, s[0:3], 0 offen offset:4
	s_waitcnt vmcnt(7)
	buffer_store_dword v8, v0, s[0:3], 0 offen
.LBB39_258:
	s_or_b64 exec, exec, s[4:5]
	;; [unrolled: 34-line block ×38, first 2 shown]
	v_pk_mov_b32 v[0:1], s[10:11], s[10:11] op_sel:[0,1]
	flat_load_dword v0, v[0:1]
	s_waitcnt vmcnt(0) lgkmcnt(0)
	v_add_u32_e32 v0, -1, v0
	v_cmp_ne_u32_e32 vcc, 0, v0
	s_and_saveexec_b64 s[4:5], vcc
	s_cbranch_execz .LBB39_332
; %bb.331:
	v_mov_b32_e32 v1, 16
	v_lshl_add_u32 v0, v0, 4, v1
	buffer_load_dword v1, v0, s[0:3], 0 offen
	buffer_load_dword v2, v0, s[0:3], 0 offen offset:4
	buffer_load_dword v3, v0, s[0:3], 0 offen offset:8
	;; [unrolled: 1-line block ×3, first 2 shown]
	buffer_load_dword v5, off, s[0:3], 0 offset:28
	buffer_load_dword v6, off, s[0:3], 0 offset:24
	;; [unrolled: 1-line block ×4, first 2 shown]
	s_waitcnt vmcnt(7)
	buffer_store_dword v1, off, s[0:3], 0 offset:16
	s_waitcnt vmcnt(7)
	buffer_store_dword v2, off, s[0:3], 0 offset:20
	;; [unrolled: 2-line block ×4, first 2 shown]
	s_waitcnt vmcnt(7)
	buffer_store_dword v5, v0, s[0:3], 0 offen offset:12
	s_waitcnt vmcnt(7)
	buffer_store_dword v6, v0, s[0:3], 0 offen offset:8
	;; [unrolled: 2-line block ×3, first 2 shown]
	s_waitcnt vmcnt(7)
	buffer_store_dword v8, v0, s[0:3], 0 offen
.LBB39_332:
	s_or_b64 exec, exec, s[4:5]
.LBB39_333:
	buffer_load_dword v0, off, s[0:3], 0 offset:16
	buffer_load_dword v1, off, s[0:3], 0 offset:20
	;; [unrolled: 1-line block ×4, first 2 shown]
	v_accvgpr_read_b32 v4, a118
	buffer_load_dword v5, v4, s[0:3], 0 offen offset:4
	buffer_load_dword v6, v4, s[0:3], 0 offen offset:8
	buffer_load_dword v7, v4, s[0:3], 0 offen offset:12
	v_accvgpr_read_b32 v11, a117
	buffer_load_dword v8, v11, s[0:3], 0 offen
	buffer_load_dword v9, v11, s[0:3], 0 offen offset:4
	buffer_load_dword v10, v11, s[0:3], 0 offen offset:8
	s_nop 0
	buffer_load_dword v4, v4, s[0:3], 0 offen
	s_nop 0
	buffer_load_dword v11, v11, s[0:3], 0 offen offset:12
	v_accvgpr_read_b32 v12, a116
	buffer_load_dword v13, v12, s[0:3], 0 offen offset:4
	buffer_load_dword v14, v12, s[0:3], 0 offen offset:8
	buffer_load_dword v15, v12, s[0:3], 0 offen offset:12
	v_accvgpr_read_b32 v19, a115
	buffer_load_dword v16, v19, s[0:3], 0 offen
	buffer_load_dword v17, v19, s[0:3], 0 offen offset:4
	buffer_load_dword v18, v19, s[0:3], 0 offen offset:8
	s_nop 0
	buffer_load_dword v12, v12, s[0:3], 0 offen
	s_nop 0
	buffer_load_dword v19, v19, s[0:3], 0 offen offset:12
	;; [unrolled: 12-line block ×15, first 2 shown]
	v_accvgpr_read_b32 v121, a88
	buffer_load_dword v127, v121, s[0:3], 0 offen offset:4
	buffer_load_dword v128, v121, s[0:3], 0 offen offset:8
	buffer_load_dword v129, v121, s[0:3], 0 offen offset:12
	v_accvgpr_read_b32 v120, a87
	buffer_load_dword v130, v120, s[0:3], 0 offen
	buffer_load_dword v131, v120, s[0:3], 0 offen offset:4
	buffer_load_dword v132, v120, s[0:3], 0 offen offset:8
	buffer_load_dword v126, v121, s[0:3], 0 offen
	buffer_load_dword v133, v120, s[0:3], 0 offen offset:12
	v_accvgpr_read_b32 v121, a86
	buffer_load_dword v135, v121, s[0:3], 0 offen offset:4
	buffer_load_dword v136, v121, s[0:3], 0 offen offset:8
	buffer_load_dword v137, v121, s[0:3], 0 offen offset:12
	v_accvgpr_read_b32 v120, a85
	buffer_load_dword v138, v120, s[0:3], 0 offen
	buffer_load_dword v139, v120, s[0:3], 0 offen offset:4
	buffer_load_dword v140, v120, s[0:3], 0 offen offset:8
	buffer_load_dword v134, v121, s[0:3], 0 offen
	buffer_load_dword v141, v120, s[0:3], 0 offen offset:12
	;; [unrolled: 10-line block ×4, first 2 shown]
	v_accvgpr_read_b32 v120, a80
	buffer_load_dword v158, v120, s[0:3], 0 offen
	buffer_load_dword v159, v120, s[0:3], 0 offen offset:4
	buffer_load_dword v160, v120, s[0:3], 0 offen offset:8
	;; [unrolled: 1-line block ×3, first 2 shown]
	v_accvgpr_read_b32 v121, a3
	v_accvgpr_read_b32 v120, a2
	s_waitcnt vmcnt(62)
	global_store_dwordx4 v[120:121], v[0:3], off
	s_nop 0
	v_accvgpr_read_b32 v0, a4
	v_accvgpr_read_b32 v1, a5
	global_store_dwordx4 v[0:1], v[4:7], off
	v_accvgpr_read_b32 v0, a0
	v_accvgpr_read_b32 v1, a1
	global_store_dwordx4 v[0:1], v[8:11], off
	;; [unrolled: 3-line block ×22, first 2 shown]
	v_accvgpr_read_b32 v0, a48
	v_accvgpr_read_b32 v1, a49
	s_waitcnt vmcnt(62)
	global_store_dwordx4 v[0:1], v[92:95], off
	v_accvgpr_read_b32 v0, a50
	v_accvgpr_read_b32 v1, a51
	global_store_dwordx4 v[0:1], v[96:99], off
	v_accvgpr_read_b32 v0, a52
	v_accvgpr_read_b32 v1, a53
	;; [unrolled: 3-line block ×6, first 2 shown]
	s_waitcnt vmcnt(62)
	global_store_dwordx4 v[0:1], v[116:119], off
	v_accvgpr_read_b32 v0, a62
	v_accvgpr_read_b32 v1, a63
	global_store_dwordx4 v[0:1], v[122:125], off
	v_accvgpr_read_b32 v0, a64
	v_accvgpr_read_b32 v1, a65
	s_waitcnt vmcnt(60)
	global_store_dwordx4 v[0:1], v[126:129], off
	v_accvgpr_read_b32 v0, a66
	v_accvgpr_read_b32 v1, a67
	s_waitcnt vmcnt(60)
	;; [unrolled: 4-line block ×9, first 2 shown]
	global_store_dwordx4 v[0:1], v[158:161], off
	s_endpgm
	.section	.rodata,"a",@progbits
	.p2align	6, 0x0
	.amdhsa_kernel _ZN9rocsolver6v33100L18getri_kernel_smallILi40E19rocblas_complex_numIdEPS3_EEvT1_iilPiilS6_bb
		.amdhsa_group_segment_fixed_size 1288
		.amdhsa_private_segment_fixed_size 672
		.amdhsa_kernarg_size 60
		.amdhsa_user_sgpr_count 8
		.amdhsa_user_sgpr_private_segment_buffer 1
		.amdhsa_user_sgpr_dispatch_ptr 0
		.amdhsa_user_sgpr_queue_ptr 0
		.amdhsa_user_sgpr_kernarg_segment_ptr 1
		.amdhsa_user_sgpr_dispatch_id 0
		.amdhsa_user_sgpr_flat_scratch_init 1
		.amdhsa_user_sgpr_kernarg_preload_length 0
		.amdhsa_user_sgpr_kernarg_preload_offset 0
		.amdhsa_user_sgpr_private_segment_size 0
		.amdhsa_uses_dynamic_stack 0
		.amdhsa_system_sgpr_private_segment_wavefront_offset 1
		.amdhsa_system_sgpr_workgroup_id_x 1
		.amdhsa_system_sgpr_workgroup_id_y 0
		.amdhsa_system_sgpr_workgroup_id_z 0
		.amdhsa_system_sgpr_workgroup_info 0
		.amdhsa_system_vgpr_workitem_id 0
		.amdhsa_next_free_vgpr 380
		.amdhsa_next_free_sgpr 23
		.amdhsa_accum_offset 256
		.amdhsa_reserve_vcc 1
		.amdhsa_reserve_flat_scratch 1
		.amdhsa_float_round_mode_32 0
		.amdhsa_float_round_mode_16_64 0
		.amdhsa_float_denorm_mode_32 3
		.amdhsa_float_denorm_mode_16_64 3
		.amdhsa_dx10_clamp 1
		.amdhsa_ieee_mode 1
		.amdhsa_fp16_overflow 0
		.amdhsa_tg_split 0
		.amdhsa_exception_fp_ieee_invalid_op 0
		.amdhsa_exception_fp_denorm_src 0
		.amdhsa_exception_fp_ieee_div_zero 0
		.amdhsa_exception_fp_ieee_overflow 0
		.amdhsa_exception_fp_ieee_underflow 0
		.amdhsa_exception_fp_ieee_inexact 0
		.amdhsa_exception_int_div_zero 0
	.end_amdhsa_kernel
	.section	.text._ZN9rocsolver6v33100L18getri_kernel_smallILi40E19rocblas_complex_numIdEPS3_EEvT1_iilPiilS6_bb,"axG",@progbits,_ZN9rocsolver6v33100L18getri_kernel_smallILi40E19rocblas_complex_numIdEPS3_EEvT1_iilPiilS6_bb,comdat
.Lfunc_end39:
	.size	_ZN9rocsolver6v33100L18getri_kernel_smallILi40E19rocblas_complex_numIdEPS3_EEvT1_iilPiilS6_bb, .Lfunc_end39-_ZN9rocsolver6v33100L18getri_kernel_smallILi40E19rocblas_complex_numIdEPS3_EEvT1_iilPiilS6_bb
                                        ; -- End function
	.section	.AMDGPU.csdata,"",@progbits
; Kernel info:
; codeLenInByte = 106624
; NumSgprs: 29
; NumVgprs: 256
; NumAgprs: 124
; TotalNumVgprs: 380
; ScratchSize: 672
; MemoryBound: 0
; FloatMode: 240
; IeeeMode: 1
; LDSByteSize: 1288 bytes/workgroup (compile time only)
; SGPRBlocks: 3
; VGPRBlocks: 47
; NumSGPRsForWavesPerEU: 29
; NumVGPRsForWavesPerEU: 380
; AccumOffset: 256
; Occupancy: 1
; WaveLimiterHint : 1
; COMPUTE_PGM_RSRC2:SCRATCH_EN: 1
; COMPUTE_PGM_RSRC2:USER_SGPR: 8
; COMPUTE_PGM_RSRC2:TRAP_HANDLER: 0
; COMPUTE_PGM_RSRC2:TGID_X_EN: 1
; COMPUTE_PGM_RSRC2:TGID_Y_EN: 0
; COMPUTE_PGM_RSRC2:TGID_Z_EN: 0
; COMPUTE_PGM_RSRC2:TIDIG_COMP_CNT: 0
; COMPUTE_PGM_RSRC3_GFX90A:ACCUM_OFFSET: 63
; COMPUTE_PGM_RSRC3_GFX90A:TG_SPLIT: 0
	.section	.text._ZN9rocsolver6v33100L18getri_kernel_smallILi41E19rocblas_complex_numIdEPS3_EEvT1_iilPiilS6_bb,"axG",@progbits,_ZN9rocsolver6v33100L18getri_kernel_smallILi41E19rocblas_complex_numIdEPS3_EEvT1_iilPiilS6_bb,comdat
	.globl	_ZN9rocsolver6v33100L18getri_kernel_smallILi41E19rocblas_complex_numIdEPS3_EEvT1_iilPiilS6_bb ; -- Begin function _ZN9rocsolver6v33100L18getri_kernel_smallILi41E19rocblas_complex_numIdEPS3_EEvT1_iilPiilS6_bb
	.p2align	8
	.type	_ZN9rocsolver6v33100L18getri_kernel_smallILi41E19rocblas_complex_numIdEPS3_EEvT1_iilPiilS6_bb,@function
_ZN9rocsolver6v33100L18getri_kernel_smallILi41E19rocblas_complex_numIdEPS3_EEvT1_iilPiilS6_bb: ; @_ZN9rocsolver6v33100L18getri_kernel_smallILi41E19rocblas_complex_numIdEPS3_EEvT1_iilPiilS6_bb
; %bb.0:
	s_add_u32 flat_scratch_lo, s6, s9
	s_addc_u32 flat_scratch_hi, s7, 0
	s_add_u32 s0, s0, s9
	v_mov_b32_e32 v254, v0
	s_addc_u32 s1, s1, 0
	v_cmp_gt_u32_e32 vcc, 41, v254
	s_and_saveexec_b64 s[6:7], vcc
	s_cbranch_execz .LBB40_178
; %bb.1:
	s_load_dword s22, s[4:5], 0x38
	s_load_dwordx4 s[16:19], s[4:5], 0x10
	s_load_dwordx4 s[12:15], s[4:5], 0x28
                                        ; implicit-def: $sgpr10_sgpr11
	s_waitcnt lgkmcnt(0)
	s_bitcmp1_b32 s22, 8
	s_cselect_b64 s[20:21], -1, 0
	s_ashr_i32 s9, s8, 31
	s_bfe_u32 s6, s22, 0x10008
	s_cmp_eq_u32 s6, 0
	s_cbranch_scc1 .LBB40_3
; %bb.2:
	s_load_dword s6, s[4:5], 0x20
	s_mul_i32 s7, s8, s13
	s_mul_hi_u32 s10, s8, s12
	s_mul_i32 s11, s9, s12
	s_add_i32 s10, s10, s7
	s_add_i32 s11, s10, s11
	s_mul_i32 s10, s8, s12
	s_waitcnt lgkmcnt(0)
	s_ashr_i32 s7, s6, 31
	s_lshl_b64 s[10:11], s[10:11], 2
	s_add_u32 s10, s18, s10
	s_addc_u32 s11, s19, s11
	s_lshl_b64 s[6:7], s[6:7], 2
	s_add_u32 s10, s10, s6
	s_addc_u32 s11, s11, s7
.LBB40_3:
	s_load_dwordx4 s[4:7], s[4:5], 0x0
	s_mul_i32 s12, s8, s17
	s_mul_hi_u32 s13, s8, s16
	s_add_i32 s17, s13, s12
	v_lshlrev_b32_e32 v1, 4, v254
	s_waitcnt lgkmcnt(0)
	s_ashr_i32 s13, s6, 31
	s_mov_b32 s12, s6
	s_mul_i32 s6, s9, s16
	s_add_i32 s17, s17, s6
	s_mul_i32 s16, s8, s16
	s_lshl_b64 s[16:17], s[16:17], 4
	s_add_u32 s6, s4, s16
	s_addc_u32 s16, s5, s17
	s_lshl_b64 s[4:5], s[12:13], 4
	s_add_u32 s4, s6, s4
	s_addc_u32 s5, s16, s5
	s_mov_b32 s12, s7
	s_ashr_i32 s13, s7, 31
	v_mov_b32_e32 v0, s5
	v_add_co_u32_e32 v12, vcc, s4, v1
	global_load_dwordx4 v[2:5], v1, s[4:5]
	s_lshl_b64 s[12:13], s[12:13], 4
	v_addc_co_u32_e32 v13, vcc, 0, v0, vcc
	s_add_i32 s6, s7, s7
	v_mov_b32_e32 v0, s13
	v_add_co_u32_e32 v14, vcc, s12, v12
	v_add_u32_e32 v6, s6, v254
	v_addc_co_u32_e32 v15, vcc, v13, v0, vcc
	v_accvgpr_write_b32 a2, v14
	v_ashrrev_i32_e32 v7, 31, v6
	v_accvgpr_write_b32 a3, v15
	global_load_dwordx4 v[14:17], v[14:15], off
	v_add_u32_e32 v8, s7, v6
	v_accvgpr_write_b32 a0, v12
	v_lshlrev_b64 v[6:7], 4, v[6:7]
	v_mov_b32_e32 v10, s5
	v_accvgpr_write_b32 a1, v13
	v_add_co_u32_e32 v12, vcc, s4, v6
	v_addc_co_u32_e32 v13, vcc, v10, v7, vcc
	v_accvgpr_write_b32 a4, v12
	v_ashrrev_i32_e32 v9, 31, v8
	v_accvgpr_write_b32 a5, v13
	global_load_dwordx4 v[10:13], v[12:13], off
	v_lshlrev_b64 v[6:7], 4, v[8:9]
	v_mov_b32_e32 v20, s5
	v_add_co_u32_e32 v22, vcc, s4, v6
	v_add_u32_e32 v18, s7, v8
	v_addc_co_u32_e32 v23, vcc, v20, v7, vcc
	v_accvgpr_write_b32 a6, v22
	v_ashrrev_i32_e32 v19, 31, v18
	v_accvgpr_write_b32 a7, v23
	global_load_dwordx4 v[22:25], v[22:23], off
	v_lshlrev_b64 v[6:7], 4, v[18:19]
	v_mov_b32_e32 v21, s5
	v_add_u32_e32 v8, s7, v18
	v_add_co_u32_e32 v18, vcc, s4, v6
	v_addc_co_u32_e32 v19, vcc, v21, v7, vcc
	v_accvgpr_write_b32 a8, v18
	v_ashrrev_i32_e32 v9, 31, v8
	v_accvgpr_write_b32 a9, v19
	global_load_dwordx4 v[18:21], v[18:19], off
	v_lshlrev_b64 v[6:7], 4, v[8:9]
	v_mov_b32_e32 v28, s5
	v_add_co_u32_e32 v30, vcc, s4, v6
	v_add_u32_e32 v26, s7, v8
	v_addc_co_u32_e32 v31, vcc, v28, v7, vcc
	v_accvgpr_write_b32 a10, v30
	v_ashrrev_i32_e32 v27, 31, v26
	v_accvgpr_write_b32 a11, v31
	global_load_dwordx4 v[30:33], v[30:31], off
	v_lshlrev_b64 v[6:7], 4, v[26:27]
	v_mov_b32_e32 v29, s5
	v_add_u32_e32 v8, s7, v26
	v_add_co_u32_e32 v26, vcc, s4, v6
	v_ashrrev_i32_e32 v9, 31, v8
	v_addc_co_u32_e32 v27, vcc, v29, v7, vcc
	v_accvgpr_write_b32 a12, v26
	v_add_u32_e32 v42, s7, v8
	v_lshlrev_b64 v[6:7], 4, v[8:9]
	v_accvgpr_write_b32 a13, v27
	global_load_dwordx4 v[26:29], v[26:27], off
	v_mov_b32_e32 v34, s5
	v_ashrrev_i32_e32 v43, 31, v42
	v_add_co_u32_e32 v8, vcc, s4, v6
	v_addc_co_u32_e32 v9, vcc, v34, v7, vcc
	v_lshlrev_b64 v[6:7], 4, v[42:43]
	v_mov_b32_e32 v35, s5
	v_add_co_u32_e32 v6, vcc, s4, v6
	v_addc_co_u32_e32 v7, vcc, v35, v7, vcc
	global_load_dwordx4 v[34:37], v[8:9], off
	v_accvgpr_write_b32 a17, v7
	v_accvgpr_write_b32 a16, v6
	global_load_dwordx4 v[38:41], v[6:7], off
	v_add_u32_e32 v6, s7, v42
	v_accvgpr_write_b32 a15, v9
	v_ashrrev_i32_e32 v7, 31, v6
	v_accvgpr_write_b32 a14, v8
	v_lshlrev_b64 v[8:9], 4, v[6:7]
	v_mov_b32_e32 v0, s5
	v_add_co_u32_e32 v42, vcc, s4, v8
	v_addc_co_u32_e32 v43, vcc, v0, v9, vcc
	v_add_u32_e32 v6, s7, v6
	v_accvgpr_write_b32 a18, v42
	v_ashrrev_i32_e32 v7, 31, v6
	v_accvgpr_write_b32 a19, v43
	global_load_dwordx4 v[42:45], v[42:43], off
	v_lshlrev_b64 v[8:9], 4, v[6:7]
	v_add_co_u32_e32 v8, vcc, s4, v8
	v_addc_co_u32_e32 v9, vcc, v0, v9, vcc
	v_add_u32_e32 v6, s7, v6
	v_accvgpr_write_b32 a21, v9
	global_load_dwordx4 v[46:49], v[8:9], off
	v_ashrrev_i32_e32 v7, 31, v6
	v_accvgpr_write_b32 a20, v8
	v_lshlrev_b64 v[8:9], 4, v[6:7]
	v_add_co_u32_e32 v50, vcc, s4, v8
	v_addc_co_u32_e32 v51, vcc, v0, v9, vcc
	v_add_u32_e32 v6, s7, v6
	v_accvgpr_write_b32 a22, v50
	v_ashrrev_i32_e32 v7, 31, v6
	v_accvgpr_write_b32 a23, v51
	global_load_dwordx4 v[50:53], v[50:51], off
	v_lshlrev_b64 v[8:9], 4, v[6:7]
	v_add_co_u32_e32 v8, vcc, s4, v8
	v_addc_co_u32_e32 v9, vcc, v0, v9, vcc
	v_add_u32_e32 v6, s7, v6
	v_accvgpr_write_b32 a25, v9
	global_load_dwordx4 v[54:57], v[8:9], off
	v_ashrrev_i32_e32 v7, 31, v6
	v_accvgpr_write_b32 a24, v8
	v_lshlrev_b64 v[8:9], 4, v[6:7]
	;; [unrolled: 16-line block ×5, first 2 shown]
	v_add_co_u32_e32 v8, vcc, s4, v8
	v_add_u32_e32 v86, s7, v6
	v_addc_co_u32_e32 v9, vcc, v0, v9, vcc
	v_ashrrev_i32_e32 v87, 31, v86
	global_load_dwordx4 v[82:85], v[8:9], off
	v_lshlrev_b64 v[6:7], 4, v[86:87]
	v_add_co_u32_e32 v6, vcc, s4, v6
	v_addc_co_u32_e32 v7, vcc, v0, v7, vcc
	v_accvgpr_write_b32 a39, v9
	v_accvgpr_write_b32 a41, v7
	;; [unrolled: 1-line block ×4, first 2 shown]
	global_load_dwordx4 v[6:9], v[6:7], off
	s_bitcmp0_b32 s22, 0
	s_waitcnt vmcnt(20)
	buffer_store_dword v5, off, s[0:3], 0 offset:28
	buffer_store_dword v4, off, s[0:3], 0 offset:24
	buffer_store_dword v3, off, s[0:3], 0 offset:20
	buffer_store_dword v2, off, s[0:3], 0 offset:16
	s_waitcnt vmcnt(23)
	buffer_store_dword v17, off, s[0:3], 0 offset:44
	buffer_store_dword v16, off, s[0:3], 0 offset:40
	buffer_store_dword v15, off, s[0:3], 0 offset:36
	buffer_store_dword v14, off, s[0:3], 0 offset:32
	;; [unrolled: 5-line block ×16, first 2 shown]
	buffer_store_dword v73, off, s[0:3], 0 offset:284
	buffer_store_dword v72, off, s[0:3], 0 offset:280
	;; [unrolled: 1-line block ×12, first 2 shown]
	s_waitcnt vmcnt(62)
	buffer_store_dword v85, off, s[0:3], 0 offset:332
	buffer_store_dword v84, off, s[0:3], 0 offset:328
	;; [unrolled: 1-line block ×5, first 2 shown]
	v_add_u32_e32 v2, s7, v86
	v_ashrrev_i32_e32 v3, 31, v2
	v_lshlrev_b64 v[4:5], 4, v[2:3]
	v_add_u32_e32 v14, s7, v2
	v_add_co_u32_e32 v4, vcc, s4, v4
	v_ashrrev_i32_e32 v15, 31, v14
	v_addc_co_u32_e32 v5, vcc, v0, v5, vcc
	v_lshlrev_b64 v[2:3], 4, v[14:15]
	v_add_co_u32_e32 v10, vcc, s4, v2
	v_accvgpr_write_b32 a43, v5
	v_addc_co_u32_e32 v11, vcc, v0, v3, vcc
	v_accvgpr_write_b32 a42, v4
	global_load_dwordx4 v[2:5], v[4:5], off
	v_add_u32_e32 v14, s7, v14
	v_accvgpr_write_b32 a45, v11
	v_ashrrev_i32_e32 v15, 31, v14
	v_accvgpr_write_b32 a44, v10
	global_load_dwordx4 v[10:13], v[10:11], off
	v_lshlrev_b64 v[16:17], 4, v[14:15]
	v_add_u32_e32 v22, s7, v14
	v_add_co_u32_e32 v16, vcc, s4, v16
	v_ashrrev_i32_e32 v23, 31, v22
	v_addc_co_u32_e32 v17, vcc, v0, v17, vcc
	v_lshlrev_b64 v[14:15], 4, v[22:23]
	v_add_co_u32_e32 v18, vcc, s4, v14
	v_accvgpr_write_b32 a47, v17
	v_addc_co_u32_e32 v19, vcc, v0, v15, vcc
	v_accvgpr_write_b32 a46, v16
	global_load_dwordx4 v[14:17], v[16:17], off
	v_add_u32_e32 v22, s7, v22
	v_accvgpr_write_b32 a49, v19
	v_ashrrev_i32_e32 v23, 31, v22
	v_accvgpr_write_b32 a48, v18
	global_load_dwordx4 v[18:21], v[18:19], off
	;; [unrolled: 16-line block ×8, first 2 shown]
	v_lshlrev_b64 v[72:73], 4, v[70:71]
	v_add_u32_e32 v78, s7, v70
	v_add_co_u32_e32 v72, vcc, s4, v72
	v_ashrrev_i32_e32 v79, 31, v78
	v_addc_co_u32_e32 v73, vcc, v0, v73, vcc
	v_lshlrev_b64 v[70:71], 4, v[78:79]
	v_add_co_u32_e32 v74, vcc, s4, v70
	v_accvgpr_write_b32 a75, v73
	v_addc_co_u32_e32 v75, vcc, v0, v71, vcc
	v_accvgpr_write_b32 a74, v72
	global_load_dwordx4 v[70:73], v[72:73], off
	v_accvgpr_write_b32 a77, v75
	v_add_u32_e32 v78, s7, v78
	v_accvgpr_write_b32 a76, v74
	global_load_dwordx4 v[74:77], v[74:75], off
	v_ashrrev_i32_e32 v79, 31, v78
	v_lshlrev_b64 v[80:81], 4, v[78:79]
	v_add_co_u32_e32 v80, vcc, s4, v80
	v_add_u32_e32 v78, s7, v78
	v_addc_co_u32_e32 v81, vcc, v0, v81, vcc
	v_ashrrev_i32_e32 v79, 31, v78
	v_accvgpr_write_b32 a78, v80
	v_lshlrev_b64 v[82:83], 4, v[78:79]
	v_accvgpr_write_b32 a79, v81
	global_load_dwordx4 v[78:81], v[80:81], off
	v_add_co_u32_e32 v82, vcc, s4, v82
	v_addc_co_u32_e32 v83, vcc, v0, v83, vcc
	v_accvgpr_write_b32 a80, v82
	v_accvgpr_write_b32 a81, v83
	global_load_dwordx4 v[82:85], v[82:83], off
	v_mov_b32_e32 v0, 16
	buffer_store_dword v8, off, s[0:3], 0 offset:344
	buffer_store_dword v7, off, s[0:3], 0 offset:340
	buffer_store_dword v6, off, s[0:3], 0 offset:336
	s_waitcnt vmcnt(22)
	buffer_store_dword v5, off, s[0:3], 0 offset:364
	buffer_store_dword v4, off, s[0:3], 0 offset:360
	buffer_store_dword v3, off, s[0:3], 0 offset:356
	buffer_store_dword v2, off, s[0:3], 0 offset:352
	s_waitcnt vmcnt(25)
	buffer_store_dword v13, off, s[0:3], 0 offset:380
	;; [unrolled: 5-line block ×15, first 2 shown]
	buffer_store_dword v64, off, s[0:3], 0 offset:584
	buffer_store_dword v63, off, s[0:3], 0 offset:580
	;; [unrolled: 1-line block ×11, first 2 shown]
	s_waitcnt vmcnt(62)
	buffer_store_dword v77, off, s[0:3], 0 offset:636
	buffer_store_dword v76, off, s[0:3], 0 offset:632
	;; [unrolled: 1-line block ×12, first 2 shown]
	v_add_u32_e32 v2, 16, v0
	v_accvgpr_write_b32 a121, v2
	v_add_u32_e32 v2, 32, v0
	v_accvgpr_write_b32 a120, v2
	;; [unrolled: 2-line block ×38, first 2 shown]
	v_add_u32_e32 v2, 0x270, v0
	v_add_u32_e32 v0, 0x280, v0
	v_accvgpr_write_b32 a83, v2
	v_accvgpr_write_b32 a82, v0
	s_mov_b64 s[6:7], -1
	s_cbranch_scc1 .LBB40_176
; %bb.4:
	v_cmp_eq_u32_e64 s[4:5], 0, v254
	s_and_saveexec_b64 s[6:7], s[4:5]
	s_cbranch_execz .LBB40_6
; %bb.5:
	v_mov_b32_e32 v0, 0
	ds_write_b32 v0, v0 offset:1312
.LBB40_6:
	s_or_b64 exec, exec, s[6:7]
	v_mov_b32_e32 v0, 16
	v_lshl_add_u32 v12, v254, 4, v0
	s_waitcnt lgkmcnt(0)
	; wave barrier
	s_waitcnt lgkmcnt(0)
	buffer_load_dword v2, v12, s[0:3], 0 offen
	buffer_load_dword v3, v12, s[0:3], 0 offen offset:4
	buffer_load_dword v4, v12, s[0:3], 0 offen offset:8
	;; [unrolled: 1-line block ×3, first 2 shown]
	s_waitcnt vmcnt(2)
	v_cmp_eq_f64_e32 vcc, 0, v[2:3]
	s_waitcnt vmcnt(0)
	v_cmp_eq_f64_e64 s[6:7], 0, v[4:5]
	s_and_b64 s[6:7], vcc, s[6:7]
	s_and_saveexec_b64 s[12:13], s[6:7]
	s_cbranch_execz .LBB40_10
; %bb.7:
	v_mov_b32_e32 v2, 0
	ds_read_b32 v0, v2 offset:1312
	v_add_u32_e32 v3, 1, v254
	s_waitcnt lgkmcnt(0)
	v_readfirstlane_b32 s6, v0
	s_cmp_eq_u32 s6, 0
	s_cselect_b64 s[16:17], -1, 0
	v_cmp_gt_i32_e32 vcc, s6, v3
	s_or_b64 s[16:17], s[16:17], vcc
	s_and_b64 exec, exec, s[16:17]
	s_cbranch_execz .LBB40_10
; %bb.8:
	s_mov_b64 s[16:17], 0
	v_mov_b32_e32 v4, s6
.LBB40_9:                               ; =>This Inner Loop Header: Depth=1
	ds_cmpst_rtn_b32 v4, v2, v4, v3 offset:1312
	s_waitcnt lgkmcnt(0)
	v_cmp_ne_u32_e32 vcc, 0, v4
	v_cmp_le_i32_e64 s[6:7], v4, v3
	s_and_b64 s[6:7], vcc, s[6:7]
	s_and_b64 s[6:7], exec, s[6:7]
	s_or_b64 s[16:17], s[6:7], s[16:17]
	s_andn2_b64 exec, exec, s[16:17]
	s_cbranch_execnz .LBB40_9
.LBB40_10:
	s_or_b64 exec, exec, s[12:13]
	v_mov_b32_e32 v3, 0
	s_waitcnt lgkmcnt(0)
	; wave barrier
	ds_read_b32 v2, v3 offset:1312
	s_and_saveexec_b64 s[6:7], s[4:5]
	s_cbranch_execz .LBB40_12
; %bb.11:
	s_lshl_b64 s[12:13], s[8:9], 2
	s_add_u32 s12, s14, s12
	s_addc_u32 s13, s15, s13
	s_waitcnt lgkmcnt(0)
	global_store_dword v3, v2, s[12:13]
.LBB40_12:
	s_or_b64 exec, exec, s[6:7]
	s_waitcnt lgkmcnt(0)
	v_cmp_ne_u32_e32 vcc, 0, v2
	s_mov_b64 s[6:7], 0
	s_cbranch_vccnz .LBB40_176
; %bb.13:
	buffer_load_dword v7, v12, s[0:3], 0 offen offset:4
	buffer_load_dword v6, v12, s[0:3], 0 offen
	buffer_load_dword v9, v12, s[0:3], 0 offen offset:12
	buffer_load_dword v8, v12, s[0:3], 0 offen offset:8
                                        ; implicit-def: $vgpr10_vgpr11
	s_waitcnt vmcnt(3)
	v_xor_b32_e32 v0, 0x80000000, v7
	s_waitcnt vmcnt(2)
	v_cmp_gt_f64_e32 vcc, 0, v[6:7]
	s_waitcnt vmcnt(1)
	v_xor_b32_e32 v4, 0x80000000, v9
	v_cndmask_b32_e32 v3, v7, v0, vcc
	s_waitcnt vmcnt(0)
	v_cmp_gt_f64_e32 vcc, 0, v[8:9]
	v_mov_b32_e32 v2, v6
	v_cndmask_b32_e32 v5, v9, v4, vcc
	v_mov_b32_e32 v4, v8
	v_cmp_ngt_f64_e32 vcc, v[2:3], v[4:5]
                                        ; implicit-def: $vgpr4_vgpr5
	s_and_saveexec_b64 s[6:7], vcc
	s_xor_b64 s[6:7], exec, s[6:7]
	s_cbranch_execz .LBB40_15
; %bb.14:
	v_div_scale_f64 v[2:3], s[12:13], v[8:9], v[8:9], v[6:7]
	v_rcp_f64_e32 v[4:5], v[2:3]
	v_div_scale_f64 v[10:11], vcc, v[6:7], v[8:9], v[6:7]
	v_fma_f64 v[14:15], -v[2:3], v[4:5], 1.0
	v_fmac_f64_e32 v[4:5], v[4:5], v[14:15]
	v_fma_f64 v[14:15], -v[2:3], v[4:5], 1.0
	v_fmac_f64_e32 v[4:5], v[4:5], v[14:15]
	v_mul_f64 v[14:15], v[10:11], v[4:5]
	v_fma_f64 v[2:3], -v[2:3], v[14:15], v[10:11]
	v_div_fmas_f64 v[2:3], v[2:3], v[4:5], v[14:15]
	v_div_fixup_f64 v[2:3], v[2:3], v[8:9], v[6:7]
	v_fmac_f64_e32 v[8:9], v[6:7], v[2:3]
	v_div_scale_f64 v[4:5], s[12:13], v[8:9], v[8:9], 1.0
	v_rcp_f64_e32 v[6:7], v[4:5]
	v_fma_f64 v[10:11], -v[4:5], v[6:7], 1.0
	v_fmac_f64_e32 v[6:7], v[6:7], v[10:11]
	v_fma_f64 v[10:11], -v[4:5], v[6:7], 1.0
	v_fmac_f64_e32 v[6:7], v[6:7], v[10:11]
	v_div_scale_f64 v[10:11], vcc, 1.0, v[8:9], 1.0
	v_mul_f64 v[14:15], v[10:11], v[6:7]
	v_fma_f64 v[4:5], -v[4:5], v[14:15], v[10:11]
	s_nop 1
	v_div_fmas_f64 v[4:5], v[4:5], v[6:7], v[14:15]
	v_div_fixup_f64 v[4:5], v[4:5], v[8:9], 1.0
	v_mul_f64 v[10:11], v[2:3], v[4:5]
	v_xor_b32_e32 v5, 0x80000000, v5
	v_xor_b32_e32 v3, 0x80000000, v11
	v_mov_b32_e32 v2, v10
                                        ; implicit-def: $vgpr6_vgpr7
                                        ; implicit-def: $vgpr8_vgpr9
.LBB40_15:
	s_andn2_saveexec_b64 s[6:7], s[6:7]
	s_cbranch_execz .LBB40_17
; %bb.16:
	v_div_scale_f64 v[2:3], s[12:13], v[6:7], v[6:7], v[8:9]
	v_rcp_f64_e32 v[4:5], v[2:3]
	v_div_scale_f64 v[10:11], vcc, v[8:9], v[6:7], v[8:9]
	v_fma_f64 v[14:15], -v[2:3], v[4:5], 1.0
	v_fmac_f64_e32 v[4:5], v[4:5], v[14:15]
	v_fma_f64 v[14:15], -v[2:3], v[4:5], 1.0
	v_fmac_f64_e32 v[4:5], v[4:5], v[14:15]
	v_mul_f64 v[14:15], v[10:11], v[4:5]
	v_fma_f64 v[2:3], -v[2:3], v[14:15], v[10:11]
	v_div_fmas_f64 v[2:3], v[2:3], v[4:5], v[14:15]
	v_div_fixup_f64 v[4:5], v[2:3], v[6:7], v[8:9]
	v_fmac_f64_e32 v[6:7], v[8:9], v[4:5]
	v_div_scale_f64 v[2:3], s[12:13], v[6:7], v[6:7], 1.0
	v_rcp_f64_e32 v[8:9], v[2:3]
	v_fma_f64 v[10:11], -v[2:3], v[8:9], 1.0
	v_fmac_f64_e32 v[8:9], v[8:9], v[10:11]
	v_fma_f64 v[10:11], -v[2:3], v[8:9], 1.0
	v_fmac_f64_e32 v[8:9], v[8:9], v[10:11]
	v_div_scale_f64 v[10:11], vcc, 1.0, v[6:7], 1.0
	v_mul_f64 v[14:15], v[10:11], v[8:9]
	v_fma_f64 v[2:3], -v[2:3], v[14:15], v[10:11]
	s_nop 1
	v_div_fmas_f64 v[2:3], v[2:3], v[8:9], v[14:15]
	v_div_fixup_f64 v[10:11], v[2:3], v[6:7], 1.0
	v_xor_b32_e32 v3, 0x80000000, v11
	v_mov_b32_e32 v2, v10
	v_mul_f64 v[4:5], v[4:5], -v[10:11]
.LBB40_17:
	s_or_b64 exec, exec, s[6:7]
	buffer_store_dword v11, v12, s[0:3], 0 offen offset:4
	buffer_store_dword v10, v12, s[0:3], 0 offen
	buffer_store_dword v5, v12, s[0:3], 0 offen offset:12
	buffer_store_dword v4, v12, s[0:3], 0 offen offset:8
	v_accvgpr_read_b32 v0, a121
	buffer_load_dword v11, v0, s[0:3], 0 offen offset:12
	buffer_load_dword v10, v0, s[0:3], 0 offen offset:8
	;; [unrolled: 1-line block ×3, first 2 shown]
	buffer_load_dword v8, v0, s[0:3], 0 offen
	v_xor_b32_e32 v5, 0x80000000, v5
	v_add_u32_e32 v6, 0x290, v1
	ds_write_b128 v1, v[2:5]
	s_waitcnt vmcnt(0)
	ds_write_b128 v1, v[8:11] offset:656
	s_waitcnt lgkmcnt(0)
	; wave barrier
	s_waitcnt lgkmcnt(0)
	s_and_saveexec_b64 s[6:7], s[4:5]
	s_cbranch_execz .LBB40_19
; %bb.18:
	buffer_load_dword v14, v12, s[0:3], 0 offen offset:8
	buffer_load_dword v15, v12, s[0:3], 0 offen offset:12
	buffer_load_dword v16, v12, s[0:3], 0 offen
	buffer_load_dword v17, v12, s[0:3], 0 offen offset:4
	ds_read_b128 v[2:5], v6
	v_mov_b32_e32 v0, 0
	ds_read_b128 v[8:11], v0 offset:16
	s_waitcnt vmcnt(2) lgkmcnt(1)
	v_mul_f64 v[18:19], v[4:5], v[14:15]
	v_mul_f64 v[14:15], v[2:3], v[14:15]
	s_waitcnt vmcnt(0)
	v_fmac_f64_e32 v[14:15], v[4:5], v[16:17]
	v_fma_f64 v[2:3], v[2:3], v[16:17], -v[18:19]
	v_add_f64 v[4:5], v[14:15], 0
	v_add_f64 v[2:3], v[2:3], 0
	s_waitcnt lgkmcnt(0)
	v_mul_f64 v[14:15], v[4:5], v[10:11]
	v_mul_f64 v[10:11], v[2:3], v[10:11]
	v_fma_f64 v[2:3], v[2:3], v[8:9], -v[14:15]
	v_fmac_f64_e32 v[10:11], v[4:5], v[8:9]
	buffer_store_dword v2, off, s[0:3], 0 offset:32
	buffer_store_dword v3, off, s[0:3], 0 offset:36
	;; [unrolled: 1-line block ×4, first 2 shown]
.LBB40_19:
	s_or_b64 exec, exec, s[6:7]
	v_accvgpr_read_b32 v0, a120
	s_waitcnt lgkmcnt(0)
	; wave barrier
	buffer_load_dword v2, v0, s[0:3], 0 offen
	buffer_load_dword v3, v0, s[0:3], 0 offen offset:4
	buffer_load_dword v4, v0, s[0:3], 0 offen offset:8
	;; [unrolled: 1-line block ×3, first 2 shown]
	v_cmp_gt_u32_e32 vcc, 2, v254
	s_waitcnt vmcnt(0)
	ds_write_b128 v6, v[2:5]
	s_waitcnt lgkmcnt(0)
	; wave barrier
	s_waitcnt lgkmcnt(0)
	s_and_saveexec_b64 s[6:7], vcc
	s_cbranch_execz .LBB40_23
; %bb.20:
	buffer_load_dword v8, v12, s[0:3], 0 offen offset:8
	buffer_load_dword v9, v12, s[0:3], 0 offen offset:12
	buffer_load_dword v10, v12, s[0:3], 0 offen
	buffer_load_dword v11, v12, s[0:3], 0 offen offset:4
	ds_read_b128 v[2:5], v6
	s_waitcnt vmcnt(2) lgkmcnt(0)
	v_mul_f64 v[12:13], v[4:5], v[8:9]
	v_mul_f64 v[8:9], v[2:3], v[8:9]
	s_waitcnt vmcnt(0)
	v_fma_f64 v[2:3], v[2:3], v[10:11], -v[12:13]
	v_fmac_f64_e32 v[8:9], v[4:5], v[10:11]
	v_add_f64 v[4:5], v[2:3], 0
	v_add_f64 v[2:3], v[8:9], 0
	s_and_saveexec_b64 s[12:13], s[4:5]
	s_cbranch_execz .LBB40_22
; %bb.21:
	buffer_load_dword v12, off, s[0:3], 0 offset:40
	buffer_load_dword v13, off, s[0:3], 0 offset:44
	;; [unrolled: 1-line block ×4, first 2 shown]
	v_mov_b32_e32 v0, 0
	ds_read_b128 v[8:11], v0 offset:672
	s_waitcnt vmcnt(2) lgkmcnt(0)
	v_mul_f64 v[16:17], v[8:9], v[12:13]
	v_mul_f64 v[12:13], v[10:11], v[12:13]
	s_waitcnt vmcnt(0)
	v_fmac_f64_e32 v[16:17], v[10:11], v[14:15]
	v_fma_f64 v[8:9], v[8:9], v[14:15], -v[12:13]
	v_add_f64 v[2:3], v[2:3], v[16:17]
	v_add_f64 v[4:5], v[4:5], v[8:9]
.LBB40_22:
	s_or_b64 exec, exec, s[12:13]
	v_mov_b32_e32 v0, 0
	ds_read_b128 v[8:11], v0 offset:32
	s_waitcnt lgkmcnt(0)
	v_mul_f64 v[12:13], v[2:3], v[10:11]
	v_mul_f64 v[10:11], v[4:5], v[10:11]
	v_fma_f64 v[4:5], v[4:5], v[8:9], -v[12:13]
	v_fmac_f64_e32 v[10:11], v[2:3], v[8:9]
	buffer_store_dword v5, off, s[0:3], 0 offset:52
	buffer_store_dword v4, off, s[0:3], 0 offset:48
	;; [unrolled: 1-line block ×4, first 2 shown]
.LBB40_23:
	s_or_b64 exec, exec, s[6:7]
	v_accvgpr_read_b32 v0, a119
	s_waitcnt lgkmcnt(0)
	; wave barrier
	buffer_load_dword v2, v0, s[0:3], 0 offen
	buffer_load_dword v3, v0, s[0:3], 0 offen offset:4
	buffer_load_dword v4, v0, s[0:3], 0 offen offset:8
	;; [unrolled: 1-line block ×3, first 2 shown]
	v_cmp_gt_u32_e32 vcc, 3, v254
	v_add_u32_e32 v7, -1, v254
	s_waitcnt vmcnt(0)
	ds_write_b128 v6, v[2:5]
	s_waitcnt lgkmcnt(0)
	; wave barrier
	s_waitcnt lgkmcnt(0)
	s_and_saveexec_b64 s[4:5], vcc
	s_cbranch_execz .LBB40_27
; %bb.24:
	v_pk_mov_b32 v[2:3], 0, 0
	v_add_u32_e32 v8, -1, v254
	v_add_u32_e32 v9, 0x290, v1
	v_add_u32_e32 v10, 16, v1
	s_mov_b64 s[6:7], 0
	v_pk_mov_b32 v[4:5], v[2:3], v[2:3] op_sel:[0,1]
.LBB40_25:                              ; =>This Inner Loop Header: Depth=1
	buffer_load_dword v16, v10, s[0:3], 0 offen offset:8
	buffer_load_dword v17, v10, s[0:3], 0 offen offset:12
	buffer_load_dword v18, v10, s[0:3], 0 offen
	buffer_load_dword v19, v10, s[0:3], 0 offen offset:4
	ds_read_b128 v[12:15], v9
	v_add_u32_e32 v8, 1, v8
	v_cmp_lt_u32_e32 vcc, 1, v8
	v_add_u32_e32 v9, 16, v9
	v_add_u32_e32 v10, 16, v10
	s_or_b64 s[6:7], vcc, s[6:7]
	s_waitcnt vmcnt(2) lgkmcnt(0)
	v_mul_f64 v[20:21], v[14:15], v[16:17]
	v_mul_f64 v[16:17], v[12:13], v[16:17]
	s_waitcnt vmcnt(0)
	v_fma_f64 v[12:13], v[12:13], v[18:19], -v[20:21]
	v_fmac_f64_e32 v[16:17], v[14:15], v[18:19]
	v_add_f64 v[4:5], v[4:5], v[12:13]
	v_add_f64 v[2:3], v[2:3], v[16:17]
	s_andn2_b64 exec, exec, s[6:7]
	s_cbranch_execnz .LBB40_25
; %bb.26:
	s_or_b64 exec, exec, s[6:7]
	v_mov_b32_e32 v0, 0
	ds_read_b128 v[8:11], v0 offset:48
	s_waitcnt lgkmcnt(0)
	v_mul_f64 v[12:13], v[2:3], v[10:11]
	v_mul_f64 v[10:11], v[4:5], v[10:11]
	v_fma_f64 v[4:5], v[4:5], v[8:9], -v[12:13]
	v_fmac_f64_e32 v[10:11], v[2:3], v[8:9]
	buffer_store_dword v5, off, s[0:3], 0 offset:68
	buffer_store_dword v4, off, s[0:3], 0 offset:64
	buffer_store_dword v11, off, s[0:3], 0 offset:76
	buffer_store_dword v10, off, s[0:3], 0 offset:72
.LBB40_27:
	s_or_b64 exec, exec, s[4:5]
	v_accvgpr_read_b32 v0, a118
	s_waitcnt lgkmcnt(0)
	; wave barrier
	buffer_load_dword v2, v0, s[0:3], 0 offen
	buffer_load_dword v3, v0, s[0:3], 0 offen offset:4
	buffer_load_dword v4, v0, s[0:3], 0 offen offset:8
	buffer_load_dword v5, v0, s[0:3], 0 offen offset:12
	v_cmp_gt_u32_e32 vcc, 4, v254
	s_waitcnt vmcnt(0)
	ds_write_b128 v6, v[2:5]
	s_waitcnt lgkmcnt(0)
	; wave barrier
	s_waitcnt lgkmcnt(0)
	s_and_saveexec_b64 s[4:5], vcc
	s_cbranch_execz .LBB40_31
; %bb.28:
	v_pk_mov_b32 v[2:3], 0, 0
	v_add_u32_e32 v8, -1, v254
	v_add_u32_e32 v9, 0x290, v1
	v_add_u32_e32 v10, 16, v1
	s_mov_b64 s[6:7], 0
	v_pk_mov_b32 v[4:5], v[2:3], v[2:3] op_sel:[0,1]
.LBB40_29:                              ; =>This Inner Loop Header: Depth=1
	buffer_load_dword v16, v10, s[0:3], 0 offen offset:8
	buffer_load_dword v17, v10, s[0:3], 0 offen offset:12
	buffer_load_dword v18, v10, s[0:3], 0 offen
	buffer_load_dword v19, v10, s[0:3], 0 offen offset:4
	ds_read_b128 v[12:15], v9
	v_add_u32_e32 v8, 1, v8
	v_cmp_lt_u32_e32 vcc, 2, v8
	v_add_u32_e32 v9, 16, v9
	v_add_u32_e32 v10, 16, v10
	s_or_b64 s[6:7], vcc, s[6:7]
	s_waitcnt vmcnt(2) lgkmcnt(0)
	v_mul_f64 v[20:21], v[14:15], v[16:17]
	v_mul_f64 v[16:17], v[12:13], v[16:17]
	s_waitcnt vmcnt(0)
	v_fma_f64 v[12:13], v[12:13], v[18:19], -v[20:21]
	v_fmac_f64_e32 v[16:17], v[14:15], v[18:19]
	v_add_f64 v[4:5], v[4:5], v[12:13]
	v_add_f64 v[2:3], v[2:3], v[16:17]
	s_andn2_b64 exec, exec, s[6:7]
	s_cbranch_execnz .LBB40_29
; %bb.30:
	s_or_b64 exec, exec, s[6:7]
	v_mov_b32_e32 v0, 0
	ds_read_b128 v[8:11], v0 offset:64
	s_waitcnt lgkmcnt(0)
	v_mul_f64 v[12:13], v[2:3], v[10:11]
	v_mul_f64 v[10:11], v[4:5], v[10:11]
	v_fma_f64 v[4:5], v[4:5], v[8:9], -v[12:13]
	v_fmac_f64_e32 v[10:11], v[2:3], v[8:9]
	buffer_store_dword v5, off, s[0:3], 0 offset:84
	buffer_store_dword v4, off, s[0:3], 0 offset:80
	buffer_store_dword v11, off, s[0:3], 0 offset:92
	buffer_store_dword v10, off, s[0:3], 0 offset:88
.LBB40_31:
	s_or_b64 exec, exec, s[4:5]
	v_accvgpr_read_b32 v0, a117
	s_waitcnt lgkmcnt(0)
	; wave barrier
	buffer_load_dword v2, v0, s[0:3], 0 offen
	buffer_load_dword v3, v0, s[0:3], 0 offen offset:4
	buffer_load_dword v4, v0, s[0:3], 0 offen offset:8
	buffer_load_dword v5, v0, s[0:3], 0 offen offset:12
	v_cmp_gt_u32_e32 vcc, 5, v254
	;; [unrolled: 58-line block ×19, first 2 shown]
	s_waitcnt vmcnt(0)
	ds_write_b128 v6, v[2:5]
	s_waitcnt lgkmcnt(0)
	; wave barrier
	s_waitcnt lgkmcnt(0)
	s_and_saveexec_b64 s[4:5], vcc
	s_cbranch_execz .LBB40_103
; %bb.100:
	v_pk_mov_b32 v[2:3], 0, 0
	v_add_u32_e32 v8, -1, v254
	v_add_u32_e32 v9, 0x290, v1
	v_add_u32_e32 v10, 16, v1
	s_mov_b64 s[6:7], 0
	v_pk_mov_b32 v[4:5], v[2:3], v[2:3] op_sel:[0,1]
.LBB40_101:                             ; =>This Inner Loop Header: Depth=1
	buffer_load_dword v16, v10, s[0:3], 0 offen offset:8
	buffer_load_dword v17, v10, s[0:3], 0 offen offset:12
	buffer_load_dword v18, v10, s[0:3], 0 offen
	buffer_load_dword v19, v10, s[0:3], 0 offen offset:4
	ds_read_b128 v[12:15], v9
	v_add_u32_e32 v8, 1, v8
	v_cmp_lt_u32_e32 vcc, 20, v8
	v_add_u32_e32 v9, 16, v9
	v_add_u32_e32 v10, 16, v10
	s_or_b64 s[6:7], vcc, s[6:7]
	s_waitcnt vmcnt(2) lgkmcnt(0)
	v_mul_f64 v[20:21], v[14:15], v[16:17]
	v_mul_f64 v[16:17], v[12:13], v[16:17]
	s_waitcnt vmcnt(0)
	v_fma_f64 v[12:13], v[12:13], v[18:19], -v[20:21]
	v_fmac_f64_e32 v[16:17], v[14:15], v[18:19]
	v_add_f64 v[4:5], v[4:5], v[12:13]
	v_add_f64 v[2:3], v[2:3], v[16:17]
	s_andn2_b64 exec, exec, s[6:7]
	s_cbranch_execnz .LBB40_101
; %bb.102:
	s_or_b64 exec, exec, s[6:7]
	v_mov_b32_e32 v0, 0
	ds_read_b128 v[8:11], v0 offset:352
	s_waitcnt lgkmcnt(0)
	v_mul_f64 v[12:13], v[2:3], v[10:11]
	v_mul_f64 v[10:11], v[4:5], v[10:11]
	v_fma_f64 v[4:5], v[4:5], v[8:9], -v[12:13]
	v_fmac_f64_e32 v[10:11], v[2:3], v[8:9]
	buffer_store_dword v5, off, s[0:3], 0 offset:372
	buffer_store_dword v4, off, s[0:3], 0 offset:368
	buffer_store_dword v11, off, s[0:3], 0 offset:380
	buffer_store_dword v10, off, s[0:3], 0 offset:376
.LBB40_103:
	s_or_b64 exec, exec, s[4:5]
	v_accvgpr_read_b32 v0, a99
	s_waitcnt lgkmcnt(0)
	; wave barrier
	buffer_load_dword v2, v0, s[0:3], 0 offen
	buffer_load_dword v3, v0, s[0:3], 0 offen offset:4
	buffer_load_dword v4, v0, s[0:3], 0 offen offset:8
	buffer_load_dword v5, v0, s[0:3], 0 offen offset:12
	v_cmp_gt_u32_e32 vcc, 23, v254
	s_waitcnt vmcnt(0)
	ds_write_b128 v6, v[2:5]
	s_waitcnt lgkmcnt(0)
	; wave barrier
	s_waitcnt lgkmcnt(0)
	s_and_saveexec_b64 s[4:5], vcc
	s_cbranch_execz .LBB40_107
; %bb.104:
	v_pk_mov_b32 v[2:3], 0, 0
	v_add_u32_e32 v8, -1, v254
	v_add_u32_e32 v9, 0x290, v1
	v_add_u32_e32 v10, 16, v1
	s_mov_b64 s[6:7], 0
	v_pk_mov_b32 v[4:5], v[2:3], v[2:3] op_sel:[0,1]
.LBB40_105:                             ; =>This Inner Loop Header: Depth=1
	buffer_load_dword v16, v10, s[0:3], 0 offen offset:8
	buffer_load_dword v17, v10, s[0:3], 0 offen offset:12
	buffer_load_dword v18, v10, s[0:3], 0 offen
	buffer_load_dword v19, v10, s[0:3], 0 offen offset:4
	ds_read_b128 v[12:15], v9
	v_add_u32_e32 v8, 1, v8
	v_cmp_lt_u32_e32 vcc, 21, v8
	v_add_u32_e32 v9, 16, v9
	v_add_u32_e32 v10, 16, v10
	s_or_b64 s[6:7], vcc, s[6:7]
	s_waitcnt vmcnt(2) lgkmcnt(0)
	v_mul_f64 v[20:21], v[14:15], v[16:17]
	v_mul_f64 v[16:17], v[12:13], v[16:17]
	s_waitcnt vmcnt(0)
	v_fma_f64 v[12:13], v[12:13], v[18:19], -v[20:21]
	v_fmac_f64_e32 v[16:17], v[14:15], v[18:19]
	v_add_f64 v[4:5], v[4:5], v[12:13]
	v_add_f64 v[2:3], v[2:3], v[16:17]
	s_andn2_b64 exec, exec, s[6:7]
	s_cbranch_execnz .LBB40_105
; %bb.106:
	s_or_b64 exec, exec, s[6:7]
	v_mov_b32_e32 v0, 0
	ds_read_b128 v[8:11], v0 offset:368
	s_waitcnt lgkmcnt(0)
	v_mul_f64 v[12:13], v[2:3], v[10:11]
	v_mul_f64 v[10:11], v[4:5], v[10:11]
	v_fma_f64 v[4:5], v[4:5], v[8:9], -v[12:13]
	v_fmac_f64_e32 v[10:11], v[2:3], v[8:9]
	buffer_store_dword v5, off, s[0:3], 0 offset:388
	buffer_store_dword v4, off, s[0:3], 0 offset:384
	buffer_store_dword v11, off, s[0:3], 0 offset:396
	buffer_store_dword v10, off, s[0:3], 0 offset:392
.LBB40_107:
	s_or_b64 exec, exec, s[4:5]
	v_accvgpr_read_b32 v0, a98
	s_waitcnt lgkmcnt(0)
	; wave barrier
	buffer_load_dword v2, v0, s[0:3], 0 offen
	buffer_load_dword v3, v0, s[0:3], 0 offen offset:4
	buffer_load_dword v4, v0, s[0:3], 0 offen offset:8
	buffer_load_dword v5, v0, s[0:3], 0 offen offset:12
	v_cmp_gt_u32_e32 vcc, 24, v254
	;; [unrolled: 58-line block ×17, first 2 shown]
	s_waitcnt vmcnt(0)
	ds_write_b128 v6, v[2:5]
	s_waitcnt lgkmcnt(0)
	; wave barrier
	s_waitcnt lgkmcnt(0)
	s_and_saveexec_b64 s[4:5], vcc
	s_cbranch_execz .LBB40_171
; %bb.168:
	v_pk_mov_b32 v[2:3], 0, 0
	v_add_u32_e32 v8, -1, v254
	v_add_u32_e32 v9, 0x290, v1
	v_add_u32_e32 v10, 16, v1
	s_mov_b64 s[6:7], 0
	v_pk_mov_b32 v[4:5], v[2:3], v[2:3] op_sel:[0,1]
.LBB40_169:                             ; =>This Inner Loop Header: Depth=1
	buffer_load_dword v16, v10, s[0:3], 0 offen offset:8
	buffer_load_dword v17, v10, s[0:3], 0 offen offset:12
	buffer_load_dword v18, v10, s[0:3], 0 offen
	buffer_load_dword v19, v10, s[0:3], 0 offen offset:4
	ds_read_b128 v[12:15], v9
	v_add_u32_e32 v8, 1, v8
	v_cmp_lt_u32_e32 vcc, 37, v8
	v_add_u32_e32 v9, 16, v9
	v_add_u32_e32 v10, 16, v10
	s_or_b64 s[6:7], vcc, s[6:7]
	s_waitcnt vmcnt(2) lgkmcnt(0)
	v_mul_f64 v[20:21], v[14:15], v[16:17]
	v_mul_f64 v[16:17], v[12:13], v[16:17]
	s_waitcnt vmcnt(0)
	v_fma_f64 v[12:13], v[12:13], v[18:19], -v[20:21]
	v_fmac_f64_e32 v[16:17], v[14:15], v[18:19]
	v_add_f64 v[4:5], v[4:5], v[12:13]
	v_add_f64 v[2:3], v[2:3], v[16:17]
	s_andn2_b64 exec, exec, s[6:7]
	s_cbranch_execnz .LBB40_169
; %bb.170:
	s_or_b64 exec, exec, s[6:7]
	v_mov_b32_e32 v0, 0
	ds_read_b128 v[8:11], v0 offset:624
	s_waitcnt lgkmcnt(0)
	v_mul_f64 v[12:13], v[2:3], v[10:11]
	v_mul_f64 v[10:11], v[4:5], v[10:11]
	v_fma_f64 v[4:5], v[4:5], v[8:9], -v[12:13]
	v_fmac_f64_e32 v[10:11], v[2:3], v[8:9]
	buffer_store_dword v5, off, s[0:3], 0 offset:644
	buffer_store_dword v4, off, s[0:3], 0 offset:640
	;; [unrolled: 1-line block ×4, first 2 shown]
.LBB40_171:
	s_or_b64 exec, exec, s[4:5]
	v_accvgpr_read_b32 v0, a82
	s_waitcnt lgkmcnt(0)
	; wave barrier
	buffer_load_dword v2, v0, s[0:3], 0 offen
	buffer_load_dword v3, v0, s[0:3], 0 offen offset:4
	buffer_load_dword v4, v0, s[0:3], 0 offen offset:8
	;; [unrolled: 1-line block ×3, first 2 shown]
	v_cmp_ne_u32_e32 vcc, 40, v254
	s_waitcnt vmcnt(0)
	ds_write_b128 v6, v[2:5]
	s_waitcnt lgkmcnt(0)
	; wave barrier
	s_waitcnt lgkmcnt(0)
	s_and_saveexec_b64 s[4:5], vcc
	s_cbranch_execz .LBB40_175
; %bb.172:
	v_pk_mov_b32 v[2:3], 0, 0
	v_add_u32_e32 v6, 0x290, v1
	v_add_u32_e32 v1, 16, v1
	s_mov_b64 s[6:7], 0
	v_pk_mov_b32 v[4:5], v[2:3], v[2:3] op_sel:[0,1]
.LBB40_173:                             ; =>This Inner Loop Header: Depth=1
	buffer_load_dword v12, v1, s[0:3], 0 offen offset:8
	buffer_load_dword v13, v1, s[0:3], 0 offen offset:12
	buffer_load_dword v14, v1, s[0:3], 0 offen
	buffer_load_dword v15, v1, s[0:3], 0 offen offset:4
	ds_read_b128 v[8:11], v6
	v_add_u32_e32 v7, 1, v7
	v_cmp_lt_u32_e32 vcc, 38, v7
	v_add_u32_e32 v6, 16, v6
	v_add_u32_e32 v1, 16, v1
	s_or_b64 s[6:7], vcc, s[6:7]
	s_waitcnt vmcnt(2) lgkmcnt(0)
	v_mul_f64 v[16:17], v[10:11], v[12:13]
	v_mul_f64 v[12:13], v[8:9], v[12:13]
	s_waitcnt vmcnt(0)
	v_fma_f64 v[8:9], v[8:9], v[14:15], -v[16:17]
	v_fmac_f64_e32 v[12:13], v[10:11], v[14:15]
	v_add_f64 v[4:5], v[4:5], v[8:9]
	v_add_f64 v[2:3], v[2:3], v[12:13]
	s_andn2_b64 exec, exec, s[6:7]
	s_cbranch_execnz .LBB40_173
; %bb.174:
	s_or_b64 exec, exec, s[6:7]
	v_mov_b32_e32 v0, 0
	ds_read_b128 v[6:9], v0 offset:640
	s_waitcnt lgkmcnt(0)
	v_mul_f64 v[10:11], v[2:3], v[8:9]
	v_mul_f64 v[8:9], v[4:5], v[8:9]
	v_fma_f64 v[4:5], v[4:5], v[6:7], -v[10:11]
	v_fmac_f64_e32 v[8:9], v[2:3], v[6:7]
	buffer_store_dword v5, off, s[0:3], 0 offset:660
	buffer_store_dword v4, off, s[0:3], 0 offset:656
	;; [unrolled: 1-line block ×4, first 2 shown]
.LBB40_175:
	s_or_b64 exec, exec, s[4:5]
	s_mov_b64 s[6:7], -1
	s_waitcnt lgkmcnt(0)
	; wave barrier
.LBB40_176:
	s_and_b64 vcc, exec, s[6:7]
	s_cbranch_vccz .LBB40_178
; %bb.177:
	s_lshl_b64 s[4:5], s[8:9], 2
	s_add_u32 s4, s14, s4
	s_addc_u32 s5, s15, s5
	v_mov_b32_e32 v0, 0
	global_load_dword v0, v0, s[4:5]
	s_waitcnt vmcnt(0)
	v_cmp_ne_u32_e32 vcc, 0, v0
	s_cbranch_vccz .LBB40_179
.LBB40_178:
	s_endpgm
.LBB40_179:
	v_mov_b32_e32 v0, 0x290
	v_lshl_add_u32 v0, v254, 4, v0
	v_accvgpr_write_b32 a123, v0
	v_cmp_eq_u32_e32 vcc, 40, v254
	s_and_saveexec_b64 s[4:5], vcc
	s_cbranch_execz .LBB40_181
; %bb.180:
	v_accvgpr_read_b32 v0, a83
	buffer_load_dword v2, v0, s[0:3], 0 offen
	buffer_load_dword v3, v0, s[0:3], 0 offen offset:4
	buffer_load_dword v4, v0, s[0:3], 0 offen offset:8
	;; [unrolled: 1-line block ×3, first 2 shown]
	v_mov_b32_e32 v0, 0
	v_accvgpr_read_b32 v1, a123
	buffer_store_dword v0, off, s[0:3], 0 offset:640
	buffer_store_dword v0, off, s[0:3], 0 offset:644
	;; [unrolled: 1-line block ×4, first 2 shown]
	s_waitcnt vmcnt(4)
	ds_write_b128 v1, v[2:5]
.LBB40_181:
	s_or_b64 exec, exec, s[4:5]
	s_waitcnt lgkmcnt(0)
	; wave barrier
	s_waitcnt lgkmcnt(0)
	buffer_load_dword v6, off, s[0:3], 0 offset:664
	buffer_load_dword v7, off, s[0:3], 0 offset:668
	;; [unrolled: 1-line block ×8, first 2 shown]
	v_mov_b32_e32 v1, 0
	ds_read_b128 v[2:5], v1 offset:1296
	v_cmp_lt_u32_e32 vcc, 38, v254
	s_waitcnt vmcnt(6) lgkmcnt(0)
	v_mul_f64 v[14:15], v[2:3], v[6:7]
	v_mul_f64 v[6:7], v[4:5], v[6:7]
	s_waitcnt vmcnt(4)
	v_fma_f64 v[2:3], v[2:3], v[8:9], -v[6:7]
	v_fmac_f64_e32 v[14:15], v[4:5], v[8:9]
	v_add_f64 v[2:3], v[2:3], 0
	v_add_f64 v[4:5], v[14:15], 0
	s_waitcnt vmcnt(2)
	v_add_f64 v[2:3], v[10:11], -v[2:3]
	s_waitcnt vmcnt(0)
	v_add_f64 v[4:5], v[12:13], -v[4:5]
	buffer_store_dword v2, off, s[0:3], 0 offset:640
	buffer_store_dword v3, off, s[0:3], 0 offset:644
	;; [unrolled: 1-line block ×4, first 2 shown]
	s_and_saveexec_b64 s[4:5], vcc
	s_cbranch_execz .LBB40_183
; %bb.182:
	v_accvgpr_read_b32 v0, a84
	buffer_load_dword v2, v0, s[0:3], 0 offen
	buffer_load_dword v3, v0, s[0:3], 0 offen offset:4
	buffer_load_dword v4, v0, s[0:3], 0 offen offset:8
	;; [unrolled: 1-line block ×3, first 2 shown]
	v_accvgpr_read_b32 v0, a123
	buffer_store_dword v1, off, s[0:3], 0 offset:624
	buffer_store_dword v1, off, s[0:3], 0 offset:628
	;; [unrolled: 1-line block ×4, first 2 shown]
	s_waitcnt vmcnt(4)
	ds_write_b128 v0, v[2:5]
.LBB40_183:
	s_or_b64 exec, exec, s[4:5]
	s_waitcnt lgkmcnt(0)
	; wave barrier
	s_waitcnt lgkmcnt(0)
	buffer_load_dword v10, off, s[0:3], 0 offset:648
	buffer_load_dword v11, off, s[0:3], 0 offset:652
	;; [unrolled: 1-line block ×12, first 2 shown]
	ds_read_b128 v[2:5], v1 offset:1280
	ds_read_b128 v[6:9], v1 offset:1296
	v_cmp_lt_u32_e32 vcc, 37, v254
	s_waitcnt vmcnt(10) lgkmcnt(1)
	v_mul_f64 v[22:23], v[2:3], v[10:11]
	v_mul_f64 v[10:11], v[4:5], v[10:11]
	s_waitcnt vmcnt(8) lgkmcnt(0)
	v_mul_f64 v[24:25], v[6:7], v[12:13]
	v_mul_f64 v[12:13], v[8:9], v[12:13]
	s_waitcnt vmcnt(6)
	v_fma_f64 v[2:3], v[2:3], v[14:15], -v[10:11]
	v_fmac_f64_e32 v[22:23], v[4:5], v[14:15]
	s_waitcnt vmcnt(4)
	v_fma_f64 v[4:5], v[6:7], v[16:17], -v[12:13]
	v_add_f64 v[2:3], v[2:3], 0
	v_fmac_f64_e32 v[24:25], v[8:9], v[16:17]
	v_add_f64 v[6:7], v[22:23], 0
	v_add_f64 v[2:3], v[2:3], v[4:5]
	;; [unrolled: 1-line block ×3, first 2 shown]
	s_waitcnt vmcnt(2)
	v_add_f64 v[2:3], v[18:19], -v[2:3]
	s_waitcnt vmcnt(0)
	v_add_f64 v[4:5], v[20:21], -v[6:7]
	buffer_store_dword v2, off, s[0:3], 0 offset:624
	buffer_store_dword v3, off, s[0:3], 0 offset:628
	;; [unrolled: 1-line block ×4, first 2 shown]
	s_and_saveexec_b64 s[4:5], vcc
	s_cbranch_execz .LBB40_185
; %bb.184:
	v_accvgpr_read_b32 v0, a85
	buffer_load_dword v2, v0, s[0:3], 0 offen
	buffer_load_dword v3, v0, s[0:3], 0 offen offset:4
	buffer_load_dword v4, v0, s[0:3], 0 offen offset:8
	;; [unrolled: 1-line block ×3, first 2 shown]
	v_mov_b32_e32 v0, 0
	v_accvgpr_read_b32 v1, a123
	buffer_store_dword v0, off, s[0:3], 0 offset:608
	buffer_store_dword v0, off, s[0:3], 0 offset:612
	;; [unrolled: 1-line block ×4, first 2 shown]
	s_waitcnt vmcnt(4)
	ds_write_b128 v1, v[2:5]
.LBB40_185:
	s_or_b64 exec, exec, s[4:5]
	s_waitcnt lgkmcnt(0)
	; wave barrier
	s_waitcnt lgkmcnt(0)
	buffer_load_dword v14, off, s[0:3], 0 offset:632
	buffer_load_dword v15, off, s[0:3], 0 offset:636
	;; [unrolled: 1-line block ×16, first 2 shown]
	v_mov_b32_e32 v1, 0
	ds_read_b128 v[2:5], v1 offset:1264
	ds_read_b128 v[6:9], v1 offset:1280
	;; [unrolled: 1-line block ×3, first 2 shown]
	v_cmp_lt_u32_e32 vcc, 36, v254
	s_waitcnt vmcnt(14) lgkmcnt(2)
	v_mul_f64 v[30:31], v[2:3], v[14:15]
	v_mul_f64 v[14:15], v[4:5], v[14:15]
	s_waitcnt vmcnt(12) lgkmcnt(1)
	v_mul_f64 v[32:33], v[6:7], v[16:17]
	v_mul_f64 v[16:17], v[8:9], v[16:17]
	;; [unrolled: 3-line block ×3, first 2 shown]
	s_waitcnt vmcnt(8)
	v_fma_f64 v[2:3], v[2:3], v[20:21], -v[14:15]
	v_fmac_f64_e32 v[30:31], v[4:5], v[20:21]
	s_waitcnt vmcnt(6)
	v_fma_f64 v[4:5], v[6:7], v[22:23], -v[16:17]
	v_add_f64 v[2:3], v[2:3], 0
	v_fmac_f64_e32 v[32:33], v[8:9], v[22:23]
	s_waitcnt vmcnt(4)
	v_fma_f64 v[6:7], v[10:11], v[24:25], -v[18:19]
	v_add_f64 v[8:9], v[30:31], 0
	v_add_f64 v[2:3], v[2:3], v[4:5]
	v_fmac_f64_e32 v[34:35], v[12:13], v[24:25]
	v_add_f64 v[8:9], v[8:9], v[32:33]
	v_add_f64 v[2:3], v[2:3], v[6:7]
	v_add_f64 v[4:5], v[8:9], v[34:35]
	s_waitcnt vmcnt(2)
	v_add_f64 v[2:3], v[26:27], -v[2:3]
	s_waitcnt vmcnt(0)
	v_add_f64 v[4:5], v[28:29], -v[4:5]
	buffer_store_dword v2, off, s[0:3], 0 offset:608
	buffer_store_dword v3, off, s[0:3], 0 offset:612
	;; [unrolled: 1-line block ×4, first 2 shown]
	s_and_saveexec_b64 s[4:5], vcc
	s_cbranch_execz .LBB40_187
; %bb.186:
	v_accvgpr_read_b32 v0, a86
	buffer_load_dword v2, v0, s[0:3], 0 offen
	buffer_load_dword v3, v0, s[0:3], 0 offen offset:4
	buffer_load_dword v4, v0, s[0:3], 0 offen offset:8
	;; [unrolled: 1-line block ×3, first 2 shown]
	v_accvgpr_read_b32 v0, a123
	buffer_store_dword v1, off, s[0:3], 0 offset:592
	buffer_store_dword v1, off, s[0:3], 0 offset:596
	;; [unrolled: 1-line block ×4, first 2 shown]
	s_waitcnt vmcnt(4)
	ds_write_b128 v0, v[2:5]
.LBB40_187:
	s_or_b64 exec, exec, s[4:5]
	s_waitcnt lgkmcnt(0)
	; wave barrier
	s_waitcnt lgkmcnt(0)
	ds_read_b128 v[2:5], v1 offset:1248
	ds_read_b128 v[6:9], v1 offset:1264
	;; [unrolled: 1-line block ×4, first 2 shown]
	buffer_load_dword v18, off, s[0:3], 0 offset:592
	buffer_load_dword v19, off, s[0:3], 0 offset:596
	;; [unrolled: 1-line block ×16, first 2 shown]
	v_cmp_lt_u32_e32 vcc, 35, v254
	s_waitcnt vmcnt(8) lgkmcnt(3)
	v_mul_f64 v[34:35], v[2:3], v[24:25]
	v_fmac_f64_e32 v[34:35], v[4:5], v[22:23]
	v_add_f64 v[34:35], v[34:35], 0
	v_mul_f64 v[4:5], v[4:5], v[24:25]
	s_waitcnt vmcnt(4) lgkmcnt(2)
	v_mul_f64 v[36:37], v[6:7], v[28:29]
	v_fmac_f64_e32 v[36:37], v[8:9], v[26:27]
	v_add_f64 v[34:35], v[34:35], v[36:37]
	v_fma_f64 v[2:3], v[2:3], v[22:23], -v[4:5]
	s_waitcnt vmcnt(0) lgkmcnt(1)
	v_mul_f64 v[36:37], v[10:11], v[32:33]
	v_fmac_f64_e32 v[36:37], v[12:13], v[30:31]
	v_add_f64 v[34:35], v[34:35], v[36:37]
	buffer_load_dword v37, off, s[0:3], 0 offset:660
	buffer_load_dword v36, off, s[0:3], 0 offset:656
	;; [unrolled: 1-line block ×4, first 2 shown]
	v_mul_f64 v[4:5], v[8:9], v[28:29]
	v_add_f64 v[2:3], v[2:3], 0
	v_fma_f64 v[4:5], v[6:7], v[26:27], -v[4:5]
	v_add_f64 v[2:3], v[2:3], v[4:5]
	v_mul_f64 v[4:5], v[12:13], v[32:33]
	v_fma_f64 v[4:5], v[10:11], v[30:31], -v[4:5]
	v_add_f64 v[2:3], v[2:3], v[4:5]
	s_waitcnt vmcnt(0) lgkmcnt(0)
	v_mul_f64 v[4:5], v[16:17], v[38:39]
	v_mul_f64 v[40:41], v[14:15], v[38:39]
	v_fma_f64 v[4:5], v[14:15], v[36:37], -v[4:5]
	v_fmac_f64_e32 v[40:41], v[16:17], v[36:37]
	v_add_f64 v[2:3], v[2:3], v[4:5]
	v_add_f64 v[34:35], v[34:35], v[40:41]
	v_add_f64 v[2:3], v[18:19], -v[2:3]
	v_add_f64 v[4:5], v[20:21], -v[34:35]
	buffer_store_dword v2, off, s[0:3], 0 offset:592
	buffer_store_dword v3, off, s[0:3], 0 offset:596
	;; [unrolled: 1-line block ×4, first 2 shown]
	s_and_saveexec_b64 s[4:5], vcc
	s_cbranch_execz .LBB40_189
; %bb.188:
	v_accvgpr_read_b32 v0, a87
	buffer_load_dword v2, v0, s[0:3], 0 offen
	buffer_load_dword v3, v0, s[0:3], 0 offen offset:4
	buffer_load_dword v4, v0, s[0:3], 0 offen offset:8
	;; [unrolled: 1-line block ×3, first 2 shown]
	v_mov_b32_e32 v0, 0
	v_accvgpr_read_b32 v1, a123
	buffer_store_dword v0, off, s[0:3], 0 offset:576
	buffer_store_dword v0, off, s[0:3], 0 offset:580
	buffer_store_dword v0, off, s[0:3], 0 offset:584
	buffer_store_dword v0, off, s[0:3], 0 offset:588
	s_waitcnt vmcnt(4)
	ds_write_b128 v1, v[2:5]
.LBB40_189:
	s_or_b64 exec, exec, s[4:5]
	s_waitcnt lgkmcnt(0)
	; wave barrier
	s_waitcnt lgkmcnt(0)
	buffer_load_dword v22, off, s[0:3], 0 offset:600
	buffer_load_dword v23, off, s[0:3], 0 offset:604
	;; [unrolled: 1-line block ×24, first 2 shown]
	v_mov_b32_e32 v1, 0
	ds_read_b128 v[2:5], v1 offset:1232
	ds_read_b128 v[6:9], v1 offset:1248
	ds_read_b128 v[10:13], v1 offset:1264
	ds_read_b128 v[14:17], v1 offset:1280
	ds_read_b128 v[18:21], v1 offset:1296
	v_cmp_lt_u32_e32 vcc, 34, v254
	s_waitcnt vmcnt(22) lgkmcnt(4)
	v_mul_f64 v[46:47], v[2:3], v[22:23]
	v_mul_f64 v[22:23], v[4:5], v[22:23]
	s_waitcnt vmcnt(20) lgkmcnt(3)
	v_mul_f64 v[48:49], v[6:7], v[24:25]
	v_mul_f64 v[24:25], v[8:9], v[24:25]
	;; [unrolled: 3-line block ×4, first 2 shown]
	s_waitcnt vmcnt(13) lgkmcnt(0)
	v_mul_f64 v[54:55], v[18:19], v[28:29]
	s_waitcnt vmcnt(11)
	v_fma_f64 v[2:3], v[2:3], v[34:35], -v[22:23]
	v_fmac_f64_e32 v[46:47], v[4:5], v[34:35]
	s_waitcnt vmcnt(9)
	v_fma_f64 v[4:5], v[6:7], v[36:37], -v[24:25]
	v_add_f64 v[2:3], v[2:3], 0
	v_fmac_f64_e32 v[48:49], v[8:9], v[36:37]
	s_waitcnt vmcnt(7)
	v_fmac_f64_e32 v[50:51], v[12:13], v[38:39]
	v_fma_f64 v[6:7], v[10:11], v[38:39], -v[26:27]
	v_add_f64 v[12:13], v[46:47], 0
	v_add_f64 v[2:3], v[2:3], v[4:5]
	v_mul_f64 v[28:29], v[20:21], v[28:29]
	s_waitcnt vmcnt(5)
	v_fma_f64 v[8:9], v[14:15], v[40:41], -v[32:33]
	v_add_f64 v[12:13], v[12:13], v[48:49]
	v_add_f64 v[2:3], v[2:3], v[6:7]
	v_fmac_f64_e32 v[52:53], v[16:17], v[40:41]
	s_waitcnt vmcnt(4)
	v_fma_f64 v[10:11], v[18:19], v[30:31], -v[28:29]
	v_add_f64 v[4:5], v[12:13], v[50:51]
	v_add_f64 v[2:3], v[2:3], v[8:9]
	v_fmac_f64_e32 v[54:55], v[20:21], v[30:31]
	v_add_f64 v[4:5], v[4:5], v[52:53]
	v_add_f64 v[2:3], v[2:3], v[10:11]
	;; [unrolled: 1-line block ×3, first 2 shown]
	s_waitcnt vmcnt(2)
	v_add_f64 v[2:3], v[42:43], -v[2:3]
	s_waitcnt vmcnt(0)
	v_add_f64 v[4:5], v[44:45], -v[4:5]
	buffer_store_dword v3, off, s[0:3], 0 offset:580
	buffer_store_dword v2, off, s[0:3], 0 offset:576
	;; [unrolled: 1-line block ×4, first 2 shown]
	s_and_saveexec_b64 s[4:5], vcc
	s_cbranch_execz .LBB40_191
; %bb.190:
	v_accvgpr_read_b32 v0, a88
	buffer_load_dword v2, v0, s[0:3], 0 offen
	buffer_load_dword v3, v0, s[0:3], 0 offen offset:4
	buffer_load_dword v4, v0, s[0:3], 0 offen offset:8
	buffer_load_dword v5, v0, s[0:3], 0 offen offset:12
	v_accvgpr_read_b32 v0, a123
	buffer_store_dword v1, off, s[0:3], 0 offset:560
	buffer_store_dword v1, off, s[0:3], 0 offset:564
	;; [unrolled: 1-line block ×4, first 2 shown]
	s_waitcnt vmcnt(4)
	ds_write_b128 v0, v[2:5]
.LBB40_191:
	s_or_b64 exec, exec, s[4:5]
	s_waitcnt lgkmcnt(0)
	; wave barrier
	s_waitcnt lgkmcnt(0)
	buffer_load_dword v26, off, s[0:3], 0 offset:584
	buffer_load_dword v27, off, s[0:3], 0 offset:588
	;; [unrolled: 1-line block ×28, first 2 shown]
	ds_read_b128 v[2:5], v1 offset:1216
	ds_read_b128 v[6:9], v1 offset:1232
	;; [unrolled: 1-line block ×6, first 2 shown]
	v_cmp_lt_u32_e32 vcc, 33, v254
	s_waitcnt vmcnt(26) lgkmcnt(5)
	v_mul_f64 v[54:55], v[2:3], v[26:27]
	v_mul_f64 v[26:27], v[4:5], v[26:27]
	s_waitcnt vmcnt(24) lgkmcnt(4)
	v_mul_f64 v[56:57], v[6:7], v[28:29]
	v_mul_f64 v[28:29], v[8:9], v[28:29]
	;; [unrolled: 3-line block ×4, first 2 shown]
	s_waitcnt vmcnt(17)
	v_mul_f64 v[60:61], v[14:15], v[36:37]
	v_mul_f64 v[36:37], v[16:17], v[36:37]
	s_waitcnt vmcnt(15) lgkmcnt(0)
	v_mul_f64 v[64:65], v[22:23], v[38:39]
	v_mul_f64 v[38:39], v[24:25], v[38:39]
	s_waitcnt vmcnt(14)
	v_fmac_f64_e32 v[62:63], v[20:21], v[34:35]
	s_waitcnt vmcnt(12)
	v_fma_f64 v[2:3], v[2:3], v[40:41], -v[26:27]
	v_fmac_f64_e32 v[54:55], v[4:5], v[40:41]
	s_waitcnt vmcnt(10)
	v_fma_f64 v[4:5], v[6:7], v[42:43], -v[28:29]
	v_add_f64 v[2:3], v[2:3], 0
	v_fmac_f64_e32 v[56:57], v[8:9], v[42:43]
	s_waitcnt vmcnt(8)
	v_fma_f64 v[6:7], v[10:11], v[44:45], -v[30:31]
	s_waitcnt vmcnt(6)
	v_fma_f64 v[8:9], v[14:15], v[46:47], -v[36:37]
	v_add_f64 v[14:15], v[54:55], 0
	v_add_f64 v[2:3], v[2:3], v[4:5]
	v_fmac_f64_e32 v[58:59], v[12:13], v[44:45]
	v_add_f64 v[14:15], v[14:15], v[56:57]
	v_add_f64 v[2:3], v[2:3], v[6:7]
	v_fmac_f64_e32 v[60:61], v[16:17], v[46:47]
	v_fma_f64 v[10:11], v[18:19], v[34:35], -v[32:33]
	v_add_f64 v[4:5], v[14:15], v[58:59]
	v_add_f64 v[2:3], v[2:3], v[8:9]
	s_waitcnt vmcnt(4)
	v_fma_f64 v[12:13], v[22:23], v[48:49], -v[38:39]
	v_add_f64 v[4:5], v[4:5], v[60:61]
	v_add_f64 v[2:3], v[2:3], v[10:11]
	v_fmac_f64_e32 v[64:65], v[24:25], v[48:49]
	v_add_f64 v[4:5], v[4:5], v[62:63]
	v_add_f64 v[2:3], v[2:3], v[12:13]
	;; [unrolled: 1-line block ×3, first 2 shown]
	s_waitcnt vmcnt(2)
	v_add_f64 v[2:3], v[50:51], -v[2:3]
	s_waitcnt vmcnt(0)
	v_add_f64 v[4:5], v[52:53], -v[4:5]
	buffer_store_dword v3, off, s[0:3], 0 offset:564
	buffer_store_dword v2, off, s[0:3], 0 offset:560
	;; [unrolled: 1-line block ×4, first 2 shown]
	s_and_saveexec_b64 s[4:5], vcc
	s_cbranch_execz .LBB40_193
; %bb.192:
	v_accvgpr_read_b32 v0, a89
	buffer_load_dword v2, v0, s[0:3], 0 offen
	buffer_load_dword v3, v0, s[0:3], 0 offen offset:4
	buffer_load_dword v4, v0, s[0:3], 0 offen offset:8
	;; [unrolled: 1-line block ×3, first 2 shown]
	v_mov_b32_e32 v0, 0
	v_accvgpr_read_b32 v1, a123
	buffer_store_dword v0, off, s[0:3], 0 offset:544
	buffer_store_dword v0, off, s[0:3], 0 offset:548
	;; [unrolled: 1-line block ×4, first 2 shown]
	s_waitcnt vmcnt(4)
	ds_write_b128 v1, v[2:5]
.LBB40_193:
	s_or_b64 exec, exec, s[4:5]
	s_waitcnt lgkmcnt(0)
	; wave barrier
	s_waitcnt lgkmcnt(0)
	buffer_load_dword v30, off, s[0:3], 0 offset:568
	buffer_load_dword v31, off, s[0:3], 0 offset:572
	buffer_load_dword v32, off, s[0:3], 0 offset:584
	buffer_load_dword v33, off, s[0:3], 0 offset:588
	buffer_load_dword v34, off, s[0:3], 0 offset:600
	buffer_load_dword v35, off, s[0:3], 0 offset:604
	buffer_load_dword v37, off, s[0:3], 0 offset:636
	buffer_load_dword v36, off, s[0:3], 0 offset:632
	buffer_load_dword v38, off, s[0:3], 0 offset:624
	buffer_load_dword v41, off, s[0:3], 0 offset:620
	buffer_load_dword v40, off, s[0:3], 0 offset:616
	buffer_load_dword v42, off, s[0:3], 0 offset:664
	buffer_load_dword v44, off, s[0:3], 0 offset:656
	buffer_load_dword v47, off, s[0:3], 0 offset:652
	buffer_load_dword v46, off, s[0:3], 0 offset:648
	buffer_load_dword v43, off, s[0:3], 0 offset:668
	buffer_load_dword v39, off, s[0:3], 0 offset:628
	buffer_load_dword v48, off, s[0:3], 0 offset:560
	buffer_load_dword v49, off, s[0:3], 0 offset:564
	buffer_load_dword v50, off, s[0:3], 0 offset:576
	buffer_load_dword v51, off, s[0:3], 0 offset:580
	buffer_load_dword v52, off, s[0:3], 0 offset:592
	buffer_load_dword v53, off, s[0:3], 0 offset:596
	buffer_load_dword v55, off, s[0:3], 0 offset:612
	buffer_load_dword v54, off, s[0:3], 0 offset:608
	buffer_load_dword v57, off, s[0:3], 0 offset:644
	buffer_load_dword v56, off, s[0:3], 0 offset:640
	buffer_load_dword v45, off, s[0:3], 0 offset:660
	buffer_load_dword v58, off, s[0:3], 0 offset:544
	buffer_load_dword v59, off, s[0:3], 0 offset:548
	buffer_load_dword v60, off, s[0:3], 0 offset:552
	buffer_load_dword v61, off, s[0:3], 0 offset:556
	v_mov_b32_e32 v1, 0
	ds_read_b128 v[2:5], v1 offset:1200
	ds_read_b128 v[6:9], v1 offset:1216
	;; [unrolled: 1-line block ×7, first 2 shown]
	v_cmp_lt_u32_e32 vcc, 32, v254
	s_waitcnt vmcnt(30) lgkmcnt(6)
	v_mul_f64 v[62:63], v[2:3], v[30:31]
	v_mul_f64 v[30:31], v[4:5], v[30:31]
	s_waitcnt vmcnt(28) lgkmcnt(5)
	v_mul_f64 v[64:65], v[6:7], v[32:33]
	v_mul_f64 v[32:33], v[8:9], v[32:33]
	;; [unrolled: 3-line block ×4, first 2 shown]
	s_waitcnt vmcnt(21)
	v_mul_f64 v[68:69], v[14:15], v[40:41]
	v_mul_f64 v[40:41], v[16:17], v[40:41]
	s_waitcnt vmcnt(17) lgkmcnt(1)
	v_mul_f64 v[72:73], v[22:23], v[46:47]
	v_mul_f64 v[46:47], v[24:25], v[46:47]
	s_waitcnt vmcnt(16) lgkmcnt(0)
	v_mul_f64 v[74:75], v[26:27], v[42:43]
	v_mul_f64 v[42:43], v[28:29], v[42:43]
	s_waitcnt vmcnt(13)
	v_fma_f64 v[2:3], v[2:3], v[48:49], -v[30:31]
	v_fmac_f64_e32 v[62:63], v[4:5], v[48:49]
	s_waitcnt vmcnt(11)
	v_fma_f64 v[4:5], v[6:7], v[50:51], -v[32:33]
	v_add_f64 v[2:3], v[2:3], 0
	v_fmac_f64_e32 v[64:65], v[8:9], v[50:51]
	s_waitcnt vmcnt(9)
	v_fma_f64 v[6:7], v[10:11], v[52:53], -v[34:35]
	s_waitcnt vmcnt(7)
	v_fmac_f64_e32 v[68:69], v[16:17], v[54:55]
	v_add_f64 v[16:17], v[62:63], 0
	v_add_f64 v[2:3], v[2:3], v[4:5]
	v_fmac_f64_e32 v[66:67], v[12:13], v[52:53]
	v_fma_f64 v[8:9], v[14:15], v[54:55], -v[40:41]
	v_add_f64 v[16:17], v[16:17], v[64:65]
	v_add_f64 v[2:3], v[2:3], v[6:7]
	v_fma_f64 v[10:11], v[18:19], v[38:39], -v[36:37]
	v_add_f64 v[4:5], v[16:17], v[66:67]
	v_add_f64 v[2:3], v[2:3], v[8:9]
	v_fmac_f64_e32 v[70:71], v[20:21], v[38:39]
	s_waitcnt vmcnt(5)
	v_fma_f64 v[12:13], v[22:23], v[56:57], -v[46:47]
	v_add_f64 v[4:5], v[4:5], v[68:69]
	v_add_f64 v[2:3], v[2:3], v[10:11]
	v_fmac_f64_e32 v[72:73], v[24:25], v[56:57]
	s_waitcnt vmcnt(4)
	v_fma_f64 v[14:15], v[26:27], v[44:45], -v[42:43]
	v_add_f64 v[4:5], v[4:5], v[70:71]
	v_add_f64 v[2:3], v[2:3], v[12:13]
	v_fmac_f64_e32 v[74:75], v[28:29], v[44:45]
	v_add_f64 v[4:5], v[4:5], v[72:73]
	v_add_f64 v[2:3], v[2:3], v[14:15]
	;; [unrolled: 1-line block ×3, first 2 shown]
	s_waitcnt vmcnt(2)
	v_add_f64 v[2:3], v[58:59], -v[2:3]
	s_waitcnt vmcnt(0)
	v_add_f64 v[4:5], v[60:61], -v[4:5]
	buffer_store_dword v3, off, s[0:3], 0 offset:548
	buffer_store_dword v2, off, s[0:3], 0 offset:544
	;; [unrolled: 1-line block ×4, first 2 shown]
	s_and_saveexec_b64 s[4:5], vcc
	s_cbranch_execz .LBB40_195
; %bb.194:
	v_accvgpr_read_b32 v0, a90
	buffer_load_dword v2, v0, s[0:3], 0 offen
	buffer_load_dword v3, v0, s[0:3], 0 offen offset:4
	buffer_load_dword v4, v0, s[0:3], 0 offen offset:8
	buffer_load_dword v5, v0, s[0:3], 0 offen offset:12
	v_accvgpr_read_b32 v0, a123
	buffer_store_dword v1, off, s[0:3], 0 offset:528
	buffer_store_dword v1, off, s[0:3], 0 offset:532
	;; [unrolled: 1-line block ×4, first 2 shown]
	s_waitcnt vmcnt(4)
	ds_write_b128 v0, v[2:5]
.LBB40_195:
	s_or_b64 exec, exec, s[4:5]
	s_waitcnt lgkmcnt(0)
	; wave barrier
	s_waitcnt lgkmcnt(0)
	buffer_load_dword v34, off, s[0:3], 0 offset:552
	buffer_load_dword v35, off, s[0:3], 0 offset:556
	;; [unrolled: 1-line block ×36, first 2 shown]
	ds_read_b128 v[2:5], v1 offset:1184
	ds_read_b128 v[6:9], v1 offset:1200
	ds_read_b128 v[10:13], v1 offset:1216
	ds_read_b128 v[14:17], v1 offset:1232
	ds_read_b128 v[18:21], v1 offset:1248
	ds_read_b128 v[22:25], v1 offset:1264
	ds_read_b128 v[26:29], v1 offset:1280
	ds_read_b128 v[30:33], v1 offset:1296
	v_cmp_lt_u32_e32 vcc, 31, v254
	s_waitcnt vmcnt(34) lgkmcnt(7)
	v_mul_f64 v[70:71], v[2:3], v[34:35]
	v_mul_f64 v[34:35], v[4:5], v[34:35]
	s_waitcnt vmcnt(32) lgkmcnt(6)
	v_mul_f64 v[72:73], v[6:7], v[36:37]
	v_mul_f64 v[36:37], v[8:9], v[36:37]
	;; [unrolled: 3-line block ×4, first 2 shown]
	s_waitcnt vmcnt(25)
	v_mul_f64 v[76:77], v[14:15], v[44:45]
	v_mul_f64 v[44:45], v[16:17], v[44:45]
	s_waitcnt vmcnt(23) lgkmcnt(1)
	v_mul_f64 v[82:83], v[26:27], v[46:47]
	v_mul_f64 v[46:47], v[28:29], v[46:47]
	s_waitcnt vmcnt(20)
	v_mul_f64 v[80:81], v[22:23], v[50:51]
	v_mul_f64 v[50:51], v[24:25], v[50:51]
	s_waitcnt vmcnt(18) lgkmcnt(0)
	v_mul_f64 v[84:85], v[30:31], v[52:53]
	s_waitcnt vmcnt(17)
	v_fmac_f64_e32 v[78:79], v[20:21], v[42:43]
	s_waitcnt vmcnt(16)
	v_fmac_f64_e32 v[82:83], v[28:29], v[48:49]
	s_waitcnt vmcnt(14)
	v_fma_f64 v[2:3], v[2:3], v[54:55], -v[34:35]
	v_fmac_f64_e32 v[70:71], v[4:5], v[54:55]
	s_waitcnt vmcnt(12)
	v_fma_f64 v[4:5], v[6:7], v[56:57], -v[36:37]
	v_add_f64 v[2:3], v[2:3], 0
	v_fmac_f64_e32 v[72:73], v[8:9], v[56:57]
	s_waitcnt vmcnt(10)
	v_fma_f64 v[6:7], v[10:11], v[58:59], -v[38:39]
	s_waitcnt vmcnt(8)
	v_fmac_f64_e32 v[76:77], v[16:17], v[60:61]
	v_add_f64 v[16:17], v[70:71], 0
	v_add_f64 v[2:3], v[2:3], v[4:5]
	v_fmac_f64_e32 v[74:75], v[12:13], v[58:59]
	v_fma_f64 v[8:9], v[14:15], v[60:61], -v[44:45]
	v_add_f64 v[16:17], v[16:17], v[72:73]
	v_add_f64 v[2:3], v[2:3], v[6:7]
	v_fma_f64 v[10:11], v[18:19], v[42:43], -v[40:41]
	v_add_f64 v[4:5], v[16:17], v[74:75]
	v_add_f64 v[2:3], v[2:3], v[8:9]
	s_waitcnt vmcnt(6)
	v_fma_f64 v[12:13], v[22:23], v[62:63], -v[50:51]
	v_add_f64 v[4:5], v[4:5], v[76:77]
	v_add_f64 v[2:3], v[2:3], v[10:11]
	v_fmac_f64_e32 v[80:81], v[24:25], v[62:63]
	v_fma_f64 v[14:15], v[26:27], v[48:49], -v[46:47]
	v_add_f64 v[4:5], v[4:5], v[78:79]
	v_add_f64 v[2:3], v[2:3], v[12:13]
	v_mul_f64 v[6:7], v[32:33], v[52:53]
	v_add_f64 v[4:5], v[4:5], v[80:81]
	v_add_f64 v[2:3], v[2:3], v[14:15]
	s_waitcnt vmcnt(4)
	v_fma_f64 v[6:7], v[30:31], v[64:65], -v[6:7]
	v_fmac_f64_e32 v[84:85], v[32:33], v[64:65]
	v_add_f64 v[4:5], v[4:5], v[82:83]
	v_add_f64 v[2:3], v[2:3], v[6:7]
	;; [unrolled: 1-line block ×3, first 2 shown]
	s_waitcnt vmcnt(2)
	v_add_f64 v[2:3], v[66:67], -v[2:3]
	s_waitcnt vmcnt(0)
	v_add_f64 v[4:5], v[68:69], -v[4:5]
	buffer_store_dword v3, off, s[0:3], 0 offset:532
	buffer_store_dword v2, off, s[0:3], 0 offset:528
	;; [unrolled: 1-line block ×4, first 2 shown]
	s_and_saveexec_b64 s[4:5], vcc
	s_cbranch_execz .LBB40_197
; %bb.196:
	v_accvgpr_read_b32 v0, a91
	buffer_load_dword v2, v0, s[0:3], 0 offen
	buffer_load_dword v3, v0, s[0:3], 0 offen offset:4
	buffer_load_dword v4, v0, s[0:3], 0 offen offset:8
	buffer_load_dword v5, v0, s[0:3], 0 offen offset:12
	v_mov_b32_e32 v0, 0
	v_accvgpr_read_b32 v1, a123
	buffer_store_dword v0, off, s[0:3], 0 offset:512
	buffer_store_dword v0, off, s[0:3], 0 offset:516
	;; [unrolled: 1-line block ×4, first 2 shown]
	s_waitcnt vmcnt(4)
	ds_write_b128 v1, v[2:5]
.LBB40_197:
	s_or_b64 exec, exec, s[4:5]
	s_waitcnt lgkmcnt(0)
	; wave barrier
	s_waitcnt lgkmcnt(0)
	buffer_load_dword v38, off, s[0:3], 0 offset:536
	buffer_load_dword v39, off, s[0:3], 0 offset:540
	;; [unrolled: 1-line block ×40, first 2 shown]
	v_mov_b32_e32 v1, 0
	ds_read_b128 v[2:5], v1 offset:1168
	ds_read_b128 v[6:9], v1 offset:1184
	;; [unrolled: 1-line block ×9, first 2 shown]
	v_cmp_lt_u32_e32 vcc, 30, v254
	s_waitcnt vmcnt(38) lgkmcnt(8)
	v_mul_f64 v[78:79], v[2:3], v[38:39]
	v_mul_f64 v[38:39], v[4:5], v[38:39]
	s_waitcnt vmcnt(36) lgkmcnt(7)
	v_mul_f64 v[80:81], v[6:7], v[40:41]
	v_mul_f64 v[40:41], v[8:9], v[40:41]
	s_waitcnt vmcnt(34) lgkmcnt(6)
	v_mul_f64 v[82:83], v[10:11], v[42:43]
	v_mul_f64 v[42:43], v[12:13], v[42:43]
	s_waitcnt vmcnt(32) lgkmcnt(4)
	v_mul_f64 v[86:87], v[18:19], v[44:45]
	s_waitcnt vmcnt(30)
	v_fmac_f64_e32 v[86:87], v[20:21], v[46:47]
	s_waitcnt vmcnt(28)
	v_mul_f64 v[84:85], v[14:15], v[48:49]
	v_mul_f64 v[48:49], v[16:17], v[48:49]
	s_waitcnt vmcnt(26) lgkmcnt(2)
	v_mul_f64 v[90:91], v[26:27], v[50:51]
	s_waitcnt vmcnt(24)
	v_fmac_f64_e32 v[90:91], v[28:29], v[52:53]
	s_waitcnt vmcnt(22)
	v_mul_f64 v[88:89], v[22:23], v[54:55]
	s_waitcnt vmcnt(18) lgkmcnt(1)
	v_mul_f64 v[92:93], v[30:31], v[60:61]
	s_waitcnt vmcnt(17) lgkmcnt(0)
	v_mul_f64 v[94:95], v[34:35], v[56:57]
	s_waitcnt vmcnt(15)
	v_fma_f64 v[2:3], v[2:3], v[62:63], -v[38:39]
	v_fmac_f64_e32 v[78:79], v[4:5], v[62:63]
	s_waitcnt vmcnt(13)
	v_fma_f64 v[4:5], v[6:7], v[64:65], -v[40:41]
	v_add_f64 v[2:3], v[2:3], 0
	s_waitcnt vmcnt(11)
	v_fma_f64 v[6:7], v[10:11], v[66:67], -v[42:43]
	v_add_f64 v[2:3], v[2:3], v[4:5]
	v_fmac_f64_e32 v[80:81], v[8:9], v[64:65]
	s_waitcnt vmcnt(9)
	v_fma_f64 v[8:9], v[14:15], v[68:69], -v[48:49]
	v_add_f64 v[2:3], v[2:3], v[6:7]
	v_mul_f64 v[6:7], v[20:21], v[44:45]
	v_add_f64 v[2:3], v[2:3], v[8:9]
	v_fma_f64 v[6:7], v[18:19], v[46:47], -v[6:7]
	v_add_f64 v[2:3], v[2:3], v[6:7]
	v_mul_f64 v[6:7], v[24:25], v[54:55]
	v_add_f64 v[10:11], v[78:79], 0
	s_waitcnt vmcnt(7)
	v_fma_f64 v[6:7], v[22:23], v[70:71], -v[6:7]
	v_fmac_f64_e32 v[82:83], v[12:13], v[66:67]
	v_add_f64 v[10:11], v[10:11], v[80:81]
	v_add_f64 v[2:3], v[2:3], v[6:7]
	v_mul_f64 v[6:7], v[28:29], v[50:51]
	v_fmac_f64_e32 v[84:85], v[16:17], v[68:69]
	v_add_f64 v[4:5], v[10:11], v[82:83]
	v_fma_f64 v[6:7], v[26:27], v[52:53], -v[6:7]
	v_add_f64 v[4:5], v[4:5], v[84:85]
	v_add_f64 v[2:3], v[2:3], v[6:7]
	v_mul_f64 v[6:7], v[32:33], v[60:61]
	v_fmac_f64_e32 v[88:89], v[24:25], v[70:71]
	v_add_f64 v[4:5], v[4:5], v[86:87]
	s_waitcnt vmcnt(5)
	v_fma_f64 v[6:7], v[30:31], v[72:73], -v[6:7]
	v_add_f64 v[4:5], v[4:5], v[88:89]
	v_add_f64 v[2:3], v[2:3], v[6:7]
	v_mul_f64 v[6:7], v[36:37], v[56:57]
	v_fmac_f64_e32 v[92:93], v[32:33], v[72:73]
	v_add_f64 v[4:5], v[4:5], v[90:91]
	s_waitcnt vmcnt(4)
	v_fma_f64 v[6:7], v[34:35], v[58:59], -v[6:7]
	v_fmac_f64_e32 v[94:95], v[36:37], v[58:59]
	v_add_f64 v[4:5], v[4:5], v[92:93]
	v_add_f64 v[2:3], v[2:3], v[6:7]
	;; [unrolled: 1-line block ×3, first 2 shown]
	s_waitcnt vmcnt(2)
	v_add_f64 v[2:3], v[74:75], -v[2:3]
	s_waitcnt vmcnt(0)
	v_add_f64 v[4:5], v[76:77], -v[4:5]
	buffer_store_dword v3, off, s[0:3], 0 offset:516
	buffer_store_dword v2, off, s[0:3], 0 offset:512
	;; [unrolled: 1-line block ×4, first 2 shown]
	s_and_saveexec_b64 s[4:5], vcc
	s_cbranch_execz .LBB40_199
; %bb.198:
	v_accvgpr_read_b32 v0, a92
	buffer_load_dword v2, v0, s[0:3], 0 offen
	buffer_load_dword v3, v0, s[0:3], 0 offen offset:4
	buffer_load_dword v4, v0, s[0:3], 0 offen offset:8
	;; [unrolled: 1-line block ×3, first 2 shown]
	v_accvgpr_read_b32 v0, a123
	buffer_store_dword v1, off, s[0:3], 0 offset:496
	buffer_store_dword v1, off, s[0:3], 0 offset:500
	;; [unrolled: 1-line block ×4, first 2 shown]
	s_waitcnt vmcnt(4)
	ds_write_b128 v0, v[2:5]
.LBB40_199:
	s_or_b64 exec, exec, s[4:5]
	s_waitcnt lgkmcnt(0)
	; wave barrier
	s_waitcnt lgkmcnt(0)
	buffer_load_dword v4, off, s[0:3], 0 offset:512
	buffer_load_dword v5, off, s[0:3], 0 offset:516
	;; [unrolled: 1-line block ×44, first 2 shown]
	ds_read_b128 v[6:9], v1 offset:1152
	ds_read_b128 v[10:13], v1 offset:1168
	;; [unrolled: 1-line block ×10, first 2 shown]
	v_cmp_lt_u32_e32 vcc, 29, v254
	s_waitcnt vmcnt(40) lgkmcnt(9)
	v_mul_f64 v[86:87], v[6:7], v[46:47]
	v_mul_f64 v[46:47], v[8:9], v[46:47]
	s_waitcnt vmcnt(38) lgkmcnt(8)
	v_mul_f64 v[88:89], v[10:11], v[48:49]
	v_mul_f64 v[48:49], v[12:13], v[48:49]
	v_fmac_f64_e32 v[86:87], v[8:9], v[4:5]
	v_fma_f64 v[4:5], v[6:7], v[4:5], -v[46:47]
	s_waitcnt vmcnt(36) lgkmcnt(7)
	v_mul_f64 v[90:91], v[14:15], v[2:3]
	v_add_f64 v[4:5], v[4:5], 0
	v_mul_f64 v[2:3], v[16:17], v[2:3]
	v_add_f64 v[8:9], v[86:87], 0
	s_waitcnt vmcnt(30) lgkmcnt(6)
	v_mul_f64 v[92:93], v[18:19], v[54:55]
	s_waitcnt lgkmcnt(5)
	v_mul_f64 v[94:95], v[22:23], v[50:51]
	v_fmac_f64_e32 v[94:95], v[24:25], v[52:53]
	s_waitcnt vmcnt(28) lgkmcnt(3)
	v_mul_f64 v[98:99], v[30:31], v[56:57]
	s_waitcnt vmcnt(26)
	v_fmac_f64_e32 v[98:99], v[32:33], v[58:59]
	s_waitcnt vmcnt(24)
	v_mul_f64 v[96:97], v[26:27], v[60:61]
	s_waitcnt vmcnt(22) lgkmcnt(1)
	v_mul_f64 v[102:103], v[38:39], v[62:63]
	s_waitcnt vmcnt(20)
	v_fmac_f64_e32 v[102:103], v[40:41], v[64:65]
	s_waitcnt vmcnt(18)
	v_mul_f64 v[100:101], v[34:35], v[66:67]
	s_waitcnt vmcnt(16) lgkmcnt(0)
	v_mul_f64 v[104:105], v[42:43], v[68:69]
	s_waitcnt vmcnt(14)
	v_fma_f64 v[6:7], v[10:11], v[70:71], -v[48:49]
	v_add_f64 v[4:5], v[4:5], v[6:7]
	s_waitcnt vmcnt(12)
	v_fma_f64 v[2:3], v[14:15], v[72:73], -v[2:3]
	v_add_f64 v[2:3], v[4:5], v[2:3]
	v_mul_f64 v[4:5], v[20:21], v[54:55]
	s_waitcnt vmcnt(10)
	v_fma_f64 v[4:5], v[18:19], v[74:75], -v[4:5]
	v_add_f64 v[2:3], v[2:3], v[4:5]
	v_mul_f64 v[4:5], v[24:25], v[50:51]
	v_fma_f64 v[4:5], v[22:23], v[52:53], -v[4:5]
	v_add_f64 v[2:3], v[2:3], v[4:5]
	v_mul_f64 v[4:5], v[28:29], v[60:61]
	s_waitcnt vmcnt(8)
	v_fma_f64 v[4:5], v[26:27], v[76:77], -v[4:5]
	v_fmac_f64_e32 v[88:89], v[12:13], v[70:71]
	v_add_f64 v[2:3], v[2:3], v[4:5]
	v_mul_f64 v[4:5], v[32:33], v[56:57]
	v_fmac_f64_e32 v[90:91], v[16:17], v[72:73]
	v_add_f64 v[8:9], v[8:9], v[88:89]
	v_fma_f64 v[4:5], v[30:31], v[58:59], -v[4:5]
	v_fmac_f64_e32 v[92:93], v[20:21], v[74:75]
	v_add_f64 v[6:7], v[8:9], v[90:91]
	v_add_f64 v[2:3], v[2:3], v[4:5]
	v_mul_f64 v[4:5], v[36:37], v[66:67]
	v_add_f64 v[6:7], v[6:7], v[92:93]
	s_waitcnt vmcnt(6)
	v_fma_f64 v[4:5], v[34:35], v[78:79], -v[4:5]
	v_fmac_f64_e32 v[96:97], v[28:29], v[76:77]
	v_add_f64 v[6:7], v[6:7], v[94:95]
	v_add_f64 v[2:3], v[2:3], v[4:5]
	v_mul_f64 v[4:5], v[40:41], v[62:63]
	v_add_f64 v[6:7], v[6:7], v[96:97]
	v_fma_f64 v[4:5], v[38:39], v[64:65], -v[4:5]
	v_fmac_f64_e32 v[100:101], v[36:37], v[78:79]
	v_add_f64 v[6:7], v[6:7], v[98:99]
	v_add_f64 v[2:3], v[2:3], v[4:5]
	v_mul_f64 v[4:5], v[44:45], v[68:69]
	v_add_f64 v[6:7], v[6:7], v[100:101]
	s_waitcnt vmcnt(4)
	v_fma_f64 v[4:5], v[42:43], v[80:81], -v[4:5]
	v_fmac_f64_e32 v[104:105], v[44:45], v[80:81]
	v_add_f64 v[6:7], v[6:7], v[102:103]
	v_add_f64 v[2:3], v[2:3], v[4:5]
	v_add_f64 v[6:7], v[6:7], v[104:105]
	s_waitcnt vmcnt(2)
	v_add_f64 v[2:3], v[82:83], -v[2:3]
	s_waitcnt vmcnt(0)
	v_add_f64 v[4:5], v[84:85], -v[6:7]
	buffer_store_dword v3, off, s[0:3], 0 offset:500
	buffer_store_dword v2, off, s[0:3], 0 offset:496
	;; [unrolled: 1-line block ×4, first 2 shown]
	s_and_saveexec_b64 s[4:5], vcc
	s_cbranch_execz .LBB40_201
; %bb.200:
	v_accvgpr_read_b32 v0, a93
	buffer_load_dword v2, v0, s[0:3], 0 offen
	buffer_load_dword v3, v0, s[0:3], 0 offen offset:4
	buffer_load_dword v4, v0, s[0:3], 0 offen offset:8
	;; [unrolled: 1-line block ×3, first 2 shown]
	v_mov_b32_e32 v0, 0
	v_accvgpr_read_b32 v1, a123
	buffer_store_dword v0, off, s[0:3], 0 offset:480
	buffer_store_dword v0, off, s[0:3], 0 offset:484
	;; [unrolled: 1-line block ×4, first 2 shown]
	s_waitcnt vmcnt(4)
	ds_write_b128 v1, v[2:5]
.LBB40_201:
	s_or_b64 exec, exec, s[4:5]
	s_waitcnt lgkmcnt(0)
	; wave barrier
	s_waitcnt lgkmcnt(0)
	buffer_load_dword v2, off, s[0:3], 0 offset:496
	buffer_load_dword v3, off, s[0:3], 0 offset:500
	buffer_load_dword v6, off, s[0:3], 0 offset:504
	buffer_load_dword v7, off, s[0:3], 0 offset:508
	buffer_load_dword v4, off, s[0:3], 0 offset:512
	buffer_load_dword v5, off, s[0:3], 0 offset:516
	buffer_load_dword v8, off, s[0:3], 0 offset:520
	buffer_load_dword v9, off, s[0:3], 0 offset:524
	buffer_load_dword v10, off, s[0:3], 0 offset:536
	buffer_load_dword v11, off, s[0:3], 0 offset:540
	buffer_load_dword v57, off, s[0:3], 0 offset:572
	buffer_load_dword v56, off, s[0:3], 0 offset:568
	buffer_load_dword v59, off, s[0:3], 0 offset:564
	buffer_load_dword v58, off, s[0:3], 0 offset:560
	buffer_load_dword v61, off, s[0:3], 0 offset:556
	buffer_load_dword v60, off, s[0:3], 0 offset:552
	buffer_load_dword v63, off, s[0:3], 0 offset:604
	buffer_load_dword v62, off, s[0:3], 0 offset:600
	buffer_load_dword v65, off, s[0:3], 0 offset:596
	buffer_load_dword v64, off, s[0:3], 0 offset:592
	buffer_load_dword v67, off, s[0:3], 0 offset:588
	buffer_load_dword v66, off, s[0:3], 0 offset:584
	buffer_load_dword v69, off, s[0:3], 0 offset:636
	buffer_load_dword v68, off, s[0:3], 0 offset:632
	buffer_load_dword v71, off, s[0:3], 0 offset:628
	buffer_load_dword v70, off, s[0:3], 0 offset:624
	buffer_load_dword v73, off, s[0:3], 0 offset:620
	buffer_load_dword v72, off, s[0:3], 0 offset:616
	buffer_load_dword v74, off, s[0:3], 0 offset:664
	buffer_load_dword v76, off, s[0:3], 0 offset:656
	buffer_load_dword v79, off, s[0:3], 0 offset:652
	buffer_load_dword v78, off, s[0:3], 0 offset:648
	buffer_load_dword v80, off, s[0:3], 0 offset:528
	buffer_load_dword v81, off, s[0:3], 0 offset:532
	buffer_load_dword v83, off, s[0:3], 0 offset:548
	buffer_load_dword v82, off, s[0:3], 0 offset:544
	buffer_load_dword v85, off, s[0:3], 0 offset:580
	buffer_load_dword v84, off, s[0:3], 0 offset:576
	buffer_load_dword v87, off, s[0:3], 0 offset:612
	buffer_load_dword v86, off, s[0:3], 0 offset:608
	buffer_load_dword v89, off, s[0:3], 0 offset:644
	buffer_load_dword v88, off, s[0:3], 0 offset:640
	buffer_load_dword v75, off, s[0:3], 0 offset:668
	buffer_load_dword v77, off, s[0:3], 0 offset:660
	buffer_load_dword v90, off, s[0:3], 0 offset:480
	buffer_load_dword v91, off, s[0:3], 0 offset:484
	buffer_load_dword v92, off, s[0:3], 0 offset:488
	buffer_load_dword v93, off, s[0:3], 0 offset:492
	v_mov_b32_e32 v1, 0
	ds_read_b128 v[12:15], v1 offset:1136
	ds_read_b128 v[16:19], v1 offset:1152
	;; [unrolled: 1-line block ×11, first 2 shown]
	v_cmp_lt_u32_e32 vcc, 28, v254
	s_waitcnt vmcnt(44) lgkmcnt(10)
	v_mul_f64 v[94:95], v[12:13], v[6:7]
	v_mul_f64 v[6:7], v[14:15], v[6:7]
	v_fmac_f64_e32 v[94:95], v[14:15], v[2:3]
	v_fma_f64 v[2:3], v[12:13], v[2:3], -v[6:7]
	s_waitcnt vmcnt(40) lgkmcnt(9)
	v_mul_f64 v[96:97], v[16:17], v[8:9]
	v_mul_f64 v[6:7], v[18:19], v[8:9]
	v_fmac_f64_e32 v[96:97], v[18:19], v[4:5]
	v_add_f64 v[2:3], v[2:3], 0
	v_fma_f64 v[4:5], v[16:17], v[4:5], -v[6:7]
	v_add_f64 v[2:3], v[2:3], v[4:5]
	s_waitcnt vmcnt(38) lgkmcnt(8)
	v_mul_f64 v[4:5], v[22:23], v[10:11]
	v_mul_f64 v[98:99], v[20:21], v[10:11]
	v_add_f64 v[94:95], v[94:95], 0
	s_waitcnt vmcnt(32) lgkmcnt(7)
	v_mul_f64 v[100:101], v[24:25], v[60:61]
	v_add_f64 v[94:95], v[94:95], v[96:97]
	s_waitcnt lgkmcnt(6)
	v_mul_f64 v[102:103], v[28:29], v[56:57]
	v_fmac_f64_e32 v[102:103], v[30:31], v[58:59]
	s_waitcnt vmcnt(30) lgkmcnt(4)
	v_mul_f64 v[106:107], v[36:37], v[62:63]
	s_waitcnt vmcnt(26)
	v_mul_f64 v[104:105], v[32:33], v[66:67]
	v_fmac_f64_e32 v[106:107], v[38:39], v[64:65]
	s_waitcnt vmcnt(24) lgkmcnt(2)
	v_mul_f64 v[110:111], v[44:45], v[68:69]
	s_waitcnt vmcnt(22)
	v_fmac_f64_e32 v[110:111], v[46:47], v[70:71]
	s_waitcnt vmcnt(20)
	v_mul_f64 v[108:109], v[40:41], v[72:73]
	s_waitcnt vmcnt(16) lgkmcnt(1)
	v_mul_f64 v[112:113], v[48:49], v[78:79]
	s_waitcnt vmcnt(14)
	v_fma_f64 v[4:5], v[20:21], v[80:81], -v[4:5]
	v_add_f64 v[2:3], v[2:3], v[4:5]
	v_mul_f64 v[4:5], v[26:27], v[60:61]
	s_waitcnt vmcnt(12)
	v_fma_f64 v[4:5], v[24:25], v[82:83], -v[4:5]
	v_add_f64 v[2:3], v[2:3], v[4:5]
	v_mul_f64 v[4:5], v[30:31], v[56:57]
	v_fma_f64 v[4:5], v[28:29], v[58:59], -v[4:5]
	v_add_f64 v[2:3], v[2:3], v[4:5]
	v_mul_f64 v[4:5], v[34:35], v[66:67]
	s_waitcnt vmcnt(10)
	v_fma_f64 v[4:5], v[32:33], v[84:85], -v[4:5]
	v_add_f64 v[2:3], v[2:3], v[4:5]
	v_mul_f64 v[4:5], v[38:39], v[62:63]
	v_fma_f64 v[4:5], v[36:37], v[64:65], -v[4:5]
	v_fmac_f64_e32 v[98:99], v[22:23], v[80:81]
	v_add_f64 v[2:3], v[2:3], v[4:5]
	v_mul_f64 v[4:5], v[42:43], v[72:73]
	v_fmac_f64_e32 v[100:101], v[26:27], v[82:83]
	v_add_f64 v[94:95], v[94:95], v[98:99]
	s_waitcnt vmcnt(8)
	v_fma_f64 v[4:5], v[40:41], v[86:87], -v[4:5]
	v_add_f64 v[94:95], v[94:95], v[100:101]
	v_add_f64 v[2:3], v[2:3], v[4:5]
	v_mul_f64 v[4:5], v[46:47], v[68:69]
	v_fmac_f64_e32 v[104:105], v[34:35], v[84:85]
	v_add_f64 v[94:95], v[94:95], v[102:103]
	v_fma_f64 v[4:5], v[44:45], v[70:71], -v[4:5]
	v_add_f64 v[94:95], v[94:95], v[104:105]
	v_add_f64 v[2:3], v[2:3], v[4:5]
	v_mul_f64 v[4:5], v[50:51], v[78:79]
	v_fmac_f64_e32 v[108:109], v[42:43], v[86:87]
	v_add_f64 v[94:95], v[94:95], v[106:107]
	s_waitcnt vmcnt(6)
	v_fma_f64 v[4:5], v[48:49], v[88:89], -v[4:5]
	v_add_f64 v[94:95], v[94:95], v[108:109]
	v_add_f64 v[2:3], v[2:3], v[4:5]
	s_waitcnt vmcnt(5) lgkmcnt(0)
	v_mul_f64 v[4:5], v[54:55], v[74:75]
	v_fmac_f64_e32 v[112:113], v[50:51], v[88:89]
	v_add_f64 v[94:95], v[94:95], v[110:111]
	v_mul_f64 v[96:97], v[52:53], v[74:75]
	s_waitcnt vmcnt(4)
	v_fma_f64 v[4:5], v[52:53], v[76:77], -v[4:5]
	v_add_f64 v[94:95], v[94:95], v[112:113]
	v_fmac_f64_e32 v[96:97], v[54:55], v[76:77]
	v_add_f64 v[2:3], v[2:3], v[4:5]
	v_add_f64 v[94:95], v[94:95], v[96:97]
	s_waitcnt vmcnt(2)
	v_add_f64 v[2:3], v[90:91], -v[2:3]
	s_waitcnt vmcnt(0)
	v_add_f64 v[4:5], v[92:93], -v[94:95]
	buffer_store_dword v3, off, s[0:3], 0 offset:484
	buffer_store_dword v2, off, s[0:3], 0 offset:480
	;; [unrolled: 1-line block ×4, first 2 shown]
	s_and_saveexec_b64 s[4:5], vcc
	s_cbranch_execz .LBB40_203
; %bb.202:
	v_accvgpr_read_b32 v0, a94
	buffer_load_dword v2, v0, s[0:3], 0 offen
	buffer_load_dword v3, v0, s[0:3], 0 offen offset:4
	buffer_load_dword v4, v0, s[0:3], 0 offen offset:8
	;; [unrolled: 1-line block ×3, first 2 shown]
	v_accvgpr_read_b32 v0, a123
	buffer_store_dword v1, off, s[0:3], 0 offset:464
	buffer_store_dword v1, off, s[0:3], 0 offset:468
	;; [unrolled: 1-line block ×4, first 2 shown]
	s_waitcnt vmcnt(4)
	ds_write_b128 v0, v[2:5]
.LBB40_203:
	s_or_b64 exec, exec, s[4:5]
	s_waitcnt lgkmcnt(0)
	; wave barrier
	s_waitcnt lgkmcnt(0)
	buffer_load_dword v2, off, s[0:3], 0 offset:480
	buffer_load_dword v3, off, s[0:3], 0 offset:484
	;; [unrolled: 1-line block ×52, first 2 shown]
	ds_read_b128 v[12:15], v1 offset:1120
	ds_read_b128 v[16:19], v1 offset:1136
	;; [unrolled: 1-line block ×10, first 2 shown]
	v_cmp_lt_u32_e32 vcc, 27, v254
	s_waitcnt vmcnt(48) lgkmcnt(9)
	v_mul_f64 v[52:53], v[12:13], v[6:7]
	v_mul_f64 v[6:7], v[14:15], v[6:7]
	v_fmac_f64_e32 v[52:53], v[14:15], v[2:3]
	v_fma_f64 v[2:3], v[12:13], v[2:3], -v[6:7]
	s_waitcnt vmcnt(44) lgkmcnt(8)
	v_mul_f64 v[54:55], v[16:17], v[8:9]
	v_mul_f64 v[6:7], v[18:19], v[8:9]
	v_fmac_f64_e32 v[54:55], v[18:19], v[4:5]
	v_add_f64 v[2:3], v[2:3], 0
	v_fma_f64 v[4:5], v[16:17], v[4:5], -v[6:7]
	v_add_f64 v[2:3], v[2:3], v[4:5]
	s_waitcnt vmcnt(42) lgkmcnt(7)
	v_mul_f64 v[4:5], v[22:23], v[10:11]
	v_mul_f64 v[56:57], v[20:21], v[10:11]
	v_add_f64 v[52:53], v[52:53], 0
	s_waitcnt vmcnt(36) lgkmcnt(6)
	v_mul_f64 v[58:59], v[24:25], v[64:65]
	v_add_f64 v[52:53], v[52:53], v[54:55]
	s_waitcnt lgkmcnt(5)
	v_mul_f64 v[102:103], v[28:29], v[60:61]
	v_fmac_f64_e32 v[102:103], v[30:31], v[62:63]
	s_waitcnt vmcnt(34) lgkmcnt(3)
	v_mul_f64 v[106:107], v[36:37], v[66:67]
	s_waitcnt vmcnt(30)
	v_mul_f64 v[104:105], v[32:33], v[70:71]
	v_fmac_f64_e32 v[106:107], v[38:39], v[68:69]
	s_waitcnt vmcnt(26) lgkmcnt(2)
	v_mul_f64 v[108:109], v[40:41], v[76:77]
	s_waitcnt vmcnt(25) lgkmcnt(1)
	v_mul_f64 v[110:111], v[44:45], v[72:73]
	s_waitcnt vmcnt(23)
	v_fma_f64 v[4:5], v[20:21], v[78:79], -v[4:5]
	v_add_f64 v[2:3], v[2:3], v[4:5]
	v_mul_f64 v[4:5], v[26:27], v[64:65]
	s_waitcnt vmcnt(21)
	v_fma_f64 v[4:5], v[24:25], v[80:81], -v[4:5]
	v_fmac_f64_e32 v[56:57], v[22:23], v[78:79]
	v_add_f64 v[2:3], v[2:3], v[4:5]
	v_mul_f64 v[4:5], v[30:31], v[60:61]
	v_fmac_f64_e32 v[58:59], v[26:27], v[80:81]
	v_add_f64 v[52:53], v[52:53], v[56:57]
	v_fma_f64 v[4:5], v[28:29], v[62:63], -v[4:5]
	v_add_f64 v[52:53], v[52:53], v[58:59]
	v_add_f64 v[2:3], v[2:3], v[4:5]
	v_mul_f64 v[4:5], v[34:35], v[70:71]
	s_waitcnt vmcnt(19)
	v_fmac_f64_e32 v[104:105], v[34:35], v[82:83]
	v_add_f64 v[52:53], v[52:53], v[102:103]
	v_fma_f64 v[4:5], v[32:33], v[82:83], -v[4:5]
	v_add_f64 v[52:53], v[52:53], v[104:105]
	v_add_f64 v[2:3], v[2:3], v[4:5]
	v_mul_f64 v[4:5], v[38:39], v[66:67]
	s_waitcnt vmcnt(17)
	v_fmac_f64_e32 v[108:109], v[42:43], v[84:85]
	v_add_f64 v[52:53], v[52:53], v[106:107]
	v_fma_f64 v[4:5], v[36:37], v[68:69], -v[4:5]
	s_waitcnt vmcnt(16)
	v_fmac_f64_e32 v[110:111], v[46:47], v[74:75]
	v_add_f64 v[52:53], v[52:53], v[108:109]
	v_add_f64 v[2:3], v[2:3], v[4:5]
	v_mul_f64 v[4:5], v[42:43], v[76:77]
	v_add_f64 v[102:103], v[52:53], v[110:111]
	ds_read_b128 v[52:55], v1 offset:1280
	ds_read_b128 v[56:59], v1 offset:1296
	v_fma_f64 v[4:5], v[40:41], v[84:85], -v[4:5]
	v_add_f64 v[2:3], v[2:3], v[4:5]
	v_mul_f64 v[4:5], v[46:47], v[72:73]
	v_fma_f64 v[4:5], v[44:45], v[74:75], -v[4:5]
	v_add_f64 v[2:3], v[2:3], v[4:5]
	s_waitcnt vmcnt(12) lgkmcnt(2)
	v_mul_f64 v[4:5], v[50:51], v[90:91]
	v_mul_f64 v[104:105], v[48:49], v[90:91]
	s_waitcnt vmcnt(10)
	v_fma_f64 v[4:5], v[48:49], v[92:93], -v[4:5]
	v_fmac_f64_e32 v[104:105], v[50:51], v[92:93]
	v_add_f64 v[2:3], v[2:3], v[4:5]
	s_waitcnt vmcnt(8) lgkmcnt(1)
	v_mul_f64 v[4:5], v[54:55], v[86:87]
	v_add_f64 v[102:103], v[102:103], v[104:105]
	v_mul_f64 v[104:105], v[52:53], v[86:87]
	v_fma_f64 v[4:5], v[52:53], v[88:89], -v[4:5]
	v_fmac_f64_e32 v[104:105], v[54:55], v[88:89]
	v_add_f64 v[2:3], v[2:3], v[4:5]
	s_waitcnt vmcnt(6) lgkmcnt(0)
	v_mul_f64 v[4:5], v[58:59], v[94:95]
	v_add_f64 v[102:103], v[102:103], v[104:105]
	v_mul_f64 v[104:105], v[56:57], v[94:95]
	s_waitcnt vmcnt(4)
	v_fma_f64 v[4:5], v[56:57], v[96:97], -v[4:5]
	v_fmac_f64_e32 v[104:105], v[58:59], v[96:97]
	v_add_f64 v[2:3], v[2:3], v[4:5]
	v_add_f64 v[102:103], v[102:103], v[104:105]
	s_waitcnt vmcnt(2)
	v_add_f64 v[2:3], v[98:99], -v[2:3]
	s_waitcnt vmcnt(0)
	v_add_f64 v[4:5], v[100:101], -v[102:103]
	buffer_store_dword v3, off, s[0:3], 0 offset:468
	buffer_store_dword v2, off, s[0:3], 0 offset:464
	;; [unrolled: 1-line block ×4, first 2 shown]
	s_and_saveexec_b64 s[4:5], vcc
	s_cbranch_execz .LBB40_205
; %bb.204:
	v_accvgpr_read_b32 v0, a95
	buffer_load_dword v2, v0, s[0:3], 0 offen
	buffer_load_dword v3, v0, s[0:3], 0 offen offset:4
	buffer_load_dword v4, v0, s[0:3], 0 offen offset:8
	;; [unrolled: 1-line block ×3, first 2 shown]
	v_mov_b32_e32 v0, 0
	v_accvgpr_read_b32 v1, a123
	buffer_store_dword v0, off, s[0:3], 0 offset:448
	buffer_store_dword v0, off, s[0:3], 0 offset:452
	;; [unrolled: 1-line block ×4, first 2 shown]
	s_waitcnt vmcnt(4)
	ds_write_b128 v1, v[2:5]
.LBB40_205:
	s_or_b64 exec, exec, s[4:5]
	s_waitcnt lgkmcnt(0)
	; wave barrier
	s_waitcnt lgkmcnt(0)
	buffer_load_dword v2, off, s[0:3], 0 offset:464
	buffer_load_dword v3, off, s[0:3], 0 offset:468
	;; [unrolled: 1-line block ×56, first 2 shown]
	v_mov_b32_e32 v1, 0
	ds_read_b128 v[18:21], v1 offset:1104
	ds_read_b128 v[22:25], v1 offset:1120
	;; [unrolled: 1-line block ×9, first 2 shown]
	v_cmp_lt_u32_e32 vcc, 26, v254
	s_waitcnt vmcnt(52) lgkmcnt(8)
	v_mul_f64 v[50:51], v[18:19], v[6:7]
	v_fmac_f64_e32 v[50:51], v[20:21], v[2:3]
	v_mul_f64 v[6:7], v[20:21], v[6:7]
	v_add_f64 v[50:51], v[50:51], 0
	s_waitcnt vmcnt(48) lgkmcnt(7)
	v_mul_f64 v[52:53], v[22:23], v[8:9]
	v_fmac_f64_e32 v[52:53], v[24:25], v[4:5]
	s_waitcnt vmcnt(46) lgkmcnt(6)
	v_mul_f64 v[54:55], v[26:27], v[10:11]
	v_fma_f64 v[2:3], v[18:19], v[2:3], -v[6:7]
	v_mul_f64 v[6:7], v[24:25], v[8:9]
	v_add_f64 v[50:51], v[50:51], v[52:53]
	v_add_f64 v[2:3], v[2:3], 0
	v_fma_f64 v[4:5], v[22:23], v[4:5], -v[6:7]
	s_waitcnt vmcnt(40) lgkmcnt(5)
	v_mul_f64 v[56:57], v[30:31], v[16:17]
	s_waitcnt lgkmcnt(4)
	v_mul_f64 v[58:59], v[34:35], v[12:13]
	v_add_f64 v[2:3], v[2:3], v[4:5]
	v_mul_f64 v[4:5], v[28:29], v[10:11]
	s_waitcnt vmcnt(36) lgkmcnt(3)
	v_mul_f64 v[60:61], v[38:39], v[74:75]
	v_fmac_f64_e32 v[58:59], v[36:37], v[14:15]
	s_waitcnt vmcnt(35) lgkmcnt(2)
	v_mul_f64 v[62:63], v[42:43], v[70:71]
	s_waitcnt vmcnt(33)
	v_fmac_f64_e32 v[54:55], v[28:29], v[76:77]
	v_add_f64 v[50:51], v[50:51], v[54:55]
	s_waitcnt vmcnt(31)
	v_fmac_f64_e32 v[56:57], v[32:33], v[78:79]
	v_add_f64 v[50:51], v[50:51], v[56:57]
	v_fma_f64 v[4:5], v[26:27], v[76:77], -v[4:5]
	s_waitcnt vmcnt(29)
	v_fmac_f64_e32 v[60:61], v[40:41], v[80:81]
	v_add_f64 v[50:51], v[50:51], v[58:59]
	v_add_f64 v[2:3], v[2:3], v[4:5]
	v_mul_f64 v[4:5], v[32:33], v[16:17]
	s_waitcnt vmcnt(28)
	v_fmac_f64_e32 v[62:63], v[44:45], v[72:73]
	v_add_f64 v[50:51], v[50:51], v[60:61]
	v_fma_f64 v[4:5], v[30:31], v[78:79], -v[4:5]
	v_add_f64 v[54:55], v[50:51], v[62:63]
	ds_read_b128 v[50:53], v1 offset:1232
	s_waitcnt vmcnt(24) lgkmcnt(2)
	v_mul_f64 v[56:57], v[46:47], v[86:87]
	v_add_f64 v[2:3], v[2:3], v[4:5]
	v_mul_f64 v[4:5], v[36:37], v[12:13]
	s_waitcnt vmcnt(22)
	v_fmac_f64_e32 v[56:57], v[48:49], v[88:89]
	v_fma_f64 v[4:5], v[34:35], v[14:15], -v[4:5]
	v_add_f64 v[58:59], v[54:55], v[56:57]
	ds_read_b128 v[54:57], v1 offset:1248
	v_add_f64 v[2:3], v[2:3], v[4:5]
	v_mul_f64 v[4:5], v[40:41], v[74:75]
	v_fma_f64 v[4:5], v[38:39], v[80:81], -v[4:5]
	v_add_f64 v[2:3], v[2:3], v[4:5]
	v_mul_f64 v[4:5], v[44:45], v[70:71]
	s_waitcnt vmcnt(20) lgkmcnt(1)
	v_mul_f64 v[60:61], v[50:51], v[82:83]
	v_fma_f64 v[4:5], v[42:43], v[72:73], -v[4:5]
	v_fmac_f64_e32 v[60:61], v[52:53], v[84:85]
	v_add_f64 v[2:3], v[2:3], v[4:5]
	v_mul_f64 v[4:5], v[48:49], v[86:87]
	v_add_f64 v[62:63], v[58:59], v[60:61]
	ds_read_b128 v[58:61], v1 offset:1264
	s_waitcnt vmcnt(16) lgkmcnt(1)
	v_mul_f64 v[64:65], v[54:55], v[94:95]
	v_fma_f64 v[4:5], v[46:47], v[88:89], -v[4:5]
	s_waitcnt vmcnt(14)
	v_fmac_f64_e32 v[64:65], v[56:57], v[96:97]
	v_add_f64 v[2:3], v[2:3], v[4:5]
	v_mul_f64 v[4:5], v[52:53], v[82:83]
	v_add_f64 v[110:111], v[62:63], v[64:65]
	ds_read_b128 v[62:65], v1 offset:1280
	v_fma_f64 v[4:5], v[50:51], v[84:85], -v[4:5]
	v_add_f64 v[2:3], v[2:3], v[4:5]
	v_mul_f64 v[4:5], v[56:57], v[94:95]
	v_fma_f64 v[4:5], v[54:55], v[96:97], -v[4:5]
	v_add_f64 v[2:3], v[2:3], v[4:5]
	s_waitcnt vmcnt(12) lgkmcnt(1)
	v_mul_f64 v[4:5], v[60:61], v[90:91]
	v_mul_f64 v[112:113], v[58:59], v[90:91]
	v_fma_f64 v[4:5], v[58:59], v[92:93], -v[4:5]
	v_fmac_f64_e32 v[112:113], v[60:61], v[92:93]
	v_add_f64 v[2:3], v[2:3], v[4:5]
	s_waitcnt vmcnt(8) lgkmcnt(0)
	v_mul_f64 v[4:5], v[64:65], v[102:103]
	v_add_f64 v[110:111], v[110:111], v[112:113]
	v_mul_f64 v[112:113], v[62:63], v[102:103]
	s_waitcnt vmcnt(6)
	v_fma_f64 v[4:5], v[62:63], v[104:105], -v[4:5]
	v_fmac_f64_e32 v[112:113], v[64:65], v[104:105]
	v_add_f64 v[2:3], v[2:3], v[4:5]
	s_waitcnt vmcnt(5)
	v_mul_f64 v[4:5], v[68:69], v[98:99]
	v_add_f64 v[110:111], v[110:111], v[112:113]
	v_mul_f64 v[112:113], v[66:67], v[98:99]
	s_waitcnt vmcnt(4)
	v_fma_f64 v[4:5], v[66:67], v[100:101], -v[4:5]
	v_fmac_f64_e32 v[112:113], v[68:69], v[100:101]
	v_add_f64 v[2:3], v[2:3], v[4:5]
	v_add_f64 v[110:111], v[110:111], v[112:113]
	s_waitcnt vmcnt(2)
	v_add_f64 v[2:3], v[106:107], -v[2:3]
	s_waitcnt vmcnt(0)
	v_add_f64 v[4:5], v[108:109], -v[110:111]
	buffer_store_dword v3, off, s[0:3], 0 offset:452
	buffer_store_dword v2, off, s[0:3], 0 offset:448
	buffer_store_dword v5, off, s[0:3], 0 offset:460
	buffer_store_dword v4, off, s[0:3], 0 offset:456
	s_and_saveexec_b64 s[4:5], vcc
	s_cbranch_execz .LBB40_207
; %bb.206:
	v_accvgpr_read_b32 v0, a96
	buffer_load_dword v2, v0, s[0:3], 0 offen
	buffer_load_dword v3, v0, s[0:3], 0 offen offset:4
	buffer_load_dword v4, v0, s[0:3], 0 offen offset:8
	;; [unrolled: 1-line block ×3, first 2 shown]
	v_accvgpr_read_b32 v0, a123
	buffer_store_dword v1, off, s[0:3], 0 offset:432
	buffer_store_dword v1, off, s[0:3], 0 offset:436
	;; [unrolled: 1-line block ×4, first 2 shown]
	s_waitcnt vmcnt(4)
	ds_write_b128 v0, v[2:5]
.LBB40_207:
	s_or_b64 exec, exec, s[4:5]
	s_waitcnt lgkmcnt(0)
	; wave barrier
	s_waitcnt lgkmcnt(0)
	buffer_load_dword v2, off, s[0:3], 0 offset:448
	buffer_load_dword v3, off, s[0:3], 0 offset:452
	;; [unrolled: 1-line block ×60, first 2 shown]
	ds_read_b128 v[24:27], v1 offset:1088
	ds_read_b128 v[28:31], v1 offset:1104
	;; [unrolled: 1-line block ×8, first 2 shown]
	v_cmp_lt_u32_e32 vcc, 25, v254
	ds_read_b128 v[76:79], v1 offset:1296
	s_waitcnt vmcnt(56) lgkmcnt(8)
	v_mul_f64 v[56:57], v[24:25], v[6:7]
	v_fmac_f64_e32 v[56:57], v[26:27], v[2:3]
	v_add_f64 v[56:57], v[56:57], 0
	v_mul_f64 v[6:7], v[26:27], v[6:7]
	s_waitcnt vmcnt(52) lgkmcnt(7)
	v_mul_f64 v[58:59], v[28:29], v[8:9]
	v_fmac_f64_e32 v[58:59], v[30:31], v[4:5]
	s_waitcnt vmcnt(50) lgkmcnt(6)
	v_mul_f64 v[60:61], v[32:33], v[10:11]
	v_add_f64 v[56:57], v[56:57], v[58:59]
	s_waitcnt vmcnt(48) lgkmcnt(4)
	v_mul_f64 v[64:65], v[40:41], v[12:13]
	v_fma_f64 v[2:3], v[24:25], v[2:3], -v[6:7]
	s_waitcnt vmcnt(46)
	v_fmac_f64_e32 v[64:65], v[42:43], v[14:15]
	v_mul_f64 v[6:7], v[30:31], v[8:9]
	s_waitcnt vmcnt(44)
	v_mul_f64 v[62:63], v[36:37], v[16:17]
	v_add_f64 v[2:3], v[2:3], 0
	v_fma_f64 v[4:5], v[28:29], v[4:5], -v[6:7]
	v_add_f64 v[2:3], v[2:3], v[4:5]
	s_waitcnt vmcnt(40) lgkmcnt(3)
	v_mul_f64 v[66:67], v[44:45], v[22:23]
	v_mul_f64 v[4:5], v[34:35], v[10:11]
	s_waitcnt vmcnt(38)
	v_fmac_f64_e32 v[60:61], v[34:35], v[80:81]
	v_add_f64 v[56:57], v[56:57], v[60:61]
	s_waitcnt vmcnt(36)
	v_fmac_f64_e32 v[62:63], v[38:39], v[82:83]
	v_add_f64 v[56:57], v[56:57], v[62:63]
	;; [unrolled: 3-line block ×3, first 2 shown]
	s_waitcnt vmcnt(32) lgkmcnt(2)
	v_mul_f64 v[58:59], v[48:49], v[18:19]
	v_add_f64 v[56:57], v[56:57], v[66:67]
	v_fmac_f64_e32 v[58:59], v[50:51], v[20:21]
	v_add_f64 v[60:61], v[56:57], v[58:59]
	ds_read_b128 v[56:59], v1 offset:1216
	v_fma_f64 v[4:5], v[32:33], v[80:81], -v[4:5]
	v_add_f64 v[2:3], v[2:3], v[4:5]
	v_mul_f64 v[4:5], v[38:39], v[16:17]
	v_fma_f64 v[4:5], v[36:37], v[82:83], -v[4:5]
	s_waitcnt vmcnt(28) lgkmcnt(2)
	v_mul_f64 v[62:63], v[52:53], v[90:91]
	v_add_f64 v[2:3], v[2:3], v[4:5]
	v_mul_f64 v[4:5], v[42:43], v[12:13]
	s_waitcnt vmcnt(26)
	v_fmac_f64_e32 v[62:63], v[54:55], v[92:93]
	v_fma_f64 v[4:5], v[40:41], v[14:15], -v[4:5]
	v_add_f64 v[64:65], v[60:61], v[62:63]
	ds_read_b128 v[60:63], v1 offset:1232
	s_waitcnt vmcnt(24) lgkmcnt(1)
	v_mul_f64 v[66:67], v[56:57], v[86:87]
	v_add_f64 v[2:3], v[2:3], v[4:5]
	v_mul_f64 v[4:5], v[46:47], v[22:23]
	v_fmac_f64_e32 v[66:67], v[58:59], v[88:89]
	v_fma_f64 v[4:5], v[44:45], v[84:85], -v[4:5]
	v_add_f64 v[68:69], v[64:65], v[66:67]
	ds_read_b128 v[64:67], v1 offset:1248
	v_add_f64 v[2:3], v[2:3], v[4:5]
	v_mul_f64 v[4:5], v[50:51], v[18:19]
	v_fma_f64 v[4:5], v[48:49], v[20:21], -v[4:5]
	v_add_f64 v[2:3], v[2:3], v[4:5]
	v_mul_f64 v[4:5], v[54:55], v[90:91]
	s_waitcnt vmcnt(20) lgkmcnt(1)
	v_mul_f64 v[70:71], v[60:61], v[98:99]
	v_fma_f64 v[4:5], v[52:53], v[92:93], -v[4:5]
	s_waitcnt vmcnt(18)
	v_fmac_f64_e32 v[70:71], v[62:63], v[100:101]
	v_add_f64 v[2:3], v[2:3], v[4:5]
	v_mul_f64 v[4:5], v[58:59], v[86:87]
	v_add_f64 v[72:73], v[68:69], v[70:71]
	ds_read_b128 v[68:71], v1 offset:1264
	s_waitcnt vmcnt(16) lgkmcnt(1)
	v_mul_f64 v[74:75], v[64:65], v[94:95]
	v_fma_f64 v[4:5], v[56:57], v[88:89], -v[4:5]
	v_fmac_f64_e32 v[74:75], v[66:67], v[96:97]
	v_add_f64 v[2:3], v[2:3], v[4:5]
	v_mul_f64 v[4:5], v[62:63], v[98:99]
	v_add_f64 v[118:119], v[72:73], v[74:75]
	ds_read_b128 v[72:75], v1 offset:1280
	v_fma_f64 v[4:5], v[60:61], v[100:101], -v[4:5]
	v_add_f64 v[2:3], v[2:3], v[4:5]
	v_mul_f64 v[4:5], v[66:67], v[94:95]
	v_fma_f64 v[4:5], v[64:65], v[96:97], -v[4:5]
	v_add_f64 v[2:3], v[2:3], v[4:5]
	s_waitcnt vmcnt(12) lgkmcnt(1)
	v_mul_f64 v[4:5], v[70:71], v[106:107]
	v_mul_f64 v[120:121], v[68:69], v[106:107]
	s_waitcnt vmcnt(10)
	v_fma_f64 v[4:5], v[68:69], v[108:109], -v[4:5]
	v_fmac_f64_e32 v[120:121], v[70:71], v[108:109]
	v_add_f64 v[2:3], v[2:3], v[4:5]
	s_waitcnt vmcnt(8) lgkmcnt(0)
	v_mul_f64 v[4:5], v[74:75], v[102:103]
	v_add_f64 v[118:119], v[118:119], v[120:121]
	v_mul_f64 v[120:121], v[72:73], v[102:103]
	v_fma_f64 v[4:5], v[72:73], v[104:105], -v[4:5]
	v_fmac_f64_e32 v[120:121], v[74:75], v[104:105]
	v_add_f64 v[2:3], v[2:3], v[4:5]
	s_waitcnt vmcnt(6)
	v_mul_f64 v[4:5], v[78:79], v[110:111]
	v_add_f64 v[118:119], v[118:119], v[120:121]
	v_mul_f64 v[120:121], v[76:77], v[110:111]
	s_waitcnt vmcnt(4)
	v_fma_f64 v[4:5], v[76:77], v[112:113], -v[4:5]
	v_fmac_f64_e32 v[120:121], v[78:79], v[112:113]
	v_add_f64 v[2:3], v[2:3], v[4:5]
	v_add_f64 v[118:119], v[118:119], v[120:121]
	s_waitcnt vmcnt(2)
	v_add_f64 v[2:3], v[114:115], -v[2:3]
	s_waitcnt vmcnt(0)
	v_add_f64 v[4:5], v[116:117], -v[118:119]
	buffer_store_dword v3, off, s[0:3], 0 offset:436
	buffer_store_dword v2, off, s[0:3], 0 offset:432
	;; [unrolled: 1-line block ×4, first 2 shown]
	s_and_saveexec_b64 s[4:5], vcc
	s_cbranch_execz .LBB40_209
; %bb.208:
	v_accvgpr_read_b32 v0, a97
	buffer_load_dword v2, v0, s[0:3], 0 offen
	buffer_load_dword v3, v0, s[0:3], 0 offen offset:4
	buffer_load_dword v4, v0, s[0:3], 0 offen offset:8
	;; [unrolled: 1-line block ×3, first 2 shown]
	v_mov_b32_e32 v0, 0
	v_accvgpr_read_b32 v1, a123
	buffer_store_dword v0, off, s[0:3], 0 offset:416
	buffer_store_dword v0, off, s[0:3], 0 offset:420
	;; [unrolled: 1-line block ×4, first 2 shown]
	s_waitcnt vmcnt(4)
	ds_write_b128 v1, v[2:5]
.LBB40_209:
	s_or_b64 exec, exec, s[4:5]
	s_waitcnt lgkmcnt(0)
	; wave barrier
	s_waitcnt lgkmcnt(0)
	buffer_load_dword v2, off, s[0:3], 0 offset:432
	buffer_load_dword v3, off, s[0:3], 0 offset:436
	;; [unrolled: 1-line block ×64, first 2 shown]
	v_mov_b32_e32 v1, 0
	ds_read_b128 v[30:33], v1 offset:1072
	ds_read_b128 v[34:37], v1 offset:1088
	;; [unrolled: 1-line block ×7, first 2 shown]
	v_cmp_lt_u32_e32 vcc, 24, v254
	s_waitcnt vmcnt(60) lgkmcnt(6)
	v_mul_f64 v[54:55], v[30:31], v[6:7]
	v_fmac_f64_e32 v[54:55], v[32:33], v[2:3]
	v_add_f64 v[54:55], v[54:55], 0
	v_mul_f64 v[6:7], v[32:33], v[6:7]
	s_waitcnt vmcnt(56) lgkmcnt(5)
	v_mul_f64 v[56:57], v[34:35], v[8:9]
	v_fmac_f64_e32 v[56:57], v[36:37], v[4:5]
	s_waitcnt vmcnt(54) lgkmcnt(4)
	v_mul_f64 v[58:59], v[38:39], v[10:11]
	v_add_f64 v[54:55], v[54:55], v[56:57]
	v_fma_f64 v[2:3], v[30:31], v[2:3], -v[6:7]
	v_mul_f64 v[6:7], v[36:37], v[8:9]
	s_waitcnt vmcnt(50) lgkmcnt(3)
	v_mul_f64 v[60:61], v[42:43], v[16:17]
	s_waitcnt vmcnt(49) lgkmcnt(2)
	v_mul_f64 v[62:63], v[46:47], v[12:13]
	v_add_f64 v[2:3], v[2:3], 0
	s_waitcnt vmcnt(47)
	v_fmac_f64_e32 v[58:59], v[40:41], v[20:21]
	v_add_f64 v[54:55], v[54:55], v[58:59]
	s_waitcnt vmcnt(45)
	v_fmac_f64_e32 v[60:61], v[44:45], v[18:19]
	;; [unrolled: 3-line block ×3, first 2 shown]
	v_add_f64 v[58:59], v[54:55], v[62:63]
	ds_read_b128 v[54:57], v1 offset:1168
	s_waitcnt vmcnt(40) lgkmcnt(2)
	v_mul_f64 v[60:61], v[50:51], v[26:27]
	v_fma_f64 v[4:5], v[34:35], v[4:5], -v[6:7]
	s_waitcnt vmcnt(38)
	v_fmac_f64_e32 v[60:61], v[52:53], v[28:29]
	v_add_f64 v[62:63], v[58:59], v[60:61]
	ds_read_b128 v[58:61], v1 offset:1184
	s_waitcnt vmcnt(36) lgkmcnt(1)
	v_mul_f64 v[64:65], v[54:55], v[22:23]
	v_fmac_f64_e32 v[64:65], v[56:57], v[24:25]
	v_add_f64 v[2:3], v[2:3], v[4:5]
	v_mul_f64 v[4:5], v[40:41], v[10:11]
	v_add_f64 v[66:67], v[62:63], v[64:65]
	ds_read_b128 v[62:65], v1 offset:1200
	s_waitcnt vmcnt(32) lgkmcnt(1)
	v_mul_f64 v[68:69], v[58:59], v[94:95]
	v_fma_f64 v[4:5], v[38:39], v[20:21], -v[4:5]
	s_waitcnt vmcnt(30)
	v_fmac_f64_e32 v[68:69], v[60:61], v[96:97]
	v_add_f64 v[2:3], v[2:3], v[4:5]
	v_mul_f64 v[4:5], v[44:45], v[16:17]
	v_add_f64 v[70:71], v[66:67], v[68:69]
	ds_read_b128 v[66:69], v1 offset:1216
	v_fma_f64 v[4:5], v[42:43], v[18:19], -v[4:5]
	v_add_f64 v[2:3], v[2:3], v[4:5]
	v_mul_f64 v[4:5], v[48:49], v[12:13]
	v_fma_f64 v[4:5], v[46:47], v[14:15], -v[4:5]
	s_waitcnt vmcnt(28) lgkmcnt(1)
	v_mul_f64 v[72:73], v[62:63], v[90:91]
	v_add_f64 v[2:3], v[2:3], v[4:5]
	v_mul_f64 v[4:5], v[52:53], v[26:27]
	v_fmac_f64_e32 v[72:73], v[64:65], v[92:93]
	v_fma_f64 v[4:5], v[50:51], v[28:29], -v[4:5]
	v_add_f64 v[74:75], v[70:71], v[72:73]
	ds_read_b128 v[70:73], v1 offset:1232
	s_waitcnt vmcnt(24) lgkmcnt(1)
	v_mul_f64 v[76:77], v[66:67], v[102:103]
	v_add_f64 v[2:3], v[2:3], v[4:5]
	v_mul_f64 v[4:5], v[56:57], v[22:23]
	s_waitcnt vmcnt(22)
	v_fmac_f64_e32 v[76:77], v[68:69], v[104:105]
	v_fma_f64 v[4:5], v[54:55], v[24:25], -v[4:5]
	v_add_f64 v[78:79], v[74:75], v[76:77]
	ds_read_b128 v[74:77], v1 offset:1248
	v_add_f64 v[2:3], v[2:3], v[4:5]
	v_mul_f64 v[4:5], v[60:61], v[94:95]
	v_fma_f64 v[4:5], v[58:59], v[96:97], -v[4:5]
	v_add_f64 v[2:3], v[2:3], v[4:5]
	v_mul_f64 v[4:5], v[64:65], v[90:91]
	s_waitcnt vmcnt(20) lgkmcnt(1)
	v_mul_f64 v[80:81], v[70:71], v[98:99]
	v_fma_f64 v[4:5], v[62:63], v[92:93], -v[4:5]
	v_fmac_f64_e32 v[80:81], v[72:73], v[100:101]
	v_add_f64 v[2:3], v[2:3], v[4:5]
	v_mul_f64 v[4:5], v[68:69], v[102:103]
	v_add_f64 v[82:83], v[78:79], v[80:81]
	ds_read_b128 v[78:81], v1 offset:1264
	s_waitcnt vmcnt(16) lgkmcnt(1)
	v_mul_f64 v[84:85], v[74:75], v[110:111]
	v_fma_f64 v[4:5], v[66:67], v[104:105], -v[4:5]
	s_waitcnt vmcnt(14)
	v_fmac_f64_e32 v[84:85], v[76:77], v[112:113]
	v_add_f64 v[2:3], v[2:3], v[4:5]
	v_mul_f64 v[4:5], v[72:73], v[98:99]
	v_add_f64 v[126:127], v[82:83], v[84:85]
	ds_read_b128 v[82:85], v1 offset:1280
	v_fma_f64 v[4:5], v[70:71], v[100:101], -v[4:5]
	v_add_f64 v[2:3], v[2:3], v[4:5]
	v_mul_f64 v[4:5], v[76:77], v[110:111]
	v_fma_f64 v[4:5], v[74:75], v[112:113], -v[4:5]
	v_add_f64 v[2:3], v[2:3], v[4:5]
	s_waitcnt vmcnt(12) lgkmcnt(1)
	v_mul_f64 v[4:5], v[80:81], v[106:107]
	v_mul_f64 v[128:129], v[78:79], v[106:107]
	v_fma_f64 v[4:5], v[78:79], v[108:109], -v[4:5]
	v_fmac_f64_e32 v[128:129], v[80:81], v[108:109]
	v_add_f64 v[2:3], v[2:3], v[4:5]
	s_waitcnt vmcnt(8) lgkmcnt(0)
	v_mul_f64 v[4:5], v[84:85], v[118:119]
	v_add_f64 v[126:127], v[126:127], v[128:129]
	v_mul_f64 v[128:129], v[82:83], v[118:119]
	s_waitcnt vmcnt(6)
	v_fma_f64 v[4:5], v[82:83], v[120:121], -v[4:5]
	v_fmac_f64_e32 v[128:129], v[84:85], v[120:121]
	v_add_f64 v[2:3], v[2:3], v[4:5]
	s_waitcnt vmcnt(5)
	v_mul_f64 v[4:5], v[88:89], v[114:115]
	v_add_f64 v[126:127], v[126:127], v[128:129]
	v_mul_f64 v[128:129], v[86:87], v[114:115]
	s_waitcnt vmcnt(4)
	v_fma_f64 v[4:5], v[86:87], v[116:117], -v[4:5]
	v_fmac_f64_e32 v[128:129], v[88:89], v[116:117]
	v_add_f64 v[2:3], v[2:3], v[4:5]
	v_add_f64 v[126:127], v[126:127], v[128:129]
	s_waitcnt vmcnt(2)
	v_add_f64 v[2:3], v[122:123], -v[2:3]
	s_waitcnt vmcnt(0)
	v_add_f64 v[4:5], v[124:125], -v[126:127]
	buffer_store_dword v3, off, s[0:3], 0 offset:420
	buffer_store_dword v2, off, s[0:3], 0 offset:416
	;; [unrolled: 1-line block ×4, first 2 shown]
	s_and_saveexec_b64 s[4:5], vcc
	s_cbranch_execz .LBB40_211
; %bb.210:
	v_accvgpr_read_b32 v0, a98
	buffer_load_dword v2, v0, s[0:3], 0 offen
	buffer_load_dword v3, v0, s[0:3], 0 offen offset:4
	buffer_load_dword v4, v0, s[0:3], 0 offen offset:8
	;; [unrolled: 1-line block ×3, first 2 shown]
	v_accvgpr_read_b32 v0, a123
	buffer_store_dword v1, off, s[0:3], 0 offset:400
	buffer_store_dword v1, off, s[0:3], 0 offset:404
	;; [unrolled: 1-line block ×4, first 2 shown]
	s_waitcnt vmcnt(4)
	ds_write_b128 v0, v[2:5]
.LBB40_211:
	s_or_b64 exec, exec, s[4:5]
	s_waitcnt lgkmcnt(0)
	; wave barrier
	s_waitcnt lgkmcnt(0)
	buffer_load_dword v2, off, s[0:3], 0 offset:416
	buffer_load_dword v3, off, s[0:3], 0 offset:420
	;; [unrolled: 1-line block ×64, first 2 shown]
	ds_read_b128 v[46:49], v1 offset:1056
	ds_read_b128 v[50:53], v1 offset:1072
	;; [unrolled: 1-line block ×4, first 2 shown]
	buffer_load_dword v130, off, s[0:3], 0 offset:400
	buffer_load_dword v131, off, s[0:3], 0 offset:404
	;; [unrolled: 1-line block ×4, first 2 shown]
	v_cmp_lt_u32_e32 vcc, 23, v254
	ds_read_b128 v[106:109], v1 offset:1296
	s_waitcnt vmcnt(62) lgkmcnt(4)
	v_mul_f64 v[62:63], v[46:47], v[4:5]
	v_fmac_f64_e32 v[62:63], v[48:49], v[2:3]
	v_add_f64 v[62:63], v[62:63], 0
	s_waitcnt lgkmcnt(2)
	v_mul_f64 v[66:67], v[54:55], v[6:7]
	v_mul_f64 v[4:5], v[48:49], v[4:5]
	v_fma_f64 v[2:3], v[46:47], v[2:3], -v[4:5]
	s_waitcnt vmcnt(58) lgkmcnt(1)
	v_mul_f64 v[68:69], v[58:59], v[12:13]
	v_add_f64 v[2:3], v[2:3], 0
	s_waitcnt vmcnt(56)
	v_mul_f64 v[64:65], v[50:51], v[18:19]
	v_mul_f64 v[4:5], v[52:53], v[18:19]
	s_waitcnt vmcnt(53)
	v_fmac_f64_e32 v[66:67], v[56:57], v[16:17]
	s_waitcnt vmcnt(52)
	v_fmac_f64_e32 v[64:65], v[52:53], v[20:21]
	v_add_f64 v[70:71], v[62:63], v[64:65]
	ds_read_b128 v[62:65], v1 offset:1120
	v_add_f64 v[66:67], v[70:71], v[66:67]
	s_waitcnt vmcnt(50)
	v_fmac_f64_e32 v[68:69], v[60:61], v[14:15]
	v_add_f64 v[70:71], v[66:67], v[68:69]
	ds_read_b128 v[66:69], v1 offset:1136
	s_waitcnt vmcnt(49) lgkmcnt(1)
	v_mul_f64 v[72:73], v[62:63], v[8:9]
	s_waitcnt vmcnt(48)
	v_fmac_f64_e32 v[72:73], v[64:65], v[10:11]
	v_add_f64 v[74:75], v[70:71], v[72:73]
	ds_read_b128 v[70:73], v1 offset:1152
	s_waitcnt vmcnt(44) lgkmcnt(1)
	v_mul_f64 v[76:77], v[66:67], v[26:27]
	;; [unrolled: 6-line block ×3, first 2 shown]
	s_waitcnt vmcnt(40)
	v_fmac_f64_e32 v[80:81], v[72:73], v[24:25]
	v_add_f64 v[82:83], v[78:79], v[80:81]
	ds_read_b128 v[78:81], v1 offset:1184
	v_fma_f64 v[4:5], v[50:51], v[20:21], -v[4:5]
	v_add_f64 v[2:3], v[2:3], v[4:5]
	v_mul_f64 v[4:5], v[56:57], v[6:7]
	s_waitcnt vmcnt(36) lgkmcnt(1)
	v_mul_f64 v[84:85], v[74:75], v[34:35]
	v_fma_f64 v[4:5], v[54:55], v[16:17], -v[4:5]
	s_waitcnt vmcnt(34)
	v_fmac_f64_e32 v[84:85], v[76:77], v[36:37]
	v_add_f64 v[2:3], v[2:3], v[4:5]
	v_mul_f64 v[4:5], v[60:61], v[12:13]
	v_add_f64 v[86:87], v[82:83], v[84:85]
	ds_read_b128 v[82:85], v1 offset:1200
	s_waitcnt vmcnt(33) lgkmcnt(1)
	v_mul_f64 v[88:89], v[78:79], v[30:31]
	v_fma_f64 v[4:5], v[58:59], v[14:15], -v[4:5]
	s_waitcnt vmcnt(32)
	v_fmac_f64_e32 v[88:89], v[80:81], v[32:33]
	v_add_f64 v[2:3], v[2:3], v[4:5]
	v_mul_f64 v[4:5], v[64:65], v[8:9]
	v_add_f64 v[90:91], v[86:87], v[88:89]
	ds_read_b128 v[86:89], v1 offset:1216
	v_fma_f64 v[4:5], v[62:63], v[10:11], -v[4:5]
	v_add_f64 v[2:3], v[2:3], v[4:5]
	v_mul_f64 v[4:5], v[68:69], v[26:27]
	v_fma_f64 v[4:5], v[66:67], v[28:29], -v[4:5]
	s_waitcnt vmcnt(28) lgkmcnt(1)
	v_mul_f64 v[92:93], v[82:83], v[42:43]
	v_add_f64 v[2:3], v[2:3], v[4:5]
	v_mul_f64 v[4:5], v[72:73], v[22:23]
	s_waitcnt vmcnt(26)
	v_fmac_f64_e32 v[92:93], v[84:85], v[44:45]
	v_fma_f64 v[4:5], v[70:71], v[24:25], -v[4:5]
	v_add_f64 v[94:95], v[90:91], v[92:93]
	ds_read_b128 v[90:93], v1 offset:1232
	s_waitcnt vmcnt(25) lgkmcnt(1)
	v_mul_f64 v[96:97], v[86:87], v[38:39]
	v_add_f64 v[2:3], v[2:3], v[4:5]
	v_mul_f64 v[4:5], v[76:77], v[34:35]
	s_waitcnt vmcnt(24)
	v_fmac_f64_e32 v[96:97], v[88:89], v[40:41]
	v_fma_f64 v[4:5], v[74:75], v[36:37], -v[4:5]
	v_add_f64 v[98:99], v[94:95], v[96:97]
	ds_read_b128 v[94:97], v1 offset:1248
	v_add_f64 v[2:3], v[2:3], v[4:5]
	v_mul_f64 v[4:5], v[80:81], v[30:31]
	v_fma_f64 v[4:5], v[78:79], v[32:33], -v[4:5]
	v_add_f64 v[2:3], v[2:3], v[4:5]
	v_mul_f64 v[4:5], v[84:85], v[42:43]
	s_waitcnt vmcnt(20) lgkmcnt(1)
	v_mul_f64 v[100:101], v[90:91], v[114:115]
	v_fma_f64 v[4:5], v[82:83], v[44:45], -v[4:5]
	s_waitcnt vmcnt(18)
	v_fmac_f64_e32 v[100:101], v[92:93], v[116:117]
	v_add_f64 v[2:3], v[2:3], v[4:5]
	v_mul_f64 v[4:5], v[88:89], v[38:39]
	v_add_f64 v[102:103], v[98:99], v[100:101]
	ds_read_b128 v[98:101], v1 offset:1264
	s_waitcnt vmcnt(17) lgkmcnt(1)
	v_mul_f64 v[104:105], v[94:95], v[110:111]
	v_fma_f64 v[4:5], v[86:87], v[40:41], -v[4:5]
	s_waitcnt vmcnt(16)
	v_fmac_f64_e32 v[104:105], v[96:97], v[112:113]
	v_add_f64 v[2:3], v[2:3], v[4:5]
	v_mul_f64 v[4:5], v[92:93], v[114:115]
	v_add_f64 v[134:135], v[102:103], v[104:105]
	ds_read_b128 v[102:105], v1 offset:1280
	v_fma_f64 v[4:5], v[90:91], v[116:117], -v[4:5]
	v_add_f64 v[2:3], v[2:3], v[4:5]
	v_mul_f64 v[4:5], v[96:97], v[110:111]
	v_fma_f64 v[4:5], v[94:95], v[112:113], -v[4:5]
	v_add_f64 v[2:3], v[2:3], v[4:5]
	s_waitcnt vmcnt(12) lgkmcnt(1)
	v_mul_f64 v[4:5], v[100:101], v[122:123]
	v_mul_f64 v[136:137], v[98:99], v[122:123]
	s_waitcnt vmcnt(10)
	v_fma_f64 v[4:5], v[98:99], v[124:125], -v[4:5]
	v_fmac_f64_e32 v[136:137], v[100:101], v[124:125]
	v_add_f64 v[2:3], v[2:3], v[4:5]
	s_waitcnt vmcnt(9) lgkmcnt(0)
	v_mul_f64 v[4:5], v[104:105], v[118:119]
	v_add_f64 v[134:135], v[134:135], v[136:137]
	v_mul_f64 v[136:137], v[102:103], v[118:119]
	s_waitcnt vmcnt(8)
	v_fma_f64 v[4:5], v[102:103], v[120:121], -v[4:5]
	v_fmac_f64_e32 v[136:137], v[104:105], v[120:121]
	v_add_f64 v[2:3], v[2:3], v[4:5]
	s_waitcnt vmcnt(6)
	v_mul_f64 v[4:5], v[108:109], v[126:127]
	v_add_f64 v[134:135], v[134:135], v[136:137]
	v_mul_f64 v[136:137], v[106:107], v[126:127]
	s_waitcnt vmcnt(4)
	v_fma_f64 v[4:5], v[106:107], v[128:129], -v[4:5]
	v_fmac_f64_e32 v[136:137], v[108:109], v[128:129]
	v_add_f64 v[2:3], v[2:3], v[4:5]
	v_add_f64 v[134:135], v[134:135], v[136:137]
	s_waitcnt vmcnt(2)
	v_add_f64 v[2:3], v[130:131], -v[2:3]
	s_waitcnt vmcnt(0)
	v_add_f64 v[4:5], v[132:133], -v[134:135]
	buffer_store_dword v3, off, s[0:3], 0 offset:404
	buffer_store_dword v2, off, s[0:3], 0 offset:400
	;; [unrolled: 1-line block ×4, first 2 shown]
	s_and_saveexec_b64 s[4:5], vcc
	s_cbranch_execz .LBB40_213
; %bb.212:
	v_accvgpr_read_b32 v0, a99
	buffer_load_dword v2, v0, s[0:3], 0 offen
	buffer_load_dword v3, v0, s[0:3], 0 offen offset:4
	buffer_load_dword v4, v0, s[0:3], 0 offen offset:8
	;; [unrolled: 1-line block ×3, first 2 shown]
	v_mov_b32_e32 v0, 0
	v_accvgpr_read_b32 v1, a123
	buffer_store_dword v0, off, s[0:3], 0 offset:384
	buffer_store_dword v0, off, s[0:3], 0 offset:388
	;; [unrolled: 1-line block ×4, first 2 shown]
	s_waitcnt vmcnt(4)
	ds_write_b128 v1, v[2:5]
.LBB40_213:
	s_or_b64 exec, exec, s[4:5]
	s_waitcnt lgkmcnt(0)
	; wave barrier
	s_waitcnt lgkmcnt(0)
	buffer_load_dword v2, off, s[0:3], 0 offset:400
	buffer_load_dword v3, off, s[0:3], 0 offset:404
	;; [unrolled: 1-line block ×68, first 2 shown]
	v_mov_b32_e32 v1, 0
	buffer_load_dword v138, off, s[0:3], 0 offset:384
	buffer_load_dword v139, off, s[0:3], 0 offset:388
	;; [unrolled: 1-line block ×3, first 2 shown]
	ds_read_b128 v[46:49], v1 offset:1040
	ds_read_b128 v[50:53], v1 offset:1056
	buffer_load_dword v141, off, s[0:3], 0 offset:396
	ds_read_b128 v[54:57], v1 offset:1072
	ds_read_b128 v[58:61], v1 offset:1088
	;; [unrolled: 1-line block ×3, first 2 shown]
	v_cmp_lt_u32_e32 vcc, 22, v254
	s_waitcnt vmcnt(62) lgkmcnt(4)
	v_mul_f64 v[62:63], v[46:47], v[6:7]
	v_fmac_f64_e32 v[62:63], v[48:49], v[2:3]
	v_add_f64 v[62:63], v[62:63], 0
	v_mul_f64 v[6:7], v[48:49], v[6:7]
	s_waitcnt lgkmcnt(3)
	v_mul_f64 v[64:65], v[50:51], v[10:11]
	v_fmac_f64_e32 v[64:65], v[52:53], v[4:5]
	v_add_f64 v[62:63], v[62:63], v[64:65]
	v_fma_f64 v[2:3], v[46:47], v[2:3], -v[6:7]
	s_waitcnt vmcnt(60) lgkmcnt(2)
	v_mul_f64 v[64:65], v[54:55], v[12:13]
	v_fmac_f64_e32 v[64:65], v[56:57], v[8:9]
	v_add_f64 v[66:67], v[62:63], v[64:65]
	ds_read_b128 v[62:65], v1 offset:1104
	s_waitcnt vmcnt(56) lgkmcnt(2)
	v_mul_f64 v[68:69], v[58:59], v[18:19]
	v_mul_f64 v[6:7], v[52:53], v[10:11]
	s_waitcnt vmcnt(54)
	v_fmac_f64_e32 v[68:69], v[60:61], v[20:21]
	v_add_f64 v[70:71], v[66:67], v[68:69]
	ds_read_b128 v[66:69], v1 offset:1120
	s_waitcnt vmcnt(53) lgkmcnt(1)
	v_mul_f64 v[72:73], v[62:63], v[14:15]
	s_waitcnt vmcnt(52)
	v_fmac_f64_e32 v[72:73], v[64:65], v[16:17]
	v_add_f64 v[74:75], v[70:71], v[72:73]
	ds_read_b128 v[70:73], v1 offset:1136
	s_waitcnt vmcnt(48) lgkmcnt(1)
	;; [unrolled: 6-line block ×4, first 2 shown]
	v_mul_f64 v[84:85], v[74:75], v[34:35]
	s_waitcnt vmcnt(38)
	v_fmac_f64_e32 v[84:85], v[76:77], v[36:37]
	v_add_f64 v[2:3], v[2:3], 0
	v_fma_f64 v[4:5], v[50:51], v[4:5], -v[6:7]
	v_add_f64 v[86:87], v[82:83], v[84:85]
	ds_read_b128 v[82:85], v1 offset:1184
	v_add_f64 v[2:3], v[2:3], v[4:5]
	v_mul_f64 v[4:5], v[56:57], v[12:13]
	v_fma_f64 v[4:5], v[54:55], v[8:9], -v[4:5]
	v_add_f64 v[2:3], v[2:3], v[4:5]
	v_mul_f64 v[4:5], v[60:61], v[18:19]
	s_waitcnt vmcnt(37) lgkmcnt(1)
	v_mul_f64 v[88:89], v[78:79], v[30:31]
	v_fma_f64 v[4:5], v[58:59], v[20:21], -v[4:5]
	s_waitcnt vmcnt(36)
	v_fmac_f64_e32 v[88:89], v[80:81], v[32:33]
	v_add_f64 v[2:3], v[2:3], v[4:5]
	v_mul_f64 v[4:5], v[64:65], v[14:15]
	v_add_f64 v[90:91], v[86:87], v[88:89]
	ds_read_b128 v[86:89], v1 offset:1200
	s_waitcnt vmcnt(32) lgkmcnt(1)
	v_mul_f64 v[92:93], v[82:83], v[42:43]
	v_fma_f64 v[4:5], v[62:63], v[16:17], -v[4:5]
	s_waitcnt vmcnt(30)
	v_fmac_f64_e32 v[92:93], v[84:85], v[44:45]
	v_add_f64 v[2:3], v[2:3], v[4:5]
	v_mul_f64 v[4:5], v[68:69], v[26:27]
	v_add_f64 v[94:95], v[90:91], v[92:93]
	ds_read_b128 v[90:93], v1 offset:1216
	v_fma_f64 v[4:5], v[66:67], v[28:29], -v[4:5]
	v_add_f64 v[2:3], v[2:3], v[4:5]
	v_mul_f64 v[4:5], v[72:73], v[22:23]
	v_fma_f64 v[4:5], v[70:71], v[24:25], -v[4:5]
	s_waitcnt vmcnt(29) lgkmcnt(1)
	v_mul_f64 v[96:97], v[86:87], v[38:39]
	v_add_f64 v[2:3], v[2:3], v[4:5]
	v_mul_f64 v[4:5], v[76:77], v[34:35]
	s_waitcnt vmcnt(28)
	v_fmac_f64_e32 v[96:97], v[88:89], v[40:41]
	v_fma_f64 v[4:5], v[74:75], v[36:37], -v[4:5]
	v_add_f64 v[98:99], v[94:95], v[96:97]
	ds_read_b128 v[94:97], v1 offset:1232
	s_waitcnt vmcnt(24) lgkmcnt(1)
	v_mul_f64 v[100:101], v[90:91], v[118:119]
	v_add_f64 v[2:3], v[2:3], v[4:5]
	v_mul_f64 v[4:5], v[80:81], v[30:31]
	s_waitcnt vmcnt(22)
	v_fmac_f64_e32 v[100:101], v[92:93], v[120:121]
	v_fma_f64 v[4:5], v[78:79], v[32:33], -v[4:5]
	v_add_f64 v[102:103], v[98:99], v[100:101]
	ds_read_b128 v[98:101], v1 offset:1248
	v_add_f64 v[2:3], v[2:3], v[4:5]
	v_mul_f64 v[4:5], v[84:85], v[42:43]
	v_fma_f64 v[4:5], v[82:83], v[44:45], -v[4:5]
	v_add_f64 v[2:3], v[2:3], v[4:5]
	v_mul_f64 v[4:5], v[88:89], v[38:39]
	s_waitcnt vmcnt(21) lgkmcnt(1)
	v_mul_f64 v[104:105], v[94:95], v[114:115]
	v_fma_f64 v[4:5], v[86:87], v[40:41], -v[4:5]
	s_waitcnt vmcnt(20)
	v_fmac_f64_e32 v[104:105], v[96:97], v[116:117]
	v_add_f64 v[2:3], v[2:3], v[4:5]
	v_mul_f64 v[4:5], v[92:93], v[118:119]
	v_add_f64 v[106:107], v[102:103], v[104:105]
	ds_read_b128 v[102:105], v1 offset:1264
	s_waitcnt vmcnt(16) lgkmcnt(1)
	v_mul_f64 v[108:109], v[98:99], v[126:127]
	v_fma_f64 v[4:5], v[90:91], v[120:121], -v[4:5]
	s_waitcnt vmcnt(14)
	v_fmac_f64_e32 v[108:109], v[100:101], v[128:129]
	v_add_f64 v[2:3], v[2:3], v[4:5]
	v_mul_f64 v[4:5], v[96:97], v[114:115]
	v_add_f64 v[142:143], v[106:107], v[108:109]
	ds_read_b128 v[106:109], v1 offset:1280
	v_fma_f64 v[4:5], v[94:95], v[116:117], -v[4:5]
	v_add_f64 v[2:3], v[2:3], v[4:5]
	v_mul_f64 v[4:5], v[100:101], v[126:127]
	v_fma_f64 v[4:5], v[98:99], v[128:129], -v[4:5]
	v_add_f64 v[2:3], v[2:3], v[4:5]
	s_waitcnt vmcnt(13) lgkmcnt(1)
	v_mul_f64 v[4:5], v[104:105], v[122:123]
	v_mul_f64 v[144:145], v[102:103], v[122:123]
	s_waitcnt vmcnt(12)
	v_fma_f64 v[4:5], v[102:103], v[124:125], -v[4:5]
	v_fmac_f64_e32 v[144:145], v[104:105], v[124:125]
	v_add_f64 v[2:3], v[2:3], v[4:5]
	s_waitcnt vmcnt(8) lgkmcnt(0)
	v_mul_f64 v[4:5], v[108:109], v[134:135]
	v_add_f64 v[142:143], v[142:143], v[144:145]
	v_mul_f64 v[144:145], v[106:107], v[134:135]
	s_waitcnt vmcnt(6)
	v_fma_f64 v[4:5], v[106:107], v[136:137], -v[4:5]
	v_fmac_f64_e32 v[144:145], v[108:109], v[136:137]
	v_add_f64 v[2:3], v[2:3], v[4:5]
	s_waitcnt vmcnt(5)
	v_mul_f64 v[4:5], v[112:113], v[130:131]
	v_add_f64 v[142:143], v[142:143], v[144:145]
	v_mul_f64 v[144:145], v[110:111], v[130:131]
	s_waitcnt vmcnt(4)
	v_fma_f64 v[4:5], v[110:111], v[132:133], -v[4:5]
	v_fmac_f64_e32 v[144:145], v[112:113], v[132:133]
	v_add_f64 v[2:3], v[2:3], v[4:5]
	v_add_f64 v[142:143], v[142:143], v[144:145]
	s_waitcnt vmcnt(2)
	v_add_f64 v[2:3], v[138:139], -v[2:3]
	s_waitcnt vmcnt(0)
	v_add_f64 v[4:5], v[140:141], -v[142:143]
	buffer_store_dword v3, off, s[0:3], 0 offset:388
	buffer_store_dword v2, off, s[0:3], 0 offset:384
	;; [unrolled: 1-line block ×4, first 2 shown]
	s_and_saveexec_b64 s[4:5], vcc
	s_cbranch_execz .LBB40_215
; %bb.214:
	v_accvgpr_read_b32 v0, a100
	buffer_load_dword v2, v0, s[0:3], 0 offen
	buffer_load_dword v3, v0, s[0:3], 0 offen offset:4
	buffer_load_dword v4, v0, s[0:3], 0 offen offset:8
	;; [unrolled: 1-line block ×3, first 2 shown]
	v_accvgpr_read_b32 v0, a123
	buffer_store_dword v1, off, s[0:3], 0 offset:368
	buffer_store_dword v1, off, s[0:3], 0 offset:372
	;; [unrolled: 1-line block ×4, first 2 shown]
	s_waitcnt vmcnt(4)
	ds_write_b128 v0, v[2:5]
.LBB40_215:
	s_or_b64 exec, exec, s[4:5]
	s_waitcnt lgkmcnt(0)
	; wave barrier
	s_waitcnt lgkmcnt(0)
	buffer_load_dword v2, off, s[0:3], 0 offset:384
	buffer_load_dword v3, off, s[0:3], 0 offset:388
	;; [unrolled: 1-line block ×72, first 2 shown]
	ds_read_b128 v[52:55], v1 offset:1024
	buffer_load_dword v146, off, s[0:3], 0 offset:368
	buffer_load_dword v147, off, s[0:3], 0 offset:372
	buffer_load_dword v148, off, s[0:3], 0 offset:376
	buffer_load_dword v149, off, s[0:3], 0 offset:380
	ds_read_b128 v[56:59], v1 offset:1040
	ds_read_b128 v[60:63], v1 offset:1056
	;; [unrolled: 1-line block ×3, first 2 shown]
	v_cmp_lt_u32_e32 vcc, 21, v254
	ds_read_b128 v[124:127], v1 offset:1296
	s_waitcnt vmcnt(62) lgkmcnt(4)
	v_mul_f64 v[68:69], v[52:53], v[8:9]
	v_fmac_f64_e32 v[68:69], v[54:55], v[2:3]
	v_add_f64 v[68:69], v[68:69], 0
	v_mul_f64 v[8:9], v[54:55], v[8:9]
	s_waitcnt lgkmcnt(3)
	v_mul_f64 v[70:71], v[56:57], v[10:11]
	v_fmac_f64_e32 v[70:71], v[58:59], v[4:5]
	v_add_f64 v[68:69], v[68:69], v[70:71]
	v_fma_f64 v[2:3], v[52:53], v[2:3], -v[8:9]
	s_waitcnt lgkmcnt(2)
	v_mul_f64 v[70:71], v[60:61], v[12:13]
	v_fmac_f64_e32 v[70:71], v[62:63], v[6:7]
	v_add_f64 v[72:73], v[68:69], v[70:71]
	ds_read_b128 v[68:71], v1 offset:1088
	s_waitcnt vmcnt(60) lgkmcnt(2)
	v_mul_f64 v[74:75], v[64:65], v[18:19]
	v_mul_f64 v[8:9], v[58:59], v[10:11]
	s_waitcnt vmcnt(58)
	v_fmac_f64_e32 v[74:75], v[66:67], v[20:21]
	v_add_f64 v[76:77], v[72:73], v[74:75]
	ds_read_b128 v[72:75], v1 offset:1104
	s_waitcnt vmcnt(57) lgkmcnt(1)
	v_mul_f64 v[78:79], v[68:69], v[14:15]
	s_waitcnt vmcnt(56)
	v_fmac_f64_e32 v[78:79], v[70:71], v[16:17]
	v_add_f64 v[80:81], v[76:77], v[78:79]
	ds_read_b128 v[76:79], v1 offset:1120
	s_waitcnt vmcnt(52) lgkmcnt(1)
	;; [unrolled: 6-line block ×4, first 2 shown]
	v_mul_f64 v[90:91], v[80:81], v[34:35]
	s_waitcnt vmcnt(42)
	v_fmac_f64_e32 v[90:91], v[82:83], v[36:37]
	v_add_f64 v[2:3], v[2:3], 0
	v_fma_f64 v[4:5], v[56:57], v[4:5], -v[8:9]
	v_add_f64 v[92:93], v[88:89], v[90:91]
	ds_read_b128 v[88:91], v1 offset:1168
	s_waitcnt vmcnt(41) lgkmcnt(1)
	v_mul_f64 v[94:95], v[84:85], v[30:31]
	v_add_f64 v[2:3], v[2:3], v[4:5]
	v_mul_f64 v[4:5], v[62:63], v[12:13]
	s_waitcnt vmcnt(40)
	v_fmac_f64_e32 v[94:95], v[86:87], v[32:33]
	v_fma_f64 v[4:5], v[60:61], v[6:7], -v[4:5]
	v_add_f64 v[96:97], v[92:93], v[94:95]
	ds_read_b128 v[92:95], v1 offset:1184
	v_add_f64 v[2:3], v[2:3], v[4:5]
	v_mul_f64 v[4:5], v[66:67], v[18:19]
	v_fma_f64 v[4:5], v[64:65], v[20:21], -v[4:5]
	v_add_f64 v[2:3], v[2:3], v[4:5]
	v_mul_f64 v[4:5], v[70:71], v[14:15]
	s_waitcnt vmcnt(36) lgkmcnt(1)
	v_mul_f64 v[98:99], v[88:89], v[42:43]
	v_fma_f64 v[4:5], v[68:69], v[16:17], -v[4:5]
	s_waitcnt vmcnt(34)
	v_fmac_f64_e32 v[98:99], v[90:91], v[44:45]
	v_add_f64 v[2:3], v[2:3], v[4:5]
	v_mul_f64 v[4:5], v[74:75], v[26:27]
	v_add_f64 v[100:101], v[96:97], v[98:99]
	ds_read_b128 v[96:99], v1 offset:1200
	s_waitcnt vmcnt(33) lgkmcnt(1)
	v_mul_f64 v[102:103], v[92:93], v[38:39]
	v_fma_f64 v[4:5], v[72:73], v[28:29], -v[4:5]
	s_waitcnt vmcnt(32)
	v_fmac_f64_e32 v[102:103], v[94:95], v[40:41]
	v_add_f64 v[2:3], v[2:3], v[4:5]
	v_mul_f64 v[4:5], v[78:79], v[22:23]
	v_add_f64 v[104:105], v[100:101], v[102:103]
	ds_read_b128 v[100:103], v1 offset:1216
	v_fma_f64 v[4:5], v[76:77], v[24:25], -v[4:5]
	v_add_f64 v[2:3], v[2:3], v[4:5]
	v_mul_f64 v[4:5], v[82:83], v[34:35]
	v_fma_f64 v[4:5], v[80:81], v[36:37], -v[4:5]
	s_waitcnt vmcnt(28) lgkmcnt(1)
	v_mul_f64 v[106:107], v[96:97], v[50:51]
	v_add_f64 v[2:3], v[2:3], v[4:5]
	v_mul_f64 v[4:5], v[86:87], v[30:31]
	s_waitcnt vmcnt(26)
	v_fmac_f64_e32 v[106:107], v[98:99], v[116:117]
	v_fma_f64 v[4:5], v[84:85], v[32:33], -v[4:5]
	v_add_f64 v[108:109], v[104:105], v[106:107]
	ds_read_b128 v[104:107], v1 offset:1232
	s_waitcnt vmcnt(25) lgkmcnt(1)
	v_mul_f64 v[110:111], v[100:101], v[46:47]
	v_add_f64 v[2:3], v[2:3], v[4:5]
	v_mul_f64 v[4:5], v[90:91], v[42:43]
	s_waitcnt vmcnt(24)
	v_fmac_f64_e32 v[110:111], v[102:103], v[48:49]
	v_fma_f64 v[4:5], v[88:89], v[44:45], -v[4:5]
	v_add_f64 v[112:113], v[108:109], v[110:111]
	ds_read_b128 v[108:111], v1 offset:1248
	v_add_f64 v[2:3], v[2:3], v[4:5]
	v_mul_f64 v[4:5], v[94:95], v[38:39]
	v_fma_f64 v[4:5], v[92:93], v[40:41], -v[4:5]
	v_add_f64 v[2:3], v[2:3], v[4:5]
	v_mul_f64 v[4:5], v[98:99], v[50:51]
	s_waitcnt vmcnt(20) lgkmcnt(1)
	v_mul_f64 v[114:115], v[104:105], v[130:131]
	v_fma_f64 v[4:5], v[96:97], v[116:117], -v[4:5]
	s_waitcnt vmcnt(18)
	v_fmac_f64_e32 v[114:115], v[106:107], v[132:133]
	v_add_f64 v[2:3], v[2:3], v[4:5]
	v_mul_f64 v[4:5], v[102:103], v[46:47]
	v_add_f64 v[120:121], v[112:113], v[114:115]
	ds_read_b128 v[112:115], v1 offset:1264
	s_waitcnt vmcnt(17) lgkmcnt(1)
	v_mul_f64 v[122:123], v[108:109], v[118:119]
	v_fma_f64 v[4:5], v[100:101], v[48:49], -v[4:5]
	s_waitcnt vmcnt(16)
	v_fmac_f64_e32 v[122:123], v[110:111], v[128:129]
	v_add_f64 v[2:3], v[2:3], v[4:5]
	v_mul_f64 v[4:5], v[106:107], v[130:131]
	v_add_f64 v[150:151], v[120:121], v[122:123]
	ds_read_b128 v[120:123], v1 offset:1280
	v_fma_f64 v[4:5], v[104:105], v[132:133], -v[4:5]
	v_add_f64 v[2:3], v[2:3], v[4:5]
	v_mul_f64 v[4:5], v[110:111], v[118:119]
	v_fma_f64 v[4:5], v[108:109], v[128:129], -v[4:5]
	v_add_f64 v[2:3], v[2:3], v[4:5]
	s_waitcnt vmcnt(12) lgkmcnt(1)
	v_mul_f64 v[4:5], v[114:115], v[138:139]
	v_mul_f64 v[152:153], v[112:113], v[138:139]
	s_waitcnt vmcnt(10)
	v_fma_f64 v[4:5], v[112:113], v[140:141], -v[4:5]
	v_fmac_f64_e32 v[152:153], v[114:115], v[140:141]
	v_add_f64 v[2:3], v[2:3], v[4:5]
	s_waitcnt vmcnt(9) lgkmcnt(0)
	v_mul_f64 v[4:5], v[122:123], v[134:135]
	v_add_f64 v[150:151], v[150:151], v[152:153]
	v_mul_f64 v[152:153], v[120:121], v[134:135]
	s_waitcnt vmcnt(8)
	v_fma_f64 v[4:5], v[120:121], v[136:137], -v[4:5]
	v_fmac_f64_e32 v[152:153], v[122:123], v[136:137]
	v_add_f64 v[2:3], v[2:3], v[4:5]
	s_waitcnt vmcnt(6)
	v_mul_f64 v[4:5], v[126:127], v[142:143]
	v_add_f64 v[150:151], v[150:151], v[152:153]
	v_mul_f64 v[152:153], v[124:125], v[142:143]
	s_waitcnt vmcnt(4)
	v_fma_f64 v[4:5], v[124:125], v[144:145], -v[4:5]
	v_fmac_f64_e32 v[152:153], v[126:127], v[144:145]
	v_add_f64 v[2:3], v[2:3], v[4:5]
	v_add_f64 v[150:151], v[150:151], v[152:153]
	s_waitcnt vmcnt(2)
	v_add_f64 v[2:3], v[146:147], -v[2:3]
	s_waitcnt vmcnt(0)
	v_add_f64 v[4:5], v[148:149], -v[150:151]
	buffer_store_dword v3, off, s[0:3], 0 offset:372
	buffer_store_dword v2, off, s[0:3], 0 offset:368
	;; [unrolled: 1-line block ×4, first 2 shown]
	s_and_saveexec_b64 s[4:5], vcc
	s_cbranch_execz .LBB40_217
; %bb.216:
	v_accvgpr_read_b32 v0, a101
	buffer_load_dword v2, v0, s[0:3], 0 offen
	buffer_load_dword v3, v0, s[0:3], 0 offen offset:4
	buffer_load_dword v4, v0, s[0:3], 0 offen offset:8
	;; [unrolled: 1-line block ×3, first 2 shown]
	v_mov_b32_e32 v0, 0
	v_accvgpr_read_b32 v1, a123
	buffer_store_dword v0, off, s[0:3], 0 offset:352
	buffer_store_dword v0, off, s[0:3], 0 offset:356
	;; [unrolled: 1-line block ×4, first 2 shown]
	s_waitcnt vmcnt(4)
	ds_write_b128 v1, v[2:5]
.LBB40_217:
	s_or_b64 exec, exec, s[4:5]
	s_waitcnt lgkmcnt(0)
	; wave barrier
	s_waitcnt lgkmcnt(0)
	buffer_load_dword v2, off, s[0:3], 0 offset:368
	buffer_load_dword v3, off, s[0:3], 0 offset:372
	;; [unrolled: 1-line block ×76, first 2 shown]
	v_mov_b32_e32 v1, 0
	ds_read_b128 v[54:57], v1 offset:1008
	buffer_load_dword v154, off, s[0:3], 0 offset:352
	buffer_load_dword v155, off, s[0:3], 0 offset:356
	;; [unrolled: 1-line block ×4, first 2 shown]
	ds_read_b128 v[58:61], v1 offset:1024
	ds_read_b128 v[62:65], v1 offset:1040
	;; [unrolled: 1-line block ×4, first 2 shown]
	v_cmp_lt_u32_e32 vcc, 20, v254
	s_waitcnt vmcnt(62) lgkmcnt(4)
	v_mul_f64 v[70:71], v[54:55], v[8:9]
	v_fmac_f64_e32 v[70:71], v[56:57], v[2:3]
	v_add_f64 v[70:71], v[70:71], 0
	v_mul_f64 v[8:9], v[56:57], v[8:9]
	s_waitcnt lgkmcnt(3)
	v_mul_f64 v[72:73], v[58:59], v[10:11]
	v_fmac_f64_e32 v[72:73], v[60:61], v[4:5]
	v_add_f64 v[70:71], v[70:71], v[72:73]
	v_fma_f64 v[2:3], v[54:55], v[2:3], -v[8:9]
	s_waitcnt lgkmcnt(2)
	v_mul_f64 v[72:73], v[62:63], v[12:13]
	v_fmac_f64_e32 v[72:73], v[64:65], v[6:7]
	v_add_f64 v[74:75], v[70:71], v[72:73]
	ds_read_b128 v[70:73], v1 offset:1072
	s_waitcnt lgkmcnt(2)
	v_mul_f64 v[76:77], v[66:67], v[18:19]
	v_mul_f64 v[8:9], v[60:61], v[10:11]
	v_fmac_f64_e32 v[76:77], v[68:69], v[20:21]
	v_add_f64 v[78:79], v[74:75], v[76:77]
	ds_read_b128 v[74:77], v1 offset:1088
	s_waitcnt vmcnt(61) lgkmcnt(1)
	v_mul_f64 v[80:81], v[70:71], v[14:15]
	s_waitcnt vmcnt(60)
	v_fmac_f64_e32 v[80:81], v[72:73], v[16:17]
	v_add_f64 v[82:83], v[78:79], v[80:81]
	ds_read_b128 v[78:81], v1 offset:1104
	s_waitcnt vmcnt(56) lgkmcnt(1)
	v_mul_f64 v[84:85], v[74:75], v[26:27]
	s_waitcnt vmcnt(54)
	;; [unrolled: 6-line block ×4, first 2 shown]
	v_fmac_f64_e32 v[92:93], v[84:85], v[36:37]
	v_add_f64 v[94:95], v[90:91], v[92:93]
	ds_read_b128 v[90:93], v1 offset:1152
	v_add_f64 v[2:3], v[2:3], 0
	v_fma_f64 v[4:5], v[58:59], v[4:5], -v[8:9]
	s_waitcnt vmcnt(45) lgkmcnt(1)
	v_mul_f64 v[96:97], v[86:87], v[30:31]
	v_add_f64 v[2:3], v[2:3], v[4:5]
	v_mul_f64 v[4:5], v[64:65], v[12:13]
	s_waitcnt vmcnt(44)
	v_fmac_f64_e32 v[96:97], v[88:89], v[32:33]
	v_fma_f64 v[4:5], v[62:63], v[6:7], -v[4:5]
	v_add_f64 v[98:99], v[94:95], v[96:97]
	ds_read_b128 v[94:97], v1 offset:1168
	s_waitcnt vmcnt(40) lgkmcnt(1)
	v_mul_f64 v[100:101], v[90:91], v[42:43]
	v_add_f64 v[2:3], v[2:3], v[4:5]
	v_mul_f64 v[4:5], v[68:69], v[18:19]
	s_waitcnt vmcnt(38)
	v_fmac_f64_e32 v[100:101], v[92:93], v[44:45]
	v_fma_f64 v[4:5], v[66:67], v[20:21], -v[4:5]
	v_add_f64 v[102:103], v[98:99], v[100:101]
	ds_read_b128 v[98:101], v1 offset:1184
	v_add_f64 v[2:3], v[2:3], v[4:5]
	v_mul_f64 v[4:5], v[72:73], v[14:15]
	v_fma_f64 v[4:5], v[70:71], v[16:17], -v[4:5]
	v_add_f64 v[2:3], v[2:3], v[4:5]
	v_mul_f64 v[4:5], v[76:77], v[26:27]
	s_waitcnt vmcnt(37) lgkmcnt(1)
	v_mul_f64 v[104:105], v[94:95], v[38:39]
	v_fma_f64 v[4:5], v[74:75], v[28:29], -v[4:5]
	s_waitcnt vmcnt(36)
	v_fmac_f64_e32 v[104:105], v[96:97], v[40:41]
	v_add_f64 v[2:3], v[2:3], v[4:5]
	v_mul_f64 v[4:5], v[80:81], v[22:23]
	v_add_f64 v[106:107], v[102:103], v[104:105]
	ds_read_b128 v[102:105], v1 offset:1200
	s_waitcnt vmcnt(32) lgkmcnt(1)
	v_mul_f64 v[108:109], v[98:99], v[50:51]
	v_fma_f64 v[4:5], v[78:79], v[24:25], -v[4:5]
	s_waitcnt vmcnt(30)
	v_fmac_f64_e32 v[108:109], v[100:101], v[52:53]
	v_add_f64 v[2:3], v[2:3], v[4:5]
	v_mul_f64 v[4:5], v[84:85], v[34:35]
	v_add_f64 v[110:111], v[106:107], v[108:109]
	ds_read_b128 v[106:109], v1 offset:1216
	v_fma_f64 v[4:5], v[82:83], v[36:37], -v[4:5]
	v_add_f64 v[2:3], v[2:3], v[4:5]
	v_mul_f64 v[4:5], v[88:89], v[30:31]
	v_fma_f64 v[4:5], v[86:87], v[32:33], -v[4:5]
	s_waitcnt vmcnt(29) lgkmcnt(1)
	v_mul_f64 v[112:113], v[102:103], v[46:47]
	v_add_f64 v[2:3], v[2:3], v[4:5]
	v_mul_f64 v[4:5], v[92:93], v[42:43]
	s_waitcnt vmcnt(28)
	v_fmac_f64_e32 v[112:113], v[104:105], v[48:49]
	v_fma_f64 v[4:5], v[90:91], v[44:45], -v[4:5]
	v_add_f64 v[114:115], v[110:111], v[112:113]
	ds_read_b128 v[110:113], v1 offset:1232
	s_waitcnt vmcnt(24) lgkmcnt(1)
	v_mul_f64 v[116:117], v[106:107], v[134:135]
	v_add_f64 v[2:3], v[2:3], v[4:5]
	v_mul_f64 v[4:5], v[96:97], v[38:39]
	s_waitcnt vmcnt(22)
	v_fmac_f64_e32 v[116:117], v[108:109], v[136:137]
	v_fma_f64 v[4:5], v[94:95], v[40:41], -v[4:5]
	v_add_f64 v[120:121], v[114:115], v[116:117]
	ds_read_b128 v[114:117], v1 offset:1248
	v_add_f64 v[2:3], v[2:3], v[4:5]
	v_mul_f64 v[4:5], v[100:101], v[50:51]
	v_fma_f64 v[4:5], v[98:99], v[52:53], -v[4:5]
	v_add_f64 v[2:3], v[2:3], v[4:5]
	v_mul_f64 v[4:5], v[104:105], v[46:47]
	s_waitcnt vmcnt(21) lgkmcnt(1)
	v_mul_f64 v[122:123], v[110:111], v[118:119]
	v_fma_f64 v[4:5], v[102:103], v[48:49], -v[4:5]
	s_waitcnt vmcnt(20)
	v_fmac_f64_e32 v[122:123], v[112:113], v[132:133]
	v_add_f64 v[2:3], v[2:3], v[4:5]
	v_mul_f64 v[4:5], v[108:109], v[134:135]
	v_add_f64 v[124:125], v[120:121], v[122:123]
	ds_read_b128 v[120:123], v1 offset:1264
	s_waitcnt vmcnt(16) lgkmcnt(1)
	v_mul_f64 v[126:127], v[114:115], v[142:143]
	v_fma_f64 v[4:5], v[106:107], v[136:137], -v[4:5]
	s_waitcnt vmcnt(14)
	v_fmac_f64_e32 v[126:127], v[116:117], v[144:145]
	v_add_f64 v[2:3], v[2:3], v[4:5]
	v_mul_f64 v[4:5], v[112:113], v[118:119]
	v_add_f64 v[158:159], v[124:125], v[126:127]
	ds_read_b128 v[124:127], v1 offset:1280
	v_fma_f64 v[4:5], v[110:111], v[132:133], -v[4:5]
	v_add_f64 v[2:3], v[2:3], v[4:5]
	v_mul_f64 v[4:5], v[116:117], v[142:143]
	v_fma_f64 v[4:5], v[114:115], v[144:145], -v[4:5]
	v_add_f64 v[2:3], v[2:3], v[4:5]
	s_waitcnt vmcnt(13) lgkmcnt(1)
	v_mul_f64 v[4:5], v[122:123], v[138:139]
	v_mul_f64 v[160:161], v[120:121], v[138:139]
	s_waitcnt vmcnt(12)
	v_fma_f64 v[4:5], v[120:121], v[140:141], -v[4:5]
	v_fmac_f64_e32 v[160:161], v[122:123], v[140:141]
	v_add_f64 v[2:3], v[2:3], v[4:5]
	s_waitcnt vmcnt(8) lgkmcnt(0)
	v_mul_f64 v[4:5], v[126:127], v[150:151]
	v_add_f64 v[158:159], v[158:159], v[160:161]
	v_mul_f64 v[160:161], v[124:125], v[150:151]
	s_waitcnt vmcnt(6)
	v_fma_f64 v[4:5], v[124:125], v[152:153], -v[4:5]
	v_fmac_f64_e32 v[160:161], v[126:127], v[152:153]
	v_add_f64 v[2:3], v[2:3], v[4:5]
	s_waitcnt vmcnt(5)
	v_mul_f64 v[4:5], v[130:131], v[146:147]
	v_add_f64 v[158:159], v[158:159], v[160:161]
	v_mul_f64 v[160:161], v[128:129], v[146:147]
	s_waitcnt vmcnt(4)
	v_fma_f64 v[4:5], v[128:129], v[148:149], -v[4:5]
	v_fmac_f64_e32 v[160:161], v[130:131], v[148:149]
	v_add_f64 v[2:3], v[2:3], v[4:5]
	v_add_f64 v[158:159], v[158:159], v[160:161]
	s_waitcnt vmcnt(2)
	v_add_f64 v[2:3], v[154:155], -v[2:3]
	s_waitcnt vmcnt(0)
	v_add_f64 v[4:5], v[156:157], -v[158:159]
	buffer_store_dword v3, off, s[0:3], 0 offset:356
	buffer_store_dword v2, off, s[0:3], 0 offset:352
	buffer_store_dword v5, off, s[0:3], 0 offset:364
	buffer_store_dword v4, off, s[0:3], 0 offset:360
	s_and_saveexec_b64 s[4:5], vcc
	s_cbranch_execz .LBB40_219
; %bb.218:
	v_accvgpr_read_b32 v0, a102
	buffer_load_dword v2, v0, s[0:3], 0 offen
	buffer_load_dword v3, v0, s[0:3], 0 offen offset:4
	buffer_load_dword v4, v0, s[0:3], 0 offen offset:8
	;; [unrolled: 1-line block ×3, first 2 shown]
	v_accvgpr_read_b32 v0, a123
	buffer_store_dword v1, off, s[0:3], 0 offset:336
	buffer_store_dword v1, off, s[0:3], 0 offset:340
	;; [unrolled: 1-line block ×4, first 2 shown]
	s_waitcnt vmcnt(4)
	ds_write_b128 v0, v[2:5]
.LBB40_219:
	s_or_b64 exec, exec, s[4:5]
	s_waitcnt lgkmcnt(0)
	; wave barrier
	s_waitcnt lgkmcnt(0)
	buffer_load_dword v2, off, s[0:3], 0 offset:352
	buffer_load_dword v3, off, s[0:3], 0 offset:356
	;; [unrolled: 1-line block ×76, first 2 shown]
	ds_read_b128 v[54:57], v1 offset:992
	buffer_load_dword v159, off, s[0:3], 0 offset:668
	buffer_load_dword v158, off, s[0:3], 0 offset:664
	;; [unrolled: 1-line block ×8, first 2 shown]
	ds_read_b128 v[58:61], v1 offset:1008
	ds_read_b128 v[62:65], v1 offset:1024
	ds_read_b128 v[66:69], v1 offset:1040
	v_cmp_lt_u32_e32 vcc, 19, v254
	ds_read_b128 v[132:135], v1 offset:1296
	s_waitcnt vmcnt(62) lgkmcnt(4)
	v_mul_f64 v[70:71], v[54:55], v[8:9]
	v_fmac_f64_e32 v[70:71], v[56:57], v[2:3]
	v_add_f64 v[70:71], v[70:71], 0
	v_mul_f64 v[8:9], v[56:57], v[8:9]
	s_waitcnt lgkmcnt(3)
	v_mul_f64 v[72:73], v[58:59], v[10:11]
	v_fmac_f64_e32 v[72:73], v[60:61], v[4:5]
	v_add_f64 v[70:71], v[70:71], v[72:73]
	v_fma_f64 v[2:3], v[54:55], v[2:3], -v[8:9]
	s_waitcnt lgkmcnt(2)
	v_mul_f64 v[72:73], v[62:63], v[12:13]
	v_fmac_f64_e32 v[72:73], v[64:65], v[6:7]
	v_add_f64 v[74:75], v[70:71], v[72:73]
	ds_read_b128 v[70:73], v1 offset:1056
	v_mul_f64 v[8:9], v[60:61], v[10:11]
	v_add_f64 v[2:3], v[2:3], 0
	s_waitcnt lgkmcnt(2)
	v_mul_f64 v[76:77], v[66:67], v[18:19]
	v_fma_f64 v[4:5], v[58:59], v[4:5], -v[8:9]
	v_fmac_f64_e32 v[76:77], v[68:69], v[20:21]
	v_add_f64 v[78:79], v[74:75], v[76:77]
	ds_read_b128 v[74:77], v1 offset:1072
	s_waitcnt lgkmcnt(1)
	v_mul_f64 v[80:81], v[70:71], v[14:15]
	v_fmac_f64_e32 v[80:81], v[72:73], v[16:17]
	v_add_f64 v[82:83], v[78:79], v[80:81]
	ds_read_b128 v[78:81], v1 offset:1088
	s_waitcnt vmcnt(58) lgkmcnt(1)
	v_mul_f64 v[84:85], v[74:75], v[26:27]
	s_waitcnt vmcnt(56)
	v_fmac_f64_e32 v[84:85], v[76:77], v[28:29]
	v_add_f64 v[86:87], v[82:83], v[84:85]
	ds_read_b128 v[82:85], v1 offset:1104
	s_waitcnt lgkmcnt(1)
	v_mul_f64 v[88:89], v[78:79], v[22:23]
	v_fmac_f64_e32 v[88:89], v[80:81], v[24:25]
	v_add_f64 v[90:91], v[86:87], v[88:89]
	ds_read_b128 v[86:89], v1 offset:1120
	s_waitcnt vmcnt(50) lgkmcnt(1)
	v_mul_f64 v[92:93], v[82:83], v[34:35]
	s_waitcnt vmcnt(48)
	v_fmac_f64_e32 v[92:93], v[84:85], v[36:37]
	v_add_f64 v[94:95], v[90:91], v[92:93]
	ds_read_b128 v[90:93], v1 offset:1136
	s_waitcnt lgkmcnt(1)
	v_mul_f64 v[96:97], v[86:87], v[30:31]
	v_fmac_f64_e32 v[96:97], v[88:89], v[32:33]
	v_add_f64 v[98:99], v[94:95], v[96:97]
	ds_read_b128 v[94:97], v1 offset:1152
	v_add_f64 v[2:3], v[2:3], v[4:5]
	v_mul_f64 v[4:5], v[64:65], v[12:13]
	v_fma_f64 v[4:5], v[62:63], v[6:7], -v[4:5]
	s_waitcnt vmcnt(42) lgkmcnt(1)
	v_mul_f64 v[100:101], v[90:91], v[42:43]
	v_add_f64 v[2:3], v[2:3], v[4:5]
	v_mul_f64 v[4:5], v[68:69], v[18:19]
	s_waitcnt vmcnt(40)
	v_fmac_f64_e32 v[100:101], v[92:93], v[44:45]
	v_fma_f64 v[4:5], v[66:67], v[20:21], -v[4:5]
	v_add_f64 v[102:103], v[98:99], v[100:101]
	ds_read_b128 v[98:101], v1 offset:1168
	s_waitcnt lgkmcnt(1)
	v_mul_f64 v[104:105], v[94:95], v[38:39]
	v_add_f64 v[2:3], v[2:3], v[4:5]
	v_mul_f64 v[4:5], v[72:73], v[14:15]
	v_fmac_f64_e32 v[104:105], v[96:97], v[40:41]
	v_fma_f64 v[4:5], v[70:71], v[16:17], -v[4:5]
	v_add_f64 v[106:107], v[102:103], v[104:105]
	ds_read_b128 v[102:105], v1 offset:1184
	v_add_f64 v[2:3], v[2:3], v[4:5]
	v_mul_f64 v[4:5], v[76:77], v[26:27]
	v_fma_f64 v[4:5], v[74:75], v[28:29], -v[4:5]
	v_add_f64 v[2:3], v[2:3], v[4:5]
	v_mul_f64 v[4:5], v[80:81], v[22:23]
	s_waitcnt vmcnt(34) lgkmcnt(1)
	v_mul_f64 v[108:109], v[98:99], v[50:51]
	v_fma_f64 v[4:5], v[78:79], v[24:25], -v[4:5]
	s_waitcnt vmcnt(32)
	v_fmac_f64_e32 v[108:109], v[100:101], v[52:53]
	v_add_f64 v[2:3], v[2:3], v[4:5]
	v_mul_f64 v[4:5], v[84:85], v[34:35]
	v_add_f64 v[110:111], v[106:107], v[108:109]
	ds_read_b128 v[106:109], v1 offset:1200
	s_waitcnt lgkmcnt(1)
	v_mul_f64 v[112:113], v[102:103], v[46:47]
	v_fma_f64 v[4:5], v[82:83], v[36:37], -v[4:5]
	v_fmac_f64_e32 v[112:113], v[104:105], v[48:49]
	v_add_f64 v[2:3], v[2:3], v[4:5]
	v_mul_f64 v[4:5], v[88:89], v[30:31]
	v_add_f64 v[114:115], v[110:111], v[112:113]
	ds_read_b128 v[110:113], v1 offset:1216
	v_fma_f64 v[4:5], v[86:87], v[32:33], -v[4:5]
	v_add_f64 v[2:3], v[2:3], v[4:5]
	v_mul_f64 v[4:5], v[92:93], v[42:43]
	v_fma_f64 v[4:5], v[90:91], v[44:45], -v[4:5]
	s_waitcnt vmcnt(26) lgkmcnt(1)
	v_mul_f64 v[116:117], v[106:107], v[138:139]
	v_add_f64 v[2:3], v[2:3], v[4:5]
	v_mul_f64 v[4:5], v[96:97], v[38:39]
	s_waitcnt vmcnt(24)
	v_fmac_f64_e32 v[116:117], v[108:109], v[140:141]
	v_fma_f64 v[4:5], v[94:95], v[40:41], -v[4:5]
	v_add_f64 v[120:121], v[114:115], v[116:117]
	ds_read_b128 v[114:117], v1 offset:1232
	s_waitcnt lgkmcnt(1)
	v_mul_f64 v[122:123], v[110:111], v[118:119]
	v_add_f64 v[2:3], v[2:3], v[4:5]
	v_mul_f64 v[4:5], v[100:101], v[50:51]
	v_fmac_f64_e32 v[122:123], v[112:113], v[136:137]
	v_fma_f64 v[4:5], v[98:99], v[52:53], -v[4:5]
	v_add_f64 v[124:125], v[120:121], v[122:123]
	ds_read_b128 v[120:123], v1 offset:1248
	v_add_f64 v[2:3], v[2:3], v[4:5]
	v_mul_f64 v[4:5], v[104:105], v[46:47]
	v_fma_f64 v[4:5], v[102:103], v[48:49], -v[4:5]
	v_add_f64 v[2:3], v[2:3], v[4:5]
	v_mul_f64 v[4:5], v[108:109], v[138:139]
	s_waitcnt vmcnt(18) lgkmcnt(1)
	v_mul_f64 v[126:127], v[114:115], v[146:147]
	v_fma_f64 v[4:5], v[106:107], v[140:141], -v[4:5]
	s_waitcnt vmcnt(16)
	v_fmac_f64_e32 v[126:127], v[116:117], v[148:149]
	v_add_f64 v[2:3], v[2:3], v[4:5]
	v_mul_f64 v[4:5], v[112:113], v[118:119]
	v_add_f64 v[128:129], v[124:125], v[126:127]
	ds_read_b128 v[124:127], v1 offset:1264
	s_waitcnt lgkmcnt(1)
	v_mul_f64 v[130:131], v[120:121], v[142:143]
	v_fma_f64 v[4:5], v[110:111], v[136:137], -v[4:5]
	v_fmac_f64_e32 v[130:131], v[122:123], v[144:145]
	v_add_f64 v[2:3], v[2:3], v[4:5]
	v_mul_f64 v[4:5], v[116:117], v[146:147]
	v_add_f64 v[166:167], v[128:129], v[130:131]
	ds_read_b128 v[128:131], v1 offset:1280
	v_fma_f64 v[4:5], v[114:115], v[148:149], -v[4:5]
	v_add_f64 v[2:3], v[2:3], v[4:5]
	v_mul_f64 v[4:5], v[122:123], v[142:143]
	v_fma_f64 v[4:5], v[120:121], v[144:145], -v[4:5]
	v_add_f64 v[2:3], v[2:3], v[4:5]
	s_waitcnt vmcnt(10) lgkmcnt(1)
	v_mul_f64 v[4:5], v[126:127], v[154:155]
	v_mul_f64 v[168:169], v[124:125], v[154:155]
	s_waitcnt vmcnt(8)
	v_fma_f64 v[4:5], v[124:125], v[156:157], -v[4:5]
	v_fmac_f64_e32 v[168:169], v[126:127], v[156:157]
	v_add_f64 v[2:3], v[2:3], v[4:5]
	s_waitcnt lgkmcnt(0)
	v_mul_f64 v[4:5], v[130:131], v[150:151]
	v_add_f64 v[166:167], v[166:167], v[168:169]
	v_mul_f64 v[168:169], v[128:129], v[150:151]
	v_fma_f64 v[4:5], v[128:129], v[152:153], -v[4:5]
	v_fmac_f64_e32 v[168:169], v[130:131], v[152:153]
	v_add_f64 v[2:3], v[2:3], v[4:5]
	s_waitcnt vmcnt(6)
	v_mul_f64 v[4:5], v[134:135], v[158:159]
	v_add_f64 v[166:167], v[166:167], v[168:169]
	v_mul_f64 v[168:169], v[132:133], v[158:159]
	s_waitcnt vmcnt(4)
	v_fma_f64 v[4:5], v[132:133], v[160:161], -v[4:5]
	v_fmac_f64_e32 v[168:169], v[134:135], v[160:161]
	v_add_f64 v[2:3], v[2:3], v[4:5]
	v_add_f64 v[166:167], v[166:167], v[168:169]
	s_waitcnt vmcnt(2)
	v_add_f64 v[2:3], v[162:163], -v[2:3]
	s_waitcnt vmcnt(0)
	v_add_f64 v[4:5], v[164:165], -v[166:167]
	buffer_store_dword v3, off, s[0:3], 0 offset:340
	buffer_store_dword v2, off, s[0:3], 0 offset:336
	;; [unrolled: 1-line block ×4, first 2 shown]
	s_and_saveexec_b64 s[4:5], vcc
	s_cbranch_execz .LBB40_221
; %bb.220:
	v_accvgpr_read_b32 v0, a103
	buffer_load_dword v2, v0, s[0:3], 0 offen
	buffer_load_dword v3, v0, s[0:3], 0 offen offset:4
	buffer_load_dword v4, v0, s[0:3], 0 offen offset:8
	;; [unrolled: 1-line block ×3, first 2 shown]
	v_mov_b32_e32 v0, 0
	v_accvgpr_read_b32 v1, a123
	buffer_store_dword v0, off, s[0:3], 0 offset:320
	buffer_store_dword v0, off, s[0:3], 0 offset:324
	;; [unrolled: 1-line block ×4, first 2 shown]
	s_waitcnt vmcnt(4)
	ds_write_b128 v1, v[2:5]
.LBB40_221:
	s_or_b64 exec, exec, s[4:5]
	s_waitcnt lgkmcnt(0)
	; wave barrier
	s_waitcnt lgkmcnt(0)
	buffer_load_dword v4, off, s[0:3], 0 offset:320
	buffer_load_dword v5, off, s[0:3], 0 offset:324
	;; [unrolled: 1-line block ×84, first 2 shown]
	v_mov_b32_e32 v1, 0
	ds_read_b128 v[66:69], v1 offset:976
	buffer_load_dword v171, off, s[0:3], 0 offset:668
	buffer_load_dword v170, off, s[0:3], 0 offset:664
	;; [unrolled: 1-line block ×4, first 2 shown]
	ds_read_b128 v[70:73], v1 offset:992
	ds_read_b128 v[74:77], v1 offset:1008
	;; [unrolled: 1-line block ×4, first 2 shown]
	v_cmp_lt_u32_e32 vcc, 18, v254
	s_waitcnt vmcnt(62) lgkmcnt(4)
	v_mul_f64 v[82:83], v[66:67], v[12:13]
	v_fmac_f64_e32 v[82:83], v[68:69], v[6:7]
	s_waitcnt lgkmcnt(3)
	v_mul_f64 v[84:85], v[70:71], v[14:15]
	v_add_f64 v[82:83], v[82:83], 0
	v_fmac_f64_e32 v[84:85], v[72:73], v[8:9]
	v_add_f64 v[82:83], v[82:83], v[84:85]
	s_waitcnt lgkmcnt(2)
	v_mul_f64 v[84:85], v[74:75], v[16:17]
	v_fmac_f64_e32 v[84:85], v[76:77], v[10:11]
	v_add_f64 v[86:87], v[82:83], v[84:85]
	ds_read_b128 v[82:85], v1 offset:1040
	v_mul_f64 v[12:13], v[68:69], v[12:13]
	s_waitcnt lgkmcnt(2)
	v_mul_f64 v[88:89], v[78:79], v[22:23]
	v_fma_f64 v[6:7], v[66:67], v[6:7], -v[12:13]
	v_fmac_f64_e32 v[88:89], v[80:81], v[24:25]
	v_add_f64 v[90:91], v[86:87], v[88:89]
	ds_read_b128 v[86:89], v1 offset:1056
	s_waitcnt lgkmcnt(1)
	v_mul_f64 v[92:93], v[82:83], v[18:19]
	v_fmac_f64_e32 v[92:93], v[84:85], v[20:21]
	v_add_f64 v[94:95], v[90:91], v[92:93]
	ds_read_b128 v[90:93], v1 offset:1072
	s_waitcnt vmcnt(58) lgkmcnt(1)
	v_mul_f64 v[96:97], v[86:87], v[30:31]
	s_waitcnt vmcnt(56)
	v_fmac_f64_e32 v[96:97], v[88:89], v[32:33]
	v_add_f64 v[98:99], v[94:95], v[96:97]
	ds_read_b128 v[94:97], v1 offset:1088
	s_waitcnt lgkmcnt(1)
	v_mul_f64 v[100:101], v[90:91], v[26:27]
	v_fmac_f64_e32 v[100:101], v[92:93], v[28:29]
	v_add_f64 v[102:103], v[98:99], v[100:101]
	ds_read_b128 v[98:101], v1 offset:1104
	s_waitcnt vmcnt(50) lgkmcnt(1)
	v_mul_f64 v[104:105], v[94:95], v[38:39]
	s_waitcnt vmcnt(48)
	v_fmac_f64_e32 v[104:105], v[96:97], v[40:41]
	v_add_f64 v[106:107], v[102:103], v[104:105]
	ds_read_b128 v[102:105], v1 offset:1120
	s_waitcnt lgkmcnt(1)
	v_mul_f64 v[108:109], v[98:99], v[34:35]
	v_fmac_f64_e32 v[108:109], v[100:101], v[36:37]
	v_mul_f64 v[12:13], v[72:73], v[14:15]
	v_add_f64 v[110:111], v[106:107], v[108:109]
	ds_read_b128 v[106:109], v1 offset:1136
	s_waitcnt vmcnt(42) lgkmcnt(1)
	v_mul_f64 v[112:113], v[102:103], v[46:47]
	v_add_f64 v[6:7], v[6:7], 0
	v_fma_f64 v[8:9], v[70:71], v[8:9], -v[12:13]
	s_waitcnt vmcnt(40)
	v_fmac_f64_e32 v[112:113], v[104:105], v[48:49]
	v_add_f64 v[6:7], v[6:7], v[8:9]
	v_mul_f64 v[8:9], v[76:77], v[16:17]
	v_add_f64 v[114:115], v[110:111], v[112:113]
	ds_read_b128 v[110:113], v1 offset:1152
	v_fma_f64 v[8:9], v[74:75], v[10:11], -v[8:9]
	v_add_f64 v[6:7], v[6:7], v[8:9]
	v_mul_f64 v[8:9], v[80:81], v[22:23]
	v_fma_f64 v[8:9], v[78:79], v[24:25], -v[8:9]
	s_waitcnt lgkmcnt(1)
	v_mul_f64 v[116:117], v[106:107], v[42:43]
	v_add_f64 v[6:7], v[6:7], v[8:9]
	v_mul_f64 v[8:9], v[84:85], v[18:19]
	v_fmac_f64_e32 v[116:117], v[108:109], v[44:45]
	v_fma_f64 v[8:9], v[82:83], v[20:21], -v[8:9]
	v_add_f64 v[120:121], v[114:115], v[116:117]
	ds_read_b128 v[114:117], v1 offset:1168
	s_waitcnt vmcnt(34) lgkmcnt(1)
	v_mul_f64 v[122:123], v[110:111], v[54:55]
	v_add_f64 v[6:7], v[6:7], v[8:9]
	v_mul_f64 v[8:9], v[88:89], v[30:31]
	s_waitcnt vmcnt(32)
	v_fmac_f64_e32 v[122:123], v[112:113], v[56:57]
	v_fma_f64 v[8:9], v[86:87], v[32:33], -v[8:9]
	v_add_f64 v[124:125], v[120:121], v[122:123]
	ds_read_b128 v[120:123], v1 offset:1184
	v_add_f64 v[6:7], v[6:7], v[8:9]
	v_mul_f64 v[8:9], v[92:93], v[26:27]
	v_fma_f64 v[8:9], v[90:91], v[28:29], -v[8:9]
	v_add_f64 v[6:7], v[6:7], v[8:9]
	v_mul_f64 v[8:9], v[96:97], v[38:39]
	s_waitcnt lgkmcnt(1)
	v_mul_f64 v[126:127], v[114:115], v[50:51]
	v_fma_f64 v[8:9], v[94:95], v[40:41], -v[8:9]
	v_fmac_f64_e32 v[126:127], v[116:117], v[52:53]
	v_add_f64 v[6:7], v[6:7], v[8:9]
	v_mul_f64 v[8:9], v[100:101], v[34:35]
	v_add_f64 v[128:129], v[124:125], v[126:127]
	ds_read_b128 v[124:127], v1 offset:1200
	s_waitcnt vmcnt(26) lgkmcnt(1)
	v_mul_f64 v[130:131], v[120:121], v[62:63]
	v_fma_f64 v[8:9], v[98:99], v[36:37], -v[8:9]
	s_waitcnt vmcnt(24)
	v_fmac_f64_e32 v[130:131], v[122:123], v[64:65]
	v_add_f64 v[6:7], v[6:7], v[8:9]
	v_mul_f64 v[8:9], v[104:105], v[46:47]
	v_add_f64 v[132:133], v[128:129], v[130:131]
	ds_read_b128 v[128:131], v1 offset:1216
	v_fma_f64 v[8:9], v[102:103], v[48:49], -v[8:9]
	v_add_f64 v[6:7], v[6:7], v[8:9]
	v_mul_f64 v[8:9], v[108:109], v[42:43]
	v_fma_f64 v[8:9], v[106:107], v[44:45], -v[8:9]
	s_waitcnt lgkmcnt(1)
	v_mul_f64 v[134:135], v[124:125], v[58:59]
	v_add_f64 v[6:7], v[6:7], v[8:9]
	v_mul_f64 v[8:9], v[112:113], v[54:55]
	v_fmac_f64_e32 v[134:135], v[126:127], v[60:61]
	v_fma_f64 v[8:9], v[110:111], v[56:57], -v[8:9]
	v_add_f64 v[136:137], v[132:133], v[134:135]
	ds_read_b128 v[132:135], v1 offset:1232
	s_waitcnt vmcnt(18) lgkmcnt(1)
	v_mul_f64 v[138:139], v[128:129], v[154:155]
	v_add_f64 v[6:7], v[6:7], v[8:9]
	v_mul_f64 v[8:9], v[116:117], v[50:51]
	s_waitcnt vmcnt(16)
	v_fmac_f64_e32 v[138:139], v[130:131], v[156:157]
	v_fma_f64 v[8:9], v[114:115], v[52:53], -v[8:9]
	v_add_f64 v[140:141], v[136:137], v[138:139]
	ds_read_b128 v[136:139], v1 offset:1248
	v_add_f64 v[6:7], v[6:7], v[8:9]
	v_mul_f64 v[8:9], v[122:123], v[62:63]
	v_fma_f64 v[8:9], v[120:121], v[64:65], -v[8:9]
	v_add_f64 v[6:7], v[6:7], v[8:9]
	v_mul_f64 v[8:9], v[126:127], v[58:59]
	s_waitcnt lgkmcnt(1)
	v_mul_f64 v[142:143], v[132:133], v[118:119]
	v_fma_f64 v[8:9], v[124:125], v[60:61], -v[8:9]
	v_fmac_f64_e32 v[142:143], v[134:135], v[152:153]
	v_add_f64 v[6:7], v[6:7], v[8:9]
	v_mul_f64 v[8:9], v[130:131], v[154:155]
	v_add_f64 v[144:145], v[140:141], v[142:143]
	ds_read_b128 v[140:143], v1 offset:1264
	s_waitcnt vmcnt(10) lgkmcnt(1)
	v_mul_f64 v[146:147], v[136:137], v[162:163]
	v_fma_f64 v[8:9], v[128:129], v[156:157], -v[8:9]
	s_waitcnt vmcnt(8)
	v_fmac_f64_e32 v[146:147], v[138:139], v[164:165]
	v_add_f64 v[6:7], v[6:7], v[8:9]
	v_mul_f64 v[8:9], v[134:135], v[118:119]
	v_add_f64 v[174:175], v[144:145], v[146:147]
	ds_read_b128 v[144:147], v1 offset:1280
	v_fma_f64 v[8:9], v[132:133], v[152:153], -v[8:9]
	v_add_f64 v[6:7], v[6:7], v[8:9]
	v_mul_f64 v[8:9], v[138:139], v[162:163]
	v_fma_f64 v[8:9], v[136:137], v[164:165], -v[8:9]
	v_add_f64 v[6:7], v[6:7], v[8:9]
	s_waitcnt lgkmcnt(1)
	v_mul_f64 v[8:9], v[142:143], v[158:159]
	v_mul_f64 v[176:177], v[140:141], v[158:159]
	v_fma_f64 v[8:9], v[140:141], v[160:161], -v[8:9]
	v_fmac_f64_e32 v[176:177], v[142:143], v[160:161]
	v_add_f64 v[6:7], v[6:7], v[8:9]
	s_waitcnt vmcnt(6) lgkmcnt(0)
	v_mul_f64 v[8:9], v[146:147], v[166:167]
	v_add_f64 v[174:175], v[174:175], v[176:177]
	v_mul_f64 v[176:177], v[144:145], v[166:167]
	s_waitcnt vmcnt(4)
	v_fma_f64 v[8:9], v[144:145], v[168:169], -v[8:9]
	v_fmac_f64_e32 v[176:177], v[146:147], v[168:169]
	v_add_f64 v[6:7], v[6:7], v[8:9]
	s_waitcnt vmcnt(2)
	v_mul_f64 v[8:9], v[150:151], v[170:171]
	v_add_f64 v[174:175], v[174:175], v[176:177]
	v_mul_f64 v[176:177], v[148:149], v[170:171]
	s_waitcnt vmcnt(0)
	v_fma_f64 v[8:9], v[148:149], v[172:173], -v[8:9]
	v_fmac_f64_e32 v[176:177], v[150:151], v[172:173]
	v_add_f64 v[6:7], v[6:7], v[8:9]
	v_add_f64 v[174:175], v[174:175], v[176:177]
	v_add_f64 v[4:5], v[4:5], -v[6:7]
	v_add_f64 v[2:3], v[2:3], -v[174:175]
	buffer_store_dword v5, off, s[0:3], 0 offset:324
	buffer_store_dword v4, off, s[0:3], 0 offset:320
	;; [unrolled: 1-line block ×4, first 2 shown]
	s_and_saveexec_b64 s[4:5], vcc
	s_cbranch_execz .LBB40_223
; %bb.222:
	v_accvgpr_read_b32 v0, a104
	buffer_load_dword v2, v0, s[0:3], 0 offen
	buffer_load_dword v3, v0, s[0:3], 0 offen offset:4
	buffer_load_dword v4, v0, s[0:3], 0 offen offset:8
	;; [unrolled: 1-line block ×3, first 2 shown]
	v_accvgpr_read_b32 v0, a123
	buffer_store_dword v1, off, s[0:3], 0 offset:304
	buffer_store_dword v1, off, s[0:3], 0 offset:308
	buffer_store_dword v1, off, s[0:3], 0 offset:312
	buffer_store_dword v1, off, s[0:3], 0 offset:316
	s_waitcnt vmcnt(4)
	ds_write_b128 v0, v[2:5]
.LBB40_223:
	s_or_b64 exec, exec, s[4:5]
	s_waitcnt lgkmcnt(0)
	; wave barrier
	s_waitcnt lgkmcnt(0)
	ds_read_b128 v[14:17], v1 offset:960
	ds_read_b128 v[10:13], v1 offset:976
	;; [unrolled: 1-line block ×4, first 2 shown]
	buffer_load_dword v20, off, s[0:3], 0 offset:304
	buffer_load_dword v21, off, s[0:3], 0 offset:308
	;; [unrolled: 1-line block ×92, first 2 shown]
	s_waitcnt vmcnt(62) lgkmcnt(3)
	v_mul_f64 v[86:87], v[14:15], v[28:29]
	v_fmac_f64_e32 v[86:87], v[16:17], v[22:23]
	s_waitcnt lgkmcnt(2)
	v_mul_f64 v[88:89], v[10:11], v[30:31]
	v_add_f64 v[86:87], v[86:87], 0
	v_fmac_f64_e32 v[88:89], v[12:13], v[24:25]
	v_add_f64 v[86:87], v[86:87], v[88:89]
	s_waitcnt lgkmcnt(1)
	v_mul_f64 v[88:89], v[6:7], v[32:33]
	v_fmac_f64_e32 v[88:89], v[8:9], v[26:27]
	v_add_f64 v[90:91], v[86:87], v[88:89]
	ds_read_b128 v[86:89], v1 offset:1024
	v_mul_f64 v[16:17], v[16:17], v[28:29]
	v_fma_f64 v[14:15], v[14:15], v[22:23], -v[16:17]
	s_waitcnt lgkmcnt(1)
	v_mul_f64 v[92:93], v[2:3], v[38:39]
	v_mul_f64 v[12:13], v[12:13], v[30:31]
	v_fmac_f64_e32 v[92:93], v[4:5], v[40:41]
	v_add_f64 v[94:95], v[90:91], v[92:93]
	ds_read_b128 v[90:93], v1 offset:1040
	s_waitcnt lgkmcnt(1)
	v_mul_f64 v[96:97], v[86:87], v[34:35]
	v_fmac_f64_e32 v[96:97], v[88:89], v[36:37]
	v_add_f64 v[98:99], v[94:95], v[96:97]
	ds_read_b128 v[94:97], v1 offset:1056
	s_waitcnt lgkmcnt(1)
	v_mul_f64 v[100:101], v[90:91], v[46:47]
	s_waitcnt vmcnt(60)
	v_fmac_f64_e32 v[100:101], v[92:93], v[48:49]
	v_add_f64 v[102:103], v[98:99], v[100:101]
	ds_read_b128 v[98:101], v1 offset:1072
	s_waitcnt lgkmcnt(1)
	v_mul_f64 v[104:105], v[94:95], v[42:43]
	v_fmac_f64_e32 v[104:105], v[96:97], v[44:45]
	v_add_f64 v[106:107], v[102:103], v[104:105]
	ds_read_b128 v[102:105], v1 offset:1088
	s_waitcnt vmcnt(54) lgkmcnt(1)
	v_mul_f64 v[108:109], v[98:99], v[54:55]
	s_waitcnt vmcnt(52)
	v_fmac_f64_e32 v[108:109], v[100:101], v[56:57]
	v_add_f64 v[110:111], v[106:107], v[108:109]
	ds_read_b128 v[106:109], v1 offset:1104
	s_waitcnt lgkmcnt(1)
	v_mul_f64 v[112:113], v[102:103], v[50:51]
	v_fmac_f64_e32 v[112:113], v[104:105], v[52:53]
	v_add_f64 v[114:115], v[110:111], v[112:113]
	ds_read_b128 v[110:113], v1 offset:1120
	s_waitcnt vmcnt(46) lgkmcnt(1)
	v_mul_f64 v[116:117], v[106:107], v[62:63]
	s_waitcnt vmcnt(44)
	v_fmac_f64_e32 v[116:117], v[108:109], v[64:65]
	v_add_f64 v[120:121], v[114:115], v[116:117]
	ds_read_b128 v[114:117], v1 offset:1136
	s_waitcnt lgkmcnt(1)
	v_mul_f64 v[122:123], v[110:111], v[58:59]
	v_fmac_f64_e32 v[122:123], v[112:113], v[60:61]
	v_add_f64 v[14:15], v[14:15], 0
	v_fma_f64 v[10:11], v[10:11], v[24:25], -v[12:13]
	v_mul_f64 v[8:9], v[8:9], v[32:33]
	v_add_f64 v[124:125], v[120:121], v[122:123]
	ds_read_b128 v[120:123], v1 offset:1152
	v_add_f64 v[10:11], v[14:15], v[10:11]
	v_fma_f64 v[6:7], v[6:7], v[26:27], -v[8:9]
	v_mul_f64 v[4:5], v[4:5], v[38:39]
	v_add_f64 v[6:7], v[10:11], v[6:7]
	v_fma_f64 v[2:3], v[2:3], v[40:41], -v[4:5]
	v_mul_f64 v[4:5], v[88:89], v[34:35]
	v_add_f64 v[2:3], v[6:7], v[2:3]
	v_fma_f64 v[4:5], v[86:87], v[36:37], -v[4:5]
	s_waitcnt vmcnt(38) lgkmcnt(1)
	v_mul_f64 v[126:127], v[114:115], v[70:71]
	v_add_f64 v[2:3], v[2:3], v[4:5]
	v_mul_f64 v[4:5], v[92:93], v[46:47]
	s_waitcnt vmcnt(36)
	v_fmac_f64_e32 v[126:127], v[116:117], v[72:73]
	v_fma_f64 v[4:5], v[90:91], v[48:49], -v[4:5]
	v_add_f64 v[128:129], v[124:125], v[126:127]
	ds_read_b128 v[124:127], v1 offset:1168
	s_waitcnt lgkmcnt(1)
	v_mul_f64 v[130:131], v[120:121], v[66:67]
	v_add_f64 v[2:3], v[2:3], v[4:5]
	v_mul_f64 v[4:5], v[96:97], v[42:43]
	v_fmac_f64_e32 v[130:131], v[122:123], v[68:69]
	v_fma_f64 v[4:5], v[94:95], v[44:45], -v[4:5]
	v_add_f64 v[132:133], v[128:129], v[130:131]
	ds_read_b128 v[128:131], v1 offset:1184
	v_add_f64 v[2:3], v[2:3], v[4:5]
	v_mul_f64 v[4:5], v[100:101], v[54:55]
	v_fma_f64 v[4:5], v[98:99], v[56:57], -v[4:5]
	v_add_f64 v[2:3], v[2:3], v[4:5]
	v_mul_f64 v[4:5], v[104:105], v[50:51]
	s_waitcnt vmcnt(30) lgkmcnt(1)
	v_mul_f64 v[134:135], v[124:125], v[78:79]
	v_fma_f64 v[4:5], v[102:103], v[52:53], -v[4:5]
	s_waitcnt vmcnt(28)
	v_fmac_f64_e32 v[134:135], v[126:127], v[80:81]
	v_add_f64 v[2:3], v[2:3], v[4:5]
	v_mul_f64 v[4:5], v[108:109], v[62:63]
	v_add_f64 v[136:137], v[132:133], v[134:135]
	ds_read_b128 v[132:135], v1 offset:1200
	s_waitcnt lgkmcnt(1)
	v_mul_f64 v[138:139], v[128:129], v[74:75]
	v_fma_f64 v[4:5], v[106:107], v[64:65], -v[4:5]
	v_fmac_f64_e32 v[138:139], v[130:131], v[76:77]
	v_add_f64 v[2:3], v[2:3], v[4:5]
	v_mul_f64 v[4:5], v[112:113], v[58:59]
	v_add_f64 v[140:141], v[136:137], v[138:139]
	ds_read_b128 v[136:139], v1 offset:1216
	v_fma_f64 v[4:5], v[110:111], v[60:61], -v[4:5]
	v_add_f64 v[2:3], v[2:3], v[4:5]
	v_mul_f64 v[4:5], v[116:117], v[70:71]
	v_fma_f64 v[4:5], v[114:115], v[72:73], -v[4:5]
	s_waitcnt vmcnt(22) lgkmcnt(1)
	v_mul_f64 v[142:143], v[132:133], v[118:119]
	v_add_f64 v[2:3], v[2:3], v[4:5]
	v_mul_f64 v[4:5], v[122:123], v[66:67]
	s_waitcnt vmcnt(20)
	v_fmac_f64_e32 v[142:143], v[134:135], v[160:161]
	v_fma_f64 v[4:5], v[120:121], v[68:69], -v[4:5]
	v_add_f64 v[144:145], v[140:141], v[142:143]
	ds_read_b128 v[140:143], v1 offset:1232
	s_waitcnt lgkmcnt(1)
	v_mul_f64 v[146:147], v[136:137], v[82:83]
	v_add_f64 v[2:3], v[2:3], v[4:5]
	v_mul_f64 v[4:5], v[126:127], v[78:79]
	v_fmac_f64_e32 v[146:147], v[138:139], v[84:85]
	v_fma_f64 v[4:5], v[124:125], v[80:81], -v[4:5]
	v_add_f64 v[148:149], v[144:145], v[146:147]
	ds_read_b128 v[144:147], v1 offset:1248
	v_add_f64 v[2:3], v[2:3], v[4:5]
	v_mul_f64 v[4:5], v[130:131], v[74:75]
	v_fma_f64 v[4:5], v[128:129], v[76:77], -v[4:5]
	v_add_f64 v[2:3], v[2:3], v[4:5]
	v_mul_f64 v[4:5], v[134:135], v[118:119]
	s_waitcnt vmcnt(14) lgkmcnt(1)
	v_mul_f64 v[150:151], v[140:141], v[166:167]
	v_fma_f64 v[4:5], v[132:133], v[160:161], -v[4:5]
	s_waitcnt vmcnt(12)
	v_fmac_f64_e32 v[150:151], v[142:143], v[168:169]
	v_add_f64 v[2:3], v[2:3], v[4:5]
	v_mul_f64 v[4:5], v[138:139], v[82:83]
	v_add_f64 v[152:153], v[148:149], v[150:151]
	ds_read_b128 v[148:151], v1 offset:1264
	s_waitcnt lgkmcnt(1)
	v_mul_f64 v[154:155], v[144:145], v[162:163]
	v_fma_f64 v[4:5], v[136:137], v[84:85], -v[4:5]
	v_fmac_f64_e32 v[154:155], v[146:147], v[164:165]
	v_add_f64 v[2:3], v[2:3], v[4:5]
	v_mul_f64 v[4:5], v[142:143], v[166:167]
	v_add_f64 v[182:183], v[152:153], v[154:155]
	ds_read_b128 v[152:155], v1 offset:1280
	ds_read_b128 v[156:159], v1 offset:1296
	v_fma_f64 v[4:5], v[140:141], v[168:169], -v[4:5]
	v_add_f64 v[2:3], v[2:3], v[4:5]
	v_mul_f64 v[4:5], v[146:147], v[162:163]
	v_fma_f64 v[4:5], v[144:145], v[164:165], -v[4:5]
	v_add_f64 v[2:3], v[2:3], v[4:5]
	s_waitcnt vmcnt(6) lgkmcnt(2)
	v_mul_f64 v[4:5], v[150:151], v[174:175]
	v_mul_f64 v[184:185], v[148:149], v[174:175]
	s_waitcnt vmcnt(4)
	v_fma_f64 v[4:5], v[148:149], v[176:177], -v[4:5]
	v_fmac_f64_e32 v[184:185], v[150:151], v[176:177]
	v_add_f64 v[2:3], v[2:3], v[4:5]
	s_waitcnt lgkmcnt(1)
	v_mul_f64 v[4:5], v[154:155], v[170:171]
	v_add_f64 v[182:183], v[182:183], v[184:185]
	v_mul_f64 v[184:185], v[152:153], v[170:171]
	v_fma_f64 v[4:5], v[152:153], v[172:173], -v[4:5]
	v_fmac_f64_e32 v[184:185], v[154:155], v[172:173]
	v_add_f64 v[2:3], v[2:3], v[4:5]
	s_waitcnt vmcnt(2) lgkmcnt(0)
	v_mul_f64 v[4:5], v[158:159], v[178:179]
	v_add_f64 v[182:183], v[182:183], v[184:185]
	v_mul_f64 v[184:185], v[156:157], v[178:179]
	s_waitcnt vmcnt(0)
	v_fma_f64 v[4:5], v[156:157], v[180:181], -v[4:5]
	v_fmac_f64_e32 v[184:185], v[158:159], v[180:181]
	v_add_f64 v[2:3], v[2:3], v[4:5]
	v_add_f64 v[182:183], v[182:183], v[184:185]
	v_add_f64 v[2:3], v[20:21], -v[2:3]
	v_cmp_lt_u32_e32 vcc, 17, v254
	v_add_f64 v[4:5], v[18:19], -v[182:183]
	buffer_store_dword v3, off, s[0:3], 0 offset:308
	buffer_store_dword v2, off, s[0:3], 0 offset:304
	;; [unrolled: 1-line block ×4, first 2 shown]
	s_and_saveexec_b64 s[4:5], vcc
	s_cbranch_execz .LBB40_225
; %bb.224:
	v_accvgpr_read_b32 v0, a105
	buffer_load_dword v2, v0, s[0:3], 0 offen
	buffer_load_dword v3, v0, s[0:3], 0 offen offset:4
	buffer_load_dword v4, v0, s[0:3], 0 offen offset:8
	;; [unrolled: 1-line block ×3, first 2 shown]
	v_mov_b32_e32 v0, 0
	v_accvgpr_read_b32 v1, a123
	buffer_store_dword v0, off, s[0:3], 0 offset:288
	buffer_store_dword v0, off, s[0:3], 0 offset:292
	;; [unrolled: 1-line block ×4, first 2 shown]
	s_waitcnt vmcnt(4)
	ds_write_b128 v1, v[2:5]
.LBB40_225:
	s_or_b64 exec, exec, s[4:5]
	s_waitcnt lgkmcnt(0)
	; wave barrier
	s_waitcnt lgkmcnt(0)
	buffer_load_dword v9, off, s[0:3], 0 offset:316
	buffer_load_dword v6, off, s[0:3], 0 offset:328
	;; [unrolled: 1-line block ×64, first 2 shown]
	v_mov_b32_e32 v1, 0
	ds_read_b128 v[74:77], v1 offset:944
	ds_read_b128 v[78:81], v1 offset:960
	buffer_load_dword v67, off, s[0:3], 0 offset:572
	buffer_load_dword v66, off, s[0:3], 0 offset:568
	;; [unrolled: 1-line block ×8, first 2 shown]
	ds_read_b128 v[82:85], v1 offset:976
	ds_read_b128 v[86:89], v1 offset:992
	buffer_load_dword v119, off, s[0:3], 0 offset:604
	buffer_load_dword v118, off, s[0:3], 0 offset:600
	;; [unrolled: 1-line block ×24, first 2 shown]
	ds_read_b128 v[164:167], v1 offset:1296
	v_cmp_lt_u32_e32 vcc, 16, v254
	s_waitcnt vmcnt(62) lgkmcnt(1)
	v_mul_f64 v[96:97], v[86:87], v[22:23]
	v_fmac_f64_e32 v[96:97], v[88:89], v[24:25]
	v_mul_f64 v[92:93], v[78:79], v[6:7]
	v_mul_f64 v[90:91], v[74:75], v[8:9]
	;; [unrolled: 1-line block ×3, first 2 shown]
	v_fmac_f64_e32 v[90:91], v[76:77], v[10:11]
	v_add_f64 v[90:91], v[90:91], 0
	v_fma_f64 v[8:9], v[74:75], v[10:11], -v[8:9]
	v_mul_f64 v[6:7], v[80:81], v[6:7]
	v_add_f64 v[8:9], v[8:9], 0
	v_fmac_f64_e32 v[92:93], v[80:81], v[14:15]
	v_add_f64 v[90:91], v[90:91], v[92:93]
	v_mul_f64 v[92:93], v[82:83], v[16:17]
	v_fmac_f64_e32 v[92:93], v[84:85], v[12:13]
	v_add_f64 v[94:95], v[90:91], v[92:93]
	ds_read_b128 v[90:93], v1 offset:1008
	v_add_f64 v[98:99], v[94:95], v[96:97]
	ds_read_b128 v[94:97], v1 offset:1024
	v_fma_f64 v[6:7], v[78:79], v[14:15], -v[6:7]
	v_add_f64 v[6:7], v[8:9], v[6:7]
	s_waitcnt lgkmcnt(1)
	v_mul_f64 v[100:101], v[90:91], v[18:19]
	v_fmac_f64_e32 v[100:101], v[92:93], v[20:21]
	v_add_f64 v[102:103], v[98:99], v[100:101]
	ds_read_b128 v[98:101], v1 offset:1040
	s_waitcnt lgkmcnt(1)
	v_mul_f64 v[104:105], v[94:95], v[30:31]
	v_fmac_f64_e32 v[104:105], v[96:97], v[32:33]
	v_add_f64 v[106:107], v[102:103], v[104:105]
	ds_read_b128 v[102:105], v1 offset:1056
	;; [unrolled: 5-line block ×3, first 2 shown]
	s_waitcnt vmcnt(58) lgkmcnt(1)
	v_mul_f64 v[112:113], v[102:103], v[38:39]
	s_waitcnt vmcnt(56)
	v_fmac_f64_e32 v[112:113], v[104:105], v[40:41]
	v_add_f64 v[114:115], v[110:111], v[112:113]
	ds_read_b128 v[110:113], v1 offset:1088
	s_waitcnt lgkmcnt(1)
	v_mul_f64 v[116:117], v[106:107], v[34:35]
	v_fmac_f64_e32 v[116:117], v[108:109], v[36:37]
	v_add_f64 v[120:121], v[114:115], v[116:117]
	ds_read_b128 v[114:117], v1 offset:1104
	s_waitcnt vmcnt(50) lgkmcnt(1)
	v_mul_f64 v[122:123], v[110:111], v[46:47]
	s_waitcnt vmcnt(48)
	v_fmac_f64_e32 v[122:123], v[112:113], v[48:49]
	v_add_f64 v[124:125], v[120:121], v[122:123]
	ds_read_b128 v[120:123], v1 offset:1120
	v_mul_f64 v[8:9], v[84:85], v[16:17]
	s_waitcnt lgkmcnt(1)
	v_mul_f64 v[126:127], v[114:115], v[42:43]
	v_fma_f64 v[8:9], v[82:83], v[12:13], -v[8:9]
	v_fmac_f64_e32 v[126:127], v[116:117], v[44:45]
	v_add_f64 v[6:7], v[6:7], v[8:9]
	v_mul_f64 v[8:9], v[88:89], v[22:23]
	v_add_f64 v[128:129], v[124:125], v[126:127]
	ds_read_b128 v[124:127], v1 offset:1136
	s_waitcnt vmcnt(42) lgkmcnt(1)
	v_mul_f64 v[130:131], v[120:121], v[54:55]
	v_fma_f64 v[8:9], v[86:87], v[24:25], -v[8:9]
	s_waitcnt vmcnt(40)
	v_fmac_f64_e32 v[130:131], v[122:123], v[56:57]
	v_add_f64 v[6:7], v[6:7], v[8:9]
	v_mul_f64 v[8:9], v[92:93], v[18:19]
	v_add_f64 v[132:133], v[128:129], v[130:131]
	ds_read_b128 v[128:131], v1 offset:1152
	v_fma_f64 v[8:9], v[90:91], v[20:21], -v[8:9]
	v_add_f64 v[6:7], v[6:7], v[8:9]
	v_mul_f64 v[8:9], v[96:97], v[30:31]
	v_fma_f64 v[8:9], v[94:95], v[32:33], -v[8:9]
	s_waitcnt lgkmcnt(1)
	v_mul_f64 v[134:135], v[124:125], v[50:51]
	v_add_f64 v[6:7], v[6:7], v[8:9]
	v_mul_f64 v[8:9], v[100:101], v[26:27]
	v_fmac_f64_e32 v[134:135], v[126:127], v[52:53]
	v_fma_f64 v[8:9], v[98:99], v[28:29], -v[8:9]
	v_add_f64 v[136:137], v[132:133], v[134:135]
	ds_read_b128 v[132:135], v1 offset:1168
	s_waitcnt vmcnt(34) lgkmcnt(1)
	v_mul_f64 v[138:139], v[128:129], v[62:63]
	v_add_f64 v[6:7], v[6:7], v[8:9]
	v_mul_f64 v[8:9], v[104:105], v[38:39]
	s_waitcnt vmcnt(32)
	v_fmac_f64_e32 v[138:139], v[130:131], v[64:65]
	v_fma_f64 v[8:9], v[102:103], v[40:41], -v[8:9]
	v_add_f64 v[140:141], v[136:137], v[138:139]
	ds_read_b128 v[136:139], v1 offset:1184
	v_add_f64 v[6:7], v[6:7], v[8:9]
	v_mul_f64 v[8:9], v[108:109], v[34:35]
	v_fma_f64 v[8:9], v[106:107], v[36:37], -v[8:9]
	v_add_f64 v[6:7], v[6:7], v[8:9]
	v_mul_f64 v[8:9], v[112:113], v[46:47]
	s_waitcnt lgkmcnt(1)
	v_mul_f64 v[142:143], v[132:133], v[58:59]
	v_fma_f64 v[8:9], v[110:111], v[48:49], -v[8:9]
	v_fmac_f64_e32 v[142:143], v[134:135], v[60:61]
	v_add_f64 v[6:7], v[6:7], v[8:9]
	v_mul_f64 v[8:9], v[116:117], v[42:43]
	v_add_f64 v[144:145], v[140:141], v[142:143]
	ds_read_b128 v[140:143], v1 offset:1200
	s_waitcnt vmcnt(26) lgkmcnt(1)
	v_mul_f64 v[146:147], v[136:137], v[70:71]
	v_fma_f64 v[8:9], v[114:115], v[44:45], -v[8:9]
	s_waitcnt vmcnt(24)
	v_fmac_f64_e32 v[146:147], v[138:139], v[72:73]
	v_add_f64 v[6:7], v[6:7], v[8:9]
	v_mul_f64 v[8:9], v[122:123], v[54:55]
	v_add_f64 v[148:149], v[144:145], v[146:147]
	ds_read_b128 v[144:147], v1 offset:1216
	v_fma_f64 v[8:9], v[120:121], v[56:57], -v[8:9]
	v_add_f64 v[6:7], v[6:7], v[8:9]
	v_mul_f64 v[8:9], v[126:127], v[50:51]
	v_fma_f64 v[8:9], v[124:125], v[52:53], -v[8:9]
	s_waitcnt lgkmcnt(1)
	v_mul_f64 v[150:151], v[140:141], v[66:67]
	v_add_f64 v[6:7], v[6:7], v[8:9]
	v_mul_f64 v[8:9], v[130:131], v[62:63]
	v_fmac_f64_e32 v[150:151], v[142:143], v[68:69]
	v_fma_f64 v[8:9], v[128:129], v[64:65], -v[8:9]
	v_add_f64 v[152:153], v[148:149], v[150:151]
	ds_read_b128 v[148:151], v1 offset:1232
	s_waitcnt vmcnt(18) lgkmcnt(1)
	v_mul_f64 v[154:155], v[144:145], v[170:171]
	v_add_f64 v[6:7], v[6:7], v[8:9]
	v_mul_f64 v[8:9], v[134:135], v[58:59]
	s_waitcnt vmcnt(16)
	v_fmac_f64_e32 v[154:155], v[146:147], v[172:173]
	v_fma_f64 v[8:9], v[132:133], v[60:61], -v[8:9]
	v_add_f64 v[156:157], v[152:153], v[154:155]
	ds_read_b128 v[152:155], v1 offset:1248
	v_add_f64 v[6:7], v[6:7], v[8:9]
	v_mul_f64 v[8:9], v[138:139], v[70:71]
	v_fma_f64 v[8:9], v[136:137], v[72:73], -v[8:9]
	v_add_f64 v[6:7], v[6:7], v[8:9]
	v_mul_f64 v[8:9], v[142:143], v[66:67]
	s_waitcnt lgkmcnt(1)
	v_mul_f64 v[158:159], v[148:149], v[118:119]
	v_fma_f64 v[8:9], v[140:141], v[68:69], -v[8:9]
	v_fmac_f64_e32 v[158:159], v[150:151], v[168:169]
	v_add_f64 v[6:7], v[6:7], v[8:9]
	v_mul_f64 v[8:9], v[146:147], v[170:171]
	v_add_f64 v[160:161], v[156:157], v[158:159]
	ds_read_b128 v[156:159], v1 offset:1264
	s_waitcnt vmcnt(10) lgkmcnt(1)
	v_mul_f64 v[162:163], v[152:153], v[178:179]
	v_fma_f64 v[8:9], v[144:145], v[172:173], -v[8:9]
	s_waitcnt vmcnt(8)
	v_fmac_f64_e32 v[162:163], v[154:155], v[180:181]
	v_add_f64 v[6:7], v[6:7], v[8:9]
	v_mul_f64 v[8:9], v[150:151], v[118:119]
	v_add_f64 v[190:191], v[160:161], v[162:163]
	ds_read_b128 v[160:163], v1 offset:1280
	v_fma_f64 v[8:9], v[148:149], v[168:169], -v[8:9]
	v_add_f64 v[6:7], v[6:7], v[8:9]
	v_mul_f64 v[8:9], v[154:155], v[178:179]
	v_fma_f64 v[8:9], v[152:153], v[180:181], -v[8:9]
	v_add_f64 v[6:7], v[6:7], v[8:9]
	s_waitcnt lgkmcnt(1)
	v_mul_f64 v[8:9], v[158:159], v[174:175]
	v_mul_f64 v[192:193], v[156:157], v[174:175]
	v_fma_f64 v[8:9], v[156:157], v[176:177], -v[8:9]
	v_fmac_f64_e32 v[192:193], v[158:159], v[176:177]
	v_add_f64 v[6:7], v[6:7], v[8:9]
	s_waitcnt vmcnt(2) lgkmcnt(0)
	v_mul_f64 v[8:9], v[162:163], v[186:187]
	v_add_f64 v[190:191], v[190:191], v[192:193]
	v_mul_f64 v[192:193], v[160:161], v[186:187]
	s_waitcnt vmcnt(0)
	v_fma_f64 v[8:9], v[160:161], v[188:189], -v[8:9]
	v_fmac_f64_e32 v[192:193], v[162:163], v[188:189]
	v_add_f64 v[6:7], v[6:7], v[8:9]
	v_mul_f64 v[8:9], v[166:167], v[182:183]
	v_add_f64 v[190:191], v[190:191], v[192:193]
	v_mul_f64 v[192:193], v[164:165], v[182:183]
	v_fma_f64 v[8:9], v[164:165], v[184:185], -v[8:9]
	v_fmac_f64_e32 v[192:193], v[166:167], v[184:185]
	v_add_f64 v[6:7], v[6:7], v[8:9]
	v_add_f64 v[190:191], v[190:191], v[192:193]
	v_add_f64 v[4:5], v[4:5], -v[6:7]
	v_add_f64 v[2:3], v[2:3], -v[190:191]
	buffer_store_dword v5, off, s[0:3], 0 offset:292
	buffer_store_dword v4, off, s[0:3], 0 offset:288
	;; [unrolled: 1-line block ×4, first 2 shown]
	s_and_saveexec_b64 s[4:5], vcc
	s_cbranch_execz .LBB40_227
; %bb.226:
	v_accvgpr_read_b32 v0, a106
	buffer_load_dword v2, v0, s[0:3], 0 offen
	buffer_load_dword v3, v0, s[0:3], 0 offen offset:4
	buffer_load_dword v4, v0, s[0:3], 0 offen offset:8
	;; [unrolled: 1-line block ×3, first 2 shown]
	v_accvgpr_read_b32 v0, a123
	buffer_store_dword v1, off, s[0:3], 0 offset:272
	buffer_store_dword v1, off, s[0:3], 0 offset:276
	;; [unrolled: 1-line block ×4, first 2 shown]
	s_waitcnt vmcnt(4)
	ds_write_b128 v0, v[2:5]
.LBB40_227:
	s_or_b64 exec, exec, s[4:5]
	s_waitcnt lgkmcnt(0)
	; wave barrier
	s_waitcnt lgkmcnt(0)
	buffer_load_dword v22, off, s[0:3], 0 offset:288
	buffer_load_dword v23, off, s[0:3], 0 offset:292
	;; [unrolled: 1-line block ×16, first 2 shown]
	ds_read_b128 v[2:5], v1 offset:928
	ds_read_b128 v[6:9], v1 offset:944
	;; [unrolled: 1-line block ×4, first 2 shown]
	buffer_load_dword v35, off, s[0:3], 0 offset:364
	buffer_load_dword v34, off, s[0:3], 0 offset:360
	;; [unrolled: 1-line block ×48, first 2 shown]
	v_cmp_lt_u32_e32 vcc, 15, v254
	s_waitcnt vmcnt(42) lgkmcnt(0)
	v_mul_f64 v[104:105], v[14:15], v[38:39]
	s_waitcnt vmcnt(40)
	v_fmac_f64_e32 v[104:105], v[16:17], v[40:41]
	v_mul_f64 v[82:83], v[2:3], v[24:25]
	v_fmac_f64_e32 v[82:83], v[4:5], v[22:23]
	v_add_f64 v[82:83], v[82:83], 0
	v_mul_f64 v[4:5], v[4:5], v[24:25]
	v_mul_f64 v[84:85], v[6:7], v[32:33]
	v_fma_f64 v[2:3], v[2:3], v[22:23], -v[4:5]
	v_mul_f64 v[98:99], v[10:11], v[26:27]
	v_fmac_f64_e32 v[98:99], v[12:13], v[30:31]
	v_fmac_f64_e32 v[84:85], v[8:9], v[28:29]
	v_add_f64 v[100:101], v[82:83], v[84:85]
	buffer_load_dword v83, off, s[0:3], 0 offset:556
	buffer_load_dword v82, off, s[0:3], 0 offset:552
	;; [unrolled: 1-line block ×32, first 2 shown]
	v_add_f64 v[102:103], v[100:101], v[98:99]
	ds_read_b128 v[98:101], v1 offset:992
	buffer_load_dword v195, off, s[0:3], 0 offset:668
	buffer_load_dword v194, off, s[0:3], 0 offset:664
	;; [unrolled: 1-line block ×4, first 2 shown]
	v_add_f64 v[106:107], v[102:103], v[104:105]
	ds_read_b128 v[102:105], v1 offset:1008
	v_mul_f64 v[4:5], v[8:9], v[32:33]
	s_waitcnt lgkmcnt(1)
	v_mul_f64 v[108:109], v[98:99], v[34:35]
	v_fmac_f64_e32 v[108:109], v[100:101], v[36:37]
	v_add_f64 v[110:111], v[106:107], v[108:109]
	ds_read_b128 v[106:109], v1 offset:1024
	s_waitcnt vmcnt(62) lgkmcnt(1)
	v_mul_f64 v[112:113], v[102:103], v[46:47]
	v_fmac_f64_e32 v[112:113], v[104:105], v[48:49]
	v_add_f64 v[114:115], v[110:111], v[112:113]
	ds_read_b128 v[110:113], v1 offset:1040
	s_waitcnt lgkmcnt(1)
	v_mul_f64 v[116:117], v[106:107], v[42:43]
	v_fmac_f64_e32 v[116:117], v[108:109], v[44:45]
	v_add_f64 v[120:121], v[114:115], v[116:117]
	ds_read_b128 v[114:117], v1 offset:1056
	s_waitcnt lgkmcnt(1)
	v_mul_f64 v[122:123], v[110:111], v[54:55]
	s_waitcnt vmcnt(60)
	v_fmac_f64_e32 v[122:123], v[112:113], v[56:57]
	v_add_f64 v[124:125], v[120:121], v[122:123]
	ds_read_b128 v[120:123], v1 offset:1072
	s_waitcnt lgkmcnt(1)
	v_mul_f64 v[126:127], v[114:115], v[50:51]
	v_fmac_f64_e32 v[126:127], v[116:117], v[52:53]
	v_add_f64 v[128:129], v[124:125], v[126:127]
	ds_read_b128 v[124:127], v1 offset:1088
	s_waitcnt vmcnt(54) lgkmcnt(1)
	v_mul_f64 v[130:131], v[120:121], v[62:63]
	s_waitcnt vmcnt(52)
	v_fmac_f64_e32 v[130:131], v[122:123], v[64:65]
	v_add_f64 v[132:133], v[128:129], v[130:131]
	ds_read_b128 v[128:131], v1 offset:1104
	s_waitcnt lgkmcnt(1)
	v_mul_f64 v[134:135], v[124:125], v[58:59]
	v_fmac_f64_e32 v[134:135], v[126:127], v[60:61]
	v_add_f64 v[2:3], v[2:3], 0
	v_fma_f64 v[4:5], v[6:7], v[28:29], -v[4:5]
	v_add_f64 v[136:137], v[132:133], v[134:135]
	ds_read_b128 v[132:135], v1 offset:1120
	v_add_f64 v[2:3], v[2:3], v[4:5]
	v_mul_f64 v[4:5], v[12:13], v[26:27]
	v_fma_f64 v[4:5], v[10:11], v[30:31], -v[4:5]
	v_add_f64 v[2:3], v[2:3], v[4:5]
	v_mul_f64 v[4:5], v[16:17], v[38:39]
	s_waitcnt vmcnt(46) lgkmcnt(1)
	v_mul_f64 v[138:139], v[128:129], v[70:71]
	v_fma_f64 v[4:5], v[14:15], v[40:41], -v[4:5]
	s_waitcnt vmcnt(44)
	v_fmac_f64_e32 v[138:139], v[130:131], v[72:73]
	v_add_f64 v[2:3], v[2:3], v[4:5]
	v_mul_f64 v[4:5], v[100:101], v[34:35]
	v_add_f64 v[140:141], v[136:137], v[138:139]
	ds_read_b128 v[136:139], v1 offset:1136
	s_waitcnt lgkmcnt(1)
	v_mul_f64 v[142:143], v[132:133], v[66:67]
	v_fma_f64 v[4:5], v[98:99], v[36:37], -v[4:5]
	v_fmac_f64_e32 v[142:143], v[134:135], v[68:69]
	v_add_f64 v[2:3], v[2:3], v[4:5]
	v_mul_f64 v[4:5], v[104:105], v[46:47]
	v_add_f64 v[144:145], v[140:141], v[142:143]
	ds_read_b128 v[140:143], v1 offset:1152
	v_fma_f64 v[4:5], v[102:103], v[48:49], -v[4:5]
	v_add_f64 v[2:3], v[2:3], v[4:5]
	v_mul_f64 v[4:5], v[108:109], v[42:43]
	v_fma_f64 v[4:5], v[106:107], v[44:45], -v[4:5]
	s_waitcnt vmcnt(38) lgkmcnt(1)
	v_mul_f64 v[146:147], v[136:137], v[78:79]
	v_add_f64 v[2:3], v[2:3], v[4:5]
	v_mul_f64 v[4:5], v[112:113], v[54:55]
	s_waitcnt vmcnt(36)
	v_fmac_f64_e32 v[146:147], v[138:139], v[80:81]
	v_fma_f64 v[4:5], v[110:111], v[56:57], -v[4:5]
	v_add_f64 v[148:149], v[144:145], v[146:147]
	ds_read_b128 v[144:147], v1 offset:1168
	s_waitcnt lgkmcnt(1)
	v_mul_f64 v[150:151], v[140:141], v[74:75]
	v_add_f64 v[2:3], v[2:3], v[4:5]
	v_mul_f64 v[4:5], v[116:117], v[50:51]
	v_fmac_f64_e32 v[150:151], v[142:143], v[76:77]
	v_fma_f64 v[4:5], v[114:115], v[52:53], -v[4:5]
	v_add_f64 v[152:153], v[148:149], v[150:151]
	ds_read_b128 v[148:151], v1 offset:1184
	v_add_f64 v[2:3], v[2:3], v[4:5]
	v_mul_f64 v[4:5], v[122:123], v[62:63]
	v_fma_f64 v[4:5], v[120:121], v[64:65], -v[4:5]
	v_add_f64 v[2:3], v[2:3], v[4:5]
	v_mul_f64 v[4:5], v[126:127], v[58:59]
	s_waitcnt vmcnt(30) lgkmcnt(1)
	v_mul_f64 v[154:155], v[144:145], v[86:87]
	v_fma_f64 v[4:5], v[124:125], v[60:61], -v[4:5]
	s_waitcnt vmcnt(28)
	v_fmac_f64_e32 v[154:155], v[146:147], v[88:89]
	v_add_f64 v[2:3], v[2:3], v[4:5]
	v_mul_f64 v[4:5], v[130:131], v[70:71]
	v_add_f64 v[156:157], v[152:153], v[154:155]
	ds_read_b128 v[152:155], v1 offset:1200
	s_waitcnt lgkmcnt(1)
	v_mul_f64 v[158:159], v[148:149], v[82:83]
	v_fma_f64 v[4:5], v[128:129], v[72:73], -v[4:5]
	v_fmac_f64_e32 v[158:159], v[150:151], v[84:85]
	v_add_f64 v[2:3], v[2:3], v[4:5]
	v_mul_f64 v[4:5], v[134:135], v[66:67]
	v_add_f64 v[160:161], v[156:157], v[158:159]
	ds_read_b128 v[156:159], v1 offset:1216
	v_fma_f64 v[4:5], v[132:133], v[68:69], -v[4:5]
	v_add_f64 v[2:3], v[2:3], v[4:5]
	v_mul_f64 v[4:5], v[138:139], v[78:79]
	v_fma_f64 v[4:5], v[136:137], v[80:81], -v[4:5]
	s_waitcnt vmcnt(22) lgkmcnt(1)
	v_mul_f64 v[162:163], v[152:153], v[94:95]
	v_add_f64 v[2:3], v[2:3], v[4:5]
	v_mul_f64 v[4:5], v[142:143], v[74:75]
	s_waitcnt vmcnt(20)
	v_fmac_f64_e32 v[162:163], v[154:155], v[96:97]
	v_fma_f64 v[4:5], v[140:141], v[76:77], -v[4:5]
	v_add_f64 v[164:165], v[160:161], v[162:163]
	ds_read_b128 v[160:163], v1 offset:1232
	s_waitcnt lgkmcnt(1)
	v_mul_f64 v[166:167], v[156:157], v[90:91]
	v_add_f64 v[2:3], v[2:3], v[4:5]
	v_mul_f64 v[4:5], v[146:147], v[86:87]
	v_fmac_f64_e32 v[166:167], v[158:159], v[92:93]
	v_fma_f64 v[4:5], v[144:145], v[88:89], -v[4:5]
	v_add_f64 v[168:169], v[164:165], v[166:167]
	ds_read_b128 v[164:167], v1 offset:1248
	v_add_f64 v[2:3], v[2:3], v[4:5]
	v_mul_f64 v[4:5], v[150:151], v[82:83]
	v_fma_f64 v[4:5], v[148:149], v[84:85], -v[4:5]
	v_add_f64 v[2:3], v[2:3], v[4:5]
	v_mul_f64 v[4:5], v[154:155], v[94:95]
	s_waitcnt vmcnt(14) lgkmcnt(1)
	v_mul_f64 v[170:171], v[160:161], v[182:183]
	v_fma_f64 v[4:5], v[152:153], v[96:97], -v[4:5]
	s_waitcnt vmcnt(12)
	v_fmac_f64_e32 v[170:171], v[162:163], v[184:185]
	v_add_f64 v[2:3], v[2:3], v[4:5]
	v_mul_f64 v[4:5], v[158:159], v[90:91]
	v_add_f64 v[172:173], v[168:169], v[170:171]
	ds_read_b128 v[168:171], v1 offset:1264
	s_waitcnt lgkmcnt(1)
	v_mul_f64 v[174:175], v[164:165], v[118:119]
	v_fma_f64 v[4:5], v[156:157], v[92:93], -v[4:5]
	v_fmac_f64_e32 v[174:175], v[166:167], v[180:181]
	v_add_f64 v[2:3], v[2:3], v[4:5]
	v_mul_f64 v[4:5], v[162:163], v[182:183]
	v_add_f64 v[198:199], v[172:173], v[174:175]
	ds_read_b128 v[172:175], v1 offset:1280
	v_fma_f64 v[4:5], v[160:161], v[184:185], -v[4:5]
	v_add_f64 v[2:3], v[2:3], v[4:5]
	v_mul_f64 v[4:5], v[166:167], v[118:119]
	ds_read_b128 v[176:179], v1 offset:1296
	v_fma_f64 v[4:5], v[164:165], v[180:181], -v[4:5]
	v_add_f64 v[2:3], v[2:3], v[4:5]
	s_waitcnt vmcnt(6) lgkmcnt(2)
	v_mul_f64 v[4:5], v[170:171], v[190:191]
	v_mul_f64 v[200:201], v[168:169], v[190:191]
	s_waitcnt vmcnt(4)
	v_fma_f64 v[4:5], v[168:169], v[192:193], -v[4:5]
	v_fmac_f64_e32 v[200:201], v[170:171], v[192:193]
	v_add_f64 v[2:3], v[2:3], v[4:5]
	s_waitcnt lgkmcnt(1)
	v_mul_f64 v[4:5], v[174:175], v[186:187]
	v_add_f64 v[198:199], v[198:199], v[200:201]
	v_mul_f64 v[200:201], v[172:173], v[186:187]
	v_fma_f64 v[4:5], v[172:173], v[188:189], -v[4:5]
	v_fmac_f64_e32 v[200:201], v[174:175], v[188:189]
	v_add_f64 v[2:3], v[2:3], v[4:5]
	s_waitcnt vmcnt(2) lgkmcnt(0)
	v_mul_f64 v[4:5], v[178:179], v[194:195]
	v_add_f64 v[198:199], v[198:199], v[200:201]
	v_mul_f64 v[200:201], v[176:177], v[194:195]
	s_waitcnt vmcnt(0)
	v_fma_f64 v[4:5], v[176:177], v[196:197], -v[4:5]
	v_fmac_f64_e32 v[200:201], v[178:179], v[196:197]
	v_add_f64 v[2:3], v[2:3], v[4:5]
	v_add_f64 v[198:199], v[198:199], v[200:201]
	v_add_f64 v[2:3], v[20:21], -v[2:3]
	v_add_f64 v[4:5], v[18:19], -v[198:199]
	buffer_store_dword v3, off, s[0:3], 0 offset:276
	buffer_store_dword v2, off, s[0:3], 0 offset:272
	;; [unrolled: 1-line block ×4, first 2 shown]
	s_and_saveexec_b64 s[4:5], vcc
	s_cbranch_execz .LBB40_229
; %bb.228:
	v_accvgpr_read_b32 v0, a107
	buffer_load_dword v2, v0, s[0:3], 0 offen
	buffer_load_dword v3, v0, s[0:3], 0 offen offset:4
	buffer_load_dword v4, v0, s[0:3], 0 offen offset:8
	;; [unrolled: 1-line block ×3, first 2 shown]
	v_mov_b32_e32 v0, 0
	v_accvgpr_read_b32 v1, a123
	buffer_store_dword v0, off, s[0:3], 0 offset:256
	buffer_store_dword v0, off, s[0:3], 0 offset:260
	buffer_store_dword v0, off, s[0:3], 0 offset:264
	buffer_store_dword v0, off, s[0:3], 0 offset:268
	s_waitcnt vmcnt(4)
	ds_write_b128 v1, v[2:5]
.LBB40_229:
	s_or_b64 exec, exec, s[4:5]
	s_waitcnt lgkmcnt(0)
	; wave barrier
	s_waitcnt lgkmcnt(0)
	buffer_load_dword v22, off, s[0:3], 0 offset:272
	buffer_load_dword v23, off, s[0:3], 0 offset:276
	;; [unrolled: 1-line block ×64, first 2 shown]
	v_mov_b32_e32 v1, 0
	ds_read_b128 v[18:21], v1 offset:912
	ds_read_b128 v[14:17], v1 offset:928
	;; [unrolled: 1-line block ×5, first 2 shown]
	v_cmp_lt_u32_e32 vcc, 14, v254
	s_waitcnt vmcnt(60) lgkmcnt(4)
	v_mul_f64 v[86:87], v[18:19], v[26:27]
	v_fmac_f64_e32 v[86:87], v[20:21], v[22:23]
	v_add_f64 v[86:87], v[86:87], 0
	v_mul_f64 v[20:21], v[20:21], v[26:27]
	s_waitcnt vmcnt(56) lgkmcnt(3)
	v_mul_f64 v[88:89], v[14:15], v[28:29]
	v_fmac_f64_e32 v[88:89], v[16:17], v[24:25]
	s_waitcnt vmcnt(54) lgkmcnt(2)
	v_mul_f64 v[90:91], v[10:11], v[30:31]
	v_add_f64 v[86:87], v[86:87], v[88:89]
	v_fma_f64 v[18:19], v[18:19], v[22:23], -v[20:21]
	v_mul_f64 v[16:17], v[16:17], v[28:29]
	s_waitcnt vmcnt(50) lgkmcnt(1)
	v_mul_f64 v[102:103], v[6:7], v[40:41]
	v_add_f64 v[18:19], v[18:19], 0
	s_waitcnt vmcnt(48)
	v_fmac_f64_e32 v[90:91], v[12:13], v[44:45]
	v_add_f64 v[104:105], v[86:87], v[90:91]
	buffer_load_dword v87, off, s[0:3], 0 offset:540
	buffer_load_dword v86, off, s[0:3], 0 offset:536
	;; [unrolled: 1-line block ×40, first 2 shown]
	s_waitcnt vmcnt(62)
	v_fmac_f64_e32 v[102:103], v[8:9], v[42:43]
	v_add_f64 v[106:107], v[104:105], v[102:103]
	ds_read_b128 v[102:105], v1 offset:992
	s_waitcnt lgkmcnt(1)
	v_mul_f64 v[108:109], v[2:3], v[36:37]
	v_fmac_f64_e32 v[108:109], v[4:5], v[38:39]
	v_add_f64 v[110:111], v[106:107], v[108:109]
	ds_read_b128 v[106:109], v1 offset:1008
	s_waitcnt lgkmcnt(1)
	v_mul_f64 v[112:113], v[102:103], v[50:51]
	v_fmac_f64_e32 v[112:113], v[104:105], v[52:53]
	v_add_f64 v[114:115], v[110:111], v[112:113]
	ds_read_b128 v[110:113], v1 offset:1024
	s_waitcnt lgkmcnt(1)
	v_mul_f64 v[116:117], v[106:107], v[46:47]
	v_fmac_f64_e32 v[116:117], v[108:109], v[48:49]
	v_add_f64 v[120:121], v[114:115], v[116:117]
	ds_read_b128 v[114:117], v1 offset:1040
	s_waitcnt lgkmcnt(1)
	v_mul_f64 v[122:123], v[110:111], v[58:59]
	v_fmac_f64_e32 v[122:123], v[112:113], v[60:61]
	v_add_f64 v[124:125], v[120:121], v[122:123]
	ds_read_b128 v[120:123], v1 offset:1056
	s_waitcnt lgkmcnt(1)
	v_mul_f64 v[126:127], v[114:115], v[54:55]
	v_fmac_f64_e32 v[126:127], v[116:117], v[56:57]
	v_add_f64 v[128:129], v[124:125], v[126:127]
	ds_read_b128 v[124:127], v1 offset:1072
	s_waitcnt vmcnt(58) lgkmcnt(1)
	v_mul_f64 v[130:131], v[120:121], v[66:67]
	s_waitcnt vmcnt(56)
	v_fmac_f64_e32 v[130:131], v[122:123], v[68:69]
	v_add_f64 v[132:133], v[128:129], v[130:131]
	ds_read_b128 v[128:131], v1 offset:1088
	s_waitcnt lgkmcnt(1)
	v_mul_f64 v[134:135], v[124:125], v[62:63]
	v_fmac_f64_e32 v[134:135], v[126:127], v[64:65]
	v_add_f64 v[136:137], v[132:133], v[134:135]
	ds_read_b128 v[132:135], v1 offset:1104
	s_waitcnt vmcnt(50) lgkmcnt(1)
	v_mul_f64 v[138:139], v[128:129], v[74:75]
	s_waitcnt vmcnt(48)
	v_fmac_f64_e32 v[138:139], v[130:131], v[76:77]
	v_add_f64 v[140:141], v[136:137], v[138:139]
	ds_read_b128 v[136:139], v1 offset:1120
	v_fma_f64 v[14:15], v[14:15], v[24:25], -v[16:17]
	v_mul_f64 v[12:13], v[12:13], v[30:31]
	v_add_f64 v[14:15], v[18:19], v[14:15]
	v_fma_f64 v[10:11], v[10:11], v[44:45], -v[12:13]
	v_mul_f64 v[8:9], v[8:9], v[40:41]
	s_waitcnt lgkmcnt(1)
	v_mul_f64 v[142:143], v[132:133], v[70:71]
	v_add_f64 v[10:11], v[14:15], v[10:11]
	v_fma_f64 v[6:7], v[6:7], v[42:43], -v[8:9]
	v_mul_f64 v[4:5], v[4:5], v[36:37]
	v_fmac_f64_e32 v[142:143], v[134:135], v[72:73]
	v_add_f64 v[6:7], v[10:11], v[6:7]
	v_fma_f64 v[2:3], v[2:3], v[38:39], -v[4:5]
	v_mul_f64 v[4:5], v[104:105], v[50:51]
	v_add_f64 v[144:145], v[140:141], v[142:143]
	ds_read_b128 v[140:143], v1 offset:1136
	s_waitcnt vmcnt(42) lgkmcnt(1)
	v_mul_f64 v[146:147], v[136:137], v[82:83]
	v_add_f64 v[2:3], v[6:7], v[2:3]
	v_fma_f64 v[4:5], v[102:103], v[52:53], -v[4:5]
	s_waitcnt vmcnt(40)
	v_fmac_f64_e32 v[146:147], v[138:139], v[84:85]
	v_add_f64 v[2:3], v[2:3], v[4:5]
	v_mul_f64 v[4:5], v[108:109], v[46:47]
	v_add_f64 v[148:149], v[144:145], v[146:147]
	ds_read_b128 v[144:147], v1 offset:1152
	v_fma_f64 v[4:5], v[106:107], v[48:49], -v[4:5]
	v_add_f64 v[2:3], v[2:3], v[4:5]
	v_mul_f64 v[4:5], v[112:113], v[58:59]
	v_fma_f64 v[4:5], v[110:111], v[60:61], -v[4:5]
	s_waitcnt lgkmcnt(1)
	v_mul_f64 v[150:151], v[140:141], v[78:79]
	v_add_f64 v[2:3], v[2:3], v[4:5]
	v_mul_f64 v[4:5], v[116:117], v[54:55]
	v_fmac_f64_e32 v[150:151], v[142:143], v[80:81]
	v_fma_f64 v[4:5], v[114:115], v[56:57], -v[4:5]
	v_add_f64 v[152:153], v[148:149], v[150:151]
	ds_read_b128 v[148:151], v1 offset:1168
	s_waitcnt vmcnt(34) lgkmcnt(1)
	v_mul_f64 v[154:155], v[144:145], v[90:91]
	v_add_f64 v[2:3], v[2:3], v[4:5]
	v_mul_f64 v[4:5], v[122:123], v[66:67]
	s_waitcnt vmcnt(32)
	v_fmac_f64_e32 v[154:155], v[146:147], v[92:93]
	v_fma_f64 v[4:5], v[120:121], v[68:69], -v[4:5]
	v_add_f64 v[156:157], v[152:153], v[154:155]
	ds_read_b128 v[152:155], v1 offset:1184
	v_add_f64 v[2:3], v[2:3], v[4:5]
	v_mul_f64 v[4:5], v[126:127], v[62:63]
	v_fma_f64 v[4:5], v[124:125], v[64:65], -v[4:5]
	v_add_f64 v[2:3], v[2:3], v[4:5]
	v_mul_f64 v[4:5], v[130:131], v[74:75]
	s_waitcnt lgkmcnt(1)
	v_mul_f64 v[158:159], v[148:149], v[86:87]
	v_fma_f64 v[4:5], v[128:129], v[76:77], -v[4:5]
	v_fmac_f64_e32 v[158:159], v[150:151], v[88:89]
	v_add_f64 v[2:3], v[2:3], v[4:5]
	v_mul_f64 v[4:5], v[134:135], v[70:71]
	v_add_f64 v[160:161], v[156:157], v[158:159]
	ds_read_b128 v[156:159], v1 offset:1200
	s_waitcnt vmcnt(26) lgkmcnt(1)
	v_mul_f64 v[162:163], v[152:153], v[98:99]
	v_fma_f64 v[4:5], v[132:133], v[72:73], -v[4:5]
	s_waitcnt vmcnt(24)
	v_fmac_f64_e32 v[162:163], v[154:155], v[100:101]
	v_add_f64 v[2:3], v[2:3], v[4:5]
	v_mul_f64 v[4:5], v[138:139], v[82:83]
	v_add_f64 v[164:165], v[160:161], v[162:163]
	ds_read_b128 v[160:163], v1 offset:1216
	v_fma_f64 v[4:5], v[136:137], v[84:85], -v[4:5]
	v_add_f64 v[2:3], v[2:3], v[4:5]
	v_mul_f64 v[4:5], v[142:143], v[78:79]
	v_fma_f64 v[4:5], v[140:141], v[80:81], -v[4:5]
	s_waitcnt lgkmcnt(1)
	v_mul_f64 v[166:167], v[156:157], v[94:95]
	v_add_f64 v[2:3], v[2:3], v[4:5]
	v_mul_f64 v[4:5], v[146:147], v[90:91]
	v_fmac_f64_e32 v[166:167], v[158:159], v[96:97]
	v_fma_f64 v[4:5], v[144:145], v[92:93], -v[4:5]
	v_add_f64 v[168:169], v[164:165], v[166:167]
	ds_read_b128 v[164:167], v1 offset:1232
	s_waitcnt vmcnt(18) lgkmcnt(1)
	v_mul_f64 v[170:171], v[160:161], v[186:187]
	v_add_f64 v[2:3], v[2:3], v[4:5]
	v_mul_f64 v[4:5], v[150:151], v[86:87]
	s_waitcnt vmcnt(16)
	v_fmac_f64_e32 v[170:171], v[162:163], v[188:189]
	v_fma_f64 v[4:5], v[148:149], v[88:89], -v[4:5]
	v_add_f64 v[172:173], v[168:169], v[170:171]
	ds_read_b128 v[168:171], v1 offset:1248
	v_add_f64 v[2:3], v[2:3], v[4:5]
	v_mul_f64 v[4:5], v[154:155], v[98:99]
	v_fma_f64 v[4:5], v[152:153], v[100:101], -v[4:5]
	v_add_f64 v[2:3], v[2:3], v[4:5]
	v_mul_f64 v[4:5], v[158:159], v[94:95]
	s_waitcnt lgkmcnt(1)
	v_mul_f64 v[174:175], v[164:165], v[118:119]
	v_fma_f64 v[4:5], v[156:157], v[96:97], -v[4:5]
	v_fmac_f64_e32 v[174:175], v[166:167], v[184:185]
	v_add_f64 v[2:3], v[2:3], v[4:5]
	v_mul_f64 v[4:5], v[162:163], v[186:187]
	v_add_f64 v[176:177], v[172:173], v[174:175]
	ds_read_b128 v[172:175], v1 offset:1264
	s_waitcnt vmcnt(10) lgkmcnt(1)
	v_mul_f64 v[178:179], v[168:169], v[194:195]
	v_fma_f64 v[4:5], v[160:161], v[188:189], -v[4:5]
	s_waitcnt vmcnt(8)
	v_fmac_f64_e32 v[178:179], v[170:171], v[196:197]
	v_add_f64 v[2:3], v[2:3], v[4:5]
	v_mul_f64 v[4:5], v[166:167], v[118:119]
	v_add_f64 v[206:207], v[176:177], v[178:179]
	ds_read_b128 v[176:179], v1 offset:1280
	ds_read_b128 v[180:183], v1 offset:1296
	v_fma_f64 v[4:5], v[164:165], v[184:185], -v[4:5]
	v_add_f64 v[2:3], v[2:3], v[4:5]
	v_mul_f64 v[4:5], v[170:171], v[194:195]
	v_fma_f64 v[4:5], v[168:169], v[196:197], -v[4:5]
	v_add_f64 v[2:3], v[2:3], v[4:5]
	s_waitcnt lgkmcnt(2)
	v_mul_f64 v[4:5], v[174:175], v[190:191]
	v_mul_f64 v[208:209], v[172:173], v[190:191]
	v_fma_f64 v[4:5], v[172:173], v[192:193], -v[4:5]
	v_fmac_f64_e32 v[208:209], v[174:175], v[192:193]
	v_add_f64 v[2:3], v[2:3], v[4:5]
	s_waitcnt vmcnt(2) lgkmcnt(1)
	v_mul_f64 v[4:5], v[178:179], v[202:203]
	v_add_f64 v[206:207], v[206:207], v[208:209]
	v_mul_f64 v[208:209], v[176:177], v[202:203]
	s_waitcnt vmcnt(0)
	v_fma_f64 v[4:5], v[176:177], v[204:205], -v[4:5]
	v_fmac_f64_e32 v[208:209], v[178:179], v[204:205]
	v_add_f64 v[2:3], v[2:3], v[4:5]
	s_waitcnt lgkmcnt(0)
	v_mul_f64 v[4:5], v[182:183], v[198:199]
	v_add_f64 v[206:207], v[206:207], v[208:209]
	v_mul_f64 v[208:209], v[180:181], v[198:199]
	v_fma_f64 v[4:5], v[180:181], v[200:201], -v[4:5]
	v_fmac_f64_e32 v[208:209], v[182:183], v[200:201]
	v_add_f64 v[2:3], v[2:3], v[4:5]
	v_add_f64 v[206:207], v[206:207], v[208:209]
	v_add_f64 v[2:3], v[34:35], -v[2:3]
	v_add_f64 v[4:5], v[32:33], -v[206:207]
	buffer_store_dword v3, off, s[0:3], 0 offset:260
	buffer_store_dword v2, off, s[0:3], 0 offset:256
	;; [unrolled: 1-line block ×4, first 2 shown]
	s_and_saveexec_b64 s[4:5], vcc
	s_cbranch_execz .LBB40_231
; %bb.230:
	v_accvgpr_read_b32 v0, a108
	buffer_load_dword v2, v0, s[0:3], 0 offen
	buffer_load_dword v3, v0, s[0:3], 0 offen offset:4
	buffer_load_dword v4, v0, s[0:3], 0 offen offset:8
	;; [unrolled: 1-line block ×3, first 2 shown]
	v_accvgpr_read_b32 v0, a123
	buffer_store_dword v1, off, s[0:3], 0 offset:240
	buffer_store_dword v1, off, s[0:3], 0 offset:244
	;; [unrolled: 1-line block ×4, first 2 shown]
	s_waitcnt vmcnt(4)
	ds_write_b128 v0, v[2:5]
.LBB40_231:
	s_or_b64 exec, exec, s[4:5]
	s_waitcnt lgkmcnt(0)
	; wave barrier
	s_waitcnt lgkmcnt(0)
	buffer_load_dword v26, off, s[0:3], 0 offset:256
	buffer_load_dword v27, off, s[0:3], 0 offset:260
	buffer_load_dword v28, off, s[0:3], 0 offset:264
	buffer_load_dword v29, off, s[0:3], 0 offset:268
	buffer_load_dword v30, off, s[0:3], 0 offset:280
	buffer_load_dword v31, off, s[0:3], 0 offset:284
	buffer_load_dword v32, off, s[0:3], 0 offset:296
	buffer_load_dword v33, off, s[0:3], 0 offset:300
	buffer_load_dword v39, off, s[0:3], 0 offset:332
	buffer_load_dword v38, off, s[0:3], 0 offset:328
	buffer_load_dword v41, off, s[0:3], 0 offset:324
	buffer_load_dword v43, off, s[0:3], 0 offset:316
	buffer_load_dword v42, off, s[0:3], 0 offset:312
	buffer_load_dword v48, off, s[0:3], 0 offset:272
	buffer_load_dword v49, off, s[0:3], 0 offset:276
	buffer_load_dword v46, off, s[0:3], 0 offset:288
	buffer_load_dword v47, off, s[0:3], 0 offset:292
	buffer_load_dword v45, off, s[0:3], 0 offset:308
	buffer_load_dword v44, off, s[0:3], 0 offset:304
	buffer_load_dword v40, off, s[0:3], 0 offset:320
	buffer_load_dword v36, off, s[0:3], 0 offset:240
	buffer_load_dword v37, off, s[0:3], 0 offset:244
	buffer_load_dword v34, off, s[0:3], 0 offset:248
	buffer_load_dword v35, off, s[0:3], 0 offset:252
	ds_read_b128 v[22:25], v1 offset:896
	ds_read_b128 v[18:21], v1 offset:912
	;; [unrolled: 1-line block ×6, first 2 shown]
	buffer_load_dword v51, off, s[0:3], 0 offset:364
	buffer_load_dword v50, off, s[0:3], 0 offset:360
	buffer_load_dword v53, off, s[0:3], 0 offset:356
	buffer_load_dword v52, off, s[0:3], 0 offset:352
	buffer_load_dword v55, off, s[0:3], 0 offset:348
	buffer_load_dword v54, off, s[0:3], 0 offset:344
	buffer_load_dword v57, off, s[0:3], 0 offset:340
	buffer_load_dword v56, off, s[0:3], 0 offset:336
	buffer_load_dword v59, off, s[0:3], 0 offset:396
	buffer_load_dword v58, off, s[0:3], 0 offset:392
	buffer_load_dword v61, off, s[0:3], 0 offset:388
	buffer_load_dword v60, off, s[0:3], 0 offset:384
	buffer_load_dword v63, off, s[0:3], 0 offset:380
	buffer_load_dword v62, off, s[0:3], 0 offset:376
	buffer_load_dword v65, off, s[0:3], 0 offset:372
	buffer_load_dword v64, off, s[0:3], 0 offset:368
	buffer_load_dword v67, off, s[0:3], 0 offset:428
	buffer_load_dword v66, off, s[0:3], 0 offset:424
	buffer_load_dword v69, off, s[0:3], 0 offset:420
	buffer_load_dword v68, off, s[0:3], 0 offset:416
	buffer_load_dword v71, off, s[0:3], 0 offset:412
	buffer_load_dword v70, off, s[0:3], 0 offset:408
	buffer_load_dword v73, off, s[0:3], 0 offset:404
	buffer_load_dword v72, off, s[0:3], 0 offset:400
	buffer_load_dword v75, off, s[0:3], 0 offset:460
	buffer_load_dword v74, off, s[0:3], 0 offset:456
	buffer_load_dword v77, off, s[0:3], 0 offset:452
	buffer_load_dword v76, off, s[0:3], 0 offset:448
	buffer_load_dword v79, off, s[0:3], 0 offset:444
	buffer_load_dword v78, off, s[0:3], 0 offset:440
	buffer_load_dword v81, off, s[0:3], 0 offset:436
	buffer_load_dword v80, off, s[0:3], 0 offset:432
	buffer_load_dword v83, off, s[0:3], 0 offset:492
	buffer_load_dword v82, off, s[0:3], 0 offset:488
	buffer_load_dword v85, off, s[0:3], 0 offset:484
	buffer_load_dword v84, off, s[0:3], 0 offset:480
	buffer_load_dword v87, off, s[0:3], 0 offset:476
	buffer_load_dword v86, off, s[0:3], 0 offset:472
	buffer_load_dword v89, off, s[0:3], 0 offset:468
	buffer_load_dword v88, off, s[0:3], 0 offset:464
	v_cmp_lt_u32_e32 vcc, 13, v254
	s_waitcnt vmcnt(34) lgkmcnt(0)
	v_mul_f64 v[122:123], v[14:15], v[54:55]
	s_waitcnt vmcnt(32)
	v_fmac_f64_e32 v[122:123], v[16:17], v[56:57]
	v_mul_f64 v[90:91], v[22:23], v[28:29]
	v_fmac_f64_e32 v[90:91], v[24:25], v[26:27]
	v_mul_f64 v[92:93], v[18:19], v[30:31]
	v_add_f64 v[90:91], v[90:91], 0
	v_mul_f64 v[94:95], v[10:11], v[32:33]
	v_mul_f64 v[24:25], v[24:25], v[28:29]
	v_mul_f64 v[114:115], v[2:3], v[38:39]
	v_fma_f64 v[22:23], v[22:23], v[26:27], -v[24:25]
	v_add_f64 v[22:23], v[22:23], 0
	v_mul_f64 v[96:97], v[6:7], v[42:43]
	v_fmac_f64_e32 v[92:93], v[20:21], v[48:49]
	v_add_f64 v[90:91], v[90:91], v[92:93]
	v_fmac_f64_e32 v[94:95], v[12:13], v[46:47]
	v_add_f64 v[90:91], v[90:91], v[94:95]
	;; [unrolled: 2-line block ×3, first 2 shown]
	buffer_load_dword v91, off, s[0:3], 0 offset:524
	buffer_load_dword v90, off, s[0:3], 0 offset:520
	;; [unrolled: 1-line block ×40, first 2 shown]
	v_fmac_f64_e32 v[114:115], v[4:5], v[40:41]
	v_add_f64 v[120:121], v[116:117], v[114:115]
	ds_read_b128 v[114:117], v1 offset:992
	buffer_load_dword v211, off, s[0:3], 0 offset:668
	buffer_load_dword v210, off, s[0:3], 0 offset:664
	;; [unrolled: 1-line block ×4, first 2 shown]
	v_add_f64 v[124:125], v[120:121], v[122:123]
	ds_read_b128 v[120:123], v1 offset:1008
	v_mul_f64 v[20:21], v[20:21], v[30:31]
	s_waitcnt lgkmcnt(1)
	v_mul_f64 v[126:127], v[114:115], v[50:51]
	v_fmac_f64_e32 v[126:127], v[116:117], v[52:53]
	v_add_f64 v[128:129], v[124:125], v[126:127]
	ds_read_b128 v[124:127], v1 offset:1024
	s_waitcnt vmcnt(62) lgkmcnt(1)
	v_mul_f64 v[130:131], v[120:121], v[62:63]
	v_fmac_f64_e32 v[130:131], v[122:123], v[64:65]
	v_add_f64 v[132:133], v[128:129], v[130:131]
	ds_read_b128 v[128:131], v1 offset:1040
	s_waitcnt lgkmcnt(1)
	v_mul_f64 v[134:135], v[124:125], v[58:59]
	v_fmac_f64_e32 v[134:135], v[126:127], v[60:61]
	v_add_f64 v[136:137], v[132:133], v[134:135]
	ds_read_b128 v[132:135], v1 offset:1056
	s_waitcnt lgkmcnt(1)
	v_mul_f64 v[138:139], v[128:129], v[70:71]
	s_waitcnt vmcnt(60)
	v_fmac_f64_e32 v[138:139], v[130:131], v[72:73]
	v_add_f64 v[140:141], v[136:137], v[138:139]
	ds_read_b128 v[136:139], v1 offset:1072
	s_waitcnt lgkmcnt(1)
	v_mul_f64 v[142:143], v[132:133], v[66:67]
	v_fmac_f64_e32 v[142:143], v[134:135], v[68:69]
	v_add_f64 v[144:145], v[140:141], v[142:143]
	ds_read_b128 v[140:143], v1 offset:1088
	s_waitcnt vmcnt(54) lgkmcnt(1)
	v_mul_f64 v[146:147], v[136:137], v[78:79]
	s_waitcnt vmcnt(52)
	v_fmac_f64_e32 v[146:147], v[138:139], v[80:81]
	v_add_f64 v[148:149], v[144:145], v[146:147]
	ds_read_b128 v[144:147], v1 offset:1104
	s_waitcnt lgkmcnt(1)
	v_mul_f64 v[150:151], v[140:141], v[74:75]
	v_fmac_f64_e32 v[150:151], v[142:143], v[76:77]
	v_fma_f64 v[18:19], v[18:19], v[48:49], -v[20:21]
	v_mul_f64 v[12:13], v[12:13], v[32:33]
	v_add_f64 v[152:153], v[148:149], v[150:151]
	ds_read_b128 v[148:151], v1 offset:1120
	v_add_f64 v[18:19], v[22:23], v[18:19]
	v_fma_f64 v[10:11], v[10:11], v[46:47], -v[12:13]
	v_mul_f64 v[8:9], v[8:9], v[42:43]
	v_add_f64 v[10:11], v[18:19], v[10:11]
	v_fma_f64 v[6:7], v[6:7], v[44:45], -v[8:9]
	v_mul_f64 v[4:5], v[4:5], v[38:39]
	v_add_f64 v[6:7], v[10:11], v[6:7]
	v_fma_f64 v[2:3], v[2:3], v[40:41], -v[4:5]
	v_mul_f64 v[4:5], v[16:17], v[54:55]
	s_waitcnt vmcnt(46) lgkmcnt(1)
	v_mul_f64 v[154:155], v[144:145], v[86:87]
	v_add_f64 v[2:3], v[6:7], v[2:3]
	v_fma_f64 v[4:5], v[14:15], v[56:57], -v[4:5]
	s_waitcnt vmcnt(44)
	v_fmac_f64_e32 v[154:155], v[146:147], v[88:89]
	v_add_f64 v[2:3], v[2:3], v[4:5]
	v_mul_f64 v[4:5], v[116:117], v[50:51]
	v_add_f64 v[156:157], v[152:153], v[154:155]
	ds_read_b128 v[152:155], v1 offset:1136
	s_waitcnt lgkmcnt(1)
	v_mul_f64 v[158:159], v[148:149], v[82:83]
	v_fma_f64 v[4:5], v[114:115], v[52:53], -v[4:5]
	v_fmac_f64_e32 v[158:159], v[150:151], v[84:85]
	v_add_f64 v[2:3], v[2:3], v[4:5]
	v_mul_f64 v[4:5], v[122:123], v[62:63]
	v_add_f64 v[160:161], v[156:157], v[158:159]
	ds_read_b128 v[156:159], v1 offset:1152
	v_fma_f64 v[4:5], v[120:121], v[64:65], -v[4:5]
	v_add_f64 v[2:3], v[2:3], v[4:5]
	v_mul_f64 v[4:5], v[126:127], v[58:59]
	v_fma_f64 v[4:5], v[124:125], v[60:61], -v[4:5]
	s_waitcnt vmcnt(38) lgkmcnt(1)
	v_mul_f64 v[162:163], v[152:153], v[94:95]
	v_add_f64 v[2:3], v[2:3], v[4:5]
	v_mul_f64 v[4:5], v[130:131], v[70:71]
	s_waitcnt vmcnt(36)
	v_fmac_f64_e32 v[162:163], v[154:155], v[96:97]
	v_fma_f64 v[4:5], v[128:129], v[72:73], -v[4:5]
	v_add_f64 v[164:165], v[160:161], v[162:163]
	ds_read_b128 v[160:163], v1 offset:1168
	s_waitcnt lgkmcnt(1)
	v_mul_f64 v[166:167], v[156:157], v[90:91]
	v_add_f64 v[2:3], v[2:3], v[4:5]
	v_mul_f64 v[4:5], v[134:135], v[66:67]
	v_fmac_f64_e32 v[166:167], v[158:159], v[92:93]
	v_fma_f64 v[4:5], v[132:133], v[68:69], -v[4:5]
	v_add_f64 v[168:169], v[164:165], v[166:167]
	ds_read_b128 v[164:167], v1 offset:1184
	v_add_f64 v[2:3], v[2:3], v[4:5]
	v_mul_f64 v[4:5], v[138:139], v[78:79]
	v_fma_f64 v[4:5], v[136:137], v[80:81], -v[4:5]
	v_add_f64 v[2:3], v[2:3], v[4:5]
	v_mul_f64 v[4:5], v[142:143], v[74:75]
	s_waitcnt vmcnt(30) lgkmcnt(1)
	v_mul_f64 v[170:171], v[160:161], v[102:103]
	v_fma_f64 v[4:5], v[140:141], v[76:77], -v[4:5]
	s_waitcnt vmcnt(28)
	v_fmac_f64_e32 v[170:171], v[162:163], v[104:105]
	v_add_f64 v[2:3], v[2:3], v[4:5]
	v_mul_f64 v[4:5], v[146:147], v[86:87]
	v_add_f64 v[172:173], v[168:169], v[170:171]
	ds_read_b128 v[168:171], v1 offset:1200
	s_waitcnt lgkmcnt(1)
	v_mul_f64 v[174:175], v[164:165], v[98:99]
	v_fma_f64 v[4:5], v[144:145], v[88:89], -v[4:5]
	v_fmac_f64_e32 v[174:175], v[166:167], v[100:101]
	v_add_f64 v[2:3], v[2:3], v[4:5]
	v_mul_f64 v[4:5], v[150:151], v[82:83]
	v_add_f64 v[176:177], v[172:173], v[174:175]
	ds_read_b128 v[172:175], v1 offset:1216
	v_fma_f64 v[4:5], v[148:149], v[84:85], -v[4:5]
	v_add_f64 v[2:3], v[2:3], v[4:5]
	v_mul_f64 v[4:5], v[154:155], v[94:95]
	v_fma_f64 v[4:5], v[152:153], v[96:97], -v[4:5]
	s_waitcnt vmcnt(22) lgkmcnt(1)
	v_mul_f64 v[178:179], v[168:169], v[110:111]
	v_add_f64 v[2:3], v[2:3], v[4:5]
	v_mul_f64 v[4:5], v[158:159], v[90:91]
	s_waitcnt vmcnt(20)
	v_fmac_f64_e32 v[178:179], v[170:171], v[112:113]
	v_fma_f64 v[4:5], v[156:157], v[92:93], -v[4:5]
	v_add_f64 v[180:181], v[176:177], v[178:179]
	ds_read_b128 v[176:179], v1 offset:1232
	s_waitcnt lgkmcnt(1)
	v_mul_f64 v[182:183], v[172:173], v[106:107]
	v_add_f64 v[2:3], v[2:3], v[4:5]
	v_mul_f64 v[4:5], v[162:163], v[102:103]
	v_fmac_f64_e32 v[182:183], v[174:175], v[108:109]
	v_fma_f64 v[4:5], v[160:161], v[104:105], -v[4:5]
	v_add_f64 v[184:185], v[180:181], v[182:183]
	ds_read_b128 v[180:183], v1 offset:1248
	v_add_f64 v[2:3], v[2:3], v[4:5]
	v_mul_f64 v[4:5], v[166:167], v[98:99]
	v_fma_f64 v[4:5], v[164:165], v[100:101], -v[4:5]
	v_add_f64 v[2:3], v[2:3], v[4:5]
	v_mul_f64 v[4:5], v[170:171], v[110:111]
	s_waitcnt vmcnt(14) lgkmcnt(1)
	v_mul_f64 v[186:187], v[176:177], v[194:195]
	v_fma_f64 v[4:5], v[168:169], v[112:113], -v[4:5]
	s_waitcnt vmcnt(12)
	v_fmac_f64_e32 v[186:187], v[178:179], v[196:197]
	v_add_f64 v[2:3], v[2:3], v[4:5]
	v_mul_f64 v[4:5], v[174:175], v[106:107]
	v_add_f64 v[188:189], v[184:185], v[186:187]
	ds_read_b128 v[184:187], v1 offset:1264
	s_waitcnt lgkmcnt(1)
	v_mul_f64 v[190:191], v[180:181], v[118:119]
	v_fma_f64 v[4:5], v[172:173], v[108:109], -v[4:5]
	v_fmac_f64_e32 v[190:191], v[182:183], v[192:193]
	v_add_f64 v[2:3], v[2:3], v[4:5]
	v_mul_f64 v[4:5], v[178:179], v[194:195]
	v_add_f64 v[214:215], v[188:189], v[190:191]
	ds_read_b128 v[188:191], v1 offset:1280
	v_fma_f64 v[4:5], v[176:177], v[196:197], -v[4:5]
	v_add_f64 v[2:3], v[2:3], v[4:5]
	v_mul_f64 v[4:5], v[182:183], v[118:119]
	ds_read_b128 v[200:203], v1 offset:1296
	v_fma_f64 v[4:5], v[180:181], v[192:193], -v[4:5]
	v_add_f64 v[2:3], v[2:3], v[4:5]
	s_waitcnt vmcnt(6) lgkmcnt(2)
	v_mul_f64 v[4:5], v[186:187], v[206:207]
	v_mul_f64 v[216:217], v[184:185], v[206:207]
	s_waitcnt vmcnt(4)
	v_fma_f64 v[4:5], v[184:185], v[208:209], -v[4:5]
	v_fmac_f64_e32 v[216:217], v[186:187], v[208:209]
	v_add_f64 v[2:3], v[2:3], v[4:5]
	s_waitcnt lgkmcnt(1)
	v_mul_f64 v[4:5], v[190:191], v[198:199]
	v_add_f64 v[214:215], v[214:215], v[216:217]
	v_mul_f64 v[216:217], v[188:189], v[198:199]
	v_fma_f64 v[4:5], v[188:189], v[204:205], -v[4:5]
	v_fmac_f64_e32 v[216:217], v[190:191], v[204:205]
	v_add_f64 v[2:3], v[2:3], v[4:5]
	s_waitcnt vmcnt(2) lgkmcnt(0)
	v_mul_f64 v[4:5], v[202:203], v[210:211]
	v_add_f64 v[214:215], v[214:215], v[216:217]
	v_mul_f64 v[216:217], v[200:201], v[210:211]
	s_waitcnt vmcnt(0)
	v_fma_f64 v[4:5], v[200:201], v[212:213], -v[4:5]
	v_fmac_f64_e32 v[216:217], v[202:203], v[212:213]
	v_add_f64 v[2:3], v[2:3], v[4:5]
	v_add_f64 v[214:215], v[214:215], v[216:217]
	v_add_f64 v[2:3], v[36:37], -v[2:3]
	v_add_f64 v[4:5], v[34:35], -v[214:215]
	buffer_store_dword v3, off, s[0:3], 0 offset:244
	buffer_store_dword v2, off, s[0:3], 0 offset:240
	;; [unrolled: 1-line block ×4, first 2 shown]
	s_and_saveexec_b64 s[4:5], vcc
	s_cbranch_execz .LBB40_233
; %bb.232:
	v_accvgpr_read_b32 v0, a109
	buffer_load_dword v2, v0, s[0:3], 0 offen
	buffer_load_dword v3, v0, s[0:3], 0 offen offset:4
	buffer_load_dword v4, v0, s[0:3], 0 offen offset:8
	;; [unrolled: 1-line block ×3, first 2 shown]
	v_mov_b32_e32 v0, 0
	v_accvgpr_read_b32 v1, a123
	buffer_store_dword v0, off, s[0:3], 0 offset:224
	buffer_store_dword v0, off, s[0:3], 0 offset:228
	;; [unrolled: 1-line block ×4, first 2 shown]
	s_waitcnt vmcnt(4)
	ds_write_b128 v1, v[2:5]
.LBB40_233:
	s_or_b64 exec, exec, s[4:5]
	s_waitcnt lgkmcnt(0)
	; wave barrier
	s_waitcnt lgkmcnt(0)
	buffer_load_dword v30, off, s[0:3], 0 offset:240
	buffer_load_dword v31, off, s[0:3], 0 offset:244
	;; [unrolled: 1-line block ×56, first 2 shown]
	v_mov_b32_e32 v1, 0
	ds_read_b128 v[26:29], v1 offset:880
	ds_read_b128 v[22:25], v1 offset:896
	;; [unrolled: 1-line block ×7, first 2 shown]
	v_cmp_lt_u32_e32 vcc, 12, v254
	s_waitcnt vmcnt(52) lgkmcnt(6)
	v_mul_f64 v[86:87], v[26:27], v[34:35]
	v_fmac_f64_e32 v[86:87], v[28:29], v[30:31]
	v_add_f64 v[86:87], v[86:87], 0
	v_mul_f64 v[28:29], v[28:29], v[34:35]
	s_waitcnt vmcnt(48) lgkmcnt(5)
	v_mul_f64 v[88:89], v[22:23], v[36:37]
	v_fmac_f64_e32 v[88:89], v[24:25], v[32:33]
	s_waitcnt vmcnt(46) lgkmcnt(4)
	v_mul_f64 v[90:91], v[18:19], v[38:39]
	v_add_f64 v[86:87], v[86:87], v[88:89]
	s_waitcnt vmcnt(44) lgkmcnt(2)
	v_mul_f64 v[94:95], v[10:11], v[40:41]
	v_fma_f64 v[26:27], v[26:27], v[30:31], -v[28:29]
	s_waitcnt vmcnt(42)
	v_fmac_f64_e32 v[94:95], v[12:13], v[42:43]
	v_mul_f64 v[24:25], v[24:25], v[36:37]
	s_waitcnt vmcnt(40)
	v_mul_f64 v[92:93], v[14:15], v[48:49]
	v_add_f64 v[26:27], v[26:27], 0
	v_fma_f64 v[22:23], v[22:23], v[32:33], -v[24:25]
	v_add_f64 v[22:23], v[26:27], v[22:23]
	s_waitcnt vmcnt(36) lgkmcnt(1)
	v_mul_f64 v[110:111], v[6:7], v[54:55]
	v_mul_f64 v[12:13], v[12:13], v[40:41]
	s_waitcnt vmcnt(34)
	v_fmac_f64_e32 v[90:91], v[20:21], v[60:61]
	v_add_f64 v[86:87], v[86:87], v[90:91]
	s_waitcnt vmcnt(32)
	v_fmac_f64_e32 v[92:93], v[16:17], v[58:59]
	v_add_f64 v[86:87], v[86:87], v[92:93]
	v_add_f64 v[116:117], v[86:87], v[94:95]
	buffer_load_dword v87, off, s[0:3], 0 offset:476
	buffer_load_dword v86, off, s[0:3], 0 offset:472
	;; [unrolled: 1-line block ×56, first 2 shown]
	ds_read_b128 v[126:129], v1 offset:992
	ds_read_b128 v[130:133], v1 offset:1008
	v_mul_f64 v[20:21], v[20:21], v[38:39]
	v_fma_f64 v[18:19], v[18:19], v[60:61], -v[20:21]
	v_mul_f64 v[16:17], v[16:17], v[48:49]
	s_waitcnt vmcnt(62)
	v_fmac_f64_e32 v[110:111], v[8:9], v[56:57]
	v_add_f64 v[18:19], v[22:23], v[18:19]
	v_fma_f64 v[14:15], v[14:15], v[58:59], -v[16:17]
	v_add_f64 v[110:111], v[116:117], v[110:111]
	s_waitcnt lgkmcnt(2)
	v_mul_f64 v[116:117], v[2:3], v[50:51]
	v_add_f64 v[14:15], v[18:19], v[14:15]
	v_fma_f64 v[10:11], v[10:11], v[42:43], -v[12:13]
	v_mul_f64 v[8:9], v[8:9], v[54:55]
	v_fmac_f64_e32 v[116:117], v[4:5], v[52:53]
	ds_read_b128 v[134:137], v1 offset:1024
	ds_read_b128 v[138:141], v1 offset:1040
	v_add_f64 v[10:11], v[14:15], v[10:11]
	v_fma_f64 v[6:7], v[6:7], v[56:57], -v[8:9]
	v_mul_f64 v[4:5], v[4:5], v[50:51]
	v_add_f64 v[6:7], v[10:11], v[6:7]
	v_fma_f64 v[2:3], v[2:3], v[52:53], -v[4:5]
	s_waitcnt lgkmcnt(3)
	v_mul_f64 v[4:5], v[128:129], v[66:67]
	v_add_f64 v[110:111], v[110:111], v[116:117]
	v_mul_f64 v[116:117], v[126:127], v[66:67]
	v_add_f64 v[2:3], v[6:7], v[2:3]
	v_fma_f64 v[4:5], v[126:127], v[68:69], -v[4:5]
	v_fmac_f64_e32 v[116:117], v[128:129], v[68:69]
	v_add_f64 v[2:3], v[2:3], v[4:5]
	s_waitcnt lgkmcnt(2)
	v_mul_f64 v[4:5], v[132:133], v[62:63]
	v_add_f64 v[110:111], v[110:111], v[116:117]
	v_mul_f64 v[116:117], v[130:131], v[62:63]
	ds_read_b128 v[142:145], v1 offset:1056
	ds_read_b128 v[146:149], v1 offset:1072
	v_fma_f64 v[4:5], v[130:131], v[64:65], -v[4:5]
	v_fmac_f64_e32 v[116:117], v[132:133], v[64:65]
	v_add_f64 v[2:3], v[2:3], v[4:5]
	s_waitcnt lgkmcnt(3)
	v_mul_f64 v[4:5], v[136:137], v[74:75]
	v_add_f64 v[110:111], v[110:111], v[116:117]
	v_mul_f64 v[116:117], v[134:135], v[74:75]
	v_fma_f64 v[4:5], v[134:135], v[76:77], -v[4:5]
	v_fmac_f64_e32 v[116:117], v[136:137], v[76:77]
	v_add_f64 v[2:3], v[2:3], v[4:5]
	s_waitcnt lgkmcnt(2)
	v_mul_f64 v[4:5], v[140:141], v[70:71]
	v_add_f64 v[110:111], v[110:111], v[116:117]
	v_mul_f64 v[116:117], v[138:139], v[70:71]
	ds_read_b128 v[150:153], v1 offset:1088
	ds_read_b128 v[154:157], v1 offset:1104
	v_fma_f64 v[4:5], v[138:139], v[72:73], -v[4:5]
	v_fmac_f64_e32 v[116:117], v[140:141], v[72:73]
	v_add_f64 v[2:3], v[2:3], v[4:5]
	s_waitcnt vmcnt(58) lgkmcnt(3)
	v_mul_f64 v[4:5], v[144:145], v[82:83]
	v_add_f64 v[110:111], v[110:111], v[116:117]
	v_mul_f64 v[116:117], v[142:143], v[82:83]
	s_waitcnt vmcnt(56)
	v_fma_f64 v[4:5], v[142:143], v[84:85], -v[4:5]
	v_fmac_f64_e32 v[116:117], v[144:145], v[84:85]
	v_add_f64 v[2:3], v[2:3], v[4:5]
	s_waitcnt lgkmcnt(2)
	v_mul_f64 v[4:5], v[148:149], v[78:79]
	v_add_f64 v[110:111], v[110:111], v[116:117]
	v_mul_f64 v[116:117], v[146:147], v[78:79]
	ds_read_b128 v[158:161], v1 offset:1120
	ds_read_b128 v[162:165], v1 offset:1136
	v_fma_f64 v[4:5], v[146:147], v[80:81], -v[4:5]
	v_fmac_f64_e32 v[116:117], v[148:149], v[80:81]
	v_add_f64 v[2:3], v[2:3], v[4:5]
	s_waitcnt vmcnt(50) lgkmcnt(3)
	v_mul_f64 v[4:5], v[152:153], v[90:91]
	v_add_f64 v[110:111], v[110:111], v[116:117]
	v_mul_f64 v[116:117], v[150:151], v[90:91]
	s_waitcnt vmcnt(48)
	;; [unrolled: 17-line block ×7, first 2 shown]
	v_fma_f64 v[4:5], v[200:201], v[216:217], -v[4:5]
	v_fmac_f64_e32 v[116:117], v[202:203], v[216:217]
	v_add_f64 v[2:3], v[2:3], v[4:5]
	s_waitcnt lgkmcnt(2)
	v_mul_f64 v[4:5], v[206:207], v[194:195]
	v_add_f64 v[110:111], v[110:111], v[116:117]
	v_mul_f64 v[116:117], v[204:205], v[194:195]
	v_fma_f64 v[4:5], v[204:205], v[196:197], -v[4:5]
	v_fmac_f64_e32 v[116:117], v[206:207], v[196:197]
	v_add_f64 v[2:3], v[2:3], v[4:5]
	s_waitcnt vmcnt(2) lgkmcnt(1)
	v_mul_f64 v[4:5], v[210:211], v[222:223]
	v_add_f64 v[110:111], v[110:111], v[116:117]
	v_mul_f64 v[116:117], v[208:209], v[222:223]
	s_waitcnt vmcnt(0)
	v_fma_f64 v[4:5], v[208:209], v[224:225], -v[4:5]
	v_fmac_f64_e32 v[116:117], v[210:211], v[224:225]
	v_add_f64 v[2:3], v[2:3], v[4:5]
	s_waitcnt lgkmcnt(0)
	v_mul_f64 v[4:5], v[214:215], v[218:219]
	v_add_f64 v[110:111], v[110:111], v[116:117]
	v_mul_f64 v[116:117], v[212:213], v[218:219]
	v_fma_f64 v[4:5], v[212:213], v[220:221], -v[4:5]
	v_fmac_f64_e32 v[116:117], v[214:215], v[220:221]
	v_add_f64 v[2:3], v[2:3], v[4:5]
	v_add_f64 v[110:111], v[110:111], v[116:117]
	v_add_f64 v[2:3], v[46:47], -v[2:3]
	v_add_f64 v[4:5], v[44:45], -v[110:111]
	buffer_store_dword v3, off, s[0:3], 0 offset:228
	buffer_store_dword v2, off, s[0:3], 0 offset:224
	buffer_store_dword v5, off, s[0:3], 0 offset:236
	buffer_store_dword v4, off, s[0:3], 0 offset:232
	s_and_saveexec_b64 s[4:5], vcc
	s_cbranch_execz .LBB40_235
; %bb.234:
	v_accvgpr_read_b32 v0, a110
	buffer_load_dword v2, v0, s[0:3], 0 offen
	buffer_load_dword v3, v0, s[0:3], 0 offen offset:4
	buffer_load_dword v4, v0, s[0:3], 0 offen offset:8
	;; [unrolled: 1-line block ×3, first 2 shown]
	v_accvgpr_read_b32 v0, a123
	buffer_store_dword v1, off, s[0:3], 0 offset:208
	buffer_store_dword v1, off, s[0:3], 0 offset:212
	;; [unrolled: 1-line block ×4, first 2 shown]
	s_waitcnt vmcnt(4)
	ds_write_b128 v0, v[2:5]
.LBB40_235:
	s_or_b64 exec, exec, s[4:5]
	s_waitcnt lgkmcnt(0)
	; wave barrier
	s_waitcnt lgkmcnt(0)
	buffer_load_dword v34, off, s[0:3], 0 offset:224
	buffer_load_dword v35, off, s[0:3], 0 offset:228
	buffer_load_dword v38, off, s[0:3], 0 offset:232
	buffer_load_dword v39, off, s[0:3], 0 offset:236
	buffer_load_dword v36, off, s[0:3], 0 offset:240
	buffer_load_dword v37, off, s[0:3], 0 offset:244
	buffer_load_dword v40, off, s[0:3], 0 offset:248
	buffer_load_dword v41, off, s[0:3], 0 offset:252
	buffer_load_dword v42, off, s[0:3], 0 offset:264
	buffer_load_dword v43, off, s[0:3], 0 offset:268
	buffer_load_dword v49, off, s[0:3], 0 offset:284
	buffer_load_dword v48, off, s[0:3], 0 offset:280
	buffer_load_dword v51, off, s[0:3], 0 offset:332
	buffer_load_dword v50, off, s[0:3], 0 offset:328
	buffer_load_dword v53, off, s[0:3], 0 offset:324
	buffer_load_dword v55, off, s[0:3], 0 offset:316
	buffer_load_dword v54, off, s[0:3], 0 offset:312
	buffer_load_dword v57, off, s[0:3], 0 offset:300
	buffer_load_dword v56, off, s[0:3], 0 offset:296
	buffer_load_dword v59, off, s[0:3], 0 offset:292
	buffer_load_dword v58, off, s[0:3], 0 offset:288
	buffer_load_dword v64, off, s[0:3], 0 offset:256
	buffer_load_dword v65, off, s[0:3], 0 offset:260
	buffer_load_dword v63, off, s[0:3], 0 offset:276
	buffer_load_dword v62, off, s[0:3], 0 offset:272
	buffer_load_dword v61, off, s[0:3], 0 offset:308
	buffer_load_dword v60, off, s[0:3], 0 offset:304
	buffer_load_dword v52, off, s[0:3], 0 offset:320
	buffer_load_dword v46, off, s[0:3], 0 offset:208
	buffer_load_dword v47, off, s[0:3], 0 offset:212
	buffer_load_dword v44, off, s[0:3], 0 offset:216
	buffer_load_dword v45, off, s[0:3], 0 offset:220
	ds_read_b128 v[30:33], v1 offset:864
	ds_read_b128 v[26:29], v1 offset:880
	;; [unrolled: 1-line block ×8, first 2 shown]
	buffer_load_dword v67, off, s[0:3], 0 offset:364
	buffer_load_dword v66, off, s[0:3], 0 offset:360
	;; [unrolled: 1-line block ×24, first 2 shown]
	v_cmp_lt_u32_e32 vcc, 11, v254
	s_waitcnt vmcnt(52) lgkmcnt(7)
	v_mul_f64 v[90:91], v[30:31], v[38:39]
	v_fmac_f64_e32 v[90:91], v[32:33], v[34:35]
	v_add_f64 v[90:91], v[90:91], 0
	v_mul_f64 v[32:33], v[32:33], v[38:39]
	s_waitcnt vmcnt(48) lgkmcnt(6)
	v_mul_f64 v[92:93], v[26:27], v[40:41]
	v_fmac_f64_e32 v[92:93], v[28:29], v[36:37]
	s_waitcnt vmcnt(46) lgkmcnt(5)
	v_mul_f64 v[94:95], v[22:23], v[42:43]
	v_add_f64 v[90:91], v[90:91], v[92:93]
	s_waitcnt vmcnt(44) lgkmcnt(4)
	v_mul_f64 v[96:97], v[18:19], v[48:49]
	v_fma_f64 v[30:31], v[30:31], v[34:35], -v[32:33]
	s_waitcnt vmcnt(42) lgkmcnt(1)
	v_mul_f64 v[124:125], v[2:3], v[50:51]
	v_mul_f64 v[28:29], v[28:29], v[40:41]
	s_waitcnt vmcnt(18) lgkmcnt(0)
	v_mul_f64 v[138:139], v[14:15], v[70:71]
	v_mul_f64 v[100:101], v[6:7], v[54:55]
	s_waitcnt vmcnt(16)
	v_fmac_f64_e32 v[138:139], v[16:17], v[72:73]
	v_mul_f64 v[98:99], v[10:11], v[56:57]
	v_add_f64 v[30:31], v[30:31], 0
	v_fmac_f64_e32 v[98:99], v[12:13], v[58:59]
	v_fma_f64 v[26:27], v[26:27], v[36:37], -v[28:29]
	v_fmac_f64_e32 v[94:95], v[24:25], v[64:65]
	v_add_f64 v[90:91], v[90:91], v[94:95]
	v_fmac_f64_e32 v[96:97], v[20:21], v[62:63]
	v_add_f64 v[90:91], v[90:91], v[96:97]
	;; [unrolled: 2-line block ×3, first 2 shown]
	v_add_f64 v[126:127], v[90:91], v[100:101]
	buffer_load_dword v91, off, s[0:3], 0 offset:460
	buffer_load_dword v90, off, s[0:3], 0 offset:456
	;; [unrolled: 1-line block ×56, first 2 shown]
	v_fmac_f64_e32 v[124:125], v[4:5], v[52:53]
	v_add_f64 v[136:137], v[126:127], v[124:125]
	ds_read_b128 v[124:127], v1 offset:992
	buffer_load_dword v227, off, s[0:3], 0 offset:668
	buffer_load_dword v226, off, s[0:3], 0 offset:664
	;; [unrolled: 1-line block ×4, first 2 shown]
	v_add_f64 v[140:141], v[136:137], v[138:139]
	ds_read_b128 v[136:139], v1 offset:1008
	v_mul_f64 v[24:25], v[24:25], v[42:43]
	s_waitcnt lgkmcnt(1)
	v_mul_f64 v[142:143], v[124:125], v[66:67]
	v_fmac_f64_e32 v[142:143], v[126:127], v[68:69]
	v_add_f64 v[144:145], v[140:141], v[142:143]
	ds_read_b128 v[140:143], v1 offset:1024
	s_waitcnt vmcnt(62) lgkmcnt(1)
	v_mul_f64 v[146:147], v[136:137], v[78:79]
	v_fmac_f64_e32 v[146:147], v[138:139], v[80:81]
	v_add_f64 v[148:149], v[144:145], v[146:147]
	ds_read_b128 v[144:147], v1 offset:1040
	s_waitcnt lgkmcnt(1)
	v_mul_f64 v[150:151], v[140:141], v[74:75]
	v_fmac_f64_e32 v[150:151], v[142:143], v[76:77]
	v_add_f64 v[152:153], v[148:149], v[150:151]
	ds_read_b128 v[148:151], v1 offset:1056
	s_waitcnt lgkmcnt(1)
	v_mul_f64 v[154:155], v[144:145], v[86:87]
	s_waitcnt vmcnt(60)
	v_fmac_f64_e32 v[154:155], v[146:147], v[88:89]
	v_add_f64 v[156:157], v[152:153], v[154:155]
	ds_read_b128 v[152:155], v1 offset:1072
	s_waitcnt lgkmcnt(1)
	v_mul_f64 v[158:159], v[148:149], v[82:83]
	v_fmac_f64_e32 v[158:159], v[150:151], v[84:85]
	v_add_f64 v[160:161], v[156:157], v[158:159]
	ds_read_b128 v[156:159], v1 offset:1088
	v_add_f64 v[26:27], v[30:31], v[26:27]
	v_fma_f64 v[22:23], v[22:23], v[64:65], -v[24:25]
	s_waitcnt vmcnt(54) lgkmcnt(1)
	v_mul_f64 v[162:163], v[152:153], v[94:95]
	v_mul_f64 v[20:21], v[20:21], v[48:49]
	s_waitcnt vmcnt(52)
	v_fmac_f64_e32 v[162:163], v[154:155], v[96:97]
	v_add_f64 v[164:165], v[160:161], v[162:163]
	ds_read_b128 v[160:163], v1 offset:1104
	s_waitcnt lgkmcnt(1)
	v_mul_f64 v[166:167], v[156:157], v[90:91]
	v_fmac_f64_e32 v[166:167], v[158:159], v[92:93]
	v_add_f64 v[22:23], v[26:27], v[22:23]
	v_fma_f64 v[18:19], v[18:19], v[62:63], -v[20:21]
	v_mul_f64 v[12:13], v[12:13], v[56:57]
	v_add_f64 v[168:169], v[164:165], v[166:167]
	ds_read_b128 v[164:167], v1 offset:1120
	v_add_f64 v[18:19], v[22:23], v[18:19]
	v_fma_f64 v[10:11], v[10:11], v[58:59], -v[12:13]
	v_mul_f64 v[8:9], v[8:9], v[54:55]
	v_add_f64 v[10:11], v[18:19], v[10:11]
	v_fma_f64 v[6:7], v[6:7], v[60:61], -v[8:9]
	v_mul_f64 v[4:5], v[4:5], v[50:51]
	;; [unrolled: 3-line block ×3, first 2 shown]
	s_waitcnt vmcnt(46) lgkmcnt(1)
	v_mul_f64 v[170:171], v[160:161], v[102:103]
	v_add_f64 v[2:3], v[6:7], v[2:3]
	v_fma_f64 v[4:5], v[14:15], v[72:73], -v[4:5]
	s_waitcnt vmcnt(44)
	v_fmac_f64_e32 v[170:171], v[162:163], v[104:105]
	v_add_f64 v[2:3], v[2:3], v[4:5]
	v_mul_f64 v[4:5], v[126:127], v[66:67]
	v_add_f64 v[172:173], v[168:169], v[170:171]
	ds_read_b128 v[168:171], v1 offset:1136
	s_waitcnt lgkmcnt(1)
	v_mul_f64 v[174:175], v[164:165], v[98:99]
	v_fma_f64 v[4:5], v[124:125], v[68:69], -v[4:5]
	v_fmac_f64_e32 v[174:175], v[166:167], v[100:101]
	v_add_f64 v[2:3], v[2:3], v[4:5]
	v_mul_f64 v[4:5], v[138:139], v[78:79]
	v_add_f64 v[176:177], v[172:173], v[174:175]
	ds_read_b128 v[172:175], v1 offset:1152
	v_fma_f64 v[4:5], v[136:137], v[80:81], -v[4:5]
	v_add_f64 v[2:3], v[2:3], v[4:5]
	v_mul_f64 v[4:5], v[142:143], v[74:75]
	v_fma_f64 v[4:5], v[140:141], v[76:77], -v[4:5]
	s_waitcnt vmcnt(38) lgkmcnt(1)
	v_mul_f64 v[178:179], v[168:169], v[110:111]
	v_add_f64 v[2:3], v[2:3], v[4:5]
	v_mul_f64 v[4:5], v[146:147], v[86:87]
	s_waitcnt vmcnt(36)
	v_fmac_f64_e32 v[178:179], v[170:171], v[112:113]
	v_fma_f64 v[4:5], v[144:145], v[88:89], -v[4:5]
	v_add_f64 v[180:181], v[176:177], v[178:179]
	ds_read_b128 v[176:179], v1 offset:1168
	s_waitcnt lgkmcnt(1)
	v_mul_f64 v[182:183], v[172:173], v[106:107]
	v_add_f64 v[2:3], v[2:3], v[4:5]
	v_mul_f64 v[4:5], v[150:151], v[82:83]
	v_fmac_f64_e32 v[182:183], v[174:175], v[108:109]
	v_fma_f64 v[4:5], v[148:149], v[84:85], -v[4:5]
	v_add_f64 v[184:185], v[180:181], v[182:183]
	ds_read_b128 v[180:183], v1 offset:1184
	v_add_f64 v[2:3], v[2:3], v[4:5]
	v_mul_f64 v[4:5], v[154:155], v[94:95]
	v_fma_f64 v[4:5], v[152:153], v[96:97], -v[4:5]
	v_add_f64 v[2:3], v[2:3], v[4:5]
	v_mul_f64 v[4:5], v[158:159], v[90:91]
	s_waitcnt vmcnt(30) lgkmcnt(1)
	v_mul_f64 v[186:187], v[176:177], v[120:121]
	v_fma_f64 v[4:5], v[156:157], v[92:93], -v[4:5]
	s_waitcnt vmcnt(28)
	v_fmac_f64_e32 v[186:187], v[178:179], v[122:123]
	v_add_f64 v[2:3], v[2:3], v[4:5]
	v_mul_f64 v[4:5], v[162:163], v[102:103]
	v_add_f64 v[188:189], v[184:185], v[186:187]
	ds_read_b128 v[184:187], v1 offset:1200
	s_waitcnt lgkmcnt(1)
	v_mul_f64 v[190:191], v[180:181], v[114:115]
	v_fma_f64 v[4:5], v[160:161], v[104:105], -v[4:5]
	v_fmac_f64_e32 v[190:191], v[182:183], v[116:117]
	v_add_f64 v[2:3], v[2:3], v[4:5]
	v_mul_f64 v[4:5], v[166:167], v[98:99]
	v_add_f64 v[200:201], v[188:189], v[190:191]
	ds_read_b128 v[188:191], v1 offset:1216
	v_fma_f64 v[4:5], v[164:165], v[100:101], -v[4:5]
	v_add_f64 v[2:3], v[2:3], v[4:5]
	v_mul_f64 v[4:5], v[170:171], v[110:111]
	v_fma_f64 v[4:5], v[168:169], v[112:113], -v[4:5]
	s_waitcnt vmcnt(22) lgkmcnt(1)
	v_mul_f64 v[202:203], v[184:185], v[132:133]
	v_add_f64 v[2:3], v[2:3], v[4:5]
	v_mul_f64 v[4:5], v[174:175], v[106:107]
	s_waitcnt vmcnt(20)
	v_fmac_f64_e32 v[202:203], v[186:187], v[134:135]
	v_fma_f64 v[4:5], v[172:173], v[108:109], -v[4:5]
	v_add_f64 v[204:205], v[200:201], v[202:203]
	ds_read_b128 v[200:203], v1 offset:1232
	s_waitcnt lgkmcnt(1)
	v_mul_f64 v[206:207], v[188:189], v[128:129]
	v_add_f64 v[2:3], v[2:3], v[4:5]
	v_mul_f64 v[4:5], v[178:179], v[120:121]
	v_fmac_f64_e32 v[206:207], v[190:191], v[130:131]
	v_fma_f64 v[4:5], v[176:177], v[122:123], -v[4:5]
	v_add_f64 v[208:209], v[204:205], v[206:207]
	ds_read_b128 v[204:207], v1 offset:1248
	v_add_f64 v[2:3], v[2:3], v[4:5]
	v_mul_f64 v[4:5], v[182:183], v[114:115]
	v_fma_f64 v[4:5], v[180:181], v[116:117], -v[4:5]
	v_add_f64 v[2:3], v[2:3], v[4:5]
	v_mul_f64 v[4:5], v[186:187], v[132:133]
	s_waitcnt vmcnt(14) lgkmcnt(1)
	v_mul_f64 v[210:211], v[200:201], v[194:195]
	v_fma_f64 v[4:5], v[184:185], v[134:135], -v[4:5]
	s_waitcnt vmcnt(12)
	v_fmac_f64_e32 v[210:211], v[202:203], v[196:197]
	v_add_f64 v[2:3], v[2:3], v[4:5]
	v_mul_f64 v[4:5], v[190:191], v[128:129]
	v_add_f64 v[212:213], v[208:209], v[210:211]
	ds_read_b128 v[208:211], v1 offset:1264
	s_waitcnt lgkmcnt(1)
	v_mul_f64 v[214:215], v[204:205], v[118:119]
	v_fma_f64 v[4:5], v[188:189], v[130:131], -v[4:5]
	v_fmac_f64_e32 v[214:215], v[206:207], v[192:193]
	v_add_f64 v[2:3], v[2:3], v[4:5]
	v_mul_f64 v[4:5], v[202:203], v[194:195]
	v_add_f64 v[230:231], v[212:213], v[214:215]
	ds_read_b128 v[212:215], v1 offset:1280
	v_fma_f64 v[4:5], v[200:201], v[196:197], -v[4:5]
	v_add_f64 v[2:3], v[2:3], v[4:5]
	v_mul_f64 v[4:5], v[206:207], v[118:119]
	ds_read_b128 v[216:219], v1 offset:1296
	v_fma_f64 v[4:5], v[204:205], v[192:193], -v[4:5]
	v_add_f64 v[2:3], v[2:3], v[4:5]
	s_waitcnt vmcnt(6) lgkmcnt(2)
	v_mul_f64 v[4:5], v[210:211], v[222:223]
	v_mul_f64 v[232:233], v[208:209], v[222:223]
	s_waitcnt vmcnt(4)
	v_fma_f64 v[4:5], v[208:209], v[224:225], -v[4:5]
	v_fmac_f64_e32 v[232:233], v[210:211], v[224:225]
	v_add_f64 v[2:3], v[2:3], v[4:5]
	s_waitcnt lgkmcnt(1)
	v_mul_f64 v[4:5], v[214:215], v[198:199]
	v_add_f64 v[230:231], v[230:231], v[232:233]
	v_mul_f64 v[232:233], v[212:213], v[198:199]
	v_fma_f64 v[4:5], v[212:213], v[220:221], -v[4:5]
	v_fmac_f64_e32 v[232:233], v[214:215], v[220:221]
	v_add_f64 v[2:3], v[2:3], v[4:5]
	s_waitcnt vmcnt(2) lgkmcnt(0)
	v_mul_f64 v[4:5], v[218:219], v[226:227]
	v_add_f64 v[230:231], v[230:231], v[232:233]
	v_mul_f64 v[232:233], v[216:217], v[226:227]
	s_waitcnt vmcnt(0)
	v_fma_f64 v[4:5], v[216:217], v[228:229], -v[4:5]
	v_fmac_f64_e32 v[232:233], v[218:219], v[228:229]
	v_add_f64 v[2:3], v[2:3], v[4:5]
	v_add_f64 v[230:231], v[230:231], v[232:233]
	v_add_f64 v[2:3], v[46:47], -v[2:3]
	v_add_f64 v[4:5], v[44:45], -v[230:231]
	buffer_store_dword v3, off, s[0:3], 0 offset:212
	buffer_store_dword v2, off, s[0:3], 0 offset:208
	;; [unrolled: 1-line block ×4, first 2 shown]
	s_and_saveexec_b64 s[4:5], vcc
	s_cbranch_execz .LBB40_237
; %bb.236:
	v_accvgpr_read_b32 v0, a111
	buffer_load_dword v2, v0, s[0:3], 0 offen
	buffer_load_dword v3, v0, s[0:3], 0 offen offset:4
	buffer_load_dword v4, v0, s[0:3], 0 offen offset:8
	;; [unrolled: 1-line block ×3, first 2 shown]
	v_mov_b32_e32 v0, 0
	v_accvgpr_read_b32 v1, a123
	buffer_store_dword v0, off, s[0:3], 0 offset:192
	buffer_store_dword v0, off, s[0:3], 0 offset:196
	;; [unrolled: 1-line block ×4, first 2 shown]
	s_waitcnt vmcnt(4)
	ds_write_b128 v1, v[2:5]
.LBB40_237:
	s_or_b64 exec, exec, s[4:5]
	s_waitcnt lgkmcnt(0)
	; wave barrier
	s_waitcnt lgkmcnt(0)
	buffer_load_dword v38, off, s[0:3], 0 offset:208
	buffer_load_dword v39, off, s[0:3], 0 offset:212
	;; [unrolled: 1-line block ×48, first 2 shown]
	v_mov_b32_e32 v1, 0
	ds_read_b128 v[34:37], v1 offset:848
	ds_read_b128 v[30:33], v1 offset:864
	;; [unrolled: 1-line block ×9, first 2 shown]
	v_cmp_lt_u32_e32 vcc, 10, v254
	s_waitcnt vmcnt(44) lgkmcnt(8)
	v_mul_f64 v[86:87], v[34:35], v[42:43]
	v_fmac_f64_e32 v[86:87], v[36:37], v[38:39]
	v_add_f64 v[86:87], v[86:87], 0
	v_mul_f64 v[36:37], v[36:37], v[42:43]
	s_waitcnt vmcnt(40) lgkmcnt(7)
	v_mul_f64 v[88:89], v[30:31], v[44:45]
	v_fmac_f64_e32 v[88:89], v[32:33], v[40:41]
	s_waitcnt vmcnt(38) lgkmcnt(6)
	v_mul_f64 v[90:91], v[26:27], v[46:47]
	v_add_f64 v[86:87], v[86:87], v[88:89]
	s_waitcnt vmcnt(36) lgkmcnt(4)
	v_mul_f64 v[94:95], v[18:19], v[48:49]
	v_fma_f64 v[34:35], v[34:35], v[38:39], -v[36:37]
	s_waitcnt vmcnt(34)
	v_fmac_f64_e32 v[94:95], v[20:21], v[50:51]
	v_mul_f64 v[32:33], v[32:33], v[44:45]
	s_waitcnt vmcnt(32)
	v_mul_f64 v[92:93], v[22:23], v[52:53]
	v_add_f64 v[34:35], v[34:35], 0
	s_waitcnt vmcnt(30) lgkmcnt(2)
	v_mul_f64 v[98:99], v[10:11], v[54:55]
	v_fma_f64 v[30:31], v[30:31], v[40:41], -v[32:33]
	s_waitcnt vmcnt(28)
	v_fmac_f64_e32 v[98:99], v[12:13], v[56:57]
	v_add_f64 v[30:31], v[34:35], v[30:31]
	s_waitcnt vmcnt(26)
	v_mul_f64 v[96:97], v[14:15], v[58:59]
	v_mul_f64 v[20:21], v[20:21], v[48:49]
	v_fma_f64 v[18:19], v[18:19], v[50:51], -v[20:21]
	v_mul_f64 v[12:13], v[12:13], v[54:55]
	s_waitcnt vmcnt(22) lgkmcnt(1)
	v_mul_f64 v[110:111], v[6:7], v[68:69]
	v_fma_f64 v[10:11], v[10:11], v[56:57], -v[12:13]
	s_waitcnt vmcnt(20)
	v_fmac_f64_e32 v[90:91], v[28:29], v[76:77]
	v_add_f64 v[86:87], v[86:87], v[90:91]
	s_waitcnt vmcnt(18)
	v_fmac_f64_e32 v[92:93], v[24:25], v[74:75]
	v_add_f64 v[86:87], v[86:87], v[92:93]
	s_waitcnt vmcnt(16)
	v_fmac_f64_e32 v[96:97], v[16:17], v[72:73]
	v_add_f64 v[86:87], v[86:87], v[94:95]
	v_add_f64 v[86:87], v[86:87], v[96:97]
	v_add_f64 v[112:113], v[86:87], v[98:99]
	buffer_load_dword v87, off, s[0:3], 0 offset:412
	buffer_load_dword v86, off, s[0:3], 0 offset:408
	;; [unrolled: 1-line block ×72, first 2 shown]
	s_waitcnt vmcnt(62)
	v_fmac_f64_e32 v[110:111], v[8:9], v[70:71]
	v_add_f64 v[144:145], v[112:113], v[110:111]
	ds_read_b128 v[110:113], v1 offset:992
	s_waitcnt lgkmcnt(1)
	v_mul_f64 v[146:147], v[2:3], v[64:65]
	v_fmac_f64_e32 v[146:147], v[4:5], v[66:67]
	v_add_f64 v[148:149], v[144:145], v[146:147]
	ds_read_b128 v[144:147], v1 offset:1008
	s_waitcnt lgkmcnt(1)
	v_mul_f64 v[150:151], v[110:111], v[82:83]
	;; [unrolled: 5-line block ×5, first 2 shown]
	v_fmac_f64_e32 v[162:163], v[154:155], v[88:89]
	v_add_f64 v[164:165], v[160:161], v[162:163]
	ds_read_b128 v[160:163], v1 offset:1072
	s_waitcnt vmcnt(58) lgkmcnt(1)
	v_mul_f64 v[166:167], v[156:157], v[98:99]
	s_waitcnt vmcnt(56)
	v_fmac_f64_e32 v[166:167], v[158:159], v[100:101]
	v_add_f64 v[168:169], v[164:165], v[166:167]
	ds_read_b128 v[164:167], v1 offset:1088
	s_waitcnt lgkmcnt(1)
	v_mul_f64 v[170:171], v[160:161], v[94:95]
	v_fmac_f64_e32 v[170:171], v[162:163], v[96:97]
	v_mul_f64 v[28:29], v[28:29], v[46:47]
	v_add_f64 v[172:173], v[168:169], v[170:171]
	ds_read_b128 v[168:171], v1 offset:1104
	s_waitcnt vmcnt(50) lgkmcnt(1)
	v_mul_f64 v[174:175], v[164:165], v[106:107]
	v_fma_f64 v[26:27], v[26:27], v[76:77], -v[28:29]
	v_mul_f64 v[24:25], v[24:25], v[52:53]
	s_waitcnt vmcnt(48)
	v_fmac_f64_e32 v[174:175], v[166:167], v[108:109]
	v_add_f64 v[26:27], v[30:31], v[26:27]
	v_fma_f64 v[22:23], v[22:23], v[74:75], -v[24:25]
	v_add_f64 v[176:177], v[172:173], v[174:175]
	ds_read_b128 v[172:175], v1 offset:1120
	v_add_f64 v[22:23], v[26:27], v[22:23]
	v_mul_f64 v[16:17], v[16:17], v[58:59]
	v_add_f64 v[18:19], v[22:23], v[18:19]
	v_fma_f64 v[14:15], v[14:15], v[72:73], -v[16:17]
	v_add_f64 v[14:15], v[18:19], v[14:15]
	v_mul_f64 v[8:9], v[8:9], v[68:69]
	s_waitcnt lgkmcnt(1)
	v_mul_f64 v[178:179], v[168:169], v[102:103]
	v_add_f64 v[10:11], v[14:15], v[10:11]
	v_fma_f64 v[6:7], v[6:7], v[70:71], -v[8:9]
	v_mul_f64 v[4:5], v[4:5], v[64:65]
	v_fmac_f64_e32 v[178:179], v[170:171], v[104:105]
	v_add_f64 v[6:7], v[10:11], v[6:7]
	v_fma_f64 v[2:3], v[2:3], v[66:67], -v[4:5]
	v_mul_f64 v[4:5], v[112:113], v[82:83]
	v_add_f64 v[180:181], v[176:177], v[178:179]
	ds_read_b128 v[176:179], v1 offset:1136
	s_waitcnt vmcnt(42) lgkmcnt(1)
	v_mul_f64 v[182:183], v[172:173], v[120:121]
	v_add_f64 v[2:3], v[6:7], v[2:3]
	v_fma_f64 v[4:5], v[110:111], v[84:85], -v[4:5]
	s_waitcnt vmcnt(40)
	v_fmac_f64_e32 v[182:183], v[174:175], v[122:123]
	v_add_f64 v[2:3], v[2:3], v[4:5]
	v_mul_f64 v[4:5], v[146:147], v[78:79]
	v_add_f64 v[184:185], v[180:181], v[182:183]
	ds_read_b128 v[180:183], v1 offset:1152
	v_fma_f64 v[4:5], v[144:145], v[80:81], -v[4:5]
	v_add_f64 v[2:3], v[2:3], v[4:5]
	v_mul_f64 v[4:5], v[150:151], v[90:91]
	v_fma_f64 v[4:5], v[148:149], v[92:93], -v[4:5]
	s_waitcnt lgkmcnt(1)
	v_mul_f64 v[186:187], v[176:177], v[114:115]
	v_add_f64 v[2:3], v[2:3], v[4:5]
	v_mul_f64 v[4:5], v[154:155], v[86:87]
	v_fmac_f64_e32 v[186:187], v[178:179], v[116:117]
	v_fma_f64 v[4:5], v[152:153], v[88:89], -v[4:5]
	v_add_f64 v[188:189], v[184:185], v[186:187]
	ds_read_b128 v[184:187], v1 offset:1168
	s_waitcnt vmcnt(34) lgkmcnt(1)
	v_mul_f64 v[190:191], v[180:181], v[128:129]
	v_add_f64 v[2:3], v[2:3], v[4:5]
	v_mul_f64 v[4:5], v[158:159], v[98:99]
	s_waitcnt vmcnt(32)
	v_fmac_f64_e32 v[190:191], v[182:183], v[130:131]
	v_fma_f64 v[4:5], v[156:157], v[100:101], -v[4:5]
	v_add_f64 v[200:201], v[188:189], v[190:191]
	ds_read_b128 v[188:191], v1 offset:1184
	v_add_f64 v[2:3], v[2:3], v[4:5]
	v_mul_f64 v[4:5], v[162:163], v[94:95]
	v_fma_f64 v[4:5], v[160:161], v[96:97], -v[4:5]
	v_add_f64 v[2:3], v[2:3], v[4:5]
	v_mul_f64 v[4:5], v[166:167], v[106:107]
	s_waitcnt lgkmcnt(1)
	v_mul_f64 v[202:203], v[184:185], v[124:125]
	v_fma_f64 v[4:5], v[164:165], v[108:109], -v[4:5]
	v_fmac_f64_e32 v[202:203], v[186:187], v[126:127]
	v_add_f64 v[2:3], v[2:3], v[4:5]
	v_mul_f64 v[4:5], v[170:171], v[102:103]
	v_add_f64 v[204:205], v[200:201], v[202:203]
	ds_read_b128 v[200:203], v1 offset:1200
	s_waitcnt vmcnt(26) lgkmcnt(1)
	v_mul_f64 v[206:207], v[188:189], v[136:137]
	v_fma_f64 v[4:5], v[168:169], v[104:105], -v[4:5]
	s_waitcnt vmcnt(24)
	v_fmac_f64_e32 v[206:207], v[190:191], v[138:139]
	v_add_f64 v[2:3], v[2:3], v[4:5]
	v_mul_f64 v[4:5], v[174:175], v[120:121]
	v_add_f64 v[208:209], v[204:205], v[206:207]
	ds_read_b128 v[204:207], v1 offset:1216
	v_fma_f64 v[4:5], v[172:173], v[122:123], -v[4:5]
	v_add_f64 v[2:3], v[2:3], v[4:5]
	v_mul_f64 v[4:5], v[178:179], v[114:115]
	v_fma_f64 v[4:5], v[176:177], v[116:117], -v[4:5]
	s_waitcnt lgkmcnt(1)
	v_mul_f64 v[210:211], v[200:201], v[132:133]
	v_add_f64 v[2:3], v[2:3], v[4:5]
	v_mul_f64 v[4:5], v[182:183], v[128:129]
	v_fmac_f64_e32 v[210:211], v[202:203], v[134:135]
	v_fma_f64 v[4:5], v[180:181], v[130:131], -v[4:5]
	v_add_f64 v[212:213], v[208:209], v[210:211]
	ds_read_b128 v[208:211], v1 offset:1232
	s_waitcnt vmcnt(18) lgkmcnt(1)
	v_mul_f64 v[214:215], v[204:205], v[118:119]
	v_add_f64 v[2:3], v[2:3], v[4:5]
	v_mul_f64 v[4:5], v[186:187], v[124:125]
	s_waitcnt vmcnt(16)
	v_fmac_f64_e32 v[214:215], v[206:207], v[192:193]
	v_fma_f64 v[4:5], v[184:185], v[126:127], -v[4:5]
	v_add_f64 v[216:217], v[212:213], v[214:215]
	ds_read_b128 v[212:215], v1 offset:1248
	v_add_f64 v[2:3], v[2:3], v[4:5]
	v_mul_f64 v[4:5], v[190:191], v[136:137]
	v_fma_f64 v[4:5], v[188:189], v[138:139], -v[4:5]
	v_add_f64 v[2:3], v[2:3], v[4:5]
	v_mul_f64 v[4:5], v[202:203], v[132:133]
	s_waitcnt lgkmcnt(1)
	v_mul_f64 v[218:219], v[208:209], v[140:141]
	v_fma_f64 v[4:5], v[200:201], v[134:135], -v[4:5]
	v_fmac_f64_e32 v[218:219], v[210:211], v[142:143]
	v_add_f64 v[2:3], v[2:3], v[4:5]
	v_mul_f64 v[4:5], v[206:207], v[118:119]
	v_add_f64 v[220:221], v[216:217], v[218:219]
	ds_read_b128 v[216:219], v1 offset:1264
	s_waitcnt vmcnt(10) lgkmcnt(1)
	v_mul_f64 v[222:223], v[212:213], v[198:199]
	v_fma_f64 v[4:5], v[204:205], v[192:193], -v[4:5]
	s_waitcnt vmcnt(8)
	v_fmac_f64_e32 v[222:223], v[214:215], v[228:229]
	v_add_f64 v[2:3], v[2:3], v[4:5]
	v_mul_f64 v[4:5], v[210:211], v[140:141]
	v_add_f64 v[238:239], v[220:221], v[222:223]
	ds_read_b128 v[220:223], v1 offset:1280
	ds_read_b128 v[224:227], v1 offset:1296
	v_fma_f64 v[4:5], v[208:209], v[142:143], -v[4:5]
	v_add_f64 v[2:3], v[2:3], v[4:5]
	v_mul_f64 v[4:5], v[214:215], v[198:199]
	v_fma_f64 v[4:5], v[212:213], v[228:229], -v[4:5]
	v_add_f64 v[2:3], v[2:3], v[4:5]
	s_waitcnt lgkmcnt(2)
	v_mul_f64 v[4:5], v[218:219], v[194:195]
	v_mul_f64 v[240:241], v[216:217], v[194:195]
	v_fma_f64 v[4:5], v[216:217], v[196:197], -v[4:5]
	v_fmac_f64_e32 v[240:241], v[218:219], v[196:197]
	v_add_f64 v[2:3], v[2:3], v[4:5]
	s_waitcnt vmcnt(2) lgkmcnt(1)
	v_mul_f64 v[4:5], v[222:223], v[234:235]
	v_add_f64 v[238:239], v[238:239], v[240:241]
	v_mul_f64 v[240:241], v[220:221], v[234:235]
	s_waitcnt vmcnt(0)
	v_fma_f64 v[4:5], v[220:221], v[236:237], -v[4:5]
	v_fmac_f64_e32 v[240:241], v[222:223], v[236:237]
	v_add_f64 v[2:3], v[2:3], v[4:5]
	s_waitcnt lgkmcnt(0)
	v_mul_f64 v[4:5], v[226:227], v[230:231]
	v_add_f64 v[238:239], v[238:239], v[240:241]
	v_mul_f64 v[240:241], v[224:225], v[230:231]
	v_fma_f64 v[4:5], v[224:225], v[232:233], -v[4:5]
	v_fmac_f64_e32 v[240:241], v[226:227], v[232:233]
	v_add_f64 v[2:3], v[2:3], v[4:5]
	v_add_f64 v[238:239], v[238:239], v[240:241]
	v_add_f64 v[2:3], v[62:63], -v[2:3]
	v_add_f64 v[4:5], v[60:61], -v[238:239]
	buffer_store_dword v3, off, s[0:3], 0 offset:196
	buffer_store_dword v2, off, s[0:3], 0 offset:192
	buffer_store_dword v5, off, s[0:3], 0 offset:204
	buffer_store_dword v4, off, s[0:3], 0 offset:200
	s_and_saveexec_b64 s[4:5], vcc
	s_cbranch_execz .LBB40_239
; %bb.238:
	v_accvgpr_read_b32 v0, a112
	buffer_load_dword v2, v0, s[0:3], 0 offen
	buffer_load_dword v3, v0, s[0:3], 0 offen offset:4
	buffer_load_dword v4, v0, s[0:3], 0 offen offset:8
	;; [unrolled: 1-line block ×3, first 2 shown]
	v_accvgpr_read_b32 v0, a123
	buffer_store_dword v1, off, s[0:3], 0 offset:176
	buffer_store_dword v1, off, s[0:3], 0 offset:180
	;; [unrolled: 1-line block ×4, first 2 shown]
	s_waitcnt vmcnt(4)
	ds_write_b128 v0, v[2:5]
.LBB40_239:
	s_or_b64 exec, exec, s[4:5]
	s_waitcnt lgkmcnt(0)
	; wave barrier
	s_waitcnt lgkmcnt(0)
	buffer_load_dword v48, off, s[0:3], 0 offset:192
	buffer_load_dword v49, off, s[0:3], 0 offset:196
	;; [unrolled: 1-line block ×40, first 2 shown]
	ds_read_b128 v[38:41], v1 offset:832
	ds_read_b128 v[34:37], v1 offset:848
	;; [unrolled: 1-line block ×10, first 2 shown]
	buffer_load_dword v83, off, s[0:3], 0 offset:364
	buffer_load_dword v82, off, s[0:3], 0 offset:360
	;; [unrolled: 1-line block ×8, first 2 shown]
	v_cmp_lt_u32_e32 vcc, 9, v254
	s_waitcnt vmcnt(44) lgkmcnt(9)
	v_mul_f64 v[90:91], v[38:39], v[50:51]
	v_fmac_f64_e32 v[90:91], v[40:41], v[48:49]
	v_add_f64 v[90:91], v[90:91], 0
	v_mul_f64 v[40:41], v[40:41], v[50:51]
	s_waitcnt vmcnt(40) lgkmcnt(8)
	v_mul_f64 v[92:93], v[34:35], v[44:45]
	v_fmac_f64_e32 v[92:93], v[36:37], v[42:43]
	s_waitcnt vmcnt(38) lgkmcnt(7)
	v_mul_f64 v[94:95], v[30:31], v[46:47]
	v_add_f64 v[90:91], v[90:91], v[92:93]
	s_waitcnt vmcnt(36) lgkmcnt(5)
	v_mul_f64 v[98:99], v[22:23], v[52:53]
	v_mul_f64 v[36:37], v[36:37], v[44:45]
	s_waitcnt vmcnt(34)
	v_fmac_f64_e32 v[98:99], v[24:25], v[54:55]
	v_fma_f64 v[34:35], v[34:35], v[42:43], -v[36:37]
	s_waitcnt vmcnt(32)
	v_mul_f64 v[96:97], v[26:27], v[56:57]
	v_mul_f64 v[24:25], v[24:25], v[52:53]
	s_waitcnt vmcnt(30) lgkmcnt(4)
	v_mul_f64 v[100:101], v[18:19], v[62:63]
	v_fma_f64 v[22:23], v[22:23], v[54:55], -v[24:25]
	s_waitcnt vmcnt(28) lgkmcnt(1)
	v_mul_f64 v[124:125], v[2:3], v[64:65]
	s_waitcnt vmcnt(25)
	v_mul_f64 v[104:105], v[6:7], v[68:69]
	s_waitcnt vmcnt(23)
	;; [unrolled: 2-line block ×3, first 2 shown]
	v_fmac_f64_e32 v[102:103], v[12:13], v[72:73]
	v_mul_f64 v[12:13], v[12:13], v[70:71]
	s_waitcnt vmcnt(19)
	v_fmac_f64_e32 v[94:95], v[32:33], v[80:81]
	v_add_f64 v[90:91], v[90:91], v[94:95]
	s_waitcnt vmcnt(17)
	v_fmac_f64_e32 v[96:97], v[28:29], v[78:79]
	v_add_f64 v[90:91], v[90:91], v[96:97]
	;; [unrolled: 3-line block ×3, first 2 shown]
	v_add_f64 v[90:91], v[90:91], v[100:101]
	s_waitcnt vmcnt(13)
	v_fmac_f64_e32 v[104:105], v[8:9], v[74:75]
	v_add_f64 v[90:91], v[90:91], v[102:103]
	v_add_f64 v[126:127], v[90:91], v[104:105]
	buffer_load_dword v91, off, s[0:3], 0 offset:396
	buffer_load_dword v90, off, s[0:3], 0 offset:392
	;; [unrolled: 1-line block ×72, first 2 shown]
	s_waitcnt vmcnt(62)
	v_fmac_f64_e32 v[124:125], v[4:5], v[66:67]
	v_add_f64 v[152:153], v[126:127], v[124:125]
	ds_read_b128 v[124:127], v1 offset:992
	s_waitcnt lgkmcnt(1)
	v_mul_f64 v[154:155], v[14:15], v[86:87]
	v_fmac_f64_e32 v[154:155], v[16:17], v[88:89]
	buffer_load_dword v235, off, s[0:3], 0 offset:668
	buffer_load_dword v234, off, s[0:3], 0 offset:664
	;; [unrolled: 1-line block ×4, first 2 shown]
	v_add_f64 v[156:157], v[152:153], v[154:155]
	s_waitcnt lgkmcnt(0)
	v_mul_f64 v[158:159], v[124:125], v[82:83]
	ds_read_b128 v[152:155], v1 offset:1008
	v_fmac_f64_e32 v[158:159], v[126:127], v[84:85]
	v_add_f64 v[160:161], v[156:157], v[158:159]
	ds_read_b128 v[156:159], v1 offset:1024
	v_mul_f64 v[32:33], v[32:33], v[46:47]
	s_waitcnt lgkmcnt(1)
	v_mul_f64 v[162:163], v[152:153], v[94:95]
	v_fma_f64 v[30:31], v[30:31], v[80:81], -v[32:33]
	v_fmac_f64_e32 v[162:163], v[154:155], v[96:97]
	s_waitcnt lgkmcnt(0)
	v_mul_f64 v[166:167], v[156:157], v[90:91]
	v_add_f64 v[164:165], v[160:161], v[162:163]
	ds_read_b128 v[160:163], v1 offset:1040
	v_fmac_f64_e32 v[166:167], v[158:159], v[92:93]
	v_add_f64 v[168:169], v[164:165], v[166:167]
	ds_read_b128 v[164:167], v1 offset:1056
	v_mul_f64 v[28:29], v[28:29], v[56:57]
	s_waitcnt vmcnt(62) lgkmcnt(1)
	v_mul_f64 v[170:171], v[160:161], v[102:103]
	s_waitcnt vmcnt(60)
	v_fmac_f64_e32 v[170:171], v[162:163], v[104:105]
	v_add_f64 v[172:173], v[168:169], v[170:171]
	s_waitcnt lgkmcnt(0)
	v_mul_f64 v[174:175], v[164:165], v[98:99]
	ds_read_b128 v[168:171], v1 offset:1072
	v_fmac_f64_e32 v[174:175], v[166:167], v[100:101]
	v_add_f64 v[176:177], v[172:173], v[174:175]
	ds_read_b128 v[172:175], v1 offset:1088
	v_fma_f64 v[26:27], v[26:27], v[78:79], -v[28:29]
	s_waitcnt vmcnt(54) lgkmcnt(1)
	v_mul_f64 v[178:179], v[168:169], v[110:111]
	s_waitcnt vmcnt(52)
	v_fmac_f64_e32 v[178:179], v[170:171], v[112:113]
	v_add_f64 v[180:181], v[176:177], v[178:179]
	s_waitcnt lgkmcnt(0)
	v_mul_f64 v[182:183], v[172:173], v[106:107]
	ds_read_b128 v[176:179], v1 offset:1104
	v_fmac_f64_e32 v[182:183], v[174:175], v[108:109]
	v_add_f64 v[184:185], v[180:181], v[182:183]
	ds_read_b128 v[180:183], v1 offset:1120
	v_mul_f64 v[20:21], v[20:21], v[62:63]
	s_waitcnt vmcnt(46) lgkmcnt(1)
	v_mul_f64 v[186:187], v[176:177], v[120:121]
	s_waitcnt vmcnt(44)
	v_fmac_f64_e32 v[186:187], v[178:179], v[122:123]
	v_add_f64 v[188:189], v[184:185], v[186:187]
	s_waitcnt lgkmcnt(0)
	v_mul_f64 v[190:191], v[180:181], v[114:115]
	ds_read_b128 v[184:187], v1 offset:1136
	v_fmac_f64_e32 v[190:191], v[182:183], v[116:117]
	v_add_f64 v[200:201], v[188:189], v[190:191]
	ds_read_b128 v[188:191], v1 offset:1152
	v_fma_f64 v[18:19], v[18:19], v[76:77], -v[20:21]
	s_waitcnt vmcnt(38) lgkmcnt(1)
	v_mul_f64 v[202:203], v[184:185], v[132:133]
	s_waitcnt vmcnt(36)
	v_fmac_f64_e32 v[202:203], v[186:187], v[134:135]
	v_add_f64 v[204:205], v[200:201], v[202:203]
	s_waitcnt lgkmcnt(0)
	v_mul_f64 v[206:207], v[188:189], v[128:129]
	ds_read_b128 v[200:203], v1 offset:1168
	v_fmac_f64_e32 v[206:207], v[190:191], v[130:131]
	v_add_f64 v[208:209], v[204:205], v[206:207]
	ds_read_b128 v[204:207], v1 offset:1184
	v_fma_f64 v[10:11], v[10:11], v[72:73], -v[12:13]
	s_waitcnt vmcnt(30) lgkmcnt(1)
	v_mul_f64 v[210:211], v[200:201], v[140:141]
	s_waitcnt vmcnt(28)
	v_fmac_f64_e32 v[210:211], v[202:203], v[142:143]
	v_add_f64 v[212:213], v[208:209], v[210:211]
	s_waitcnt lgkmcnt(0)
	v_mul_f64 v[214:215], v[204:205], v[136:137]
	ds_read_b128 v[208:211], v1 offset:1200
	v_fmac_f64_e32 v[214:215], v[206:207], v[138:139]
	v_add_f64 v[216:217], v[212:213], v[214:215]
	ds_read_b128 v[212:215], v1 offset:1216
	v_mul_f64 v[8:9], v[8:9], v[68:69]
	s_waitcnt vmcnt(22) lgkmcnt(1)
	v_mul_f64 v[218:219], v[208:209], v[148:149]
	s_waitcnt vmcnt(20)
	v_fmac_f64_e32 v[218:219], v[210:211], v[150:151]
	v_add_f64 v[220:221], v[216:217], v[218:219]
	s_waitcnt lgkmcnt(0)
	v_mul_f64 v[222:223], v[212:213], v[144:145]
	ds_read_b128 v[216:219], v1 offset:1232
	v_fmac_f64_e32 v[222:223], v[214:215], v[146:147]
	v_add_f64 v[224:225], v[220:221], v[222:223]
	ds_read_b128 v[220:223], v1 offset:1248
	v_fma_f64 v[6:7], v[6:7], v[74:75], -v[8:9]
	s_waitcnt vmcnt(14) lgkmcnt(1)
	v_mul_f64 v[226:227], v[216:217], v[194:195]
	s_waitcnt vmcnt(12)
	v_fmac_f64_e32 v[226:227], v[218:219], v[196:197]
	v_add_f64 v[238:239], v[224:225], v[226:227]
	s_waitcnt lgkmcnt(0)
	v_mul_f64 v[240:241], v[220:221], v[118:119]
	v_fmac_f64_e32 v[240:241], v[222:223], v[192:193]
	v_add_f64 v[238:239], v[238:239], v[240:241]
	v_fma_f64 v[240:241], v[38:39], v[48:49], -v[40:41]
	v_add_f64 v[240:241], v[240:241], 0
	v_add_f64 v[34:35], v[240:241], v[34:35]
	;; [unrolled: 1-line block ×7, first 2 shown]
	v_mul_f64 v[4:5], v[4:5], v[64:65]
	v_add_f64 v[6:7], v[10:11], v[6:7]
	v_fma_f64 v[2:3], v[2:3], v[66:67], -v[4:5]
	v_mul_f64 v[4:5], v[16:17], v[86:87]
	v_add_f64 v[2:3], v[6:7], v[2:3]
	v_fma_f64 v[4:5], v[14:15], v[88:89], -v[4:5]
	v_add_f64 v[2:3], v[2:3], v[4:5]
	v_mul_f64 v[4:5], v[126:127], v[82:83]
	v_fma_f64 v[4:5], v[124:125], v[84:85], -v[4:5]
	v_add_f64 v[2:3], v[2:3], v[4:5]
	v_mul_f64 v[4:5], v[154:155], v[94:95]
	;; [unrolled: 3-line block ×15, first 2 shown]
	ds_read_b128 v[224:227], v1 offset:1264
	ds_read_b128 v[38:41], v1 offset:1280
	v_fma_f64 v[4:5], v[212:213], v[146:147], -v[4:5]
	v_add_f64 v[2:3], v[2:3], v[4:5]
	v_mul_f64 v[4:5], v[218:219], v[194:195]
	v_fma_f64 v[4:5], v[216:217], v[196:197], -v[4:5]
	v_add_f64 v[2:3], v[2:3], v[4:5]
	v_mul_f64 v[4:5], v[222:223], v[118:119]
	ds_read_b128 v[48:51], v1 offset:1296
	v_fma_f64 v[4:5], v[220:221], v[192:193], -v[4:5]
	v_add_f64 v[2:3], v[2:3], v[4:5]
	s_waitcnt vmcnt(6) lgkmcnt(2)
	v_mul_f64 v[4:5], v[226:227], v[230:231]
	v_mul_f64 v[242:243], v[224:225], v[230:231]
	s_waitcnt vmcnt(4)
	v_fma_f64 v[4:5], v[224:225], v[232:233], -v[4:5]
	v_fmac_f64_e32 v[242:243], v[226:227], v[232:233]
	v_add_f64 v[2:3], v[2:3], v[4:5]
	s_waitcnt lgkmcnt(1)
	v_mul_f64 v[4:5], v[40:41], v[198:199]
	v_add_f64 v[238:239], v[238:239], v[242:243]
	v_mul_f64 v[242:243], v[38:39], v[198:199]
	v_fma_f64 v[4:5], v[38:39], v[228:229], -v[4:5]
	v_fmac_f64_e32 v[242:243], v[40:41], v[228:229]
	v_add_f64 v[2:3], v[2:3], v[4:5]
	s_waitcnt vmcnt(2) lgkmcnt(0)
	v_mul_f64 v[4:5], v[50:51], v[234:235]
	v_add_f64 v[238:239], v[238:239], v[242:243]
	v_mul_f64 v[242:243], v[48:49], v[234:235]
	s_waitcnt vmcnt(0)
	v_fma_f64 v[4:5], v[48:49], v[236:237], -v[4:5]
	v_fmac_f64_e32 v[242:243], v[50:51], v[236:237]
	v_add_f64 v[2:3], v[2:3], v[4:5]
	v_add_f64 v[238:239], v[238:239], v[242:243]
	v_add_f64 v[2:3], v[60:61], -v[2:3]
	v_add_f64 v[4:5], v[58:59], -v[238:239]
	buffer_store_dword v3, off, s[0:3], 0 offset:180
	buffer_store_dword v2, off, s[0:3], 0 offset:176
	;; [unrolled: 1-line block ×4, first 2 shown]
	s_and_saveexec_b64 s[4:5], vcc
	s_cbranch_execz .LBB40_241
; %bb.240:
	v_accvgpr_read_b32 v0, a113
	buffer_load_dword v2, v0, s[0:3], 0 offen
	buffer_load_dword v3, v0, s[0:3], 0 offen offset:4
	buffer_load_dword v4, v0, s[0:3], 0 offen offset:8
	;; [unrolled: 1-line block ×3, first 2 shown]
	v_mov_b32_e32 v0, 0
	v_accvgpr_read_b32 v1, a123
	buffer_store_dword v0, off, s[0:3], 0 offset:160
	buffer_store_dword v0, off, s[0:3], 0 offset:164
	;; [unrolled: 1-line block ×4, first 2 shown]
	s_waitcnt vmcnt(4)
	ds_write_b128 v1, v[2:5]
.LBB40_241:
	s_or_b64 exec, exec, s[4:5]
	s_waitcnt lgkmcnt(0)
	; wave barrier
	s_waitcnt lgkmcnt(0)
	buffer_load_dword v106, off, s[0:3], 0 offset:176
	buffer_load_dword v107, off, s[0:3], 0 offset:180
	;; [unrolled: 1-line block ×49, first 2 shown]
	v_mov_b32_e32 v1, 0
	ds_read_b128 v[110:113], v1 offset:816
	ds_read_b128 v[250:253], v1 offset:832
	;; [unrolled: 1-line block ×10, first 2 shown]
	buffer_load_dword v160, off, s[0:3], 0 offset:368
	buffer_load_dword v175, off, s[0:3], 0 offset:364
	;; [unrolled: 1-line block ×69, first 2 shown]
	v_accvgpr_write_b32 a122, v254
	v_cmp_lt_u32_e32 vcc, 8, v254
	s_waitcnt vmcnt(62) lgkmcnt(9)
	v_mul_f64 v[34:35], v[110:111], v[108:109]
	v_fmac_f64_e32 v[34:35], v[112:113], v[106:107]
	v_add_f64 v[34:35], v[34:35], 0
	v_mul_f64 v[108:109], v[112:113], v[108:109]
	s_waitcnt lgkmcnt(8)
	v_mul_f64 v[36:37], v[250:251], v[116:117]
	v_fmac_f64_e32 v[36:37], v[252:253], v[114:115]
	s_waitcnt lgkmcnt(7)
	v_mul_f64 v[38:39], v[30:31], v[120:121]
	v_add_f64 v[34:35], v[34:35], v[36:37]
	s_waitcnt lgkmcnt(5)
	v_mul_f64 v[42:43], v[22:23], v[122:123]
	v_mul_f64 v[116:117], v[252:253], v[116:117]
	v_fmac_f64_e32 v[42:43], v[24:25], v[124:125]
	v_fma_f64 v[248:249], v[110:111], v[106:107], -v[108:109]
	v_mul_f64 v[40:41], v[26:27], v[126:127]
	v_fma_f64 v[250:251], v[250:251], v[114:115], -v[116:117]
	s_waitcnt lgkmcnt(3)
	v_mul_f64 v[46:47], v[14:15], v[128:129]
	v_mul_f64 v[24:25], v[24:25], v[122:123]
	v_fmac_f64_e32 v[46:47], v[16:17], v[130:131]
	v_fma_f64 v[22:23], v[22:23], v[124:125], -v[24:25]
	v_mul_f64 v[44:45], v[18:19], v[132:133]
	v_mul_f64 v[16:17], v[16:17], v[128:129]
	s_waitcnt lgkmcnt(1)
	v_mul_f64 v[50:51], v[6:7], v[134:135]
	v_fma_f64 v[14:15], v[14:15], v[130:131], -v[16:17]
	v_fmac_f64_e32 v[50:51], v[8:9], v[136:137]
	v_mul_f64 v[8:9], v[8:9], v[134:135]
	v_mul_f64 v[48:49], v[10:11], v[142:143]
	v_fma_f64 v[6:7], v[6:7], v[136:137], -v[8:9]
	s_waitcnt lgkmcnt(0)
	v_mul_f64 v[52:53], v[2:3], v[138:139]
	v_fmac_f64_e32 v[38:39], v[32:33], v[154:155]
	v_add_f64 v[34:35], v[34:35], v[38:39]
	v_fmac_f64_e32 v[40:41], v[28:29], v[152:153]
	v_add_f64 v[34:35], v[34:35], v[40:41]
	;; [unrolled: 2-line block ×3, first 2 shown]
	v_add_f64 v[34:35], v[34:35], v[44:45]
	v_fmac_f64_e32 v[48:49], v[12:13], v[148:149]
	v_add_f64 v[34:35], v[34:35], v[46:47]
	v_add_f64 v[34:35], v[34:35], v[48:49]
	v_fmac_f64_e32 v[52:53], v[4:5], v[146:147]
	v_add_f64 v[34:35], v[34:35], v[50:51]
	v_add_f64 v[42:43], v[34:35], v[52:53]
	ds_read_b128 v[38:41], v1 offset:976
	ds_read_b128 v[34:37], v1 offset:992
	buffer_load_dword v231, off, s[0:3], 0 offset:668
	buffer_load_dword v230, off, s[0:3], 0 offset:664
	;; [unrolled: 1-line block ×8, first 2 shown]
	ds_read_b128 v[110:113], v1 offset:1264
	ds_read_b128 v[106:109], v1 offset:1280
	s_waitcnt lgkmcnt(3)
	v_mul_f64 v[44:45], v[38:39], v[144:145]
	v_fmac_f64_e32 v[44:45], v[40:41], v[156:157]
	v_add_f64 v[46:47], v[42:43], v[44:45]
	ds_read_b128 v[42:45], v1 offset:1008
	s_waitcnt lgkmcnt(3)
	v_mul_f64 v[48:49], v[34:35], v[174:175]
	v_fmac_f64_e32 v[48:49], v[36:37], v[178:179]
	v_add_f64 v[50:51], v[46:47], v[48:49]
	;; [unrolled: 5-line block ×3, first 2 shown]
	ds_read_b128 v[50:53], v1 offset:1040
	s_waitcnt vmcnt(62) lgkmcnt(1)
	v_mul_f64 v[56:57], v[46:47], v[182:183]
	v_fmac_f64_e32 v[56:57], v[48:49], v[186:187]
	v_add_f64 v[58:59], v[54:55], v[56:57]
	ds_read_b128 v[54:57], v1 offset:1056
	s_waitcnt lgkmcnt(1)
	v_mul_f64 v[60:61], v[50:51], v[162:163]
	v_fmac_f64_e32 v[60:61], v[52:53], v[164:165]
	v_add_f64 v[62:63], v[58:59], v[60:61]
	ds_read_b128 v[58:61], v1 offset:1072
	s_waitcnt vmcnt(58) lgkmcnt(1)
	v_mul_f64 v[64:65], v[54:55], v[190:191]
	s_waitcnt vmcnt(56)
	v_fmac_f64_e32 v[64:65], v[56:57], v[202:203]
	v_add_f64 v[66:67], v[62:63], v[64:65]
	ds_read_b128 v[62:65], v1 offset:1088
	s_waitcnt lgkmcnt(1)
	v_mul_f64 v[68:69], v[58:59], v[166:167]
	v_fmac_f64_e32 v[68:69], v[60:61], v[168:169]
	v_add_f64 v[70:71], v[66:67], v[68:69]
	ds_read_b128 v[66:69], v1 offset:1104
	s_waitcnt vmcnt(50) lgkmcnt(1)
	v_mul_f64 v[72:73], v[62:63], v[206:207]
	s_waitcnt vmcnt(48)
	;; [unrolled: 11-line block ×5, first 2 shown]
	v_fmac_f64_e32 v[96:97], v[88:89], v[228:229]
	v_add_f64 v[98:99], v[94:95], v[96:97]
	ds_read_b128 v[94:97], v1 offset:1216
	s_waitcnt lgkmcnt(1)
	v_mul_f64 v[100:101], v[90:91], v[200:201]
	v_fmac_f64_e32 v[100:101], v[92:93], v[204:205]
	v_add_f64 v[118:119], v[98:99], v[100:101]
	ds_read_b128 v[98:101], v1 offset:1232
	ds_read_b128 v[102:105], v1 offset:1248
	;; [unrolled: 1-line block ×3, first 2 shown]
	buffer_load_dword v252, off, s[0:3], 0 offset:168
	buffer_load_dword v253, off, s[0:3], 0 offset:172
	s_waitcnt vmcnt(20) lgkmcnt(3)
	v_mul_f64 v[192:193], v[94:95], v[232:233]
	s_waitcnt vmcnt(18)
	v_fmac_f64_e32 v[192:193], v[96:97], v[236:237]
	v_add_f64 v[118:119], v[118:119], v[192:193]
	s_waitcnt lgkmcnt(2)
	v_mul_f64 v[192:193], v[98:99], v[208:209]
	v_fmac_f64_e32 v[192:193], v[100:101], v[212:213]
	v_add_f64 v[118:119], v[118:119], v[192:193]
	s_waitcnt vmcnt(12) lgkmcnt(1)
	v_mul_f64 v[192:193], v[102:103], v[238:239]
	s_waitcnt vmcnt(10)
	v_fmac_f64_e32 v[192:193], v[104:105], v[240:241]
	v_add_f64 v[118:119], v[118:119], v[192:193]
	v_mul_f64 v[192:193], v[110:111], v[216:217]
	v_fmac_f64_e32 v[192:193], v[112:113], v[220:221]
	v_add_f64 v[118:119], v[118:119], v[192:193]
	s_waitcnt vmcnt(4)
	v_mul_f64 v[192:193], v[106:107], v[242:243]
	v_mul_f64 v[32:33], v[32:33], v[120:121]
	s_waitcnt vmcnt(2)
	v_fmac_f64_e32 v[192:193], v[108:109], v[244:245]
	v_add_f64 v[118:119], v[118:119], v[192:193]
	s_waitcnt lgkmcnt(0)
	v_mul_f64 v[192:193], v[114:115], v[230:231]
	v_fmac_f64_e32 v[192:193], v[116:117], v[234:235]
	v_add_f64 v[246:247], v[118:119], v[192:193]
	v_add_f64 v[118:119], v[248:249], 0
	;; [unrolled: 1-line block ×3, first 2 shown]
	v_fma_f64 v[30:31], v[30:31], v[154:155], -v[32:33]
	v_mul_f64 v[28:29], v[28:29], v[126:127]
	v_add_f64 v[30:31], v[118:119], v[30:31]
	v_fma_f64 v[26:27], v[26:27], v[152:153], -v[28:29]
	v_add_f64 v[26:27], v[30:31], v[26:27]
	v_mul_f64 v[20:21], v[20:21], v[132:133]
	v_add_f64 v[22:23], v[26:27], v[22:23]
	v_fma_f64 v[18:19], v[18:19], v[150:151], -v[20:21]
	v_add_f64 v[18:19], v[22:23], v[18:19]
	;; [unrolled: 4-line block ×3, first 2 shown]
	v_mul_f64 v[4:5], v[4:5], v[138:139]
	v_add_f64 v[6:7], v[10:11], v[6:7]
	v_fma_f64 v[2:3], v[2:3], v[146:147], -v[4:5]
	v_mul_f64 v[4:5], v[40:41], v[144:145]
	v_add_f64 v[2:3], v[6:7], v[2:3]
	v_fma_f64 v[4:5], v[38:39], v[156:157], -v[4:5]
	v_add_f64 v[2:3], v[2:3], v[4:5]
	v_mul_f64 v[4:5], v[36:37], v[174:175]
	v_fma_f64 v[4:5], v[34:35], v[178:179], -v[4:5]
	v_add_f64 v[2:3], v[2:3], v[4:5]
	v_mul_f64 v[4:5], v[44:45], v[158:159]
	v_fma_f64 v[4:5], v[42:43], v[160:161], -v[4:5]
	v_add_f64 v[2:3], v[2:3], v[4:5]
	v_mul_f64 v[4:5], v[48:49], v[182:183]
	v_fma_f64 v[4:5], v[46:47], v[186:187], -v[4:5]
	v_add_f64 v[2:3], v[2:3], v[4:5]
	v_mul_f64 v[4:5], v[52:53], v[162:163]
	v_fma_f64 v[4:5], v[50:51], v[164:165], -v[4:5]
	v_add_f64 v[2:3], v[2:3], v[4:5]
	v_mul_f64 v[4:5], v[56:57], v[190:191]
	v_fma_f64 v[4:5], v[54:55], v[202:203], -v[4:5]
	v_add_f64 v[2:3], v[2:3], v[4:5]
	v_mul_f64 v[4:5], v[60:61], v[166:167]
	v_fma_f64 v[4:5], v[58:59], v[168:169], -v[4:5]
	v_add_f64 v[2:3], v[2:3], v[4:5]
	v_mul_f64 v[4:5], v[64:65], v[206:207]
	v_fma_f64 v[4:5], v[62:63], v[210:211], -v[4:5]
	v_add_f64 v[2:3], v[2:3], v[4:5]
	v_mul_f64 v[4:5], v[68:69], v[170:171]
	v_fma_f64 v[4:5], v[66:67], v[172:173], -v[4:5]
	v_add_f64 v[2:3], v[2:3], v[4:5]
	v_mul_f64 v[4:5], v[72:73], v[214:215]
	v_fma_f64 v[4:5], v[70:71], v[218:219], -v[4:5]
	v_add_f64 v[2:3], v[2:3], v[4:5]
	v_mul_f64 v[4:5], v[76:77], v[176:177]
	v_fma_f64 v[4:5], v[74:75], v[180:181], -v[4:5]
	v_add_f64 v[2:3], v[2:3], v[4:5]
	v_mul_f64 v[4:5], v[80:81], v[222:223]
	v_fma_f64 v[4:5], v[78:79], v[224:225], -v[4:5]
	v_add_f64 v[2:3], v[2:3], v[4:5]
	v_mul_f64 v[4:5], v[84:85], v[184:185]
	v_fma_f64 v[4:5], v[82:83], v[188:189], -v[4:5]
	v_add_f64 v[2:3], v[2:3], v[4:5]
	v_mul_f64 v[4:5], v[88:89], v[226:227]
	v_fma_f64 v[4:5], v[86:87], v[228:229], -v[4:5]
	v_add_f64 v[2:3], v[2:3], v[4:5]
	v_mul_f64 v[4:5], v[92:93], v[200:201]
	v_fma_f64 v[4:5], v[90:91], v[204:205], -v[4:5]
	v_add_f64 v[2:3], v[2:3], v[4:5]
	v_mul_f64 v[4:5], v[96:97], v[232:233]
	v_fma_f64 v[4:5], v[94:95], v[236:237], -v[4:5]
	v_add_f64 v[2:3], v[2:3], v[4:5]
	v_mul_f64 v[4:5], v[100:101], v[208:209]
	v_fma_f64 v[4:5], v[98:99], v[212:213], -v[4:5]
	v_add_f64 v[2:3], v[2:3], v[4:5]
	v_mul_f64 v[4:5], v[104:105], v[238:239]
	v_fma_f64 v[4:5], v[102:103], v[240:241], -v[4:5]
	v_add_f64 v[2:3], v[2:3], v[4:5]
	v_mul_f64 v[4:5], v[112:113], v[216:217]
	v_fma_f64 v[4:5], v[110:111], v[220:221], -v[4:5]
	v_add_f64 v[2:3], v[2:3], v[4:5]
	v_mul_f64 v[4:5], v[108:109], v[242:243]
	v_fma_f64 v[4:5], v[106:107], v[244:245], -v[4:5]
	v_add_f64 v[2:3], v[2:3], v[4:5]
	v_mul_f64 v[4:5], v[116:117], v[230:231]
	v_fma_f64 v[4:5], v[114:115], v[234:235], -v[4:5]
	v_add_f64 v[2:3], v[2:3], v[4:5]
	v_add_f64 v[2:3], v[140:141], -v[2:3]
	s_waitcnt vmcnt(0)
	v_add_f64 v[4:5], v[252:253], -v[246:247]
	buffer_store_dword v3, off, s[0:3], 0 offset:164
	buffer_store_dword v2, off, s[0:3], 0 offset:160
	;; [unrolled: 1-line block ×4, first 2 shown]
	s_and_saveexec_b64 s[4:5], vcc
	s_cbranch_execz .LBB40_243
; %bb.242:
	v_accvgpr_read_b32 v0, a114
	buffer_load_dword v2, v0, s[0:3], 0 offen
	buffer_load_dword v3, v0, s[0:3], 0 offen offset:4
	buffer_load_dword v4, v0, s[0:3], 0 offen offset:8
	;; [unrolled: 1-line block ×3, first 2 shown]
	v_accvgpr_read_b32 v0, a123
	buffer_store_dword v1, off, s[0:3], 0 offset:144
	buffer_store_dword v1, off, s[0:3], 0 offset:148
	;; [unrolled: 1-line block ×4, first 2 shown]
	s_waitcnt vmcnt(4)
	ds_write_b128 v0, v[2:5]
.LBB40_243:
	s_or_b64 exec, exec, s[4:5]
	s_waitcnt lgkmcnt(0)
	; wave barrier
	s_waitcnt lgkmcnt(0)
	buffer_load_dword v112, off, s[0:3], 0 offset:160
	buffer_load_dword v113, off, s[0:3], 0 offset:164
	;; [unrolled: 1-line block ×36, first 2 shown]
	ds_read_b128 v[102:105], v1 offset:800
	ds_read_b128 v[106:109], v1 offset:816
	;; [unrolled: 1-line block ×9, first 2 shown]
	buffer_load_dword v145, off, s[0:3], 0 offset:332
	buffer_load_dword v144, off, s[0:3], 0 offset:328
	;; [unrolled: 1-line block ×78, first 2 shown]
	v_accvgpr_read_b32 v198, a122
	v_cmp_lt_u32_e32 vcc, 7, v198
	s_waitcnt vmcnt(62) lgkmcnt(8)
	v_mul_f64 v[26:27], v[102:103], v[246:247]
	v_fmac_f64_e32 v[26:27], v[104:105], v[112:113]
	v_add_f64 v[26:27], v[26:27], 0
	v_mul_f64 v[104:105], v[104:105], v[246:247]
	s_waitcnt lgkmcnt(7)
	v_mul_f64 v[28:29], v[106:107], v[248:249]
	v_fmac_f64_e32 v[28:29], v[108:109], v[110:111]
	s_waitcnt lgkmcnt(6)
	v_mul_f64 v[30:31], v[114:115], v[244:245]
	v_add_f64 v[26:27], v[26:27], v[28:29]
	s_waitcnt lgkmcnt(4)
	v_mul_f64 v[34:35], v[18:19], v[120:121]
	v_fma_f64 v[246:247], v[102:103], v[112:113], -v[104:105]
	v_fmac_f64_e32 v[34:35], v[20:21], v[122:123]
	v_mul_f64 v[108:109], v[108:109], v[248:249]
	v_mul_f64 v[32:33], v[22:23], v[124:125]
	v_fma_f64 v[248:249], v[106:107], v[110:111], -v[108:109]
	s_waitcnt lgkmcnt(2)
	v_mul_f64 v[38:39], v[10:11], v[126:127]
	v_mul_f64 v[20:21], v[20:21], v[120:121]
	v_fmac_f64_e32 v[38:39], v[12:13], v[128:129]
	v_fma_f64 v[18:19], v[18:19], v[122:123], -v[20:21]
	v_mul_f64 v[36:37], v[14:15], v[132:133]
	v_mul_f64 v[12:13], v[12:13], v[126:127]
	s_waitcnt lgkmcnt(1)
	v_mul_f64 v[40:41], v[6:7], v[130:131]
	v_fma_f64 v[10:11], v[10:11], v[128:129], -v[12:13]
	v_fmac_f64_e32 v[30:31], v[116:117], v[250:251]
	v_add_f64 v[26:27], v[26:27], v[30:31]
	v_fmac_f64_e32 v[32:33], v[24:25], v[140:141]
	v_add_f64 v[26:27], v[26:27], v[32:33]
	v_fmac_f64_e32 v[36:37], v[16:17], v[138:139]
	v_add_f64 v[26:27], v[26:27], v[34:35]
	v_add_f64 v[26:27], v[26:27], v[36:37]
	v_fmac_f64_e32 v[40:41], v[8:9], v[136:137]
	v_add_f64 v[30:31], v[26:27], v[38:39]
	v_add_f64 v[30:31], v[30:31], v[40:41]
	s_waitcnt lgkmcnt(0)
	v_mul_f64 v[32:33], v[2:3], v[134:135]
	v_fmac_f64_e32 v[32:33], v[4:5], v[142:143]
	ds_read_b128 v[26:29], v1 offset:944
	v_add_f64 v[34:35], v[30:31], v[32:33]
	ds_read_b128 v[30:33], v1 offset:960
	buffer_load_dword v231, off, s[0:3], 0 offset:596
	buffer_load_dword v230, off, s[0:3], 0 offset:592
	v_mul_f64 v[116:117], v[116:117], v[244:245]
	s_waitcnt lgkmcnt(1)
	v_mul_f64 v[36:37], v[26:27], v[148:149]
	v_fmac_f64_e32 v[36:37], v[28:29], v[150:151]
	v_add_f64 v[38:39], v[34:35], v[36:37]
	ds_read_b128 v[34:37], v1 offset:976
	s_waitcnt lgkmcnt(1)
	v_mul_f64 v[40:41], v[30:31], v[144:145]
	v_fmac_f64_e32 v[40:41], v[32:33], v[146:147]
	v_add_f64 v[42:43], v[38:39], v[40:41]
	ds_read_b128 v[38:41], v1 offset:992
	;; [unrolled: 5-line block ×4, first 2 shown]
	buffer_load_dword v233, off, s[0:3], 0 offset:652
	buffer_load_dword v235, off, s[0:3], 0 offset:636
	buffer_load_dword v234, off, s[0:3], 0 offset:632
	buffer_load_dword v241, off, s[0:3], 0 offset:628
	buffer_load_dword v240, off, s[0:3], 0 offset:624
	buffer_load_dword v232, off, s[0:3], 0 offset:648
	buffer_load_dword v239, off, s[0:3], 0 offset:644
	buffer_load_dword v238, off, s[0:3], 0 offset:640
	buffer_load_dword v237, off, s[0:3], 0 offset:668
	buffer_load_dword v236, off, s[0:3], 0 offset:664
	buffer_load_dword v243, off, s[0:3], 0 offset:660
	buffer_load_dword v242, off, s[0:3], 0 offset:656
	s_waitcnt vmcnt(62) lgkmcnt(1)
	v_mul_f64 v[52:53], v[42:43], v[176:177]
	v_fmac_f64_e32 v[52:53], v[44:45], v[180:181]
	v_add_f64 v[54:55], v[50:51], v[52:53]
	ds_read_b128 v[50:53], v1 offset:1040
	s_waitcnt lgkmcnt(1)
	v_mul_f64 v[56:57], v[46:47], v[156:157]
	v_fmac_f64_e32 v[56:57], v[48:49], v[158:159]
	v_add_f64 v[58:59], v[54:55], v[56:57]
	ds_read_b128 v[54:57], v1 offset:1056
	s_waitcnt lgkmcnt(1)
	v_mul_f64 v[60:61], v[50:51], v[184:185]
	s_waitcnt vmcnt(60)
	v_fmac_f64_e32 v[60:61], v[52:53], v[188:189]
	v_add_f64 v[62:63], v[58:59], v[60:61]
	ds_read_b128 v[58:61], v1 offset:1072
	s_waitcnt lgkmcnt(1)
	v_mul_f64 v[64:65], v[54:55], v[164:165]
	v_fmac_f64_e32 v[64:65], v[56:57], v[166:167]
	v_add_f64 v[66:67], v[62:63], v[64:65]
	ds_read_b128 v[62:65], v1 offset:1088
	s_waitcnt vmcnt(54) lgkmcnt(1)
	v_mul_f64 v[68:69], v[58:59], v[200:201]
	s_waitcnt vmcnt(52)
	v_fmac_f64_e32 v[68:69], v[60:61], v[204:205]
	v_add_f64 v[70:71], v[66:67], v[68:69]
	ds_read_b128 v[66:69], v1 offset:1104
	s_waitcnt lgkmcnt(1)
	v_mul_f64 v[72:73], v[62:63], v[168:169]
	v_fmac_f64_e32 v[72:73], v[64:65], v[170:171]
	v_add_f64 v[74:75], v[70:71], v[72:73]
	ds_read_b128 v[70:73], v1 offset:1120
	s_waitcnt vmcnt(46) lgkmcnt(1)
	;; [unrolled: 11-line block ×4, first 2 shown]
	v_mul_f64 v[92:93], v[82:83], v[220:221]
	s_waitcnt vmcnt(28)
	v_fmac_f64_e32 v[92:93], v[84:85], v[222:223]
	v_add_f64 v[98:99], v[90:91], v[92:93]
	ds_read_b128 v[90:93], v1 offset:1200
	ds_read_b128 v[94:97], v1 offset:1216
	s_waitcnt lgkmcnt(2)
	v_mul_f64 v[100:101], v[86:87], v[186:187]
	v_fmac_f64_e32 v[100:101], v[88:89], v[190:191]
	v_add_f64 v[98:99], v[98:99], v[100:101]
	s_waitcnt vmcnt(22) lgkmcnt(1)
	v_mul_f64 v[100:101], v[90:91], v[224:225]
	s_waitcnt vmcnt(20)
	v_fmac_f64_e32 v[100:101], v[92:93], v[226:227]
	v_add_f64 v[98:99], v[98:99], v[100:101]
	s_waitcnt lgkmcnt(0)
	v_mul_f64 v[100:101], v[94:95], v[202:203]
	v_fmac_f64_e32 v[100:101], v[96:97], v[206:207]
	v_add_f64 v[118:119], v[98:99], v[100:101]
	ds_read_b128 v[98:101], v1 offset:1232
	ds_read_b128 v[102:105], v1 offset:1248
	;; [unrolled: 1-line block ×3, first 2 shown]
	v_fma_f64 v[250:251], v[114:115], v[250:251], -v[116:117]
	ds_read_b128 v[114:117], v1 offset:1296
	s_waitcnt vmcnt(14) lgkmcnt(3)
	v_mul_f64 v[112:113], v[98:99], v[228:229]
	s_waitcnt lgkmcnt(2)
	v_mul_f64 v[110:111], v[102:103], v[210:211]
	s_waitcnt vmcnt(12)
	v_fmac_f64_e32 v[112:113], v[100:101], v[230:231]
	v_add_f64 v[112:113], v[118:119], v[112:113]
	v_fmac_f64_e32 v[110:111], v[104:105], v[214:215]
	v_add_f64 v[118:119], v[112:113], v[110:111]
	ds_read_b128 v[110:113], v1 offset:1280
	buffer_load_dword v254, off, s[0:3], 0 offset:144
	buffer_load_dword v255, off, s[0:3], 0 offset:148
	;; [unrolled: 1-line block ×4, first 2 shown]
	v_mul_f64 v[24:25], v[24:25], v[124:125]
	v_fma_f64 v[22:23], v[22:23], v[140:141], -v[24:25]
	v_mul_f64 v[16:17], v[16:17], v[132:133]
	s_waitcnt vmcnt(13) lgkmcnt(2)
	v_mul_f64 v[192:193], v[106:107], v[234:235]
	v_fma_f64 v[14:15], v[14:15], v[138:139], -v[16:17]
	s_waitcnt vmcnt(11)
	v_fmac_f64_e32 v[192:193], v[108:109], v[240:241]
	v_add_f64 v[118:119], v[118:119], v[192:193]
	s_waitcnt vmcnt(10) lgkmcnt(0)
	v_mul_f64 v[192:193], v[110:111], v[232:233]
	s_waitcnt vmcnt(8)
	v_fmac_f64_e32 v[192:193], v[112:113], v[238:239]
	v_add_f64 v[118:119], v[118:119], v[192:193]
	s_waitcnt vmcnt(6)
	v_mul_f64 v[192:193], v[114:115], v[236:237]
	v_mul_f64 v[8:9], v[8:9], v[130:131]
	s_waitcnt vmcnt(4)
	v_fmac_f64_e32 v[192:193], v[116:117], v[242:243]
	v_add_f64 v[244:245], v[118:119], v[192:193]
	v_add_f64 v[118:119], v[246:247], 0
	v_add_f64 v[118:119], v[118:119], v[248:249]
	v_add_f64 v[118:119], v[118:119], v[250:251]
	v_add_f64 v[22:23], v[118:119], v[22:23]
	v_add_f64 v[18:19], v[22:23], v[18:19]
	v_add_f64 v[14:15], v[18:19], v[14:15]
	v_add_f64 v[10:11], v[14:15], v[10:11]
	v_fma_f64 v[6:7], v[6:7], v[136:137], -v[8:9]
	v_mul_f64 v[4:5], v[4:5], v[134:135]
	v_add_f64 v[6:7], v[10:11], v[6:7]
	v_fma_f64 v[2:3], v[2:3], v[142:143], -v[4:5]
	v_mul_f64 v[4:5], v[28:29], v[148:149]
	v_add_f64 v[2:3], v[6:7], v[2:3]
	v_fma_f64 v[4:5], v[26:27], v[150:151], -v[4:5]
	v_add_f64 v[2:3], v[2:3], v[4:5]
	v_mul_f64 v[4:5], v[32:33], v[144:145]
	v_fma_f64 v[4:5], v[30:31], v[146:147], -v[4:5]
	v_add_f64 v[2:3], v[2:3], v[4:5]
	v_mul_f64 v[4:5], v[36:37], v[160:161]
	;; [unrolled: 3-line block ×22, first 2 shown]
	v_fma_f64 v[4:5], v[114:115], v[242:243], -v[4:5]
	v_add_f64 v[2:3], v[2:3], v[4:5]
	s_waitcnt vmcnt(2)
	v_add_f64 v[2:3], v[254:255], -v[2:3]
	s_waitcnt vmcnt(0)
	v_add_f64 v[4:5], v[252:253], -v[244:245]
	buffer_store_dword v3, off, s[0:3], 0 offset:148
	buffer_store_dword v2, off, s[0:3], 0 offset:144
	;; [unrolled: 1-line block ×4, first 2 shown]
	s_and_saveexec_b64 s[4:5], vcc
	s_cbranch_execz .LBB40_245
; %bb.244:
	v_accvgpr_read_b32 v0, a115
	buffer_load_dword v2, v0, s[0:3], 0 offen
	buffer_load_dword v3, v0, s[0:3], 0 offen offset:4
	buffer_load_dword v4, v0, s[0:3], 0 offen offset:8
	;; [unrolled: 1-line block ×3, first 2 shown]
	v_mov_b32_e32 v0, 0
	v_accvgpr_read_b32 v1, a123
	buffer_store_dword v0, off, s[0:3], 0 offset:128
	buffer_store_dword v0, off, s[0:3], 0 offset:132
	;; [unrolled: 1-line block ×4, first 2 shown]
	s_waitcnt vmcnt(4)
	ds_write_b128 v1, v[2:5]
.LBB40_245:
	s_or_b64 exec, exec, s[4:5]
	s_waitcnt lgkmcnt(0)
	; wave barrier
	s_waitcnt lgkmcnt(0)
	buffer_load_dword v94, off, s[0:3], 0 offset:144
	buffer_load_dword v95, off, s[0:3], 0 offset:148
	;; [unrolled: 1-line block ×52, first 2 shown]
	v_mov_b32_e32 v1, 0
	ds_read_b128 v[102:105], v1 offset:784
	ds_read_b128 v[114:117], v1 offset:800
	ds_read_b128 v[244:247], v1 offset:816
	ds_read_b128 v[250:253], v1 offset:832
	ds_read_b128 v[22:25], v1 offset:848
	ds_read_b128 v[18:21], v1 offset:864
	ds_read_b128 v[14:17], v1 offset:880
	ds_read_b128 v[10:13], v1 offset:896
	ds_read_b128 v[6:9], v1 offset:912
	ds_read_b128 v[2:5], v1 offset:928
	v_cmp_lt_u32_e32 vcc, 6, v198
	s_waitcnt vmcnt(48) lgkmcnt(9)
	v_mul_f64 v[26:27], v[102:103], v[96:97]
	v_fmac_f64_e32 v[26:27], v[104:105], v[94:95]
	v_add_f64 v[26:27], v[26:27], 0
	v_mul_f64 v[96:97], v[104:105], v[96:97]
	s_waitcnt vmcnt(44) lgkmcnt(8)
	v_mul_f64 v[28:29], v[114:115], v[100:101]
	v_fmac_f64_e32 v[28:29], v[116:117], v[98:99]
	s_waitcnt vmcnt(42) lgkmcnt(7)
	v_mul_f64 v[30:31], v[244:245], v[106:107]
	v_add_f64 v[26:27], v[26:27], v[28:29]
	s_waitcnt vmcnt(40) lgkmcnt(5)
	v_mul_f64 v[34:35], v[22:23], v[122:123]
	v_fma_f64 v[192:193], v[102:103], v[94:95], -v[96:97]
	s_waitcnt vmcnt(38)
	v_fmac_f64_e32 v[34:35], v[24:25], v[126:127]
	v_mul_f64 v[100:101], v[116:117], v[100:101]
	s_waitcnt vmcnt(36)
	v_mul_f64 v[32:33], v[250:251], v[110:111]
	v_fma_f64 v[194:195], v[114:115], v[98:99], -v[100:101]
	s_waitcnt vmcnt(34) lgkmcnt(3)
	v_mul_f64 v[38:39], v[14:15], v[120:121]
	v_mul_f64 v[106:107], v[246:247], v[106:107]
	s_waitcnt vmcnt(32)
	v_fmac_f64_e32 v[38:39], v[16:17], v[124:125]
	v_mul_f64 v[110:111], v[252:253], v[110:111]
	s_waitcnt vmcnt(30)
	v_mul_f64 v[36:37], v[18:19], v[132:133]
	v_mul_f64 v[24:25], v[24:25], v[122:123]
	v_fma_f64 v[22:23], v[22:23], v[126:127], -v[24:25]
	s_waitcnt vmcnt(27) lgkmcnt(2)
	v_mul_f64 v[40:41], v[10:11], v[130:131]
	s_waitcnt vmcnt(26) lgkmcnt(1)
	v_mul_f64 v[42:43], v[6:7], v[128:129]
	v_mul_f64 v[16:17], v[16:17], v[120:121]
	s_waitcnt vmcnt(24)
	v_fmac_f64_e32 v[30:31], v[246:247], v[108:109]
	v_add_f64 v[26:27], v[26:27], v[30:31]
	s_waitcnt vmcnt(22)
	v_fmac_f64_e32 v[32:33], v[252:253], v[112:113]
	v_add_f64 v[26:27], v[26:27], v[32:33]
	;; [unrolled: 3-line block ×3, first 2 shown]
	v_add_f64 v[26:27], v[26:27], v[36:37]
	s_waitcnt vmcnt(18)
	v_fmac_f64_e32 v[40:41], v[12:13], v[134:135]
	v_add_f64 v[26:27], v[26:27], v[38:39]
	v_add_f64 v[26:27], v[26:27], v[40:41]
	s_waitcnt vmcnt(16)
	v_fmac_f64_e32 v[42:43], v[8:9], v[140:141]
	v_add_f64 v[34:35], v[26:27], v[42:43]
	ds_read_b128 v[26:29], v1 offset:944
	ds_read_b128 v[30:33], v1 offset:960
	buffer_load_dword v157, off, s[0:3], 0 offset:380
	buffer_load_dword v156, off, s[0:3], 0 offset:376
	;; [unrolled: 1-line block ×56, first 2 shown]
	s_waitcnt vmcnt(62) lgkmcnt(2)
	v_mul_f64 v[36:37], v[2:3], v[144:145]
	v_fmac_f64_e32 v[36:37], v[4:5], v[146:147]
	v_add_f64 v[34:35], v[34:35], v[36:37]
	s_waitcnt lgkmcnt(1)
	v_mul_f64 v[36:37], v[26:27], v[138:139]
	v_fmac_f64_e32 v[36:37], v[28:29], v[142:143]
	v_add_f64 v[34:35], v[34:35], v[36:37]
	s_waitcnt lgkmcnt(0)
	v_mul_f64 v[36:37], v[30:31], v[148:149]
	s_waitcnt vmcnt(60)
	v_fmac_f64_e32 v[36:37], v[32:33], v[152:153]
	v_add_f64 v[42:43], v[34:35], v[36:37]
	ds_read_b128 v[34:37], v1 offset:976
	buffer_load_dword v209, off, s[0:3], 0 offset:604
	buffer_load_dword v208, off, s[0:3], 0 offset:600
	;; [unrolled: 1-line block ×16, first 2 shown]
	ds_read_b128 v[38:41], v1 offset:992
	buffer_load_dword v231, off, s[0:3], 0 offset:668
	buffer_load_dword v230, off, s[0:3], 0 offset:664
	;; [unrolled: 1-line block ×8, first 2 shown]
	ds_read_b128 v[98:101], v1 offset:1232
	s_waitcnt vmcnt(62) lgkmcnt(2)
	v_mul_f64 v[44:45], v[34:35], v[150:151]
	v_fmac_f64_e32 v[44:45], v[36:37], v[154:155]
	v_add_f64 v[46:47], v[42:43], v[44:45]
	ds_read_b128 v[42:45], v1 offset:1008
	v_fma_f64 v[248:249], v[244:245], v[108:109], -v[106:107]
	ds_read_b128 v[106:109], v1 offset:1264
	v_fma_f64 v[246:247], v[250:251], v[112:113], -v[110:111]
	v_mul_f64 v[20:21], v[20:21], v[132:133]
	v_fma_f64 v[18:19], v[18:19], v[136:137], -v[20:21]
	v_fma_f64 v[14:15], v[14:15], v[124:125], -v[16:17]
	v_mul_f64 v[12:13], v[12:13], v[130:131]
	v_fma_f64 v[10:11], v[10:11], v[134:135], -v[12:13]
	v_mul_f64 v[8:9], v[8:9], v[128:129]
	;; [unrolled: 2-line block ×3, first 2 shown]
	s_waitcnt lgkmcnt(3)
	v_mul_f64 v[48:49], v[38:39], v[172:173]
	v_fma_f64 v[2:3], v[2:3], v[146:147], -v[4:5]
	v_fmac_f64_e32 v[48:49], v[40:41], v[176:177]
	v_add_f64 v[50:51], v[46:47], v[48:49]
	ds_read_b128 v[46:49], v1 offset:1024
	s_waitcnt lgkmcnt(2)
	v_mul_f64 v[52:53], v[42:43], v[156:157]
	v_fmac_f64_e32 v[52:53], v[44:45], v[158:159]
	v_add_f64 v[54:55], v[50:51], v[52:53]
	ds_read_b128 v[50:53], v1 offset:1040
	s_waitcnt lgkmcnt(1)
	v_mul_f64 v[56:57], v[46:47], v[180:181]
	;; [unrolled: 5-line block ×3, first 2 shown]
	v_fmac_f64_e32 v[60:61], v[52:53], v[162:163]
	v_add_f64 v[62:63], v[58:59], v[60:61]
	ds_read_b128 v[58:61], v1 offset:1072
	s_waitcnt vmcnt(58) lgkmcnt(1)
	v_mul_f64 v[64:65], v[54:55], v[188:189]
	s_waitcnt vmcnt(56)
	v_fmac_f64_e32 v[64:65], v[56:57], v[200:201]
	v_add_f64 v[66:67], v[62:63], v[64:65]
	ds_read_b128 v[62:65], v1 offset:1088
	s_waitcnt lgkmcnt(1)
	v_mul_f64 v[68:69], v[58:59], v[164:165]
	v_fmac_f64_e32 v[68:69], v[60:61], v[166:167]
	v_add_f64 v[70:71], v[66:67], v[68:69]
	ds_read_b128 v[66:69], v1 offset:1104
	s_waitcnt vmcnt(50) lgkmcnt(1)
	v_mul_f64 v[72:73], v[62:63], v[204:205]
	s_waitcnt vmcnt(48)
	v_fmac_f64_e32 v[72:73], v[64:65], v[206:207]
	v_add_f64 v[74:75], v[70:71], v[72:73]
	ds_read_b128 v[70:73], v1 offset:1120
	s_waitcnt lgkmcnt(1)
	v_mul_f64 v[76:77], v[66:67], v[168:169]
	;; [unrolled: 11-line block ×3, first 2 shown]
	v_fmac_f64_e32 v[84:85], v[76:77], v[178:179]
	v_add_f64 v[90:91], v[82:83], v[84:85]
	ds_read_b128 v[82:85], v1 offset:1168
	ds_read_b128 v[86:89], v1 offset:1184
	s_waitcnt vmcnt(34) lgkmcnt(2)
	v_mul_f64 v[92:93], v[78:79], v[218:219]
	s_waitcnt vmcnt(32)
	v_fmac_f64_e32 v[92:93], v[80:81], v[224:225]
	v_add_f64 v[90:91], v[90:91], v[92:93]
	s_waitcnt lgkmcnt(1)
	v_mul_f64 v[92:93], v[82:83], v[182:183]
	v_fmac_f64_e32 v[92:93], v[84:85], v[186:187]
	v_add_f64 v[90:91], v[90:91], v[92:93]
	s_waitcnt vmcnt(27) lgkmcnt(0)
	v_mul_f64 v[92:93], v[86:87], v[222:223]
	s_waitcnt vmcnt(25)
	v_fmac_f64_e32 v[92:93], v[88:89], v[226:227]
	v_add_f64 v[118:119], v[90:91], v[92:93]
	ds_read_b128 v[90:93], v1 offset:1200
	ds_read_b128 v[94:97], v1 offset:1216
	;; [unrolled: 1-line block ×3, first 2 shown]
	v_mul_f64 v[4:5], v[28:29], v[138:139]
	v_fma_f64 v[4:5], v[26:27], v[142:143], -v[4:5]
	s_waitcnt lgkmcnt(2)
	v_mul_f64 v[102:103], v[90:91], v[190:191]
	s_waitcnt vmcnt(24)
	v_fmac_f64_e32 v[102:103], v[92:93], v[202:203]
	s_waitcnt vmcnt(18) lgkmcnt(1)
	v_mul_f64 v[104:105], v[94:95], v[228:229]
	v_add_f64 v[102:103], v[118:119], v[102:103]
	s_waitcnt vmcnt(16)
	v_fmac_f64_e32 v[104:105], v[96:97], v[232:233]
	v_add_f64 v[102:103], v[102:103], v[104:105]
	v_mul_f64 v[104:105], v[98:99], v[208:209]
	v_fmac_f64_e32 v[104:105], v[100:101], v[212:213]
	v_add_f64 v[114:115], v[102:103], v[104:105]
	ds_read_b128 v[102:105], v1 offset:1248
	s_waitcnt vmcnt(10) lgkmcnt(0)
	v_mul_f64 v[116:117], v[102:103], v[236:237]
	s_waitcnt vmcnt(8)
	v_fmac_f64_e32 v[116:117], v[104:105], v[238:239]
	v_add_f64 v[114:115], v[114:115], v[116:117]
	v_mul_f64 v[116:117], v[106:107], v[216:217]
	v_fmac_f64_e32 v[116:117], v[108:109], v[220:221]
	v_add_f64 v[114:115], v[114:115], v[116:117]
	s_waitcnt vmcnt(2)
	v_mul_f64 v[116:117], v[110:111], v[240:241]
	s_waitcnt vmcnt(0)
	v_fmac_f64_e32 v[116:117], v[112:113], v[242:243]
	v_add_f64 v[118:119], v[114:115], v[116:117]
	ds_read_b128 v[114:117], v1 offset:1296
	buffer_load_dword v252, off, s[0:3], 0 offset:128
	buffer_load_dword v253, off, s[0:3], 0 offset:132
	s_waitcnt lgkmcnt(0)
	v_mul_f64 v[196:197], v[114:115], v[230:231]
	v_fmac_f64_e32 v[196:197], v[116:117], v[234:235]
	v_add_f64 v[244:245], v[118:119], v[196:197]
	v_add_f64 v[118:119], v[192:193], 0
	;; [unrolled: 1-line block ×4, first 2 shown]
	buffer_load_dword v248, off, s[0:3], 0 offset:136
	buffer_load_dword v249, off, s[0:3], 0 offset:140
	v_add_f64 v[118:119], v[118:119], v[246:247]
	v_add_f64 v[22:23], v[118:119], v[22:23]
	;; [unrolled: 1-line block ×8, first 2 shown]
	v_mul_f64 v[4:5], v[32:33], v[148:149]
	v_fma_f64 v[4:5], v[30:31], v[152:153], -v[4:5]
	v_add_f64 v[2:3], v[2:3], v[4:5]
	v_mul_f64 v[4:5], v[36:37], v[150:151]
	v_fma_f64 v[4:5], v[34:35], v[154:155], -v[4:5]
	v_add_f64 v[2:3], v[2:3], v[4:5]
	;; [unrolled: 3-line block ×22, first 2 shown]
	s_waitcnt vmcnt(2)
	v_add_f64 v[2:3], v[252:253], -v[2:3]
	s_waitcnt vmcnt(0)
	v_add_f64 v[4:5], v[248:249], -v[244:245]
	buffer_store_dword v3, off, s[0:3], 0 offset:132
	buffer_store_dword v2, off, s[0:3], 0 offset:128
	;; [unrolled: 1-line block ×4, first 2 shown]
	s_and_saveexec_b64 s[4:5], vcc
	s_cbranch_execz .LBB40_247
; %bb.246:
	v_accvgpr_read_b32 v0, a116
	buffer_load_dword v2, v0, s[0:3], 0 offen
	buffer_load_dword v3, v0, s[0:3], 0 offen offset:4
	buffer_load_dword v4, v0, s[0:3], 0 offen offset:8
	;; [unrolled: 1-line block ×3, first 2 shown]
	v_accvgpr_read_b32 v0, a123
	buffer_store_dword v1, off, s[0:3], 0 offset:112
	buffer_store_dword v1, off, s[0:3], 0 offset:116
	;; [unrolled: 1-line block ×4, first 2 shown]
	s_waitcnt vmcnt(4)
	ds_write_b128 v0, v[2:5]
.LBB40_247:
	s_or_b64 exec, exec, s[4:5]
	s_waitcnt lgkmcnt(0)
	; wave barrier
	s_waitcnt lgkmcnt(0)
	buffer_load_dword v86, off, s[0:3], 0 offset:128
	buffer_load_dword v87, off, s[0:3], 0 offset:132
	;; [unrolled: 1-line block ×42, first 2 shown]
	ds_read_b128 v[94:97], v1 offset:768
	ds_read_b128 v[106:109], v1 offset:784
	;; [unrolled: 1-line block ×10, first 2 shown]
	buffer_load_dword v147, off, s[0:3], 0 offset:276
	buffer_load_dword v146, off, s[0:3], 0 offset:272
	ds_read_b128 v[6:9], v1 offset:928
	buffer_load_dword v143, off, s[0:3], 0 offset:332
	buffer_load_dword v142, off, s[0:3], 0 offset:328
	;; [unrolled: 1-line block ×80, first 2 shown]
	s_waitcnt vmcnt(62) lgkmcnt(10)
	v_mul_f64 v[26:27], v[94:95], v[88:89]
	v_fmac_f64_e32 v[26:27], v[96:97], v[86:87]
	v_add_f64 v[26:27], v[26:27], 0
	v_mul_f64 v[88:89], v[96:97], v[88:89]
	s_waitcnt lgkmcnt(9)
	v_mul_f64 v[28:29], v[106:107], v[92:93]
	v_fmac_f64_e32 v[28:29], v[108:109], v[90:91]
	s_waitcnt lgkmcnt(8)
	v_mul_f64 v[30:31], v[114:115], v[98:99]
	v_add_f64 v[26:27], v[26:27], v[28:29]
	s_waitcnt lgkmcnt(6)
	v_mul_f64 v[34:35], v[248:249], v[110:111]
	v_fma_f64 v[192:193], v[94:95], v[86:87], -v[88:89]
	v_fmac_f64_e32 v[34:35], v[250:251], v[112:113]
	v_mul_f64 v[92:93], v[108:109], v[92:93]
	v_mul_f64 v[32:33], v[244:245], v[102:103]
	;; [unrolled: 1-line block ×3, first 2 shown]
	s_waitcnt lgkmcnt(4)
	v_mul_f64 v[38:39], v[18:19], v[120:121]
	v_mul_f64 v[102:103], v[246:247], v[102:103]
	v_fmac_f64_e32 v[38:39], v[20:21], v[122:123]
	v_mul_f64 v[110:111], v[250:251], v[110:111]
	v_mul_f64 v[36:37], v[22:23], v[124:125]
	v_fma_f64 v[248:249], v[248:249], v[112:113], -v[110:111]
	s_waitcnt lgkmcnt(2)
	v_mul_f64 v[42:43], v[10:11], v[126:127]
	v_add_f64 v[192:193], v[192:193], 0
	v_mul_f64 v[20:21], v[20:21], v[120:121]
	v_mul_f64 v[40:41], v[14:15], v[132:133]
	v_fma_f64 v[18:19], v[18:19], v[122:123], -v[20:21]
	s_waitcnt lgkmcnt(1)
	v_mul_f64 v[44:45], v[2:3], v[130:131]
	v_fmac_f64_e32 v[30:31], v[116:117], v[100:101]
	v_add_f64 v[26:27], v[26:27], v[30:31]
	v_fmac_f64_e32 v[32:33], v[246:247], v[104:105]
	v_add_f64 v[26:27], v[26:27], v[32:33]
	;; [unrolled: 2-line block ×3, first 2 shown]
	v_add_f64 v[26:27], v[26:27], v[36:37]
	v_fmac_f64_e32 v[40:41], v[16:17], v[134:135]
	v_add_f64 v[26:27], v[26:27], v[38:39]
	v_fmac_f64_e32 v[42:43], v[12:13], v[128:129]
	v_add_f64 v[26:27], v[26:27], v[40:41]
	v_add_f64 v[26:27], v[26:27], v[42:43]
	s_waitcnt lgkmcnt(0)
	v_mul_f64 v[32:33], v[6:7], v[138:139]
	v_fmac_f64_e32 v[44:45], v[4:5], v[146:147]
	v_add_f64 v[30:31], v[26:27], v[44:45]
	ds_read_b128 v[26:29], v1 offset:944
	v_fmac_f64_e32 v[32:33], v[8:9], v[140:141]
	v_add_f64 v[34:35], v[30:31], v[32:33]
	ds_read_b128 v[30:33], v1 offset:960
	v_fma_f64 v[194:195], v[114:115], v[100:101], -v[98:99]
	s_waitcnt lgkmcnt(1)
	v_mul_f64 v[36:37], v[26:27], v[148:149]
	v_fmac_f64_e32 v[36:37], v[28:29], v[164:165]
	v_add_f64 v[38:39], v[34:35], v[36:37]
	ds_read_b128 v[34:37], v1 offset:976
	s_waitcnt lgkmcnt(1)
	v_mul_f64 v[40:41], v[30:31], v[142:143]
	v_fmac_f64_e32 v[40:41], v[32:33], v[144:145]
	v_add_f64 v[42:43], v[38:39], v[40:41]
	ds_read_b128 v[38:41], v1 offset:992
	;; [unrolled: 5-line block ×4, first 2 shown]
	s_waitcnt vmcnt(58) lgkmcnt(1)
	v_mul_f64 v[52:53], v[42:43], v[176:177]
	s_waitcnt vmcnt(56)
	v_fmac_f64_e32 v[52:53], v[44:45], v[180:181]
	v_add_f64 v[54:55], v[50:51], v[52:53]
	ds_read_b128 v[50:53], v1 offset:1040
	buffer_load_dword v232, off, s[0:3], 0 offset:648
	buffer_load_dword v237, off, s[0:3], 0 offset:636
	;; [unrolled: 1-line block ×8, first 2 shown]
	s_waitcnt lgkmcnt(1)
	v_mul_f64 v[56:57], v[46:47], v[154:155]
	v_fmac_f64_e32 v[56:57], v[48:49], v[156:157]
	v_add_f64 v[58:59], v[54:55], v[56:57]
	ds_read_b128 v[54:57], v1 offset:1056
	s_waitcnt vmcnt(58) lgkmcnt(1)
	v_mul_f64 v[60:61], v[50:51], v[184:185]
	s_waitcnt vmcnt(56)
	v_fmac_f64_e32 v[60:61], v[52:53], v[188:189]
	buffer_load_dword v241, off, s[0:3], 0 offset:668
	buffer_load_dword v240, off, s[0:3], 0 offset:664
	;; [unrolled: 1-line block ×4, first 2 shown]
	v_add_f64 v[62:63], v[58:59], v[60:61]
	ds_read_b128 v[58:61], v1 offset:1072
	s_waitcnt lgkmcnt(1)
	v_mul_f64 v[64:65], v[54:55], v[158:159]
	v_fmac_f64_e32 v[64:65], v[56:57], v[160:161]
	v_add_f64 v[66:67], v[62:63], v[64:65]
	ds_read_b128 v[62:65], v1 offset:1088
	s_waitcnt vmcnt(54) lgkmcnt(1)
	v_mul_f64 v[68:69], v[58:59], v[202:203]
	s_waitcnt vmcnt(52)
	v_fmac_f64_e32 v[68:69], v[60:61], v[206:207]
	v_add_f64 v[70:71], v[66:67], v[68:69]
	ds_read_b128 v[66:69], v1 offset:1104
	s_waitcnt lgkmcnt(1)
	v_mul_f64 v[72:73], v[62:63], v[162:163]
	v_fmac_f64_e32 v[72:73], v[64:65], v[166:167]
	v_add_f64 v[74:75], v[70:71], v[72:73]
	ds_read_b128 v[70:73], v1 offset:1120
	s_waitcnt vmcnt(46) lgkmcnt(1)
	v_mul_f64 v[76:77], v[66:67], v[210:211]
	s_waitcnt vmcnt(44)
	v_fmac_f64_e32 v[76:77], v[68:69], v[214:215]
	v_add_f64 v[82:83], v[74:75], v[76:77]
	ds_read_b128 v[74:77], v1 offset:1136
	ds_read_b128 v[78:81], v1 offset:1152
	s_waitcnt lgkmcnt(2)
	v_mul_f64 v[84:85], v[70:71], v[170:171]
	v_fmac_f64_e32 v[84:85], v[72:73], v[174:175]
	v_add_f64 v[82:83], v[82:83], v[84:85]
	s_waitcnt vmcnt(38) lgkmcnt(1)
	v_mul_f64 v[84:85], v[74:75], v[218:219]
	s_waitcnt vmcnt(36)
	v_fmac_f64_e32 v[84:85], v[76:77], v[220:221]
	v_add_f64 v[82:83], v[82:83], v[84:85]
	s_waitcnt lgkmcnt(0)
	v_mul_f64 v[84:85], v[78:79], v[178:179]
	v_fmac_f64_e32 v[84:85], v[80:81], v[182:183]
	v_add_f64 v[118:119], v[82:83], v[84:85]
	ds_read_b128 v[82:85], v1 offset:1168
	ds_read_b128 v[86:89], v1 offset:1184
	;; [unrolled: 1-line block ×3, first 2 shown]
	v_fma_f64 v[246:247], v[244:245], v[104:105], -v[102:103]
	ds_read_b128 v[102:105], v1 offset:1264
	ds_read_b128 v[110:113], v1 offset:1280
	s_waitcnt vmcnt(30) lgkmcnt(4)
	v_mul_f64 v[94:95], v[82:83], v[222:223]
	s_waitcnt vmcnt(28)
	v_fmac_f64_e32 v[94:95], v[84:85], v[224:225]
	v_add_f64 v[94:95], v[118:119], v[94:95]
	v_fma_f64 v[118:119], v[106:107], v[90:91], -v[92:93]
	ds_read_b128 v[90:93], v1 offset:1200
	s_waitcnt lgkmcnt(4)
	v_mul_f64 v[96:97], v[86:87], v[186:187]
	v_fmac_f64_e32 v[96:97], v[88:89], v[200:201]
	v_add_f64 v[106:107], v[94:95], v[96:97]
	ds_read_b128 v[94:97], v1 offset:1216
	s_waitcnt vmcnt(22) lgkmcnt(1)
	v_mul_f64 v[108:109], v[90:91], v[226:227]
	s_waitcnt vmcnt(20)
	v_fmac_f64_e32 v[108:109], v[92:93], v[228:229]
	v_add_f64 v[106:107], v[106:107], v[108:109]
	v_add_f64 v[118:119], v[192:193], v[118:119]
	s_waitcnt lgkmcnt(0)
	v_mul_f64 v[108:109], v[94:95], v[204:205]
	v_fmac_f64_e32 v[108:109], v[96:97], v[208:209]
	v_add_f64 v[114:115], v[106:107], v[108:109]
	ds_read_b128 v[106:109], v1 offset:1248
	s_waitcnt vmcnt(14)
	v_mul_f64 v[116:117], v[98:99], v[230:231]
	s_waitcnt vmcnt(12)
	v_fmac_f64_e32 v[116:117], v[100:101], v[190:191]
	v_add_f64 v[114:115], v[114:115], v[116:117]
	v_add_f64 v[250:251], v[118:119], v[194:195]
	s_waitcnt lgkmcnt(0)
	v_mul_f64 v[116:117], v[106:107], v[212:213]
	v_fmac_f64_e32 v[116:117], v[108:109], v[216:217]
	v_add_f64 v[114:115], v[114:115], v[116:117]
	v_add_f64 v[118:119], v[250:251], v[246:247]
	v_mul_f64 v[24:25], v[24:25], v[124:125]
	v_add_f64 v[118:119], v[118:119], v[248:249]
	v_fma_f64 v[22:23], v[22:23], v[136:137], -v[24:25]
	v_add_f64 v[22:23], v[118:119], v[22:23]
	v_mul_f64 v[16:17], v[16:17], v[132:133]
	v_add_f64 v[18:19], v[22:23], v[18:19]
	v_fma_f64 v[14:15], v[14:15], v[134:135], -v[16:17]
	v_mul_f64 v[12:13], v[12:13], v[126:127]
	s_waitcnt vmcnt(9)
	v_mul_f64 v[116:117], v[102:103], v[236:237]
	v_add_f64 v[14:15], v[18:19], v[14:15]
	s_waitcnt vmcnt(7)
	v_fmac_f64_e32 v[116:117], v[104:105], v[238:239]
	v_add_f64 v[114:115], v[114:115], v[116:117]
	s_waitcnt vmcnt(5)
	v_mul_f64 v[116:117], v[110:111], v[232:233]
	s_waitcnt vmcnt(4)
	v_fmac_f64_e32 v[116:117], v[112:113], v[234:235]
	v_add_f64 v[196:197], v[114:115], v[116:117]
	ds_read_b128 v[114:117], v1 offset:1296
	buffer_load_dword v254, off, s[0:3], 0 offset:112
	buffer_load_dword v255, off, s[0:3], 0 offset:116
	;; [unrolled: 1-line block ×4, first 2 shown]
	v_fma_f64 v[10:11], v[10:11], v[128:129], -v[12:13]
	v_mul_f64 v[4:5], v[4:5], v[130:131]
	v_add_f64 v[10:11], v[14:15], v[10:11]
	v_fma_f64 v[2:3], v[2:3], v[146:147], -v[4:5]
	v_mul_f64 v[4:5], v[8:9], v[138:139]
	v_add_f64 v[2:3], v[10:11], v[2:3]
	v_fma_f64 v[4:5], v[6:7], v[140:141], -v[4:5]
	v_add_f64 v[2:3], v[2:3], v[4:5]
	v_mul_f64 v[4:5], v[28:29], v[148:149]
	v_fma_f64 v[4:5], v[26:27], v[164:165], -v[4:5]
	v_add_f64 v[2:3], v[2:3], v[4:5]
	v_mul_f64 v[4:5], v[32:33], v[142:143]
	;; [unrolled: 3-line block ×22, first 2 shown]
	v_fma_f64 v[4:5], v[110:111], v[234:235], -v[4:5]
	v_add_f64 v[2:3], v[2:3], v[4:5]
	s_waitcnt vmcnt(6) lgkmcnt(0)
	v_mul_f64 v[4:5], v[116:117], v[240:241]
	s_waitcnt vmcnt(4)
	v_fma_f64 v[4:5], v[114:115], v[242:243], -v[4:5]
	v_mul_f64 v[198:199], v[114:115], v[240:241]
	v_add_f64 v[2:3], v[2:3], v[4:5]
	v_fmac_f64_e32 v[198:199], v[116:117], v[242:243]
	s_waitcnt vmcnt(2)
	v_add_f64 v[2:3], v[254:255], -v[2:3]
	v_accvgpr_read_b32 v254, a122
	v_add_f64 v[244:245], v[196:197], v[198:199]
	v_cmp_lt_u32_e32 vcc, 5, v254
	s_waitcnt vmcnt(0)
	v_add_f64 v[4:5], v[252:253], -v[244:245]
	buffer_store_dword v3, off, s[0:3], 0 offset:116
	buffer_store_dword v2, off, s[0:3], 0 offset:112
	;; [unrolled: 1-line block ×4, first 2 shown]
	s_and_saveexec_b64 s[4:5], vcc
	s_cbranch_execz .LBB40_249
; %bb.248:
	v_accvgpr_read_b32 v0, a117
	buffer_load_dword v2, v0, s[0:3], 0 offen
	buffer_load_dword v3, v0, s[0:3], 0 offen offset:4
	buffer_load_dword v4, v0, s[0:3], 0 offen offset:8
	;; [unrolled: 1-line block ×3, first 2 shown]
	v_mov_b32_e32 v0, 0
	v_accvgpr_read_b32 v1, a123
	buffer_store_dword v0, off, s[0:3], 0 offset:96
	buffer_store_dword v0, off, s[0:3], 0 offset:100
	;; [unrolled: 1-line block ×4, first 2 shown]
	s_waitcnt vmcnt(4)
	ds_write_b128 v1, v[2:5]
.LBB40_249:
	s_or_b64 exec, exec, s[4:5]
	s_waitcnt lgkmcnt(0)
	; wave barrier
	s_waitcnt lgkmcnt(0)
	buffer_load_dword v82, off, s[0:3], 0 offset:112
	buffer_load_dword v83, off, s[0:3], 0 offset:116
	;; [unrolled: 1-line block ×54, first 2 shown]
	v_mov_b32_e32 v1, 0
	ds_read_b128 v[90:93], v1 offset:752
	ds_read_b128 v[106:109], v1 offset:768
	;; [unrolled: 1-line block ×9, first 2 shown]
	buffer_load_dword v151, off, s[0:3], 0 offset:340
	buffer_load_dword v150, off, s[0:3], 0 offset:336
	;; [unrolled: 1-line block ×62, first 2 shown]
	v_cmp_lt_u32_e32 vcc, 4, v254
	s_waitcnt vmcnt(62) lgkmcnt(8)
	v_mul_f64 v[14:15], v[90:91], v[84:85]
	v_fmac_f64_e32 v[14:15], v[92:93], v[82:83]
	v_add_f64 v[14:15], v[14:15], 0
	v_mul_f64 v[84:85], v[92:93], v[84:85]
	s_waitcnt lgkmcnt(7)
	v_mul_f64 v[16:17], v[106:107], v[88:89]
	v_fmac_f64_e32 v[16:17], v[108:109], v[86:87]
	s_waitcnt lgkmcnt(6)
	v_mul_f64 v[18:19], v[114:115], v[94:95]
	v_add_f64 v[14:15], v[14:15], v[16:17]
	s_waitcnt lgkmcnt(4)
	v_mul_f64 v[22:23], v[246:247], v[102:103]
	v_fma_f64 v[192:193], v[90:91], v[82:83], -v[84:85]
	v_fmac_f64_e32 v[22:23], v[248:249], v[104:105]
	v_mul_f64 v[88:89], v[108:109], v[88:89]
	v_mul_f64 v[20:21], v[242:243], v[98:99]
	v_fma_f64 v[194:195], v[106:107], v[86:87], -v[88:89]
	s_waitcnt lgkmcnt(2)
	v_mul_f64 v[26:27], v[10:11], v[120:121]
	v_mul_f64 v[94:95], v[116:117], v[94:95]
	v_fmac_f64_e32 v[26:27], v[12:13], v[122:123]
	v_mul_f64 v[98:99], v[244:245], v[98:99]
	v_mul_f64 v[24:25], v[250:251], v[110:111]
	;; [unrolled: 1-line block ×3, first 2 shown]
	s_waitcnt lgkmcnt(1)
	v_mul_f64 v[28:29], v[6:7], v[124:125]
	v_mul_f64 v[110:111], v[252:253], v[110:111]
	v_fmac_f64_e32 v[18:19], v[116:117], v[96:97]
	v_add_f64 v[14:15], v[14:15], v[18:19]
	v_fmac_f64_e32 v[20:21], v[244:245], v[100:101]
	v_add_f64 v[14:15], v[14:15], v[20:21]
	v_fmac_f64_e32 v[24:25], v[252:253], v[112:113]
	v_add_f64 v[14:15], v[14:15], v[22:23]
	v_add_f64 v[14:15], v[14:15], v[24:25]
	v_fmac_f64_e32 v[28:29], v[8:9], v[128:129]
	v_add_f64 v[14:15], v[14:15], v[26:27]
	v_add_f64 v[18:19], v[14:15], v[28:29]
	ds_read_b128 v[14:17], v1 offset:896
	s_waitcnt lgkmcnt(1)
	v_mul_f64 v[20:21], v[2:3], v[126:127]
	v_fmac_f64_e32 v[20:21], v[4:5], v[130:131]
	v_add_f64 v[22:23], v[18:19], v[20:21]
	ds_read_b128 v[18:21], v1 offset:912
	s_waitcnt lgkmcnt(1)
	v_mul_f64 v[24:25], v[14:15], v[136:137]
	v_fmac_f64_e32 v[24:25], v[16:17], v[138:139]
	v_add_f64 v[26:27], v[22:23], v[24:25]
	ds_read_b128 v[22:25], v1 offset:928
	s_waitcnt lgkmcnt(1)
	v_mul_f64 v[28:29], v[18:19], v[132:133]
	v_fmac_f64_e32 v[28:29], v[20:21], v[134:135]
	v_add_f64 v[30:31], v[26:27], v[28:29]
	ds_read_b128 v[26:29], v1 offset:944
	s_waitcnt lgkmcnt(1)
	v_mul_f64 v[32:33], v[22:23], v[146:147]
	v_fmac_f64_e32 v[32:33], v[24:25], v[148:149]
	v_add_f64 v[34:35], v[30:31], v[32:33]
	ds_read_b128 v[30:33], v1 offset:960
	s_waitcnt lgkmcnt(1)
	v_mul_f64 v[36:37], v[26:27], v[140:141]
	v_fmac_f64_e32 v[36:37], v[28:29], v[142:143]
	v_add_f64 v[38:39], v[34:35], v[36:37]
	ds_read_b128 v[34:37], v1 offset:976
	s_waitcnt vmcnt(58) lgkmcnt(1)
	v_mul_f64 v[40:41], v[30:31], v[164:165]
	s_waitcnt vmcnt(56)
	v_fmac_f64_e32 v[40:41], v[32:33], v[168:169]
	v_add_f64 v[42:43], v[38:39], v[40:41]
	ds_read_b128 v[38:41], v1 offset:992
	s_waitcnt lgkmcnt(1)
	v_mul_f64 v[44:45], v[34:35], v[144:145]
	v_fmac_f64_e32 v[44:45], v[36:37], v[150:151]
	v_add_f64 v[46:47], v[42:43], v[44:45]
	ds_read_b128 v[42:45], v1 offset:1008
	s_waitcnt vmcnt(50) lgkmcnt(1)
	v_mul_f64 v[48:49], v[38:39], v[172:173]
	s_waitcnt vmcnt(48)
	v_fmac_f64_e32 v[48:49], v[40:41], v[176:177]
	v_add_f64 v[50:51], v[46:47], v[48:49]
	ds_read_b128 v[46:49], v1 offset:1024
	buffer_load_dword v223, off, s[0:3], 0 offset:588
	buffer_load_dword v222, off, s[0:3], 0 offset:584
	;; [unrolled: 1-line block ×8, first 2 shown]
	s_waitcnt lgkmcnt(1)
	v_mul_f64 v[52:53], v[42:43], v[152:153]
	v_fmac_f64_e32 v[52:53], v[44:45], v[154:155]
	v_add_f64 v[54:55], v[50:51], v[52:53]
	ds_read_b128 v[50:53], v1 offset:1040
	s_waitcnt vmcnt(50) lgkmcnt(1)
	v_mul_f64 v[56:57], v[46:47], v[180:181]
	s_waitcnt vmcnt(48)
	v_fmac_f64_e32 v[56:57], v[48:49], v[184:185]
	buffer_load_dword v227, off, s[0:3], 0 offset:636
	buffer_load_dword v233, off, s[0:3], 0 offset:620
	;; [unrolled: 1-line block ×12, first 2 shown]
	v_add_f64 v[58:59], v[54:55], v[56:57]
	ds_read_b128 v[54:57], v1 offset:1056
	s_waitcnt lgkmcnt(1)
	v_mul_f64 v[60:61], v[50:51], v[156:157]
	v_fmac_f64_e32 v[60:61], v[52:53], v[158:159]
	v_add_f64 v[62:63], v[58:59], v[60:61]
	ds_read_b128 v[58:61], v1 offset:1072
	s_waitcnt vmcnt(54) lgkmcnt(1)
	v_mul_f64 v[64:65], v[54:55], v[188:189]
	s_waitcnt vmcnt(52)
	v_fmac_f64_e32 v[64:65], v[56:57], v[202:203]
	v_add_f64 v[66:67], v[62:63], v[64:65]
	ds_read_b128 v[62:65], v1 offset:1088
	s_waitcnt lgkmcnt(1)
	v_mul_f64 v[68:69], v[58:59], v[160:161]
	v_fmac_f64_e32 v[68:69], v[60:61], v[162:163]
	v_add_f64 v[70:71], v[66:67], v[68:69]
	ds_read_b128 v[66:69], v1 offset:1104
	s_waitcnt vmcnt(46) lgkmcnt(1)
	v_mul_f64 v[72:73], v[62:63], v[206:207]
	s_waitcnt vmcnt(44)
	v_fmac_f64_e32 v[72:73], v[64:65], v[208:209]
	v_add_f64 v[78:79], v[70:71], v[72:73]
	ds_read_b128 v[70:73], v1 offset:1120
	ds_read_b128 v[74:77], v1 offset:1136
	s_waitcnt lgkmcnt(2)
	v_mul_f64 v[80:81], v[66:67], v[166:167]
	v_fmac_f64_e32 v[80:81], v[68:69], v[170:171]
	v_add_f64 v[78:79], v[78:79], v[80:81]
	s_waitcnt vmcnt(38) lgkmcnt(1)
	v_mul_f64 v[80:81], v[70:71], v[210:211]
	s_waitcnt vmcnt(36)
	v_fmac_f64_e32 v[80:81], v[72:73], v[212:213]
	v_add_f64 v[78:79], v[78:79], v[80:81]
	s_waitcnt lgkmcnt(0)
	v_mul_f64 v[80:81], v[74:75], v[174:175]
	v_fmac_f64_e32 v[80:81], v[76:77], v[178:179]
	v_add_f64 v[118:119], v[78:79], v[80:81]
	ds_read_b128 v[78:81], v1 offset:1152
	ds_read_b128 v[82:85], v1 offset:1168
	;; [unrolled: 1-line block ×3, first 2 shown]
	v_fma_f64 v[196:197], v[242:243], v[100:101], -v[98:99]
	ds_read_b128 v[98:101], v1 offset:1232
	s_waitcnt vmcnt(30) lgkmcnt(3)
	v_mul_f64 v[90:91], v[78:79], v[214:215]
	s_waitcnt vmcnt(28)
	v_fmac_f64_e32 v[90:91], v[80:81], v[216:217]
	s_waitcnt lgkmcnt(2)
	v_mul_f64 v[92:93], v[82:83], v[182:183]
	v_add_f64 v[90:91], v[118:119], v[90:91]
	v_fmac_f64_e32 v[92:93], v[84:85], v[186:187]
	v_add_f64 v[90:91], v[90:91], v[92:93]
	v_fma_f64 v[118:119], v[114:115], v[96:97], -v[94:95]
	ds_read_b128 v[94:97], v1 offset:1216
	s_waitcnt vmcnt(22) lgkmcnt(2)
	v_mul_f64 v[92:93], v[86:87], v[218:219]
	s_waitcnt vmcnt(20)
	v_fmac_f64_e32 v[92:93], v[88:89], v[220:221]
	v_add_f64 v[106:107], v[90:91], v[92:93]
	ds_read_b128 v[90:93], v1 offset:1200
	buffer_load_dword v190, off, s[0:3], 0 offset:664
	v_fma_f64 v[198:199], v[246:247], v[104:105], -v[102:103]
	ds_read_b128 v[102:105], v1 offset:1248
	v_fma_f64 v[250:251], v[250:251], v[112:113], -v[110:111]
	s_waitcnt lgkmcnt(1)
	v_mul_f64 v[108:109], v[90:91], v[200:201]
	v_fmac_f64_e32 v[108:109], v[92:93], v[204:205]
	v_add_f64 v[106:107], v[106:107], v[108:109]
	ds_read_b128 v[110:113], v1 offset:1280
	v_add_f64 v[192:193], v[192:193], 0
	v_add_f64 v[192:193], v[192:193], v[194:195]
	v_add_f64 v[118:119], v[192:193], v[118:119]
	v_add_f64 v[118:119], v[118:119], v[196:197]
	v_add_f64 v[252:253], v[118:119], v[198:199]
	v_mul_f64 v[12:13], v[12:13], v[120:121]
	v_add_f64 v[118:119], v[252:253], v[250:251]
	v_fma_f64 v[10:11], v[10:11], v[122:123], -v[12:13]
	v_mul_f64 v[8:9], v[8:9], v[124:125]
	v_add_f64 v[10:11], v[118:119], v[10:11]
	v_fma_f64 v[6:7], v[6:7], v[128:129], -v[8:9]
	;; [unrolled: 3-line block ×3, first 2 shown]
	v_mul_f64 v[4:5], v[16:17], v[136:137]
	v_add_f64 v[2:3], v[6:7], v[2:3]
	s_waitcnt vmcnt(19)
	v_mul_f64 v[108:109], v[94:95], v[222:223]
	v_fma_f64 v[4:5], v[14:15], v[138:139], -v[4:5]
	s_waitcnt vmcnt(17)
	v_fmac_f64_e32 v[108:109], v[96:97], v[224:225]
	v_add_f64 v[106:107], v[106:107], v[108:109]
	s_waitcnt vmcnt(15)
	v_mul_f64 v[108:109], v[98:99], v[228:229]
	s_waitcnt vmcnt(13)
	v_fmac_f64_e32 v[108:109], v[100:101], v[230:231]
	v_add_f64 v[114:115], v[106:107], v[108:109]
	ds_read_b128 v[106:109], v1 offset:1264
	buffer_load_dword v244, off, s[0:3], 0 offset:656
	buffer_load_dword v191, off, s[0:3], 0 offset:668
	;; [unrolled: 1-line block ×3, first 2 shown]
	s_waitcnt vmcnt(13) lgkmcnt(2)
	v_mul_f64 v[116:117], v[102:103], v[232:233]
	s_waitcnt vmcnt(11)
	v_fmac_f64_e32 v[116:117], v[104:105], v[238:239]
	v_add_f64 v[114:115], v[114:115], v[116:117]
	s_waitcnt vmcnt(10) lgkmcnt(0)
	v_mul_f64 v[116:117], v[106:107], v[226:227]
	s_waitcnt vmcnt(8)
	v_fmac_f64_e32 v[116:117], v[108:109], v[236:237]
	v_add_f64 v[114:115], v[114:115], v[116:117]
	s_waitcnt vmcnt(6)
	v_mul_f64 v[116:117], v[110:111], v[234:235]
	s_waitcnt vmcnt(4)
	v_fmac_f64_e32 v[116:117], v[112:113], v[240:241]
	v_add_f64 v[242:243], v[114:115], v[116:117]
	ds_read_b128 v[114:117], v1 offset:1296
	buffer_load_dword v248, off, s[0:3], 0 offset:96
	buffer_load_dword v249, off, s[0:3], 0 offset:100
	v_add_f64 v[2:3], v[2:3], v[4:5]
	v_mul_f64 v[4:5], v[20:21], v[132:133]
	v_fma_f64 v[4:5], v[18:19], v[134:135], -v[4:5]
	v_add_f64 v[2:3], v[2:3], v[4:5]
	v_mul_f64 v[4:5], v[24:25], v[146:147]
	v_fma_f64 v[4:5], v[22:23], v[148:149], -v[4:5]
	;; [unrolled: 3-line block ×22, first 2 shown]
	v_add_f64 v[2:3], v[2:3], v[4:5]
	s_waitcnt vmcnt(3) lgkmcnt(0)
	v_mul_f64 v[246:247], v[114:115], v[190:191]
	s_waitcnt vmcnt(2)
	v_fmac_f64_e32 v[246:247], v[116:117], v[244:245]
	v_add_f64 v[242:243], v[242:243], v[246:247]
	buffer_load_dword v246, off, s[0:3], 0 offset:104
	buffer_load_dword v247, off, s[0:3], 0 offset:108
	v_mul_f64 v[4:5], v[108:109], v[226:227]
	v_fma_f64 v[4:5], v[106:107], v[236:237], -v[4:5]
	v_add_f64 v[2:3], v[2:3], v[4:5]
	v_mul_f64 v[4:5], v[112:113], v[234:235]
	v_fma_f64 v[4:5], v[110:111], v[240:241], -v[4:5]
	v_add_f64 v[2:3], v[2:3], v[4:5]
	;; [unrolled: 3-line block ×3, first 2 shown]
	s_waitcnt vmcnt(2)
	v_add_f64 v[2:3], v[248:249], -v[2:3]
	s_waitcnt vmcnt(0)
	v_add_f64 v[4:5], v[246:247], -v[242:243]
	buffer_store_dword v3, off, s[0:3], 0 offset:100
	buffer_store_dword v2, off, s[0:3], 0 offset:96
	;; [unrolled: 1-line block ×4, first 2 shown]
	s_and_saveexec_b64 s[4:5], vcc
	s_cbranch_execz .LBB40_251
; %bb.250:
	v_accvgpr_read_b32 v0, a118
	buffer_load_dword v2, v0, s[0:3], 0 offen
	buffer_load_dword v3, v0, s[0:3], 0 offen offset:4
	buffer_load_dword v4, v0, s[0:3], 0 offen offset:8
	;; [unrolled: 1-line block ×3, first 2 shown]
	v_accvgpr_read_b32 v0, a123
	buffer_store_dword v1, off, s[0:3], 0 offset:80
	buffer_store_dword v1, off, s[0:3], 0 offset:84
	;; [unrolled: 1-line block ×4, first 2 shown]
	s_waitcnt vmcnt(4)
	ds_write_b128 v0, v[2:5]
.LBB40_251:
	s_or_b64 exec, exec, s[4:5]
	s_waitcnt lgkmcnt(0)
	; wave barrier
	s_waitcnt lgkmcnt(0)
	buffer_load_dword v84, off, s[0:3], 0 offset:96
	buffer_load_dword v85, off, s[0:3], 0 offset:100
	;; [unrolled: 1-line block ×34, first 2 shown]
	ds_read_b128 v[74:77], v1 offset:736
	ds_read_b128 v[78:81], v1 offset:752
	ds_read_b128 v[86:89], v1 offset:768
	ds_read_b128 v[90:93], v1 offset:784
	ds_read_b128 v[98:101], v1 offset:800
	ds_read_b128 v[102:105], v1 offset:816
	ds_read_b128 v[110:113], v1 offset:832
	ds_read_b128 v[2:5], v1 offset:848
	buffer_load_dword v127, off, s[0:3], 0 offset:212
	buffer_load_dword v126, off, s[0:3], 0 offset:208
	ds_read_b128 v[6:9], v1 offset:864
	buffer_load_dword v129, off, s[0:3], 0 offset:268
	buffer_load_dword v128, off, s[0:3], 0 offset:264
	;; [unrolled: 1-line block ×80, first 2 shown]
	v_accvgpr_read_b32 v0, a122
	v_cmp_lt_u32_e32 vcc, 3, v0
	s_waitcnt vmcnt(62) lgkmcnt(8)
	v_mul_f64 v[10:11], v[74:75], v[106:107]
	v_fmac_f64_e32 v[10:11], v[76:77], v[84:85]
	v_add_f64 v[10:11], v[10:11], 0
	v_mul_f64 v[76:77], v[76:77], v[106:107]
	s_waitcnt lgkmcnt(7)
	v_mul_f64 v[12:13], v[78:79], v[96:97]
	v_fmac_f64_e32 v[12:13], v[80:81], v[82:83]
	s_waitcnt lgkmcnt(6)
	v_mul_f64 v[14:15], v[86:87], v[94:95]
	v_add_f64 v[10:11], v[10:11], v[12:13]
	s_waitcnt lgkmcnt(4)
	v_mul_f64 v[18:19], v[98:99], v[108:109]
	v_fma_f64 v[192:193], v[74:75], v[84:85], -v[76:77]
	v_fmac_f64_e32 v[18:19], v[100:101], v[114:115]
	v_mul_f64 v[80:81], v[80:81], v[96:97]
	v_mul_f64 v[16:17], v[90:91], v[116:117]
	v_fma_f64 v[194:195], v[78:79], v[82:83], -v[80:81]
	s_waitcnt lgkmcnt(2)
	v_mul_f64 v[22:23], v[110:111], v[190:191]
	v_mul_f64 v[100:101], v[100:101], v[108:109]
	v_fma_f64 v[198:199], v[98:99], v[114:115], -v[100:101]
	v_mul_f64 v[20:21], v[102:103], v[244:245]
	v_add_f64 v[192:193], v[192:193], 0
	s_waitcnt lgkmcnt(1)
	v_mul_f64 v[24:25], v[2:3], v[120:121]
	v_add_f64 v[192:193], v[192:193], v[194:195]
	v_fmac_f64_e32 v[14:15], v[88:89], v[250:251]
	v_add_f64 v[10:11], v[10:11], v[14:15]
	v_fmac_f64_e32 v[16:17], v[92:93], v[248:249]
	;; [unrolled: 2-line block ×4, first 2 shown]
	v_add_f64 v[10:11], v[10:11], v[20:21]
	v_add_f64 v[10:11], v[10:11], v[22:23]
	s_waitcnt lgkmcnt(0)
	v_mul_f64 v[16:17], v[6:7], v[122:123]
	v_fmac_f64_e32 v[16:17], v[8:9], v[124:125]
	v_fmac_f64_e32 v[24:25], v[4:5], v[126:127]
	v_add_f64 v[14:15], v[10:11], v[24:25]
	ds_read_b128 v[10:13], v1 offset:880
	v_add_f64 v[18:19], v[14:15], v[16:17]
	ds_read_b128 v[14:17], v1 offset:896
	v_mul_f64 v[88:89], v[88:89], v[94:95]
	v_mul_f64 v[92:93], v[92:93], v[116:117]
	s_waitcnt lgkmcnt(1)
	v_mul_f64 v[20:21], v[10:11], v[132:133]
	v_fmac_f64_e32 v[20:21], v[12:13], v[134:135]
	s_waitcnt lgkmcnt(0)
	v_mul_f64 v[24:25], v[14:15], v[128:129]
	v_add_f64 v[22:23], v[18:19], v[20:21]
	ds_read_b128 v[18:21], v1 offset:912
	v_fmac_f64_e32 v[24:25], v[16:17], v[130:131]
	v_add_f64 v[26:27], v[22:23], v[24:25]
	ds_read_b128 v[22:25], v1 offset:928
	v_fma_f64 v[196:197], v[90:91], v[248:249], -v[92:93]
	s_waitcnt lgkmcnt(1)
	v_mul_f64 v[28:29], v[18:19], v[144:145]
	v_fmac_f64_e32 v[28:29], v[20:21], v[146:147]
	v_add_f64 v[30:31], v[26:27], v[28:29]
	s_waitcnt lgkmcnt(0)
	v_mul_f64 v[32:33], v[22:23], v[136:137]
	ds_read_b128 v[26:29], v1 offset:944
	v_fmac_f64_e32 v[32:33], v[24:25], v[138:139]
	v_add_f64 v[34:35], v[30:31], v[32:33]
	ds_read_b128 v[30:33], v1 offset:960
	v_mul_f64 v[104:105], v[104:105], v[244:245]
	s_waitcnt vmcnt(58) lgkmcnt(1)
	v_mul_f64 v[36:37], v[26:27], v[160:161]
	s_waitcnt vmcnt(56)
	v_fmac_f64_e32 v[36:37], v[28:29], v[164:165]
	v_add_f64 v[38:39], v[34:35], v[36:37]
	s_waitcnt lgkmcnt(0)
	v_mul_f64 v[40:41], v[30:31], v[140:141]
	ds_read_b128 v[34:37], v1 offset:976
	v_fmac_f64_e32 v[40:41], v[32:33], v[142:143]
	v_add_f64 v[42:43], v[38:39], v[40:41]
	ds_read_b128 v[38:41], v1 offset:992
	v_mul_f64 v[112:113], v[112:113], v[190:191]
	s_waitcnt vmcnt(50) lgkmcnt(1)
	v_mul_f64 v[44:45], v[34:35], v[168:169]
	s_waitcnt vmcnt(48)
	v_fmac_f64_e32 v[44:45], v[36:37], v[172:173]
	v_add_f64 v[46:47], v[42:43], v[44:45]
	s_waitcnt lgkmcnt(0)
	v_mul_f64 v[48:49], v[38:39], v[148:149]
	v_fmac_f64_e32 v[48:49], v[40:41], v[150:151]
	ds_read_b128 v[42:45], v1 offset:1008
	v_add_f64 v[50:51], v[46:47], v[48:49]
	ds_read_b128 v[46:49], v1 offset:1024
	buffer_load_dword v219, off, s[0:3], 0 offset:588
	buffer_load_dword v221, off, s[0:3], 0 offset:572
	;; [unrolled: 1-line block ×12, first 2 shown]
	v_fma_f64 v[252:253], v[110:111], v[242:243], -v[112:113]
	s_waitcnt vmcnt(54) lgkmcnt(1)
	v_mul_f64 v[52:53], v[42:43], v[176:177]
	s_waitcnt vmcnt(52)
	v_fmac_f64_e32 v[52:53], v[44:45], v[180:181]
	v_add_f64 v[54:55], v[50:51], v[52:53]
	ds_read_b128 v[50:53], v1 offset:1040
	s_waitcnt lgkmcnt(1)
	v_mul_f64 v[56:57], v[46:47], v[152:153]
	v_fmac_f64_e32 v[56:57], v[48:49], v[154:155]
	buffer_load_dword v233, off, s[0:3], 0 offset:620
	buffer_load_dword v232, off, s[0:3], 0 offset:616
	buffer_load_dword v235, off, s[0:3], 0 offset:612
	buffer_load_dword v234, off, s[0:3], 0 offset:608
	buffer_load_dword v230, off, s[0:3], 0 offset:648
	buffer_load_dword v239, off, s[0:3], 0 offset:636
	buffer_load_dword v238, off, s[0:3], 0 offset:632
	buffer_load_dword v241, off, s[0:3], 0 offset:628
	buffer_load_dword v240, off, s[0:3], 0 offset:624
	buffer_load_dword v236, off, s[0:3], 0 offset:640
	buffer_load_dword v231, off, s[0:3], 0 offset:652
	buffer_load_dword v237, off, s[0:3], 0 offset:644
	v_add_f64 v[58:59], v[54:55], v[56:57]
	ds_read_b128 v[54:57], v1 offset:1056
	s_waitcnt vmcnt(58) lgkmcnt(1)
	v_mul_f64 v[60:61], v[50:51], v[184:185]
	s_waitcnt vmcnt(56)
	v_fmac_f64_e32 v[60:61], v[52:53], v[188:189]
	v_add_f64 v[62:63], v[58:59], v[60:61]
	ds_read_b128 v[58:61], v1 offset:1072
	s_waitcnt lgkmcnt(1)
	v_mul_f64 v[64:65], v[54:55], v[156:157]
	v_fmac_f64_e32 v[64:65], v[56:57], v[158:159]
	v_add_f64 v[70:71], v[62:63], v[64:65]
	ds_read_b128 v[62:65], v1 offset:1088
	ds_read_b128 v[66:69], v1 offset:1104
	s_waitcnt vmcnt(50) lgkmcnt(2)
	v_mul_f64 v[72:73], v[58:59], v[202:203]
	s_waitcnt vmcnt(48)
	v_fmac_f64_e32 v[72:73], v[60:61], v[204:205]
	v_add_f64 v[70:71], v[70:71], v[72:73]
	s_waitcnt lgkmcnt(1)
	v_mul_f64 v[72:73], v[62:63], v[162:163]
	v_fmac_f64_e32 v[72:73], v[64:65], v[166:167]
	v_add_f64 v[70:71], v[70:71], v[72:73]
	s_waitcnt vmcnt(42) lgkmcnt(0)
	v_mul_f64 v[72:73], v[66:67], v[206:207]
	s_waitcnt vmcnt(40)
	v_fmac_f64_e32 v[72:73], v[68:69], v[208:209]
	v_add_f64 v[118:119], v[70:71], v[72:73]
	ds_read_b128 v[70:73], v1 offset:1120
	ds_read_b128 v[74:77], v1 offset:1136
	ds_read_b128 v[78:81], v1 offset:1152
	ds_read_b128 v[90:93], v1 offset:1200
	ds_read_b128 v[98:101], v1 offset:1232
	s_waitcnt lgkmcnt(4)
	v_mul_f64 v[84:85], v[70:71], v[170:171]
	v_fmac_f64_e32 v[84:85], v[72:73], v[174:175]
	v_add_f64 v[82:83], v[118:119], v[84:85]
	s_waitcnt vmcnt(34) lgkmcnt(3)
	v_mul_f64 v[84:85], v[74:75], v[210:211]
	s_waitcnt vmcnt(32)
	v_fmac_f64_e32 v[84:85], v[76:77], v[212:213]
	v_add_f64 v[82:83], v[82:83], v[84:85]
	v_fma_f64 v[118:119], v[86:87], v[250:251], -v[88:89]
	ds_read_b128 v[86:89], v1 offset:1184
	s_waitcnt lgkmcnt(3)
	v_mul_f64 v[84:85], v[78:79], v[178:179]
	v_fmac_f64_e32 v[84:85], v[80:81], v[182:183]
	v_add_f64 v[96:97], v[82:83], v[84:85]
	ds_read_b128 v[82:85], v1 offset:1168
	v_fma_f64 v[250:251], v[102:103], v[246:247], -v[104:105]
	ds_read_b128 v[110:113], v1 offset:1280
	v_add_f64 v[118:119], v[192:193], v[118:119]
	v_add_f64 v[118:119], v[118:119], v[196:197]
	s_waitcnt vmcnt(26) lgkmcnt(1)
	v_mul_f64 v[94:95], v[82:83], v[214:215]
	s_waitcnt vmcnt(24)
	v_fmac_f64_e32 v[94:95], v[84:85], v[216:217]
	v_add_f64 v[94:95], v[96:97], v[94:95]
	v_mul_f64 v[96:97], v[86:87], v[186:187]
	v_fmac_f64_e32 v[96:97], v[88:89], v[200:201]
	v_add_f64 v[106:107], v[94:95], v[96:97]
	ds_read_b128 v[94:97], v1 offset:1216
	v_add_f64 v[254:255], v[118:119], v[198:199]
	v_add_f64 v[118:119], v[254:255], v[250:251]
	v_mul_f64 v[4:5], v[4:5], v[120:121]
	v_add_f64 v[118:119], v[118:119], v[252:253]
	ds_read_b128 v[102:105], v1 offset:1264
	v_fma_f64 v[2:3], v[2:3], v[126:127], -v[4:5]
	v_mul_f64 v[4:5], v[8:9], v[122:123]
	v_add_f64 v[2:3], v[118:119], v[2:3]
	v_fma_f64 v[4:5], v[6:7], v[124:125], -v[4:5]
	v_add_f64 v[2:3], v[2:3], v[4:5]
	v_mul_f64 v[4:5], v[12:13], v[132:133]
	v_fma_f64 v[4:5], v[10:11], v[134:135], -v[4:5]
	v_add_f64 v[2:3], v[2:3], v[4:5]
	v_mul_f64 v[4:5], v[16:17], v[128:129]
	s_waitcnt vmcnt(21)
	v_mul_f64 v[108:109], v[90:91], v[220:221]
	v_fma_f64 v[4:5], v[14:15], v[130:131], -v[4:5]
	s_waitcnt vmcnt(19)
	v_fmac_f64_e32 v[108:109], v[92:93], v[226:227]
	v_add_f64 v[106:107], v[106:107], v[108:109]
	s_waitcnt vmcnt(18) lgkmcnt(1)
	v_mul_f64 v[108:109], v[94:95], v[218:219]
	s_waitcnt vmcnt(16)
	v_fmac_f64_e32 v[108:109], v[96:97], v[224:225]
	v_add_f64 v[114:115], v[106:107], v[108:109]
	ds_read_b128 v[106:109], v1 offset:1248
	buffer_load_dword v243, off, s[0:3], 0 offset:668
	buffer_load_dword v242, off, s[0:3], 0 offset:664
	;; [unrolled: 1-line block ×4, first 2 shown]
	s_waitcnt vmcnt(18)
	v_mul_f64 v[116:117], v[98:99], v[222:223]
	s_waitcnt vmcnt(16)
	v_fmac_f64_e32 v[116:117], v[100:101], v[228:229]
	v_add_f64 v[114:115], v[114:115], v[116:117]
	s_waitcnt vmcnt(14) lgkmcnt(0)
	v_mul_f64 v[116:117], v[106:107], v[232:233]
	s_waitcnt vmcnt(12)
	v_fmac_f64_e32 v[116:117], v[108:109], v[234:235]
	v_add_f64 v[114:115], v[114:115], v[116:117]
	s_waitcnt vmcnt(9)
	v_mul_f64 v[116:117], v[102:103], v[238:239]
	s_waitcnt vmcnt(7)
	v_fmac_f64_e32 v[116:117], v[104:105], v[240:241]
	v_add_f64 v[114:115], v[114:115], v[116:117]
	s_waitcnt vmcnt(5)
	v_mul_f64 v[116:117], v[110:111], v[230:231]
	s_waitcnt vmcnt(4)
	v_fmac_f64_e32 v[116:117], v[112:113], v[236:237]
	v_add_f64 v[190:191], v[114:115], v[116:117]
	ds_read_b128 v[114:117], v1 offset:1296
	v_add_f64 v[2:3], v[2:3], v[4:5]
	v_mul_f64 v[4:5], v[20:21], v[144:145]
	v_fma_f64 v[4:5], v[18:19], v[146:147], -v[4:5]
	v_add_f64 v[2:3], v[2:3], v[4:5]
	v_mul_f64 v[4:5], v[24:25], v[136:137]
	v_fma_f64 v[4:5], v[22:23], v[138:139], -v[4:5]
	;; [unrolled: 3-line block ×21, first 2 shown]
	v_add_f64 v[2:3], v[2:3], v[4:5]
	s_waitcnt vmcnt(2) lgkmcnt(0)
	v_mul_f64 v[246:247], v[114:115], v[242:243]
	v_mul_f64 v[4:5], v[108:109], v[232:233]
	s_waitcnt vmcnt(0)
	v_fmac_f64_e32 v[246:247], v[116:117], v[244:245]
	v_add_f64 v[190:191], v[190:191], v[246:247]
	buffer_load_dword v248, off, s[0:3], 0 offset:80
	buffer_load_dword v249, off, s[0:3], 0 offset:84
	;; [unrolled: 1-line block ×4, first 2 shown]
	v_fma_f64 v[4:5], v[106:107], v[234:235], -v[4:5]
	v_add_f64 v[2:3], v[2:3], v[4:5]
	v_mul_f64 v[4:5], v[104:105], v[238:239]
	v_fma_f64 v[4:5], v[102:103], v[240:241], -v[4:5]
	v_add_f64 v[2:3], v[2:3], v[4:5]
	v_mul_f64 v[4:5], v[112:113], v[230:231]
	;; [unrolled: 3-line block ×3, first 2 shown]
	v_fma_f64 v[4:5], v[114:115], v[244:245], -v[4:5]
	v_add_f64 v[2:3], v[2:3], v[4:5]
	s_waitcnt vmcnt(2)
	v_add_f64 v[2:3], v[248:249], -v[2:3]
	s_waitcnt vmcnt(0)
	v_add_f64 v[4:5], v[246:247], -v[190:191]
	buffer_store_dword v3, off, s[0:3], 0 offset:84
	buffer_store_dword v2, off, s[0:3], 0 offset:80
	;; [unrolled: 1-line block ×4, first 2 shown]
	s_and_saveexec_b64 s[4:5], vcc
	s_cbranch_execz .LBB40_253
; %bb.252:
	v_accvgpr_read_b32 v0, a119
	buffer_load_dword v2, v0, s[0:3], 0 offen
	buffer_load_dword v3, v0, s[0:3], 0 offen offset:4
	buffer_load_dword v4, v0, s[0:3], 0 offen offset:8
	;; [unrolled: 1-line block ×3, first 2 shown]
	v_mov_b32_e32 v0, 0
	v_accvgpr_read_b32 v1, a123
	buffer_store_dword v0, off, s[0:3], 0 offset:64
	buffer_store_dword v0, off, s[0:3], 0 offset:68
	;; [unrolled: 1-line block ×4, first 2 shown]
	s_waitcnt vmcnt(4)
	ds_write_b128 v1, v[2:5]
.LBB40_253:
	s_or_b64 exec, exec, s[4:5]
	s_waitcnt lgkmcnt(0)
	; wave barrier
	s_waitcnt lgkmcnt(0)
	buffer_load_dword v66, off, s[0:3], 0 offset:80
	buffer_load_dword v67, off, s[0:3], 0 offset:84
	;; [unrolled: 1-line block ×55, first 2 shown]
	v_mov_b32_e32 v1, 0
	ds_read_b128 v[74:77], v1 offset:720
	ds_read_b128 v[86:89], v1 offset:736
	;; [unrolled: 1-line block ×9, first 2 shown]
	buffer_load_dword v138, off, s[0:3], 0 offset:304
	buffer_load_dword v157, off, s[0:3], 0 offset:300
	;; [unrolled: 1-line block ×61, first 2 shown]
	v_accvgpr_read_b32 v0, a122
	v_cmp_lt_u32_e32 vcc, 2, v0
	s_waitcnt vmcnt(62) lgkmcnt(8)
	v_mul_f64 v[6:7], v[74:75], v[68:69]
	v_fmac_f64_e32 v[6:7], v[76:77], v[66:67]
	v_add_f64 v[6:7], v[6:7], 0
	v_mul_f64 v[68:69], v[76:77], v[68:69]
	s_waitcnt lgkmcnt(7)
	v_mul_f64 v[8:9], v[86:87], v[72:73]
	v_fmac_f64_e32 v[8:9], v[88:89], v[70:71]
	s_waitcnt lgkmcnt(6)
	v_mul_f64 v[10:11], v[98:99], v[78:79]
	v_add_f64 v[6:7], v[6:7], v[8:9]
	s_waitcnt lgkmcnt(4)
	v_mul_f64 v[14:15], v[114:115], v[90:91]
	v_fma_f64 v[192:193], v[74:75], v[66:67], -v[68:69]
	v_fmac_f64_e32 v[14:15], v[116:117], v[92:93]
	v_mul_f64 v[72:73], v[88:89], v[72:73]
	v_mul_f64 v[12:13], v[110:111], v[82:83]
	;; [unrolled: 1-line block ×3, first 2 shown]
	s_waitcnt lgkmcnt(2)
	v_mul_f64 v[18:19], v[244:245], v[102:103]
	v_mul_f64 v[82:83], v[112:113], v[82:83]
	;; [unrolled: 1-line block ×4, first 2 shown]
	v_fma_f64 v[198:199], v[114:115], v[92:93], -v[90:91]
	s_waitcnt lgkmcnt(1)
	v_mul_f64 v[20:21], v[248:249], v[106:107]
	v_fmac_f64_e32 v[20:21], v[250:251], v[108:109]
	v_fmac_f64_e32 v[10:11], v[100:101], v[80:81]
	v_add_f64 v[6:7], v[6:7], v[10:11]
	v_fmac_f64_e32 v[12:13], v[112:113], v[84:85]
	v_add_f64 v[6:7], v[6:7], v[12:13]
	;; [unrolled: 2-line block ×4, first 2 shown]
	v_add_f64 v[6:7], v[6:7], v[18:19]
	v_add_f64 v[10:11], v[6:7], v[20:21]
	ds_read_b128 v[6:9], v1 offset:864
	s_waitcnt lgkmcnt(1)
	v_mul_f64 v[12:13], v[2:3], v[120:121]
	v_fmac_f64_e32 v[12:13], v[4:5], v[122:123]
	v_add_f64 v[14:15], v[10:11], v[12:13]
	ds_read_b128 v[10:13], v1 offset:880
	s_waitcnt lgkmcnt(1)
	v_mul_f64 v[16:17], v[6:7], v[128:129]
	v_fmac_f64_e32 v[16:17], v[8:9], v[130:131]
	;; [unrolled: 5-line block ×5, first 2 shown]
	v_add_f64 v[30:31], v[26:27], v[28:29]
	ds_read_b128 v[26:29], v1 offset:944
	s_waitcnt vmcnt(58) lgkmcnt(1)
	v_mul_f64 v[32:33], v[22:23], v[156:157]
	s_waitcnt vmcnt(56)
	v_fmac_f64_e32 v[32:33], v[24:25], v[160:161]
	v_add_f64 v[34:35], v[30:31], v[32:33]
	ds_read_b128 v[30:33], v1 offset:960
	s_waitcnt lgkmcnt(1)
	v_mul_f64 v[36:37], v[26:27], v[136:137]
	v_fmac_f64_e32 v[36:37], v[28:29], v[138:139]
	v_add_f64 v[38:39], v[34:35], v[36:37]
	ds_read_b128 v[34:37], v1 offset:976
	s_waitcnt vmcnt(50) lgkmcnt(1)
	v_mul_f64 v[40:41], v[30:31], v[164:165]
	s_waitcnt vmcnt(48)
	v_fmac_f64_e32 v[40:41], v[32:33], v[168:169]
	v_add_f64 v[42:43], v[38:39], v[40:41]
	ds_read_b128 v[38:41], v1 offset:992
	s_waitcnt lgkmcnt(1)
	v_mul_f64 v[44:45], v[34:35], v[144:145]
	v_fmac_f64_e32 v[44:45], v[36:37], v[146:147]
	v_add_f64 v[46:47], v[42:43], v[44:45]
	ds_read_b128 v[42:45], v1 offset:1008
	s_waitcnt vmcnt(42) lgkmcnt(1)
	v_mul_f64 v[48:49], v[38:39], v[172:173]
	s_waitcnt vmcnt(40)
	v_fmac_f64_e32 v[48:49], v[40:41], v[176:177]
	v_add_f64 v[50:51], v[46:47], v[48:49]
	ds_read_b128 v[46:49], v1 offset:1024
	buffer_load_dword v219, off, s[0:3], 0 offset:556
	buffer_load_dword v218, off, s[0:3], 0 offset:552
	;; [unrolled: 1-line block ×4, first 2 shown]
	s_waitcnt lgkmcnt(1)
	v_mul_f64 v[52:53], v[42:43], v[148:149]
	v_fmac_f64_e32 v[52:53], v[44:45], v[150:151]
	v_add_f64 v[54:55], v[50:51], v[52:53]
	ds_read_b128 v[50:53], v1 offset:1040
	buffer_load_dword v221, off, s[0:3], 0 offset:572
	buffer_load_dword v220, off, s[0:3], 0 offset:568
	;; [unrolled: 1-line block ×8, first 2 shown]
	s_waitcnt vmcnt(46) lgkmcnt(1)
	v_mul_f64 v[56:57], v[46:47], v[180:181]
	s_waitcnt vmcnt(44)
	v_fmac_f64_e32 v[56:57], v[48:49], v[184:185]
	v_add_f64 v[58:59], v[54:55], v[56:57]
	ds_read_b128 v[54:57], v1 offset:1056
	buffer_load_dword v231, off, s[0:3], 0 offset:604
	buffer_load_dword v230, off, s[0:3], 0 offset:600
	;; [unrolled: 1-line block ×12, first 2 shown]
	s_waitcnt lgkmcnt(1)
	v_mul_f64 v[60:61], v[50:51], v[152:153]
	v_fmac_f64_e32 v[60:61], v[52:53], v[154:155]
	v_add_f64 v[62:63], v[58:59], v[60:61]
	ds_read_b128 v[58:61], v1 offset:1072
	s_waitcnt vmcnt(50) lgkmcnt(1)
	v_mul_f64 v[64:65], v[54:55], v[202:203]
	s_waitcnt vmcnt(48)
	v_fmac_f64_e32 v[64:65], v[56:57], v[204:205]
	v_add_f64 v[62:63], v[62:63], v[64:65]
	buffer_load_dword v241, off, s[0:3], 0 offset:652
	buffer_load_dword v240, off, s[0:3], 0 offset:648
	;; [unrolled: 1-line block ×4, first 2 shown]
	s_waitcnt lgkmcnt(0)
	v_mul_f64 v[64:65], v[58:59], v[158:159]
	v_fmac_f64_e32 v[64:65], v[60:61], v[162:163]
	v_add_f64 v[118:119], v[62:63], v[64:65]
	ds_read_b128 v[62:65], v1 offset:1088
	ds_read_b128 v[66:69], v1 offset:1104
	v_fma_f64 v[194:195], v[98:99], v[80:81], -v[78:79]
	ds_read_b128 v[78:81], v1 offset:1152
	v_fma_f64 v[196:197], v[110:111], v[84:85], -v[82:83]
	ds_read_b128 v[82:85], v1 offset:1168
	s_waitcnt vmcnt(46) lgkmcnt(3)
	v_mul_f64 v[74:75], v[62:63], v[206:207]
	s_waitcnt vmcnt(44)
	v_fmac_f64_e32 v[74:75], v[64:65], v[208:209]
	v_add_f64 v[74:75], v[118:119], v[74:75]
	v_fma_f64 v[118:119], v[86:87], v[70:71], -v[72:73]
	ds_read_b128 v[70:73], v1 offset:1120
	s_waitcnt lgkmcnt(3)
	v_mul_f64 v[76:77], v[66:67], v[166:167]
	v_fmac_f64_e32 v[76:77], v[68:69], v[170:171]
	v_add_f64 v[86:87], v[74:75], v[76:77]
	ds_read_b128 v[74:77], v1 offset:1136
	s_waitcnt vmcnt(38) lgkmcnt(1)
	v_mul_f64 v[88:89], v[70:71], v[210:211]
	s_waitcnt vmcnt(36)
	v_fmac_f64_e32 v[88:89], v[72:73], v[212:213]
	v_add_f64 v[86:87], v[86:87], v[88:89]
	ds_read_b128 v[90:93], v1 offset:1200
	s_waitcnt lgkmcnt(1)
	v_mul_f64 v[88:89], v[74:75], v[174:175]
	v_fmac_f64_e32 v[88:89], v[76:77], v[178:179]
	v_add_f64 v[86:87], v[86:87], v[88:89]
	s_waitcnt vmcnt(30)
	v_mul_f64 v[88:89], v[78:79], v[214:215]
	s_waitcnt vmcnt(28)
	v_fmac_f64_e32 v[88:89], v[80:81], v[216:217]
	v_add_f64 v[86:87], v[86:87], v[88:89]
	v_mul_f64 v[88:89], v[82:83], v[182:183]
	v_fmac_f64_e32 v[88:89], v[84:85], v[200:201]
	v_add_f64 v[98:99], v[86:87], v[88:89]
	ds_read_b128 v[86:89], v1 offset:1184
	v_mul_f64 v[94:95], v[190:191], v[94:95]
	v_fma_f64 v[252:253], v[188:189], v[96:97], -v[94:95]
	ds_read_b128 v[94:97], v1 offset:1216
	v_mul_f64 v[102:103], v[246:247], v[102:103]
	v_fma_f64 v[254:255], v[244:245], v[104:105], -v[102:103]
	;; [unrolled: 3-line block ×3, first 2 shown]
	v_add_f64 v[192:193], v[192:193], 0
	v_add_f64 v[118:119], v[192:193], v[118:119]
	;; [unrolled: 1-line block ×7, first 2 shown]
	v_mul_f64 v[4:5], v[4:5], v[120:121]
	v_add_f64 v[118:119], v[252:253], v[190:191]
	v_fma_f64 v[2:3], v[2:3], v[122:123], -v[4:5]
	v_mul_f64 v[4:5], v[8:9], v[128:129]
	v_add_f64 v[2:3], v[118:119], v[2:3]
	v_fma_f64 v[4:5], v[6:7], v[130:131], -v[4:5]
	v_add_f64 v[2:3], v[2:3], v[4:5]
	ds_read_b128 v[106:109], v1 offset:1264
	v_mul_f64 v[4:5], v[12:13], v[124:125]
	v_fma_f64 v[4:5], v[10:11], v[126:127], -v[4:5]
	v_add_f64 v[2:3], v[2:3], v[4:5]
	s_waitcnt vmcnt(26) lgkmcnt(3)
	v_mul_f64 v[100:101], v[86:87], v[218:219]
	v_mul_f64 v[4:5], v[16:17], v[140:141]
	s_waitcnt vmcnt(24)
	v_fmac_f64_e32 v[100:101], v[88:89], v[186:187]
	v_add_f64 v[98:99], v[98:99], v[100:101]
	s_waitcnt vmcnt(22)
	v_mul_f64 v[100:101], v[90:91], v[220:221]
	s_waitcnt vmcnt(20)
	v_fmac_f64_e32 v[100:101], v[92:93], v[224:225]
	v_add_f64 v[98:99], v[98:99], v[100:101]
	s_waitcnt vmcnt(18) lgkmcnt(2)
	v_mul_f64 v[100:101], v[94:95], v[222:223]
	s_waitcnt vmcnt(16)
	v_fmac_f64_e32 v[100:101], v[96:97], v[226:227]
	v_add_f64 v[110:111], v[98:99], v[100:101]
	ds_read_b128 v[98:101], v1 offset:1232
	v_fma_f64 v[4:5], v[14:15], v[142:143], -v[4:5]
	v_add_f64 v[2:3], v[2:3], v[4:5]
	v_mul_f64 v[4:5], v[20:21], v[132:133]
	v_fma_f64 v[4:5], v[18:19], v[134:135], -v[4:5]
	s_waitcnt vmcnt(14) lgkmcnt(0)
	v_mul_f64 v[112:113], v[98:99], v[230:231]
	s_waitcnt vmcnt(12)
	v_fmac_f64_e32 v[112:113], v[100:101], v[232:233]
	v_add_f64 v[110:111], v[110:111], v[112:113]
	s_waitcnt vmcnt(9)
	v_mul_f64 v[112:113], v[102:103], v[236:237]
	s_waitcnt vmcnt(7)
	v_fmac_f64_e32 v[112:113], v[104:105], v[238:239]
	v_add_f64 v[110:111], v[110:111], v[112:113]
	s_waitcnt vmcnt(5)
	v_mul_f64 v[112:113], v[106:107], v[228:229]
	s_waitcnt vmcnt(4)
	v_fmac_f64_e32 v[112:113], v[108:109], v[234:235]
	v_add_f64 v[114:115], v[110:111], v[112:113]
	ds_read_b128 v[110:113], v1 offset:1280
	buffer_load_dword v244, off, s[0:3], 0 offset:664
	buffer_load_dword v245, off, s[0:3], 0 offset:668
	;; [unrolled: 1-line block ×4, first 2 shown]
	v_add_f64 v[2:3], v[2:3], v[4:5]
	v_mul_f64 v[4:5], v[24:25], v[156:157]
	v_fma_f64 v[4:5], v[22:23], v[160:161], -v[4:5]
	s_waitcnt vmcnt(6) lgkmcnt(0)
	v_mul_f64 v[116:117], v[110:111], v[240:241]
	s_waitcnt vmcnt(4)
	v_fmac_f64_e32 v[116:117], v[112:113], v[242:243]
	v_add_f64 v[188:189], v[114:115], v[116:117]
	ds_read_b128 v[114:117], v1 offset:1296
	buffer_load_dword v250, off, s[0:3], 0 offset:64
	buffer_load_dword v251, off, s[0:3], 0 offset:68
	v_add_f64 v[2:3], v[2:3], v[4:5]
	v_mul_f64 v[4:5], v[28:29], v[136:137]
	v_fma_f64 v[4:5], v[26:27], v[138:139], -v[4:5]
	v_add_f64 v[2:3], v[2:3], v[4:5]
	v_mul_f64 v[4:5], v[32:33], v[164:165]
	v_fma_f64 v[4:5], v[30:31], v[168:169], -v[4:5]
	;; [unrolled: 3-line block ×22, first 2 shown]
	v_add_f64 v[2:3], v[2:3], v[4:5]
	s_waitcnt vmcnt(4) lgkmcnt(0)
	v_mul_f64 v[248:249], v[114:115], v[244:245]
	v_mul_f64 v[4:5], v[116:117], v[244:245]
	s_waitcnt vmcnt(2)
	v_fmac_f64_e32 v[248:249], v[116:117], v[246:247]
	v_add_f64 v[188:189], v[188:189], v[248:249]
	buffer_load_dword v248, off, s[0:3], 0 offset:72
	buffer_load_dword v249, off, s[0:3], 0 offset:76
	v_fma_f64 v[4:5], v[114:115], v[246:247], -v[4:5]
	v_add_f64 v[2:3], v[2:3], v[4:5]
	s_waitcnt vmcnt(2)
	v_add_f64 v[2:3], v[250:251], -v[2:3]
	s_waitcnt vmcnt(0)
	v_add_f64 v[4:5], v[248:249], -v[188:189]
	buffer_store_dword v3, off, s[0:3], 0 offset:68
	buffer_store_dword v2, off, s[0:3], 0 offset:64
	;; [unrolled: 1-line block ×4, first 2 shown]
	s_and_saveexec_b64 s[4:5], vcc
	s_cbranch_execz .LBB40_255
; %bb.254:
	v_accvgpr_read_b32 v0, a120
	buffer_load_dword v2, v0, s[0:3], 0 offen
	buffer_load_dword v3, v0, s[0:3], 0 offen offset:4
	buffer_load_dword v4, v0, s[0:3], 0 offen offset:8
	;; [unrolled: 1-line block ×3, first 2 shown]
	v_accvgpr_read_b32 v0, a123
	buffer_store_dword v1, off, s[0:3], 0 offset:48
	buffer_store_dword v1, off, s[0:3], 0 offset:52
	;; [unrolled: 1-line block ×4, first 2 shown]
	s_waitcnt vmcnt(4)
	ds_write_b128 v0, v[2:5]
.LBB40_255:
	s_or_b64 exec, exec, s[4:5]
	s_waitcnt lgkmcnt(0)
	; wave barrier
	s_waitcnt lgkmcnt(0)
	buffer_load_dword v66, off, s[0:3], 0 offset:64
	buffer_load_dword v67, off, s[0:3], 0 offset:68
	;; [unrolled: 1-line block ×42, first 2 shown]
	ds_read_b128 v[78:81], v1 offset:704
	ds_read_b128 v[90:93], v1 offset:720
	;; [unrolled: 1-line block ×10, first 2 shown]
	buffer_load_dword v129, off, s[0:3], 0 offset:212
	buffer_load_dword v128, off, s[0:3], 0 offset:208
	ds_read_b128 v[6:9], v1 offset:864
	buffer_load_dword v125, off, s[0:3], 0 offset:268
	buffer_load_dword v124, off, s[0:3], 0 offset:264
	;; [unrolled: 1-line block ×80, first 2 shown]
	s_waitcnt vmcnt(62) lgkmcnt(10)
	v_mul_f64 v[10:11], v[78:79], v[68:69]
	v_fmac_f64_e32 v[10:11], v[80:81], v[66:67]
	v_add_f64 v[10:11], v[10:11], 0
	v_mul_f64 v[68:69], v[80:81], v[68:69]
	s_waitcnt lgkmcnt(9)
	v_mul_f64 v[12:13], v[90:91], v[64:65]
	v_fmac_f64_e32 v[12:13], v[92:93], v[62:63]
	s_waitcnt lgkmcnt(8)
	v_mul_f64 v[14:15], v[102:103], v[70:71]
	v_add_f64 v[10:11], v[10:11], v[12:13]
	s_waitcnt lgkmcnt(6)
	v_mul_f64 v[18:19], v[114:115], v[82:83]
	v_mul_f64 v[64:65], v[92:93], v[64:65]
	v_fmac_f64_e32 v[18:19], v[116:117], v[84:85]
	v_fma_f64 v[196:197], v[90:91], v[62:63], -v[64:65]
	v_mul_f64 v[16:17], v[110:111], v[74:75]
	v_fma_f64 v[194:195], v[78:79], v[66:67], -v[68:69]
	s_waitcnt lgkmcnt(4)
	v_mul_f64 v[22:23], v[246:247], v[94:95]
	v_mul_f64 v[70:71], v[104:105], v[70:71]
	v_fmac_f64_e32 v[22:23], v[248:249], v[96:97]
	v_mul_f64 v[74:75], v[112:113], v[74:75]
	v_mul_f64 v[20:21], v[186:187], v[86:87]
	v_mul_f64 v[82:83], v[116:117], v[82:83]
	s_waitcnt lgkmcnt(2)
	v_mul_f64 v[26:27], v[190:191], v[106:107]
	v_fma_f64 v[254:255], v[114:115], v[84:85], -v[82:83]
	v_mul_f64 v[86:87], v[188:189], v[86:87]
	v_mul_f64 v[24:25], v[250:251], v[98:99]
	;; [unrolled: 1-line block ×3, first 2 shown]
	s_waitcnt lgkmcnt(1)
	v_mul_f64 v[28:29], v[120:121], v[2:3]
	v_accvgpr_write_b32 a125, v3
	v_fmac_f64_e32 v[14:15], v[104:105], v[72:73]
	v_add_f64 v[10:11], v[10:11], v[14:15]
	v_fmac_f64_e32 v[16:17], v[112:113], v[76:77]
	v_add_f64 v[10:11], v[10:11], v[16:17]
	;; [unrolled: 2-line block ×3, first 2 shown]
	v_add_f64 v[10:11], v[10:11], v[20:21]
	v_fmac_f64_e32 v[24:25], v[252:253], v[100:101]
	v_add_f64 v[10:11], v[10:11], v[22:23]
	v_fmac_f64_e32 v[26:27], v[192:193], v[108:109]
	v_add_f64 v[10:11], v[10:11], v[24:25]
	v_add_f64 v[10:11], v[10:11], v[26:27]
	s_waitcnt lgkmcnt(0)
	v_mul_f64 v[16:17], v[6:7], v[4:5]
	v_fmac_f64_e32 v[28:29], v[122:123], v[128:129]
	v_add_f64 v[14:15], v[10:11], v[28:29]
	ds_read_b128 v[10:13], v1 offset:880
	v_fmac_f64_e32 v[16:17], v[8:9], v[200:201]
	v_add_f64 v[18:19], v[14:15], v[16:17]
	ds_read_b128 v[14:17], v1 offset:896
	v_fma_f64 v[198:199], v[110:111], v[76:77], -v[74:75]
	s_waitcnt lgkmcnt(1)
	v_mul_f64 v[20:21], v[10:11], v[130:131]
	v_fmac_f64_e32 v[20:21], v[12:13], v[146:147]
	v_add_f64 v[22:23], v[18:19], v[20:21]
	ds_read_b128 v[18:21], v1 offset:912
	s_waitcnt lgkmcnt(1)
	v_mul_f64 v[24:25], v[14:15], v[124:125]
	v_fmac_f64_e32 v[24:25], v[16:17], v[126:127]
	v_add_f64 v[26:27], v[22:23], v[24:25]
	ds_read_b128 v[22:25], v1 offset:928
	;; [unrolled: 5-line block ×4, first 2 shown]
	s_waitcnt vmcnt(58) lgkmcnt(1)
	v_mul_f64 v[36:37], v[26:27], v[158:159]
	s_waitcnt vmcnt(56)
	v_fmac_f64_e32 v[36:37], v[28:29], v[162:163]
	v_add_f64 v[38:39], v[34:35], v[36:37]
	ds_read_b128 v[34:37], v1 offset:976
	s_waitcnt lgkmcnt(1)
	v_mul_f64 v[40:41], v[30:31], v[136:137]
	v_fmac_f64_e32 v[40:41], v[32:33], v[138:139]
	v_add_f64 v[42:43], v[38:39], v[40:41]
	ds_read_b128 v[38:41], v1 offset:992
	s_waitcnt vmcnt(50) lgkmcnt(1)
	v_mul_f64 v[44:45], v[34:35], v[166:167]
	s_waitcnt vmcnt(48)
	v_fmac_f64_e32 v[44:45], v[36:37], v[170:171]
	v_add_f64 v[46:47], v[42:43], v[44:45]
	ds_read_b128 v[42:45], v1 offset:1008
	s_waitcnt lgkmcnt(1)
	v_mul_f64 v[48:49], v[38:39], v[140:141]
	v_fmac_f64_e32 v[48:49], v[40:41], v[142:143]
	v_add_f64 v[50:51], v[46:47], v[48:49]
	ds_read_b128 v[46:49], v1 offset:1024
	s_waitcnt vmcnt(42) lgkmcnt(1)
	v_mul_f64 v[52:53], v[42:43], v[204:205]
	s_waitcnt vmcnt(40)
	v_fmac_f64_e32 v[52:53], v[44:45], v[208:209]
	v_add_f64 v[54:55], v[50:51], v[52:53]
	ds_read_b128 v[50:53], v1 offset:1040
	s_waitcnt lgkmcnt(1)
	v_mul_f64 v[56:57], v[46:47], v[144:145]
	buffer_load_dword v173, off, s[0:3], 0 offset:572
	buffer_load_dword v172, off, s[0:3], 0 offset:568
	;; [unrolled: 1-line block ×4, first 2 shown]
	v_fmac_f64_e32 v[56:57], v[48:49], v[148:149]
	v_add_f64 v[58:59], v[54:55], v[56:57]
	ds_read_b128 v[54:57], v1 offset:1056
	buffer_load_dword v178, off, s[0:3], 0 offset:584
	buffer_load_dword v180, off, s[0:3], 0 offset:576
	;; [unrolled: 1-line block ×16, first 2 shown]
	s_waitcnt vmcnt(54) lgkmcnt(1)
	v_mul_f64 v[60:61], v[50:51], v[212:213]
	s_waitcnt vmcnt(52)
	v_fmac_f64_e32 v[60:61], v[52:53], v[216:217]
	v_add_f64 v[118:119], v[58:59], v[60:61]
	ds_read_b128 v[58:61], v1 offset:1072
	buffer_load_dword v242, off, s[0:3], 0 offset:648
	buffer_load_dword v244, off, s[0:3], 0 offset:640
	;; [unrolled: 1-line block ×4, first 2 shown]
	ds_read_b128 v[62:65], v1 offset:1088
	s_waitcnt lgkmcnt(2)
	v_mul_f64 v[66:67], v[54:55], v[152:153]
	v_fmac_f64_e32 v[66:67], v[56:57], v[156:157]
	s_waitcnt vmcnt(50) lgkmcnt(1)
	v_mul_f64 v[68:69], v[58:59], v[220:221]
	v_add_f64 v[66:67], v[118:119], v[66:67]
	s_waitcnt vmcnt(48)
	v_fmac_f64_e32 v[68:69], v[60:61], v[222:223]
	v_add_f64 v[66:67], v[66:67], v[68:69]
	v_fma_f64 v[118:119], v[102:103], v[72:73], -v[70:71]
	ds_read_b128 v[70:73], v1 offset:1120
	s_waitcnt lgkmcnt(1)
	v_mul_f64 v[68:69], v[62:63], v[160:161]
	v_fmac_f64_e32 v[68:69], v[64:65], v[164:165]
	v_add_f64 v[78:79], v[66:67], v[68:69]
	ds_read_b128 v[66:69], v1 offset:1104
	ds_read_b128 v[74:77], v1 offset:1136
	;; [unrolled: 1-line block ×3, first 2 shown]
	v_accvgpr_write_b32 a124, v2
	v_fma_f64 v[2:3], v[186:187], v[88:89], -v[86:87]
	s_waitcnt vmcnt(42) lgkmcnt(2)
	v_mul_f64 v[80:81], v[66:67], v[224:225]
	s_waitcnt vmcnt(40)
	v_fmac_f64_e32 v[80:81], v[68:69], v[226:227]
	v_add_f64 v[78:79], v[78:79], v[80:81]
	v_mul_f64 v[80:81], v[70:71], v[168:169]
	v_fmac_f64_e32 v[80:81], v[72:73], v[202:203]
	v_add_f64 v[90:91], v[78:79], v[80:81]
	ds_read_b128 v[78:81], v1 offset:1152
	s_waitcnt vmcnt(34) lgkmcnt(2)
	v_mul_f64 v[92:93], v[74:75], v[228:229]
	s_waitcnt vmcnt(32)
	v_fmac_f64_e32 v[92:93], v[76:77], v[230:231]
	ds_read_b128 v[86:89], v1 offset:1184
	v_add_f64 v[90:91], v[90:91], v[92:93]
	s_waitcnt lgkmcnt(1)
	v_mul_f64 v[92:93], v[78:79], v[206:207]
	v_fmac_f64_e32 v[92:93], v[80:81], v[210:211]
	v_add_f64 v[90:91], v[90:91], v[92:93]
	s_waitcnt vmcnt(26)
	v_mul_f64 v[92:93], v[82:83], v[232:233]
	s_waitcnt vmcnt(24)
	v_fmac_f64_e32 v[92:93], v[84:85], v[234:235]
	v_add_f64 v[90:91], v[90:91], v[92:93]
	v_fma_f64 v[248:249], v[246:247], v[96:97], -v[94:95]
	ds_read_b128 v[94:97], v1 offset:1216
	s_waitcnt lgkmcnt(1)
	v_mul_f64 v[92:93], v[86:87], v[214:215]
	v_fmac_f64_e32 v[92:93], v[88:89], v[218:219]
	v_add_f64 v[102:103], v[90:91], v[92:93]
	ds_read_b128 v[90:93], v1 offset:1200
	v_mul_f64 v[98:99], v[252:253], v[98:99]
	v_fma_f64 v[252:253], v[250:251], v[100:101], -v[98:99]
	ds_read_b128 v[98:101], v1 offset:1232
	v_mul_f64 v[106:107], v[192:193], v[106:107]
	v_fma_f64 v[192:193], v[190:191], v[108:109], -v[106:107]
	v_mul_f64 v[4:5], v[8:9], v[4:5]
	v_fma_f64 v[4:5], v[6:7], v[200:201], -v[4:5]
	ds_read_b128 v[106:109], v1 offset:1264
	s_waitcnt vmcnt(13) lgkmcnt(1)
	v_mul_f64 v[112:113], v[98:99], v[182:183]
	v_mul_f64 v[104:105], v[90:91], v[172:173]
	s_waitcnt vmcnt(11)
	v_fmac_f64_e32 v[112:113], v[100:101], v[238:239]
	v_fmac_f64_e32 v[104:105], v[92:93], v[174:175]
	v_add_f64 v[102:103], v[102:103], v[104:105]
	v_mul_f64 v[104:105], v[94:95], v[178:179]
	v_fmac_f64_e32 v[104:105], v[96:97], v[180:181]
	v_add_f64 v[110:111], v[102:103], v[104:105]
	ds_read_b128 v[102:105], v1 offset:1248
	v_add_f64 v[110:111], v[110:111], v[112:113]
	s_waitcnt vmcnt(10) lgkmcnt(0)
	v_mul_f64 v[112:113], v[102:103], v[176:177]
	s_waitcnt vmcnt(8)
	v_fmac_f64_e32 v[112:113], v[104:105], v[236:237]
	v_add_f64 v[110:111], v[110:111], v[112:113]
	s_waitcnt vmcnt(6)
	v_mul_f64 v[112:113], v[106:107], v[184:185]
	s_waitcnt vmcnt(4)
	v_fmac_f64_e32 v[112:113], v[108:109], v[240:241]
	v_add_f64 v[114:115], v[110:111], v[112:113]
	ds_read_b128 v[110:113], v1 offset:1280
	buffer_load_dword v189, off, s[0:3], 0 offset:668
	buffer_load_dword v188, off, s[0:3], 0 offset:664
	;; [unrolled: 1-line block ×4, first 2 shown]
	s_waitcnt vmcnt(5) lgkmcnt(0)
	v_mul_f64 v[116:117], v[110:111], v[242:243]
	s_waitcnt vmcnt(4)
	v_fmac_f64_e32 v[116:117], v[112:113], v[244:245]
	v_add_f64 v[186:187], v[114:115], v[116:117]
	ds_read_b128 v[114:117], v1 offset:1296
	v_accvgpr_read_b32 v0, a124
	v_accvgpr_read_b32 v1, a125
	s_waitcnt vmcnt(2) lgkmcnt(0)
	v_mul_f64 v[190:191], v[114:115], v[188:189]
	s_waitcnt vmcnt(0)
	v_fmac_f64_e32 v[190:191], v[116:117], v[246:247]
	v_add_f64 v[186:187], v[186:187], v[190:191]
	v_add_f64 v[190:191], v[194:195], 0
	;; [unrolled: 1-line block ×8, first 2 shown]
	buffer_load_dword v250, off, s[0:3], 0 offset:48
	buffer_load_dword v251, off, s[0:3], 0 offset:52
	;; [unrolled: 1-line block ×4, first 2 shown]
	v_add_f64 v[2:3], v[190:191], v[252:253]
	v_mul_f64 v[118:119], v[122:123], v[0:1]
	v_add_f64 v[2:3], v[2:3], v[192:193]
	v_fma_f64 v[118:119], v[120:121], v[128:129], -v[118:119]
	v_add_f64 v[2:3], v[2:3], v[118:119]
	v_add_f64 v[2:3], v[2:3], v[4:5]
	v_mul_f64 v[4:5], v[12:13], v[130:131]
	v_fma_f64 v[4:5], v[10:11], v[146:147], -v[4:5]
	v_add_f64 v[2:3], v[2:3], v[4:5]
	v_mul_f64 v[4:5], v[16:17], v[124:125]
	v_fma_f64 v[4:5], v[14:15], v[126:127], -v[4:5]
	;; [unrolled: 3-line block ×27, first 2 shown]
	v_add_f64 v[2:3], v[2:3], v[4:5]
	v_accvgpr_read_b32 v0, a122
	s_waitcnt vmcnt(2)
	v_add_f64 v[2:3], v[250:251], -v[2:3]
	v_cmp_lt_u32_e32 vcc, 1, v0
	s_waitcnt vmcnt(0)
	v_add_f64 v[4:5], v[248:249], -v[186:187]
	buffer_store_dword v3, off, s[0:3], 0 offset:52
	buffer_store_dword v2, off, s[0:3], 0 offset:48
	;; [unrolled: 1-line block ×4, first 2 shown]
	s_and_saveexec_b64 s[4:5], vcc
	s_cbranch_execz .LBB40_257
; %bb.256:
	v_accvgpr_read_b32 v0, a121
	buffer_load_dword v2, v0, s[0:3], 0 offen
	buffer_load_dword v3, v0, s[0:3], 0 offen offset:4
	buffer_load_dword v4, v0, s[0:3], 0 offen offset:8
	buffer_load_dword v5, v0, s[0:3], 0 offen offset:12
	v_mov_b32_e32 v0, 0
	v_accvgpr_read_b32 v1, a123
	buffer_store_dword v0, off, s[0:3], 0 offset:32
	buffer_store_dword v0, off, s[0:3], 0 offset:36
	;; [unrolled: 1-line block ×4, first 2 shown]
	s_waitcnt vmcnt(4)
	ds_write_b128 v1, v[2:5]
.LBB40_257:
	s_or_b64 exec, exec, s[4:5]
	s_waitcnt lgkmcnt(0)
	; wave barrier
	s_waitcnt lgkmcnt(0)
	buffer_load_dword v54, off, s[0:3], 0 offset:48
	buffer_load_dword v55, off, s[0:3], 0 offset:52
	;; [unrolled: 1-line block ×49, first 2 shown]
	v_mov_b32_e32 v190, 0
	ds_read_b128 v[62:65], v190 offset:688
	ds_read_b128 v[74:77], v190 offset:704
	;; [unrolled: 1-line block ×11, first 2 shown]
	buffer_load_dword v208, off, s[0:3], 0 offset:232
	buffer_load_dword v225, off, s[0:3], 0 offset:228
	;; [unrolled: 1-line block ×75, first 2 shown]
	s_waitcnt vmcnt(62) lgkmcnt(10)
	v_mul_f64 v[6:7], v[62:63], v[56:57]
	v_fmac_f64_e32 v[6:7], v[64:65], v[54:55]
	v_add_f64 v[6:7], v[6:7], 0
	v_mul_f64 v[56:57], v[64:65], v[56:57]
	s_waitcnt lgkmcnt(9)
	v_mul_f64 v[8:9], v[74:75], v[60:61]
	v_fmac_f64_e32 v[8:9], v[76:77], v[58:59]
	s_waitcnt lgkmcnt(8)
	v_mul_f64 v[10:11], v[86:87], v[66:67]
	v_add_f64 v[6:7], v[6:7], v[8:9]
	s_waitcnt lgkmcnt(6)
	v_mul_f64 v[14:15], v[110:111], v[78:79]
	v_fma_f64 v[188:189], v[62:63], v[54:55], -v[56:57]
	v_fmac_f64_e32 v[14:15], v[112:113], v[80:81]
	v_mul_f64 v[60:61], v[76:77], v[60:61]
	v_mul_f64 v[12:13], v[98:99], v[70:71]
	v_fma_f64 v[192:193], v[74:75], v[58:59], -v[60:61]
	s_waitcnt lgkmcnt(4)
	v_mul_f64 v[18:19], v[172:173], v[90:91]
	v_mul_f64 v[66:67], v[88:89], v[66:67]
	v_fmac_f64_e32 v[18:19], v[174:175], v[92:93]
	v_mul_f64 v[70:71], v[100:101], v[70:71]
	v_mul_f64 v[16:17], v[114:115], v[82:83]
	;; [unrolled: 1-line block ×3, first 2 shown]
	s_waitcnt lgkmcnt(2)
	v_mul_f64 v[22:23], v[180:181], v[102:103]
	v_fma_f64 v[196:197], v[110:111], v[80:81], -v[78:79]
	v_mul_f64 v[82:83], v[116:117], v[82:83]
	v_mul_f64 v[20:21], v[176:177], v[94:95]
	;; [unrolled: 1-line block ×3, first 2 shown]
	s_waitcnt lgkmcnt(1)
	v_mul_f64 v[24:25], v[184:185], v[106:107]
	v_fma_f64 v[2:3], v[172:173], v[92:93], -v[90:91]
	v_fmac_f64_e32 v[10:11], v[88:89], v[68:69]
	v_add_f64 v[6:7], v[6:7], v[10:11]
	v_fmac_f64_e32 v[12:13], v[100:101], v[72:73]
	v_add_f64 v[6:7], v[6:7], v[12:13]
	;; [unrolled: 2-line block ×3, first 2 shown]
	v_add_f64 v[6:7], v[6:7], v[16:17]
	v_fmac_f64_e32 v[20:21], v[178:179], v[96:97]
	v_add_f64 v[6:7], v[6:7], v[18:19]
	v_fmac_f64_e32 v[22:23], v[182:183], v[104:105]
	v_add_f64 v[6:7], v[6:7], v[20:21]
	v_add_f64 v[6:7], v[6:7], v[22:23]
	v_fmac_f64_e32 v[24:25], v[186:187], v[108:109]
	v_add_f64 v[10:11], v[6:7], v[24:25]
	ds_read_b128 v[6:9], v190 offset:864
	s_waitcnt lgkmcnt(1)
	v_mul_f64 v[12:13], v[200:201], v[4:5]
	v_fmac_f64_e32 v[12:13], v[202:203], v[0:1]
	v_add_f64 v[14:15], v[10:11], v[12:13]
	ds_read_b128 v[10:13], v190 offset:880
	s_waitcnt lgkmcnt(1)
	v_mul_f64 v[16:17], v[6:7], v[208:209]
	;; [unrolled: 5-line block ×5, first 2 shown]
	v_fmac_f64_e32 v[28:29], v[20:21], v[212:213]
	v_add_f64 v[30:31], v[26:27], v[28:29]
	ds_read_b128 v[26:29], v190 offset:944
	s_waitcnt vmcnt(58) lgkmcnt(1)
	v_mul_f64 v[32:33], v[22:23], v[236:237]
	s_waitcnt vmcnt(56)
	v_fmac_f64_e32 v[32:33], v[24:25], v[240:241]
	v_add_f64 v[34:35], v[30:31], v[32:33]
	ds_read_b128 v[30:33], v190 offset:960
	s_waitcnt lgkmcnt(1)
	v_mul_f64 v[36:37], v[26:27], v[214:215]
	v_fmac_f64_e32 v[36:37], v[28:29], v[216:217]
	v_add_f64 v[38:39], v[34:35], v[36:37]
	ds_read_b128 v[34:37], v190 offset:976
	s_waitcnt vmcnt(50) lgkmcnt(1)
	v_mul_f64 v[40:41], v[30:31], v[244:245]
	s_waitcnt vmcnt(48)
	v_fmac_f64_e32 v[40:41], v[32:33], v[248:249]
	v_add_f64 v[42:43], v[38:39], v[40:41]
	ds_read_b128 v[38:41], v190 offset:992
	s_waitcnt lgkmcnt(1)
	v_mul_f64 v[44:45], v[34:35], v[218:219]
	;; [unrolled: 11-line block ×3, first 2 shown]
	buffer_load_dword v149, off, s[0:3], 0 offset:556
	buffer_load_dword v148, off, s[0:3], 0 offset:552
	;; [unrolled: 1-line block ×4, first 2 shown]
	v_fmac_f64_e32 v[52:53], v[44:45], v[226:227]
	v_add_f64 v[118:119], v[50:51], v[52:53]
	ds_read_b128 v[50:53], v190 offset:1040
	buffer_load_dword v152, off, s[0:3], 0 offset:568
	buffer_load_dword v154, off, s[0:3], 0 offset:560
	;; [unrolled: 1-line block ×12, first 2 shown]
	s_waitcnt vmcnt(50) lgkmcnt(1)
	v_mul_f64 v[156:157], v[46:47], v[124:125]
	s_waitcnt vmcnt(48)
	v_fmac_f64_e32 v[156:157], v[48:49], v[128:129]
	v_add_f64 v[118:119], v[118:119], v[156:157]
	buffer_load_dword v156, off, s[0:3], 0 offset:632
	buffer_load_dword v169, off, s[0:3], 0 offset:620
	;; [unrolled: 1-line block ×8, first 2 shown]
	ds_read_b128 v[54:57], v190 offset:1056
	ds_read_b128 v[58:61], v190 offset:1072
	s_waitcnt lgkmcnt(2)
	v_mul_f64 v[62:63], v[50:51], v[230:231]
	v_fmac_f64_e32 v[62:63], v[52:53], v[234:235]
	v_add_f64 v[62:63], v[118:119], v[62:63]
	s_waitcnt vmcnt(50) lgkmcnt(1)
	v_mul_f64 v[64:65], v[54:55], v[132:133]
	s_waitcnt vmcnt(48)
	v_fmac_f64_e32 v[64:65], v[56:57], v[134:135]
	v_add_f64 v[62:63], v[62:63], v[64:65]
	s_waitcnt lgkmcnt(0)
	v_mul_f64 v[64:65], v[58:59], v[238:239]
	v_fmac_f64_e32 v[64:65], v[60:61], v[242:243]
	v_add_f64 v[74:75], v[62:63], v[64:65]
	ds_read_b128 v[62:65], v190 offset:1088
	v_fma_f64 v[118:119], v[86:87], v[68:69], -v[66:67]
	ds_read_b128 v[66:69], v190 offset:1104
	v_fma_f64 v[194:195], v[98:99], v[72:73], -v[70:71]
	ds_read_b128 v[70:73], v190 offset:1120
	s_waitcnt vmcnt(42) lgkmcnt(2)
	v_mul_f64 v[76:77], v[62:63], v[136:137]
	s_waitcnt vmcnt(40)
	v_fmac_f64_e32 v[76:77], v[64:65], v[138:139]
	v_add_f64 v[74:75], v[74:75], v[76:77]
	s_waitcnt lgkmcnt(1)
	v_mul_f64 v[76:77], v[66:67], v[246:247]
	v_fmac_f64_e32 v[76:77], v[68:69], v[250:251]
	v_add_f64 v[86:87], v[74:75], v[76:77]
	ds_read_b128 v[74:77], v190 offset:1136
	ds_read_b128 v[78:81], v190 offset:1152
	s_waitcnt vmcnt(34) lgkmcnt(2)
	v_mul_f64 v[88:89], v[70:71], v[140:141]
	s_waitcnt vmcnt(32)
	v_fmac_f64_e32 v[88:89], v[72:73], v[142:143]
	v_fma_f64 v[198:199], v[114:115], v[84:85], -v[82:83]
	ds_read_b128 v[82:85], v190 offset:1168
	v_add_f64 v[86:87], v[86:87], v[88:89]
	s_waitcnt lgkmcnt(2)
	v_mul_f64 v[88:89], v[74:75], v[254:255]
	v_fmac_f64_e32 v[88:89], v[76:77], v[122:123]
	v_add_f64 v[86:87], v[86:87], v[88:89]
	s_waitcnt vmcnt(26) lgkmcnt(1)
	v_mul_f64 v[88:89], v[78:79], v[144:145]
	s_waitcnt vmcnt(24)
	v_fmac_f64_e32 v[88:89], v[80:81], v[146:147]
	v_add_f64 v[86:87], v[86:87], v[88:89]
	s_waitcnt lgkmcnt(0)
	v_mul_f64 v[88:89], v[82:83], v[126:127]
	v_fmac_f64_e32 v[88:89], v[84:85], v[130:131]
	v_add_f64 v[98:99], v[86:87], v[88:89]
	ds_read_b128 v[86:89], v190 offset:1184
	ds_read_b128 v[90:93], v190 offset:1200
	v_accvgpr_write_b32 a125, v1
	v_mul_f64 v[94:95], v[178:179], v[94:95]
	v_accvgpr_write_b32 a124, v0
	v_fma_f64 v[0:1], v[176:177], v[96:97], -v[94:95]
	ds_read_b128 v[94:97], v190 offset:1216
	v_mul_f64 v[102:103], v[182:183], v[102:103]
	v_fma_f64 v[182:183], v[180:181], v[104:105], -v[102:103]
	ds_read_b128 v[102:105], v190 offset:1248
	v_mul_f64 v[106:107], v[186:187], v[106:107]
	v_fma_f64 v[186:187], v[184:185], v[108:109], -v[106:107]
	ds_read_b128 v[106:109], v190 offset:1264
	s_waitcnt vmcnt(22) lgkmcnt(4)
	v_mul_f64 v[100:101], v[86:87], v[148:149]
	s_waitcnt vmcnt(20)
	v_fmac_f64_e32 v[100:101], v[88:89], v[150:151]
	v_add_f64 v[98:99], v[98:99], v[100:101]
	s_waitcnt vmcnt(17) lgkmcnt(3)
	v_mul_f64 v[100:101], v[90:91], v[152:153]
	s_waitcnt vmcnt(16)
	v_fmac_f64_e32 v[100:101], v[92:93], v[154:155]
	v_add_f64 v[110:111], v[98:99], v[100:101]
	ds_read_b128 v[98:101], v190 offset:1232
	s_waitcnt vmcnt(14) lgkmcnt(3)
	v_mul_f64 v[112:113], v[94:95], v[158:159]
	s_waitcnt vmcnt(12)
	v_fmac_f64_e32 v[112:113], v[96:97], v[162:163]
	buffer_load_dword v173, off, s[0:3], 0 offset:652
	buffer_load_dword v172, off, s[0:3], 0 offset:648
	;; [unrolled: 1-line block ×4, first 2 shown]
	v_add_f64 v[110:111], v[110:111], v[112:113]
	s_waitcnt vmcnt(14) lgkmcnt(0)
	v_mul_f64 v[112:113], v[98:99], v[160:161]
	s_waitcnt vmcnt(12)
	v_fmac_f64_e32 v[112:113], v[100:101], v[164:165]
	v_add_f64 v[110:111], v[110:111], v[112:113]
	s_waitcnt vmcnt(9)
	v_mul_f64 v[112:113], v[102:103], v[168:169]
	s_waitcnt vmcnt(7)
	v_fmac_f64_e32 v[112:113], v[104:105], v[170:171]
	v_add_f64 v[110:111], v[110:111], v[112:113]
	s_waitcnt vmcnt(5)
	v_mul_f64 v[112:113], v[106:107], v[156:157]
	s_waitcnt vmcnt(4)
	v_fmac_f64_e32 v[112:113], v[108:109], v[166:167]
	v_add_f64 v[114:115], v[110:111], v[112:113]
	ds_read_b128 v[110:113], v190 offset:1280
	buffer_load_dword v178, off, s[0:3], 0 offset:664
	buffer_load_dword v179, off, s[0:3], 0 offset:668
	;; [unrolled: 1-line block ×4, first 2 shown]
	s_waitcnt vmcnt(6) lgkmcnt(0)
	v_mul_f64 v[116:117], v[110:111], v[172:173]
	s_waitcnt vmcnt(4)
	v_fmac_f64_e32 v[116:117], v[112:113], v[174:175]
	v_add_f64 v[176:177], v[114:115], v[116:117]
	ds_read_b128 v[114:117], v190 offset:1296
	s_waitcnt vmcnt(2) lgkmcnt(0)
	v_mul_f64 v[184:185], v[114:115], v[178:179]
	s_waitcnt vmcnt(0)
	v_fmac_f64_e32 v[184:185], v[116:117], v[180:181]
	v_add_f64 v[176:177], v[176:177], v[184:185]
	v_add_f64 v[184:185], v[188:189], 0
	;; [unrolled: 1-line block ×9, first 2 shown]
	buffer_load_dword v184, off, s[0:3], 0 offset:32
	buffer_load_dword v185, off, s[0:3], 0 offset:36
	v_add_f64 v[188:189], v[0:1], v[182:183]
	buffer_load_dword v182, off, s[0:3], 0 offset:40
	buffer_load_dword v183, off, s[0:3], 0 offset:44
	v_mul_f64 v[2:3], v[202:203], v[4:5]
	v_accvgpr_read_b32 v4, a124
	v_accvgpr_read_b32 v5, a125
	v_add_f64 v[0:1], v[188:189], v[186:187]
	v_fma_f64 v[2:3], v[200:201], v[4:5], -v[2:3]
	v_add_f64 v[0:1], v[0:1], v[2:3]
	v_mul_f64 v[2:3], v[8:9], v[208:209]
	v_fma_f64 v[2:3], v[6:7], v[224:225], -v[2:3]
	v_add_f64 v[0:1], v[0:1], v[2:3]
	v_mul_f64 v[2:3], v[12:13], v[204:205]
	;; [unrolled: 3-line block ×28, first 2 shown]
	v_fma_f64 v[2:3], v[114:115], v[180:181], -v[2:3]
	v_add_f64 v[0:1], v[0:1], v[2:3]
	s_waitcnt vmcnt(2)
	v_add_f64 v[0:1], v[184:185], -v[0:1]
	s_waitcnt vmcnt(0)
	v_add_f64 v[2:3], v[182:183], -v[176:177]
	buffer_store_dword v1, off, s[0:3], 0 offset:36
	buffer_store_dword v0, off, s[0:3], 0 offset:32
	;; [unrolled: 1-line block ×4, first 2 shown]
	v_accvgpr_read_b32 v0, a122
	v_cmp_ne_u32_e32 vcc, 0, v0
	s_and_saveexec_b64 s[4:5], vcc
	s_cbranch_execz .LBB40_259
; %bb.258:
	buffer_load_dword v0, off, s[0:3], 0 offset:16
	buffer_load_dword v1, off, s[0:3], 0 offset:20
	;; [unrolled: 1-line block ×4, first 2 shown]
	v_accvgpr_read_b32 v4, a123
	buffer_store_dword v190, off, s[0:3], 0 offset:16
	buffer_store_dword v190, off, s[0:3], 0 offset:20
	;; [unrolled: 1-line block ×4, first 2 shown]
	s_waitcnt vmcnt(4)
	ds_write_b128 v4, v[0:3]
.LBB40_259:
	s_or_b64 exec, exec, s[4:5]
	s_waitcnt lgkmcnt(0)
	; wave barrier
	s_waitcnt lgkmcnt(0)
	buffer_load_dword v62, off, s[0:3], 0 offset:32
	buffer_load_dword v63, off, s[0:3], 0 offset:36
	;; [unrolled: 1-line block ×42, first 2 shown]
	ds_read_b128 v[84:87], v190 offset:672
	ds_read_b128 v[96:99], v190 offset:688
	ds_read_b128 v[172:175], v190 offset:704
	ds_read_b128 v[176:179], v190 offset:720
	ds_read_b128 v[180:183], v190 offset:736
	ds_read_b128 v[184:187], v190 offset:752
	ds_read_b128 v[192:195], v190 offset:768
	ds_read_b128 v[196:199], v190 offset:784
	ds_read_b128 v[0:3], v190 offset:800
	ds_read_b128 v[100:103], v190 offset:816
	buffer_load_dword v115, off, s[0:3], 0 offset:180
	buffer_load_dword v114, off, s[0:3], 0 offset:176
	ds_read_b128 v[104:107], v190 offset:832
	buffer_load_dword v5, off, s[0:3], 0 offset:236
	buffer_load_dword v4, off, s[0:3], 0 offset:232
	;; [unrolled: 1-line block ×80, first 2 shown]
	ds_read_b128 v[116:119], v190 offset:848
	ds_read_b128 v[148:151], v190 offset:864
	s_and_b64 vcc, exec, s[20:21]
	s_waitcnt vmcnt(62) lgkmcnt(11)
	v_mul_f64 v[6:7], v[96:97], v[168:169]
	v_fmac_f64_e32 v[6:7], v[98:99], v[58:59]
	s_waitcnt lgkmcnt(10)
	v_mul_f64 v[8:9], v[172:173], v[56:57]
	v_mul_f64 v[56:57], v[174:175], v[56:57]
	s_waitcnt lgkmcnt(8)
	v_mul_f64 v[12:13], v[180:181], v[68:69]
	v_mul_f64 v[68:69], v[182:183], v[68:69]
	v_fmac_f64_e32 v[12:13], v[182:183], v[70:71]
	v_fma_f64 v[182:183], v[180:181], v[70:71], -v[68:69]
	v_mul_f64 v[10:11], v[176:177], v[66:67]
	s_waitcnt lgkmcnt(6)
	v_mul_f64 v[16:17], v[192:193], v[80:81]
	v_mul_f64 v[80:81], v[194:195], v[80:81]
	v_fmac_f64_e32 v[16:17], v[194:195], v[82:83]
	v_mul_f64 v[14:15], v[184:185], v[76:77]
	v_mul_f64 v[76:77], v[186:187], v[76:77]
	s_waitcnt lgkmcnt(4)
	v_mul_f64 v[20:21], v[0:1], v[92:93]
	v_mul_f64 v[18:19], v[196:197], v[88:89]
	;; [unrolled: 1-line block ×3, first 2 shown]
	s_waitcnt lgkmcnt(3)
	v_mul_f64 v[22:23], v[100:101], v[108:109]
	v_fmac_f64_e32 v[8:9], v[174:175], v[74:75]
	v_fmac_f64_e32 v[10:11], v[178:179], v[72:73]
	;; [unrolled: 1-line block ×3, first 2 shown]
	v_fma_f64 v[184:185], v[184:185], v[78:79], -v[76:77]
	v_fmac_f64_e32 v[18:19], v[198:199], v[90:91]
	v_fmac_f64_e32 v[20:21], v[2:3], v[94:95]
	v_fma_f64 v[196:197], v[196:197], v[90:91], -v[88:89]
	v_mul_f64 v[2:3], v[2:3], v[92:93]
	v_fma_f64 v[198:199], v[0:1], v[94:95], -v[2:3]
	v_fmac_f64_e32 v[22:23], v[102:103], v[114:115]
	v_pk_mov_b32 v[24:25], v[4:5], v[4:5] op_sel:[0,1]
	v_mul_f64 v[4:5], v[84:85], v[64:65]
	v_fmac_f64_e32 v[4:5], v[86:87], v[62:63]
	v_add_f64 v[4:5], v[4:5], 0
	v_add_f64 v[4:5], v[4:5], v[6:7]
	;; [unrolled: 1-line block ×9, first 2 shown]
	s_waitcnt lgkmcnt(2)
	v_mul_f64 v[6:7], v[104:105], v[110:111]
	v_add_f64 v[4:5], v[4:5], v[22:23]
	v_fmac_f64_e32 v[6:7], v[106:107], v[112:113]
	s_waitcnt lgkmcnt(1)
	v_mul_f64 v[10:11], v[116:117], v[202:203]
	v_add_f64 v[8:9], v[4:5], v[6:7]
	v_fmac_f64_e32 v[10:11], v[118:119], v[218:219]
	v_add_f64 v[12:13], v[8:9], v[10:11]
	ds_read_b128 v[8:11], v190 offset:880
	s_waitcnt lgkmcnt(1)
	v_mul_f64 v[14:15], v[148:149], v[24:25]
	v_fmac_f64_e32 v[14:15], v[150:151], v[254:255]
	v_add_f64 v[16:17], v[12:13], v[14:15]
	ds_read_b128 v[12:15], v190 offset:896
	s_waitcnt lgkmcnt(1)
	v_mul_f64 v[18:19], v[8:9], v[222:223]
	;; [unrolled: 5-line block ×3, first 2 shown]
	v_accvgpr_write_b32 a123, v25
	v_fmac_f64_e32 v[22:23], v[14:15], v[206:207]
	v_accvgpr_write_b32 a122, v24
	v_add_f64 v[24:25], v[20:21], v[22:23]
	ds_read_b128 v[20:23], v190 offset:928
	s_waitcnt vmcnt(58) lgkmcnt(1)
	v_mul_f64 v[26:27], v[16:17], v[230:231]
	s_waitcnt vmcnt(56)
	v_fmac_f64_e32 v[26:27], v[18:19], v[234:235]
	v_add_f64 v[28:29], v[24:25], v[26:27]
	ds_read_b128 v[24:27], v190 offset:944
	s_waitcnt lgkmcnt(1)
	v_mul_f64 v[30:31], v[20:21], v[208:209]
	v_fmac_f64_e32 v[30:31], v[22:23], v[210:211]
	v_add_f64 v[32:33], v[28:29], v[30:31]
	ds_read_b128 v[28:31], v190 offset:960
	s_waitcnt vmcnt(50) lgkmcnt(1)
	v_mul_f64 v[34:35], v[24:25], v[238:239]
	s_waitcnt vmcnt(48)
	v_fmac_f64_e32 v[34:35], v[26:27], v[242:243]
	v_add_f64 v[36:37], v[32:33], v[34:35]
	ds_read_b128 v[32:35], v190 offset:976
	s_waitcnt lgkmcnt(1)
	v_mul_f64 v[38:39], v[28:29], v[212:213]
	v_fmac_f64_e32 v[38:39], v[30:31], v[214:215]
	;; [unrolled: 11-line block ×3, first 2 shown]
	v_add_f64 v[48:49], v[44:45], v[46:47]
	ds_read_b128 v[44:47], v190 offset:1024
	s_waitcnt vmcnt(34) lgkmcnt(1)
	v_mul_f64 v[50:51], v[40:41], v[128:129]
	buffer_load_dword v7, off, s[0:3], 0 offset:540
	buffer_load_dword v6, off, s[0:3], 0 offset:536
	;; [unrolled: 1-line block ×4, first 2 shown]
	s_waitcnt vmcnt(36)
	v_fmac_f64_e32 v[50:51], v[42:43], v[132:133]
	v_add_f64 v[52:53], v[48:49], v[50:51]
	ds_read_b128 v[48:51], v190 offset:1040
	buffer_load_dword v154, off, s[0:3], 0 offset:552
	buffer_load_dword v156, off, s[0:3], 0 offset:544
	;; [unrolled: 1-line block ×12, first 2 shown]
	s_waitcnt lgkmcnt(1)
	v_mul_f64 v[54:55], v[44:45], v[224:225]
	v_fmac_f64_e32 v[54:55], v[46:47], v[228:229]
	v_add_f64 v[188:189], v[52:53], v[54:55]
	ds_read_b128 v[52:55], v190 offset:1056
	buffer_load_dword v165, off, s[0:3], 0 offset:604
	buffer_load_dword v164, off, s[0:3], 0 offset:600
	;; [unrolled: 1-line block ×4, first 2 shown]
	v_mul_f64 v[64:65], v[86:87], v[64:65]
	v_fma_f64 v[4:5], v[84:85], v[62:63], -v[64:65]
	v_mul_f64 v[62:63], v[98:99], v[168:169]
	v_fma_f64 v[84:85], v[96:97], v[58:59], -v[62:63]
	buffer_load_dword v168, off, s[0:3], 0 offset:616
	buffer_load_dword v170, off, s[0:3], 0 offset:608
	;; [unrolled: 1-line block ×8, first 2 shown]
	v_fma_f64 v[86:87], v[172:173], v[74:75], -v[56:57]
	ds_read_b128 v[56:59], v190 offset:1072
	s_waitcnt vmcnt(54) lgkmcnt(2)
	v_mul_f64 v[60:61], v[48:49], v[246:247]
	s_waitcnt vmcnt(52)
	v_fmac_f64_e32 v[60:61], v[50:51], v[136:137]
	s_waitcnt lgkmcnt(1)
	v_mul_f64 v[62:63], v[52:53], v[232:233]
	v_add_f64 v[60:61], v[188:189], v[60:61]
	v_fmac_f64_e32 v[62:63], v[54:55], v[236:237]
	v_mul_f64 v[64:65], v[178:179], v[66:67]
	v_add_f64 v[60:61], v[60:61], v[62:63]
	v_fma_f64 v[188:189], v[176:177], v[72:73], -v[64:65]
	ds_read_b128 v[64:67], v190 offset:1104
	s_waitcnt vmcnt(46) lgkmcnt(1)
	v_mul_f64 v[62:63], v[56:57], v[138:139]
	s_waitcnt vmcnt(44)
	v_fmac_f64_e32 v[62:63], v[58:59], v[140:141]
	v_add_f64 v[74:75], v[60:61], v[62:63]
	ds_read_b128 v[60:63], v190 offset:1088
	ds_read_b128 v[68:71], v190 offset:1120
	;; [unrolled: 1-line block ×3, first 2 shown]
	v_fma_f64 v[176:177], v[192:193], v[82:83], -v[80:81]
	ds_read_b128 v[80:83], v190 offset:1168
	ds_read_b128 v[192:195], v190 offset:1184
	s_waitcnt lgkmcnt(4)
	v_mul_f64 v[72:73], v[60:61], v[240:241]
	v_fmac_f64_e32 v[72:73], v[62:63], v[200:201]
	v_add_f64 v[72:73], v[74:75], v[72:73]
	s_waitcnt vmcnt(38)
	v_mul_f64 v[74:75], v[64:65], v[142:143]
	s_waitcnt vmcnt(36)
	v_fmac_f64_e32 v[74:75], v[66:67], v[144:145]
	v_add_f64 v[72:73], v[72:73], v[74:75]
	s_waitcnt lgkmcnt(3)
	v_mul_f64 v[74:75], v[68:69], v[122:123]
	v_fmac_f64_e32 v[74:75], v[70:71], v[126:127]
	v_add_f64 v[96:97], v[72:73], v[74:75]
	ds_read_b128 v[72:75], v190 offset:1136
	ds_read_b128 v[88:91], v190 offset:1200
	;; [unrolled: 1-line block ×3, first 2 shown]
	buffer_load_dword v172, off, s[0:3], 0 offset:648
	v_add_f64 v[4:5], v[4:5], 0
	s_waitcnt vmcnt(31) lgkmcnt(2)
	v_mul_f64 v[98:99], v[72:73], v[146:147]
	s_waitcnt vmcnt(29)
	v_fmac_f64_e32 v[98:99], v[74:75], v[248:249]
	v_add_f64 v[96:97], v[96:97], v[98:99]
	v_mul_f64 v[98:99], v[76:77], v[130:131]
	v_fmac_f64_e32 v[98:99], v[78:79], v[134:135]
	v_add_f64 v[96:97], v[96:97], v[98:99]
	v_add_f64 v[4:5], v[4:5], v[84:85]
	;; [unrolled: 1-line block ×9, first 2 shown]
	s_waitcnt vmcnt(27)
	v_mul_f64 v[98:99], v[80:81], v[6:7]
	s_waitcnt vmcnt(25)
	v_fmac_f64_e32 v[98:99], v[82:83], v[120:121]
	v_add_f64 v[96:97], v[96:97], v[98:99]
	s_waitcnt vmcnt(18) lgkmcnt(1)
	v_mul_f64 v[2:3], v[88:89], v[158:159]
	v_mul_f64 v[98:99], v[192:193], v[154:155]
	v_fmac_f64_e32 v[98:99], v[194:195], v[156:157]
	v_add_f64 v[0:1], v[96:97], v[98:99]
	ds_read_b128 v[96:99], v190 offset:1232
	s_waitcnt vmcnt(16)
	v_fmac_f64_e32 v[2:3], v[90:91], v[162:163]
	v_add_f64 v[0:1], v[0:1], v[2:3]
	s_waitcnt vmcnt(15) lgkmcnt(1)
	v_mul_f64 v[2:3], v[92:93], v[152:153]
	s_waitcnt vmcnt(13)
	v_fmac_f64_e32 v[2:3], v[94:95], v[160:161]
	v_add_f64 v[0:1], v[0:1], v[2:3]
	v_mul_f64 v[2:3], v[102:103], v[108:109]
	v_fma_f64 v[186:187], v[100:101], v[114:115], -v[2:3]
	ds_read_b128 v[100:103], v190 offset:1248
	s_waitcnt vmcnt(11) lgkmcnt(1)
	v_mul_f64 v[2:3], v[96:97], v[164:165]
	s_waitcnt vmcnt(9)
	v_fmac_f64_e32 v[2:3], v[98:99], v[166:167]
	v_add_f64 v[2:3], v[0:1], v[2:3]
	v_mul_f64 v[0:1], v[106:107], v[110:111]
	v_fma_f64 v[0:1], v[104:105], v[112:113], -v[0:1]
	ds_read_b128 v[104:107], v190 offset:1264
	buffer_load_dword v174, off, s[0:3], 0 offset:640
	buffer_load_dword v173, off, s[0:3], 0 offset:652
	;; [unrolled: 1-line block ×3, first 2 shown]
	s_waitcnt vmcnt(9) lgkmcnt(1)
	v_mul_f64 v[108:109], v[100:101], v[168:169]
	s_waitcnt vmcnt(8)
	v_fmac_f64_e32 v[108:109], v[102:103], v[170:171]
	v_add_f64 v[2:3], v[2:3], v[108:109]
	s_waitcnt vmcnt(6) lgkmcnt(0)
	v_mul_f64 v[108:109], v[104:105], v[250:251]
	s_waitcnt vmcnt(4)
	v_fmac_f64_e32 v[108:109], v[106:107], v[252:253]
	v_add_f64 v[2:3], v[2:3], v[108:109]
	ds_read_b128 v[108:111], v190 offset:1280
	buffer_load_dword v179, off, s[0:3], 0 offset:668
	buffer_load_dword v178, off, s[0:3], 0 offset:664
	;; [unrolled: 1-line block ×4, first 2 shown]
	v_add_f64 v[4:5], v[188:189], v[186:187]
	v_add_f64 v[0:1], v[4:5], v[0:1]
	v_mul_f64 v[4:5], v[118:119], v[202:203]
	v_fma_f64 v[4:5], v[116:117], v[218:219], -v[4:5]
	v_add_f64 v[0:1], v[0:1], v[4:5]
	v_accvgpr_read_b32 v4, a122
	v_accvgpr_read_b32 v5, a123
	v_mul_f64 v[4:5], v[150:151], v[4:5]
	v_fma_f64 v[4:5], v[148:149], v[254:255], -v[4:5]
	v_add_f64 v[0:1], v[0:1], v[4:5]
	v_mul_f64 v[4:5], v[10:11], v[222:223]
	v_fma_f64 v[4:5], v[8:9], v[226:227], -v[4:5]
	v_add_f64 v[0:1], v[0:1], v[4:5]
	;; [unrolled: 3-line block ×21, first 2 shown]
	s_waitcnt vmcnt(5) lgkmcnt(0)
	v_mul_f64 v[112:113], v[108:109], v[172:173]
	s_waitcnt vmcnt(4)
	v_fmac_f64_e32 v[112:113], v[110:111], v[174:175]
	v_add_f64 v[2:3], v[2:3], v[112:113]
	ds_read_b128 v[112:115], v190 offset:1296
	buffer_load_dword v184, off, s[0:3], 0 offset:16
	buffer_load_dword v185, off, s[0:3], 0 offset:20
	;; [unrolled: 1-line block ×4, first 2 shown]
	v_mul_f64 v[4:5], v[90:91], v[158:159]
	v_fma_f64 v[4:5], v[88:89], v[162:163], -v[4:5]
	v_add_f64 v[0:1], v[0:1], v[4:5]
	v_mul_f64 v[4:5], v[94:95], v[152:153]
	v_fma_f64 v[4:5], v[92:93], v[160:161], -v[4:5]
	v_add_f64 v[0:1], v[0:1], v[4:5]
	;; [unrolled: 3-line block ×6, first 2 shown]
	s_waitcnt vmcnt(6) lgkmcnt(0)
	v_mul_f64 v[4:5], v[114:115], v[178:179]
	v_mul_f64 v[190:191], v[112:113], v[178:179]
	s_waitcnt vmcnt(4)
	v_fma_f64 v[4:5], v[112:113], v[180:181], -v[4:5]
	v_fmac_f64_e32 v[190:191], v[114:115], v[180:181]
	v_add_f64 v[0:1], v[0:1], v[4:5]
	v_add_f64 v[2:3], v[2:3], v[190:191]
	s_waitcnt vmcnt(2)
	v_add_f64 v[0:1], v[184:185], -v[0:1]
	s_waitcnt vmcnt(0)
	v_add_f64 v[2:3], v[182:183], -v[2:3]
	buffer_store_dword v1, off, s[0:3], 0 offset:20
	buffer_store_dword v0, off, s[0:3], 0 offset:16
	;; [unrolled: 1-line block ×4, first 2 shown]
	s_cbranch_vccz .LBB40_341
; %bb.260:
	v_pk_mov_b32 v[0:1], s[10:11], s[10:11] op_sel:[0,1]
	flat_load_dword v0, v[0:1] offset:156
	s_waitcnt vmcnt(0) lgkmcnt(0)
	v_add_u32_e32 v0, -1, v0
	v_cmp_ne_u32_e32 vcc, 39, v0
	s_and_saveexec_b64 s[4:5], vcc
	s_cbranch_execz .LBB40_262
; %bb.261:
	v_mov_b32_e32 v1, 16
	v_accvgpr_read_b32 v9, a83
	v_lshl_add_u32 v0, v0, 4, v1
	buffer_load_dword v1, v9, s[0:3], 0 offen offset:4
	buffer_load_dword v2, v9, s[0:3], 0 offen offset:8
	buffer_load_dword v3, v9, s[0:3], 0 offen offset:12
	buffer_load_dword v4, v0, s[0:3], 0 offen
	buffer_load_dword v5, v0, s[0:3], 0 offen offset:4
	buffer_load_dword v6, v0, s[0:3], 0 offen offset:8
	buffer_load_dword v7, v0, s[0:3], 0 offen offset:12
	buffer_load_dword v8, v9, s[0:3], 0 offen
	s_waitcnt vmcnt(4)
	buffer_store_dword v4, v9, s[0:3], 0 offen
	s_waitcnt vmcnt(4)
	buffer_store_dword v5, v9, s[0:3], 0 offen offset:4
	s_waitcnt vmcnt(4)
	buffer_store_dword v6, v9, s[0:3], 0 offen offset:8
	s_waitcnt vmcnt(4)
	buffer_store_dword v7, v9, s[0:3], 0 offen offset:12
	buffer_store_dword v3, v0, s[0:3], 0 offen offset:12
	buffer_store_dword v2, v0, s[0:3], 0 offen offset:8
	buffer_store_dword v1, v0, s[0:3], 0 offen offset:4
	s_waitcnt vmcnt(7)
	buffer_store_dword v8, v0, s[0:3], 0 offen
.LBB40_262:
	s_or_b64 exec, exec, s[4:5]
	v_pk_mov_b32 v[0:1], s[10:11], s[10:11] op_sel:[0,1]
	flat_load_dword v0, v[0:1] offset:152
	s_waitcnt vmcnt(0) lgkmcnt(0)
	v_add_u32_e32 v0, -1, v0
	v_cmp_ne_u32_e32 vcc, 38, v0
	s_and_saveexec_b64 s[4:5], vcc
	s_cbranch_execz .LBB40_264
; %bb.263:
	v_mov_b32_e32 v1, 16
	v_accvgpr_read_b32 v9, a84
	v_lshl_add_u32 v0, v0, 4, v1
	buffer_load_dword v1, v9, s[0:3], 0 offen offset:4
	buffer_load_dword v2, v9, s[0:3], 0 offen offset:8
	buffer_load_dword v3, v9, s[0:3], 0 offen offset:12
	buffer_load_dword v4, v0, s[0:3], 0 offen
	buffer_load_dword v5, v0, s[0:3], 0 offen offset:4
	buffer_load_dword v6, v0, s[0:3], 0 offen offset:8
	buffer_load_dword v7, v0, s[0:3], 0 offen offset:12
	buffer_load_dword v8, v9, s[0:3], 0 offen
	s_waitcnt vmcnt(4)
	buffer_store_dword v4, v9, s[0:3], 0 offen
	s_waitcnt vmcnt(4)
	buffer_store_dword v5, v9, s[0:3], 0 offen offset:4
	s_waitcnt vmcnt(4)
	buffer_store_dword v6, v9, s[0:3], 0 offen offset:8
	s_waitcnt vmcnt(4)
	buffer_store_dword v7, v9, s[0:3], 0 offen offset:12
	buffer_store_dword v3, v0, s[0:3], 0 offen offset:12
	buffer_store_dword v2, v0, s[0:3], 0 offen offset:8
	buffer_store_dword v1, v0, s[0:3], 0 offen offset:4
	s_waitcnt vmcnt(7)
	buffer_store_dword v8, v0, s[0:3], 0 offen
.LBB40_264:
	s_or_b64 exec, exec, s[4:5]
	;; [unrolled: 34-line block ×39, first 2 shown]
	v_pk_mov_b32 v[0:1], s[10:11], s[10:11] op_sel:[0,1]
	flat_load_dword v0, v[0:1]
	s_waitcnt vmcnt(0) lgkmcnt(0)
	v_add_u32_e32 v0, -1, v0
	v_cmp_ne_u32_e32 vcc, 0, v0
	s_and_saveexec_b64 s[4:5], vcc
	s_cbranch_execz .LBB40_340
; %bb.339:
	v_mov_b32_e32 v1, 16
	v_lshl_add_u32 v0, v0, 4, v1
	buffer_load_dword v1, v0, s[0:3], 0 offen
	buffer_load_dword v2, v0, s[0:3], 0 offen offset:4
	buffer_load_dword v3, v0, s[0:3], 0 offen offset:8
	;; [unrolled: 1-line block ×3, first 2 shown]
	buffer_load_dword v5, off, s[0:3], 0 offset:28
	buffer_load_dword v6, off, s[0:3], 0 offset:24
	;; [unrolled: 1-line block ×4, first 2 shown]
	s_waitcnt vmcnt(7)
	buffer_store_dword v1, off, s[0:3], 0 offset:16
	s_waitcnt vmcnt(7)
	buffer_store_dword v2, off, s[0:3], 0 offset:20
	;; [unrolled: 2-line block ×4, first 2 shown]
	s_waitcnt vmcnt(7)
	buffer_store_dword v5, v0, s[0:3], 0 offen offset:12
	s_waitcnt vmcnt(7)
	buffer_store_dword v6, v0, s[0:3], 0 offen offset:8
	;; [unrolled: 2-line block ×3, first 2 shown]
	s_waitcnt vmcnt(7)
	buffer_store_dword v8, v0, s[0:3], 0 offen
.LBB40_340:
	s_or_b64 exec, exec, s[4:5]
.LBB40_341:
	buffer_load_dword v0, off, s[0:3], 0 offset:16
	buffer_load_dword v1, off, s[0:3], 0 offset:20
	;; [unrolled: 1-line block ×4, first 2 shown]
	v_accvgpr_read_b32 v7, a121
	buffer_load_dword v4, v7, s[0:3], 0 offen
	buffer_load_dword v5, v7, s[0:3], 0 offen offset:4
	buffer_load_dword v6, v7, s[0:3], 0 offen offset:8
	s_nop 0
	buffer_load_dword v7, v7, s[0:3], 0 offen offset:12
	v_accvgpr_read_b32 v8, a120
	buffer_load_dword v9, v8, s[0:3], 0 offen offset:4
	buffer_load_dword v10, v8, s[0:3], 0 offen offset:8
	buffer_load_dword v11, v8, s[0:3], 0 offen offset:12
	v_accvgpr_read_b32 v15, a119
	buffer_load_dword v12, v15, s[0:3], 0 offen
	buffer_load_dword v13, v15, s[0:3], 0 offen offset:4
	buffer_load_dword v14, v15, s[0:3], 0 offen offset:8
	s_nop 0
	buffer_load_dword v8, v8, s[0:3], 0 offen
	s_nop 0
	buffer_load_dword v15, v15, s[0:3], 0 offen offset:12
	v_accvgpr_read_b32 v16, a118
	buffer_load_dword v17, v16, s[0:3], 0 offen offset:4
	buffer_load_dword v18, v16, s[0:3], 0 offen offset:8
	buffer_load_dword v19, v16, s[0:3], 0 offen offset:12
	v_accvgpr_read_b32 v23, a117
	buffer_load_dword v20, v23, s[0:3], 0 offen
	buffer_load_dword v21, v23, s[0:3], 0 offen offset:4
	buffer_load_dword v22, v23, s[0:3], 0 offen offset:8
	s_nop 0
	buffer_load_dword v16, v16, s[0:3], 0 offen
	s_nop 0
	buffer_load_dword v23, v23, s[0:3], 0 offen offset:12
	v_accvgpr_read_b32 v24, a116
	buffer_load_dword v25, v24, s[0:3], 0 offen offset:4
	buffer_load_dword v26, v24, s[0:3], 0 offen offset:8
	buffer_load_dword v27, v24, s[0:3], 0 offen offset:12
	v_accvgpr_read_b32 v31, a115
	buffer_load_dword v28, v31, s[0:3], 0 offen
	buffer_load_dword v29, v31, s[0:3], 0 offen offset:4
	buffer_load_dword v30, v31, s[0:3], 0 offen offset:8
	s_nop 0
	buffer_load_dword v24, v24, s[0:3], 0 offen
	s_nop 0
	buffer_load_dword v31, v31, s[0:3], 0 offen offset:12
	v_accvgpr_read_b32 v32, a114
	buffer_load_dword v33, v32, s[0:3], 0 offen offset:4
	buffer_load_dword v34, v32, s[0:3], 0 offen offset:8
	buffer_load_dword v35, v32, s[0:3], 0 offen offset:12
	v_accvgpr_read_b32 v39, a113
	buffer_load_dword v36, v39, s[0:3], 0 offen
	buffer_load_dword v37, v39, s[0:3], 0 offen offset:4
	buffer_load_dword v38, v39, s[0:3], 0 offen offset:8
	s_nop 0
	buffer_load_dword v32, v32, s[0:3], 0 offen
	s_nop 0
	buffer_load_dword v39, v39, s[0:3], 0 offen offset:12
	v_accvgpr_read_b32 v40, a112
	buffer_load_dword v41, v40, s[0:3], 0 offen offset:4
	buffer_load_dword v42, v40, s[0:3], 0 offen offset:8
	buffer_load_dword v43, v40, s[0:3], 0 offen offset:12
	v_accvgpr_read_b32 v47, a111
	buffer_load_dword v44, v47, s[0:3], 0 offen
	buffer_load_dword v45, v47, s[0:3], 0 offen offset:4
	buffer_load_dword v46, v47, s[0:3], 0 offen offset:8
	s_nop 0
	buffer_load_dword v40, v40, s[0:3], 0 offen
	s_nop 0
	buffer_load_dword v47, v47, s[0:3], 0 offen offset:12
	v_accvgpr_read_b32 v48, a110
	buffer_load_dword v49, v48, s[0:3], 0 offen offset:4
	buffer_load_dword v50, v48, s[0:3], 0 offen offset:8
	buffer_load_dword v51, v48, s[0:3], 0 offen offset:12
	v_accvgpr_read_b32 v55, a109
	buffer_load_dword v52, v55, s[0:3], 0 offen
	buffer_load_dword v53, v55, s[0:3], 0 offen offset:4
	buffer_load_dword v54, v55, s[0:3], 0 offen offset:8
	s_nop 0
	buffer_load_dword v48, v48, s[0:3], 0 offen
	s_nop 0
	buffer_load_dword v55, v55, s[0:3], 0 offen offset:12
	v_accvgpr_read_b32 v56, a108
	buffer_load_dword v57, v56, s[0:3], 0 offen offset:4
	buffer_load_dword v58, v56, s[0:3], 0 offen offset:8
	buffer_load_dword v59, v56, s[0:3], 0 offen offset:12
	v_accvgpr_read_b32 v63, a107
	buffer_load_dword v60, v63, s[0:3], 0 offen
	buffer_load_dword v61, v63, s[0:3], 0 offen offset:4
	buffer_load_dword v62, v63, s[0:3], 0 offen offset:8
	s_nop 0
	buffer_load_dword v56, v56, s[0:3], 0 offen
	s_nop 0
	buffer_load_dword v63, v63, s[0:3], 0 offen offset:12
	v_accvgpr_read_b32 v64, a106
	buffer_load_dword v65, v64, s[0:3], 0 offen offset:4
	buffer_load_dword v66, v64, s[0:3], 0 offen offset:8
	buffer_load_dword v67, v64, s[0:3], 0 offen offset:12
	v_accvgpr_read_b32 v71, a105
	buffer_load_dword v68, v71, s[0:3], 0 offen
	buffer_load_dword v69, v71, s[0:3], 0 offen offset:4
	buffer_load_dword v70, v71, s[0:3], 0 offen offset:8
	s_nop 0
	buffer_load_dword v64, v64, s[0:3], 0 offen
	s_nop 0
	buffer_load_dword v71, v71, s[0:3], 0 offen offset:12
	v_accvgpr_read_b32 v72, a104
	buffer_load_dword v73, v72, s[0:3], 0 offen offset:4
	buffer_load_dword v74, v72, s[0:3], 0 offen offset:8
	buffer_load_dword v75, v72, s[0:3], 0 offen offset:12
	v_accvgpr_read_b32 v79, a103
	buffer_load_dword v76, v79, s[0:3], 0 offen
	buffer_load_dword v77, v79, s[0:3], 0 offen offset:4
	buffer_load_dword v78, v79, s[0:3], 0 offen offset:8
	s_nop 0
	buffer_load_dword v72, v72, s[0:3], 0 offen
	s_nop 0
	buffer_load_dword v79, v79, s[0:3], 0 offen offset:12
	v_accvgpr_read_b32 v80, a102
	buffer_load_dword v81, v80, s[0:3], 0 offen offset:4
	buffer_load_dword v82, v80, s[0:3], 0 offen offset:8
	buffer_load_dword v83, v80, s[0:3], 0 offen offset:12
	v_accvgpr_read_b32 v87, a101
	buffer_load_dword v84, v87, s[0:3], 0 offen
	buffer_load_dword v85, v87, s[0:3], 0 offen offset:4
	buffer_load_dword v86, v87, s[0:3], 0 offen offset:8
	s_nop 0
	buffer_load_dword v80, v80, s[0:3], 0 offen
	s_nop 0
	buffer_load_dword v87, v87, s[0:3], 0 offen offset:12
	v_accvgpr_read_b32 v88, a100
	buffer_load_dword v89, v88, s[0:3], 0 offen offset:4
	buffer_load_dword v90, v88, s[0:3], 0 offen offset:8
	buffer_load_dword v91, v88, s[0:3], 0 offen offset:12
	v_accvgpr_read_b32 v95, a99
	buffer_load_dword v92, v95, s[0:3], 0 offen
	buffer_load_dword v93, v95, s[0:3], 0 offen offset:4
	buffer_load_dword v94, v95, s[0:3], 0 offen offset:8
	s_nop 0
	buffer_load_dword v88, v88, s[0:3], 0 offen
	s_nop 0
	buffer_load_dword v95, v95, s[0:3], 0 offen offset:12
	v_accvgpr_read_b32 v96, a98
	buffer_load_dword v97, v96, s[0:3], 0 offen offset:4
	buffer_load_dword v98, v96, s[0:3], 0 offen offset:8
	buffer_load_dword v99, v96, s[0:3], 0 offen offset:12
	v_accvgpr_read_b32 v103, a97
	buffer_load_dword v100, v103, s[0:3], 0 offen
	buffer_load_dword v101, v103, s[0:3], 0 offen offset:4
	buffer_load_dword v102, v103, s[0:3], 0 offen offset:8
	s_nop 0
	buffer_load_dword v96, v96, s[0:3], 0 offen
	s_nop 0
	buffer_load_dword v103, v103, s[0:3], 0 offen offset:12
	v_accvgpr_read_b32 v104, a96
	buffer_load_dword v105, v104, s[0:3], 0 offen offset:4
	buffer_load_dword v106, v104, s[0:3], 0 offen offset:8
	buffer_load_dword v107, v104, s[0:3], 0 offen offset:12
	v_accvgpr_read_b32 v111, a95
	buffer_load_dword v108, v111, s[0:3], 0 offen
	buffer_load_dword v109, v111, s[0:3], 0 offen offset:4
	buffer_load_dword v110, v111, s[0:3], 0 offen offset:8
	s_nop 0
	buffer_load_dword v104, v104, s[0:3], 0 offen
	s_nop 0
	buffer_load_dword v111, v111, s[0:3], 0 offen offset:12
	v_accvgpr_read_b32 v112, a94
	buffer_load_dword v113, v112, s[0:3], 0 offen offset:4
	buffer_load_dword v114, v112, s[0:3], 0 offen offset:8
	buffer_load_dword v115, v112, s[0:3], 0 offen offset:12
	v_accvgpr_read_b32 v119, a93
	buffer_load_dword v116, v119, s[0:3], 0 offen
	buffer_load_dword v117, v119, s[0:3], 0 offen offset:4
	buffer_load_dword v118, v119, s[0:3], 0 offen offset:8
	s_nop 0
	buffer_load_dword v112, v112, s[0:3], 0 offen
	s_nop 0
	buffer_load_dword v119, v119, s[0:3], 0 offen offset:12
	v_accvgpr_read_b32 v120, a92
	buffer_load_dword v121, v120, s[0:3], 0 offen offset:4
	buffer_load_dword v122, v120, s[0:3], 0 offen offset:8
	buffer_load_dword v123, v120, s[0:3], 0 offen offset:12
	v_accvgpr_read_b32 v127, a91
	buffer_load_dword v124, v127, s[0:3], 0 offen
	buffer_load_dword v125, v127, s[0:3], 0 offen offset:4
	buffer_load_dword v126, v127, s[0:3], 0 offen offset:8
	s_nop 0
	buffer_load_dword v120, v120, s[0:3], 0 offen
	s_nop 0
	buffer_load_dword v127, v127, s[0:3], 0 offen offset:12
	v_accvgpr_read_b32 v128, a90
	buffer_load_dword v129, v128, s[0:3], 0 offen offset:4
	buffer_load_dword v130, v128, s[0:3], 0 offen offset:8
	buffer_load_dword v131, v128, s[0:3], 0 offen offset:12
	v_accvgpr_read_b32 v135, a89
	buffer_load_dword v132, v135, s[0:3], 0 offen
	buffer_load_dword v133, v135, s[0:3], 0 offen offset:4
	buffer_load_dword v134, v135, s[0:3], 0 offen offset:8
	s_nop 0
	buffer_load_dword v128, v128, s[0:3], 0 offen
	s_nop 0
	buffer_load_dword v135, v135, s[0:3], 0 offen offset:12
	v_accvgpr_read_b32 v136, a88
	buffer_load_dword v137, v136, s[0:3], 0 offen offset:4
	buffer_load_dword v138, v136, s[0:3], 0 offen offset:8
	buffer_load_dword v139, v136, s[0:3], 0 offen offset:12
	v_accvgpr_read_b32 v143, a87
	buffer_load_dword v140, v143, s[0:3], 0 offen
	buffer_load_dword v141, v143, s[0:3], 0 offen offset:4
	buffer_load_dword v142, v143, s[0:3], 0 offen offset:8
	s_nop 0
	buffer_load_dword v136, v136, s[0:3], 0 offen
	s_nop 0
	buffer_load_dword v143, v143, s[0:3], 0 offen offset:12
	v_accvgpr_read_b32 v144, a86
	buffer_load_dword v145, v144, s[0:3], 0 offen offset:4
	buffer_load_dword v146, v144, s[0:3], 0 offen offset:8
	buffer_load_dword v147, v144, s[0:3], 0 offen offset:12
	v_accvgpr_read_b32 v151, a85
	buffer_load_dword v148, v151, s[0:3], 0 offen
	buffer_load_dword v149, v151, s[0:3], 0 offen offset:4
	buffer_load_dword v150, v151, s[0:3], 0 offen offset:8
	s_nop 0
	buffer_load_dword v144, v144, s[0:3], 0 offen
	s_nop 0
	buffer_load_dword v151, v151, s[0:3], 0 offen offset:12
	v_accvgpr_read_b32 v152, a84
	buffer_load_dword v153, v152, s[0:3], 0 offen offset:4
	buffer_load_dword v154, v152, s[0:3], 0 offen offset:8
	buffer_load_dword v155, v152, s[0:3], 0 offen offset:12
	v_accvgpr_read_b32 v159, a83
	buffer_load_dword v156, v159, s[0:3], 0 offen
	buffer_load_dword v157, v159, s[0:3], 0 offen offset:4
	buffer_load_dword v158, v159, s[0:3], 0 offen offset:8
	s_nop 0
	buffer_load_dword v152, v152, s[0:3], 0 offen
	s_nop 0
	buffer_load_dword v159, v159, s[0:3], 0 offen offset:12
	v_accvgpr_read_b32 v165, a1
	v_accvgpr_read_b32 v163, a82
	;; [unrolled: 1-line block ×3, first 2 shown]
	buffer_load_dword v160, v163, s[0:3], 0 offen
	buffer_load_dword v161, v163, s[0:3], 0 offen offset:4
	buffer_load_dword v162, v163, s[0:3], 0 offen offset:8
	s_nop 0
	buffer_load_dword v163, v163, s[0:3], 0 offen offset:12
	s_waitcnt vmcnt(62)
	global_store_dwordx4 v[164:165], v[0:3], off
	s_nop 0
	v_accvgpr_read_b32 v0, a2
	v_accvgpr_read_b32 v1, a3
	global_store_dwordx4 v[0:1], v[4:7], off
	v_accvgpr_read_b32 v0, a4
	v_accvgpr_read_b32 v1, a5
	global_store_dwordx4 v[0:1], v[8:11], off
	v_accvgpr_read_b32 v0, a6
	v_accvgpr_read_b32 v1, a7
	global_store_dwordx4 v[0:1], v[12:15], off
	v_accvgpr_read_b32 v0, a8
	v_accvgpr_read_b32 v1, a9
	global_store_dwordx4 v[0:1], v[16:19], off
	v_accvgpr_read_b32 v0, a10
	v_accvgpr_read_b32 v1, a11
	global_store_dwordx4 v[0:1], v[20:23], off
	v_accvgpr_read_b32 v0, a12
	v_accvgpr_read_b32 v1, a13
	global_store_dwordx4 v[0:1], v[24:27], off
	v_accvgpr_read_b32 v0, a14
	v_accvgpr_read_b32 v1, a15
	global_store_dwordx4 v[0:1], v[28:31], off
	v_accvgpr_read_b32 v0, a16
	v_accvgpr_read_b32 v1, a17
	global_store_dwordx4 v[0:1], v[32:35], off
	v_accvgpr_read_b32 v0, a18
	v_accvgpr_read_b32 v1, a19
	global_store_dwordx4 v[0:1], v[36:39], off
	v_accvgpr_read_b32 v0, a20
	v_accvgpr_read_b32 v1, a21
	global_store_dwordx4 v[0:1], v[40:43], off
	v_accvgpr_read_b32 v0, a22
	v_accvgpr_read_b32 v1, a23
	global_store_dwordx4 v[0:1], v[44:47], off
	v_accvgpr_read_b32 v0, a24
	v_accvgpr_read_b32 v1, a25
	global_store_dwordx4 v[0:1], v[48:51], off
	v_accvgpr_read_b32 v0, a26
	v_accvgpr_read_b32 v1, a27
	global_store_dwordx4 v[0:1], v[52:55], off
	v_accvgpr_read_b32 v0, a28
	v_accvgpr_read_b32 v1, a29
	global_store_dwordx4 v[0:1], v[56:59], off
	v_accvgpr_read_b32 v0, a30
	v_accvgpr_read_b32 v1, a31
	global_store_dwordx4 v[0:1], v[60:63], off
	v_accvgpr_read_b32 v0, a32
	v_accvgpr_read_b32 v1, a33
	global_store_dwordx4 v[0:1], v[64:67], off
	v_accvgpr_read_b32 v0, a34
	v_accvgpr_read_b32 v1, a35
	global_store_dwordx4 v[0:1], v[68:71], off
	v_accvgpr_read_b32 v0, a36
	v_accvgpr_read_b32 v1, a37
	global_store_dwordx4 v[0:1], v[72:75], off
	v_accvgpr_read_b32 v0, a38
	v_accvgpr_read_b32 v1, a39
	global_store_dwordx4 v[0:1], v[76:79], off
	v_accvgpr_read_b32 v0, a40
	v_accvgpr_read_b32 v1, a41
	global_store_dwordx4 v[0:1], v[80:83], off
	v_accvgpr_read_b32 v0, a42
	v_accvgpr_read_b32 v1, a43
	global_store_dwordx4 v[0:1], v[84:87], off
	v_accvgpr_read_b32 v0, a44
	v_accvgpr_read_b32 v1, a45
	global_store_dwordx4 v[0:1], v[88:91], off
	v_accvgpr_read_b32 v0, a46
	v_accvgpr_read_b32 v1, a47
	global_store_dwordx4 v[0:1], v[92:95], off
	v_accvgpr_read_b32 v0, a48
	v_accvgpr_read_b32 v1, a49
	s_waitcnt vmcnt(62)
	global_store_dwordx4 v[0:1], v[96:99], off
	v_accvgpr_read_b32 v0, a50
	v_accvgpr_read_b32 v1, a51
	global_store_dwordx4 v[0:1], v[100:103], off
	v_accvgpr_read_b32 v0, a52
	v_accvgpr_read_b32 v1, a53
	;; [unrolled: 3-line block ×6, first 2 shown]
	s_waitcnt vmcnt(62)
	global_store_dwordx4 v[0:1], v[120:123], off
	v_accvgpr_read_b32 v0, a62
	v_accvgpr_read_b32 v1, a63
	global_store_dwordx4 v[0:1], v[124:127], off
	v_accvgpr_read_b32 v0, a64
	v_accvgpr_read_b32 v1, a65
	s_waitcnt vmcnt(61)
	global_store_dwordx4 v[0:1], v[128:131], off
	v_accvgpr_read_b32 v0, a66
	v_accvgpr_read_b32 v1, a67
	s_waitcnt vmcnt(61)
	;; [unrolled: 4-line block ×9, first 2 shown]
	global_store_dwordx4 v[0:1], v[160:163], off
	s_endpgm
	.section	.rodata,"a",@progbits
	.p2align	6, 0x0
	.amdhsa_kernel _ZN9rocsolver6v33100L18getri_kernel_smallILi41E19rocblas_complex_numIdEPS3_EEvT1_iilPiilS6_bb
		.amdhsa_group_segment_fixed_size 1320
		.amdhsa_private_segment_fixed_size 688
		.amdhsa_kernarg_size 60
		.amdhsa_user_sgpr_count 8
		.amdhsa_user_sgpr_private_segment_buffer 1
		.amdhsa_user_sgpr_dispatch_ptr 0
		.amdhsa_user_sgpr_queue_ptr 0
		.amdhsa_user_sgpr_kernarg_segment_ptr 1
		.amdhsa_user_sgpr_dispatch_id 0
		.amdhsa_user_sgpr_flat_scratch_init 1
		.amdhsa_user_sgpr_kernarg_preload_length 0
		.amdhsa_user_sgpr_kernarg_preload_offset 0
		.amdhsa_user_sgpr_private_segment_size 0
		.amdhsa_uses_dynamic_stack 0
		.amdhsa_system_sgpr_private_segment_wavefront_offset 1
		.amdhsa_system_sgpr_workgroup_id_x 1
		.amdhsa_system_sgpr_workgroup_id_y 0
		.amdhsa_system_sgpr_workgroup_id_z 0
		.amdhsa_system_sgpr_workgroup_info 0
		.amdhsa_system_vgpr_workitem_id 0
		.amdhsa_next_free_vgpr 382
		.amdhsa_next_free_sgpr 23
		.amdhsa_accum_offset 256
		.amdhsa_reserve_vcc 1
		.amdhsa_reserve_flat_scratch 1
		.amdhsa_float_round_mode_32 0
		.amdhsa_float_round_mode_16_64 0
		.amdhsa_float_denorm_mode_32 3
		.amdhsa_float_denorm_mode_16_64 3
		.amdhsa_dx10_clamp 1
		.amdhsa_ieee_mode 1
		.amdhsa_fp16_overflow 0
		.amdhsa_tg_split 0
		.amdhsa_exception_fp_ieee_invalid_op 0
		.amdhsa_exception_fp_denorm_src 0
		.amdhsa_exception_fp_ieee_div_zero 0
		.amdhsa_exception_fp_ieee_overflow 0
		.amdhsa_exception_fp_ieee_underflow 0
		.amdhsa_exception_fp_ieee_inexact 0
		.amdhsa_exception_int_div_zero 0
	.end_amdhsa_kernel
	.section	.text._ZN9rocsolver6v33100L18getri_kernel_smallILi41E19rocblas_complex_numIdEPS3_EEvT1_iilPiilS6_bb,"axG",@progbits,_ZN9rocsolver6v33100L18getri_kernel_smallILi41E19rocblas_complex_numIdEPS3_EEvT1_iilPiilS6_bb,comdat
.Lfunc_end40:
	.size	_ZN9rocsolver6v33100L18getri_kernel_smallILi41E19rocblas_complex_numIdEPS3_EEvT1_iilPiilS6_bb, .Lfunc_end40-_ZN9rocsolver6v33100L18getri_kernel_smallILi41E19rocblas_complex_numIdEPS3_EEvT1_iilPiilS6_bb
                                        ; -- End function
	.section	.AMDGPU.csdata,"",@progbits
; Kernel info:
; codeLenInByte = 110916
; NumSgprs: 29
; NumVgprs: 256
; NumAgprs: 126
; TotalNumVgprs: 382
; ScratchSize: 688
; MemoryBound: 0
; FloatMode: 240
; IeeeMode: 1
; LDSByteSize: 1320 bytes/workgroup (compile time only)
; SGPRBlocks: 3
; VGPRBlocks: 47
; NumSGPRsForWavesPerEU: 29
; NumVGPRsForWavesPerEU: 382
; AccumOffset: 256
; Occupancy: 1
; WaveLimiterHint : 1
; COMPUTE_PGM_RSRC2:SCRATCH_EN: 1
; COMPUTE_PGM_RSRC2:USER_SGPR: 8
; COMPUTE_PGM_RSRC2:TRAP_HANDLER: 0
; COMPUTE_PGM_RSRC2:TGID_X_EN: 1
; COMPUTE_PGM_RSRC2:TGID_Y_EN: 0
; COMPUTE_PGM_RSRC2:TGID_Z_EN: 0
; COMPUTE_PGM_RSRC2:TIDIG_COMP_CNT: 0
; COMPUTE_PGM_RSRC3_GFX90A:ACCUM_OFFSET: 63
; COMPUTE_PGM_RSRC3_GFX90A:TG_SPLIT: 0
	.section	.text._ZN9rocsolver6v33100L18getri_kernel_smallILi42E19rocblas_complex_numIdEPS3_EEvT1_iilPiilS6_bb,"axG",@progbits,_ZN9rocsolver6v33100L18getri_kernel_smallILi42E19rocblas_complex_numIdEPS3_EEvT1_iilPiilS6_bb,comdat
	.globl	_ZN9rocsolver6v33100L18getri_kernel_smallILi42E19rocblas_complex_numIdEPS3_EEvT1_iilPiilS6_bb ; -- Begin function _ZN9rocsolver6v33100L18getri_kernel_smallILi42E19rocblas_complex_numIdEPS3_EEvT1_iilPiilS6_bb
	.p2align	8
	.type	_ZN9rocsolver6v33100L18getri_kernel_smallILi42E19rocblas_complex_numIdEPS3_EEvT1_iilPiilS6_bb,@function
_ZN9rocsolver6v33100L18getri_kernel_smallILi42E19rocblas_complex_numIdEPS3_EEvT1_iilPiilS6_bb: ; @_ZN9rocsolver6v33100L18getri_kernel_smallILi42E19rocblas_complex_numIdEPS3_EEvT1_iilPiilS6_bb
; %bb.0:
	s_add_u32 flat_scratch_lo, s6, s9
	s_addc_u32 flat_scratch_hi, s7, 0
	s_add_u32 s0, s0, s9
	v_mov_b32_e32 v118, v0
	s_addc_u32 s1, s1, 0
	v_cmp_gt_u32_e32 vcc, 42, v118
	s_and_saveexec_b64 s[6:7], vcc
	s_cbranch_execz .LBB41_182
; %bb.1:
	s_load_dword s22, s[4:5], 0x38
	s_load_dwordx4 s[16:19], s[4:5], 0x10
	s_load_dwordx4 s[12:15], s[4:5], 0x28
                                        ; implicit-def: $sgpr10_sgpr11
	s_waitcnt lgkmcnt(0)
	s_bitcmp1_b32 s22, 8
	s_cselect_b64 s[20:21], -1, 0
	s_ashr_i32 s9, s8, 31
	s_bfe_u32 s6, s22, 0x10008
	s_cmp_eq_u32 s6, 0
	s_cbranch_scc1 .LBB41_3
; %bb.2:
	s_load_dword s6, s[4:5], 0x20
	s_mul_i32 s7, s8, s13
	s_mul_hi_u32 s10, s8, s12
	s_mul_i32 s11, s9, s12
	s_add_i32 s10, s10, s7
	s_add_i32 s11, s10, s11
	s_mul_i32 s10, s8, s12
	s_waitcnt lgkmcnt(0)
	s_ashr_i32 s7, s6, 31
	s_lshl_b64 s[10:11], s[10:11], 2
	s_add_u32 s10, s18, s10
	s_addc_u32 s11, s19, s11
	s_lshl_b64 s[6:7], s[6:7], 2
	s_add_u32 s10, s10, s6
	s_addc_u32 s11, s11, s7
.LBB41_3:
	s_load_dwordx4 s[4:7], s[4:5], 0x0
	s_mul_i32 s12, s8, s17
	s_mul_hi_u32 s13, s8, s16
	s_add_i32 s17, s13, s12
	v_lshlrev_b32_e32 v1, 4, v118
	s_waitcnt lgkmcnt(0)
	s_ashr_i32 s13, s6, 31
	s_mov_b32 s12, s6
	s_mul_i32 s6, s9, s16
	s_add_i32 s17, s17, s6
	s_mul_i32 s16, s8, s16
	s_lshl_b64 s[16:17], s[16:17], 4
	s_add_u32 s6, s4, s16
	s_addc_u32 s16, s5, s17
	s_lshl_b64 s[4:5], s[12:13], 4
	s_add_u32 s4, s6, s4
	s_addc_u32 s5, s16, s5
	s_add_i32 s6, s7, s7
	v_add_u32_e32 v2, s6, v118
	s_mov_b32 s12, s7
	s_ashr_i32 s13, s7, 31
	v_mov_b32_e32 v5, s5
	v_add_u32_e32 v4, s7, v2
	v_add_co_u32_e32 v8, vcc, s4, v1
	s_lshl_b64 s[12:13], s[12:13], 4
	v_addc_co_u32_e32 v9, vcc, 0, v5, vcc
	v_add_u32_e32 v6, s7, v4
	v_accvgpr_write_b32 a0, v8
	v_add_co_u32_e32 v14, vcc, s12, v8
	v_accvgpr_write_b32 a1, v9
	v_add_u32_e32 v8, s7, v6
	v_add_u32_e32 v70, s7, v8
	;; [unrolled: 1-line block ×31, first 2 shown]
	v_ashrrev_i32_e32 v3, 31, v2
	v_mov_b32_e32 v5, s13
	v_add_u32_e32 v22, s7, v24
	global_load_dwordx4 v[10:13], v1, s[4:5]
	v_lshlrev_b64 v[2:3], 4, v[2:3]
	v_addc_co_u32_e32 v15, vcc, v9, v5, vcc
	v_add_u32_e32 v20, s7, v22
	v_mov_b32_e32 v7, s5
	v_add_co_u32_e32 v2, vcc, s4, v2
	v_add_u32_e32 v18, s7, v20
	v_addc_co_u32_e32 v3, vcc, v7, v3, vcc
	global_load_dwordx4 v[58:61], v[2:3], off
	v_accvgpr_write_b32 a2, v14
	v_add_u32_e32 v16, s7, v18
	v_accvgpr_write_b32 a3, v15
	global_load_dwordx4 v[54:57], v[14:15], off
	v_accvgpr_write_b32 a5, v3
	v_add_u32_e32 v14, s7, v16
	v_accvgpr_write_b32 a4, v2
	v_add_u32_e32 v2, s7, v14
	v_ashrrev_i32_e32 v3, 31, v2
	v_lshlrev_b64 v[2:3], 4, v[2:3]
	v_mov_b32_e32 v0, s5
	v_ashrrev_i32_e32 v5, 31, v4
	v_add_co_u32_e32 v2, vcc, s4, v2
	v_lshlrev_b64 v[62:63], 4, v[4:5]
	v_addc_co_u32_e32 v3, vcc, v0, v3, vcc
	v_add_co_u32_e32 v62, vcc, s4, v62
	v_addc_co_u32_e32 v63, vcc, v0, v63, vcc
	v_accvgpr_write_b32 a8, v62
	v_ashrrev_i32_e32 v7, 31, v6
	v_accvgpr_write_b32 a9, v63
	global_load_dwordx4 v[62:65], v[62:63], off
	v_lshlrev_b64 v[6:7], 4, v[6:7]
	v_add_co_u32_e32 v6, vcc, s4, v6
	v_accvgpr_write_b32 a7, v3
	v_addc_co_u32_e32 v7, vcc, v0, v7, vcc
	v_accvgpr_write_b32 a6, v2
	global_load_dwordx4 v[2:5], v[2:3], off
	v_accvgpr_write_b32 a11, v7
	global_load_dwordx4 v[66:69], v[6:7], off
	v_ashrrev_i32_e32 v9, 31, v8
	v_accvgpr_write_b32 a10, v6
	v_lshlrev_b64 v[6:7], 4, v[8:9]
	v_add_co_u32_e32 v8, vcc, s4, v6
	v_addc_co_u32_e32 v9, vcc, v0, v7, vcc
	v_ashrrev_i32_e32 v71, 31, v70
	v_lshlrev_b64 v[6:7], 4, v[70:71]
	global_load_dwordx4 v[70:73], v[8:9], off
	v_add_co_u32_e32 v6, vcc, s4, v6
	v_addc_co_u32_e32 v7, vcc, v0, v7, vcc
	global_load_dwordx4 v[74:77], v[6:7], off
	v_accvgpr_write_b32 a15, v7
	v_ashrrev_i32_e32 v79, 31, v78
	v_accvgpr_write_b32 a13, v9
	v_accvgpr_write_b32 a14, v6
	v_lshlrev_b64 v[6:7], 4, v[78:79]
	v_accvgpr_write_b32 a12, v8
	v_add_co_u32_e32 v8, vcc, s4, v6
	v_addc_co_u32_e32 v9, vcc, v0, v7, vcc
	v_ashrrev_i32_e32 v81, 31, v80
	v_lshlrev_b64 v[6:7], 4, v[80:81]
	global_load_dwordx4 v[78:81], v[8:9], off
	v_add_co_u32_e32 v6, vcc, s4, v6
	v_addc_co_u32_e32 v7, vcc, v0, v7, vcc
	global_load_dwordx4 v[82:85], v[6:7], off
	v_accvgpr_write_b32 a19, v7
	v_ashrrev_i32_e32 v87, 31, v86
	v_accvgpr_write_b32 a17, v9
	v_accvgpr_write_b32 a18, v6
	v_lshlrev_b64 v[6:7], 4, v[86:87]
	v_accvgpr_write_b32 a16, v8
	;; [unrolled: 14-line block ×7, first 2 shown]
	v_add_co_u32_e32 v8, vcc, s4, v6
	v_addc_co_u32_e32 v9, vcc, v0, v7, vcc
	v_ashrrev_i32_e32 v131, 31, v130
	v_lshlrev_b64 v[6:7], 4, v[130:131]
	global_load_dwordx4 v[128:131], v[8:9], off
	v_add_co_u32_e32 v6, vcc, s4, v6
	v_addc_co_u32_e32 v7, vcc, v0, v7, vcc
	v_accvgpr_write_b32 a41, v9
	v_accvgpr_write_b32 a43, v7
	;; [unrolled: 1-line block ×4, first 2 shown]
	global_load_dwordx4 v[6:9], v[6:7], off
	v_ashrrev_i32_e32 v53, 31, v52
	s_waitcnt vmcnt(21)
	buffer_store_dword v13, off, s[0:3], 0 offset:28
	buffer_store_dword v12, off, s[0:3], 0 offset:24
	;; [unrolled: 1-line block ×4, first 2 shown]
	s_waitcnt vmcnt(23)
	buffer_store_dword v57, off, s[0:3], 0 offset:44
	buffer_store_dword v56, off, s[0:3], 0 offset:40
	;; [unrolled: 1-line block ×8, first 2 shown]
	s_waitcnt vmcnt(30)
	buffer_store_dword v65, off, s[0:3], 0 offset:76
	buffer_store_dword v64, off, s[0:3], 0 offset:72
	buffer_store_dword v63, off, s[0:3], 0 offset:68
	buffer_store_dword v62, off, s[0:3], 0 offset:64
	s_waitcnt vmcnt(32)
	buffer_store_dword v69, off, s[0:3], 0 offset:92
	buffer_store_dword v68, off, s[0:3], 0 offset:88
	buffer_store_dword v67, off, s[0:3], 0 offset:84
	buffer_store_dword v66, off, s[0:3], 0 offset:80
	;; [unrolled: 5-line block ×13, first 2 shown]
	buffer_store_dword v117, off, s[0:3], 0 offset:284
	buffer_store_dword v116, off, s[0:3], 0 offset:280
	;; [unrolled: 1-line block ×12, first 2 shown]
	s_waitcnt vmcnt(62)
	buffer_store_dword v131, off, s[0:3], 0 offset:332
	buffer_store_dword v130, off, s[0:3], 0 offset:328
	;; [unrolled: 1-line block ×5, first 2 shown]
	v_lshlrev_b64 v[10:11], 4, v[52:53]
	v_add_co_u32_e32 v12, vcc, s4, v10
	v_ashrrev_i32_e32 v51, 31, v50
	v_addc_co_u32_e32 v13, vcc, v0, v11, vcc
	v_lshlrev_b64 v[10:11], 4, v[50:51]
	v_add_co_u32_e32 v50, vcc, s4, v10
	v_accvgpr_write_b32 a45, v13
	v_addc_co_u32_e32 v51, vcc, v0, v11, vcc
	v_accvgpr_write_b32 a44, v12
	global_load_dwordx4 v[10:13], v[12:13], off
	v_accvgpr_write_b32 a46, v50
	v_ashrrev_i32_e32 v49, 31, v48
	v_accvgpr_write_b32 a47, v51
	global_load_dwordx4 v[50:53], v[50:51], off
	v_lshlrev_b64 v[48:49], 4, v[48:49]
	v_add_co_u32_e32 v48, vcc, s4, v48
	v_ashrrev_i32_e32 v47, 31, v46
	v_addc_co_u32_e32 v49, vcc, v0, v49, vcc
	v_lshlrev_b64 v[46:47], 4, v[46:47]
	v_add_co_u32_e32 v54, vcc, s4, v46
	v_accvgpr_write_b32 a48, v48
	v_addc_co_u32_e32 v55, vcc, v0, v47, vcc
	v_accvgpr_write_b32 a49, v49
	global_load_dwordx4 v[46:49], v[48:49], off
	v_accvgpr_write_b32 a50, v54
	v_ashrrev_i32_e32 v45, 31, v44
	v_accvgpr_write_b32 a51, v55
	global_load_dwordx4 v[54:57], v[54:55], off
	v_lshlrev_b64 v[44:45], 4, v[44:45]
	v_add_co_u32_e32 v44, vcc, s4, v44
	v_ashrrev_i32_e32 v43, 31, v42
	v_addc_co_u32_e32 v45, vcc, v0, v45, vcc
	v_lshlrev_b64 v[42:43], 4, v[42:43]
	v_add_co_u32_e32 v58, vcc, s4, v42
	v_accvgpr_write_b32 a53, v45
	v_addc_co_u32_e32 v59, vcc, v0, v43, vcc
	v_accvgpr_write_b32 a52, v44
	global_load_dwordx4 v[42:45], v[44:45], off
	v_accvgpr_write_b32 a54, v58
	v_ashrrev_i32_e32 v41, 31, v40
	v_accvgpr_write_b32 a55, v59
	global_load_dwordx4 v[58:61], v[58:59], off
	v_lshlrev_b64 v[40:41], 4, v[40:41]
	v_add_co_u32_e32 v40, vcc, s4, v40
	v_ashrrev_i32_e32 v39, 31, v38
	v_addc_co_u32_e32 v41, vcc, v0, v41, vcc
	v_lshlrev_b64 v[38:39], 4, v[38:39]
	v_add_co_u32_e32 v62, vcc, s4, v38
	v_accvgpr_write_b32 a57, v41
	v_addc_co_u32_e32 v63, vcc, v0, v39, vcc
	v_accvgpr_write_b32 a56, v40
	global_load_dwordx4 v[38:41], v[40:41], off
	v_accvgpr_write_b32 a58, v62
	v_ashrrev_i32_e32 v37, 31, v36
	v_accvgpr_write_b32 a59, v63
	global_load_dwordx4 v[62:65], v[62:63], off
	v_lshlrev_b64 v[36:37], 4, v[36:37]
	v_add_co_u32_e32 v36, vcc, s4, v36
	v_ashrrev_i32_e32 v35, 31, v34
	v_addc_co_u32_e32 v37, vcc, v0, v37, vcc
	v_lshlrev_b64 v[34:35], 4, v[34:35]
	v_add_co_u32_e32 v66, vcc, s4, v34
	v_accvgpr_write_b32 a61, v37
	v_addc_co_u32_e32 v67, vcc, v0, v35, vcc
	v_accvgpr_write_b32 a60, v36
	global_load_dwordx4 v[34:37], v[36:37], off
	v_accvgpr_write_b32 a62, v66
	v_ashrrev_i32_e32 v33, 31, v32
	v_accvgpr_write_b32 a63, v67
	global_load_dwordx4 v[66:69], v[66:67], off
	v_lshlrev_b64 v[32:33], 4, v[32:33]
	v_add_co_u32_e32 v32, vcc, s4, v32
	v_ashrrev_i32_e32 v31, 31, v30
	v_addc_co_u32_e32 v33, vcc, v0, v33, vcc
	v_lshlrev_b64 v[30:31], 4, v[30:31]
	v_add_co_u32_e32 v70, vcc, s4, v30
	v_accvgpr_write_b32 a65, v33
	v_addc_co_u32_e32 v71, vcc, v0, v31, vcc
	v_accvgpr_write_b32 a64, v32
	global_load_dwordx4 v[30:33], v[32:33], off
	v_accvgpr_write_b32 a66, v70
	v_ashrrev_i32_e32 v29, 31, v28
	v_accvgpr_write_b32 a67, v71
	global_load_dwordx4 v[70:73], v[70:71], off
	v_lshlrev_b64 v[28:29], 4, v[28:29]
	v_add_co_u32_e32 v28, vcc, s4, v28
	v_ashrrev_i32_e32 v27, 31, v26
	v_addc_co_u32_e32 v29, vcc, v0, v29, vcc
	v_lshlrev_b64 v[26:27], 4, v[26:27]
	v_add_co_u32_e32 v74, vcc, s4, v26
	v_accvgpr_write_b32 a69, v29
	v_addc_co_u32_e32 v75, vcc, v0, v27, vcc
	v_accvgpr_write_b32 a68, v28
	global_load_dwordx4 v[26:29], v[28:29], off
	v_accvgpr_write_b32 a70, v74
	v_ashrrev_i32_e32 v25, 31, v24
	v_accvgpr_write_b32 a71, v75
	global_load_dwordx4 v[74:77], v[74:75], off
	v_lshlrev_b64 v[24:25], 4, v[24:25]
	v_add_co_u32_e32 v24, vcc, s4, v24
	v_ashrrev_i32_e32 v23, 31, v22
	v_addc_co_u32_e32 v25, vcc, v0, v25, vcc
	v_lshlrev_b64 v[22:23], 4, v[22:23]
	v_add_co_u32_e32 v78, vcc, s4, v22
	v_accvgpr_write_b32 a73, v25
	v_addc_co_u32_e32 v79, vcc, v0, v23, vcc
	v_accvgpr_write_b32 a72, v24
	global_load_dwordx4 v[22:25], v[24:25], off
	v_accvgpr_write_b32 a74, v78
	v_ashrrev_i32_e32 v21, 31, v20
	v_accvgpr_write_b32 a75, v79
	global_load_dwordx4 v[78:81], v[78:79], off
	v_lshlrev_b64 v[20:21], 4, v[20:21]
	v_add_co_u32_e32 v20, vcc, s4, v20
	v_ashrrev_i32_e32 v19, 31, v18
	v_addc_co_u32_e32 v21, vcc, v0, v21, vcc
	v_lshlrev_b64 v[18:19], 4, v[18:19]
	v_add_co_u32_e32 v82, vcc, s4, v18
	v_accvgpr_write_b32 a77, v21
	v_addc_co_u32_e32 v83, vcc, v0, v19, vcc
	v_accvgpr_write_b32 a76, v20
	global_load_dwordx4 v[18:21], v[20:21], off
	v_accvgpr_write_b32 a78, v82
	v_ashrrev_i32_e32 v17, 31, v16
	v_accvgpr_write_b32 a79, v83
	global_load_dwordx4 v[82:85], v[82:83], off
	v_lshlrev_b64 v[16:17], 4, v[16:17]
	v_add_co_u32_e32 v16, vcc, s4, v16
	v_addc_co_u32_e32 v17, vcc, v0, v17, vcc
	v_ashrrev_i32_e32 v15, 31, v14
	v_accvgpr_write_b32 a81, v17
	v_lshlrev_b64 v[86:87], 4, v[14:15]
	v_accvgpr_write_b32 a80, v16
	global_load_dwordx4 v[14:17], v[16:17], off
	v_add_co_u32_e32 v86, vcc, s4, v86
	v_addc_co_u32_e32 v87, vcc, v0, v87, vcc
	v_accvgpr_write_b32 a82, v86
	v_accvgpr_write_b32 a83, v87
	global_load_dwordx4 v[86:89], v[86:87], off
	v_mov_b32_e32 v0, 16
	buffer_store_dword v8, off, s[0:3], 0 offset:344
	buffer_store_dword v7, off, s[0:3], 0 offset:340
	buffer_store_dword v6, off, s[0:3], 0 offset:336
	s_waitcnt vmcnt(22)
	buffer_store_dword v13, off, s[0:3], 0 offset:364
	buffer_store_dword v12, off, s[0:3], 0 offset:360
	buffer_store_dword v11, off, s[0:3], 0 offset:356
	buffer_store_dword v10, off, s[0:3], 0 offset:352
	s_waitcnt vmcnt(25)
	buffer_store_dword v53, off, s[0:3], 0 offset:380
	;; [unrolled: 5-line block ×15, first 2 shown]
	buffer_store_dword v24, off, s[0:3], 0 offset:584
	buffer_store_dword v23, off, s[0:3], 0 offset:580
	;; [unrolled: 1-line block ×11, first 2 shown]
	s_waitcnt vmcnt(62)
	buffer_store_dword v85, off, s[0:3], 0 offset:636
	buffer_store_dword v84, off, s[0:3], 0 offset:632
	;; [unrolled: 1-line block ×16, first 2 shown]
	v_add_u32_e32 v2, 16, v0
	v_accvgpr_write_b32 a124, v2
	v_add_u32_e32 v2, 32, v0
	v_accvgpr_write_b32 a123, v2
	;; [unrolled: 2-line block ×39, first 2 shown]
	v_add_u32_e32 v2, 0x280, v0
	v_add_u32_e32 v0, 0x290, v0
	v_accvgpr_write_b32 a85, v2
	v_accvgpr_write_b32 a84, v0
	s_bitcmp0_b32 s22, 0
	s_mov_b64 s[6:7], -1
	s_cbranch_scc1 .LBB41_180
; %bb.4:
	v_cmp_eq_u32_e64 s[4:5], 0, v118
	s_and_saveexec_b64 s[6:7], s[4:5]
	s_cbranch_execz .LBB41_6
; %bb.5:
	v_mov_b32_e32 v0, 0
	ds_write_b32 v0, v0 offset:1344
.LBB41_6:
	s_or_b64 exec, exec, s[6:7]
	v_mov_b32_e32 v0, 16
	v_lshl_add_u32 v12, v118, 4, v0
	s_waitcnt lgkmcnt(0)
	; wave barrier
	s_waitcnt lgkmcnt(0)
	buffer_load_dword v2, v12, s[0:3], 0 offen
	buffer_load_dword v3, v12, s[0:3], 0 offen offset:4
	buffer_load_dword v4, v12, s[0:3], 0 offen offset:8
	;; [unrolled: 1-line block ×3, first 2 shown]
	s_waitcnt vmcnt(2)
	v_cmp_eq_f64_e32 vcc, 0, v[2:3]
	s_waitcnt vmcnt(0)
	v_cmp_eq_f64_e64 s[6:7], 0, v[4:5]
	s_and_b64 s[6:7], vcc, s[6:7]
	s_and_saveexec_b64 s[12:13], s[6:7]
	s_cbranch_execz .LBB41_10
; %bb.7:
	v_mov_b32_e32 v2, 0
	ds_read_b32 v0, v2 offset:1344
	v_add_u32_e32 v3, 1, v118
	s_waitcnt lgkmcnt(0)
	v_readfirstlane_b32 s6, v0
	s_cmp_eq_u32 s6, 0
	s_cselect_b64 s[16:17], -1, 0
	v_cmp_gt_i32_e32 vcc, s6, v3
	s_or_b64 s[16:17], s[16:17], vcc
	s_and_b64 exec, exec, s[16:17]
	s_cbranch_execz .LBB41_10
; %bb.8:
	s_mov_b64 s[16:17], 0
	v_mov_b32_e32 v4, s6
.LBB41_9:                               ; =>This Inner Loop Header: Depth=1
	ds_cmpst_rtn_b32 v4, v2, v4, v3 offset:1344
	s_waitcnt lgkmcnt(0)
	v_cmp_ne_u32_e32 vcc, 0, v4
	v_cmp_le_i32_e64 s[6:7], v4, v3
	s_and_b64 s[6:7], vcc, s[6:7]
	s_and_b64 s[6:7], exec, s[6:7]
	s_or_b64 s[16:17], s[6:7], s[16:17]
	s_andn2_b64 exec, exec, s[16:17]
	s_cbranch_execnz .LBB41_9
.LBB41_10:
	s_or_b64 exec, exec, s[12:13]
	v_mov_b32_e32 v3, 0
	s_waitcnt lgkmcnt(0)
	; wave barrier
	ds_read_b32 v2, v3 offset:1344
	s_and_saveexec_b64 s[6:7], s[4:5]
	s_cbranch_execz .LBB41_12
; %bb.11:
	s_lshl_b64 s[12:13], s[8:9], 2
	s_add_u32 s12, s14, s12
	s_addc_u32 s13, s15, s13
	s_waitcnt lgkmcnt(0)
	global_store_dword v3, v2, s[12:13]
.LBB41_12:
	s_or_b64 exec, exec, s[6:7]
	s_waitcnt lgkmcnt(0)
	v_cmp_ne_u32_e32 vcc, 0, v2
	s_mov_b64 s[6:7], 0
	s_cbranch_vccnz .LBB41_180
; %bb.13:
	buffer_load_dword v7, v12, s[0:3], 0 offen offset:4
	buffer_load_dword v6, v12, s[0:3], 0 offen
	buffer_load_dword v9, v12, s[0:3], 0 offen offset:12
	buffer_load_dword v8, v12, s[0:3], 0 offen offset:8
                                        ; implicit-def: $vgpr10_vgpr11
	s_waitcnt vmcnt(3)
	v_xor_b32_e32 v0, 0x80000000, v7
	s_waitcnt vmcnt(2)
	v_cmp_gt_f64_e32 vcc, 0, v[6:7]
	s_waitcnt vmcnt(1)
	v_xor_b32_e32 v4, 0x80000000, v9
	v_cndmask_b32_e32 v3, v7, v0, vcc
	s_waitcnt vmcnt(0)
	v_cmp_gt_f64_e32 vcc, 0, v[8:9]
	v_mov_b32_e32 v2, v6
	v_cndmask_b32_e32 v5, v9, v4, vcc
	v_mov_b32_e32 v4, v8
	v_cmp_ngt_f64_e32 vcc, v[2:3], v[4:5]
                                        ; implicit-def: $vgpr4_vgpr5
	s_and_saveexec_b64 s[6:7], vcc
	s_xor_b64 s[6:7], exec, s[6:7]
	s_cbranch_execz .LBB41_15
; %bb.14:
	v_div_scale_f64 v[2:3], s[12:13], v[8:9], v[8:9], v[6:7]
	v_rcp_f64_e32 v[4:5], v[2:3]
	v_div_scale_f64 v[10:11], vcc, v[6:7], v[8:9], v[6:7]
	v_fma_f64 v[14:15], -v[2:3], v[4:5], 1.0
	v_fmac_f64_e32 v[4:5], v[4:5], v[14:15]
	v_fma_f64 v[14:15], -v[2:3], v[4:5], 1.0
	v_fmac_f64_e32 v[4:5], v[4:5], v[14:15]
	v_mul_f64 v[14:15], v[10:11], v[4:5]
	v_fma_f64 v[2:3], -v[2:3], v[14:15], v[10:11]
	v_div_fmas_f64 v[2:3], v[2:3], v[4:5], v[14:15]
	v_div_fixup_f64 v[2:3], v[2:3], v[8:9], v[6:7]
	v_fmac_f64_e32 v[8:9], v[6:7], v[2:3]
	v_div_scale_f64 v[4:5], s[12:13], v[8:9], v[8:9], 1.0
	v_rcp_f64_e32 v[6:7], v[4:5]
	v_fma_f64 v[10:11], -v[4:5], v[6:7], 1.0
	v_fmac_f64_e32 v[6:7], v[6:7], v[10:11]
	v_fma_f64 v[10:11], -v[4:5], v[6:7], 1.0
	v_fmac_f64_e32 v[6:7], v[6:7], v[10:11]
	v_div_scale_f64 v[10:11], vcc, 1.0, v[8:9], 1.0
	v_mul_f64 v[14:15], v[10:11], v[6:7]
	v_fma_f64 v[4:5], -v[4:5], v[14:15], v[10:11]
	s_nop 1
	v_div_fmas_f64 v[4:5], v[4:5], v[6:7], v[14:15]
	v_div_fixup_f64 v[4:5], v[4:5], v[8:9], 1.0
	v_mul_f64 v[10:11], v[2:3], v[4:5]
	v_xor_b32_e32 v5, 0x80000000, v5
	v_xor_b32_e32 v3, 0x80000000, v11
	v_mov_b32_e32 v2, v10
                                        ; implicit-def: $vgpr6_vgpr7
                                        ; implicit-def: $vgpr8_vgpr9
.LBB41_15:
	s_andn2_saveexec_b64 s[6:7], s[6:7]
	s_cbranch_execz .LBB41_17
; %bb.16:
	v_div_scale_f64 v[2:3], s[12:13], v[6:7], v[6:7], v[8:9]
	v_rcp_f64_e32 v[4:5], v[2:3]
	v_div_scale_f64 v[10:11], vcc, v[8:9], v[6:7], v[8:9]
	v_fma_f64 v[14:15], -v[2:3], v[4:5], 1.0
	v_fmac_f64_e32 v[4:5], v[4:5], v[14:15]
	v_fma_f64 v[14:15], -v[2:3], v[4:5], 1.0
	v_fmac_f64_e32 v[4:5], v[4:5], v[14:15]
	v_mul_f64 v[14:15], v[10:11], v[4:5]
	v_fma_f64 v[2:3], -v[2:3], v[14:15], v[10:11]
	v_div_fmas_f64 v[2:3], v[2:3], v[4:5], v[14:15]
	v_div_fixup_f64 v[4:5], v[2:3], v[6:7], v[8:9]
	v_fmac_f64_e32 v[6:7], v[8:9], v[4:5]
	v_div_scale_f64 v[2:3], s[12:13], v[6:7], v[6:7], 1.0
	v_rcp_f64_e32 v[8:9], v[2:3]
	v_fma_f64 v[10:11], -v[2:3], v[8:9], 1.0
	v_fmac_f64_e32 v[8:9], v[8:9], v[10:11]
	v_fma_f64 v[10:11], -v[2:3], v[8:9], 1.0
	v_fmac_f64_e32 v[8:9], v[8:9], v[10:11]
	v_div_scale_f64 v[10:11], vcc, 1.0, v[6:7], 1.0
	v_mul_f64 v[14:15], v[10:11], v[8:9]
	v_fma_f64 v[2:3], -v[2:3], v[14:15], v[10:11]
	s_nop 1
	v_div_fmas_f64 v[2:3], v[2:3], v[8:9], v[14:15]
	v_div_fixup_f64 v[10:11], v[2:3], v[6:7], 1.0
	v_xor_b32_e32 v3, 0x80000000, v11
	v_mov_b32_e32 v2, v10
	v_mul_f64 v[4:5], v[4:5], -v[10:11]
.LBB41_17:
	s_or_b64 exec, exec, s[6:7]
	buffer_store_dword v11, v12, s[0:3], 0 offen offset:4
	buffer_store_dword v10, v12, s[0:3], 0 offen
	buffer_store_dword v5, v12, s[0:3], 0 offen offset:12
	buffer_store_dword v4, v12, s[0:3], 0 offen offset:8
	v_accvgpr_read_b32 v0, a124
	buffer_load_dword v11, v0, s[0:3], 0 offen offset:12
	buffer_load_dword v10, v0, s[0:3], 0 offen offset:8
	;; [unrolled: 1-line block ×3, first 2 shown]
	buffer_load_dword v8, v0, s[0:3], 0 offen
	v_xor_b32_e32 v5, 0x80000000, v5
	v_add_u32_e32 v6, 0x2a0, v1
	ds_write_b128 v1, v[2:5]
	s_waitcnt vmcnt(0)
	ds_write_b128 v1, v[8:11] offset:672
	s_waitcnt lgkmcnt(0)
	; wave barrier
	s_waitcnt lgkmcnt(0)
	s_and_saveexec_b64 s[6:7], s[4:5]
	s_cbranch_execz .LBB41_19
; %bb.18:
	buffer_load_dword v14, v12, s[0:3], 0 offen offset:8
	buffer_load_dword v15, v12, s[0:3], 0 offen offset:12
	buffer_load_dword v16, v12, s[0:3], 0 offen
	buffer_load_dword v17, v12, s[0:3], 0 offen offset:4
	ds_read_b128 v[2:5], v6
	v_mov_b32_e32 v0, 0
	ds_read_b128 v[8:11], v0 offset:16
	s_waitcnt vmcnt(2) lgkmcnt(1)
	v_mul_f64 v[18:19], v[4:5], v[14:15]
	v_mul_f64 v[14:15], v[2:3], v[14:15]
	s_waitcnt vmcnt(0)
	v_fmac_f64_e32 v[14:15], v[4:5], v[16:17]
	v_fma_f64 v[2:3], v[2:3], v[16:17], -v[18:19]
	v_add_f64 v[4:5], v[14:15], 0
	v_add_f64 v[2:3], v[2:3], 0
	s_waitcnt lgkmcnt(0)
	v_mul_f64 v[14:15], v[4:5], v[10:11]
	v_mul_f64 v[10:11], v[2:3], v[10:11]
	v_fma_f64 v[2:3], v[2:3], v[8:9], -v[14:15]
	v_fmac_f64_e32 v[10:11], v[4:5], v[8:9]
	buffer_store_dword v2, off, s[0:3], 0 offset:32
	buffer_store_dword v3, off, s[0:3], 0 offset:36
	;; [unrolled: 1-line block ×4, first 2 shown]
.LBB41_19:
	s_or_b64 exec, exec, s[6:7]
	v_accvgpr_read_b32 v0, a123
	s_waitcnt lgkmcnt(0)
	; wave barrier
	buffer_load_dword v2, v0, s[0:3], 0 offen
	buffer_load_dword v3, v0, s[0:3], 0 offen offset:4
	buffer_load_dword v4, v0, s[0:3], 0 offen offset:8
	;; [unrolled: 1-line block ×3, first 2 shown]
	v_cmp_gt_u32_e32 vcc, 2, v118
	s_waitcnt vmcnt(0)
	ds_write_b128 v6, v[2:5]
	s_waitcnt lgkmcnt(0)
	; wave barrier
	s_waitcnt lgkmcnt(0)
	s_and_saveexec_b64 s[6:7], vcc
	s_cbranch_execz .LBB41_23
; %bb.20:
	buffer_load_dword v8, v12, s[0:3], 0 offen offset:8
	buffer_load_dword v9, v12, s[0:3], 0 offen offset:12
	buffer_load_dword v10, v12, s[0:3], 0 offen
	buffer_load_dword v11, v12, s[0:3], 0 offen offset:4
	ds_read_b128 v[2:5], v6
	s_waitcnt vmcnt(2) lgkmcnt(0)
	v_mul_f64 v[12:13], v[4:5], v[8:9]
	v_mul_f64 v[8:9], v[2:3], v[8:9]
	s_waitcnt vmcnt(0)
	v_fma_f64 v[2:3], v[2:3], v[10:11], -v[12:13]
	v_fmac_f64_e32 v[8:9], v[4:5], v[10:11]
	v_add_f64 v[4:5], v[2:3], 0
	v_add_f64 v[2:3], v[8:9], 0
	s_and_saveexec_b64 s[12:13], s[4:5]
	s_cbranch_execz .LBB41_22
; %bb.21:
	buffer_load_dword v12, off, s[0:3], 0 offset:40
	buffer_load_dword v13, off, s[0:3], 0 offset:44
	;; [unrolled: 1-line block ×4, first 2 shown]
	v_mov_b32_e32 v0, 0
	ds_read_b128 v[8:11], v0 offset:688
	s_waitcnt vmcnt(2) lgkmcnt(0)
	v_mul_f64 v[16:17], v[8:9], v[12:13]
	v_mul_f64 v[12:13], v[10:11], v[12:13]
	s_waitcnt vmcnt(0)
	v_fmac_f64_e32 v[16:17], v[10:11], v[14:15]
	v_fma_f64 v[8:9], v[8:9], v[14:15], -v[12:13]
	v_add_f64 v[2:3], v[2:3], v[16:17]
	v_add_f64 v[4:5], v[4:5], v[8:9]
.LBB41_22:
	s_or_b64 exec, exec, s[12:13]
	v_mov_b32_e32 v0, 0
	ds_read_b128 v[8:11], v0 offset:32
	s_waitcnt lgkmcnt(0)
	v_mul_f64 v[12:13], v[2:3], v[10:11]
	v_mul_f64 v[10:11], v[4:5], v[10:11]
	v_fma_f64 v[4:5], v[4:5], v[8:9], -v[12:13]
	v_fmac_f64_e32 v[10:11], v[2:3], v[8:9]
	buffer_store_dword v5, off, s[0:3], 0 offset:52
	buffer_store_dword v4, off, s[0:3], 0 offset:48
	;; [unrolled: 1-line block ×4, first 2 shown]
.LBB41_23:
	s_or_b64 exec, exec, s[6:7]
	v_accvgpr_read_b32 v0, a122
	s_waitcnt lgkmcnt(0)
	; wave barrier
	buffer_load_dword v2, v0, s[0:3], 0 offen
	buffer_load_dword v3, v0, s[0:3], 0 offen offset:4
	buffer_load_dword v4, v0, s[0:3], 0 offen offset:8
	;; [unrolled: 1-line block ×3, first 2 shown]
	v_cmp_gt_u32_e32 vcc, 3, v118
	v_add_u32_e32 v7, -1, v118
	s_waitcnt vmcnt(0)
	ds_write_b128 v6, v[2:5]
	s_waitcnt lgkmcnt(0)
	; wave barrier
	s_waitcnt lgkmcnt(0)
	s_and_saveexec_b64 s[4:5], vcc
	s_cbranch_execz .LBB41_27
; %bb.24:
	v_pk_mov_b32 v[2:3], 0, 0
	v_add_u32_e32 v8, -1, v118
	v_add_u32_e32 v9, 0x2a0, v1
	v_add_u32_e32 v10, 16, v1
	s_mov_b64 s[6:7], 0
	v_pk_mov_b32 v[4:5], v[2:3], v[2:3] op_sel:[0,1]
.LBB41_25:                              ; =>This Inner Loop Header: Depth=1
	buffer_load_dword v16, v10, s[0:3], 0 offen offset:8
	buffer_load_dword v17, v10, s[0:3], 0 offen offset:12
	buffer_load_dword v18, v10, s[0:3], 0 offen
	buffer_load_dword v19, v10, s[0:3], 0 offen offset:4
	ds_read_b128 v[12:15], v9
	v_add_u32_e32 v8, 1, v8
	v_cmp_lt_u32_e32 vcc, 1, v8
	v_add_u32_e32 v9, 16, v9
	v_add_u32_e32 v10, 16, v10
	s_or_b64 s[6:7], vcc, s[6:7]
	s_waitcnt vmcnt(2) lgkmcnt(0)
	v_mul_f64 v[20:21], v[14:15], v[16:17]
	v_mul_f64 v[16:17], v[12:13], v[16:17]
	s_waitcnt vmcnt(0)
	v_fma_f64 v[12:13], v[12:13], v[18:19], -v[20:21]
	v_fmac_f64_e32 v[16:17], v[14:15], v[18:19]
	v_add_f64 v[4:5], v[4:5], v[12:13]
	v_add_f64 v[2:3], v[2:3], v[16:17]
	s_andn2_b64 exec, exec, s[6:7]
	s_cbranch_execnz .LBB41_25
; %bb.26:
	s_or_b64 exec, exec, s[6:7]
	v_mov_b32_e32 v0, 0
	ds_read_b128 v[8:11], v0 offset:48
	s_waitcnt lgkmcnt(0)
	v_mul_f64 v[12:13], v[2:3], v[10:11]
	v_mul_f64 v[10:11], v[4:5], v[10:11]
	v_fma_f64 v[4:5], v[4:5], v[8:9], -v[12:13]
	v_fmac_f64_e32 v[10:11], v[2:3], v[8:9]
	buffer_store_dword v5, off, s[0:3], 0 offset:68
	buffer_store_dword v4, off, s[0:3], 0 offset:64
	buffer_store_dword v11, off, s[0:3], 0 offset:76
	buffer_store_dword v10, off, s[0:3], 0 offset:72
.LBB41_27:
	s_or_b64 exec, exec, s[4:5]
	v_accvgpr_read_b32 v0, a121
	s_waitcnt lgkmcnt(0)
	; wave barrier
	buffer_load_dword v2, v0, s[0:3], 0 offen
	buffer_load_dword v3, v0, s[0:3], 0 offen offset:4
	buffer_load_dword v4, v0, s[0:3], 0 offen offset:8
	buffer_load_dword v5, v0, s[0:3], 0 offen offset:12
	v_cmp_gt_u32_e32 vcc, 4, v118
	s_waitcnt vmcnt(0)
	ds_write_b128 v6, v[2:5]
	s_waitcnt lgkmcnt(0)
	; wave barrier
	s_waitcnt lgkmcnt(0)
	s_and_saveexec_b64 s[4:5], vcc
	s_cbranch_execz .LBB41_31
; %bb.28:
	v_pk_mov_b32 v[2:3], 0, 0
	v_add_u32_e32 v8, -1, v118
	v_add_u32_e32 v9, 0x2a0, v1
	v_add_u32_e32 v10, 16, v1
	s_mov_b64 s[6:7], 0
	v_pk_mov_b32 v[4:5], v[2:3], v[2:3] op_sel:[0,1]
.LBB41_29:                              ; =>This Inner Loop Header: Depth=1
	buffer_load_dword v16, v10, s[0:3], 0 offen offset:8
	buffer_load_dword v17, v10, s[0:3], 0 offen offset:12
	buffer_load_dword v18, v10, s[0:3], 0 offen
	buffer_load_dword v19, v10, s[0:3], 0 offen offset:4
	ds_read_b128 v[12:15], v9
	v_add_u32_e32 v8, 1, v8
	v_cmp_lt_u32_e32 vcc, 2, v8
	v_add_u32_e32 v9, 16, v9
	v_add_u32_e32 v10, 16, v10
	s_or_b64 s[6:7], vcc, s[6:7]
	s_waitcnt vmcnt(2) lgkmcnt(0)
	v_mul_f64 v[20:21], v[14:15], v[16:17]
	v_mul_f64 v[16:17], v[12:13], v[16:17]
	s_waitcnt vmcnt(0)
	v_fma_f64 v[12:13], v[12:13], v[18:19], -v[20:21]
	v_fmac_f64_e32 v[16:17], v[14:15], v[18:19]
	v_add_f64 v[4:5], v[4:5], v[12:13]
	v_add_f64 v[2:3], v[2:3], v[16:17]
	s_andn2_b64 exec, exec, s[6:7]
	s_cbranch_execnz .LBB41_29
; %bb.30:
	s_or_b64 exec, exec, s[6:7]
	v_mov_b32_e32 v0, 0
	ds_read_b128 v[8:11], v0 offset:64
	s_waitcnt lgkmcnt(0)
	v_mul_f64 v[12:13], v[2:3], v[10:11]
	v_mul_f64 v[10:11], v[4:5], v[10:11]
	v_fma_f64 v[4:5], v[4:5], v[8:9], -v[12:13]
	v_fmac_f64_e32 v[10:11], v[2:3], v[8:9]
	buffer_store_dword v5, off, s[0:3], 0 offset:84
	buffer_store_dword v4, off, s[0:3], 0 offset:80
	buffer_store_dword v11, off, s[0:3], 0 offset:92
	buffer_store_dword v10, off, s[0:3], 0 offset:88
.LBB41_31:
	s_or_b64 exec, exec, s[4:5]
	v_accvgpr_read_b32 v0, a120
	s_waitcnt lgkmcnt(0)
	; wave barrier
	buffer_load_dword v2, v0, s[0:3], 0 offen
	buffer_load_dword v3, v0, s[0:3], 0 offen offset:4
	buffer_load_dword v4, v0, s[0:3], 0 offen offset:8
	buffer_load_dword v5, v0, s[0:3], 0 offen offset:12
	v_cmp_gt_u32_e32 vcc, 5, v118
	s_waitcnt vmcnt(0)
	ds_write_b128 v6, v[2:5]
	s_waitcnt lgkmcnt(0)
	; wave barrier
	s_waitcnt lgkmcnt(0)
	s_and_saveexec_b64 s[4:5], vcc
	s_cbranch_execz .LBB41_35
; %bb.32:
	v_pk_mov_b32 v[2:3], 0, 0
	v_add_u32_e32 v8, -1, v118
	v_add_u32_e32 v9, 0x2a0, v1
	v_add_u32_e32 v10, 16, v1
	s_mov_b64 s[6:7], 0
	v_pk_mov_b32 v[4:5], v[2:3], v[2:3] op_sel:[0,1]
.LBB41_33:                              ; =>This Inner Loop Header: Depth=1
	buffer_load_dword v16, v10, s[0:3], 0 offen offset:8
	buffer_load_dword v17, v10, s[0:3], 0 offen offset:12
	buffer_load_dword v18, v10, s[0:3], 0 offen
	buffer_load_dword v19, v10, s[0:3], 0 offen offset:4
	ds_read_b128 v[12:15], v9
	v_add_u32_e32 v8, 1, v8
	v_cmp_lt_u32_e32 vcc, 3, v8
	v_add_u32_e32 v9, 16, v9
	v_add_u32_e32 v10, 16, v10
	s_or_b64 s[6:7], vcc, s[6:7]
	s_waitcnt vmcnt(2) lgkmcnt(0)
	v_mul_f64 v[20:21], v[14:15], v[16:17]
	v_mul_f64 v[16:17], v[12:13], v[16:17]
	s_waitcnt vmcnt(0)
	v_fma_f64 v[12:13], v[12:13], v[18:19], -v[20:21]
	v_fmac_f64_e32 v[16:17], v[14:15], v[18:19]
	v_add_f64 v[4:5], v[4:5], v[12:13]
	v_add_f64 v[2:3], v[2:3], v[16:17]
	s_andn2_b64 exec, exec, s[6:7]
	s_cbranch_execnz .LBB41_33
; %bb.34:
	s_or_b64 exec, exec, s[6:7]
	v_mov_b32_e32 v0, 0
	ds_read_b128 v[8:11], v0 offset:80
	s_waitcnt lgkmcnt(0)
	v_mul_f64 v[12:13], v[2:3], v[10:11]
	v_mul_f64 v[10:11], v[4:5], v[10:11]
	v_fma_f64 v[4:5], v[4:5], v[8:9], -v[12:13]
	v_fmac_f64_e32 v[10:11], v[2:3], v[8:9]
	buffer_store_dword v5, off, s[0:3], 0 offset:100
	buffer_store_dword v4, off, s[0:3], 0 offset:96
	buffer_store_dword v11, off, s[0:3], 0 offset:108
	buffer_store_dword v10, off, s[0:3], 0 offset:104
.LBB41_35:
	s_or_b64 exec, exec, s[4:5]
	v_accvgpr_read_b32 v0, a119
	s_waitcnt lgkmcnt(0)
	; wave barrier
	buffer_load_dword v2, v0, s[0:3], 0 offen
	buffer_load_dword v3, v0, s[0:3], 0 offen offset:4
	buffer_load_dword v4, v0, s[0:3], 0 offen offset:8
	buffer_load_dword v5, v0, s[0:3], 0 offen offset:12
	v_cmp_gt_u32_e32 vcc, 6, v118
	s_waitcnt vmcnt(0)
	ds_write_b128 v6, v[2:5]
	s_waitcnt lgkmcnt(0)
	; wave barrier
	s_waitcnt lgkmcnt(0)
	s_and_saveexec_b64 s[4:5], vcc
	s_cbranch_execz .LBB41_39
; %bb.36:
	v_pk_mov_b32 v[2:3], 0, 0
	v_add_u32_e32 v8, -1, v118
	v_add_u32_e32 v9, 0x2a0, v1
	v_add_u32_e32 v10, 16, v1
	s_mov_b64 s[6:7], 0
	v_pk_mov_b32 v[4:5], v[2:3], v[2:3] op_sel:[0,1]
.LBB41_37:                              ; =>This Inner Loop Header: Depth=1
	buffer_load_dword v16, v10, s[0:3], 0 offen offset:8
	buffer_load_dword v17, v10, s[0:3], 0 offen offset:12
	buffer_load_dword v18, v10, s[0:3], 0 offen
	buffer_load_dword v19, v10, s[0:3], 0 offen offset:4
	ds_read_b128 v[12:15], v9
	v_add_u32_e32 v8, 1, v8
	v_cmp_lt_u32_e32 vcc, 4, v8
	v_add_u32_e32 v9, 16, v9
	v_add_u32_e32 v10, 16, v10
	s_or_b64 s[6:7], vcc, s[6:7]
	s_waitcnt vmcnt(2) lgkmcnt(0)
	v_mul_f64 v[20:21], v[14:15], v[16:17]
	v_mul_f64 v[16:17], v[12:13], v[16:17]
	s_waitcnt vmcnt(0)
	v_fma_f64 v[12:13], v[12:13], v[18:19], -v[20:21]
	v_fmac_f64_e32 v[16:17], v[14:15], v[18:19]
	v_add_f64 v[4:5], v[4:5], v[12:13]
	v_add_f64 v[2:3], v[2:3], v[16:17]
	s_andn2_b64 exec, exec, s[6:7]
	s_cbranch_execnz .LBB41_37
; %bb.38:
	s_or_b64 exec, exec, s[6:7]
	v_mov_b32_e32 v0, 0
	ds_read_b128 v[8:11], v0 offset:96
	s_waitcnt lgkmcnt(0)
	v_mul_f64 v[12:13], v[2:3], v[10:11]
	v_mul_f64 v[10:11], v[4:5], v[10:11]
	v_fma_f64 v[4:5], v[4:5], v[8:9], -v[12:13]
	v_fmac_f64_e32 v[10:11], v[2:3], v[8:9]
	buffer_store_dword v5, off, s[0:3], 0 offset:116
	buffer_store_dword v4, off, s[0:3], 0 offset:112
	buffer_store_dword v11, off, s[0:3], 0 offset:124
	buffer_store_dword v10, off, s[0:3], 0 offset:120
.LBB41_39:
	s_or_b64 exec, exec, s[4:5]
	v_accvgpr_read_b32 v0, a118
	s_waitcnt lgkmcnt(0)
	; wave barrier
	buffer_load_dword v2, v0, s[0:3], 0 offen
	buffer_load_dword v3, v0, s[0:3], 0 offen offset:4
	buffer_load_dword v4, v0, s[0:3], 0 offen offset:8
	buffer_load_dword v5, v0, s[0:3], 0 offen offset:12
	v_cmp_gt_u32_e32 vcc, 7, v118
	s_waitcnt vmcnt(0)
	ds_write_b128 v6, v[2:5]
	s_waitcnt lgkmcnt(0)
	; wave barrier
	s_waitcnt lgkmcnt(0)
	s_and_saveexec_b64 s[4:5], vcc
	s_cbranch_execz .LBB41_43
; %bb.40:
	v_pk_mov_b32 v[2:3], 0, 0
	v_add_u32_e32 v8, -1, v118
	v_add_u32_e32 v9, 0x2a0, v1
	v_add_u32_e32 v10, 16, v1
	s_mov_b64 s[6:7], 0
	v_pk_mov_b32 v[4:5], v[2:3], v[2:3] op_sel:[0,1]
.LBB41_41:                              ; =>This Inner Loop Header: Depth=1
	buffer_load_dword v16, v10, s[0:3], 0 offen offset:8
	buffer_load_dword v17, v10, s[0:3], 0 offen offset:12
	buffer_load_dword v18, v10, s[0:3], 0 offen
	buffer_load_dword v19, v10, s[0:3], 0 offen offset:4
	ds_read_b128 v[12:15], v9
	v_add_u32_e32 v8, 1, v8
	v_cmp_lt_u32_e32 vcc, 5, v8
	v_add_u32_e32 v9, 16, v9
	v_add_u32_e32 v10, 16, v10
	s_or_b64 s[6:7], vcc, s[6:7]
	s_waitcnt vmcnt(2) lgkmcnt(0)
	v_mul_f64 v[20:21], v[14:15], v[16:17]
	v_mul_f64 v[16:17], v[12:13], v[16:17]
	s_waitcnt vmcnt(0)
	v_fma_f64 v[12:13], v[12:13], v[18:19], -v[20:21]
	v_fmac_f64_e32 v[16:17], v[14:15], v[18:19]
	v_add_f64 v[4:5], v[4:5], v[12:13]
	v_add_f64 v[2:3], v[2:3], v[16:17]
	s_andn2_b64 exec, exec, s[6:7]
	s_cbranch_execnz .LBB41_41
; %bb.42:
	s_or_b64 exec, exec, s[6:7]
	v_mov_b32_e32 v0, 0
	ds_read_b128 v[8:11], v0 offset:112
	s_waitcnt lgkmcnt(0)
	v_mul_f64 v[12:13], v[2:3], v[10:11]
	v_mul_f64 v[10:11], v[4:5], v[10:11]
	v_fma_f64 v[4:5], v[4:5], v[8:9], -v[12:13]
	v_fmac_f64_e32 v[10:11], v[2:3], v[8:9]
	buffer_store_dword v5, off, s[0:3], 0 offset:132
	buffer_store_dword v4, off, s[0:3], 0 offset:128
	buffer_store_dword v11, off, s[0:3], 0 offset:140
	buffer_store_dword v10, off, s[0:3], 0 offset:136
.LBB41_43:
	s_or_b64 exec, exec, s[4:5]
	v_accvgpr_read_b32 v0, a117
	s_waitcnt lgkmcnt(0)
	; wave barrier
	buffer_load_dword v2, v0, s[0:3], 0 offen
	buffer_load_dword v3, v0, s[0:3], 0 offen offset:4
	buffer_load_dword v4, v0, s[0:3], 0 offen offset:8
	buffer_load_dword v5, v0, s[0:3], 0 offen offset:12
	v_cmp_gt_u32_e32 vcc, 8, v118
	s_waitcnt vmcnt(0)
	ds_write_b128 v6, v[2:5]
	s_waitcnt lgkmcnt(0)
	; wave barrier
	s_waitcnt lgkmcnt(0)
	s_and_saveexec_b64 s[4:5], vcc
	s_cbranch_execz .LBB41_47
; %bb.44:
	v_pk_mov_b32 v[2:3], 0, 0
	v_add_u32_e32 v8, -1, v118
	v_add_u32_e32 v9, 0x2a0, v1
	v_add_u32_e32 v10, 16, v1
	s_mov_b64 s[6:7], 0
	v_pk_mov_b32 v[4:5], v[2:3], v[2:3] op_sel:[0,1]
.LBB41_45:                              ; =>This Inner Loop Header: Depth=1
	buffer_load_dword v16, v10, s[0:3], 0 offen offset:8
	buffer_load_dword v17, v10, s[0:3], 0 offen offset:12
	buffer_load_dword v18, v10, s[0:3], 0 offen
	buffer_load_dword v19, v10, s[0:3], 0 offen offset:4
	ds_read_b128 v[12:15], v9
	v_add_u32_e32 v8, 1, v8
	v_cmp_lt_u32_e32 vcc, 6, v8
	v_add_u32_e32 v9, 16, v9
	v_add_u32_e32 v10, 16, v10
	s_or_b64 s[6:7], vcc, s[6:7]
	s_waitcnt vmcnt(2) lgkmcnt(0)
	v_mul_f64 v[20:21], v[14:15], v[16:17]
	v_mul_f64 v[16:17], v[12:13], v[16:17]
	s_waitcnt vmcnt(0)
	v_fma_f64 v[12:13], v[12:13], v[18:19], -v[20:21]
	v_fmac_f64_e32 v[16:17], v[14:15], v[18:19]
	v_add_f64 v[4:5], v[4:5], v[12:13]
	v_add_f64 v[2:3], v[2:3], v[16:17]
	s_andn2_b64 exec, exec, s[6:7]
	s_cbranch_execnz .LBB41_45
; %bb.46:
	s_or_b64 exec, exec, s[6:7]
	v_mov_b32_e32 v0, 0
	ds_read_b128 v[8:11], v0 offset:128
	s_waitcnt lgkmcnt(0)
	v_mul_f64 v[12:13], v[2:3], v[10:11]
	v_mul_f64 v[10:11], v[4:5], v[10:11]
	v_fma_f64 v[4:5], v[4:5], v[8:9], -v[12:13]
	v_fmac_f64_e32 v[10:11], v[2:3], v[8:9]
	buffer_store_dword v5, off, s[0:3], 0 offset:148
	buffer_store_dword v4, off, s[0:3], 0 offset:144
	buffer_store_dword v11, off, s[0:3], 0 offset:156
	buffer_store_dword v10, off, s[0:3], 0 offset:152
.LBB41_47:
	s_or_b64 exec, exec, s[4:5]
	v_accvgpr_read_b32 v0, a116
	s_waitcnt lgkmcnt(0)
	; wave barrier
	buffer_load_dword v2, v0, s[0:3], 0 offen
	buffer_load_dword v3, v0, s[0:3], 0 offen offset:4
	buffer_load_dword v4, v0, s[0:3], 0 offen offset:8
	buffer_load_dword v5, v0, s[0:3], 0 offen offset:12
	v_cmp_gt_u32_e32 vcc, 9, v118
	s_waitcnt vmcnt(0)
	ds_write_b128 v6, v[2:5]
	s_waitcnt lgkmcnt(0)
	; wave barrier
	s_waitcnt lgkmcnt(0)
	s_and_saveexec_b64 s[4:5], vcc
	s_cbranch_execz .LBB41_51
; %bb.48:
	v_pk_mov_b32 v[2:3], 0, 0
	v_add_u32_e32 v8, -1, v118
	v_add_u32_e32 v9, 0x2a0, v1
	v_add_u32_e32 v10, 16, v1
	s_mov_b64 s[6:7], 0
	v_pk_mov_b32 v[4:5], v[2:3], v[2:3] op_sel:[0,1]
.LBB41_49:                              ; =>This Inner Loop Header: Depth=1
	buffer_load_dword v16, v10, s[0:3], 0 offen offset:8
	buffer_load_dword v17, v10, s[0:3], 0 offen offset:12
	buffer_load_dword v18, v10, s[0:3], 0 offen
	buffer_load_dword v19, v10, s[0:3], 0 offen offset:4
	ds_read_b128 v[12:15], v9
	v_add_u32_e32 v8, 1, v8
	v_cmp_lt_u32_e32 vcc, 7, v8
	v_add_u32_e32 v9, 16, v9
	v_add_u32_e32 v10, 16, v10
	s_or_b64 s[6:7], vcc, s[6:7]
	s_waitcnt vmcnt(2) lgkmcnt(0)
	v_mul_f64 v[20:21], v[14:15], v[16:17]
	v_mul_f64 v[16:17], v[12:13], v[16:17]
	s_waitcnt vmcnt(0)
	v_fma_f64 v[12:13], v[12:13], v[18:19], -v[20:21]
	v_fmac_f64_e32 v[16:17], v[14:15], v[18:19]
	v_add_f64 v[4:5], v[4:5], v[12:13]
	v_add_f64 v[2:3], v[2:3], v[16:17]
	s_andn2_b64 exec, exec, s[6:7]
	s_cbranch_execnz .LBB41_49
; %bb.50:
	s_or_b64 exec, exec, s[6:7]
	v_mov_b32_e32 v0, 0
	ds_read_b128 v[8:11], v0 offset:144
	s_waitcnt lgkmcnt(0)
	v_mul_f64 v[12:13], v[2:3], v[10:11]
	v_mul_f64 v[10:11], v[4:5], v[10:11]
	v_fma_f64 v[4:5], v[4:5], v[8:9], -v[12:13]
	v_fmac_f64_e32 v[10:11], v[2:3], v[8:9]
	buffer_store_dword v5, off, s[0:3], 0 offset:164
	buffer_store_dword v4, off, s[0:3], 0 offset:160
	buffer_store_dword v11, off, s[0:3], 0 offset:172
	buffer_store_dword v10, off, s[0:3], 0 offset:168
.LBB41_51:
	s_or_b64 exec, exec, s[4:5]
	v_accvgpr_read_b32 v0, a115
	s_waitcnt lgkmcnt(0)
	; wave barrier
	buffer_load_dword v2, v0, s[0:3], 0 offen
	buffer_load_dword v3, v0, s[0:3], 0 offen offset:4
	buffer_load_dword v4, v0, s[0:3], 0 offen offset:8
	buffer_load_dword v5, v0, s[0:3], 0 offen offset:12
	v_cmp_gt_u32_e32 vcc, 10, v118
	s_waitcnt vmcnt(0)
	ds_write_b128 v6, v[2:5]
	s_waitcnt lgkmcnt(0)
	; wave barrier
	s_waitcnt lgkmcnt(0)
	s_and_saveexec_b64 s[4:5], vcc
	s_cbranch_execz .LBB41_55
; %bb.52:
	v_pk_mov_b32 v[2:3], 0, 0
	v_add_u32_e32 v8, -1, v118
	v_add_u32_e32 v9, 0x2a0, v1
	v_add_u32_e32 v10, 16, v1
	s_mov_b64 s[6:7], 0
	v_pk_mov_b32 v[4:5], v[2:3], v[2:3] op_sel:[0,1]
.LBB41_53:                              ; =>This Inner Loop Header: Depth=1
	buffer_load_dword v16, v10, s[0:3], 0 offen offset:8
	buffer_load_dword v17, v10, s[0:3], 0 offen offset:12
	buffer_load_dword v18, v10, s[0:3], 0 offen
	buffer_load_dword v19, v10, s[0:3], 0 offen offset:4
	ds_read_b128 v[12:15], v9
	v_add_u32_e32 v8, 1, v8
	v_cmp_lt_u32_e32 vcc, 8, v8
	v_add_u32_e32 v9, 16, v9
	v_add_u32_e32 v10, 16, v10
	s_or_b64 s[6:7], vcc, s[6:7]
	s_waitcnt vmcnt(2) lgkmcnt(0)
	v_mul_f64 v[20:21], v[14:15], v[16:17]
	v_mul_f64 v[16:17], v[12:13], v[16:17]
	s_waitcnt vmcnt(0)
	v_fma_f64 v[12:13], v[12:13], v[18:19], -v[20:21]
	v_fmac_f64_e32 v[16:17], v[14:15], v[18:19]
	v_add_f64 v[4:5], v[4:5], v[12:13]
	v_add_f64 v[2:3], v[2:3], v[16:17]
	s_andn2_b64 exec, exec, s[6:7]
	s_cbranch_execnz .LBB41_53
; %bb.54:
	s_or_b64 exec, exec, s[6:7]
	v_mov_b32_e32 v0, 0
	ds_read_b128 v[8:11], v0 offset:160
	s_waitcnt lgkmcnt(0)
	v_mul_f64 v[12:13], v[2:3], v[10:11]
	v_mul_f64 v[10:11], v[4:5], v[10:11]
	v_fma_f64 v[4:5], v[4:5], v[8:9], -v[12:13]
	v_fmac_f64_e32 v[10:11], v[2:3], v[8:9]
	buffer_store_dword v5, off, s[0:3], 0 offset:180
	buffer_store_dword v4, off, s[0:3], 0 offset:176
	buffer_store_dword v11, off, s[0:3], 0 offset:188
	buffer_store_dword v10, off, s[0:3], 0 offset:184
.LBB41_55:
	s_or_b64 exec, exec, s[4:5]
	v_accvgpr_read_b32 v0, a114
	s_waitcnt lgkmcnt(0)
	; wave barrier
	buffer_load_dword v2, v0, s[0:3], 0 offen
	buffer_load_dword v3, v0, s[0:3], 0 offen offset:4
	buffer_load_dword v4, v0, s[0:3], 0 offen offset:8
	buffer_load_dword v5, v0, s[0:3], 0 offen offset:12
	v_cmp_gt_u32_e32 vcc, 11, v118
	s_waitcnt vmcnt(0)
	ds_write_b128 v6, v[2:5]
	s_waitcnt lgkmcnt(0)
	; wave barrier
	s_waitcnt lgkmcnt(0)
	s_and_saveexec_b64 s[4:5], vcc
	s_cbranch_execz .LBB41_59
; %bb.56:
	v_pk_mov_b32 v[2:3], 0, 0
	v_add_u32_e32 v8, -1, v118
	v_add_u32_e32 v9, 0x2a0, v1
	v_add_u32_e32 v10, 16, v1
	s_mov_b64 s[6:7], 0
	v_pk_mov_b32 v[4:5], v[2:3], v[2:3] op_sel:[0,1]
.LBB41_57:                              ; =>This Inner Loop Header: Depth=1
	buffer_load_dword v16, v10, s[0:3], 0 offen offset:8
	buffer_load_dword v17, v10, s[0:3], 0 offen offset:12
	buffer_load_dword v18, v10, s[0:3], 0 offen
	buffer_load_dword v19, v10, s[0:3], 0 offen offset:4
	ds_read_b128 v[12:15], v9
	v_add_u32_e32 v8, 1, v8
	v_cmp_lt_u32_e32 vcc, 9, v8
	v_add_u32_e32 v9, 16, v9
	v_add_u32_e32 v10, 16, v10
	s_or_b64 s[6:7], vcc, s[6:7]
	s_waitcnt vmcnt(2) lgkmcnt(0)
	v_mul_f64 v[20:21], v[14:15], v[16:17]
	v_mul_f64 v[16:17], v[12:13], v[16:17]
	s_waitcnt vmcnt(0)
	v_fma_f64 v[12:13], v[12:13], v[18:19], -v[20:21]
	v_fmac_f64_e32 v[16:17], v[14:15], v[18:19]
	v_add_f64 v[4:5], v[4:5], v[12:13]
	v_add_f64 v[2:3], v[2:3], v[16:17]
	s_andn2_b64 exec, exec, s[6:7]
	s_cbranch_execnz .LBB41_57
; %bb.58:
	s_or_b64 exec, exec, s[6:7]
	v_mov_b32_e32 v0, 0
	ds_read_b128 v[8:11], v0 offset:176
	s_waitcnt lgkmcnt(0)
	v_mul_f64 v[12:13], v[2:3], v[10:11]
	v_mul_f64 v[10:11], v[4:5], v[10:11]
	v_fma_f64 v[4:5], v[4:5], v[8:9], -v[12:13]
	v_fmac_f64_e32 v[10:11], v[2:3], v[8:9]
	buffer_store_dword v5, off, s[0:3], 0 offset:196
	buffer_store_dword v4, off, s[0:3], 0 offset:192
	buffer_store_dword v11, off, s[0:3], 0 offset:204
	buffer_store_dword v10, off, s[0:3], 0 offset:200
.LBB41_59:
	s_or_b64 exec, exec, s[4:5]
	v_accvgpr_read_b32 v0, a113
	s_waitcnt lgkmcnt(0)
	; wave barrier
	buffer_load_dword v2, v0, s[0:3], 0 offen
	buffer_load_dword v3, v0, s[0:3], 0 offen offset:4
	buffer_load_dword v4, v0, s[0:3], 0 offen offset:8
	buffer_load_dword v5, v0, s[0:3], 0 offen offset:12
	v_cmp_gt_u32_e32 vcc, 12, v118
	s_waitcnt vmcnt(0)
	ds_write_b128 v6, v[2:5]
	s_waitcnt lgkmcnt(0)
	; wave barrier
	s_waitcnt lgkmcnt(0)
	s_and_saveexec_b64 s[4:5], vcc
	s_cbranch_execz .LBB41_63
; %bb.60:
	v_pk_mov_b32 v[2:3], 0, 0
	v_add_u32_e32 v8, -1, v118
	v_add_u32_e32 v9, 0x2a0, v1
	v_add_u32_e32 v10, 16, v1
	s_mov_b64 s[6:7], 0
	v_pk_mov_b32 v[4:5], v[2:3], v[2:3] op_sel:[0,1]
.LBB41_61:                              ; =>This Inner Loop Header: Depth=1
	buffer_load_dword v16, v10, s[0:3], 0 offen offset:8
	buffer_load_dword v17, v10, s[0:3], 0 offen offset:12
	buffer_load_dword v18, v10, s[0:3], 0 offen
	buffer_load_dword v19, v10, s[0:3], 0 offen offset:4
	ds_read_b128 v[12:15], v9
	v_add_u32_e32 v8, 1, v8
	v_cmp_lt_u32_e32 vcc, 10, v8
	v_add_u32_e32 v9, 16, v9
	v_add_u32_e32 v10, 16, v10
	s_or_b64 s[6:7], vcc, s[6:7]
	s_waitcnt vmcnt(2) lgkmcnt(0)
	v_mul_f64 v[20:21], v[14:15], v[16:17]
	v_mul_f64 v[16:17], v[12:13], v[16:17]
	s_waitcnt vmcnt(0)
	v_fma_f64 v[12:13], v[12:13], v[18:19], -v[20:21]
	v_fmac_f64_e32 v[16:17], v[14:15], v[18:19]
	v_add_f64 v[4:5], v[4:5], v[12:13]
	v_add_f64 v[2:3], v[2:3], v[16:17]
	s_andn2_b64 exec, exec, s[6:7]
	s_cbranch_execnz .LBB41_61
; %bb.62:
	s_or_b64 exec, exec, s[6:7]
	v_mov_b32_e32 v0, 0
	ds_read_b128 v[8:11], v0 offset:192
	s_waitcnt lgkmcnt(0)
	v_mul_f64 v[12:13], v[2:3], v[10:11]
	v_mul_f64 v[10:11], v[4:5], v[10:11]
	v_fma_f64 v[4:5], v[4:5], v[8:9], -v[12:13]
	v_fmac_f64_e32 v[10:11], v[2:3], v[8:9]
	buffer_store_dword v5, off, s[0:3], 0 offset:212
	buffer_store_dword v4, off, s[0:3], 0 offset:208
	buffer_store_dword v11, off, s[0:3], 0 offset:220
	buffer_store_dword v10, off, s[0:3], 0 offset:216
.LBB41_63:
	s_or_b64 exec, exec, s[4:5]
	v_accvgpr_read_b32 v0, a112
	s_waitcnt lgkmcnt(0)
	; wave barrier
	buffer_load_dword v2, v0, s[0:3], 0 offen
	buffer_load_dword v3, v0, s[0:3], 0 offen offset:4
	buffer_load_dword v4, v0, s[0:3], 0 offen offset:8
	buffer_load_dword v5, v0, s[0:3], 0 offen offset:12
	v_cmp_gt_u32_e32 vcc, 13, v118
	s_waitcnt vmcnt(0)
	ds_write_b128 v6, v[2:5]
	s_waitcnt lgkmcnt(0)
	; wave barrier
	s_waitcnt lgkmcnt(0)
	s_and_saveexec_b64 s[4:5], vcc
	s_cbranch_execz .LBB41_67
; %bb.64:
	v_pk_mov_b32 v[2:3], 0, 0
	v_add_u32_e32 v8, -1, v118
	v_add_u32_e32 v9, 0x2a0, v1
	v_add_u32_e32 v10, 16, v1
	s_mov_b64 s[6:7], 0
	v_pk_mov_b32 v[4:5], v[2:3], v[2:3] op_sel:[0,1]
.LBB41_65:                              ; =>This Inner Loop Header: Depth=1
	buffer_load_dword v16, v10, s[0:3], 0 offen offset:8
	buffer_load_dword v17, v10, s[0:3], 0 offen offset:12
	buffer_load_dword v18, v10, s[0:3], 0 offen
	buffer_load_dword v19, v10, s[0:3], 0 offen offset:4
	ds_read_b128 v[12:15], v9
	v_add_u32_e32 v8, 1, v8
	v_cmp_lt_u32_e32 vcc, 11, v8
	v_add_u32_e32 v9, 16, v9
	v_add_u32_e32 v10, 16, v10
	s_or_b64 s[6:7], vcc, s[6:7]
	s_waitcnt vmcnt(2) lgkmcnt(0)
	v_mul_f64 v[20:21], v[14:15], v[16:17]
	v_mul_f64 v[16:17], v[12:13], v[16:17]
	s_waitcnt vmcnt(0)
	v_fma_f64 v[12:13], v[12:13], v[18:19], -v[20:21]
	v_fmac_f64_e32 v[16:17], v[14:15], v[18:19]
	v_add_f64 v[4:5], v[4:5], v[12:13]
	v_add_f64 v[2:3], v[2:3], v[16:17]
	s_andn2_b64 exec, exec, s[6:7]
	s_cbranch_execnz .LBB41_65
; %bb.66:
	s_or_b64 exec, exec, s[6:7]
	v_mov_b32_e32 v0, 0
	ds_read_b128 v[8:11], v0 offset:208
	s_waitcnt lgkmcnt(0)
	v_mul_f64 v[12:13], v[2:3], v[10:11]
	v_mul_f64 v[10:11], v[4:5], v[10:11]
	v_fma_f64 v[4:5], v[4:5], v[8:9], -v[12:13]
	v_fmac_f64_e32 v[10:11], v[2:3], v[8:9]
	buffer_store_dword v5, off, s[0:3], 0 offset:228
	buffer_store_dword v4, off, s[0:3], 0 offset:224
	buffer_store_dword v11, off, s[0:3], 0 offset:236
	buffer_store_dword v10, off, s[0:3], 0 offset:232
.LBB41_67:
	s_or_b64 exec, exec, s[4:5]
	v_accvgpr_read_b32 v0, a111
	s_waitcnt lgkmcnt(0)
	; wave barrier
	buffer_load_dword v2, v0, s[0:3], 0 offen
	buffer_load_dword v3, v0, s[0:3], 0 offen offset:4
	buffer_load_dword v4, v0, s[0:3], 0 offen offset:8
	buffer_load_dword v5, v0, s[0:3], 0 offen offset:12
	v_cmp_gt_u32_e32 vcc, 14, v118
	s_waitcnt vmcnt(0)
	ds_write_b128 v6, v[2:5]
	s_waitcnt lgkmcnt(0)
	; wave barrier
	s_waitcnt lgkmcnt(0)
	s_and_saveexec_b64 s[4:5], vcc
	s_cbranch_execz .LBB41_71
; %bb.68:
	v_pk_mov_b32 v[2:3], 0, 0
	v_add_u32_e32 v8, -1, v118
	v_add_u32_e32 v9, 0x2a0, v1
	v_add_u32_e32 v10, 16, v1
	s_mov_b64 s[6:7], 0
	v_pk_mov_b32 v[4:5], v[2:3], v[2:3] op_sel:[0,1]
.LBB41_69:                              ; =>This Inner Loop Header: Depth=1
	buffer_load_dword v16, v10, s[0:3], 0 offen offset:8
	buffer_load_dword v17, v10, s[0:3], 0 offen offset:12
	buffer_load_dword v18, v10, s[0:3], 0 offen
	buffer_load_dword v19, v10, s[0:3], 0 offen offset:4
	ds_read_b128 v[12:15], v9
	v_add_u32_e32 v8, 1, v8
	v_cmp_lt_u32_e32 vcc, 12, v8
	v_add_u32_e32 v9, 16, v9
	v_add_u32_e32 v10, 16, v10
	s_or_b64 s[6:7], vcc, s[6:7]
	s_waitcnt vmcnt(2) lgkmcnt(0)
	v_mul_f64 v[20:21], v[14:15], v[16:17]
	v_mul_f64 v[16:17], v[12:13], v[16:17]
	s_waitcnt vmcnt(0)
	v_fma_f64 v[12:13], v[12:13], v[18:19], -v[20:21]
	v_fmac_f64_e32 v[16:17], v[14:15], v[18:19]
	v_add_f64 v[4:5], v[4:5], v[12:13]
	v_add_f64 v[2:3], v[2:3], v[16:17]
	s_andn2_b64 exec, exec, s[6:7]
	s_cbranch_execnz .LBB41_69
; %bb.70:
	s_or_b64 exec, exec, s[6:7]
	v_mov_b32_e32 v0, 0
	ds_read_b128 v[8:11], v0 offset:224
	s_waitcnt lgkmcnt(0)
	v_mul_f64 v[12:13], v[2:3], v[10:11]
	v_mul_f64 v[10:11], v[4:5], v[10:11]
	v_fma_f64 v[4:5], v[4:5], v[8:9], -v[12:13]
	v_fmac_f64_e32 v[10:11], v[2:3], v[8:9]
	buffer_store_dword v5, off, s[0:3], 0 offset:244
	buffer_store_dword v4, off, s[0:3], 0 offset:240
	buffer_store_dword v11, off, s[0:3], 0 offset:252
	buffer_store_dword v10, off, s[0:3], 0 offset:248
.LBB41_71:
	s_or_b64 exec, exec, s[4:5]
	v_accvgpr_read_b32 v0, a110
	s_waitcnt lgkmcnt(0)
	; wave barrier
	buffer_load_dword v2, v0, s[0:3], 0 offen
	buffer_load_dword v3, v0, s[0:3], 0 offen offset:4
	buffer_load_dword v4, v0, s[0:3], 0 offen offset:8
	buffer_load_dword v5, v0, s[0:3], 0 offen offset:12
	v_cmp_gt_u32_e32 vcc, 15, v118
	s_waitcnt vmcnt(0)
	ds_write_b128 v6, v[2:5]
	s_waitcnt lgkmcnt(0)
	; wave barrier
	s_waitcnt lgkmcnt(0)
	s_and_saveexec_b64 s[4:5], vcc
	s_cbranch_execz .LBB41_75
; %bb.72:
	v_pk_mov_b32 v[2:3], 0, 0
	v_add_u32_e32 v8, -1, v118
	v_add_u32_e32 v9, 0x2a0, v1
	v_add_u32_e32 v10, 16, v1
	s_mov_b64 s[6:7], 0
	v_pk_mov_b32 v[4:5], v[2:3], v[2:3] op_sel:[0,1]
.LBB41_73:                              ; =>This Inner Loop Header: Depth=1
	buffer_load_dword v16, v10, s[0:3], 0 offen offset:8
	buffer_load_dword v17, v10, s[0:3], 0 offen offset:12
	buffer_load_dword v18, v10, s[0:3], 0 offen
	buffer_load_dword v19, v10, s[0:3], 0 offen offset:4
	ds_read_b128 v[12:15], v9
	v_add_u32_e32 v8, 1, v8
	v_cmp_lt_u32_e32 vcc, 13, v8
	v_add_u32_e32 v9, 16, v9
	v_add_u32_e32 v10, 16, v10
	s_or_b64 s[6:7], vcc, s[6:7]
	s_waitcnt vmcnt(2) lgkmcnt(0)
	v_mul_f64 v[20:21], v[14:15], v[16:17]
	v_mul_f64 v[16:17], v[12:13], v[16:17]
	s_waitcnt vmcnt(0)
	v_fma_f64 v[12:13], v[12:13], v[18:19], -v[20:21]
	v_fmac_f64_e32 v[16:17], v[14:15], v[18:19]
	v_add_f64 v[4:5], v[4:5], v[12:13]
	v_add_f64 v[2:3], v[2:3], v[16:17]
	s_andn2_b64 exec, exec, s[6:7]
	s_cbranch_execnz .LBB41_73
; %bb.74:
	s_or_b64 exec, exec, s[6:7]
	v_mov_b32_e32 v0, 0
	ds_read_b128 v[8:11], v0 offset:240
	s_waitcnt lgkmcnt(0)
	v_mul_f64 v[12:13], v[2:3], v[10:11]
	v_mul_f64 v[10:11], v[4:5], v[10:11]
	v_fma_f64 v[4:5], v[4:5], v[8:9], -v[12:13]
	v_fmac_f64_e32 v[10:11], v[2:3], v[8:9]
	buffer_store_dword v5, off, s[0:3], 0 offset:260
	buffer_store_dword v4, off, s[0:3], 0 offset:256
	buffer_store_dword v11, off, s[0:3], 0 offset:268
	buffer_store_dword v10, off, s[0:3], 0 offset:264
.LBB41_75:
	s_or_b64 exec, exec, s[4:5]
	v_accvgpr_read_b32 v0, a109
	s_waitcnt lgkmcnt(0)
	; wave barrier
	buffer_load_dword v2, v0, s[0:3], 0 offen
	buffer_load_dword v3, v0, s[0:3], 0 offen offset:4
	buffer_load_dword v4, v0, s[0:3], 0 offen offset:8
	buffer_load_dword v5, v0, s[0:3], 0 offen offset:12
	v_cmp_gt_u32_e32 vcc, 16, v118
	s_waitcnt vmcnt(0)
	ds_write_b128 v6, v[2:5]
	s_waitcnt lgkmcnt(0)
	; wave barrier
	s_waitcnt lgkmcnt(0)
	s_and_saveexec_b64 s[4:5], vcc
	s_cbranch_execz .LBB41_79
; %bb.76:
	v_pk_mov_b32 v[2:3], 0, 0
	v_add_u32_e32 v8, -1, v118
	v_add_u32_e32 v9, 0x2a0, v1
	v_add_u32_e32 v10, 16, v1
	s_mov_b64 s[6:7], 0
	v_pk_mov_b32 v[4:5], v[2:3], v[2:3] op_sel:[0,1]
.LBB41_77:                              ; =>This Inner Loop Header: Depth=1
	buffer_load_dword v16, v10, s[0:3], 0 offen offset:8
	buffer_load_dword v17, v10, s[0:3], 0 offen offset:12
	buffer_load_dword v18, v10, s[0:3], 0 offen
	buffer_load_dword v19, v10, s[0:3], 0 offen offset:4
	ds_read_b128 v[12:15], v9
	v_add_u32_e32 v8, 1, v8
	v_cmp_lt_u32_e32 vcc, 14, v8
	v_add_u32_e32 v9, 16, v9
	v_add_u32_e32 v10, 16, v10
	s_or_b64 s[6:7], vcc, s[6:7]
	s_waitcnt vmcnt(2) lgkmcnt(0)
	v_mul_f64 v[20:21], v[14:15], v[16:17]
	v_mul_f64 v[16:17], v[12:13], v[16:17]
	s_waitcnt vmcnt(0)
	v_fma_f64 v[12:13], v[12:13], v[18:19], -v[20:21]
	v_fmac_f64_e32 v[16:17], v[14:15], v[18:19]
	v_add_f64 v[4:5], v[4:5], v[12:13]
	v_add_f64 v[2:3], v[2:3], v[16:17]
	s_andn2_b64 exec, exec, s[6:7]
	s_cbranch_execnz .LBB41_77
; %bb.78:
	s_or_b64 exec, exec, s[6:7]
	v_mov_b32_e32 v0, 0
	ds_read_b128 v[8:11], v0 offset:256
	s_waitcnt lgkmcnt(0)
	v_mul_f64 v[12:13], v[2:3], v[10:11]
	v_mul_f64 v[10:11], v[4:5], v[10:11]
	v_fma_f64 v[4:5], v[4:5], v[8:9], -v[12:13]
	v_fmac_f64_e32 v[10:11], v[2:3], v[8:9]
	buffer_store_dword v5, off, s[0:3], 0 offset:276
	buffer_store_dword v4, off, s[0:3], 0 offset:272
	buffer_store_dword v11, off, s[0:3], 0 offset:284
	buffer_store_dword v10, off, s[0:3], 0 offset:280
.LBB41_79:
	s_or_b64 exec, exec, s[4:5]
	v_accvgpr_read_b32 v0, a108
	s_waitcnt lgkmcnt(0)
	; wave barrier
	buffer_load_dword v2, v0, s[0:3], 0 offen
	buffer_load_dword v3, v0, s[0:3], 0 offen offset:4
	buffer_load_dword v4, v0, s[0:3], 0 offen offset:8
	buffer_load_dword v5, v0, s[0:3], 0 offen offset:12
	v_cmp_gt_u32_e32 vcc, 17, v118
	s_waitcnt vmcnt(0)
	ds_write_b128 v6, v[2:5]
	s_waitcnt lgkmcnt(0)
	; wave barrier
	s_waitcnt lgkmcnt(0)
	s_and_saveexec_b64 s[4:5], vcc
	s_cbranch_execz .LBB41_83
; %bb.80:
	v_pk_mov_b32 v[2:3], 0, 0
	v_add_u32_e32 v8, -1, v118
	v_add_u32_e32 v9, 0x2a0, v1
	v_add_u32_e32 v10, 16, v1
	s_mov_b64 s[6:7], 0
	v_pk_mov_b32 v[4:5], v[2:3], v[2:3] op_sel:[0,1]
.LBB41_81:                              ; =>This Inner Loop Header: Depth=1
	buffer_load_dword v16, v10, s[0:3], 0 offen offset:8
	buffer_load_dword v17, v10, s[0:3], 0 offen offset:12
	buffer_load_dword v18, v10, s[0:3], 0 offen
	buffer_load_dword v19, v10, s[0:3], 0 offen offset:4
	ds_read_b128 v[12:15], v9
	v_add_u32_e32 v8, 1, v8
	v_cmp_lt_u32_e32 vcc, 15, v8
	v_add_u32_e32 v9, 16, v9
	v_add_u32_e32 v10, 16, v10
	s_or_b64 s[6:7], vcc, s[6:7]
	s_waitcnt vmcnt(2) lgkmcnt(0)
	v_mul_f64 v[20:21], v[14:15], v[16:17]
	v_mul_f64 v[16:17], v[12:13], v[16:17]
	s_waitcnt vmcnt(0)
	v_fma_f64 v[12:13], v[12:13], v[18:19], -v[20:21]
	v_fmac_f64_e32 v[16:17], v[14:15], v[18:19]
	v_add_f64 v[4:5], v[4:5], v[12:13]
	v_add_f64 v[2:3], v[2:3], v[16:17]
	s_andn2_b64 exec, exec, s[6:7]
	s_cbranch_execnz .LBB41_81
; %bb.82:
	s_or_b64 exec, exec, s[6:7]
	v_mov_b32_e32 v0, 0
	ds_read_b128 v[8:11], v0 offset:272
	s_waitcnt lgkmcnt(0)
	v_mul_f64 v[12:13], v[2:3], v[10:11]
	v_mul_f64 v[10:11], v[4:5], v[10:11]
	v_fma_f64 v[4:5], v[4:5], v[8:9], -v[12:13]
	v_fmac_f64_e32 v[10:11], v[2:3], v[8:9]
	buffer_store_dword v5, off, s[0:3], 0 offset:292
	buffer_store_dword v4, off, s[0:3], 0 offset:288
	buffer_store_dword v11, off, s[0:3], 0 offset:300
	buffer_store_dword v10, off, s[0:3], 0 offset:296
.LBB41_83:
	s_or_b64 exec, exec, s[4:5]
	v_accvgpr_read_b32 v0, a107
	s_waitcnt lgkmcnt(0)
	; wave barrier
	buffer_load_dword v2, v0, s[0:3], 0 offen
	buffer_load_dword v3, v0, s[0:3], 0 offen offset:4
	buffer_load_dword v4, v0, s[0:3], 0 offen offset:8
	buffer_load_dword v5, v0, s[0:3], 0 offen offset:12
	v_cmp_gt_u32_e32 vcc, 18, v118
	s_waitcnt vmcnt(0)
	ds_write_b128 v6, v[2:5]
	s_waitcnt lgkmcnt(0)
	; wave barrier
	s_waitcnt lgkmcnt(0)
	s_and_saveexec_b64 s[4:5], vcc
	s_cbranch_execz .LBB41_87
; %bb.84:
	v_pk_mov_b32 v[2:3], 0, 0
	v_add_u32_e32 v8, -1, v118
	v_add_u32_e32 v9, 0x2a0, v1
	v_add_u32_e32 v10, 16, v1
	s_mov_b64 s[6:7], 0
	v_pk_mov_b32 v[4:5], v[2:3], v[2:3] op_sel:[0,1]
.LBB41_85:                              ; =>This Inner Loop Header: Depth=1
	buffer_load_dword v16, v10, s[0:3], 0 offen offset:8
	buffer_load_dword v17, v10, s[0:3], 0 offen offset:12
	buffer_load_dword v18, v10, s[0:3], 0 offen
	buffer_load_dword v19, v10, s[0:3], 0 offen offset:4
	ds_read_b128 v[12:15], v9
	v_add_u32_e32 v8, 1, v8
	v_cmp_lt_u32_e32 vcc, 16, v8
	v_add_u32_e32 v9, 16, v9
	v_add_u32_e32 v10, 16, v10
	s_or_b64 s[6:7], vcc, s[6:7]
	s_waitcnt vmcnt(2) lgkmcnt(0)
	v_mul_f64 v[20:21], v[14:15], v[16:17]
	v_mul_f64 v[16:17], v[12:13], v[16:17]
	s_waitcnt vmcnt(0)
	v_fma_f64 v[12:13], v[12:13], v[18:19], -v[20:21]
	v_fmac_f64_e32 v[16:17], v[14:15], v[18:19]
	v_add_f64 v[4:5], v[4:5], v[12:13]
	v_add_f64 v[2:3], v[2:3], v[16:17]
	s_andn2_b64 exec, exec, s[6:7]
	s_cbranch_execnz .LBB41_85
; %bb.86:
	s_or_b64 exec, exec, s[6:7]
	v_mov_b32_e32 v0, 0
	ds_read_b128 v[8:11], v0 offset:288
	s_waitcnt lgkmcnt(0)
	v_mul_f64 v[12:13], v[2:3], v[10:11]
	v_mul_f64 v[10:11], v[4:5], v[10:11]
	v_fma_f64 v[4:5], v[4:5], v[8:9], -v[12:13]
	v_fmac_f64_e32 v[10:11], v[2:3], v[8:9]
	buffer_store_dword v5, off, s[0:3], 0 offset:308
	buffer_store_dword v4, off, s[0:3], 0 offset:304
	buffer_store_dword v11, off, s[0:3], 0 offset:316
	buffer_store_dword v10, off, s[0:3], 0 offset:312
.LBB41_87:
	s_or_b64 exec, exec, s[4:5]
	v_accvgpr_read_b32 v0, a106
	s_waitcnt lgkmcnt(0)
	; wave barrier
	buffer_load_dword v2, v0, s[0:3], 0 offen
	buffer_load_dword v3, v0, s[0:3], 0 offen offset:4
	buffer_load_dword v4, v0, s[0:3], 0 offen offset:8
	buffer_load_dword v5, v0, s[0:3], 0 offen offset:12
	v_cmp_gt_u32_e32 vcc, 19, v118
	s_waitcnt vmcnt(0)
	ds_write_b128 v6, v[2:5]
	s_waitcnt lgkmcnt(0)
	; wave barrier
	s_waitcnt lgkmcnt(0)
	s_and_saveexec_b64 s[4:5], vcc
	s_cbranch_execz .LBB41_91
; %bb.88:
	v_pk_mov_b32 v[2:3], 0, 0
	v_add_u32_e32 v8, -1, v118
	v_add_u32_e32 v9, 0x2a0, v1
	v_add_u32_e32 v10, 16, v1
	s_mov_b64 s[6:7], 0
	v_pk_mov_b32 v[4:5], v[2:3], v[2:3] op_sel:[0,1]
.LBB41_89:                              ; =>This Inner Loop Header: Depth=1
	buffer_load_dword v16, v10, s[0:3], 0 offen offset:8
	buffer_load_dword v17, v10, s[0:3], 0 offen offset:12
	buffer_load_dword v18, v10, s[0:3], 0 offen
	buffer_load_dword v19, v10, s[0:3], 0 offen offset:4
	ds_read_b128 v[12:15], v9
	v_add_u32_e32 v8, 1, v8
	v_cmp_lt_u32_e32 vcc, 17, v8
	v_add_u32_e32 v9, 16, v9
	v_add_u32_e32 v10, 16, v10
	s_or_b64 s[6:7], vcc, s[6:7]
	s_waitcnt vmcnt(2) lgkmcnt(0)
	v_mul_f64 v[20:21], v[14:15], v[16:17]
	v_mul_f64 v[16:17], v[12:13], v[16:17]
	s_waitcnt vmcnt(0)
	v_fma_f64 v[12:13], v[12:13], v[18:19], -v[20:21]
	v_fmac_f64_e32 v[16:17], v[14:15], v[18:19]
	v_add_f64 v[4:5], v[4:5], v[12:13]
	v_add_f64 v[2:3], v[2:3], v[16:17]
	s_andn2_b64 exec, exec, s[6:7]
	s_cbranch_execnz .LBB41_89
; %bb.90:
	s_or_b64 exec, exec, s[6:7]
	v_mov_b32_e32 v0, 0
	ds_read_b128 v[8:11], v0 offset:304
	s_waitcnt lgkmcnt(0)
	v_mul_f64 v[12:13], v[2:3], v[10:11]
	v_mul_f64 v[10:11], v[4:5], v[10:11]
	v_fma_f64 v[4:5], v[4:5], v[8:9], -v[12:13]
	v_fmac_f64_e32 v[10:11], v[2:3], v[8:9]
	buffer_store_dword v5, off, s[0:3], 0 offset:324
	buffer_store_dword v4, off, s[0:3], 0 offset:320
	buffer_store_dword v11, off, s[0:3], 0 offset:332
	buffer_store_dword v10, off, s[0:3], 0 offset:328
.LBB41_91:
	s_or_b64 exec, exec, s[4:5]
	v_accvgpr_read_b32 v0, a105
	s_waitcnt lgkmcnt(0)
	; wave barrier
	buffer_load_dword v2, v0, s[0:3], 0 offen
	buffer_load_dword v3, v0, s[0:3], 0 offen offset:4
	buffer_load_dword v4, v0, s[0:3], 0 offen offset:8
	buffer_load_dword v5, v0, s[0:3], 0 offen offset:12
	v_cmp_gt_u32_e32 vcc, 20, v118
	s_waitcnt vmcnt(0)
	ds_write_b128 v6, v[2:5]
	s_waitcnt lgkmcnt(0)
	; wave barrier
	s_waitcnt lgkmcnt(0)
	s_and_saveexec_b64 s[4:5], vcc
	s_cbranch_execz .LBB41_95
; %bb.92:
	v_pk_mov_b32 v[2:3], 0, 0
	v_add_u32_e32 v8, -1, v118
	v_add_u32_e32 v9, 0x2a0, v1
	v_add_u32_e32 v10, 16, v1
	s_mov_b64 s[6:7], 0
	v_pk_mov_b32 v[4:5], v[2:3], v[2:3] op_sel:[0,1]
.LBB41_93:                              ; =>This Inner Loop Header: Depth=1
	buffer_load_dword v16, v10, s[0:3], 0 offen offset:8
	buffer_load_dword v17, v10, s[0:3], 0 offen offset:12
	buffer_load_dword v18, v10, s[0:3], 0 offen
	buffer_load_dword v19, v10, s[0:3], 0 offen offset:4
	ds_read_b128 v[12:15], v9
	v_add_u32_e32 v8, 1, v8
	v_cmp_lt_u32_e32 vcc, 18, v8
	v_add_u32_e32 v9, 16, v9
	v_add_u32_e32 v10, 16, v10
	s_or_b64 s[6:7], vcc, s[6:7]
	s_waitcnt vmcnt(2) lgkmcnt(0)
	v_mul_f64 v[20:21], v[14:15], v[16:17]
	v_mul_f64 v[16:17], v[12:13], v[16:17]
	s_waitcnt vmcnt(0)
	v_fma_f64 v[12:13], v[12:13], v[18:19], -v[20:21]
	v_fmac_f64_e32 v[16:17], v[14:15], v[18:19]
	v_add_f64 v[4:5], v[4:5], v[12:13]
	v_add_f64 v[2:3], v[2:3], v[16:17]
	s_andn2_b64 exec, exec, s[6:7]
	s_cbranch_execnz .LBB41_93
; %bb.94:
	s_or_b64 exec, exec, s[6:7]
	v_mov_b32_e32 v0, 0
	ds_read_b128 v[8:11], v0 offset:320
	s_waitcnt lgkmcnt(0)
	v_mul_f64 v[12:13], v[2:3], v[10:11]
	v_mul_f64 v[10:11], v[4:5], v[10:11]
	v_fma_f64 v[4:5], v[4:5], v[8:9], -v[12:13]
	v_fmac_f64_e32 v[10:11], v[2:3], v[8:9]
	buffer_store_dword v5, off, s[0:3], 0 offset:340
	buffer_store_dword v4, off, s[0:3], 0 offset:336
	buffer_store_dword v11, off, s[0:3], 0 offset:348
	buffer_store_dword v10, off, s[0:3], 0 offset:344
.LBB41_95:
	s_or_b64 exec, exec, s[4:5]
	v_accvgpr_read_b32 v0, a104
	s_waitcnt lgkmcnt(0)
	; wave barrier
	buffer_load_dword v2, v0, s[0:3], 0 offen
	buffer_load_dword v3, v0, s[0:3], 0 offen offset:4
	buffer_load_dword v4, v0, s[0:3], 0 offen offset:8
	buffer_load_dword v5, v0, s[0:3], 0 offen offset:12
	v_cmp_gt_u32_e32 vcc, 21, v118
	s_waitcnt vmcnt(0)
	ds_write_b128 v6, v[2:5]
	s_waitcnt lgkmcnt(0)
	; wave barrier
	s_waitcnt lgkmcnt(0)
	s_and_saveexec_b64 s[4:5], vcc
	s_cbranch_execz .LBB41_99
; %bb.96:
	v_pk_mov_b32 v[2:3], 0, 0
	v_add_u32_e32 v8, -1, v118
	v_add_u32_e32 v9, 0x2a0, v1
	v_add_u32_e32 v10, 16, v1
	s_mov_b64 s[6:7], 0
	v_pk_mov_b32 v[4:5], v[2:3], v[2:3] op_sel:[0,1]
.LBB41_97:                              ; =>This Inner Loop Header: Depth=1
	buffer_load_dword v16, v10, s[0:3], 0 offen offset:8
	buffer_load_dword v17, v10, s[0:3], 0 offen offset:12
	buffer_load_dword v18, v10, s[0:3], 0 offen
	buffer_load_dword v19, v10, s[0:3], 0 offen offset:4
	ds_read_b128 v[12:15], v9
	v_add_u32_e32 v8, 1, v8
	v_cmp_lt_u32_e32 vcc, 19, v8
	v_add_u32_e32 v9, 16, v9
	v_add_u32_e32 v10, 16, v10
	s_or_b64 s[6:7], vcc, s[6:7]
	s_waitcnt vmcnt(2) lgkmcnt(0)
	v_mul_f64 v[20:21], v[14:15], v[16:17]
	v_mul_f64 v[16:17], v[12:13], v[16:17]
	s_waitcnt vmcnt(0)
	v_fma_f64 v[12:13], v[12:13], v[18:19], -v[20:21]
	v_fmac_f64_e32 v[16:17], v[14:15], v[18:19]
	v_add_f64 v[4:5], v[4:5], v[12:13]
	v_add_f64 v[2:3], v[2:3], v[16:17]
	s_andn2_b64 exec, exec, s[6:7]
	s_cbranch_execnz .LBB41_97
; %bb.98:
	s_or_b64 exec, exec, s[6:7]
	v_mov_b32_e32 v0, 0
	ds_read_b128 v[8:11], v0 offset:336
	s_waitcnt lgkmcnt(0)
	v_mul_f64 v[12:13], v[2:3], v[10:11]
	v_mul_f64 v[10:11], v[4:5], v[10:11]
	v_fma_f64 v[4:5], v[4:5], v[8:9], -v[12:13]
	v_fmac_f64_e32 v[10:11], v[2:3], v[8:9]
	buffer_store_dword v5, off, s[0:3], 0 offset:356
	buffer_store_dword v4, off, s[0:3], 0 offset:352
	buffer_store_dword v11, off, s[0:3], 0 offset:364
	buffer_store_dword v10, off, s[0:3], 0 offset:360
.LBB41_99:
	s_or_b64 exec, exec, s[4:5]
	v_accvgpr_read_b32 v0, a103
	s_waitcnt lgkmcnt(0)
	; wave barrier
	buffer_load_dword v2, v0, s[0:3], 0 offen
	buffer_load_dword v3, v0, s[0:3], 0 offen offset:4
	buffer_load_dword v4, v0, s[0:3], 0 offen offset:8
	buffer_load_dword v5, v0, s[0:3], 0 offen offset:12
	v_cmp_gt_u32_e32 vcc, 22, v118
	s_waitcnt vmcnt(0)
	ds_write_b128 v6, v[2:5]
	s_waitcnt lgkmcnt(0)
	; wave barrier
	s_waitcnt lgkmcnt(0)
	s_and_saveexec_b64 s[4:5], vcc
	s_cbranch_execz .LBB41_103
; %bb.100:
	v_pk_mov_b32 v[2:3], 0, 0
	v_add_u32_e32 v8, -1, v118
	v_add_u32_e32 v9, 0x2a0, v1
	v_add_u32_e32 v10, 16, v1
	s_mov_b64 s[6:7], 0
	v_pk_mov_b32 v[4:5], v[2:3], v[2:3] op_sel:[0,1]
.LBB41_101:                             ; =>This Inner Loop Header: Depth=1
	buffer_load_dword v16, v10, s[0:3], 0 offen offset:8
	buffer_load_dword v17, v10, s[0:3], 0 offen offset:12
	buffer_load_dword v18, v10, s[0:3], 0 offen
	buffer_load_dword v19, v10, s[0:3], 0 offen offset:4
	ds_read_b128 v[12:15], v9
	v_add_u32_e32 v8, 1, v8
	v_cmp_lt_u32_e32 vcc, 20, v8
	v_add_u32_e32 v9, 16, v9
	v_add_u32_e32 v10, 16, v10
	s_or_b64 s[6:7], vcc, s[6:7]
	s_waitcnt vmcnt(2) lgkmcnt(0)
	v_mul_f64 v[20:21], v[14:15], v[16:17]
	v_mul_f64 v[16:17], v[12:13], v[16:17]
	s_waitcnt vmcnt(0)
	v_fma_f64 v[12:13], v[12:13], v[18:19], -v[20:21]
	v_fmac_f64_e32 v[16:17], v[14:15], v[18:19]
	v_add_f64 v[4:5], v[4:5], v[12:13]
	v_add_f64 v[2:3], v[2:3], v[16:17]
	s_andn2_b64 exec, exec, s[6:7]
	s_cbranch_execnz .LBB41_101
; %bb.102:
	s_or_b64 exec, exec, s[6:7]
	v_mov_b32_e32 v0, 0
	ds_read_b128 v[8:11], v0 offset:352
	s_waitcnt lgkmcnt(0)
	v_mul_f64 v[12:13], v[2:3], v[10:11]
	v_mul_f64 v[10:11], v[4:5], v[10:11]
	v_fma_f64 v[4:5], v[4:5], v[8:9], -v[12:13]
	v_fmac_f64_e32 v[10:11], v[2:3], v[8:9]
	buffer_store_dword v5, off, s[0:3], 0 offset:372
	buffer_store_dword v4, off, s[0:3], 0 offset:368
	buffer_store_dword v11, off, s[0:3], 0 offset:380
	buffer_store_dword v10, off, s[0:3], 0 offset:376
.LBB41_103:
	s_or_b64 exec, exec, s[4:5]
	v_accvgpr_read_b32 v0, a102
	s_waitcnt lgkmcnt(0)
	; wave barrier
	buffer_load_dword v2, v0, s[0:3], 0 offen
	buffer_load_dword v3, v0, s[0:3], 0 offen offset:4
	buffer_load_dword v4, v0, s[0:3], 0 offen offset:8
	buffer_load_dword v5, v0, s[0:3], 0 offen offset:12
	v_cmp_gt_u32_e32 vcc, 23, v118
	s_waitcnt vmcnt(0)
	ds_write_b128 v6, v[2:5]
	s_waitcnt lgkmcnt(0)
	; wave barrier
	s_waitcnt lgkmcnt(0)
	s_and_saveexec_b64 s[4:5], vcc
	s_cbranch_execz .LBB41_107
; %bb.104:
	v_pk_mov_b32 v[2:3], 0, 0
	v_add_u32_e32 v8, -1, v118
	v_add_u32_e32 v9, 0x2a0, v1
	v_add_u32_e32 v10, 16, v1
	s_mov_b64 s[6:7], 0
	v_pk_mov_b32 v[4:5], v[2:3], v[2:3] op_sel:[0,1]
.LBB41_105:                             ; =>This Inner Loop Header: Depth=1
	buffer_load_dword v16, v10, s[0:3], 0 offen offset:8
	buffer_load_dword v17, v10, s[0:3], 0 offen offset:12
	buffer_load_dword v18, v10, s[0:3], 0 offen
	buffer_load_dword v19, v10, s[0:3], 0 offen offset:4
	ds_read_b128 v[12:15], v9
	v_add_u32_e32 v8, 1, v8
	v_cmp_lt_u32_e32 vcc, 21, v8
	v_add_u32_e32 v9, 16, v9
	v_add_u32_e32 v10, 16, v10
	s_or_b64 s[6:7], vcc, s[6:7]
	s_waitcnt vmcnt(2) lgkmcnt(0)
	v_mul_f64 v[20:21], v[14:15], v[16:17]
	v_mul_f64 v[16:17], v[12:13], v[16:17]
	s_waitcnt vmcnt(0)
	v_fma_f64 v[12:13], v[12:13], v[18:19], -v[20:21]
	v_fmac_f64_e32 v[16:17], v[14:15], v[18:19]
	v_add_f64 v[4:5], v[4:5], v[12:13]
	v_add_f64 v[2:3], v[2:3], v[16:17]
	s_andn2_b64 exec, exec, s[6:7]
	s_cbranch_execnz .LBB41_105
; %bb.106:
	s_or_b64 exec, exec, s[6:7]
	v_mov_b32_e32 v0, 0
	ds_read_b128 v[8:11], v0 offset:368
	s_waitcnt lgkmcnt(0)
	v_mul_f64 v[12:13], v[2:3], v[10:11]
	v_mul_f64 v[10:11], v[4:5], v[10:11]
	v_fma_f64 v[4:5], v[4:5], v[8:9], -v[12:13]
	v_fmac_f64_e32 v[10:11], v[2:3], v[8:9]
	buffer_store_dword v5, off, s[0:3], 0 offset:388
	buffer_store_dword v4, off, s[0:3], 0 offset:384
	buffer_store_dword v11, off, s[0:3], 0 offset:396
	buffer_store_dword v10, off, s[0:3], 0 offset:392
.LBB41_107:
	s_or_b64 exec, exec, s[4:5]
	v_accvgpr_read_b32 v0, a101
	s_waitcnt lgkmcnt(0)
	; wave barrier
	buffer_load_dword v2, v0, s[0:3], 0 offen
	buffer_load_dword v3, v0, s[0:3], 0 offen offset:4
	buffer_load_dword v4, v0, s[0:3], 0 offen offset:8
	buffer_load_dword v5, v0, s[0:3], 0 offen offset:12
	v_cmp_gt_u32_e32 vcc, 24, v118
	;; [unrolled: 58-line block ×18, first 2 shown]
	s_waitcnt vmcnt(0)
	ds_write_b128 v6, v[2:5]
	s_waitcnt lgkmcnt(0)
	; wave barrier
	s_waitcnt lgkmcnt(0)
	s_and_saveexec_b64 s[4:5], vcc
	s_cbranch_execz .LBB41_175
; %bb.172:
	v_pk_mov_b32 v[2:3], 0, 0
	v_add_u32_e32 v8, -1, v118
	v_add_u32_e32 v9, 0x2a0, v1
	v_add_u32_e32 v10, 16, v1
	s_mov_b64 s[6:7], 0
	v_pk_mov_b32 v[4:5], v[2:3], v[2:3] op_sel:[0,1]
.LBB41_173:                             ; =>This Inner Loop Header: Depth=1
	buffer_load_dword v16, v10, s[0:3], 0 offen offset:8
	buffer_load_dword v17, v10, s[0:3], 0 offen offset:12
	buffer_load_dword v18, v10, s[0:3], 0 offen
	buffer_load_dword v19, v10, s[0:3], 0 offen offset:4
	ds_read_b128 v[12:15], v9
	v_add_u32_e32 v8, 1, v8
	v_cmp_lt_u32_e32 vcc, 38, v8
	v_add_u32_e32 v9, 16, v9
	v_add_u32_e32 v10, 16, v10
	s_or_b64 s[6:7], vcc, s[6:7]
	s_waitcnt vmcnt(2) lgkmcnt(0)
	v_mul_f64 v[20:21], v[14:15], v[16:17]
	v_mul_f64 v[16:17], v[12:13], v[16:17]
	s_waitcnt vmcnt(0)
	v_fma_f64 v[12:13], v[12:13], v[18:19], -v[20:21]
	v_fmac_f64_e32 v[16:17], v[14:15], v[18:19]
	v_add_f64 v[4:5], v[4:5], v[12:13]
	v_add_f64 v[2:3], v[2:3], v[16:17]
	s_andn2_b64 exec, exec, s[6:7]
	s_cbranch_execnz .LBB41_173
; %bb.174:
	s_or_b64 exec, exec, s[6:7]
	v_mov_b32_e32 v0, 0
	ds_read_b128 v[8:11], v0 offset:640
	s_waitcnt lgkmcnt(0)
	v_mul_f64 v[12:13], v[2:3], v[10:11]
	v_mul_f64 v[10:11], v[4:5], v[10:11]
	v_fma_f64 v[4:5], v[4:5], v[8:9], -v[12:13]
	v_fmac_f64_e32 v[10:11], v[2:3], v[8:9]
	buffer_store_dword v5, off, s[0:3], 0 offset:660
	buffer_store_dword v4, off, s[0:3], 0 offset:656
	;; [unrolled: 1-line block ×4, first 2 shown]
.LBB41_175:
	s_or_b64 exec, exec, s[4:5]
	v_accvgpr_read_b32 v0, a84
	s_waitcnt lgkmcnt(0)
	; wave barrier
	buffer_load_dword v2, v0, s[0:3], 0 offen
	buffer_load_dword v3, v0, s[0:3], 0 offen offset:4
	buffer_load_dword v4, v0, s[0:3], 0 offen offset:8
	;; [unrolled: 1-line block ×3, first 2 shown]
	v_cmp_ne_u32_e32 vcc, 41, v118
	s_waitcnt vmcnt(0)
	ds_write_b128 v6, v[2:5]
	s_waitcnt lgkmcnt(0)
	; wave barrier
	s_waitcnt lgkmcnt(0)
	s_and_saveexec_b64 s[4:5], vcc
	s_cbranch_execz .LBB41_179
; %bb.176:
	v_pk_mov_b32 v[2:3], 0, 0
	v_add_u32_e32 v6, 0x2a0, v1
	v_add_u32_e32 v1, 16, v1
	s_mov_b64 s[6:7], 0
	v_pk_mov_b32 v[4:5], v[2:3], v[2:3] op_sel:[0,1]
.LBB41_177:                             ; =>This Inner Loop Header: Depth=1
	buffer_load_dword v12, v1, s[0:3], 0 offen offset:8
	buffer_load_dword v13, v1, s[0:3], 0 offen offset:12
	buffer_load_dword v14, v1, s[0:3], 0 offen
	buffer_load_dword v15, v1, s[0:3], 0 offen offset:4
	ds_read_b128 v[8:11], v6
	v_add_u32_e32 v7, 1, v7
	v_cmp_lt_u32_e32 vcc, 39, v7
	v_add_u32_e32 v6, 16, v6
	v_add_u32_e32 v1, 16, v1
	s_or_b64 s[6:7], vcc, s[6:7]
	s_waitcnt vmcnt(2) lgkmcnt(0)
	v_mul_f64 v[16:17], v[10:11], v[12:13]
	v_mul_f64 v[12:13], v[8:9], v[12:13]
	s_waitcnt vmcnt(0)
	v_fma_f64 v[8:9], v[8:9], v[14:15], -v[16:17]
	v_fmac_f64_e32 v[12:13], v[10:11], v[14:15]
	v_add_f64 v[4:5], v[4:5], v[8:9]
	v_add_f64 v[2:3], v[2:3], v[12:13]
	s_andn2_b64 exec, exec, s[6:7]
	s_cbranch_execnz .LBB41_177
; %bb.178:
	s_or_b64 exec, exec, s[6:7]
	v_mov_b32_e32 v0, 0
	ds_read_b128 v[6:9], v0 offset:656
	s_waitcnt lgkmcnt(0)
	v_mul_f64 v[10:11], v[2:3], v[8:9]
	v_mul_f64 v[8:9], v[4:5], v[8:9]
	v_fma_f64 v[4:5], v[4:5], v[6:7], -v[10:11]
	v_fmac_f64_e32 v[8:9], v[2:3], v[6:7]
	buffer_store_dword v5, off, s[0:3], 0 offset:676
	buffer_store_dword v4, off, s[0:3], 0 offset:672
	;; [unrolled: 1-line block ×4, first 2 shown]
.LBB41_179:
	s_or_b64 exec, exec, s[4:5]
	s_mov_b64 s[6:7], -1
	s_waitcnt lgkmcnt(0)
	; wave barrier
.LBB41_180:
	s_and_b64 vcc, exec, s[6:7]
	s_cbranch_vccz .LBB41_182
; %bb.181:
	s_lshl_b64 s[4:5], s[8:9], 2
	s_add_u32 s4, s14, s4
	s_addc_u32 s5, s15, s5
	v_mov_b32_e32 v0, 0
	global_load_dword v0, v0, s[4:5]
	s_waitcnt vmcnt(0)
	v_cmp_ne_u32_e32 vcc, 0, v0
	s_cbranch_vccz .LBB41_183
.LBB41_182:
	s_endpgm
.LBB41_183:
	v_mov_b32_e32 v0, 0x2a0
	v_lshl_add_u32 v0, v118, 4, v0
	v_accvgpr_write_b32 a126, v0
	v_cmp_eq_u32_e32 vcc, 41, v118
	s_and_saveexec_b64 s[4:5], vcc
	s_cbranch_execz .LBB41_185
; %bb.184:
	v_accvgpr_read_b32 v0, a85
	buffer_load_dword v2, v0, s[0:3], 0 offen
	buffer_load_dword v3, v0, s[0:3], 0 offen offset:4
	buffer_load_dword v4, v0, s[0:3], 0 offen offset:8
	;; [unrolled: 1-line block ×3, first 2 shown]
	v_mov_b32_e32 v0, 0
	v_accvgpr_read_b32 v1, a126
	buffer_store_dword v0, off, s[0:3], 0 offset:656
	buffer_store_dword v0, off, s[0:3], 0 offset:660
	;; [unrolled: 1-line block ×4, first 2 shown]
	s_waitcnt vmcnt(4)
	ds_write_b128 v1, v[2:5]
.LBB41_185:
	s_or_b64 exec, exec, s[4:5]
	s_waitcnt lgkmcnt(0)
	; wave barrier
	s_waitcnt lgkmcnt(0)
	buffer_load_dword v8, off, s[0:3], 0 offset:680
	buffer_load_dword v9, off, s[0:3], 0 offset:684
	;; [unrolled: 1-line block ×8, first 2 shown]
	v_mov_b32_e32 v2, 0
	ds_read_b128 v[4:7], v2 offset:1328
	v_cmp_lt_u32_e32 vcc, 39, v118
	s_waitcnt vmcnt(6) lgkmcnt(0)
	v_mul_f64 v[16:17], v[4:5], v[8:9]
	v_mul_f64 v[8:9], v[6:7], v[8:9]
	s_waitcnt vmcnt(4)
	v_fma_f64 v[4:5], v[4:5], v[10:11], -v[8:9]
	v_fmac_f64_e32 v[16:17], v[6:7], v[10:11]
	v_add_f64 v[4:5], v[4:5], 0
	v_add_f64 v[6:7], v[16:17], 0
	s_waitcnt vmcnt(2)
	v_add_f64 v[4:5], v[12:13], -v[4:5]
	s_waitcnt vmcnt(0)
	v_add_f64 v[6:7], v[14:15], -v[6:7]
	buffer_store_dword v4, off, s[0:3], 0 offset:656
	buffer_store_dword v5, off, s[0:3], 0 offset:660
	;; [unrolled: 1-line block ×4, first 2 shown]
	s_and_saveexec_b64 s[4:5], vcc
	s_cbranch_execz .LBB41_187
; %bb.186:
	v_accvgpr_read_b32 v0, a86
	buffer_load_dword v4, v0, s[0:3], 0 offen
	buffer_load_dword v5, v0, s[0:3], 0 offen offset:4
	buffer_load_dword v6, v0, s[0:3], 0 offen offset:8
	;; [unrolled: 1-line block ×3, first 2 shown]
	v_accvgpr_read_b32 v0, a126
	buffer_store_dword v2, off, s[0:3], 0 offset:640
	buffer_store_dword v2, off, s[0:3], 0 offset:644
	;; [unrolled: 1-line block ×4, first 2 shown]
	s_waitcnt vmcnt(4)
	ds_write_b128 v0, v[4:7]
.LBB41_187:
	s_or_b64 exec, exec, s[4:5]
	s_waitcnt lgkmcnt(0)
	; wave barrier
	s_waitcnt lgkmcnt(0)
	buffer_load_dword v12, off, s[0:3], 0 offset:664
	buffer_load_dword v13, off, s[0:3], 0 offset:668
	;; [unrolled: 1-line block ×12, first 2 shown]
	ds_read_b128 v[4:7], v2 offset:1312
	ds_read_b128 v[8:11], v2 offset:1328
	v_cmp_lt_u32_e32 vcc, 38, v118
	s_waitcnt vmcnt(10) lgkmcnt(1)
	v_mul_f64 v[2:3], v[4:5], v[12:13]
	v_mul_f64 v[12:13], v[6:7], v[12:13]
	s_waitcnt vmcnt(8) lgkmcnt(0)
	v_mul_f64 v[24:25], v[8:9], v[14:15]
	v_mul_f64 v[14:15], v[10:11], v[14:15]
	s_waitcnt vmcnt(6)
	v_fma_f64 v[4:5], v[4:5], v[16:17], -v[12:13]
	v_fmac_f64_e32 v[2:3], v[6:7], v[16:17]
	s_waitcnt vmcnt(4)
	v_fma_f64 v[6:7], v[8:9], v[18:19], -v[14:15]
	v_add_f64 v[4:5], v[4:5], 0
	v_fmac_f64_e32 v[24:25], v[10:11], v[18:19]
	v_add_f64 v[2:3], v[2:3], 0
	v_add_f64 v[4:5], v[4:5], v[6:7]
	;; [unrolled: 1-line block ×3, first 2 shown]
	s_waitcnt vmcnt(2)
	v_add_f64 v[4:5], v[20:21], -v[4:5]
	s_waitcnt vmcnt(0)
	v_add_f64 v[2:3], v[22:23], -v[2:3]
	buffer_store_dword v4, off, s[0:3], 0 offset:640
	buffer_store_dword v5, off, s[0:3], 0 offset:644
	;; [unrolled: 1-line block ×4, first 2 shown]
	s_and_saveexec_b64 s[4:5], vcc
	s_cbranch_execz .LBB41_189
; %bb.188:
	v_accvgpr_read_b32 v0, a87
	buffer_load_dword v2, v0, s[0:3], 0 offen
	buffer_load_dword v3, v0, s[0:3], 0 offen offset:4
	buffer_load_dword v4, v0, s[0:3], 0 offen offset:8
	;; [unrolled: 1-line block ×3, first 2 shown]
	v_mov_b32_e32 v0, 0
	v_accvgpr_read_b32 v1, a126
	buffer_store_dword v0, off, s[0:3], 0 offset:624
	buffer_store_dword v0, off, s[0:3], 0 offset:628
	;; [unrolled: 1-line block ×4, first 2 shown]
	s_waitcnt vmcnt(4)
	ds_write_b128 v1, v[2:5]
.LBB41_189:
	s_or_b64 exec, exec, s[4:5]
	s_waitcnt lgkmcnt(0)
	; wave barrier
	s_waitcnt lgkmcnt(0)
	buffer_load_dword v16, off, s[0:3], 0 offset:648
	buffer_load_dword v17, off, s[0:3], 0 offset:652
	;; [unrolled: 1-line block ×16, first 2 shown]
	v_mov_b32_e32 v2, 0
	ds_read_b128 v[4:7], v2 offset:1296
	ds_read_b128 v[8:11], v2 offset:1312
	ds_read_b128 v[12:15], v2 offset:1328
	v_cmp_lt_u32_e32 vcc, 37, v118
	s_waitcnt vmcnt(14) lgkmcnt(2)
	v_mul_f64 v[32:33], v[4:5], v[16:17]
	v_mul_f64 v[16:17], v[6:7], v[16:17]
	s_waitcnt vmcnt(12) lgkmcnt(1)
	v_mul_f64 v[34:35], v[8:9], v[18:19]
	v_mul_f64 v[18:19], v[10:11], v[18:19]
	;; [unrolled: 3-line block ×3, first 2 shown]
	s_waitcnt vmcnt(8)
	v_fma_f64 v[4:5], v[4:5], v[22:23], -v[16:17]
	v_fmac_f64_e32 v[32:33], v[6:7], v[22:23]
	s_waitcnt vmcnt(6)
	v_fma_f64 v[6:7], v[8:9], v[24:25], -v[18:19]
	v_add_f64 v[4:5], v[4:5], 0
	v_fmac_f64_e32 v[34:35], v[10:11], v[24:25]
	s_waitcnt vmcnt(4)
	v_fma_f64 v[8:9], v[12:13], v[26:27], -v[20:21]
	v_add_f64 v[10:11], v[32:33], 0
	v_add_f64 v[4:5], v[4:5], v[6:7]
	v_fmac_f64_e32 v[36:37], v[14:15], v[26:27]
	v_add_f64 v[10:11], v[10:11], v[34:35]
	v_add_f64 v[4:5], v[4:5], v[8:9]
	;; [unrolled: 1-line block ×3, first 2 shown]
	s_waitcnt vmcnt(2)
	v_add_f64 v[4:5], v[28:29], -v[4:5]
	s_waitcnt vmcnt(0)
	v_add_f64 v[6:7], v[30:31], -v[6:7]
	buffer_store_dword v4, off, s[0:3], 0 offset:624
	buffer_store_dword v5, off, s[0:3], 0 offset:628
	;; [unrolled: 1-line block ×4, first 2 shown]
	s_and_saveexec_b64 s[4:5], vcc
	s_cbranch_execz .LBB41_191
; %bb.190:
	v_accvgpr_read_b32 v0, a88
	buffer_load_dword v4, v0, s[0:3], 0 offen
	buffer_load_dword v5, v0, s[0:3], 0 offen offset:4
	buffer_load_dword v6, v0, s[0:3], 0 offen offset:8
	buffer_load_dword v7, v0, s[0:3], 0 offen offset:12
	v_accvgpr_read_b32 v0, a126
	buffer_store_dword v2, off, s[0:3], 0 offset:608
	buffer_store_dword v2, off, s[0:3], 0 offset:612
	;; [unrolled: 1-line block ×4, first 2 shown]
	s_waitcnt vmcnt(4)
	ds_write_b128 v0, v[4:7]
.LBB41_191:
	s_or_b64 exec, exec, s[4:5]
	s_waitcnt lgkmcnt(0)
	; wave barrier
	s_waitcnt lgkmcnt(0)
	buffer_load_dword v20, off, s[0:3], 0 offset:632
	buffer_load_dword v21, off, s[0:3], 0 offset:636
	;; [unrolled: 1-line block ×20, first 2 shown]
	ds_read_b128 v[4:7], v2 offset:1280
	ds_read_b128 v[8:11], v2 offset:1296
	;; [unrolled: 1-line block ×4, first 2 shown]
	v_cmp_lt_u32_e32 vcc, 36, v118
	s_waitcnt vmcnt(18) lgkmcnt(3)
	v_mul_f64 v[2:3], v[4:5], v[20:21]
	v_mul_f64 v[20:21], v[6:7], v[20:21]
	s_waitcnt vmcnt(16) lgkmcnt(2)
	v_mul_f64 v[40:41], v[8:9], v[22:23]
	v_mul_f64 v[22:23], v[10:11], v[22:23]
	;; [unrolled: 3-line block ×4, first 2 shown]
	s_waitcnt vmcnt(10)
	v_fma_f64 v[4:5], v[4:5], v[28:29], -v[20:21]
	v_fmac_f64_e32 v[2:3], v[6:7], v[28:29]
	s_waitcnt vmcnt(8)
	v_fma_f64 v[6:7], v[8:9], v[30:31], -v[22:23]
	v_add_f64 v[4:5], v[4:5], 0
	v_fmac_f64_e32 v[40:41], v[10:11], v[30:31]
	s_waitcnt vmcnt(6)
	v_fma_f64 v[8:9], v[12:13], v[32:33], -v[24:25]
	v_add_f64 v[2:3], v[2:3], 0
	v_add_f64 v[4:5], v[4:5], v[6:7]
	v_fmac_f64_e32 v[42:43], v[14:15], v[32:33]
	s_waitcnt vmcnt(4)
	v_fma_f64 v[10:11], v[16:17], v[34:35], -v[26:27]
	v_add_f64 v[2:3], v[2:3], v[40:41]
	v_add_f64 v[4:5], v[4:5], v[8:9]
	v_fmac_f64_e32 v[44:45], v[18:19], v[34:35]
	v_add_f64 v[2:3], v[2:3], v[42:43]
	v_add_f64 v[4:5], v[4:5], v[10:11]
	;; [unrolled: 1-line block ×3, first 2 shown]
	s_waitcnt vmcnt(2)
	v_add_f64 v[4:5], v[36:37], -v[4:5]
	s_waitcnt vmcnt(0)
	v_add_f64 v[2:3], v[38:39], -v[2:3]
	buffer_store_dword v4, off, s[0:3], 0 offset:608
	buffer_store_dword v5, off, s[0:3], 0 offset:612
	;; [unrolled: 1-line block ×4, first 2 shown]
	s_and_saveexec_b64 s[4:5], vcc
	s_cbranch_execz .LBB41_193
; %bb.192:
	v_accvgpr_read_b32 v0, a89
	buffer_load_dword v2, v0, s[0:3], 0 offen
	buffer_load_dword v3, v0, s[0:3], 0 offen offset:4
	buffer_load_dword v4, v0, s[0:3], 0 offen offset:8
	;; [unrolled: 1-line block ×3, first 2 shown]
	v_mov_b32_e32 v0, 0
	v_accvgpr_read_b32 v1, a126
	buffer_store_dword v0, off, s[0:3], 0 offset:592
	buffer_store_dword v0, off, s[0:3], 0 offset:596
	buffer_store_dword v0, off, s[0:3], 0 offset:600
	buffer_store_dword v0, off, s[0:3], 0 offset:604
	s_waitcnt vmcnt(4)
	ds_write_b128 v1, v[2:5]
.LBB41_193:
	s_or_b64 exec, exec, s[4:5]
	s_waitcnt lgkmcnt(0)
	; wave barrier
	s_waitcnt lgkmcnt(0)
	buffer_load_dword v24, off, s[0:3], 0 offset:616
	buffer_load_dword v25, off, s[0:3], 0 offset:620
	;; [unrolled: 1-line block ×24, first 2 shown]
	v_mov_b32_e32 v2, 0
	ds_read_b128 v[4:7], v2 offset:1264
	ds_read_b128 v[8:11], v2 offset:1280
	;; [unrolled: 1-line block ×5, first 2 shown]
	v_cmp_lt_u32_e32 vcc, 35, v118
	s_waitcnt vmcnt(22) lgkmcnt(4)
	v_mul_f64 v[48:49], v[4:5], v[24:25]
	v_mul_f64 v[24:25], v[6:7], v[24:25]
	s_waitcnt vmcnt(20) lgkmcnt(3)
	v_mul_f64 v[50:51], v[8:9], v[26:27]
	v_mul_f64 v[26:27], v[10:11], v[26:27]
	;; [unrolled: 3-line block ×4, first 2 shown]
	s_waitcnt vmcnt(13) lgkmcnt(0)
	v_mul_f64 v[56:57], v[20:21], v[30:31]
	s_waitcnt vmcnt(11)
	v_fma_f64 v[4:5], v[4:5], v[36:37], -v[24:25]
	v_fmac_f64_e32 v[48:49], v[6:7], v[36:37]
	s_waitcnt vmcnt(9)
	v_fma_f64 v[6:7], v[8:9], v[38:39], -v[26:27]
	v_add_f64 v[4:5], v[4:5], 0
	v_fmac_f64_e32 v[50:51], v[10:11], v[38:39]
	s_waitcnt vmcnt(7)
	v_fmac_f64_e32 v[52:53], v[14:15], v[40:41]
	v_fma_f64 v[8:9], v[12:13], v[40:41], -v[28:29]
	v_add_f64 v[14:15], v[48:49], 0
	v_add_f64 v[4:5], v[4:5], v[6:7]
	v_mul_f64 v[30:31], v[22:23], v[30:31]
	s_waitcnt vmcnt(5)
	v_fma_f64 v[10:11], v[16:17], v[42:43], -v[34:35]
	v_add_f64 v[14:15], v[14:15], v[50:51]
	v_add_f64 v[4:5], v[4:5], v[8:9]
	v_fmac_f64_e32 v[54:55], v[18:19], v[42:43]
	s_waitcnt vmcnt(4)
	v_fma_f64 v[12:13], v[20:21], v[32:33], -v[30:31]
	v_add_f64 v[6:7], v[14:15], v[52:53]
	v_add_f64 v[4:5], v[4:5], v[10:11]
	v_fmac_f64_e32 v[56:57], v[22:23], v[32:33]
	v_add_f64 v[6:7], v[6:7], v[54:55]
	v_add_f64 v[4:5], v[4:5], v[12:13]
	;; [unrolled: 1-line block ×3, first 2 shown]
	s_waitcnt vmcnt(2)
	v_add_f64 v[4:5], v[44:45], -v[4:5]
	s_waitcnt vmcnt(0)
	v_add_f64 v[6:7], v[46:47], -v[6:7]
	buffer_store_dword v5, off, s[0:3], 0 offset:596
	buffer_store_dword v4, off, s[0:3], 0 offset:592
	;; [unrolled: 1-line block ×4, first 2 shown]
	s_and_saveexec_b64 s[4:5], vcc
	s_cbranch_execz .LBB41_195
; %bb.194:
	v_accvgpr_read_b32 v0, a90
	buffer_load_dword v4, v0, s[0:3], 0 offen
	buffer_load_dword v5, v0, s[0:3], 0 offen offset:4
	buffer_load_dword v6, v0, s[0:3], 0 offen offset:8
	;; [unrolled: 1-line block ×3, first 2 shown]
	v_accvgpr_read_b32 v0, a126
	buffer_store_dword v2, off, s[0:3], 0 offset:576
	buffer_store_dword v2, off, s[0:3], 0 offset:580
	;; [unrolled: 1-line block ×4, first 2 shown]
	s_waitcnt vmcnt(4)
	ds_write_b128 v0, v[4:7]
.LBB41_195:
	s_or_b64 exec, exec, s[4:5]
	s_waitcnt lgkmcnt(0)
	; wave barrier
	s_waitcnt lgkmcnt(0)
	buffer_load_dword v28, off, s[0:3], 0 offset:600
	buffer_load_dword v29, off, s[0:3], 0 offset:604
	;; [unrolled: 1-line block ×28, first 2 shown]
	ds_read_b128 v[4:7], v2 offset:1248
	ds_read_b128 v[8:11], v2 offset:1264
	;; [unrolled: 1-line block ×6, first 2 shown]
	v_cmp_lt_u32_e32 vcc, 34, v118
	s_waitcnt vmcnt(26) lgkmcnt(5)
	v_mul_f64 v[2:3], v[4:5], v[28:29]
	v_mul_f64 v[28:29], v[6:7], v[28:29]
	s_waitcnt vmcnt(24) lgkmcnt(4)
	v_mul_f64 v[56:57], v[8:9], v[30:31]
	v_mul_f64 v[30:31], v[10:11], v[30:31]
	;; [unrolled: 3-line block ×4, first 2 shown]
	s_waitcnt vmcnt(17)
	v_mul_f64 v[60:61], v[16:17], v[38:39]
	v_mul_f64 v[38:39], v[18:19], v[38:39]
	s_waitcnt vmcnt(15) lgkmcnt(0)
	v_mul_f64 v[64:65], v[24:25], v[40:41]
	v_mul_f64 v[40:41], v[26:27], v[40:41]
	s_waitcnt vmcnt(14)
	v_fmac_f64_e32 v[62:63], v[22:23], v[36:37]
	s_waitcnt vmcnt(12)
	v_fma_f64 v[4:5], v[4:5], v[42:43], -v[28:29]
	v_fmac_f64_e32 v[2:3], v[6:7], v[42:43]
	s_waitcnt vmcnt(10)
	v_fma_f64 v[6:7], v[8:9], v[44:45], -v[30:31]
	v_add_f64 v[4:5], v[4:5], 0
	v_fmac_f64_e32 v[56:57], v[10:11], v[44:45]
	s_waitcnt vmcnt(8)
	v_fma_f64 v[8:9], v[12:13], v[46:47], -v[32:33]
	v_add_f64 v[2:3], v[2:3], 0
	v_add_f64 v[4:5], v[4:5], v[6:7]
	v_fmac_f64_e32 v[58:59], v[14:15], v[46:47]
	s_waitcnt vmcnt(6)
	v_fma_f64 v[10:11], v[16:17], v[48:49], -v[38:39]
	v_add_f64 v[2:3], v[2:3], v[56:57]
	v_add_f64 v[4:5], v[4:5], v[8:9]
	v_fmac_f64_e32 v[60:61], v[18:19], v[48:49]
	v_fma_f64 v[12:13], v[20:21], v[36:37], -v[34:35]
	v_add_f64 v[2:3], v[2:3], v[58:59]
	v_add_f64 v[4:5], v[4:5], v[10:11]
	s_waitcnt vmcnt(4)
	v_fma_f64 v[14:15], v[24:25], v[50:51], -v[40:41]
	v_add_f64 v[2:3], v[2:3], v[60:61]
	v_add_f64 v[4:5], v[4:5], v[12:13]
	v_fmac_f64_e32 v[64:65], v[26:27], v[50:51]
	v_add_f64 v[2:3], v[2:3], v[62:63]
	v_add_f64 v[4:5], v[4:5], v[14:15]
	;; [unrolled: 1-line block ×3, first 2 shown]
	s_waitcnt vmcnt(2)
	v_add_f64 v[4:5], v[52:53], -v[4:5]
	s_waitcnt vmcnt(0)
	v_add_f64 v[2:3], v[54:55], -v[2:3]
	buffer_store_dword v5, off, s[0:3], 0 offset:580
	buffer_store_dword v4, off, s[0:3], 0 offset:576
	;; [unrolled: 1-line block ×4, first 2 shown]
	s_and_saveexec_b64 s[4:5], vcc
	s_cbranch_execz .LBB41_197
; %bb.196:
	v_accvgpr_read_b32 v0, a91
	buffer_load_dword v2, v0, s[0:3], 0 offen
	buffer_load_dword v3, v0, s[0:3], 0 offen offset:4
	buffer_load_dword v4, v0, s[0:3], 0 offen offset:8
	;; [unrolled: 1-line block ×3, first 2 shown]
	v_mov_b32_e32 v0, 0
	v_accvgpr_read_b32 v1, a126
	buffer_store_dword v0, off, s[0:3], 0 offset:560
	buffer_store_dword v0, off, s[0:3], 0 offset:564
	;; [unrolled: 1-line block ×4, first 2 shown]
	s_waitcnt vmcnt(4)
	ds_write_b128 v1, v[2:5]
.LBB41_197:
	s_or_b64 exec, exec, s[4:5]
	s_waitcnt lgkmcnt(0)
	; wave barrier
	s_waitcnt lgkmcnt(0)
	buffer_load_dword v32, off, s[0:3], 0 offset:584
	buffer_load_dword v33, off, s[0:3], 0 offset:588
	;; [unrolled: 1-line block ×32, first 2 shown]
	v_mov_b32_e32 v2, 0
	ds_read_b128 v[4:7], v2 offset:1232
	ds_read_b128 v[8:11], v2 offset:1248
	;; [unrolled: 1-line block ×7, first 2 shown]
	v_cmp_lt_u32_e32 vcc, 33, v118
	s_waitcnt vmcnt(30) lgkmcnt(6)
	v_mul_f64 v[64:65], v[4:5], v[32:33]
	v_mul_f64 v[32:33], v[6:7], v[32:33]
	s_waitcnt vmcnt(28) lgkmcnt(5)
	v_mul_f64 v[66:67], v[8:9], v[34:35]
	v_mul_f64 v[34:35], v[10:11], v[34:35]
	;; [unrolled: 3-line block ×4, first 2 shown]
	s_waitcnt vmcnt(21)
	v_mul_f64 v[70:71], v[16:17], v[42:43]
	v_mul_f64 v[42:43], v[18:19], v[42:43]
	s_waitcnt vmcnt(17) lgkmcnt(1)
	v_mul_f64 v[74:75], v[24:25], v[48:49]
	v_mul_f64 v[48:49], v[26:27], v[48:49]
	s_waitcnt vmcnt(16) lgkmcnt(0)
	v_mul_f64 v[76:77], v[28:29], v[44:45]
	v_mul_f64 v[44:45], v[30:31], v[44:45]
	s_waitcnt vmcnt(13)
	v_fma_f64 v[4:5], v[4:5], v[50:51], -v[32:33]
	v_fmac_f64_e32 v[64:65], v[6:7], v[50:51]
	s_waitcnt vmcnt(11)
	v_fma_f64 v[6:7], v[8:9], v[52:53], -v[34:35]
	v_add_f64 v[4:5], v[4:5], 0
	v_fmac_f64_e32 v[66:67], v[10:11], v[52:53]
	s_waitcnt vmcnt(9)
	v_fma_f64 v[8:9], v[12:13], v[54:55], -v[36:37]
	s_waitcnt vmcnt(7)
	v_fmac_f64_e32 v[70:71], v[18:19], v[56:57]
	v_add_f64 v[18:19], v[64:65], 0
	v_add_f64 v[4:5], v[4:5], v[6:7]
	v_fmac_f64_e32 v[68:69], v[14:15], v[54:55]
	v_fma_f64 v[10:11], v[16:17], v[56:57], -v[42:43]
	v_add_f64 v[18:19], v[18:19], v[66:67]
	v_add_f64 v[4:5], v[4:5], v[8:9]
	v_fma_f64 v[12:13], v[20:21], v[40:41], -v[38:39]
	v_add_f64 v[6:7], v[18:19], v[68:69]
	v_add_f64 v[4:5], v[4:5], v[10:11]
	v_fmac_f64_e32 v[72:73], v[22:23], v[40:41]
	s_waitcnt vmcnt(5)
	v_fma_f64 v[14:15], v[24:25], v[58:59], -v[48:49]
	v_add_f64 v[6:7], v[6:7], v[70:71]
	v_add_f64 v[4:5], v[4:5], v[12:13]
	v_fmac_f64_e32 v[74:75], v[26:27], v[58:59]
	s_waitcnt vmcnt(4)
	v_fma_f64 v[16:17], v[28:29], v[46:47], -v[44:45]
	v_add_f64 v[6:7], v[6:7], v[72:73]
	v_add_f64 v[4:5], v[4:5], v[14:15]
	v_fmac_f64_e32 v[76:77], v[30:31], v[46:47]
	v_add_f64 v[6:7], v[6:7], v[74:75]
	v_add_f64 v[4:5], v[4:5], v[16:17]
	;; [unrolled: 1-line block ×3, first 2 shown]
	s_waitcnt vmcnt(2)
	v_add_f64 v[4:5], v[60:61], -v[4:5]
	s_waitcnt vmcnt(0)
	v_add_f64 v[6:7], v[62:63], -v[6:7]
	buffer_store_dword v5, off, s[0:3], 0 offset:564
	buffer_store_dword v4, off, s[0:3], 0 offset:560
	;; [unrolled: 1-line block ×4, first 2 shown]
	s_and_saveexec_b64 s[4:5], vcc
	s_cbranch_execz .LBB41_199
; %bb.198:
	v_accvgpr_read_b32 v0, a92
	buffer_load_dword v4, v0, s[0:3], 0 offen
	buffer_load_dword v5, v0, s[0:3], 0 offen offset:4
	buffer_load_dword v6, v0, s[0:3], 0 offen offset:8
	;; [unrolled: 1-line block ×3, first 2 shown]
	v_accvgpr_read_b32 v0, a126
	buffer_store_dword v2, off, s[0:3], 0 offset:544
	buffer_store_dword v2, off, s[0:3], 0 offset:548
	;; [unrolled: 1-line block ×4, first 2 shown]
	s_waitcnt vmcnt(4)
	ds_write_b128 v0, v[4:7]
.LBB41_199:
	s_or_b64 exec, exec, s[4:5]
	s_waitcnt lgkmcnt(0)
	; wave barrier
	s_waitcnt lgkmcnt(0)
	buffer_load_dword v36, off, s[0:3], 0 offset:568
	buffer_load_dword v37, off, s[0:3], 0 offset:572
	;; [unrolled: 1-line block ×36, first 2 shown]
	ds_read_b128 v[4:7], v2 offset:1216
	ds_read_b128 v[8:11], v2 offset:1232
	ds_read_b128 v[12:15], v2 offset:1248
	ds_read_b128 v[16:19], v2 offset:1264
	ds_read_b128 v[20:23], v2 offset:1280
	ds_read_b128 v[24:27], v2 offset:1296
	ds_read_b128 v[28:31], v2 offset:1312
	ds_read_b128 v[32:35], v2 offset:1328
	v_cmp_lt_u32_e32 vcc, 32, v118
	s_waitcnt vmcnt(34) lgkmcnt(7)
	v_mul_f64 v[2:3], v[4:5], v[36:37]
	v_mul_f64 v[36:37], v[6:7], v[36:37]
	s_waitcnt vmcnt(32) lgkmcnt(6)
	v_mul_f64 v[72:73], v[8:9], v[38:39]
	v_mul_f64 v[38:39], v[10:11], v[38:39]
	;; [unrolled: 3-line block ×4, first 2 shown]
	s_waitcnt vmcnt(25)
	v_mul_f64 v[76:77], v[16:17], v[46:47]
	v_mul_f64 v[46:47], v[18:19], v[46:47]
	s_waitcnt vmcnt(23) lgkmcnt(1)
	v_mul_f64 v[82:83], v[28:29], v[48:49]
	v_mul_f64 v[48:49], v[30:31], v[48:49]
	s_waitcnt vmcnt(20)
	v_mul_f64 v[80:81], v[24:25], v[52:53]
	v_mul_f64 v[52:53], v[26:27], v[52:53]
	s_waitcnt vmcnt(18) lgkmcnt(0)
	v_mul_f64 v[84:85], v[32:33], v[54:55]
	s_waitcnt vmcnt(17)
	v_fmac_f64_e32 v[78:79], v[22:23], v[44:45]
	s_waitcnt vmcnt(16)
	v_fmac_f64_e32 v[82:83], v[30:31], v[50:51]
	s_waitcnt vmcnt(14)
	v_fma_f64 v[4:5], v[4:5], v[56:57], -v[36:37]
	v_fmac_f64_e32 v[2:3], v[6:7], v[56:57]
	s_waitcnt vmcnt(12)
	v_fma_f64 v[6:7], v[8:9], v[58:59], -v[38:39]
	v_add_f64 v[4:5], v[4:5], 0
	v_fmac_f64_e32 v[72:73], v[10:11], v[58:59]
	s_waitcnt vmcnt(10)
	v_fma_f64 v[8:9], v[12:13], v[60:61], -v[40:41]
	v_add_f64 v[2:3], v[2:3], 0
	v_add_f64 v[4:5], v[4:5], v[6:7]
	v_fmac_f64_e32 v[74:75], v[14:15], v[60:61]
	s_waitcnt vmcnt(8)
	v_fma_f64 v[10:11], v[16:17], v[62:63], -v[46:47]
	v_add_f64 v[2:3], v[2:3], v[72:73]
	v_add_f64 v[4:5], v[4:5], v[8:9]
	v_fmac_f64_e32 v[76:77], v[18:19], v[62:63]
	v_fma_f64 v[12:13], v[20:21], v[44:45], -v[42:43]
	v_add_f64 v[2:3], v[2:3], v[74:75]
	v_add_f64 v[4:5], v[4:5], v[10:11]
	s_waitcnt vmcnt(6)
	v_fma_f64 v[14:15], v[24:25], v[64:65], -v[52:53]
	v_add_f64 v[2:3], v[2:3], v[76:77]
	v_add_f64 v[4:5], v[4:5], v[12:13]
	v_fmac_f64_e32 v[80:81], v[26:27], v[64:65]
	v_fma_f64 v[16:17], v[28:29], v[50:51], -v[48:49]
	v_add_f64 v[2:3], v[2:3], v[78:79]
	v_add_f64 v[4:5], v[4:5], v[14:15]
	v_mul_f64 v[6:7], v[34:35], v[54:55]
	v_add_f64 v[2:3], v[2:3], v[80:81]
	v_add_f64 v[4:5], v[4:5], v[16:17]
	s_waitcnt vmcnt(4)
	v_fma_f64 v[6:7], v[32:33], v[66:67], -v[6:7]
	v_fmac_f64_e32 v[84:85], v[34:35], v[66:67]
	v_add_f64 v[2:3], v[2:3], v[82:83]
	v_add_f64 v[4:5], v[4:5], v[6:7]
	;; [unrolled: 1-line block ×3, first 2 shown]
	s_waitcnt vmcnt(2)
	v_add_f64 v[4:5], v[68:69], -v[4:5]
	s_waitcnt vmcnt(0)
	v_add_f64 v[2:3], v[70:71], -v[2:3]
	buffer_store_dword v5, off, s[0:3], 0 offset:548
	buffer_store_dword v4, off, s[0:3], 0 offset:544
	;; [unrolled: 1-line block ×4, first 2 shown]
	s_and_saveexec_b64 s[4:5], vcc
	s_cbranch_execz .LBB41_201
; %bb.200:
	v_accvgpr_read_b32 v0, a93
	buffer_load_dword v2, v0, s[0:3], 0 offen
	buffer_load_dword v3, v0, s[0:3], 0 offen offset:4
	buffer_load_dword v4, v0, s[0:3], 0 offen offset:8
	;; [unrolled: 1-line block ×3, first 2 shown]
	v_mov_b32_e32 v0, 0
	v_accvgpr_read_b32 v1, a126
	buffer_store_dword v0, off, s[0:3], 0 offset:528
	buffer_store_dword v0, off, s[0:3], 0 offset:532
	;; [unrolled: 1-line block ×4, first 2 shown]
	s_waitcnt vmcnt(4)
	ds_write_b128 v1, v[2:5]
.LBB41_201:
	s_or_b64 exec, exec, s[4:5]
	s_waitcnt lgkmcnt(0)
	; wave barrier
	s_waitcnt lgkmcnt(0)
	buffer_load_dword v40, off, s[0:3], 0 offset:552
	buffer_load_dword v41, off, s[0:3], 0 offset:556
	;; [unrolled: 1-line block ×40, first 2 shown]
	v_mov_b32_e32 v6, 0
	ds_read_b128 v[2:5], v6 offset:1200
	ds_read_b128 v[8:11], v6 offset:1216
	;; [unrolled: 1-line block ×9, first 2 shown]
	v_cmp_lt_u32_e32 vcc, 31, v118
	s_waitcnt vmcnt(38) lgkmcnt(8)
	v_mul_f64 v[80:81], v[2:3], v[40:41]
	v_mul_f64 v[40:41], v[4:5], v[40:41]
	s_waitcnt vmcnt(36) lgkmcnt(7)
	v_mul_f64 v[82:83], v[8:9], v[42:43]
	v_mul_f64 v[42:43], v[10:11], v[42:43]
	;; [unrolled: 3-line block ×3, first 2 shown]
	s_waitcnt vmcnt(32) lgkmcnt(4)
	v_mul_f64 v[88:89], v[20:21], v[46:47]
	s_waitcnt vmcnt(30)
	v_fmac_f64_e32 v[88:89], v[22:23], v[48:49]
	s_waitcnt vmcnt(28)
	v_mul_f64 v[86:87], v[16:17], v[50:51]
	v_mul_f64 v[50:51], v[18:19], v[50:51]
	s_waitcnt vmcnt(26) lgkmcnt(2)
	v_mul_f64 v[92:93], v[28:29], v[52:53]
	s_waitcnt vmcnt(24)
	v_fmac_f64_e32 v[92:93], v[30:31], v[54:55]
	s_waitcnt vmcnt(22)
	v_mul_f64 v[90:91], v[24:25], v[56:57]
	s_waitcnt vmcnt(18) lgkmcnt(1)
	v_mul_f64 v[94:95], v[32:33], v[62:63]
	s_waitcnt vmcnt(17) lgkmcnt(0)
	v_mul_f64 v[96:97], v[36:37], v[58:59]
	s_waitcnt vmcnt(15)
	v_fma_f64 v[2:3], v[2:3], v[64:65], -v[40:41]
	v_fmac_f64_e32 v[80:81], v[4:5], v[64:65]
	s_waitcnt vmcnt(13)
	v_fma_f64 v[4:5], v[8:9], v[66:67], -v[42:43]
	v_add_f64 v[2:3], v[2:3], 0
	s_waitcnt vmcnt(11)
	v_fma_f64 v[8:9], v[12:13], v[68:69], -v[44:45]
	v_add_f64 v[2:3], v[2:3], v[4:5]
	v_fmac_f64_e32 v[82:83], v[10:11], v[66:67]
	s_waitcnt vmcnt(9)
	v_fma_f64 v[10:11], v[16:17], v[70:71], -v[50:51]
	v_add_f64 v[2:3], v[2:3], v[8:9]
	v_mul_f64 v[8:9], v[22:23], v[46:47]
	v_add_f64 v[2:3], v[2:3], v[10:11]
	v_fma_f64 v[8:9], v[20:21], v[48:49], -v[8:9]
	v_add_f64 v[2:3], v[2:3], v[8:9]
	v_mul_f64 v[8:9], v[26:27], v[56:57]
	v_add_f64 v[12:13], v[80:81], 0
	s_waitcnt vmcnt(7)
	v_fma_f64 v[8:9], v[24:25], v[72:73], -v[8:9]
	v_fmac_f64_e32 v[84:85], v[14:15], v[68:69]
	v_add_f64 v[12:13], v[12:13], v[82:83]
	v_add_f64 v[2:3], v[2:3], v[8:9]
	v_mul_f64 v[8:9], v[30:31], v[52:53]
	v_fmac_f64_e32 v[86:87], v[18:19], v[70:71]
	v_add_f64 v[4:5], v[12:13], v[84:85]
	v_fma_f64 v[8:9], v[28:29], v[54:55], -v[8:9]
	v_add_f64 v[4:5], v[4:5], v[86:87]
	v_add_f64 v[2:3], v[2:3], v[8:9]
	v_mul_f64 v[8:9], v[34:35], v[62:63]
	v_fmac_f64_e32 v[90:91], v[26:27], v[72:73]
	v_add_f64 v[4:5], v[4:5], v[88:89]
	s_waitcnt vmcnt(5)
	v_fma_f64 v[8:9], v[32:33], v[74:75], -v[8:9]
	v_add_f64 v[4:5], v[4:5], v[90:91]
	v_add_f64 v[2:3], v[2:3], v[8:9]
	v_mul_f64 v[8:9], v[38:39], v[58:59]
	v_fmac_f64_e32 v[94:95], v[34:35], v[74:75]
	v_add_f64 v[4:5], v[4:5], v[92:93]
	s_waitcnt vmcnt(4)
	v_fma_f64 v[8:9], v[36:37], v[60:61], -v[8:9]
	v_fmac_f64_e32 v[96:97], v[38:39], v[60:61]
	v_add_f64 v[4:5], v[4:5], v[94:95]
	v_add_f64 v[2:3], v[2:3], v[8:9]
	v_add_f64 v[4:5], v[4:5], v[96:97]
	s_waitcnt vmcnt(2)
	v_add_f64 v[2:3], v[76:77], -v[2:3]
	s_waitcnt vmcnt(0)
	v_add_f64 v[4:5], v[78:79], -v[4:5]
	buffer_store_dword v3, off, s[0:3], 0 offset:532
	buffer_store_dword v2, off, s[0:3], 0 offset:528
	;; [unrolled: 1-line block ×4, first 2 shown]
	s_and_saveexec_b64 s[4:5], vcc
	s_cbranch_execz .LBB41_203
; %bb.202:
	v_accvgpr_read_b32 v0, a94
	buffer_load_dword v2, v0, s[0:3], 0 offen
	buffer_load_dword v3, v0, s[0:3], 0 offen offset:4
	buffer_load_dword v4, v0, s[0:3], 0 offen offset:8
	;; [unrolled: 1-line block ×3, first 2 shown]
	v_accvgpr_read_b32 v0, a126
	buffer_store_dword v6, off, s[0:3], 0 offset:512
	buffer_store_dword v6, off, s[0:3], 0 offset:516
	;; [unrolled: 1-line block ×4, first 2 shown]
	s_waitcnt vmcnt(4)
	ds_write_b128 v0, v[2:5]
.LBB41_203:
	s_or_b64 exec, exec, s[4:5]
	s_waitcnt lgkmcnt(0)
	; wave barrier
	s_waitcnt lgkmcnt(0)
	buffer_load_dword v4, off, s[0:3], 0 offset:528
	buffer_load_dword v5, off, s[0:3], 0 offset:532
	;; [unrolled: 1-line block ×44, first 2 shown]
	ds_read_b128 v[8:11], v6 offset:1184
	ds_read_b128 v[12:15], v6 offset:1200
	;; [unrolled: 1-line block ×10, first 2 shown]
	v_cmp_lt_u32_e32 vcc, 30, v118
	s_waitcnt vmcnt(40) lgkmcnt(9)
	v_mul_f64 v[6:7], v[8:9], v[48:49]
	v_mul_f64 v[48:49], v[10:11], v[48:49]
	s_waitcnt vmcnt(38) lgkmcnt(8)
	v_mul_f64 v[88:89], v[12:13], v[50:51]
	v_mul_f64 v[50:51], v[14:15], v[50:51]
	v_fmac_f64_e32 v[6:7], v[10:11], v[4:5]
	v_fma_f64 v[4:5], v[8:9], v[4:5], -v[48:49]
	s_waitcnt vmcnt(36) lgkmcnt(7)
	v_mul_f64 v[90:91], v[16:17], v[2:3]
	v_add_f64 v[4:5], v[4:5], 0
	v_mul_f64 v[2:3], v[18:19], v[2:3]
	v_add_f64 v[6:7], v[6:7], 0
	s_waitcnt vmcnt(30) lgkmcnt(6)
	v_mul_f64 v[92:93], v[20:21], v[56:57]
	s_waitcnt lgkmcnt(5)
	v_mul_f64 v[94:95], v[24:25], v[52:53]
	v_fmac_f64_e32 v[94:95], v[26:27], v[54:55]
	s_waitcnt vmcnt(28) lgkmcnt(3)
	v_mul_f64 v[98:99], v[32:33], v[58:59]
	s_waitcnt vmcnt(26)
	v_fmac_f64_e32 v[98:99], v[34:35], v[60:61]
	s_waitcnt vmcnt(24)
	v_mul_f64 v[96:97], v[28:29], v[62:63]
	s_waitcnt vmcnt(22) lgkmcnt(1)
	v_mul_f64 v[102:103], v[40:41], v[64:65]
	s_waitcnt vmcnt(20)
	v_fmac_f64_e32 v[102:103], v[42:43], v[66:67]
	s_waitcnt vmcnt(18)
	v_mul_f64 v[100:101], v[36:37], v[68:69]
	s_waitcnt vmcnt(16) lgkmcnt(0)
	v_mul_f64 v[104:105], v[44:45], v[70:71]
	s_waitcnt vmcnt(14)
	v_fma_f64 v[8:9], v[12:13], v[72:73], -v[50:51]
	v_add_f64 v[4:5], v[4:5], v[8:9]
	s_waitcnt vmcnt(12)
	v_fma_f64 v[2:3], v[16:17], v[74:75], -v[2:3]
	v_add_f64 v[2:3], v[4:5], v[2:3]
	v_mul_f64 v[4:5], v[22:23], v[56:57]
	s_waitcnt vmcnt(10)
	v_fma_f64 v[4:5], v[20:21], v[76:77], -v[4:5]
	v_add_f64 v[2:3], v[2:3], v[4:5]
	v_mul_f64 v[4:5], v[26:27], v[52:53]
	v_fma_f64 v[4:5], v[24:25], v[54:55], -v[4:5]
	v_add_f64 v[2:3], v[2:3], v[4:5]
	v_mul_f64 v[4:5], v[30:31], v[62:63]
	s_waitcnt vmcnt(8)
	v_fma_f64 v[4:5], v[28:29], v[78:79], -v[4:5]
	v_fmac_f64_e32 v[88:89], v[14:15], v[72:73]
	v_add_f64 v[2:3], v[2:3], v[4:5]
	v_mul_f64 v[4:5], v[34:35], v[58:59]
	v_fmac_f64_e32 v[90:91], v[18:19], v[74:75]
	v_add_f64 v[6:7], v[6:7], v[88:89]
	v_fma_f64 v[4:5], v[32:33], v[60:61], -v[4:5]
	v_fmac_f64_e32 v[92:93], v[22:23], v[76:77]
	v_add_f64 v[6:7], v[6:7], v[90:91]
	v_add_f64 v[2:3], v[2:3], v[4:5]
	v_mul_f64 v[4:5], v[38:39], v[68:69]
	v_add_f64 v[6:7], v[6:7], v[92:93]
	s_waitcnt vmcnt(6)
	v_fma_f64 v[4:5], v[36:37], v[80:81], -v[4:5]
	v_fmac_f64_e32 v[96:97], v[30:31], v[78:79]
	v_add_f64 v[6:7], v[6:7], v[94:95]
	v_add_f64 v[2:3], v[2:3], v[4:5]
	v_mul_f64 v[4:5], v[42:43], v[64:65]
	v_add_f64 v[6:7], v[6:7], v[96:97]
	v_fma_f64 v[4:5], v[40:41], v[66:67], -v[4:5]
	v_fmac_f64_e32 v[100:101], v[38:39], v[80:81]
	v_add_f64 v[6:7], v[6:7], v[98:99]
	v_add_f64 v[2:3], v[2:3], v[4:5]
	v_mul_f64 v[4:5], v[46:47], v[70:71]
	v_add_f64 v[6:7], v[6:7], v[100:101]
	s_waitcnt vmcnt(4)
	v_fma_f64 v[4:5], v[44:45], v[82:83], -v[4:5]
	v_fmac_f64_e32 v[104:105], v[46:47], v[82:83]
	v_add_f64 v[6:7], v[6:7], v[102:103]
	v_add_f64 v[2:3], v[2:3], v[4:5]
	;; [unrolled: 1-line block ×3, first 2 shown]
	s_waitcnt vmcnt(2)
	v_add_f64 v[2:3], v[84:85], -v[2:3]
	s_waitcnt vmcnt(0)
	v_add_f64 v[4:5], v[86:87], -v[6:7]
	buffer_store_dword v3, off, s[0:3], 0 offset:516
	buffer_store_dword v2, off, s[0:3], 0 offset:512
	;; [unrolled: 1-line block ×4, first 2 shown]
	s_and_saveexec_b64 s[4:5], vcc
	s_cbranch_execz .LBB41_205
; %bb.204:
	v_accvgpr_read_b32 v0, a95
	buffer_load_dword v2, v0, s[0:3], 0 offen
	buffer_load_dword v3, v0, s[0:3], 0 offen offset:4
	buffer_load_dword v4, v0, s[0:3], 0 offen offset:8
	;; [unrolled: 1-line block ×3, first 2 shown]
	v_mov_b32_e32 v0, 0
	v_accvgpr_read_b32 v1, a126
	buffer_store_dword v0, off, s[0:3], 0 offset:496
	buffer_store_dword v0, off, s[0:3], 0 offset:500
	;; [unrolled: 1-line block ×4, first 2 shown]
	s_waitcnt vmcnt(4)
	ds_write_b128 v1, v[2:5]
.LBB41_205:
	s_or_b64 exec, exec, s[4:5]
	s_waitcnt lgkmcnt(0)
	; wave barrier
	s_waitcnt lgkmcnt(0)
	buffer_load_dword v2, off, s[0:3], 0 offset:512
	buffer_load_dword v3, off, s[0:3], 0 offset:516
	;; [unrolled: 1-line block ×48, first 2 shown]
	v_mov_b32_e32 v12, 0
	ds_read_b128 v[14:17], v12 offset:1168
	ds_read_b128 v[18:21], v12 offset:1184
	;; [unrolled: 1-line block ×11, first 2 shown]
	v_cmp_lt_u32_e32 vcc, 29, v118
	s_waitcnt vmcnt(44) lgkmcnt(10)
	v_mul_f64 v[96:97], v[14:15], v[6:7]
	v_mul_f64 v[6:7], v[16:17], v[6:7]
	v_fmac_f64_e32 v[96:97], v[16:17], v[2:3]
	v_fma_f64 v[2:3], v[14:15], v[2:3], -v[6:7]
	s_waitcnt vmcnt(40) lgkmcnt(9)
	v_mul_f64 v[98:99], v[18:19], v[8:9]
	v_mul_f64 v[6:7], v[20:21], v[8:9]
	v_fmac_f64_e32 v[98:99], v[20:21], v[4:5]
	v_add_f64 v[2:3], v[2:3], 0
	v_fma_f64 v[4:5], v[18:19], v[4:5], -v[6:7]
	v_add_f64 v[2:3], v[2:3], v[4:5]
	s_waitcnt vmcnt(38) lgkmcnt(8)
	v_mul_f64 v[4:5], v[24:25], v[10:11]
	v_mul_f64 v[100:101], v[22:23], v[10:11]
	v_add_f64 v[96:97], v[96:97], 0
	s_waitcnt vmcnt(32) lgkmcnt(7)
	v_mul_f64 v[102:103], v[26:27], v[62:63]
	v_add_f64 v[96:97], v[96:97], v[98:99]
	s_waitcnt lgkmcnt(6)
	v_mul_f64 v[104:105], v[30:31], v[58:59]
	v_fmac_f64_e32 v[104:105], v[32:33], v[60:61]
	s_waitcnt vmcnt(30) lgkmcnt(4)
	v_mul_f64 v[108:109], v[38:39], v[64:65]
	s_waitcnt vmcnt(26)
	v_mul_f64 v[106:107], v[34:35], v[68:69]
	v_fmac_f64_e32 v[108:109], v[40:41], v[66:67]
	s_waitcnt vmcnt(24) lgkmcnt(2)
	v_mul_f64 v[112:113], v[46:47], v[70:71]
	s_waitcnt vmcnt(22)
	v_fmac_f64_e32 v[112:113], v[48:49], v[72:73]
	s_waitcnt vmcnt(20)
	v_mul_f64 v[110:111], v[42:43], v[74:75]
	s_waitcnt vmcnt(16) lgkmcnt(1)
	v_mul_f64 v[114:115], v[50:51], v[80:81]
	s_waitcnt vmcnt(14)
	v_fma_f64 v[4:5], v[22:23], v[82:83], -v[4:5]
	v_add_f64 v[2:3], v[2:3], v[4:5]
	v_mul_f64 v[4:5], v[28:29], v[62:63]
	s_waitcnt vmcnt(12)
	v_fma_f64 v[4:5], v[26:27], v[84:85], -v[4:5]
	v_add_f64 v[2:3], v[2:3], v[4:5]
	v_mul_f64 v[4:5], v[32:33], v[58:59]
	v_fma_f64 v[4:5], v[30:31], v[60:61], -v[4:5]
	v_add_f64 v[2:3], v[2:3], v[4:5]
	v_mul_f64 v[4:5], v[36:37], v[68:69]
	s_waitcnt vmcnt(10)
	v_fma_f64 v[4:5], v[34:35], v[86:87], -v[4:5]
	v_add_f64 v[2:3], v[2:3], v[4:5]
	v_mul_f64 v[4:5], v[40:41], v[64:65]
	v_fma_f64 v[4:5], v[38:39], v[66:67], -v[4:5]
	v_fmac_f64_e32 v[100:101], v[24:25], v[82:83]
	v_add_f64 v[2:3], v[2:3], v[4:5]
	v_mul_f64 v[4:5], v[44:45], v[74:75]
	v_fmac_f64_e32 v[102:103], v[28:29], v[84:85]
	v_add_f64 v[96:97], v[96:97], v[100:101]
	s_waitcnt vmcnt(8)
	v_fma_f64 v[4:5], v[42:43], v[88:89], -v[4:5]
	v_add_f64 v[96:97], v[96:97], v[102:103]
	v_add_f64 v[2:3], v[2:3], v[4:5]
	v_mul_f64 v[4:5], v[48:49], v[70:71]
	v_fmac_f64_e32 v[106:107], v[36:37], v[86:87]
	v_add_f64 v[96:97], v[96:97], v[104:105]
	v_fma_f64 v[4:5], v[46:47], v[72:73], -v[4:5]
	v_add_f64 v[96:97], v[96:97], v[106:107]
	v_add_f64 v[2:3], v[2:3], v[4:5]
	v_mul_f64 v[4:5], v[52:53], v[80:81]
	v_fmac_f64_e32 v[110:111], v[44:45], v[88:89]
	v_add_f64 v[96:97], v[96:97], v[108:109]
	s_waitcnt vmcnt(6)
	v_fma_f64 v[4:5], v[50:51], v[90:91], -v[4:5]
	v_add_f64 v[96:97], v[96:97], v[110:111]
	v_add_f64 v[2:3], v[2:3], v[4:5]
	s_waitcnt vmcnt(5) lgkmcnt(0)
	v_mul_f64 v[4:5], v[56:57], v[76:77]
	v_fmac_f64_e32 v[114:115], v[52:53], v[90:91]
	v_add_f64 v[96:97], v[96:97], v[112:113]
	v_mul_f64 v[98:99], v[54:55], v[76:77]
	s_waitcnt vmcnt(4)
	v_fma_f64 v[4:5], v[54:55], v[78:79], -v[4:5]
	v_add_f64 v[96:97], v[96:97], v[114:115]
	v_fmac_f64_e32 v[98:99], v[56:57], v[78:79]
	v_add_f64 v[2:3], v[2:3], v[4:5]
	v_add_f64 v[96:97], v[96:97], v[98:99]
	s_waitcnt vmcnt(2)
	v_add_f64 v[2:3], v[92:93], -v[2:3]
	s_waitcnt vmcnt(0)
	v_add_f64 v[4:5], v[94:95], -v[96:97]
	buffer_store_dword v3, off, s[0:3], 0 offset:500
	buffer_store_dword v2, off, s[0:3], 0 offset:496
	;; [unrolled: 1-line block ×4, first 2 shown]
	s_and_saveexec_b64 s[4:5], vcc
	s_cbranch_execz .LBB41_207
; %bb.206:
	v_accvgpr_read_b32 v0, a96
	buffer_load_dword v2, v0, s[0:3], 0 offen
	buffer_load_dword v3, v0, s[0:3], 0 offen offset:4
	buffer_load_dword v4, v0, s[0:3], 0 offen offset:8
	;; [unrolled: 1-line block ×3, first 2 shown]
	v_accvgpr_read_b32 v0, a126
	buffer_store_dword v12, off, s[0:3], 0 offset:480
	buffer_store_dword v12, off, s[0:3], 0 offset:484
	;; [unrolled: 1-line block ×4, first 2 shown]
	s_waitcnt vmcnt(4)
	ds_write_b128 v0, v[2:5]
.LBB41_207:
	s_or_b64 exec, exec, s[4:5]
	s_waitcnt lgkmcnt(0)
	; wave barrier
	s_waitcnt lgkmcnt(0)
	buffer_load_dword v2, off, s[0:3], 0 offset:496
	buffer_load_dword v3, off, s[0:3], 0 offset:500
	;; [unrolled: 1-line block ×52, first 2 shown]
	ds_read_b128 v[14:17], v12 offset:1152
	ds_read_b128 v[18:21], v12 offset:1168
	;; [unrolled: 1-line block ×10, first 2 shown]
	v_cmp_lt_u32_e32 vcc, 28, v118
	s_waitcnt vmcnt(48) lgkmcnt(9)
	v_mul_f64 v[54:55], v[14:15], v[6:7]
	v_mul_f64 v[6:7], v[16:17], v[6:7]
	v_fmac_f64_e32 v[54:55], v[16:17], v[2:3]
	v_fma_f64 v[2:3], v[14:15], v[2:3], -v[6:7]
	s_waitcnt vmcnt(44) lgkmcnt(8)
	v_mul_f64 v[56:57], v[18:19], v[8:9]
	v_mul_f64 v[6:7], v[20:21], v[8:9]
	v_fmac_f64_e32 v[56:57], v[20:21], v[4:5]
	v_add_f64 v[2:3], v[2:3], 0
	v_fma_f64 v[4:5], v[18:19], v[4:5], -v[6:7]
	v_add_f64 v[2:3], v[2:3], v[4:5]
	s_waitcnt vmcnt(42) lgkmcnt(7)
	v_mul_f64 v[4:5], v[24:25], v[10:11]
	v_mul_f64 v[58:59], v[22:23], v[10:11]
	v_add_f64 v[54:55], v[54:55], 0
	s_waitcnt vmcnt(36) lgkmcnt(6)
	v_mul_f64 v[60:61], v[26:27], v[66:67]
	v_add_f64 v[54:55], v[54:55], v[56:57]
	s_waitcnt lgkmcnt(5)
	v_mul_f64 v[104:105], v[30:31], v[62:63]
	v_fmac_f64_e32 v[104:105], v[32:33], v[64:65]
	s_waitcnt vmcnt(34) lgkmcnt(3)
	v_mul_f64 v[108:109], v[38:39], v[68:69]
	s_waitcnt vmcnt(30)
	v_mul_f64 v[106:107], v[34:35], v[72:73]
	v_fmac_f64_e32 v[108:109], v[40:41], v[70:71]
	s_waitcnt vmcnt(26) lgkmcnt(2)
	v_mul_f64 v[110:111], v[42:43], v[78:79]
	s_waitcnt vmcnt(25) lgkmcnt(1)
	v_mul_f64 v[112:113], v[46:47], v[74:75]
	s_waitcnt vmcnt(23)
	v_fma_f64 v[4:5], v[22:23], v[80:81], -v[4:5]
	v_add_f64 v[2:3], v[2:3], v[4:5]
	v_mul_f64 v[4:5], v[28:29], v[66:67]
	s_waitcnt vmcnt(21)
	v_fma_f64 v[4:5], v[26:27], v[82:83], -v[4:5]
	v_fmac_f64_e32 v[58:59], v[24:25], v[80:81]
	v_add_f64 v[2:3], v[2:3], v[4:5]
	v_mul_f64 v[4:5], v[32:33], v[62:63]
	v_fmac_f64_e32 v[60:61], v[28:29], v[82:83]
	v_add_f64 v[54:55], v[54:55], v[58:59]
	v_fma_f64 v[4:5], v[30:31], v[64:65], -v[4:5]
	v_add_f64 v[54:55], v[54:55], v[60:61]
	v_add_f64 v[2:3], v[2:3], v[4:5]
	v_mul_f64 v[4:5], v[36:37], v[72:73]
	s_waitcnt vmcnt(19)
	v_fmac_f64_e32 v[106:107], v[36:37], v[84:85]
	v_add_f64 v[54:55], v[54:55], v[104:105]
	v_fma_f64 v[4:5], v[34:35], v[84:85], -v[4:5]
	v_add_f64 v[54:55], v[54:55], v[106:107]
	v_add_f64 v[2:3], v[2:3], v[4:5]
	v_mul_f64 v[4:5], v[40:41], v[68:69]
	s_waitcnt vmcnt(17)
	v_fmac_f64_e32 v[110:111], v[44:45], v[86:87]
	v_add_f64 v[54:55], v[54:55], v[108:109]
	v_fma_f64 v[4:5], v[38:39], v[70:71], -v[4:5]
	s_waitcnt vmcnt(16)
	v_fmac_f64_e32 v[112:113], v[48:49], v[76:77]
	v_add_f64 v[54:55], v[54:55], v[110:111]
	v_add_f64 v[2:3], v[2:3], v[4:5]
	v_mul_f64 v[4:5], v[44:45], v[78:79]
	v_add_f64 v[104:105], v[54:55], v[112:113]
	ds_read_b128 v[54:57], v12 offset:1312
	ds_read_b128 v[58:61], v12 offset:1328
	v_fma_f64 v[4:5], v[42:43], v[86:87], -v[4:5]
	v_add_f64 v[2:3], v[2:3], v[4:5]
	v_mul_f64 v[4:5], v[48:49], v[74:75]
	v_fma_f64 v[4:5], v[46:47], v[76:77], -v[4:5]
	v_add_f64 v[2:3], v[2:3], v[4:5]
	s_waitcnt vmcnt(12) lgkmcnt(2)
	v_mul_f64 v[4:5], v[52:53], v[92:93]
	v_mul_f64 v[106:107], v[50:51], v[92:93]
	s_waitcnt vmcnt(10)
	v_fma_f64 v[4:5], v[50:51], v[94:95], -v[4:5]
	v_fmac_f64_e32 v[106:107], v[52:53], v[94:95]
	v_add_f64 v[2:3], v[2:3], v[4:5]
	s_waitcnt vmcnt(8) lgkmcnt(1)
	v_mul_f64 v[4:5], v[56:57], v[88:89]
	v_add_f64 v[12:13], v[104:105], v[106:107]
	v_mul_f64 v[104:105], v[54:55], v[88:89]
	v_fma_f64 v[4:5], v[54:55], v[90:91], -v[4:5]
	v_fmac_f64_e32 v[104:105], v[56:57], v[90:91]
	v_add_f64 v[2:3], v[2:3], v[4:5]
	s_waitcnt vmcnt(6) lgkmcnt(0)
	v_mul_f64 v[4:5], v[60:61], v[96:97]
	v_add_f64 v[12:13], v[12:13], v[104:105]
	v_mul_f64 v[104:105], v[58:59], v[96:97]
	s_waitcnt vmcnt(4)
	v_fma_f64 v[4:5], v[58:59], v[98:99], -v[4:5]
	v_fmac_f64_e32 v[104:105], v[60:61], v[98:99]
	v_add_f64 v[2:3], v[2:3], v[4:5]
	v_add_f64 v[12:13], v[12:13], v[104:105]
	s_waitcnt vmcnt(2)
	v_add_f64 v[2:3], v[100:101], -v[2:3]
	s_waitcnt vmcnt(0)
	v_add_f64 v[4:5], v[102:103], -v[12:13]
	buffer_store_dword v3, off, s[0:3], 0 offset:484
	buffer_store_dword v2, off, s[0:3], 0 offset:480
	;; [unrolled: 1-line block ×4, first 2 shown]
	s_and_saveexec_b64 s[4:5], vcc
	s_cbranch_execz .LBB41_209
; %bb.208:
	v_accvgpr_read_b32 v0, a97
	buffer_load_dword v2, v0, s[0:3], 0 offen
	buffer_load_dword v3, v0, s[0:3], 0 offen offset:4
	buffer_load_dword v4, v0, s[0:3], 0 offen offset:8
	;; [unrolled: 1-line block ×3, first 2 shown]
	v_mov_b32_e32 v0, 0
	v_accvgpr_read_b32 v1, a126
	buffer_store_dword v0, off, s[0:3], 0 offset:464
	buffer_store_dword v0, off, s[0:3], 0 offset:468
	;; [unrolled: 1-line block ×4, first 2 shown]
	s_waitcnt vmcnt(4)
	ds_write_b128 v1, v[2:5]
.LBB41_209:
	s_or_b64 exec, exec, s[4:5]
	s_waitcnt lgkmcnt(0)
	; wave barrier
	s_waitcnt lgkmcnt(0)
	buffer_load_dword v2, off, s[0:3], 0 offset:480
	buffer_load_dword v3, off, s[0:3], 0 offset:484
	;; [unrolled: 1-line block ×56, first 2 shown]
	v_mov_b32_e32 v24, 0
	ds_read_b128 v[18:21], v24 offset:1136
	ds_read_b128 v[26:29], v24 offset:1152
	;; [unrolled: 1-line block ×9, first 2 shown]
	v_cmp_lt_u32_e32 vcc, 27, v118
	s_waitcnt vmcnt(52) lgkmcnt(8)
	v_mul_f64 v[54:55], v[18:19], v[6:7]
	v_fmac_f64_e32 v[54:55], v[20:21], v[2:3]
	v_mul_f64 v[6:7], v[20:21], v[6:7]
	v_add_f64 v[54:55], v[54:55], 0
	s_waitcnt vmcnt(48) lgkmcnt(7)
	v_mul_f64 v[56:57], v[26:27], v[8:9]
	v_fmac_f64_e32 v[56:57], v[28:29], v[4:5]
	s_waitcnt vmcnt(46) lgkmcnt(6)
	v_mul_f64 v[58:59], v[30:31], v[10:11]
	v_fma_f64 v[2:3], v[18:19], v[2:3], -v[6:7]
	v_mul_f64 v[6:7], v[28:29], v[8:9]
	v_add_f64 v[54:55], v[54:55], v[56:57]
	v_add_f64 v[2:3], v[2:3], 0
	v_fma_f64 v[4:5], v[26:27], v[4:5], -v[6:7]
	s_waitcnt vmcnt(40) lgkmcnt(5)
	v_mul_f64 v[60:61], v[34:35], v[16:17]
	s_waitcnt lgkmcnt(4)
	v_mul_f64 v[62:63], v[38:39], v[12:13]
	v_add_f64 v[2:3], v[2:3], v[4:5]
	v_mul_f64 v[4:5], v[32:33], v[10:11]
	s_waitcnt vmcnt(36) lgkmcnt(3)
	v_mul_f64 v[64:65], v[42:43], v[76:77]
	v_fmac_f64_e32 v[62:63], v[40:41], v[14:15]
	s_waitcnt vmcnt(35) lgkmcnt(2)
	v_mul_f64 v[66:67], v[46:47], v[22:23]
	s_waitcnt vmcnt(33)
	v_fmac_f64_e32 v[58:59], v[32:33], v[78:79]
	v_add_f64 v[54:55], v[54:55], v[58:59]
	s_waitcnt vmcnt(31)
	v_fmac_f64_e32 v[60:61], v[36:37], v[80:81]
	v_add_f64 v[54:55], v[54:55], v[60:61]
	v_fma_f64 v[4:5], v[30:31], v[78:79], -v[4:5]
	s_waitcnt vmcnt(29)
	v_fmac_f64_e32 v[64:65], v[44:45], v[82:83]
	v_add_f64 v[54:55], v[54:55], v[62:63]
	v_add_f64 v[2:3], v[2:3], v[4:5]
	v_mul_f64 v[4:5], v[36:37], v[16:17]
	s_waitcnt vmcnt(28)
	v_fmac_f64_e32 v[66:67], v[48:49], v[74:75]
	v_add_f64 v[54:55], v[54:55], v[64:65]
	v_fma_f64 v[4:5], v[34:35], v[80:81], -v[4:5]
	v_add_f64 v[58:59], v[54:55], v[66:67]
	ds_read_b128 v[54:57], v24 offset:1264
	s_waitcnt vmcnt(24) lgkmcnt(2)
	v_mul_f64 v[60:61], v[50:51], v[88:89]
	v_add_f64 v[2:3], v[2:3], v[4:5]
	v_mul_f64 v[4:5], v[40:41], v[12:13]
	s_waitcnt vmcnt(22)
	v_fmac_f64_e32 v[60:61], v[52:53], v[90:91]
	v_fma_f64 v[4:5], v[38:39], v[14:15], -v[4:5]
	v_add_f64 v[62:63], v[58:59], v[60:61]
	ds_read_b128 v[58:61], v24 offset:1280
	v_add_f64 v[2:3], v[2:3], v[4:5]
	v_mul_f64 v[4:5], v[44:45], v[76:77]
	v_fma_f64 v[4:5], v[42:43], v[82:83], -v[4:5]
	v_add_f64 v[2:3], v[2:3], v[4:5]
	v_mul_f64 v[4:5], v[48:49], v[22:23]
	s_waitcnt vmcnt(20) lgkmcnt(1)
	v_mul_f64 v[64:65], v[54:55], v[84:85]
	v_fma_f64 v[4:5], v[46:47], v[74:75], -v[4:5]
	v_fmac_f64_e32 v[64:65], v[56:57], v[86:87]
	v_add_f64 v[2:3], v[2:3], v[4:5]
	v_mul_f64 v[4:5], v[52:53], v[88:89]
	v_add_f64 v[66:67], v[62:63], v[64:65]
	ds_read_b128 v[62:65], v24 offset:1296
	s_waitcnt vmcnt(16) lgkmcnt(1)
	v_mul_f64 v[68:69], v[58:59], v[96:97]
	v_fma_f64 v[4:5], v[50:51], v[90:91], -v[4:5]
	s_waitcnt vmcnt(14)
	v_fmac_f64_e32 v[68:69], v[60:61], v[98:99]
	v_add_f64 v[2:3], v[2:3], v[4:5]
	v_mul_f64 v[4:5], v[56:57], v[84:85]
	v_add_f64 v[112:113], v[66:67], v[68:69]
	ds_read_b128 v[66:69], v24 offset:1312
	v_fma_f64 v[4:5], v[54:55], v[86:87], -v[4:5]
	v_add_f64 v[2:3], v[2:3], v[4:5]
	v_mul_f64 v[4:5], v[60:61], v[96:97]
	v_fma_f64 v[4:5], v[58:59], v[98:99], -v[4:5]
	v_add_f64 v[2:3], v[2:3], v[4:5]
	s_waitcnt vmcnt(12) lgkmcnt(1)
	v_mul_f64 v[4:5], v[64:65], v[92:93]
	v_mul_f64 v[114:115], v[62:63], v[92:93]
	v_fma_f64 v[4:5], v[62:63], v[94:95], -v[4:5]
	v_fmac_f64_e32 v[114:115], v[64:65], v[94:95]
	v_add_f64 v[2:3], v[2:3], v[4:5]
	s_waitcnt vmcnt(8) lgkmcnt(0)
	v_mul_f64 v[4:5], v[68:69], v[104:105]
	v_add_f64 v[112:113], v[112:113], v[114:115]
	v_mul_f64 v[114:115], v[66:67], v[104:105]
	s_waitcnt vmcnt(6)
	v_fma_f64 v[4:5], v[66:67], v[106:107], -v[4:5]
	v_fmac_f64_e32 v[114:115], v[68:69], v[106:107]
	v_add_f64 v[2:3], v[2:3], v[4:5]
	s_waitcnt vmcnt(5)
	v_mul_f64 v[4:5], v[72:73], v[100:101]
	v_add_f64 v[112:113], v[112:113], v[114:115]
	v_mul_f64 v[114:115], v[70:71], v[100:101]
	s_waitcnt vmcnt(4)
	v_fma_f64 v[4:5], v[70:71], v[102:103], -v[4:5]
	v_fmac_f64_e32 v[114:115], v[72:73], v[102:103]
	v_add_f64 v[2:3], v[2:3], v[4:5]
	v_add_f64 v[112:113], v[112:113], v[114:115]
	s_waitcnt vmcnt(2)
	v_add_f64 v[2:3], v[108:109], -v[2:3]
	s_waitcnt vmcnt(0)
	v_add_f64 v[4:5], v[110:111], -v[112:113]
	buffer_store_dword v3, off, s[0:3], 0 offset:468
	buffer_store_dword v2, off, s[0:3], 0 offset:464
	;; [unrolled: 1-line block ×4, first 2 shown]
	s_and_saveexec_b64 s[4:5], vcc
	s_cbranch_execz .LBB41_211
; %bb.210:
	v_accvgpr_read_b32 v0, a98
	buffer_load_dword v2, v0, s[0:3], 0 offen
	buffer_load_dword v3, v0, s[0:3], 0 offen offset:4
	buffer_load_dword v4, v0, s[0:3], 0 offen offset:8
	;; [unrolled: 1-line block ×3, first 2 shown]
	v_accvgpr_read_b32 v0, a126
	buffer_store_dword v24, off, s[0:3], 0 offset:448
	buffer_store_dword v24, off, s[0:3], 0 offset:452
	buffer_store_dword v24, off, s[0:3], 0 offset:456
	buffer_store_dword v24, off, s[0:3], 0 offset:460
	s_waitcnt vmcnt(4)
	ds_write_b128 v0, v[2:5]
.LBB41_211:
	s_or_b64 exec, exec, s[4:5]
	s_waitcnt lgkmcnt(0)
	; wave barrier
	s_waitcnt lgkmcnt(0)
	buffer_load_dword v2, off, s[0:3], 0 offset:464
	buffer_load_dword v3, off, s[0:3], 0 offset:468
	;; [unrolled: 1-line block ×60, first 2 shown]
	ds_read_b128 v[26:29], v24 offset:1120
	ds_read_b128 v[30:33], v24 offset:1136
	;; [unrolled: 1-line block ×8, first 2 shown]
	v_cmp_lt_u32_e32 vcc, 26, v118
	ds_read_b128 v[78:81], v24 offset:1328
	s_waitcnt vmcnt(56) lgkmcnt(8)
	v_mul_f64 v[58:59], v[26:27], v[6:7]
	v_fmac_f64_e32 v[58:59], v[28:29], v[2:3]
	v_add_f64 v[58:59], v[58:59], 0
	v_mul_f64 v[6:7], v[28:29], v[6:7]
	s_waitcnt vmcnt(52) lgkmcnt(7)
	v_mul_f64 v[60:61], v[30:31], v[8:9]
	v_fmac_f64_e32 v[60:61], v[32:33], v[4:5]
	s_waitcnt vmcnt(50) lgkmcnt(6)
	v_mul_f64 v[62:63], v[34:35], v[10:11]
	v_add_f64 v[58:59], v[58:59], v[60:61]
	s_waitcnt vmcnt(48) lgkmcnt(4)
	v_mul_f64 v[66:67], v[42:43], v[12:13]
	v_fma_f64 v[2:3], v[26:27], v[2:3], -v[6:7]
	s_waitcnt vmcnt(46)
	v_fmac_f64_e32 v[66:67], v[44:45], v[14:15]
	v_mul_f64 v[6:7], v[32:33], v[8:9]
	s_waitcnt vmcnt(44)
	v_mul_f64 v[64:65], v[38:39], v[16:17]
	v_add_f64 v[2:3], v[2:3], 0
	v_fma_f64 v[4:5], v[30:31], v[4:5], -v[6:7]
	v_add_f64 v[2:3], v[2:3], v[4:5]
	s_waitcnt vmcnt(40) lgkmcnt(3)
	v_mul_f64 v[68:69], v[46:47], v[22:23]
	v_mul_f64 v[4:5], v[36:37], v[10:11]
	s_waitcnt vmcnt(38)
	v_fmac_f64_e32 v[62:63], v[36:37], v[82:83]
	v_add_f64 v[58:59], v[58:59], v[62:63]
	s_waitcnt vmcnt(36)
	v_fmac_f64_e32 v[64:65], v[40:41], v[84:85]
	v_add_f64 v[58:59], v[58:59], v[64:65]
	;; [unrolled: 3-line block ×3, first 2 shown]
	s_waitcnt vmcnt(32) lgkmcnt(2)
	v_mul_f64 v[60:61], v[50:51], v[18:19]
	v_add_f64 v[58:59], v[58:59], v[68:69]
	v_fmac_f64_e32 v[60:61], v[52:53], v[20:21]
	v_add_f64 v[62:63], v[58:59], v[60:61]
	ds_read_b128 v[58:61], v24 offset:1248
	v_fma_f64 v[4:5], v[34:35], v[82:83], -v[4:5]
	v_add_f64 v[2:3], v[2:3], v[4:5]
	v_mul_f64 v[4:5], v[40:41], v[16:17]
	v_fma_f64 v[4:5], v[38:39], v[84:85], -v[4:5]
	s_waitcnt vmcnt(28) lgkmcnt(2)
	v_mul_f64 v[64:65], v[54:55], v[92:93]
	v_add_f64 v[2:3], v[2:3], v[4:5]
	v_mul_f64 v[4:5], v[44:45], v[12:13]
	s_waitcnt vmcnt(26)
	v_fmac_f64_e32 v[64:65], v[56:57], v[94:95]
	v_fma_f64 v[4:5], v[42:43], v[14:15], -v[4:5]
	v_add_f64 v[66:67], v[62:63], v[64:65]
	ds_read_b128 v[62:65], v24 offset:1264
	s_waitcnt vmcnt(24) lgkmcnt(1)
	v_mul_f64 v[68:69], v[58:59], v[88:89]
	v_add_f64 v[2:3], v[2:3], v[4:5]
	v_mul_f64 v[4:5], v[48:49], v[22:23]
	v_fmac_f64_e32 v[68:69], v[60:61], v[90:91]
	v_fma_f64 v[4:5], v[46:47], v[86:87], -v[4:5]
	v_add_f64 v[70:71], v[66:67], v[68:69]
	ds_read_b128 v[66:69], v24 offset:1280
	v_add_f64 v[2:3], v[2:3], v[4:5]
	v_mul_f64 v[4:5], v[52:53], v[18:19]
	v_fma_f64 v[4:5], v[50:51], v[20:21], -v[4:5]
	v_add_f64 v[2:3], v[2:3], v[4:5]
	v_mul_f64 v[4:5], v[56:57], v[92:93]
	s_waitcnt vmcnt(20) lgkmcnt(1)
	v_mul_f64 v[72:73], v[62:63], v[100:101]
	v_fma_f64 v[4:5], v[54:55], v[94:95], -v[4:5]
	s_waitcnt vmcnt(18)
	v_fmac_f64_e32 v[72:73], v[64:65], v[102:103]
	v_add_f64 v[2:3], v[2:3], v[4:5]
	v_mul_f64 v[4:5], v[60:61], v[88:89]
	v_add_f64 v[74:75], v[70:71], v[72:73]
	ds_read_b128 v[70:73], v24 offset:1296
	s_waitcnt vmcnt(16) lgkmcnt(1)
	v_mul_f64 v[76:77], v[66:67], v[96:97]
	v_fma_f64 v[4:5], v[58:59], v[90:91], -v[4:5]
	v_fmac_f64_e32 v[76:77], v[68:69], v[98:99]
	v_add_f64 v[2:3], v[2:3], v[4:5]
	v_mul_f64 v[4:5], v[64:65], v[100:101]
	v_add_f64 v[122:123], v[74:75], v[76:77]
	ds_read_b128 v[74:77], v24 offset:1312
	v_fma_f64 v[4:5], v[62:63], v[102:103], -v[4:5]
	v_add_f64 v[2:3], v[2:3], v[4:5]
	v_mul_f64 v[4:5], v[68:69], v[96:97]
	v_fma_f64 v[4:5], v[66:67], v[98:99], -v[4:5]
	v_add_f64 v[2:3], v[2:3], v[4:5]
	s_waitcnt vmcnt(12) lgkmcnt(1)
	v_mul_f64 v[4:5], v[72:73], v[108:109]
	v_mul_f64 v[124:125], v[70:71], v[108:109]
	s_waitcnt vmcnt(10)
	v_fma_f64 v[4:5], v[70:71], v[110:111], -v[4:5]
	v_fmac_f64_e32 v[124:125], v[72:73], v[110:111]
	v_add_f64 v[2:3], v[2:3], v[4:5]
	s_waitcnt vmcnt(8) lgkmcnt(0)
	v_mul_f64 v[4:5], v[76:77], v[104:105]
	v_add_f64 v[24:25], v[122:123], v[124:125]
	v_mul_f64 v[122:123], v[74:75], v[104:105]
	v_fma_f64 v[4:5], v[74:75], v[106:107], -v[4:5]
	v_fmac_f64_e32 v[122:123], v[76:77], v[106:107]
	v_add_f64 v[2:3], v[2:3], v[4:5]
	s_waitcnt vmcnt(6)
	v_mul_f64 v[4:5], v[80:81], v[112:113]
	v_add_f64 v[24:25], v[24:25], v[122:123]
	v_mul_f64 v[122:123], v[78:79], v[112:113]
	s_waitcnt vmcnt(4)
	v_fma_f64 v[4:5], v[78:79], v[114:115], -v[4:5]
	v_fmac_f64_e32 v[122:123], v[80:81], v[114:115]
	v_add_f64 v[2:3], v[2:3], v[4:5]
	v_add_f64 v[24:25], v[24:25], v[122:123]
	s_waitcnt vmcnt(2)
	v_add_f64 v[2:3], v[116:117], -v[2:3]
	s_waitcnt vmcnt(0)
	v_add_f64 v[4:5], v[120:121], -v[24:25]
	buffer_store_dword v3, off, s[0:3], 0 offset:452
	buffer_store_dword v2, off, s[0:3], 0 offset:448
	buffer_store_dword v5, off, s[0:3], 0 offset:460
	buffer_store_dword v4, off, s[0:3], 0 offset:456
	s_and_saveexec_b64 s[4:5], vcc
	s_cbranch_execz .LBB41_213
; %bb.212:
	v_accvgpr_read_b32 v0, a99
	buffer_load_dword v2, v0, s[0:3], 0 offen
	buffer_load_dword v3, v0, s[0:3], 0 offen offset:4
	buffer_load_dword v4, v0, s[0:3], 0 offen offset:8
	;; [unrolled: 1-line block ×3, first 2 shown]
	v_mov_b32_e32 v0, 0
	v_accvgpr_read_b32 v1, a126
	buffer_store_dword v0, off, s[0:3], 0 offset:432
	buffer_store_dword v0, off, s[0:3], 0 offset:436
	;; [unrolled: 1-line block ×4, first 2 shown]
	s_waitcnt vmcnt(4)
	ds_write_b128 v1, v[2:5]
.LBB41_213:
	s_or_b64 exec, exec, s[4:5]
	s_waitcnt lgkmcnt(0)
	; wave barrier
	s_waitcnt lgkmcnt(0)
	buffer_load_dword v2, off, s[0:3], 0 offset:448
	buffer_load_dword v3, off, s[0:3], 0 offset:452
	;; [unrolled: 1-line block ×64, first 2 shown]
	v_mov_b32_e32 v46, 0
	ds_read_b128 v[38:41], v46 offset:1104
	ds_read_b128 v[42:45], v46 offset:1120
	;; [unrolled: 1-line block ×7, first 2 shown]
	v_cmp_lt_u32_e32 vcc, 25, v118
	s_waitcnt vmcnt(60) lgkmcnt(6)
	v_mul_f64 v[64:65], v[38:39], v[4:5]
	v_fmac_f64_e32 v[64:65], v[40:41], v[2:3]
	s_waitcnt vmcnt(58) lgkmcnt(5)
	v_mul_f64 v[66:67], v[42:43], v[6:7]
	v_add_f64 v[64:65], v[64:65], 0
	s_waitcnt vmcnt(56) lgkmcnt(4)
	v_mul_f64 v[68:69], v[48:49], v[8:9]
	v_mul_f64 v[4:5], v[40:41], v[4:5]
	s_waitcnt vmcnt(54) lgkmcnt(2)
	v_mul_f64 v[72:73], v[56:57], v[10:11]
	v_fma_f64 v[2:3], v[38:39], v[2:3], -v[4:5]
	v_mul_f64 v[4:5], v[44:45], v[6:7]
	s_waitcnt vmcnt(51)
	v_mul_f64 v[70:71], v[52:53], v[14:15]
	v_add_f64 v[2:3], v[2:3], 0
	s_waitcnt vmcnt(49)
	v_fmac_f64_e32 v[66:67], v[44:45], v[20:21]
	v_add_f64 v[64:65], v[64:65], v[66:67]
	s_waitcnt vmcnt(47)
	v_fmac_f64_e32 v[68:69], v[50:51], v[18:19]
	;; [unrolled: 3-line block ×4, first 2 shown]
	v_add_f64 v[68:69], v[64:65], v[72:73]
	ds_read_b128 v[64:67], v46 offset:1200
	s_waitcnt vmcnt(40) lgkmcnt(2)
	v_mul_f64 v[70:71], v[60:61], v[26:27]
	v_fma_f64 v[4:5], v[42:43], v[20:21], -v[4:5]
	s_waitcnt vmcnt(38)
	v_fmac_f64_e32 v[70:71], v[62:63], v[28:29]
	v_add_f64 v[72:73], v[68:69], v[70:71]
	ds_read_b128 v[68:71], v46 offset:1216
	s_waitcnt vmcnt(37) lgkmcnt(1)
	v_mul_f64 v[74:75], v[64:65], v[22:23]
	s_waitcnt vmcnt(36)
	v_fmac_f64_e32 v[74:75], v[66:67], v[24:25]
	v_add_f64 v[2:3], v[2:3], v[4:5]
	v_mul_f64 v[4:5], v[50:51], v[8:9]
	v_add_f64 v[76:77], v[72:73], v[74:75]
	ds_read_b128 v[72:75], v46 offset:1232
	s_waitcnt vmcnt(32) lgkmcnt(1)
	v_mul_f64 v[78:79], v[68:69], v[34:35]
	v_fma_f64 v[4:5], v[48:49], v[18:19], -v[4:5]
	s_waitcnt vmcnt(30)
	v_fmac_f64_e32 v[78:79], v[70:71], v[36:37]
	v_add_f64 v[2:3], v[2:3], v[4:5]
	v_mul_f64 v[4:5], v[54:55], v[14:15]
	v_add_f64 v[80:81], v[76:77], v[78:79]
	ds_read_b128 v[76:79], v46 offset:1248
	v_fma_f64 v[4:5], v[52:53], v[16:17], -v[4:5]
	v_add_f64 v[2:3], v[2:3], v[4:5]
	v_mul_f64 v[4:5], v[58:59], v[10:11]
	v_fma_f64 v[4:5], v[56:57], v[12:13], -v[4:5]
	s_waitcnt vmcnt(29) lgkmcnt(1)
	v_mul_f64 v[82:83], v[72:73], v[30:31]
	v_add_f64 v[2:3], v[2:3], v[4:5]
	v_mul_f64 v[4:5], v[62:63], v[26:27]
	s_waitcnt vmcnt(28)
	v_fmac_f64_e32 v[82:83], v[74:75], v[32:33]
	v_fma_f64 v[4:5], v[60:61], v[28:29], -v[4:5]
	v_add_f64 v[84:85], v[80:81], v[82:83]
	ds_read_b128 v[80:83], v46 offset:1264
	s_waitcnt vmcnt(24) lgkmcnt(1)
	v_mul_f64 v[86:87], v[76:77], v[104:105]
	v_add_f64 v[2:3], v[2:3], v[4:5]
	v_mul_f64 v[4:5], v[66:67], v[22:23]
	s_waitcnt vmcnt(22)
	v_fmac_f64_e32 v[86:87], v[78:79], v[106:107]
	v_fma_f64 v[4:5], v[64:65], v[24:25], -v[4:5]
	v_add_f64 v[88:89], v[84:85], v[86:87]
	ds_read_b128 v[84:87], v46 offset:1280
	v_add_f64 v[2:3], v[2:3], v[4:5]
	v_mul_f64 v[4:5], v[70:71], v[34:35]
	v_fma_f64 v[4:5], v[68:69], v[36:37], -v[4:5]
	v_add_f64 v[2:3], v[2:3], v[4:5]
	v_mul_f64 v[4:5], v[74:75], v[30:31]
	s_waitcnt vmcnt(21) lgkmcnt(1)
	v_mul_f64 v[90:91], v[80:81], v[100:101]
	v_fma_f64 v[4:5], v[72:73], v[32:33], -v[4:5]
	s_waitcnt vmcnt(20)
	v_fmac_f64_e32 v[90:91], v[82:83], v[102:103]
	v_add_f64 v[2:3], v[2:3], v[4:5]
	v_mul_f64 v[4:5], v[78:79], v[104:105]
	v_add_f64 v[92:93], v[88:89], v[90:91]
	ds_read_b128 v[88:91], v46 offset:1296
	s_waitcnt vmcnt(16) lgkmcnt(1)
	v_mul_f64 v[94:95], v[84:85], v[112:113]
	v_fma_f64 v[4:5], v[76:77], v[106:107], -v[4:5]
	s_waitcnt vmcnt(14)
	v_fmac_f64_e32 v[94:95], v[86:87], v[114:115]
	v_add_f64 v[2:3], v[2:3], v[4:5]
	v_mul_f64 v[4:5], v[82:83], v[100:101]
	v_add_f64 v[130:131], v[92:93], v[94:95]
	ds_read_b128 v[92:95], v46 offset:1312
	v_fma_f64 v[4:5], v[80:81], v[102:103], -v[4:5]
	v_add_f64 v[2:3], v[2:3], v[4:5]
	v_mul_f64 v[4:5], v[86:87], v[112:113]
	v_fma_f64 v[4:5], v[84:85], v[114:115], -v[4:5]
	v_add_f64 v[2:3], v[2:3], v[4:5]
	s_waitcnt vmcnt(13) lgkmcnt(1)
	v_mul_f64 v[4:5], v[90:91], v[108:109]
	v_mul_f64 v[132:133], v[88:89], v[108:109]
	s_waitcnt vmcnt(12)
	v_fma_f64 v[4:5], v[88:89], v[110:111], -v[4:5]
	v_fmac_f64_e32 v[132:133], v[90:91], v[110:111]
	v_add_f64 v[2:3], v[2:3], v[4:5]
	s_waitcnt vmcnt(8) lgkmcnt(0)
	v_mul_f64 v[4:5], v[94:95], v[122:123]
	v_add_f64 v[130:131], v[130:131], v[132:133]
	v_mul_f64 v[132:133], v[92:93], v[122:123]
	s_waitcnt vmcnt(6)
	v_fma_f64 v[4:5], v[92:93], v[124:125], -v[4:5]
	v_fmac_f64_e32 v[132:133], v[94:95], v[124:125]
	v_add_f64 v[2:3], v[2:3], v[4:5]
	s_waitcnt vmcnt(5)
	v_mul_f64 v[4:5], v[98:99], v[116:117]
	v_add_f64 v[130:131], v[130:131], v[132:133]
	v_mul_f64 v[132:133], v[96:97], v[116:117]
	s_waitcnt vmcnt(4)
	v_fma_f64 v[4:5], v[96:97], v[120:121], -v[4:5]
	v_fmac_f64_e32 v[132:133], v[98:99], v[120:121]
	v_add_f64 v[2:3], v[2:3], v[4:5]
	v_add_f64 v[130:131], v[130:131], v[132:133]
	s_waitcnt vmcnt(2)
	v_add_f64 v[2:3], v[126:127], -v[2:3]
	s_waitcnt vmcnt(0)
	v_add_f64 v[4:5], v[128:129], -v[130:131]
	buffer_store_dword v3, off, s[0:3], 0 offset:436
	buffer_store_dword v2, off, s[0:3], 0 offset:432
	;; [unrolled: 1-line block ×4, first 2 shown]
	s_and_saveexec_b64 s[4:5], vcc
	s_cbranch_execz .LBB41_215
; %bb.214:
	v_accvgpr_read_b32 v0, a100
	buffer_load_dword v2, v0, s[0:3], 0 offen
	buffer_load_dword v3, v0, s[0:3], 0 offen offset:4
	buffer_load_dword v4, v0, s[0:3], 0 offen offset:8
	;; [unrolled: 1-line block ×3, first 2 shown]
	v_accvgpr_read_b32 v0, a126
	buffer_store_dword v46, off, s[0:3], 0 offset:416
	buffer_store_dword v46, off, s[0:3], 0 offset:420
	;; [unrolled: 1-line block ×4, first 2 shown]
	s_waitcnt vmcnt(4)
	ds_write_b128 v0, v[2:5]
.LBB41_215:
	s_or_b64 exec, exec, s[4:5]
	s_waitcnt lgkmcnt(0)
	; wave barrier
	s_waitcnt lgkmcnt(0)
	buffer_load_dword v2, off, s[0:3], 0 offset:432
	buffer_load_dword v3, off, s[0:3], 0 offset:436
	;; [unrolled: 1-line block ×64, first 2 shown]
	ds_read_b128 v[48:51], v46 offset:1088
	ds_read_b128 v[52:55], v46 offset:1104
	;; [unrolled: 1-line block ×4, first 2 shown]
	buffer_load_dword v134, off, s[0:3], 0 offset:416
	buffer_load_dword v135, off, s[0:3], 0 offset:420
	;; [unrolled: 1-line block ×4, first 2 shown]
	v_cmp_lt_u32_e32 vcc, 24, v118
	ds_read_b128 v[108:111], v46 offset:1328
	s_waitcnt vmcnt(62) lgkmcnt(4)
	v_mul_f64 v[64:65], v[48:49], v[4:5]
	v_fmac_f64_e32 v[64:65], v[50:51], v[2:3]
	v_add_f64 v[64:65], v[64:65], 0
	s_waitcnt lgkmcnt(2)
	v_mul_f64 v[68:69], v[56:57], v[6:7]
	v_mul_f64 v[4:5], v[50:51], v[4:5]
	v_fma_f64 v[2:3], v[48:49], v[2:3], -v[4:5]
	s_waitcnt vmcnt(58) lgkmcnt(1)
	v_mul_f64 v[70:71], v[60:61], v[12:13]
	v_add_f64 v[2:3], v[2:3], 0
	s_waitcnt vmcnt(56)
	v_mul_f64 v[66:67], v[52:53], v[18:19]
	v_mul_f64 v[4:5], v[54:55], v[18:19]
	s_waitcnt vmcnt(53)
	v_fmac_f64_e32 v[68:69], v[58:59], v[16:17]
	s_waitcnt vmcnt(52)
	v_fmac_f64_e32 v[66:67], v[54:55], v[20:21]
	v_add_f64 v[72:73], v[64:65], v[66:67]
	ds_read_b128 v[64:67], v46 offset:1152
	v_add_f64 v[68:69], v[72:73], v[68:69]
	s_waitcnt vmcnt(50)
	v_fmac_f64_e32 v[70:71], v[62:63], v[14:15]
	v_add_f64 v[72:73], v[68:69], v[70:71]
	ds_read_b128 v[68:71], v46 offset:1168
	s_waitcnt vmcnt(49) lgkmcnt(1)
	v_mul_f64 v[74:75], v[64:65], v[8:9]
	s_waitcnt vmcnt(48)
	v_fmac_f64_e32 v[74:75], v[66:67], v[10:11]
	v_add_f64 v[76:77], v[72:73], v[74:75]
	ds_read_b128 v[72:75], v46 offset:1184
	s_waitcnt vmcnt(44) lgkmcnt(1)
	v_mul_f64 v[78:79], v[68:69], v[26:27]
	;; [unrolled: 6-line block ×3, first 2 shown]
	s_waitcnt vmcnt(40)
	v_fmac_f64_e32 v[82:83], v[74:75], v[24:25]
	v_add_f64 v[84:85], v[80:81], v[82:83]
	ds_read_b128 v[80:83], v46 offset:1216
	v_fma_f64 v[4:5], v[52:53], v[20:21], -v[4:5]
	v_add_f64 v[2:3], v[2:3], v[4:5]
	v_mul_f64 v[4:5], v[58:59], v[6:7]
	s_waitcnt vmcnt(36) lgkmcnt(1)
	v_mul_f64 v[86:87], v[76:77], v[34:35]
	v_fma_f64 v[4:5], v[56:57], v[16:17], -v[4:5]
	s_waitcnt vmcnt(34)
	v_fmac_f64_e32 v[86:87], v[78:79], v[36:37]
	v_add_f64 v[2:3], v[2:3], v[4:5]
	v_mul_f64 v[4:5], v[62:63], v[12:13]
	v_add_f64 v[88:89], v[84:85], v[86:87]
	ds_read_b128 v[84:87], v46 offset:1232
	s_waitcnt vmcnt(33) lgkmcnt(1)
	v_mul_f64 v[90:91], v[80:81], v[30:31]
	v_fma_f64 v[4:5], v[60:61], v[14:15], -v[4:5]
	s_waitcnt vmcnt(32)
	v_fmac_f64_e32 v[90:91], v[82:83], v[32:33]
	v_add_f64 v[2:3], v[2:3], v[4:5]
	v_mul_f64 v[4:5], v[66:67], v[8:9]
	v_add_f64 v[92:93], v[88:89], v[90:91]
	ds_read_b128 v[88:91], v46 offset:1248
	v_fma_f64 v[4:5], v[64:65], v[10:11], -v[4:5]
	v_add_f64 v[2:3], v[2:3], v[4:5]
	v_mul_f64 v[4:5], v[70:71], v[26:27]
	v_fma_f64 v[4:5], v[68:69], v[28:29], -v[4:5]
	s_waitcnt vmcnt(28) lgkmcnt(1)
	v_mul_f64 v[94:95], v[84:85], v[42:43]
	v_add_f64 v[2:3], v[2:3], v[4:5]
	v_mul_f64 v[4:5], v[74:75], v[22:23]
	s_waitcnt vmcnt(26)
	v_fmac_f64_e32 v[94:95], v[86:87], v[44:45]
	v_fma_f64 v[4:5], v[72:73], v[24:25], -v[4:5]
	v_add_f64 v[96:97], v[92:93], v[94:95]
	ds_read_b128 v[92:95], v46 offset:1264
	s_waitcnt vmcnt(25) lgkmcnt(1)
	v_mul_f64 v[98:99], v[88:89], v[38:39]
	v_add_f64 v[2:3], v[2:3], v[4:5]
	v_mul_f64 v[4:5], v[78:79], v[34:35]
	s_waitcnt vmcnt(24)
	v_fmac_f64_e32 v[98:99], v[90:91], v[40:41]
	v_fma_f64 v[4:5], v[76:77], v[36:37], -v[4:5]
	v_add_f64 v[100:101], v[96:97], v[98:99]
	ds_read_b128 v[96:99], v46 offset:1280
	v_add_f64 v[2:3], v[2:3], v[4:5]
	v_mul_f64 v[4:5], v[82:83], v[30:31]
	v_fma_f64 v[4:5], v[80:81], v[32:33], -v[4:5]
	v_add_f64 v[2:3], v[2:3], v[4:5]
	v_mul_f64 v[4:5], v[86:87], v[42:43]
	s_waitcnt vmcnt(20) lgkmcnt(1)
	v_mul_f64 v[102:103], v[92:93], v[116:117]
	v_fma_f64 v[4:5], v[84:85], v[44:45], -v[4:5]
	s_waitcnt vmcnt(18)
	v_fmac_f64_e32 v[102:103], v[94:95], v[120:121]
	v_add_f64 v[2:3], v[2:3], v[4:5]
	v_mul_f64 v[4:5], v[90:91], v[38:39]
	v_add_f64 v[104:105], v[100:101], v[102:103]
	ds_read_b128 v[100:103], v46 offset:1296
	s_waitcnt vmcnt(17) lgkmcnt(1)
	v_mul_f64 v[106:107], v[96:97], v[112:113]
	v_fma_f64 v[4:5], v[88:89], v[40:41], -v[4:5]
	s_waitcnt vmcnt(16)
	v_fmac_f64_e32 v[106:107], v[98:99], v[114:115]
	v_add_f64 v[2:3], v[2:3], v[4:5]
	v_mul_f64 v[4:5], v[94:95], v[116:117]
	v_add_f64 v[138:139], v[104:105], v[106:107]
	ds_read_b128 v[104:107], v46 offset:1312
	v_fma_f64 v[4:5], v[92:93], v[120:121], -v[4:5]
	v_add_f64 v[2:3], v[2:3], v[4:5]
	v_mul_f64 v[4:5], v[98:99], v[112:113]
	v_fma_f64 v[4:5], v[96:97], v[114:115], -v[4:5]
	v_add_f64 v[2:3], v[2:3], v[4:5]
	s_waitcnt vmcnt(12) lgkmcnt(1)
	v_mul_f64 v[4:5], v[102:103], v[126:127]
	v_mul_f64 v[140:141], v[100:101], v[126:127]
	s_waitcnt vmcnt(10)
	v_fma_f64 v[4:5], v[100:101], v[128:129], -v[4:5]
	v_fmac_f64_e32 v[140:141], v[102:103], v[128:129]
	v_add_f64 v[2:3], v[2:3], v[4:5]
	s_waitcnt vmcnt(9) lgkmcnt(0)
	v_mul_f64 v[4:5], v[106:107], v[122:123]
	v_add_f64 v[46:47], v[138:139], v[140:141]
	v_mul_f64 v[138:139], v[104:105], v[122:123]
	s_waitcnt vmcnt(8)
	v_fma_f64 v[4:5], v[104:105], v[124:125], -v[4:5]
	v_fmac_f64_e32 v[138:139], v[106:107], v[124:125]
	v_add_f64 v[2:3], v[2:3], v[4:5]
	s_waitcnt vmcnt(6)
	v_mul_f64 v[4:5], v[110:111], v[130:131]
	v_add_f64 v[46:47], v[46:47], v[138:139]
	v_mul_f64 v[138:139], v[108:109], v[130:131]
	s_waitcnt vmcnt(4)
	v_fma_f64 v[4:5], v[108:109], v[132:133], -v[4:5]
	v_fmac_f64_e32 v[138:139], v[110:111], v[132:133]
	v_add_f64 v[2:3], v[2:3], v[4:5]
	v_add_f64 v[46:47], v[46:47], v[138:139]
	s_waitcnt vmcnt(2)
	v_add_f64 v[2:3], v[134:135], -v[2:3]
	s_waitcnt vmcnt(0)
	v_add_f64 v[4:5], v[136:137], -v[46:47]
	buffer_store_dword v3, off, s[0:3], 0 offset:420
	buffer_store_dword v2, off, s[0:3], 0 offset:416
	;; [unrolled: 1-line block ×4, first 2 shown]
	s_and_saveexec_b64 s[4:5], vcc
	s_cbranch_execz .LBB41_217
; %bb.216:
	v_accvgpr_read_b32 v0, a101
	buffer_load_dword v2, v0, s[0:3], 0 offen
	buffer_load_dword v3, v0, s[0:3], 0 offen offset:4
	buffer_load_dword v4, v0, s[0:3], 0 offen offset:8
	;; [unrolled: 1-line block ×3, first 2 shown]
	v_mov_b32_e32 v0, 0
	v_accvgpr_read_b32 v1, a126
	buffer_store_dword v0, off, s[0:3], 0 offset:400
	buffer_store_dword v0, off, s[0:3], 0 offset:404
	;; [unrolled: 1-line block ×4, first 2 shown]
	s_waitcnt vmcnt(4)
	ds_write_b128 v1, v[2:5]
.LBB41_217:
	s_or_b64 exec, exec, s[4:5]
	s_waitcnt lgkmcnt(0)
	; wave barrier
	s_waitcnt lgkmcnt(0)
	buffer_load_dword v2, off, s[0:3], 0 offset:416
	buffer_load_dword v3, off, s[0:3], 0 offset:420
	;; [unrolled: 1-line block ×68, first 2 shown]
	v_mov_b32_e32 v52, 0
	buffer_load_dword v142, off, s[0:3], 0 offset:400
	buffer_load_dword v143, off, s[0:3], 0 offset:404
	;; [unrolled: 1-line block ×3, first 2 shown]
	ds_read_b128 v[46:49], v52 offset:1072
	ds_read_b128 v[54:57], v52 offset:1088
	buffer_load_dword v145, off, s[0:3], 0 offset:412
	ds_read_b128 v[58:61], v52 offset:1104
	ds_read_b128 v[62:65], v52 offset:1120
	;; [unrolled: 1-line block ×3, first 2 shown]
	v_cmp_lt_u32_e32 vcc, 23, v118
	s_waitcnt vmcnt(62) lgkmcnt(4)
	v_mul_f64 v[66:67], v[46:47], v[6:7]
	v_fmac_f64_e32 v[66:67], v[48:49], v[2:3]
	v_add_f64 v[66:67], v[66:67], 0
	v_mul_f64 v[6:7], v[48:49], v[6:7]
	s_waitcnt lgkmcnt(3)
	v_mul_f64 v[68:69], v[54:55], v[10:11]
	v_fmac_f64_e32 v[68:69], v[56:57], v[4:5]
	v_add_f64 v[66:67], v[66:67], v[68:69]
	v_fma_f64 v[2:3], v[46:47], v[2:3], -v[6:7]
	s_waitcnt vmcnt(60) lgkmcnt(2)
	v_mul_f64 v[68:69], v[58:59], v[12:13]
	v_fmac_f64_e32 v[68:69], v[60:61], v[8:9]
	v_add_f64 v[70:71], v[66:67], v[68:69]
	ds_read_b128 v[66:69], v52 offset:1136
	s_waitcnt vmcnt(56) lgkmcnt(2)
	v_mul_f64 v[72:73], v[62:63], v[18:19]
	v_mul_f64 v[6:7], v[56:57], v[10:11]
	s_waitcnt vmcnt(54)
	v_fmac_f64_e32 v[72:73], v[64:65], v[20:21]
	v_add_f64 v[74:75], v[70:71], v[72:73]
	ds_read_b128 v[70:73], v52 offset:1152
	s_waitcnt vmcnt(53) lgkmcnt(1)
	v_mul_f64 v[76:77], v[66:67], v[14:15]
	s_waitcnt vmcnt(52)
	v_fmac_f64_e32 v[76:77], v[68:69], v[16:17]
	v_add_f64 v[78:79], v[74:75], v[76:77]
	ds_read_b128 v[74:77], v52 offset:1168
	s_waitcnt vmcnt(48) lgkmcnt(1)
	;; [unrolled: 6-line block ×4, first 2 shown]
	v_mul_f64 v[88:89], v[78:79], v[34:35]
	s_waitcnt vmcnt(38)
	v_fmac_f64_e32 v[88:89], v[80:81], v[36:37]
	v_add_f64 v[2:3], v[2:3], 0
	v_fma_f64 v[4:5], v[54:55], v[4:5], -v[6:7]
	v_add_f64 v[90:91], v[86:87], v[88:89]
	ds_read_b128 v[86:89], v52 offset:1216
	v_add_f64 v[2:3], v[2:3], v[4:5]
	v_mul_f64 v[4:5], v[60:61], v[12:13]
	v_fma_f64 v[4:5], v[58:59], v[8:9], -v[4:5]
	v_add_f64 v[2:3], v[2:3], v[4:5]
	v_mul_f64 v[4:5], v[64:65], v[18:19]
	s_waitcnt vmcnt(37) lgkmcnt(1)
	v_mul_f64 v[92:93], v[82:83], v[30:31]
	v_fma_f64 v[4:5], v[62:63], v[20:21], -v[4:5]
	s_waitcnt vmcnt(36)
	v_fmac_f64_e32 v[92:93], v[84:85], v[32:33]
	v_add_f64 v[2:3], v[2:3], v[4:5]
	v_mul_f64 v[4:5], v[68:69], v[14:15]
	v_add_f64 v[94:95], v[90:91], v[92:93]
	ds_read_b128 v[90:93], v52 offset:1232
	s_waitcnt vmcnt(32) lgkmcnt(1)
	v_mul_f64 v[96:97], v[86:87], v[42:43]
	v_fma_f64 v[4:5], v[66:67], v[16:17], -v[4:5]
	s_waitcnt vmcnt(30)
	v_fmac_f64_e32 v[96:97], v[88:89], v[44:45]
	v_add_f64 v[2:3], v[2:3], v[4:5]
	v_mul_f64 v[4:5], v[72:73], v[26:27]
	v_add_f64 v[98:99], v[94:95], v[96:97]
	ds_read_b128 v[94:97], v52 offset:1248
	v_fma_f64 v[4:5], v[70:71], v[28:29], -v[4:5]
	v_add_f64 v[2:3], v[2:3], v[4:5]
	v_mul_f64 v[4:5], v[76:77], v[22:23]
	v_fma_f64 v[4:5], v[74:75], v[24:25], -v[4:5]
	s_waitcnt vmcnt(29) lgkmcnt(1)
	v_mul_f64 v[100:101], v[90:91], v[38:39]
	v_add_f64 v[2:3], v[2:3], v[4:5]
	v_mul_f64 v[4:5], v[80:81], v[34:35]
	s_waitcnt vmcnt(28)
	v_fmac_f64_e32 v[100:101], v[92:93], v[40:41]
	v_fma_f64 v[4:5], v[78:79], v[36:37], -v[4:5]
	v_add_f64 v[102:103], v[98:99], v[100:101]
	ds_read_b128 v[98:101], v52 offset:1264
	s_waitcnt vmcnt(24) lgkmcnt(1)
	v_mul_f64 v[104:105], v[94:95], v[122:123]
	v_add_f64 v[2:3], v[2:3], v[4:5]
	v_mul_f64 v[4:5], v[84:85], v[30:31]
	s_waitcnt vmcnt(22)
	v_fmac_f64_e32 v[104:105], v[96:97], v[124:125]
	v_fma_f64 v[4:5], v[82:83], v[32:33], -v[4:5]
	v_add_f64 v[106:107], v[102:103], v[104:105]
	ds_read_b128 v[102:105], v52 offset:1280
	v_add_f64 v[2:3], v[2:3], v[4:5]
	v_mul_f64 v[4:5], v[88:89], v[42:43]
	v_fma_f64 v[4:5], v[86:87], v[44:45], -v[4:5]
	v_add_f64 v[2:3], v[2:3], v[4:5]
	v_mul_f64 v[4:5], v[92:93], v[38:39]
	s_waitcnt vmcnt(21) lgkmcnt(1)
	v_mul_f64 v[108:109], v[98:99], v[50:51]
	v_fma_f64 v[4:5], v[90:91], v[40:41], -v[4:5]
	s_waitcnt vmcnt(20)
	v_fmac_f64_e32 v[108:109], v[100:101], v[120:121]
	v_add_f64 v[2:3], v[2:3], v[4:5]
	v_mul_f64 v[4:5], v[96:97], v[122:123]
	v_add_f64 v[110:111], v[106:107], v[108:109]
	ds_read_b128 v[106:109], v52 offset:1296
	s_waitcnt vmcnt(16) lgkmcnt(1)
	v_mul_f64 v[112:113], v[102:103], v[130:131]
	v_fma_f64 v[4:5], v[94:95], v[124:125], -v[4:5]
	s_waitcnt vmcnt(14)
	v_fmac_f64_e32 v[112:113], v[104:105], v[132:133]
	v_add_f64 v[2:3], v[2:3], v[4:5]
	v_mul_f64 v[4:5], v[100:101], v[50:51]
	v_add_f64 v[146:147], v[110:111], v[112:113]
	ds_read_b128 v[110:113], v52 offset:1312
	v_fma_f64 v[4:5], v[98:99], v[120:121], -v[4:5]
	v_add_f64 v[2:3], v[2:3], v[4:5]
	v_mul_f64 v[4:5], v[104:105], v[130:131]
	v_fma_f64 v[4:5], v[102:103], v[132:133], -v[4:5]
	v_add_f64 v[2:3], v[2:3], v[4:5]
	s_waitcnt vmcnt(13) lgkmcnt(1)
	v_mul_f64 v[4:5], v[108:109], v[126:127]
	v_mul_f64 v[148:149], v[106:107], v[126:127]
	s_waitcnt vmcnt(12)
	v_fma_f64 v[4:5], v[106:107], v[128:129], -v[4:5]
	v_fmac_f64_e32 v[148:149], v[108:109], v[128:129]
	v_add_f64 v[2:3], v[2:3], v[4:5]
	s_waitcnt vmcnt(8) lgkmcnt(0)
	v_mul_f64 v[4:5], v[112:113], v[138:139]
	v_add_f64 v[146:147], v[146:147], v[148:149]
	v_mul_f64 v[148:149], v[110:111], v[138:139]
	s_waitcnt vmcnt(6)
	v_fma_f64 v[4:5], v[110:111], v[140:141], -v[4:5]
	v_fmac_f64_e32 v[148:149], v[112:113], v[140:141]
	v_add_f64 v[2:3], v[2:3], v[4:5]
	s_waitcnt vmcnt(5)
	v_mul_f64 v[4:5], v[116:117], v[134:135]
	v_add_f64 v[146:147], v[146:147], v[148:149]
	v_mul_f64 v[148:149], v[114:115], v[134:135]
	s_waitcnt vmcnt(4)
	v_fma_f64 v[4:5], v[114:115], v[136:137], -v[4:5]
	v_fmac_f64_e32 v[148:149], v[116:117], v[136:137]
	v_add_f64 v[2:3], v[2:3], v[4:5]
	v_add_f64 v[146:147], v[146:147], v[148:149]
	s_waitcnt vmcnt(2)
	v_add_f64 v[2:3], v[142:143], -v[2:3]
	s_waitcnt vmcnt(0)
	v_add_f64 v[4:5], v[144:145], -v[146:147]
	buffer_store_dword v3, off, s[0:3], 0 offset:404
	buffer_store_dword v2, off, s[0:3], 0 offset:400
	;; [unrolled: 1-line block ×4, first 2 shown]
	s_and_saveexec_b64 s[4:5], vcc
	s_cbranch_execz .LBB41_219
; %bb.218:
	v_accvgpr_read_b32 v0, a102
	buffer_load_dword v2, v0, s[0:3], 0 offen
	buffer_load_dword v3, v0, s[0:3], 0 offen offset:4
	buffer_load_dword v4, v0, s[0:3], 0 offen offset:8
	;; [unrolled: 1-line block ×3, first 2 shown]
	v_accvgpr_read_b32 v0, a126
	buffer_store_dword v52, off, s[0:3], 0 offset:384
	buffer_store_dword v52, off, s[0:3], 0 offset:388
	;; [unrolled: 1-line block ×4, first 2 shown]
	s_waitcnt vmcnt(4)
	ds_write_b128 v0, v[2:5]
.LBB41_219:
	s_or_b64 exec, exec, s[4:5]
	s_waitcnt lgkmcnt(0)
	; wave barrier
	s_waitcnt lgkmcnt(0)
	buffer_load_dword v2, off, s[0:3], 0 offset:400
	buffer_load_dword v3, off, s[0:3], 0 offset:404
	;; [unrolled: 1-line block ×72, first 2 shown]
	ds_read_b128 v[54:57], v52 offset:1056
	buffer_load_dword v150, off, s[0:3], 0 offset:384
	buffer_load_dword v151, off, s[0:3], 0 offset:388
	;; [unrolled: 1-line block ×4, first 2 shown]
	ds_read_b128 v[58:61], v52 offset:1072
	ds_read_b128 v[62:65], v52 offset:1088
	;; [unrolled: 1-line block ×3, first 2 shown]
	v_cmp_lt_u32_e32 vcc, 22, v118
	ds_read_b128 v[124:127], v52 offset:1328
	s_waitcnt vmcnt(62) lgkmcnt(4)
	v_mul_f64 v[70:71], v[54:55], v[8:9]
	v_fmac_f64_e32 v[70:71], v[56:57], v[2:3]
	v_add_f64 v[70:71], v[70:71], 0
	v_mul_f64 v[8:9], v[56:57], v[8:9]
	s_waitcnt lgkmcnt(3)
	v_mul_f64 v[72:73], v[58:59], v[10:11]
	v_fmac_f64_e32 v[72:73], v[60:61], v[4:5]
	v_add_f64 v[70:71], v[70:71], v[72:73]
	v_fma_f64 v[2:3], v[54:55], v[2:3], -v[8:9]
	s_waitcnt lgkmcnt(2)
	v_mul_f64 v[72:73], v[62:63], v[12:13]
	v_fmac_f64_e32 v[72:73], v[64:65], v[6:7]
	v_add_f64 v[74:75], v[70:71], v[72:73]
	ds_read_b128 v[70:73], v52 offset:1120
	s_waitcnt vmcnt(60) lgkmcnt(2)
	v_mul_f64 v[76:77], v[66:67], v[18:19]
	v_mul_f64 v[8:9], v[60:61], v[10:11]
	s_waitcnt vmcnt(58)
	v_fmac_f64_e32 v[76:77], v[68:69], v[20:21]
	v_add_f64 v[78:79], v[74:75], v[76:77]
	ds_read_b128 v[74:77], v52 offset:1136
	s_waitcnt vmcnt(57) lgkmcnt(1)
	v_mul_f64 v[80:81], v[70:71], v[14:15]
	s_waitcnt vmcnt(56)
	v_fmac_f64_e32 v[80:81], v[72:73], v[16:17]
	v_add_f64 v[82:83], v[78:79], v[80:81]
	ds_read_b128 v[78:81], v52 offset:1152
	s_waitcnt vmcnt(52) lgkmcnt(1)
	;; [unrolled: 6-line block ×4, first 2 shown]
	v_mul_f64 v[92:93], v[82:83], v[34:35]
	s_waitcnt vmcnt(42)
	v_fmac_f64_e32 v[92:93], v[84:85], v[36:37]
	v_add_f64 v[2:3], v[2:3], 0
	v_fma_f64 v[4:5], v[58:59], v[4:5], -v[8:9]
	v_add_f64 v[94:95], v[90:91], v[92:93]
	ds_read_b128 v[90:93], v52 offset:1200
	s_waitcnt vmcnt(41) lgkmcnt(1)
	v_mul_f64 v[96:97], v[86:87], v[30:31]
	v_add_f64 v[2:3], v[2:3], v[4:5]
	v_mul_f64 v[4:5], v[64:65], v[12:13]
	s_waitcnt vmcnt(40)
	v_fmac_f64_e32 v[96:97], v[88:89], v[32:33]
	v_fma_f64 v[4:5], v[62:63], v[6:7], -v[4:5]
	v_add_f64 v[98:99], v[94:95], v[96:97]
	ds_read_b128 v[94:97], v52 offset:1216
	v_add_f64 v[2:3], v[2:3], v[4:5]
	v_mul_f64 v[4:5], v[68:69], v[18:19]
	v_fma_f64 v[4:5], v[66:67], v[20:21], -v[4:5]
	v_add_f64 v[2:3], v[2:3], v[4:5]
	v_mul_f64 v[4:5], v[72:73], v[14:15]
	s_waitcnt vmcnt(36) lgkmcnt(1)
	v_mul_f64 v[100:101], v[90:91], v[42:43]
	v_fma_f64 v[4:5], v[70:71], v[16:17], -v[4:5]
	s_waitcnt vmcnt(34)
	v_fmac_f64_e32 v[100:101], v[92:93], v[44:45]
	v_add_f64 v[2:3], v[2:3], v[4:5]
	v_mul_f64 v[4:5], v[76:77], v[26:27]
	v_add_f64 v[102:103], v[98:99], v[100:101]
	ds_read_b128 v[98:101], v52 offset:1232
	s_waitcnt vmcnt(33) lgkmcnt(1)
	v_mul_f64 v[104:105], v[94:95], v[38:39]
	v_fma_f64 v[4:5], v[74:75], v[28:29], -v[4:5]
	s_waitcnt vmcnt(32)
	v_fmac_f64_e32 v[104:105], v[96:97], v[40:41]
	v_add_f64 v[2:3], v[2:3], v[4:5]
	v_mul_f64 v[4:5], v[80:81], v[22:23]
	v_add_f64 v[106:107], v[102:103], v[104:105]
	ds_read_b128 v[102:105], v52 offset:1248
	v_fma_f64 v[4:5], v[78:79], v[24:25], -v[4:5]
	v_add_f64 v[2:3], v[2:3], v[4:5]
	v_mul_f64 v[4:5], v[84:85], v[34:35]
	v_fma_f64 v[4:5], v[82:83], v[36:37], -v[4:5]
	s_waitcnt vmcnt(28) lgkmcnt(1)
	v_mul_f64 v[108:109], v[98:99], v[50:51]
	v_add_f64 v[2:3], v[2:3], v[4:5]
	v_mul_f64 v[4:5], v[88:89], v[30:31]
	s_waitcnt vmcnt(26)
	v_fmac_f64_e32 v[108:109], v[100:101], v[128:129]
	v_fma_f64 v[4:5], v[86:87], v[32:33], -v[4:5]
	v_add_f64 v[110:111], v[106:107], v[108:109]
	ds_read_b128 v[106:109], v52 offset:1264
	s_waitcnt vmcnt(25) lgkmcnt(1)
	v_mul_f64 v[112:113], v[102:103], v[46:47]
	v_add_f64 v[2:3], v[2:3], v[4:5]
	v_mul_f64 v[4:5], v[92:93], v[42:43]
	s_waitcnt vmcnt(24)
	v_fmac_f64_e32 v[112:113], v[104:105], v[48:49]
	v_fma_f64 v[4:5], v[90:91], v[44:45], -v[4:5]
	v_add_f64 v[114:115], v[110:111], v[112:113]
	ds_read_b128 v[110:113], v52 offset:1280
	v_add_f64 v[2:3], v[2:3], v[4:5]
	v_mul_f64 v[4:5], v[96:97], v[38:39]
	v_fma_f64 v[4:5], v[94:95], v[40:41], -v[4:5]
	v_add_f64 v[2:3], v[2:3], v[4:5]
	v_mul_f64 v[4:5], v[100:101], v[50:51]
	s_waitcnt vmcnt(20) lgkmcnt(1)
	v_mul_f64 v[116:117], v[106:107], v[134:135]
	v_fma_f64 v[4:5], v[98:99], v[128:129], -v[4:5]
	s_waitcnt vmcnt(18)
	v_fmac_f64_e32 v[116:117], v[108:109], v[136:137]
	v_add_f64 v[2:3], v[2:3], v[4:5]
	v_mul_f64 v[4:5], v[104:105], v[46:47]
	v_add_f64 v[120:121], v[114:115], v[116:117]
	ds_read_b128 v[114:117], v52 offset:1296
	s_waitcnt vmcnt(17) lgkmcnt(1)
	v_mul_f64 v[122:123], v[110:111], v[130:131]
	v_fma_f64 v[4:5], v[102:103], v[48:49], -v[4:5]
	s_waitcnt vmcnt(16)
	v_fmac_f64_e32 v[122:123], v[112:113], v[132:133]
	v_add_f64 v[2:3], v[2:3], v[4:5]
	v_mul_f64 v[4:5], v[108:109], v[134:135]
	v_add_f64 v[154:155], v[120:121], v[122:123]
	ds_read_b128 v[120:123], v52 offset:1312
	v_fma_f64 v[4:5], v[106:107], v[136:137], -v[4:5]
	v_add_f64 v[2:3], v[2:3], v[4:5]
	v_mul_f64 v[4:5], v[112:113], v[130:131]
	v_fma_f64 v[4:5], v[110:111], v[132:133], -v[4:5]
	v_add_f64 v[2:3], v[2:3], v[4:5]
	s_waitcnt vmcnt(12) lgkmcnt(1)
	v_mul_f64 v[4:5], v[116:117], v[142:143]
	v_mul_f64 v[156:157], v[114:115], v[142:143]
	s_waitcnt vmcnt(10)
	v_fma_f64 v[4:5], v[114:115], v[144:145], -v[4:5]
	v_fmac_f64_e32 v[156:157], v[116:117], v[144:145]
	v_add_f64 v[2:3], v[2:3], v[4:5]
	s_waitcnt vmcnt(9) lgkmcnt(0)
	v_mul_f64 v[4:5], v[122:123], v[138:139]
	v_add_f64 v[52:53], v[154:155], v[156:157]
	v_mul_f64 v[154:155], v[120:121], v[138:139]
	s_waitcnt vmcnt(8)
	v_fma_f64 v[4:5], v[120:121], v[140:141], -v[4:5]
	v_fmac_f64_e32 v[154:155], v[122:123], v[140:141]
	v_add_f64 v[2:3], v[2:3], v[4:5]
	s_waitcnt vmcnt(6)
	v_mul_f64 v[4:5], v[126:127], v[146:147]
	v_add_f64 v[52:53], v[52:53], v[154:155]
	v_mul_f64 v[154:155], v[124:125], v[146:147]
	s_waitcnt vmcnt(4)
	v_fma_f64 v[4:5], v[124:125], v[148:149], -v[4:5]
	v_fmac_f64_e32 v[154:155], v[126:127], v[148:149]
	v_add_f64 v[2:3], v[2:3], v[4:5]
	v_add_f64 v[52:53], v[52:53], v[154:155]
	s_waitcnt vmcnt(2)
	v_add_f64 v[2:3], v[150:151], -v[2:3]
	s_waitcnt vmcnt(0)
	v_add_f64 v[4:5], v[152:153], -v[52:53]
	buffer_store_dword v3, off, s[0:3], 0 offset:388
	buffer_store_dword v2, off, s[0:3], 0 offset:384
	;; [unrolled: 1-line block ×4, first 2 shown]
	s_and_saveexec_b64 s[4:5], vcc
	s_cbranch_execz .LBB41_221
; %bb.220:
	v_accvgpr_read_b32 v0, a103
	buffer_load_dword v2, v0, s[0:3], 0 offen
	buffer_load_dword v3, v0, s[0:3], 0 offen offset:4
	buffer_load_dword v4, v0, s[0:3], 0 offen offset:8
	;; [unrolled: 1-line block ×3, first 2 shown]
	v_mov_b32_e32 v0, 0
	v_accvgpr_read_b32 v1, a126
	buffer_store_dword v0, off, s[0:3], 0 offset:368
	buffer_store_dword v0, off, s[0:3], 0 offset:372
	;; [unrolled: 1-line block ×4, first 2 shown]
	s_waitcnt vmcnt(4)
	ds_write_b128 v1, v[2:5]
.LBB41_221:
	s_or_b64 exec, exec, s[4:5]
	s_waitcnt lgkmcnt(0)
	; wave barrier
	s_waitcnt lgkmcnt(0)
	buffer_load_dword v2, off, s[0:3], 0 offset:384
	buffer_load_dword v3, off, s[0:3], 0 offset:388
	;; [unrolled: 1-line block ×76, first 2 shown]
	v_mov_b32_e32 v54, 0
	ds_read_b128 v[56:59], v54 offset:1040
	buffer_load_dword v158, off, s[0:3], 0 offset:368
	buffer_load_dword v159, off, s[0:3], 0 offset:372
	;; [unrolled: 1-line block ×4, first 2 shown]
	ds_read_b128 v[60:63], v54 offset:1056
	ds_read_b128 v[64:67], v54 offset:1072
	;; [unrolled: 1-line block ×4, first 2 shown]
	v_cmp_lt_u32_e32 vcc, 21, v118
	s_waitcnt vmcnt(62) lgkmcnt(4)
	v_mul_f64 v[72:73], v[56:57], v[8:9]
	v_fmac_f64_e32 v[72:73], v[58:59], v[2:3]
	v_add_f64 v[72:73], v[72:73], 0
	v_mul_f64 v[8:9], v[58:59], v[8:9]
	s_waitcnt lgkmcnt(3)
	v_mul_f64 v[74:75], v[60:61], v[10:11]
	v_fmac_f64_e32 v[74:75], v[62:63], v[4:5]
	v_add_f64 v[72:73], v[72:73], v[74:75]
	v_fma_f64 v[2:3], v[56:57], v[2:3], -v[8:9]
	s_waitcnt lgkmcnt(2)
	v_mul_f64 v[74:75], v[64:65], v[12:13]
	v_fmac_f64_e32 v[74:75], v[66:67], v[6:7]
	v_add_f64 v[76:77], v[72:73], v[74:75]
	ds_read_b128 v[72:75], v54 offset:1104
	s_waitcnt lgkmcnt(2)
	v_mul_f64 v[78:79], v[68:69], v[18:19]
	v_mul_f64 v[8:9], v[62:63], v[10:11]
	v_fmac_f64_e32 v[78:79], v[70:71], v[20:21]
	v_add_f64 v[80:81], v[76:77], v[78:79]
	ds_read_b128 v[76:79], v54 offset:1120
	s_waitcnt vmcnt(61) lgkmcnt(1)
	v_mul_f64 v[82:83], v[72:73], v[14:15]
	s_waitcnt vmcnt(60)
	v_fmac_f64_e32 v[82:83], v[74:75], v[16:17]
	v_add_f64 v[84:85], v[80:81], v[82:83]
	ds_read_b128 v[80:83], v54 offset:1136
	s_waitcnt vmcnt(56) lgkmcnt(1)
	v_mul_f64 v[86:87], v[76:77], v[26:27]
	s_waitcnt vmcnt(54)
	;; [unrolled: 6-line block ×4, first 2 shown]
	v_fmac_f64_e32 v[94:95], v[86:87], v[36:37]
	v_add_f64 v[96:97], v[92:93], v[94:95]
	ds_read_b128 v[92:95], v54 offset:1184
	v_add_f64 v[2:3], v[2:3], 0
	v_fma_f64 v[4:5], v[60:61], v[4:5], -v[8:9]
	s_waitcnt vmcnt(45) lgkmcnt(1)
	v_mul_f64 v[98:99], v[88:89], v[30:31]
	v_add_f64 v[2:3], v[2:3], v[4:5]
	v_mul_f64 v[4:5], v[66:67], v[12:13]
	s_waitcnt vmcnt(44)
	v_fmac_f64_e32 v[98:99], v[90:91], v[32:33]
	v_fma_f64 v[4:5], v[64:65], v[6:7], -v[4:5]
	v_add_f64 v[100:101], v[96:97], v[98:99]
	ds_read_b128 v[96:99], v54 offset:1200
	s_waitcnt vmcnt(40) lgkmcnt(1)
	v_mul_f64 v[102:103], v[92:93], v[42:43]
	v_add_f64 v[2:3], v[2:3], v[4:5]
	v_mul_f64 v[4:5], v[70:71], v[18:19]
	s_waitcnt vmcnt(38)
	v_fmac_f64_e32 v[102:103], v[94:95], v[44:45]
	v_fma_f64 v[4:5], v[68:69], v[20:21], -v[4:5]
	v_add_f64 v[104:105], v[100:101], v[102:103]
	ds_read_b128 v[100:103], v54 offset:1216
	v_add_f64 v[2:3], v[2:3], v[4:5]
	v_mul_f64 v[4:5], v[74:75], v[14:15]
	v_fma_f64 v[4:5], v[72:73], v[16:17], -v[4:5]
	v_add_f64 v[2:3], v[2:3], v[4:5]
	v_mul_f64 v[4:5], v[78:79], v[26:27]
	s_waitcnt vmcnt(37) lgkmcnt(1)
	v_mul_f64 v[106:107], v[96:97], v[38:39]
	v_fma_f64 v[4:5], v[76:77], v[28:29], -v[4:5]
	s_waitcnt vmcnt(36)
	v_fmac_f64_e32 v[106:107], v[98:99], v[40:41]
	v_add_f64 v[2:3], v[2:3], v[4:5]
	v_mul_f64 v[4:5], v[82:83], v[22:23]
	v_add_f64 v[108:109], v[104:105], v[106:107]
	ds_read_b128 v[104:107], v54 offset:1232
	s_waitcnt vmcnt(32) lgkmcnt(1)
	v_mul_f64 v[110:111], v[100:101], v[50:51]
	v_fma_f64 v[4:5], v[80:81], v[24:25], -v[4:5]
	s_waitcnt vmcnt(30)
	v_fmac_f64_e32 v[110:111], v[102:103], v[52:53]
	v_add_f64 v[2:3], v[2:3], v[4:5]
	v_mul_f64 v[4:5], v[86:87], v[34:35]
	v_add_f64 v[112:113], v[108:109], v[110:111]
	ds_read_b128 v[108:111], v54 offset:1248
	v_fma_f64 v[4:5], v[84:85], v[36:37], -v[4:5]
	v_add_f64 v[2:3], v[2:3], v[4:5]
	v_mul_f64 v[4:5], v[90:91], v[30:31]
	v_fma_f64 v[4:5], v[88:89], v[32:33], -v[4:5]
	s_waitcnt vmcnt(29) lgkmcnt(1)
	v_mul_f64 v[114:115], v[104:105], v[46:47]
	v_add_f64 v[2:3], v[2:3], v[4:5]
	v_mul_f64 v[4:5], v[94:95], v[42:43]
	s_waitcnt vmcnt(28)
	v_fmac_f64_e32 v[114:115], v[106:107], v[48:49]
	v_fma_f64 v[4:5], v[92:93], v[44:45], -v[4:5]
	v_add_f64 v[120:121], v[112:113], v[114:115]
	ds_read_b128 v[112:115], v54 offset:1264
	s_waitcnt vmcnt(24) lgkmcnt(1)
	v_mul_f64 v[122:123], v[108:109], v[138:139]
	v_add_f64 v[2:3], v[2:3], v[4:5]
	v_mul_f64 v[4:5], v[98:99], v[38:39]
	s_waitcnt vmcnt(22)
	v_fmac_f64_e32 v[122:123], v[110:111], v[140:141]
	v_fma_f64 v[4:5], v[96:97], v[40:41], -v[4:5]
	v_add_f64 v[124:125], v[120:121], v[122:123]
	ds_read_b128 v[120:123], v54 offset:1280
	v_add_f64 v[2:3], v[2:3], v[4:5]
	v_mul_f64 v[4:5], v[102:103], v[50:51]
	v_fma_f64 v[4:5], v[100:101], v[52:53], -v[4:5]
	v_add_f64 v[2:3], v[2:3], v[4:5]
	v_mul_f64 v[4:5], v[106:107], v[46:47]
	s_waitcnt vmcnt(21) lgkmcnt(1)
	v_mul_f64 v[126:127], v[112:113], v[116:117]
	v_fma_f64 v[4:5], v[104:105], v[48:49], -v[4:5]
	s_waitcnt vmcnt(20)
	v_fmac_f64_e32 v[126:127], v[114:115], v[136:137]
	v_add_f64 v[2:3], v[2:3], v[4:5]
	v_mul_f64 v[4:5], v[110:111], v[138:139]
	v_add_f64 v[128:129], v[124:125], v[126:127]
	ds_read_b128 v[124:127], v54 offset:1296
	s_waitcnt vmcnt(16) lgkmcnt(1)
	v_mul_f64 v[130:131], v[120:121], v[146:147]
	v_fma_f64 v[4:5], v[108:109], v[140:141], -v[4:5]
	s_waitcnt vmcnt(14)
	v_fmac_f64_e32 v[130:131], v[122:123], v[148:149]
	v_add_f64 v[2:3], v[2:3], v[4:5]
	v_mul_f64 v[4:5], v[114:115], v[116:117]
	v_add_f64 v[162:163], v[128:129], v[130:131]
	ds_read_b128 v[128:131], v54 offset:1312
	v_fma_f64 v[4:5], v[112:113], v[136:137], -v[4:5]
	v_add_f64 v[2:3], v[2:3], v[4:5]
	v_mul_f64 v[4:5], v[122:123], v[146:147]
	v_fma_f64 v[4:5], v[120:121], v[148:149], -v[4:5]
	v_add_f64 v[2:3], v[2:3], v[4:5]
	s_waitcnt vmcnt(13) lgkmcnt(1)
	v_mul_f64 v[4:5], v[126:127], v[142:143]
	v_mul_f64 v[164:165], v[124:125], v[142:143]
	s_waitcnt vmcnt(12)
	v_fma_f64 v[4:5], v[124:125], v[144:145], -v[4:5]
	v_fmac_f64_e32 v[164:165], v[126:127], v[144:145]
	v_add_f64 v[2:3], v[2:3], v[4:5]
	s_waitcnt vmcnt(8) lgkmcnt(0)
	v_mul_f64 v[4:5], v[130:131], v[154:155]
	v_add_f64 v[162:163], v[162:163], v[164:165]
	v_mul_f64 v[164:165], v[128:129], v[154:155]
	s_waitcnt vmcnt(6)
	v_fma_f64 v[4:5], v[128:129], v[156:157], -v[4:5]
	v_fmac_f64_e32 v[164:165], v[130:131], v[156:157]
	v_add_f64 v[2:3], v[2:3], v[4:5]
	s_waitcnt vmcnt(5)
	v_mul_f64 v[4:5], v[134:135], v[150:151]
	v_add_f64 v[162:163], v[162:163], v[164:165]
	v_mul_f64 v[164:165], v[132:133], v[150:151]
	s_waitcnt vmcnt(4)
	v_fma_f64 v[4:5], v[132:133], v[152:153], -v[4:5]
	v_fmac_f64_e32 v[164:165], v[134:135], v[152:153]
	v_add_f64 v[2:3], v[2:3], v[4:5]
	v_add_f64 v[162:163], v[162:163], v[164:165]
	s_waitcnt vmcnt(2)
	v_add_f64 v[2:3], v[158:159], -v[2:3]
	s_waitcnt vmcnt(0)
	v_add_f64 v[4:5], v[160:161], -v[162:163]
	buffer_store_dword v3, off, s[0:3], 0 offset:372
	buffer_store_dword v2, off, s[0:3], 0 offset:368
	;; [unrolled: 1-line block ×4, first 2 shown]
	s_and_saveexec_b64 s[4:5], vcc
	s_cbranch_execz .LBB41_223
; %bb.222:
	v_accvgpr_read_b32 v0, a104
	buffer_load_dword v2, v0, s[0:3], 0 offen
	buffer_load_dword v3, v0, s[0:3], 0 offen offset:4
	buffer_load_dword v4, v0, s[0:3], 0 offen offset:8
	;; [unrolled: 1-line block ×3, first 2 shown]
	v_accvgpr_read_b32 v0, a126
	buffer_store_dword v54, off, s[0:3], 0 offset:352
	buffer_store_dword v54, off, s[0:3], 0 offset:356
	;; [unrolled: 1-line block ×4, first 2 shown]
	s_waitcnt vmcnt(4)
	ds_write_b128 v0, v[2:5]
.LBB41_223:
	s_or_b64 exec, exec, s[4:5]
	s_waitcnt lgkmcnt(0)
	; wave barrier
	s_waitcnt lgkmcnt(0)
	buffer_load_dword v2, off, s[0:3], 0 offset:368
	buffer_load_dword v3, off, s[0:3], 0 offset:372
	;; [unrolled: 1-line block ×76, first 2 shown]
	ds_read_b128 v[56:59], v54 offset:1024
	buffer_load_dword v163, off, s[0:3], 0 offset:684
	buffer_load_dword v162, off, s[0:3], 0 offset:680
	;; [unrolled: 1-line block ×8, first 2 shown]
	ds_read_b128 v[60:63], v54 offset:1040
	ds_read_b128 v[64:67], v54 offset:1056
	ds_read_b128 v[68:71], v54 offset:1072
	v_cmp_lt_u32_e32 vcc, 20, v118
	ds_read_b128 v[136:139], v54 offset:1328
	s_waitcnt vmcnt(62) lgkmcnt(4)
	v_mul_f64 v[72:73], v[56:57], v[8:9]
	v_fmac_f64_e32 v[72:73], v[58:59], v[2:3]
	v_add_f64 v[72:73], v[72:73], 0
	v_mul_f64 v[8:9], v[58:59], v[8:9]
	s_waitcnt lgkmcnt(3)
	v_mul_f64 v[74:75], v[60:61], v[10:11]
	v_fmac_f64_e32 v[74:75], v[62:63], v[4:5]
	v_add_f64 v[72:73], v[72:73], v[74:75]
	v_fma_f64 v[2:3], v[56:57], v[2:3], -v[8:9]
	s_waitcnt lgkmcnt(2)
	v_mul_f64 v[74:75], v[64:65], v[12:13]
	v_fmac_f64_e32 v[74:75], v[66:67], v[6:7]
	v_add_f64 v[76:77], v[72:73], v[74:75]
	ds_read_b128 v[72:75], v54 offset:1088
	v_mul_f64 v[8:9], v[62:63], v[10:11]
	v_add_f64 v[2:3], v[2:3], 0
	s_waitcnt lgkmcnt(2)
	v_mul_f64 v[78:79], v[68:69], v[18:19]
	v_fma_f64 v[4:5], v[60:61], v[4:5], -v[8:9]
	v_fmac_f64_e32 v[78:79], v[70:71], v[20:21]
	v_add_f64 v[80:81], v[76:77], v[78:79]
	ds_read_b128 v[76:79], v54 offset:1104
	s_waitcnt lgkmcnt(1)
	v_mul_f64 v[82:83], v[72:73], v[14:15]
	v_fmac_f64_e32 v[82:83], v[74:75], v[16:17]
	v_add_f64 v[84:85], v[80:81], v[82:83]
	ds_read_b128 v[80:83], v54 offset:1120
	s_waitcnt vmcnt(58) lgkmcnt(1)
	v_mul_f64 v[86:87], v[76:77], v[26:27]
	s_waitcnt vmcnt(56)
	v_fmac_f64_e32 v[86:87], v[78:79], v[28:29]
	v_add_f64 v[88:89], v[84:85], v[86:87]
	ds_read_b128 v[84:87], v54 offset:1136
	s_waitcnt lgkmcnt(1)
	v_mul_f64 v[90:91], v[80:81], v[22:23]
	v_fmac_f64_e32 v[90:91], v[82:83], v[24:25]
	v_add_f64 v[92:93], v[88:89], v[90:91]
	ds_read_b128 v[88:91], v54 offset:1152
	s_waitcnt vmcnt(50) lgkmcnt(1)
	v_mul_f64 v[94:95], v[84:85], v[34:35]
	s_waitcnt vmcnt(48)
	v_fmac_f64_e32 v[94:95], v[86:87], v[36:37]
	v_add_f64 v[96:97], v[92:93], v[94:95]
	ds_read_b128 v[92:95], v54 offset:1168
	s_waitcnt lgkmcnt(1)
	v_mul_f64 v[98:99], v[88:89], v[30:31]
	v_fmac_f64_e32 v[98:99], v[90:91], v[32:33]
	v_add_f64 v[100:101], v[96:97], v[98:99]
	ds_read_b128 v[96:99], v54 offset:1184
	v_add_f64 v[2:3], v[2:3], v[4:5]
	v_mul_f64 v[4:5], v[66:67], v[12:13]
	v_fma_f64 v[4:5], v[64:65], v[6:7], -v[4:5]
	s_waitcnt vmcnt(42) lgkmcnt(1)
	v_mul_f64 v[102:103], v[92:93], v[42:43]
	v_add_f64 v[2:3], v[2:3], v[4:5]
	v_mul_f64 v[4:5], v[70:71], v[18:19]
	s_waitcnt vmcnt(40)
	v_fmac_f64_e32 v[102:103], v[94:95], v[44:45]
	v_fma_f64 v[4:5], v[68:69], v[20:21], -v[4:5]
	v_add_f64 v[104:105], v[100:101], v[102:103]
	ds_read_b128 v[100:103], v54 offset:1200
	s_waitcnt lgkmcnt(1)
	v_mul_f64 v[106:107], v[96:97], v[38:39]
	v_add_f64 v[2:3], v[2:3], v[4:5]
	v_mul_f64 v[4:5], v[74:75], v[14:15]
	v_fmac_f64_e32 v[106:107], v[98:99], v[40:41]
	v_fma_f64 v[4:5], v[72:73], v[16:17], -v[4:5]
	v_add_f64 v[108:109], v[104:105], v[106:107]
	ds_read_b128 v[104:107], v54 offset:1216
	v_add_f64 v[2:3], v[2:3], v[4:5]
	v_mul_f64 v[4:5], v[78:79], v[26:27]
	v_fma_f64 v[4:5], v[76:77], v[28:29], -v[4:5]
	v_add_f64 v[2:3], v[2:3], v[4:5]
	v_mul_f64 v[4:5], v[82:83], v[22:23]
	s_waitcnt vmcnt(34) lgkmcnt(1)
	v_mul_f64 v[110:111], v[100:101], v[50:51]
	v_fma_f64 v[4:5], v[80:81], v[24:25], -v[4:5]
	s_waitcnt vmcnt(32)
	v_fmac_f64_e32 v[110:111], v[102:103], v[52:53]
	v_add_f64 v[2:3], v[2:3], v[4:5]
	v_mul_f64 v[4:5], v[86:87], v[34:35]
	v_add_f64 v[112:113], v[108:109], v[110:111]
	ds_read_b128 v[108:111], v54 offset:1232
	s_waitcnt lgkmcnt(1)
	v_mul_f64 v[114:115], v[104:105], v[46:47]
	v_fma_f64 v[4:5], v[84:85], v[36:37], -v[4:5]
	v_fmac_f64_e32 v[114:115], v[106:107], v[48:49]
	v_add_f64 v[2:3], v[2:3], v[4:5]
	v_mul_f64 v[4:5], v[90:91], v[30:31]
	v_add_f64 v[120:121], v[112:113], v[114:115]
	ds_read_b128 v[112:115], v54 offset:1248
	v_fma_f64 v[4:5], v[88:89], v[32:33], -v[4:5]
	v_add_f64 v[2:3], v[2:3], v[4:5]
	v_mul_f64 v[4:5], v[94:95], v[42:43]
	v_fma_f64 v[4:5], v[92:93], v[44:45], -v[4:5]
	s_waitcnt vmcnt(26) lgkmcnt(1)
	v_mul_f64 v[122:123], v[108:109], v[142:143]
	v_add_f64 v[2:3], v[2:3], v[4:5]
	v_mul_f64 v[4:5], v[98:99], v[38:39]
	s_waitcnt vmcnt(24)
	v_fmac_f64_e32 v[122:123], v[110:111], v[144:145]
	v_fma_f64 v[4:5], v[96:97], v[40:41], -v[4:5]
	v_add_f64 v[124:125], v[120:121], v[122:123]
	ds_read_b128 v[120:123], v54 offset:1264
	s_waitcnt lgkmcnt(1)
	v_mul_f64 v[126:127], v[112:113], v[116:117]
	v_add_f64 v[2:3], v[2:3], v[4:5]
	v_mul_f64 v[4:5], v[102:103], v[50:51]
	v_fmac_f64_e32 v[126:127], v[114:115], v[140:141]
	v_fma_f64 v[4:5], v[100:101], v[52:53], -v[4:5]
	v_add_f64 v[128:129], v[124:125], v[126:127]
	ds_read_b128 v[124:127], v54 offset:1280
	v_add_f64 v[2:3], v[2:3], v[4:5]
	v_mul_f64 v[4:5], v[106:107], v[46:47]
	v_fma_f64 v[4:5], v[104:105], v[48:49], -v[4:5]
	v_add_f64 v[2:3], v[2:3], v[4:5]
	v_mul_f64 v[4:5], v[110:111], v[142:143]
	s_waitcnt vmcnt(18) lgkmcnt(1)
	v_mul_f64 v[130:131], v[120:121], v[150:151]
	v_fma_f64 v[4:5], v[108:109], v[144:145], -v[4:5]
	s_waitcnt vmcnt(16)
	v_fmac_f64_e32 v[130:131], v[122:123], v[152:153]
	v_add_f64 v[2:3], v[2:3], v[4:5]
	v_mul_f64 v[4:5], v[114:115], v[116:117]
	v_add_f64 v[132:133], v[128:129], v[130:131]
	ds_read_b128 v[128:131], v54 offset:1296
	s_waitcnt lgkmcnt(1)
	v_mul_f64 v[134:135], v[124:125], v[146:147]
	v_fma_f64 v[4:5], v[112:113], v[140:141], -v[4:5]
	v_fmac_f64_e32 v[134:135], v[126:127], v[148:149]
	v_add_f64 v[2:3], v[2:3], v[4:5]
	v_mul_f64 v[4:5], v[122:123], v[150:151]
	v_add_f64 v[170:171], v[132:133], v[134:135]
	ds_read_b128 v[132:135], v54 offset:1312
	v_fma_f64 v[4:5], v[120:121], v[152:153], -v[4:5]
	v_add_f64 v[2:3], v[2:3], v[4:5]
	v_mul_f64 v[4:5], v[126:127], v[146:147]
	v_fma_f64 v[4:5], v[124:125], v[148:149], -v[4:5]
	v_add_f64 v[2:3], v[2:3], v[4:5]
	s_waitcnt vmcnt(10) lgkmcnt(1)
	v_mul_f64 v[4:5], v[130:131], v[158:159]
	v_mul_f64 v[172:173], v[128:129], v[158:159]
	s_waitcnt vmcnt(8)
	v_fma_f64 v[4:5], v[128:129], v[160:161], -v[4:5]
	v_fmac_f64_e32 v[172:173], v[130:131], v[160:161]
	v_add_f64 v[2:3], v[2:3], v[4:5]
	s_waitcnt lgkmcnt(0)
	v_mul_f64 v[4:5], v[134:135], v[154:155]
	v_add_f64 v[54:55], v[170:171], v[172:173]
	v_mul_f64 v[170:171], v[132:133], v[154:155]
	v_fma_f64 v[4:5], v[132:133], v[156:157], -v[4:5]
	v_fmac_f64_e32 v[170:171], v[134:135], v[156:157]
	v_add_f64 v[2:3], v[2:3], v[4:5]
	s_waitcnt vmcnt(6)
	v_mul_f64 v[4:5], v[138:139], v[162:163]
	v_add_f64 v[54:55], v[54:55], v[170:171]
	v_mul_f64 v[170:171], v[136:137], v[162:163]
	s_waitcnt vmcnt(4)
	v_fma_f64 v[4:5], v[136:137], v[164:165], -v[4:5]
	v_fmac_f64_e32 v[170:171], v[138:139], v[164:165]
	v_add_f64 v[2:3], v[2:3], v[4:5]
	v_add_f64 v[54:55], v[54:55], v[170:171]
	s_waitcnt vmcnt(2)
	v_add_f64 v[2:3], v[166:167], -v[2:3]
	s_waitcnt vmcnt(0)
	v_add_f64 v[4:5], v[168:169], -v[54:55]
	buffer_store_dword v3, off, s[0:3], 0 offset:356
	buffer_store_dword v2, off, s[0:3], 0 offset:352
	;; [unrolled: 1-line block ×4, first 2 shown]
	s_and_saveexec_b64 s[4:5], vcc
	s_cbranch_execz .LBB41_225
; %bb.224:
	v_accvgpr_read_b32 v0, a105
	buffer_load_dword v2, v0, s[0:3], 0 offen
	buffer_load_dword v3, v0, s[0:3], 0 offen offset:4
	buffer_load_dword v4, v0, s[0:3], 0 offen offset:8
	;; [unrolled: 1-line block ×3, first 2 shown]
	v_mov_b32_e32 v0, 0
	v_accvgpr_read_b32 v1, a126
	buffer_store_dword v0, off, s[0:3], 0 offset:336
	buffer_store_dword v0, off, s[0:3], 0 offset:340
	;; [unrolled: 1-line block ×4, first 2 shown]
	s_waitcnt vmcnt(4)
	ds_write_b128 v1, v[2:5]
.LBB41_225:
	s_or_b64 exec, exec, s[4:5]
	s_waitcnt lgkmcnt(0)
	; wave barrier
	s_waitcnt lgkmcnt(0)
	buffer_load_dword v4, off, s[0:3], 0 offset:336
	buffer_load_dword v5, off, s[0:3], 0 offset:340
	;; [unrolled: 1-line block ×84, first 2 shown]
	v_mov_b32_e32 v86, 0
	ds_read_b128 v[66:69], v86 offset:1008
	buffer_load_dword v175, off, s[0:3], 0 offset:684
	buffer_load_dword v174, off, s[0:3], 0 offset:680
	buffer_load_dword v177, off, s[0:3], 0 offset:676
	buffer_load_dword v176, off, s[0:3], 0 offset:672
	ds_read_b128 v[70:73], v86 offset:1024
	ds_read_b128 v[74:77], v86 offset:1040
	;; [unrolled: 1-line block ×4, first 2 shown]
	v_cmp_lt_u32_e32 vcc, 19, v118
	s_waitcnt vmcnt(62) lgkmcnt(4)
	v_mul_f64 v[82:83], v[66:67], v[12:13]
	v_fmac_f64_e32 v[82:83], v[68:69], v[6:7]
	s_waitcnt lgkmcnt(3)
	v_mul_f64 v[84:85], v[70:71], v[14:15]
	v_add_f64 v[82:83], v[82:83], 0
	v_fmac_f64_e32 v[84:85], v[72:73], v[8:9]
	v_add_f64 v[82:83], v[82:83], v[84:85]
	s_waitcnt lgkmcnt(2)
	v_mul_f64 v[84:85], v[74:75], v[16:17]
	v_fmac_f64_e32 v[84:85], v[76:77], v[10:11]
	v_add_f64 v[88:89], v[82:83], v[84:85]
	ds_read_b128 v[82:85], v86 offset:1072
	v_mul_f64 v[12:13], v[68:69], v[12:13]
	s_waitcnt lgkmcnt(2)
	v_mul_f64 v[90:91], v[78:79], v[22:23]
	v_fma_f64 v[6:7], v[66:67], v[6:7], -v[12:13]
	v_fmac_f64_e32 v[90:91], v[80:81], v[24:25]
	v_add_f64 v[92:93], v[88:89], v[90:91]
	ds_read_b128 v[88:91], v86 offset:1088
	s_waitcnt lgkmcnt(1)
	v_mul_f64 v[94:95], v[82:83], v[18:19]
	v_fmac_f64_e32 v[94:95], v[84:85], v[20:21]
	v_add_f64 v[96:97], v[92:93], v[94:95]
	ds_read_b128 v[92:95], v86 offset:1104
	s_waitcnt vmcnt(58) lgkmcnt(1)
	v_mul_f64 v[98:99], v[88:89], v[30:31]
	s_waitcnt vmcnt(56)
	v_fmac_f64_e32 v[98:99], v[90:91], v[32:33]
	v_add_f64 v[100:101], v[96:97], v[98:99]
	ds_read_b128 v[96:99], v86 offset:1120
	s_waitcnt lgkmcnt(1)
	v_mul_f64 v[102:103], v[92:93], v[26:27]
	v_fmac_f64_e32 v[102:103], v[94:95], v[28:29]
	v_add_f64 v[104:105], v[100:101], v[102:103]
	ds_read_b128 v[100:103], v86 offset:1136
	s_waitcnt vmcnt(50) lgkmcnt(1)
	v_mul_f64 v[106:107], v[96:97], v[38:39]
	s_waitcnt vmcnt(48)
	v_fmac_f64_e32 v[106:107], v[98:99], v[40:41]
	v_add_f64 v[108:109], v[104:105], v[106:107]
	ds_read_b128 v[104:107], v86 offset:1152
	s_waitcnt lgkmcnt(1)
	v_mul_f64 v[110:111], v[100:101], v[34:35]
	v_fmac_f64_e32 v[110:111], v[102:103], v[36:37]
	v_mul_f64 v[12:13], v[72:73], v[14:15]
	v_add_f64 v[112:113], v[108:109], v[110:111]
	ds_read_b128 v[108:111], v86 offset:1168
	s_waitcnt vmcnt(42) lgkmcnt(1)
	v_mul_f64 v[114:115], v[104:105], v[46:47]
	v_add_f64 v[6:7], v[6:7], 0
	v_fma_f64 v[8:9], v[70:71], v[8:9], -v[12:13]
	s_waitcnt vmcnt(40)
	v_fmac_f64_e32 v[114:115], v[106:107], v[48:49]
	v_add_f64 v[6:7], v[6:7], v[8:9]
	v_mul_f64 v[8:9], v[76:77], v[16:17]
	v_add_f64 v[120:121], v[112:113], v[114:115]
	ds_read_b128 v[112:115], v86 offset:1184
	v_fma_f64 v[8:9], v[74:75], v[10:11], -v[8:9]
	v_add_f64 v[6:7], v[6:7], v[8:9]
	v_mul_f64 v[8:9], v[80:81], v[22:23]
	v_fma_f64 v[8:9], v[78:79], v[24:25], -v[8:9]
	s_waitcnt lgkmcnt(1)
	v_mul_f64 v[122:123], v[108:109], v[42:43]
	v_add_f64 v[6:7], v[6:7], v[8:9]
	v_mul_f64 v[8:9], v[84:85], v[18:19]
	v_fmac_f64_e32 v[122:123], v[110:111], v[44:45]
	v_fma_f64 v[8:9], v[82:83], v[20:21], -v[8:9]
	v_add_f64 v[124:125], v[120:121], v[122:123]
	ds_read_b128 v[120:123], v86 offset:1200
	s_waitcnt vmcnt(34) lgkmcnt(1)
	v_mul_f64 v[126:127], v[112:113], v[54:55]
	v_add_f64 v[6:7], v[6:7], v[8:9]
	v_mul_f64 v[8:9], v[90:91], v[30:31]
	s_waitcnt vmcnt(32)
	v_fmac_f64_e32 v[126:127], v[114:115], v[56:57]
	v_fma_f64 v[8:9], v[88:89], v[32:33], -v[8:9]
	v_add_f64 v[128:129], v[124:125], v[126:127]
	ds_read_b128 v[124:127], v86 offset:1216
	v_add_f64 v[6:7], v[6:7], v[8:9]
	v_mul_f64 v[8:9], v[94:95], v[26:27]
	v_fma_f64 v[8:9], v[92:93], v[28:29], -v[8:9]
	v_add_f64 v[6:7], v[6:7], v[8:9]
	v_mul_f64 v[8:9], v[98:99], v[38:39]
	s_waitcnt lgkmcnt(1)
	v_mul_f64 v[130:131], v[120:121], v[50:51]
	v_fma_f64 v[8:9], v[96:97], v[40:41], -v[8:9]
	v_fmac_f64_e32 v[130:131], v[122:123], v[52:53]
	v_add_f64 v[6:7], v[6:7], v[8:9]
	v_mul_f64 v[8:9], v[102:103], v[34:35]
	v_add_f64 v[132:133], v[128:129], v[130:131]
	ds_read_b128 v[128:131], v86 offset:1232
	s_waitcnt vmcnt(26) lgkmcnt(1)
	v_mul_f64 v[134:135], v[124:125], v[62:63]
	v_fma_f64 v[8:9], v[100:101], v[36:37], -v[8:9]
	s_waitcnt vmcnt(24)
	v_fmac_f64_e32 v[134:135], v[126:127], v[64:65]
	v_add_f64 v[6:7], v[6:7], v[8:9]
	v_mul_f64 v[8:9], v[106:107], v[46:47]
	v_add_f64 v[136:137], v[132:133], v[134:135]
	ds_read_b128 v[132:135], v86 offset:1248
	v_fma_f64 v[8:9], v[104:105], v[48:49], -v[8:9]
	v_add_f64 v[6:7], v[6:7], v[8:9]
	v_mul_f64 v[8:9], v[110:111], v[42:43]
	v_fma_f64 v[8:9], v[108:109], v[44:45], -v[8:9]
	s_waitcnt lgkmcnt(1)
	v_mul_f64 v[138:139], v[128:129], v[58:59]
	v_add_f64 v[6:7], v[6:7], v[8:9]
	v_mul_f64 v[8:9], v[114:115], v[54:55]
	v_fmac_f64_e32 v[138:139], v[130:131], v[60:61]
	v_fma_f64 v[8:9], v[112:113], v[56:57], -v[8:9]
	v_add_f64 v[140:141], v[136:137], v[138:139]
	ds_read_b128 v[136:139], v86 offset:1264
	s_waitcnt vmcnt(18) lgkmcnt(1)
	v_mul_f64 v[142:143], v[132:133], v[158:159]
	v_add_f64 v[6:7], v[6:7], v[8:9]
	v_mul_f64 v[8:9], v[122:123], v[50:51]
	s_waitcnt vmcnt(16)
	v_fmac_f64_e32 v[142:143], v[134:135], v[160:161]
	v_fma_f64 v[8:9], v[120:121], v[52:53], -v[8:9]
	v_add_f64 v[144:145], v[140:141], v[142:143]
	ds_read_b128 v[140:143], v86 offset:1280
	v_add_f64 v[6:7], v[6:7], v[8:9]
	v_mul_f64 v[8:9], v[126:127], v[62:63]
	v_fma_f64 v[8:9], v[124:125], v[64:65], -v[8:9]
	v_add_f64 v[6:7], v[6:7], v[8:9]
	v_mul_f64 v[8:9], v[130:131], v[58:59]
	s_waitcnt lgkmcnt(1)
	v_mul_f64 v[146:147], v[136:137], v[116:117]
	v_fma_f64 v[8:9], v[128:129], v[60:61], -v[8:9]
	v_fmac_f64_e32 v[146:147], v[138:139], v[156:157]
	v_add_f64 v[6:7], v[6:7], v[8:9]
	v_mul_f64 v[8:9], v[134:135], v[158:159]
	v_add_f64 v[148:149], v[144:145], v[146:147]
	ds_read_b128 v[144:147], v86 offset:1296
	s_waitcnt vmcnt(10) lgkmcnt(1)
	v_mul_f64 v[150:151], v[140:141], v[166:167]
	v_fma_f64 v[8:9], v[132:133], v[160:161], -v[8:9]
	s_waitcnt vmcnt(8)
	v_fmac_f64_e32 v[150:151], v[142:143], v[168:169]
	v_add_f64 v[6:7], v[6:7], v[8:9]
	v_mul_f64 v[8:9], v[138:139], v[116:117]
	v_add_f64 v[178:179], v[148:149], v[150:151]
	ds_read_b128 v[148:151], v86 offset:1312
	v_fma_f64 v[8:9], v[136:137], v[156:157], -v[8:9]
	v_add_f64 v[6:7], v[6:7], v[8:9]
	v_mul_f64 v[8:9], v[142:143], v[166:167]
	v_fma_f64 v[8:9], v[140:141], v[168:169], -v[8:9]
	v_add_f64 v[6:7], v[6:7], v[8:9]
	s_waitcnt lgkmcnt(1)
	v_mul_f64 v[8:9], v[146:147], v[162:163]
	v_mul_f64 v[180:181], v[144:145], v[162:163]
	v_fma_f64 v[8:9], v[144:145], v[164:165], -v[8:9]
	v_fmac_f64_e32 v[180:181], v[146:147], v[164:165]
	v_add_f64 v[6:7], v[6:7], v[8:9]
	s_waitcnt vmcnt(6) lgkmcnt(0)
	v_mul_f64 v[8:9], v[150:151], v[170:171]
	v_add_f64 v[178:179], v[178:179], v[180:181]
	v_mul_f64 v[180:181], v[148:149], v[170:171]
	s_waitcnt vmcnt(4)
	v_fma_f64 v[8:9], v[148:149], v[172:173], -v[8:9]
	v_fmac_f64_e32 v[180:181], v[150:151], v[172:173]
	v_add_f64 v[6:7], v[6:7], v[8:9]
	s_waitcnt vmcnt(2)
	v_mul_f64 v[8:9], v[154:155], v[174:175]
	v_add_f64 v[178:179], v[178:179], v[180:181]
	v_mul_f64 v[180:181], v[152:153], v[174:175]
	s_waitcnt vmcnt(0)
	v_fma_f64 v[8:9], v[152:153], v[176:177], -v[8:9]
	v_fmac_f64_e32 v[180:181], v[154:155], v[176:177]
	v_add_f64 v[6:7], v[6:7], v[8:9]
	v_add_f64 v[178:179], v[178:179], v[180:181]
	v_add_f64 v[4:5], v[4:5], -v[6:7]
	v_add_f64 v[2:3], v[2:3], -v[178:179]
	buffer_store_dword v5, off, s[0:3], 0 offset:340
	buffer_store_dword v4, off, s[0:3], 0 offset:336
	;; [unrolled: 1-line block ×4, first 2 shown]
	s_and_saveexec_b64 s[4:5], vcc
	s_cbranch_execz .LBB41_227
; %bb.226:
	v_accvgpr_read_b32 v0, a106
	buffer_load_dword v2, v0, s[0:3], 0 offen
	buffer_load_dword v3, v0, s[0:3], 0 offen offset:4
	buffer_load_dword v4, v0, s[0:3], 0 offen offset:8
	;; [unrolled: 1-line block ×3, first 2 shown]
	v_accvgpr_read_b32 v0, a126
	buffer_store_dword v86, off, s[0:3], 0 offset:320
	buffer_store_dword v86, off, s[0:3], 0 offset:324
	;; [unrolled: 1-line block ×4, first 2 shown]
	s_waitcnt vmcnt(4)
	ds_write_b128 v0, v[2:5]
.LBB41_227:
	s_or_b64 exec, exec, s[4:5]
	s_waitcnt lgkmcnt(0)
	; wave barrier
	s_waitcnt lgkmcnt(0)
	ds_read_b128 v[14:17], v86 offset:992
	ds_read_b128 v[10:13], v86 offset:1008
	;; [unrolled: 1-line block ×4, first 2 shown]
	buffer_load_dword v20, off, s[0:3], 0 offset:320
	buffer_load_dword v21, off, s[0:3], 0 offset:324
	;; [unrolled: 1-line block ×92, first 2 shown]
	s_waitcnt vmcnt(62) lgkmcnt(3)
	v_mul_f64 v[88:89], v[14:15], v[28:29]
	v_fmac_f64_e32 v[88:89], v[16:17], v[22:23]
	s_waitcnt lgkmcnt(2)
	v_mul_f64 v[90:91], v[10:11], v[30:31]
	v_add_f64 v[88:89], v[88:89], 0
	v_fmac_f64_e32 v[90:91], v[12:13], v[24:25]
	v_add_f64 v[88:89], v[88:89], v[90:91]
	s_waitcnt lgkmcnt(1)
	v_mul_f64 v[90:91], v[6:7], v[32:33]
	v_fmac_f64_e32 v[90:91], v[8:9], v[26:27]
	v_add_f64 v[92:93], v[88:89], v[90:91]
	ds_read_b128 v[88:91], v86 offset:1056
	v_mul_f64 v[16:17], v[16:17], v[28:29]
	v_fma_f64 v[14:15], v[14:15], v[22:23], -v[16:17]
	s_waitcnt lgkmcnt(1)
	v_mul_f64 v[94:95], v[2:3], v[38:39]
	v_mul_f64 v[12:13], v[12:13], v[30:31]
	v_fmac_f64_e32 v[94:95], v[4:5], v[40:41]
	v_add_f64 v[96:97], v[92:93], v[94:95]
	ds_read_b128 v[92:95], v86 offset:1072
	s_waitcnt lgkmcnt(1)
	v_mul_f64 v[98:99], v[88:89], v[34:35]
	v_fmac_f64_e32 v[98:99], v[90:91], v[36:37]
	v_add_f64 v[100:101], v[96:97], v[98:99]
	ds_read_b128 v[96:99], v86 offset:1088
	s_waitcnt lgkmcnt(1)
	v_mul_f64 v[102:103], v[92:93], v[46:47]
	s_waitcnt vmcnt(60)
	v_fmac_f64_e32 v[102:103], v[94:95], v[48:49]
	v_add_f64 v[104:105], v[100:101], v[102:103]
	ds_read_b128 v[100:103], v86 offset:1104
	s_waitcnt lgkmcnt(1)
	v_mul_f64 v[106:107], v[96:97], v[42:43]
	v_fmac_f64_e32 v[106:107], v[98:99], v[44:45]
	v_add_f64 v[108:109], v[104:105], v[106:107]
	ds_read_b128 v[104:107], v86 offset:1120
	s_waitcnt vmcnt(54) lgkmcnt(1)
	v_mul_f64 v[110:111], v[100:101], v[54:55]
	s_waitcnt vmcnt(52)
	v_fmac_f64_e32 v[110:111], v[102:103], v[56:57]
	v_add_f64 v[112:113], v[108:109], v[110:111]
	ds_read_b128 v[108:111], v86 offset:1136
	s_waitcnt lgkmcnt(1)
	v_mul_f64 v[114:115], v[104:105], v[50:51]
	v_fmac_f64_e32 v[114:115], v[106:107], v[52:53]
	v_add_f64 v[120:121], v[112:113], v[114:115]
	ds_read_b128 v[112:115], v86 offset:1152
	s_waitcnt vmcnt(46) lgkmcnt(1)
	v_mul_f64 v[122:123], v[108:109], v[62:63]
	s_waitcnt vmcnt(44)
	v_fmac_f64_e32 v[122:123], v[110:111], v[64:65]
	v_add_f64 v[124:125], v[120:121], v[122:123]
	ds_read_b128 v[120:123], v86 offset:1168
	s_waitcnt lgkmcnt(1)
	v_mul_f64 v[126:127], v[112:113], v[58:59]
	v_fmac_f64_e32 v[126:127], v[114:115], v[60:61]
	v_add_f64 v[14:15], v[14:15], 0
	v_fma_f64 v[10:11], v[10:11], v[24:25], -v[12:13]
	v_mul_f64 v[8:9], v[8:9], v[32:33]
	v_add_f64 v[128:129], v[124:125], v[126:127]
	ds_read_b128 v[124:127], v86 offset:1184
	v_add_f64 v[10:11], v[14:15], v[10:11]
	v_fma_f64 v[6:7], v[6:7], v[26:27], -v[8:9]
	v_mul_f64 v[4:5], v[4:5], v[38:39]
	v_add_f64 v[6:7], v[10:11], v[6:7]
	v_fma_f64 v[2:3], v[2:3], v[40:41], -v[4:5]
	v_mul_f64 v[4:5], v[90:91], v[34:35]
	v_add_f64 v[2:3], v[6:7], v[2:3]
	v_fma_f64 v[4:5], v[88:89], v[36:37], -v[4:5]
	s_waitcnt vmcnt(38) lgkmcnt(1)
	v_mul_f64 v[130:131], v[120:121], v[70:71]
	v_add_f64 v[2:3], v[2:3], v[4:5]
	v_mul_f64 v[4:5], v[94:95], v[46:47]
	s_waitcnt vmcnt(36)
	v_fmac_f64_e32 v[130:131], v[122:123], v[72:73]
	v_fma_f64 v[4:5], v[92:93], v[48:49], -v[4:5]
	v_add_f64 v[132:133], v[128:129], v[130:131]
	ds_read_b128 v[128:131], v86 offset:1200
	s_waitcnt lgkmcnt(1)
	v_mul_f64 v[134:135], v[124:125], v[66:67]
	v_add_f64 v[2:3], v[2:3], v[4:5]
	v_mul_f64 v[4:5], v[98:99], v[42:43]
	v_fmac_f64_e32 v[134:135], v[126:127], v[68:69]
	v_fma_f64 v[4:5], v[96:97], v[44:45], -v[4:5]
	v_add_f64 v[136:137], v[132:133], v[134:135]
	ds_read_b128 v[132:135], v86 offset:1216
	v_add_f64 v[2:3], v[2:3], v[4:5]
	v_mul_f64 v[4:5], v[102:103], v[54:55]
	v_fma_f64 v[4:5], v[100:101], v[56:57], -v[4:5]
	v_add_f64 v[2:3], v[2:3], v[4:5]
	v_mul_f64 v[4:5], v[106:107], v[50:51]
	s_waitcnt vmcnt(30) lgkmcnt(1)
	v_mul_f64 v[138:139], v[128:129], v[78:79]
	v_fma_f64 v[4:5], v[104:105], v[52:53], -v[4:5]
	s_waitcnt vmcnt(28)
	v_fmac_f64_e32 v[138:139], v[130:131], v[80:81]
	v_add_f64 v[2:3], v[2:3], v[4:5]
	v_mul_f64 v[4:5], v[110:111], v[62:63]
	v_add_f64 v[140:141], v[136:137], v[138:139]
	ds_read_b128 v[136:139], v86 offset:1232
	s_waitcnt lgkmcnt(1)
	v_mul_f64 v[142:143], v[132:133], v[74:75]
	v_fma_f64 v[4:5], v[108:109], v[64:65], -v[4:5]
	v_fmac_f64_e32 v[142:143], v[134:135], v[76:77]
	v_add_f64 v[2:3], v[2:3], v[4:5]
	v_mul_f64 v[4:5], v[114:115], v[58:59]
	v_add_f64 v[144:145], v[140:141], v[142:143]
	ds_read_b128 v[140:143], v86 offset:1248
	v_fma_f64 v[4:5], v[112:113], v[60:61], -v[4:5]
	v_add_f64 v[2:3], v[2:3], v[4:5]
	v_mul_f64 v[4:5], v[122:123], v[70:71]
	v_fma_f64 v[4:5], v[120:121], v[72:73], -v[4:5]
	s_waitcnt vmcnt(22) lgkmcnt(1)
	v_mul_f64 v[146:147], v[136:137], v[116:117]
	v_add_f64 v[2:3], v[2:3], v[4:5]
	v_mul_f64 v[4:5], v[126:127], v[66:67]
	s_waitcnt vmcnt(20)
	v_fmac_f64_e32 v[146:147], v[138:139], v[164:165]
	v_fma_f64 v[4:5], v[124:125], v[68:69], -v[4:5]
	v_add_f64 v[148:149], v[144:145], v[146:147]
	ds_read_b128 v[144:147], v86 offset:1264
	s_waitcnt lgkmcnt(1)
	v_mul_f64 v[150:151], v[140:141], v[82:83]
	v_add_f64 v[2:3], v[2:3], v[4:5]
	v_mul_f64 v[4:5], v[130:131], v[78:79]
	v_fmac_f64_e32 v[150:151], v[142:143], v[84:85]
	v_fma_f64 v[4:5], v[128:129], v[80:81], -v[4:5]
	v_add_f64 v[152:153], v[148:149], v[150:151]
	ds_read_b128 v[148:151], v86 offset:1280
	v_add_f64 v[2:3], v[2:3], v[4:5]
	v_mul_f64 v[4:5], v[134:135], v[74:75]
	v_fma_f64 v[4:5], v[132:133], v[76:77], -v[4:5]
	v_add_f64 v[2:3], v[2:3], v[4:5]
	v_mul_f64 v[4:5], v[138:139], v[116:117]
	s_waitcnt vmcnt(14) lgkmcnt(1)
	v_mul_f64 v[154:155], v[144:145], v[170:171]
	v_fma_f64 v[4:5], v[136:137], v[164:165], -v[4:5]
	s_waitcnt vmcnt(12)
	v_fmac_f64_e32 v[154:155], v[146:147], v[172:173]
	v_add_f64 v[2:3], v[2:3], v[4:5]
	v_mul_f64 v[4:5], v[142:143], v[82:83]
	v_add_f64 v[156:157], v[152:153], v[154:155]
	ds_read_b128 v[152:155], v86 offset:1296
	s_waitcnt lgkmcnt(1)
	v_mul_f64 v[158:159], v[148:149], v[166:167]
	v_fma_f64 v[4:5], v[140:141], v[84:85], -v[4:5]
	v_fmac_f64_e32 v[158:159], v[150:151], v[168:169]
	v_add_f64 v[2:3], v[2:3], v[4:5]
	v_mul_f64 v[4:5], v[146:147], v[170:171]
	v_add_f64 v[186:187], v[156:157], v[158:159]
	ds_read_b128 v[156:159], v86 offset:1312
	ds_read_b128 v[160:163], v86 offset:1328
	v_fma_f64 v[4:5], v[144:145], v[172:173], -v[4:5]
	v_add_f64 v[2:3], v[2:3], v[4:5]
	v_mul_f64 v[4:5], v[150:151], v[166:167]
	v_fma_f64 v[4:5], v[148:149], v[168:169], -v[4:5]
	v_add_f64 v[2:3], v[2:3], v[4:5]
	s_waitcnt vmcnt(6) lgkmcnt(2)
	v_mul_f64 v[4:5], v[154:155], v[178:179]
	v_mul_f64 v[188:189], v[152:153], v[178:179]
	s_waitcnt vmcnt(4)
	v_fma_f64 v[4:5], v[152:153], v[180:181], -v[4:5]
	v_fmac_f64_e32 v[188:189], v[154:155], v[180:181]
	v_add_f64 v[2:3], v[2:3], v[4:5]
	s_waitcnt lgkmcnt(1)
	v_mul_f64 v[4:5], v[158:159], v[174:175]
	v_add_f64 v[86:87], v[186:187], v[188:189]
	v_mul_f64 v[186:187], v[156:157], v[174:175]
	v_fma_f64 v[4:5], v[156:157], v[176:177], -v[4:5]
	v_fmac_f64_e32 v[186:187], v[158:159], v[176:177]
	v_add_f64 v[2:3], v[2:3], v[4:5]
	s_waitcnt vmcnt(2) lgkmcnt(0)
	v_mul_f64 v[4:5], v[162:163], v[182:183]
	v_add_f64 v[86:87], v[86:87], v[186:187]
	v_mul_f64 v[186:187], v[160:161], v[182:183]
	s_waitcnt vmcnt(0)
	v_fma_f64 v[4:5], v[160:161], v[184:185], -v[4:5]
	v_fmac_f64_e32 v[186:187], v[162:163], v[184:185]
	v_add_f64 v[2:3], v[2:3], v[4:5]
	v_add_f64 v[86:87], v[86:87], v[186:187]
	v_add_f64 v[2:3], v[20:21], -v[2:3]
	v_cmp_lt_u32_e32 vcc, 18, v118
	v_add_f64 v[4:5], v[18:19], -v[86:87]
	buffer_store_dword v3, off, s[0:3], 0 offset:324
	buffer_store_dword v2, off, s[0:3], 0 offset:320
	;; [unrolled: 1-line block ×4, first 2 shown]
	s_and_saveexec_b64 s[4:5], vcc
	s_cbranch_execz .LBB41_229
; %bb.228:
	v_accvgpr_read_b32 v0, a107
	buffer_load_dword v2, v0, s[0:3], 0 offen
	buffer_load_dword v3, v0, s[0:3], 0 offen offset:4
	buffer_load_dword v4, v0, s[0:3], 0 offen offset:8
	;; [unrolled: 1-line block ×3, first 2 shown]
	v_mov_b32_e32 v0, 0
	v_accvgpr_read_b32 v1, a126
	buffer_store_dword v0, off, s[0:3], 0 offset:304
	buffer_store_dword v0, off, s[0:3], 0 offset:308
	buffer_store_dword v0, off, s[0:3], 0 offset:312
	buffer_store_dword v0, off, s[0:3], 0 offset:316
	s_waitcnt vmcnt(4)
	ds_write_b128 v1, v[2:5]
.LBB41_229:
	s_or_b64 exec, exec, s[4:5]
	s_waitcnt lgkmcnt(0)
	; wave barrier
	s_waitcnt lgkmcnt(0)
	buffer_load_dword v9, off, s[0:3], 0 offset:332
	buffer_load_dword v6, off, s[0:3], 0 offset:344
	;; [unrolled: 1-line block ×64, first 2 shown]
	v_mov_b32_e32 v98, 0
	ds_read_b128 v[74:77], v98 offset:976
	ds_read_b128 v[78:81], v98 offset:992
	buffer_load_dword v67, off, s[0:3], 0 offset:588
	buffer_load_dword v66, off, s[0:3], 0 offset:584
	;; [unrolled: 1-line block ×8, first 2 shown]
	ds_read_b128 v[82:85], v98 offset:1008
	ds_read_b128 v[86:89], v98 offset:1024
	buffer_load_dword v117, off, s[0:3], 0 offset:620
	buffer_load_dword v116, off, s[0:3], 0 offset:616
	;; [unrolled: 1-line block ×24, first 2 shown]
	ds_read_b128 v[168:171], v98 offset:1328
	v_cmp_lt_u32_e32 vcc, 17, v118
	s_waitcnt vmcnt(62) lgkmcnt(1)
	v_mul_f64 v[96:97], v[86:87], v[22:23]
	v_fmac_f64_e32 v[96:97], v[88:89], v[24:25]
	v_mul_f64 v[92:93], v[78:79], v[6:7]
	v_mul_f64 v[90:91], v[74:75], v[8:9]
	;; [unrolled: 1-line block ×3, first 2 shown]
	v_fmac_f64_e32 v[90:91], v[76:77], v[10:11]
	v_add_f64 v[90:91], v[90:91], 0
	v_fma_f64 v[8:9], v[74:75], v[10:11], -v[8:9]
	v_mul_f64 v[6:7], v[80:81], v[6:7]
	v_add_f64 v[8:9], v[8:9], 0
	v_fmac_f64_e32 v[92:93], v[80:81], v[14:15]
	v_add_f64 v[90:91], v[90:91], v[92:93]
	v_mul_f64 v[92:93], v[82:83], v[16:17]
	v_fmac_f64_e32 v[92:93], v[84:85], v[12:13]
	v_add_f64 v[94:95], v[90:91], v[92:93]
	ds_read_b128 v[90:93], v98 offset:1040
	v_add_f64 v[100:101], v[94:95], v[96:97]
	ds_read_b128 v[94:97], v98 offset:1056
	v_fma_f64 v[6:7], v[78:79], v[14:15], -v[6:7]
	v_add_f64 v[6:7], v[8:9], v[6:7]
	s_waitcnt lgkmcnt(1)
	v_mul_f64 v[102:103], v[90:91], v[18:19]
	v_fmac_f64_e32 v[102:103], v[92:93], v[20:21]
	v_add_f64 v[104:105], v[100:101], v[102:103]
	ds_read_b128 v[100:103], v98 offset:1072
	s_waitcnt lgkmcnt(1)
	v_mul_f64 v[106:107], v[94:95], v[30:31]
	v_fmac_f64_e32 v[106:107], v[96:97], v[32:33]
	v_add_f64 v[108:109], v[104:105], v[106:107]
	ds_read_b128 v[104:107], v98 offset:1088
	s_waitcnt lgkmcnt(1)
	v_mul_f64 v[110:111], v[100:101], v[26:27]
	v_fmac_f64_e32 v[110:111], v[102:103], v[28:29]
	v_add_f64 v[112:113], v[108:109], v[110:111]
	ds_read_b128 v[108:111], v98 offset:1104
	s_waitcnt vmcnt(58) lgkmcnt(1)
	v_mul_f64 v[114:115], v[104:105], v[38:39]
	s_waitcnt vmcnt(56)
	v_fmac_f64_e32 v[114:115], v[106:107], v[40:41]
	v_add_f64 v[120:121], v[112:113], v[114:115]
	ds_read_b128 v[112:115], v98 offset:1120
	s_waitcnt lgkmcnt(1)
	v_mul_f64 v[122:123], v[108:109], v[34:35]
	v_fmac_f64_e32 v[122:123], v[110:111], v[36:37]
	v_add_f64 v[124:125], v[120:121], v[122:123]
	ds_read_b128 v[120:123], v98 offset:1136
	s_waitcnt vmcnt(50) lgkmcnt(1)
	v_mul_f64 v[126:127], v[112:113], v[46:47]
	s_waitcnt vmcnt(48)
	v_fmac_f64_e32 v[126:127], v[114:115], v[48:49]
	v_add_f64 v[128:129], v[124:125], v[126:127]
	ds_read_b128 v[124:127], v98 offset:1152
	v_mul_f64 v[8:9], v[84:85], v[16:17]
	s_waitcnt lgkmcnt(1)
	v_mul_f64 v[130:131], v[120:121], v[42:43]
	v_fma_f64 v[8:9], v[82:83], v[12:13], -v[8:9]
	v_fmac_f64_e32 v[130:131], v[122:123], v[44:45]
	v_add_f64 v[6:7], v[6:7], v[8:9]
	v_mul_f64 v[8:9], v[88:89], v[22:23]
	v_add_f64 v[132:133], v[128:129], v[130:131]
	ds_read_b128 v[128:131], v98 offset:1168
	s_waitcnt vmcnt(42) lgkmcnt(1)
	v_mul_f64 v[134:135], v[124:125], v[54:55]
	v_fma_f64 v[8:9], v[86:87], v[24:25], -v[8:9]
	s_waitcnt vmcnt(40)
	v_fmac_f64_e32 v[134:135], v[126:127], v[56:57]
	v_add_f64 v[6:7], v[6:7], v[8:9]
	v_mul_f64 v[8:9], v[92:93], v[18:19]
	v_add_f64 v[136:137], v[132:133], v[134:135]
	ds_read_b128 v[132:135], v98 offset:1184
	v_fma_f64 v[8:9], v[90:91], v[20:21], -v[8:9]
	v_add_f64 v[6:7], v[6:7], v[8:9]
	v_mul_f64 v[8:9], v[96:97], v[30:31]
	v_fma_f64 v[8:9], v[94:95], v[32:33], -v[8:9]
	s_waitcnt lgkmcnt(1)
	v_mul_f64 v[138:139], v[128:129], v[50:51]
	v_add_f64 v[6:7], v[6:7], v[8:9]
	v_mul_f64 v[8:9], v[102:103], v[26:27]
	v_fmac_f64_e32 v[138:139], v[130:131], v[52:53]
	v_fma_f64 v[8:9], v[100:101], v[28:29], -v[8:9]
	v_add_f64 v[140:141], v[136:137], v[138:139]
	ds_read_b128 v[136:139], v98 offset:1200
	s_waitcnt vmcnt(34) lgkmcnt(1)
	v_mul_f64 v[142:143], v[132:133], v[62:63]
	v_add_f64 v[6:7], v[6:7], v[8:9]
	v_mul_f64 v[8:9], v[106:107], v[38:39]
	s_waitcnt vmcnt(32)
	v_fmac_f64_e32 v[142:143], v[134:135], v[64:65]
	v_fma_f64 v[8:9], v[104:105], v[40:41], -v[8:9]
	v_add_f64 v[144:145], v[140:141], v[142:143]
	ds_read_b128 v[140:143], v98 offset:1216
	v_add_f64 v[6:7], v[6:7], v[8:9]
	v_mul_f64 v[8:9], v[110:111], v[34:35]
	v_fma_f64 v[8:9], v[108:109], v[36:37], -v[8:9]
	v_add_f64 v[6:7], v[6:7], v[8:9]
	v_mul_f64 v[8:9], v[114:115], v[46:47]
	s_waitcnt lgkmcnt(1)
	v_mul_f64 v[146:147], v[136:137], v[58:59]
	v_fma_f64 v[8:9], v[112:113], v[48:49], -v[8:9]
	v_fmac_f64_e32 v[146:147], v[138:139], v[60:61]
	v_add_f64 v[6:7], v[6:7], v[8:9]
	v_mul_f64 v[8:9], v[122:123], v[42:43]
	v_add_f64 v[148:149], v[144:145], v[146:147]
	ds_read_b128 v[144:147], v98 offset:1232
	s_waitcnt vmcnt(26) lgkmcnt(1)
	v_mul_f64 v[150:151], v[140:141], v[70:71]
	v_fma_f64 v[8:9], v[120:121], v[44:45], -v[8:9]
	s_waitcnt vmcnt(24)
	v_fmac_f64_e32 v[150:151], v[142:143], v[72:73]
	v_add_f64 v[6:7], v[6:7], v[8:9]
	v_mul_f64 v[8:9], v[126:127], v[54:55]
	v_add_f64 v[152:153], v[148:149], v[150:151]
	ds_read_b128 v[148:151], v98 offset:1248
	v_fma_f64 v[8:9], v[124:125], v[56:57], -v[8:9]
	v_add_f64 v[6:7], v[6:7], v[8:9]
	v_mul_f64 v[8:9], v[130:131], v[50:51]
	v_fma_f64 v[8:9], v[128:129], v[52:53], -v[8:9]
	s_waitcnt lgkmcnt(1)
	v_mul_f64 v[154:155], v[144:145], v[66:67]
	v_add_f64 v[6:7], v[6:7], v[8:9]
	v_mul_f64 v[8:9], v[134:135], v[62:63]
	v_fmac_f64_e32 v[154:155], v[146:147], v[68:69]
	v_fma_f64 v[8:9], v[132:133], v[64:65], -v[8:9]
	v_add_f64 v[156:157], v[152:153], v[154:155]
	ds_read_b128 v[152:155], v98 offset:1264
	s_waitcnt vmcnt(18) lgkmcnt(1)
	v_mul_f64 v[158:159], v[148:149], v[174:175]
	v_add_f64 v[6:7], v[6:7], v[8:9]
	v_mul_f64 v[8:9], v[138:139], v[58:59]
	s_waitcnt vmcnt(16)
	v_fmac_f64_e32 v[158:159], v[150:151], v[176:177]
	v_fma_f64 v[8:9], v[136:137], v[60:61], -v[8:9]
	v_add_f64 v[160:161], v[156:157], v[158:159]
	ds_read_b128 v[156:159], v98 offset:1280
	v_add_f64 v[6:7], v[6:7], v[8:9]
	v_mul_f64 v[8:9], v[142:143], v[70:71]
	v_fma_f64 v[8:9], v[140:141], v[72:73], -v[8:9]
	v_add_f64 v[6:7], v[6:7], v[8:9]
	v_mul_f64 v[8:9], v[146:147], v[66:67]
	s_waitcnt lgkmcnt(1)
	v_mul_f64 v[162:163], v[152:153], v[116:117]
	v_fma_f64 v[8:9], v[144:145], v[68:69], -v[8:9]
	v_fmac_f64_e32 v[162:163], v[154:155], v[172:173]
	v_add_f64 v[6:7], v[6:7], v[8:9]
	v_mul_f64 v[8:9], v[150:151], v[174:175]
	v_add_f64 v[164:165], v[160:161], v[162:163]
	ds_read_b128 v[160:163], v98 offset:1296
	s_waitcnt vmcnt(10) lgkmcnt(1)
	v_mul_f64 v[166:167], v[156:157], v[182:183]
	v_fma_f64 v[8:9], v[148:149], v[176:177], -v[8:9]
	s_waitcnt vmcnt(8)
	v_fmac_f64_e32 v[166:167], v[158:159], v[184:185]
	v_add_f64 v[6:7], v[6:7], v[8:9]
	v_mul_f64 v[8:9], v[154:155], v[116:117]
	v_add_f64 v[194:195], v[164:165], v[166:167]
	ds_read_b128 v[164:167], v98 offset:1312
	v_fma_f64 v[8:9], v[152:153], v[172:173], -v[8:9]
	v_add_f64 v[6:7], v[6:7], v[8:9]
	v_mul_f64 v[8:9], v[158:159], v[182:183]
	v_fma_f64 v[8:9], v[156:157], v[184:185], -v[8:9]
	v_add_f64 v[6:7], v[6:7], v[8:9]
	s_waitcnt lgkmcnt(1)
	v_mul_f64 v[8:9], v[162:163], v[178:179]
	v_mul_f64 v[196:197], v[160:161], v[178:179]
	v_fma_f64 v[8:9], v[160:161], v[180:181], -v[8:9]
	v_fmac_f64_e32 v[196:197], v[162:163], v[180:181]
	v_add_f64 v[6:7], v[6:7], v[8:9]
	s_waitcnt vmcnt(2) lgkmcnt(0)
	v_mul_f64 v[8:9], v[166:167], v[190:191]
	v_add_f64 v[194:195], v[194:195], v[196:197]
	v_mul_f64 v[196:197], v[164:165], v[190:191]
	s_waitcnt vmcnt(0)
	v_fma_f64 v[8:9], v[164:165], v[192:193], -v[8:9]
	v_fmac_f64_e32 v[196:197], v[166:167], v[192:193]
	v_add_f64 v[6:7], v[6:7], v[8:9]
	v_mul_f64 v[8:9], v[170:171], v[186:187]
	v_add_f64 v[194:195], v[194:195], v[196:197]
	v_mul_f64 v[196:197], v[168:169], v[186:187]
	v_fma_f64 v[8:9], v[168:169], v[188:189], -v[8:9]
	v_fmac_f64_e32 v[196:197], v[170:171], v[188:189]
	v_add_f64 v[6:7], v[6:7], v[8:9]
	v_add_f64 v[194:195], v[194:195], v[196:197]
	v_add_f64 v[4:5], v[4:5], -v[6:7]
	v_add_f64 v[2:3], v[2:3], -v[194:195]
	buffer_store_dword v5, off, s[0:3], 0 offset:308
	buffer_store_dword v4, off, s[0:3], 0 offset:304
	;; [unrolled: 1-line block ×4, first 2 shown]
	s_and_saveexec_b64 s[4:5], vcc
	s_cbranch_execz .LBB41_231
; %bb.230:
	v_accvgpr_read_b32 v0, a108
	buffer_load_dword v2, v0, s[0:3], 0 offen
	buffer_load_dword v3, v0, s[0:3], 0 offen offset:4
	buffer_load_dword v4, v0, s[0:3], 0 offen offset:8
	;; [unrolled: 1-line block ×3, first 2 shown]
	v_accvgpr_read_b32 v0, a126
	buffer_store_dword v98, off, s[0:3], 0 offset:288
	buffer_store_dword v98, off, s[0:3], 0 offset:292
	;; [unrolled: 1-line block ×4, first 2 shown]
	s_waitcnt vmcnt(4)
	ds_write_b128 v0, v[2:5]
.LBB41_231:
	s_or_b64 exec, exec, s[4:5]
	s_waitcnt lgkmcnt(0)
	; wave barrier
	s_waitcnt lgkmcnt(0)
	buffer_load_dword v22, off, s[0:3], 0 offset:304
	buffer_load_dword v23, off, s[0:3], 0 offset:308
	buffer_load_dword v24, off, s[0:3], 0 offset:312
	buffer_load_dword v25, off, s[0:3], 0 offset:316
	buffer_load_dword v27, off, s[0:3], 0 offset:348
	buffer_load_dword v28, off, s[0:3], 0 offset:320
	buffer_load_dword v32, off, s[0:3], 0 offset:328
	buffer_load_dword v33, off, s[0:3], 0 offset:332
	buffer_load_dword v30, off, s[0:3], 0 offset:336
	buffer_load_dword v26, off, s[0:3], 0 offset:344
	buffer_load_dword v31, off, s[0:3], 0 offset:340
	buffer_load_dword v29, off, s[0:3], 0 offset:324
	buffer_load_dword v20, off, s[0:3], 0 offset:288
	buffer_load_dword v21, off, s[0:3], 0 offset:292
	buffer_load_dword v18, off, s[0:3], 0 offset:296
	buffer_load_dword v19, off, s[0:3], 0 offset:300
	ds_read_b128 v[2:5], v98 offset:960
	ds_read_b128 v[6:9], v98 offset:976
	;; [unrolled: 1-line block ×4, first 2 shown]
	buffer_load_dword v35, off, s[0:3], 0 offset:380
	buffer_load_dword v34, off, s[0:3], 0 offset:376
	buffer_load_dword v37, off, s[0:3], 0 offset:372
	buffer_load_dword v36, off, s[0:3], 0 offset:368
	buffer_load_dword v39, off, s[0:3], 0 offset:364
	buffer_load_dword v38, off, s[0:3], 0 offset:360
	buffer_load_dword v41, off, s[0:3], 0 offset:356
	buffer_load_dword v40, off, s[0:3], 0 offset:352
	buffer_load_dword v43, off, s[0:3], 0 offset:412
	buffer_load_dword v42, off, s[0:3], 0 offset:408
	buffer_load_dword v45, off, s[0:3], 0 offset:404
	buffer_load_dword v44, off, s[0:3], 0 offset:400
	buffer_load_dword v47, off, s[0:3], 0 offset:396
	buffer_load_dword v46, off, s[0:3], 0 offset:392
	buffer_load_dword v49, off, s[0:3], 0 offset:388
	buffer_load_dword v48, off, s[0:3], 0 offset:384
	buffer_load_dword v51, off, s[0:3], 0 offset:444
	buffer_load_dword v50, off, s[0:3], 0 offset:440
	buffer_load_dword v53, off, s[0:3], 0 offset:436
	buffer_load_dword v52, off, s[0:3], 0 offset:432
	buffer_load_dword v55, off, s[0:3], 0 offset:428
	buffer_load_dword v54, off, s[0:3], 0 offset:424
	buffer_load_dword v57, off, s[0:3], 0 offset:420
	buffer_load_dword v56, off, s[0:3], 0 offset:416
	buffer_load_dword v59, off, s[0:3], 0 offset:476
	buffer_load_dword v58, off, s[0:3], 0 offset:472
	buffer_load_dword v61, off, s[0:3], 0 offset:468
	buffer_load_dword v60, off, s[0:3], 0 offset:464
	buffer_load_dword v63, off, s[0:3], 0 offset:460
	buffer_load_dword v62, off, s[0:3], 0 offset:456
	buffer_load_dword v65, off, s[0:3], 0 offset:452
	buffer_load_dword v64, off, s[0:3], 0 offset:448
	buffer_load_dword v67, off, s[0:3], 0 offset:508
	buffer_load_dword v66, off, s[0:3], 0 offset:504
	buffer_load_dword v69, off, s[0:3], 0 offset:500
	buffer_load_dword v68, off, s[0:3], 0 offset:496
	buffer_load_dword v71, off, s[0:3], 0 offset:492
	buffer_load_dword v70, off, s[0:3], 0 offset:488
	buffer_load_dword v73, off, s[0:3], 0 offset:484
	buffer_load_dword v72, off, s[0:3], 0 offset:480
	buffer_load_dword v75, off, s[0:3], 0 offset:540
	buffer_load_dword v74, off, s[0:3], 0 offset:536
	buffer_load_dword v77, off, s[0:3], 0 offset:532
	buffer_load_dword v76, off, s[0:3], 0 offset:528
	buffer_load_dword v79, off, s[0:3], 0 offset:524
	buffer_load_dword v78, off, s[0:3], 0 offset:520
	buffer_load_dword v81, off, s[0:3], 0 offset:516
	buffer_load_dword v80, off, s[0:3], 0 offset:512
	v_cmp_lt_u32_e32 vcc, 16, v118
	s_waitcnt vmcnt(42) lgkmcnt(0)
	v_mul_f64 v[106:107], v[14:15], v[38:39]
	s_waitcnt vmcnt(40)
	v_fmac_f64_e32 v[106:107], v[16:17], v[40:41]
	v_mul_f64 v[82:83], v[2:3], v[24:25]
	v_fmac_f64_e32 v[82:83], v[4:5], v[22:23]
	v_add_f64 v[82:83], v[82:83], 0
	v_mul_f64 v[4:5], v[4:5], v[24:25]
	v_mul_f64 v[84:85], v[6:7], v[32:33]
	v_fma_f64 v[2:3], v[2:3], v[22:23], -v[4:5]
	v_mul_f64 v[100:101], v[10:11], v[26:27]
	v_fmac_f64_e32 v[100:101], v[12:13], v[30:31]
	v_fmac_f64_e32 v[84:85], v[8:9], v[28:29]
	v_add_f64 v[102:103], v[82:83], v[84:85]
	buffer_load_dword v83, off, s[0:3], 0 offset:572
	buffer_load_dword v82, off, s[0:3], 0 offset:568
	;; [unrolled: 1-line block ×32, first 2 shown]
	v_add_f64 v[104:105], v[102:103], v[100:101]
	ds_read_b128 v[100:103], v98 offset:1024
	buffer_load_dword v199, off, s[0:3], 0 offset:684
	buffer_load_dword v198, off, s[0:3], 0 offset:680
	buffer_load_dword v201, off, s[0:3], 0 offset:676
	buffer_load_dword v200, off, s[0:3], 0 offset:672
	v_add_f64 v[108:109], v[104:105], v[106:107]
	ds_read_b128 v[104:107], v98 offset:1040
	v_mul_f64 v[4:5], v[8:9], v[32:33]
	s_waitcnt lgkmcnt(1)
	v_mul_f64 v[110:111], v[100:101], v[34:35]
	v_fmac_f64_e32 v[110:111], v[102:103], v[36:37]
	v_add_f64 v[112:113], v[108:109], v[110:111]
	ds_read_b128 v[108:111], v98 offset:1056
	s_waitcnt vmcnt(62) lgkmcnt(1)
	v_mul_f64 v[114:115], v[104:105], v[46:47]
	v_fmac_f64_e32 v[114:115], v[106:107], v[48:49]
	v_add_f64 v[120:121], v[112:113], v[114:115]
	ds_read_b128 v[112:115], v98 offset:1072
	s_waitcnt lgkmcnt(1)
	v_mul_f64 v[122:123], v[108:109], v[42:43]
	v_fmac_f64_e32 v[122:123], v[110:111], v[44:45]
	v_add_f64 v[124:125], v[120:121], v[122:123]
	ds_read_b128 v[120:123], v98 offset:1088
	s_waitcnt lgkmcnt(1)
	v_mul_f64 v[126:127], v[112:113], v[54:55]
	s_waitcnt vmcnt(60)
	v_fmac_f64_e32 v[126:127], v[114:115], v[56:57]
	v_add_f64 v[128:129], v[124:125], v[126:127]
	ds_read_b128 v[124:127], v98 offset:1104
	s_waitcnt lgkmcnt(1)
	v_mul_f64 v[130:131], v[120:121], v[50:51]
	v_fmac_f64_e32 v[130:131], v[122:123], v[52:53]
	v_add_f64 v[132:133], v[128:129], v[130:131]
	ds_read_b128 v[128:131], v98 offset:1120
	s_waitcnt vmcnt(54) lgkmcnt(1)
	v_mul_f64 v[134:135], v[124:125], v[62:63]
	s_waitcnt vmcnt(52)
	v_fmac_f64_e32 v[134:135], v[126:127], v[64:65]
	v_add_f64 v[136:137], v[132:133], v[134:135]
	ds_read_b128 v[132:135], v98 offset:1136
	s_waitcnt lgkmcnt(1)
	v_mul_f64 v[138:139], v[128:129], v[58:59]
	v_fmac_f64_e32 v[138:139], v[130:131], v[60:61]
	v_add_f64 v[2:3], v[2:3], 0
	v_fma_f64 v[4:5], v[6:7], v[28:29], -v[4:5]
	v_add_f64 v[140:141], v[136:137], v[138:139]
	ds_read_b128 v[136:139], v98 offset:1152
	v_add_f64 v[2:3], v[2:3], v[4:5]
	v_mul_f64 v[4:5], v[12:13], v[26:27]
	v_fma_f64 v[4:5], v[10:11], v[30:31], -v[4:5]
	v_add_f64 v[2:3], v[2:3], v[4:5]
	v_mul_f64 v[4:5], v[16:17], v[38:39]
	s_waitcnt vmcnt(46) lgkmcnt(1)
	v_mul_f64 v[142:143], v[132:133], v[70:71]
	v_fma_f64 v[4:5], v[14:15], v[40:41], -v[4:5]
	s_waitcnt vmcnt(44)
	v_fmac_f64_e32 v[142:143], v[134:135], v[72:73]
	v_add_f64 v[2:3], v[2:3], v[4:5]
	v_mul_f64 v[4:5], v[102:103], v[34:35]
	v_add_f64 v[144:145], v[140:141], v[142:143]
	ds_read_b128 v[140:143], v98 offset:1168
	s_waitcnt lgkmcnt(1)
	v_mul_f64 v[146:147], v[136:137], v[66:67]
	v_fma_f64 v[4:5], v[100:101], v[36:37], -v[4:5]
	v_fmac_f64_e32 v[146:147], v[138:139], v[68:69]
	v_add_f64 v[2:3], v[2:3], v[4:5]
	v_mul_f64 v[4:5], v[106:107], v[46:47]
	v_add_f64 v[148:149], v[144:145], v[146:147]
	ds_read_b128 v[144:147], v98 offset:1184
	v_fma_f64 v[4:5], v[104:105], v[48:49], -v[4:5]
	v_add_f64 v[2:3], v[2:3], v[4:5]
	v_mul_f64 v[4:5], v[110:111], v[42:43]
	v_fma_f64 v[4:5], v[108:109], v[44:45], -v[4:5]
	s_waitcnt vmcnt(38) lgkmcnt(1)
	v_mul_f64 v[150:151], v[140:141], v[78:79]
	v_add_f64 v[2:3], v[2:3], v[4:5]
	v_mul_f64 v[4:5], v[114:115], v[54:55]
	s_waitcnt vmcnt(36)
	v_fmac_f64_e32 v[150:151], v[142:143], v[80:81]
	v_fma_f64 v[4:5], v[112:113], v[56:57], -v[4:5]
	v_add_f64 v[152:153], v[148:149], v[150:151]
	ds_read_b128 v[148:151], v98 offset:1200
	s_waitcnt lgkmcnt(1)
	v_mul_f64 v[154:155], v[144:145], v[74:75]
	v_add_f64 v[2:3], v[2:3], v[4:5]
	v_mul_f64 v[4:5], v[122:123], v[50:51]
	v_fmac_f64_e32 v[154:155], v[146:147], v[76:77]
	v_fma_f64 v[4:5], v[120:121], v[52:53], -v[4:5]
	v_add_f64 v[156:157], v[152:153], v[154:155]
	ds_read_b128 v[152:155], v98 offset:1216
	v_add_f64 v[2:3], v[2:3], v[4:5]
	v_mul_f64 v[4:5], v[126:127], v[62:63]
	v_fma_f64 v[4:5], v[124:125], v[64:65], -v[4:5]
	v_add_f64 v[2:3], v[2:3], v[4:5]
	v_mul_f64 v[4:5], v[130:131], v[58:59]
	s_waitcnt vmcnt(30) lgkmcnt(1)
	v_mul_f64 v[158:159], v[148:149], v[86:87]
	v_fma_f64 v[4:5], v[128:129], v[60:61], -v[4:5]
	s_waitcnt vmcnt(28)
	v_fmac_f64_e32 v[158:159], v[150:151], v[88:89]
	v_add_f64 v[2:3], v[2:3], v[4:5]
	v_mul_f64 v[4:5], v[134:135], v[70:71]
	v_add_f64 v[160:161], v[156:157], v[158:159]
	ds_read_b128 v[156:159], v98 offset:1232
	s_waitcnt lgkmcnt(1)
	v_mul_f64 v[162:163], v[152:153], v[82:83]
	v_fma_f64 v[4:5], v[132:133], v[72:73], -v[4:5]
	v_fmac_f64_e32 v[162:163], v[154:155], v[84:85]
	v_add_f64 v[2:3], v[2:3], v[4:5]
	v_mul_f64 v[4:5], v[138:139], v[66:67]
	v_add_f64 v[164:165], v[160:161], v[162:163]
	ds_read_b128 v[160:163], v98 offset:1248
	v_fma_f64 v[4:5], v[136:137], v[68:69], -v[4:5]
	v_add_f64 v[2:3], v[2:3], v[4:5]
	v_mul_f64 v[4:5], v[142:143], v[78:79]
	v_fma_f64 v[4:5], v[140:141], v[80:81], -v[4:5]
	s_waitcnt vmcnt(22) lgkmcnt(1)
	v_mul_f64 v[166:167], v[156:157], v[94:95]
	v_add_f64 v[2:3], v[2:3], v[4:5]
	v_mul_f64 v[4:5], v[146:147], v[74:75]
	s_waitcnt vmcnt(20)
	v_fmac_f64_e32 v[166:167], v[158:159], v[96:97]
	v_fma_f64 v[4:5], v[144:145], v[76:77], -v[4:5]
	v_add_f64 v[168:169], v[164:165], v[166:167]
	ds_read_b128 v[164:167], v98 offset:1264
	s_waitcnt lgkmcnt(1)
	v_mul_f64 v[170:171], v[160:161], v[90:91]
	v_add_f64 v[2:3], v[2:3], v[4:5]
	v_mul_f64 v[4:5], v[150:151], v[86:87]
	v_fmac_f64_e32 v[170:171], v[162:163], v[92:93]
	v_fma_f64 v[4:5], v[148:149], v[88:89], -v[4:5]
	v_add_f64 v[172:173], v[168:169], v[170:171]
	ds_read_b128 v[168:171], v98 offset:1280
	v_add_f64 v[2:3], v[2:3], v[4:5]
	v_mul_f64 v[4:5], v[154:155], v[82:83]
	v_fma_f64 v[4:5], v[152:153], v[84:85], -v[4:5]
	v_add_f64 v[2:3], v[2:3], v[4:5]
	v_mul_f64 v[4:5], v[158:159], v[94:95]
	s_waitcnt vmcnt(14) lgkmcnt(1)
	v_mul_f64 v[174:175], v[164:165], v[186:187]
	v_fma_f64 v[4:5], v[156:157], v[96:97], -v[4:5]
	s_waitcnt vmcnt(12)
	v_fmac_f64_e32 v[174:175], v[166:167], v[188:189]
	v_add_f64 v[2:3], v[2:3], v[4:5]
	v_mul_f64 v[4:5], v[162:163], v[90:91]
	v_add_f64 v[176:177], v[172:173], v[174:175]
	ds_read_b128 v[172:175], v98 offset:1296
	s_waitcnt lgkmcnt(1)
	v_mul_f64 v[178:179], v[168:169], v[116:117]
	v_fma_f64 v[4:5], v[160:161], v[92:93], -v[4:5]
	v_fmac_f64_e32 v[178:179], v[170:171], v[184:185]
	v_add_f64 v[2:3], v[2:3], v[4:5]
	v_mul_f64 v[4:5], v[166:167], v[186:187]
	v_add_f64 v[202:203], v[176:177], v[178:179]
	ds_read_b128 v[176:179], v98 offset:1312
	v_fma_f64 v[4:5], v[164:165], v[188:189], -v[4:5]
	v_add_f64 v[2:3], v[2:3], v[4:5]
	v_mul_f64 v[4:5], v[170:171], v[116:117]
	ds_read_b128 v[180:183], v98 offset:1328
	v_fma_f64 v[4:5], v[168:169], v[184:185], -v[4:5]
	v_add_f64 v[2:3], v[2:3], v[4:5]
	s_waitcnt vmcnt(6) lgkmcnt(2)
	v_mul_f64 v[4:5], v[174:175], v[194:195]
	v_mul_f64 v[204:205], v[172:173], v[194:195]
	s_waitcnt vmcnt(4)
	v_fma_f64 v[4:5], v[172:173], v[196:197], -v[4:5]
	v_fmac_f64_e32 v[204:205], v[174:175], v[196:197]
	v_add_f64 v[2:3], v[2:3], v[4:5]
	s_waitcnt lgkmcnt(1)
	v_mul_f64 v[4:5], v[178:179], v[190:191]
	v_add_f64 v[98:99], v[202:203], v[204:205]
	v_mul_f64 v[202:203], v[176:177], v[190:191]
	v_fma_f64 v[4:5], v[176:177], v[192:193], -v[4:5]
	v_fmac_f64_e32 v[202:203], v[178:179], v[192:193]
	v_add_f64 v[2:3], v[2:3], v[4:5]
	s_waitcnt vmcnt(2) lgkmcnt(0)
	v_mul_f64 v[4:5], v[182:183], v[198:199]
	v_add_f64 v[98:99], v[98:99], v[202:203]
	v_mul_f64 v[202:203], v[180:181], v[198:199]
	s_waitcnt vmcnt(0)
	v_fma_f64 v[4:5], v[180:181], v[200:201], -v[4:5]
	v_fmac_f64_e32 v[202:203], v[182:183], v[200:201]
	v_add_f64 v[2:3], v[2:3], v[4:5]
	v_add_f64 v[98:99], v[98:99], v[202:203]
	v_add_f64 v[2:3], v[20:21], -v[2:3]
	v_add_f64 v[4:5], v[18:19], -v[98:99]
	buffer_store_dword v3, off, s[0:3], 0 offset:292
	buffer_store_dword v2, off, s[0:3], 0 offset:288
	;; [unrolled: 1-line block ×4, first 2 shown]
	s_and_saveexec_b64 s[4:5], vcc
	s_cbranch_execz .LBB41_233
; %bb.232:
	v_accvgpr_read_b32 v0, a109
	buffer_load_dword v2, v0, s[0:3], 0 offen
	buffer_load_dword v3, v0, s[0:3], 0 offen offset:4
	buffer_load_dword v4, v0, s[0:3], 0 offen offset:8
	;; [unrolled: 1-line block ×3, first 2 shown]
	v_mov_b32_e32 v0, 0
	v_accvgpr_read_b32 v1, a126
	buffer_store_dword v0, off, s[0:3], 0 offset:272
	buffer_store_dword v0, off, s[0:3], 0 offset:276
	buffer_store_dword v0, off, s[0:3], 0 offset:280
	buffer_store_dword v0, off, s[0:3], 0 offset:284
	s_waitcnt vmcnt(4)
	ds_write_b128 v1, v[2:5]
.LBB41_233:
	s_or_b64 exec, exec, s[4:5]
	s_waitcnt lgkmcnt(0)
	; wave barrier
	s_waitcnt lgkmcnt(0)
	buffer_load_dword v22, off, s[0:3], 0 offset:288
	buffer_load_dword v23, off, s[0:3], 0 offset:292
	;; [unrolled: 1-line block ×64, first 2 shown]
	v_mov_b32_e32 v114, 0
	ds_read_b128 v[18:21], v114 offset:944
	ds_read_b128 v[14:17], v114 offset:960
	;; [unrolled: 1-line block ×5, first 2 shown]
	v_cmp_lt_u32_e32 vcc, 15, v118
	s_waitcnt vmcnt(60) lgkmcnt(4)
	v_mul_f64 v[86:87], v[18:19], v[26:27]
	v_fmac_f64_e32 v[86:87], v[20:21], v[22:23]
	v_add_f64 v[86:87], v[86:87], 0
	v_mul_f64 v[20:21], v[20:21], v[26:27]
	s_waitcnt vmcnt(56) lgkmcnt(3)
	v_mul_f64 v[88:89], v[14:15], v[28:29]
	v_fmac_f64_e32 v[88:89], v[16:17], v[24:25]
	s_waitcnt vmcnt(54) lgkmcnt(2)
	v_mul_f64 v[90:91], v[10:11], v[30:31]
	v_add_f64 v[86:87], v[86:87], v[88:89]
	v_fma_f64 v[18:19], v[18:19], v[22:23], -v[20:21]
	v_mul_f64 v[16:17], v[16:17], v[28:29]
	s_waitcnt vmcnt(50) lgkmcnt(1)
	v_mul_f64 v[102:103], v[6:7], v[40:41]
	v_add_f64 v[18:19], v[18:19], 0
	s_waitcnt vmcnt(48)
	v_fmac_f64_e32 v[90:91], v[12:13], v[44:45]
	v_add_f64 v[104:105], v[86:87], v[90:91]
	buffer_load_dword v87, off, s[0:3], 0 offset:556
	buffer_load_dword v86, off, s[0:3], 0 offset:552
	;; [unrolled: 1-line block ×40, first 2 shown]
	s_waitcnt vmcnt(62)
	v_fmac_f64_e32 v[102:103], v[8:9], v[42:43]
	v_add_f64 v[106:107], v[104:105], v[102:103]
	ds_read_b128 v[102:105], v114 offset:1024
	s_waitcnt lgkmcnt(1)
	v_mul_f64 v[108:109], v[2:3], v[36:37]
	v_fmac_f64_e32 v[108:109], v[4:5], v[38:39]
	v_add_f64 v[110:111], v[106:107], v[108:109]
	ds_read_b128 v[106:109], v114 offset:1040
	s_waitcnt lgkmcnt(1)
	v_mul_f64 v[112:113], v[102:103], v[50:51]
	;; [unrolled: 5-line block ×5, first 2 shown]
	v_fmac_f64_e32 v[130:131], v[122:123], v[56:57]
	v_add_f64 v[132:133], v[128:129], v[130:131]
	ds_read_b128 v[128:131], v114 offset:1104
	s_waitcnt vmcnt(58) lgkmcnt(1)
	v_mul_f64 v[134:135], v[124:125], v[66:67]
	s_waitcnt vmcnt(56)
	v_fmac_f64_e32 v[134:135], v[126:127], v[68:69]
	v_add_f64 v[136:137], v[132:133], v[134:135]
	ds_read_b128 v[132:135], v114 offset:1120
	s_waitcnt lgkmcnt(1)
	v_mul_f64 v[138:139], v[128:129], v[62:63]
	v_fmac_f64_e32 v[138:139], v[130:131], v[64:65]
	v_add_f64 v[140:141], v[136:137], v[138:139]
	ds_read_b128 v[136:139], v114 offset:1136
	s_waitcnt vmcnt(50) lgkmcnt(1)
	v_mul_f64 v[142:143], v[132:133], v[74:75]
	s_waitcnt vmcnt(48)
	v_fmac_f64_e32 v[142:143], v[134:135], v[76:77]
	v_add_f64 v[144:145], v[140:141], v[142:143]
	ds_read_b128 v[140:143], v114 offset:1152
	v_fma_f64 v[14:15], v[14:15], v[24:25], -v[16:17]
	v_mul_f64 v[12:13], v[12:13], v[30:31]
	v_add_f64 v[14:15], v[18:19], v[14:15]
	v_fma_f64 v[10:11], v[10:11], v[44:45], -v[12:13]
	v_mul_f64 v[8:9], v[8:9], v[40:41]
	s_waitcnt lgkmcnt(1)
	v_mul_f64 v[146:147], v[136:137], v[70:71]
	v_add_f64 v[10:11], v[14:15], v[10:11]
	v_fma_f64 v[6:7], v[6:7], v[42:43], -v[8:9]
	v_mul_f64 v[4:5], v[4:5], v[36:37]
	v_fmac_f64_e32 v[146:147], v[138:139], v[72:73]
	v_add_f64 v[6:7], v[10:11], v[6:7]
	v_fma_f64 v[2:3], v[2:3], v[38:39], -v[4:5]
	v_mul_f64 v[4:5], v[104:105], v[50:51]
	v_add_f64 v[148:149], v[144:145], v[146:147]
	ds_read_b128 v[144:147], v114 offset:1168
	s_waitcnt vmcnt(42) lgkmcnt(1)
	v_mul_f64 v[150:151], v[140:141], v[82:83]
	v_add_f64 v[2:3], v[6:7], v[2:3]
	v_fma_f64 v[4:5], v[102:103], v[52:53], -v[4:5]
	s_waitcnt vmcnt(40)
	v_fmac_f64_e32 v[150:151], v[142:143], v[84:85]
	v_add_f64 v[2:3], v[2:3], v[4:5]
	v_mul_f64 v[4:5], v[108:109], v[46:47]
	v_add_f64 v[152:153], v[148:149], v[150:151]
	ds_read_b128 v[148:151], v114 offset:1184
	v_fma_f64 v[4:5], v[106:107], v[48:49], -v[4:5]
	v_add_f64 v[2:3], v[2:3], v[4:5]
	v_mul_f64 v[4:5], v[112:113], v[58:59]
	v_fma_f64 v[4:5], v[110:111], v[60:61], -v[4:5]
	s_waitcnt lgkmcnt(1)
	v_mul_f64 v[154:155], v[144:145], v[78:79]
	v_add_f64 v[2:3], v[2:3], v[4:5]
	v_mul_f64 v[4:5], v[122:123], v[54:55]
	v_fmac_f64_e32 v[154:155], v[146:147], v[80:81]
	v_fma_f64 v[4:5], v[120:121], v[56:57], -v[4:5]
	v_add_f64 v[156:157], v[152:153], v[154:155]
	ds_read_b128 v[152:155], v114 offset:1200
	s_waitcnt vmcnt(34) lgkmcnt(1)
	v_mul_f64 v[158:159], v[148:149], v[90:91]
	v_add_f64 v[2:3], v[2:3], v[4:5]
	v_mul_f64 v[4:5], v[126:127], v[66:67]
	s_waitcnt vmcnt(32)
	v_fmac_f64_e32 v[158:159], v[150:151], v[92:93]
	v_fma_f64 v[4:5], v[124:125], v[68:69], -v[4:5]
	v_add_f64 v[160:161], v[156:157], v[158:159]
	ds_read_b128 v[156:159], v114 offset:1216
	v_add_f64 v[2:3], v[2:3], v[4:5]
	v_mul_f64 v[4:5], v[130:131], v[62:63]
	v_fma_f64 v[4:5], v[128:129], v[64:65], -v[4:5]
	v_add_f64 v[2:3], v[2:3], v[4:5]
	v_mul_f64 v[4:5], v[134:135], v[74:75]
	s_waitcnt lgkmcnt(1)
	v_mul_f64 v[162:163], v[152:153], v[86:87]
	v_fma_f64 v[4:5], v[132:133], v[76:77], -v[4:5]
	v_fmac_f64_e32 v[162:163], v[154:155], v[88:89]
	v_add_f64 v[2:3], v[2:3], v[4:5]
	v_mul_f64 v[4:5], v[138:139], v[70:71]
	v_add_f64 v[164:165], v[160:161], v[162:163]
	ds_read_b128 v[160:163], v114 offset:1232
	s_waitcnt vmcnt(26) lgkmcnt(1)
	v_mul_f64 v[166:167], v[156:157], v[98:99]
	v_fma_f64 v[4:5], v[136:137], v[72:73], -v[4:5]
	s_waitcnt vmcnt(24)
	v_fmac_f64_e32 v[166:167], v[158:159], v[100:101]
	v_add_f64 v[2:3], v[2:3], v[4:5]
	v_mul_f64 v[4:5], v[142:143], v[82:83]
	v_add_f64 v[168:169], v[164:165], v[166:167]
	ds_read_b128 v[164:167], v114 offset:1248
	v_fma_f64 v[4:5], v[140:141], v[84:85], -v[4:5]
	v_add_f64 v[2:3], v[2:3], v[4:5]
	v_mul_f64 v[4:5], v[146:147], v[78:79]
	v_fma_f64 v[4:5], v[144:145], v[80:81], -v[4:5]
	s_waitcnt lgkmcnt(1)
	v_mul_f64 v[170:171], v[160:161], v[94:95]
	v_add_f64 v[2:3], v[2:3], v[4:5]
	v_mul_f64 v[4:5], v[150:151], v[90:91]
	v_fmac_f64_e32 v[170:171], v[162:163], v[96:97]
	v_fma_f64 v[4:5], v[148:149], v[92:93], -v[4:5]
	v_add_f64 v[172:173], v[168:169], v[170:171]
	ds_read_b128 v[168:171], v114 offset:1264
	s_waitcnt vmcnt(18) lgkmcnt(1)
	v_mul_f64 v[174:175], v[164:165], v[190:191]
	v_add_f64 v[2:3], v[2:3], v[4:5]
	v_mul_f64 v[4:5], v[154:155], v[86:87]
	s_waitcnt vmcnt(16)
	v_fmac_f64_e32 v[174:175], v[166:167], v[192:193]
	v_fma_f64 v[4:5], v[152:153], v[88:89], -v[4:5]
	v_add_f64 v[176:177], v[172:173], v[174:175]
	ds_read_b128 v[172:175], v114 offset:1280
	v_add_f64 v[2:3], v[2:3], v[4:5]
	v_mul_f64 v[4:5], v[158:159], v[98:99]
	v_fma_f64 v[4:5], v[156:157], v[100:101], -v[4:5]
	v_add_f64 v[2:3], v[2:3], v[4:5]
	v_mul_f64 v[4:5], v[162:163], v[94:95]
	s_waitcnt lgkmcnt(1)
	v_mul_f64 v[178:179], v[168:169], v[116:117]
	v_fma_f64 v[4:5], v[160:161], v[96:97], -v[4:5]
	v_fmac_f64_e32 v[178:179], v[170:171], v[188:189]
	v_add_f64 v[2:3], v[2:3], v[4:5]
	v_mul_f64 v[4:5], v[166:167], v[190:191]
	v_add_f64 v[180:181], v[176:177], v[178:179]
	ds_read_b128 v[176:179], v114 offset:1296
	s_waitcnt vmcnt(10) lgkmcnt(1)
	v_mul_f64 v[182:183], v[172:173], v[198:199]
	v_fma_f64 v[4:5], v[164:165], v[192:193], -v[4:5]
	s_waitcnt vmcnt(8)
	v_fmac_f64_e32 v[182:183], v[174:175], v[200:201]
	v_add_f64 v[2:3], v[2:3], v[4:5]
	v_mul_f64 v[4:5], v[170:171], v[116:117]
	v_add_f64 v[210:211], v[180:181], v[182:183]
	ds_read_b128 v[180:183], v114 offset:1312
	ds_read_b128 v[184:187], v114 offset:1328
	v_fma_f64 v[4:5], v[168:169], v[188:189], -v[4:5]
	v_add_f64 v[2:3], v[2:3], v[4:5]
	v_mul_f64 v[4:5], v[174:175], v[198:199]
	v_fma_f64 v[4:5], v[172:173], v[200:201], -v[4:5]
	v_add_f64 v[2:3], v[2:3], v[4:5]
	s_waitcnt lgkmcnt(2)
	v_mul_f64 v[4:5], v[178:179], v[194:195]
	v_mul_f64 v[212:213], v[176:177], v[194:195]
	v_fma_f64 v[4:5], v[176:177], v[196:197], -v[4:5]
	v_fmac_f64_e32 v[212:213], v[178:179], v[196:197]
	v_add_f64 v[2:3], v[2:3], v[4:5]
	s_waitcnt vmcnt(2) lgkmcnt(1)
	v_mul_f64 v[4:5], v[182:183], v[206:207]
	v_add_f64 v[210:211], v[210:211], v[212:213]
	v_mul_f64 v[212:213], v[180:181], v[206:207]
	s_waitcnt vmcnt(0)
	v_fma_f64 v[4:5], v[180:181], v[208:209], -v[4:5]
	v_fmac_f64_e32 v[212:213], v[182:183], v[208:209]
	v_add_f64 v[2:3], v[2:3], v[4:5]
	s_waitcnt lgkmcnt(0)
	v_mul_f64 v[4:5], v[186:187], v[202:203]
	v_add_f64 v[210:211], v[210:211], v[212:213]
	v_mul_f64 v[212:213], v[184:185], v[202:203]
	v_fma_f64 v[4:5], v[184:185], v[204:205], -v[4:5]
	v_fmac_f64_e32 v[212:213], v[186:187], v[204:205]
	v_add_f64 v[2:3], v[2:3], v[4:5]
	v_add_f64 v[210:211], v[210:211], v[212:213]
	v_add_f64 v[2:3], v[34:35], -v[2:3]
	v_add_f64 v[4:5], v[32:33], -v[210:211]
	buffer_store_dword v3, off, s[0:3], 0 offset:276
	buffer_store_dword v2, off, s[0:3], 0 offset:272
	;; [unrolled: 1-line block ×4, first 2 shown]
	s_and_saveexec_b64 s[4:5], vcc
	s_cbranch_execz .LBB41_235
; %bb.234:
	v_accvgpr_read_b32 v0, a110
	buffer_load_dword v2, v0, s[0:3], 0 offen
	buffer_load_dword v3, v0, s[0:3], 0 offen offset:4
	buffer_load_dword v4, v0, s[0:3], 0 offen offset:8
	;; [unrolled: 1-line block ×3, first 2 shown]
	v_accvgpr_read_b32 v0, a126
	buffer_store_dword v114, off, s[0:3], 0 offset:256
	buffer_store_dword v114, off, s[0:3], 0 offset:260
	;; [unrolled: 1-line block ×4, first 2 shown]
	s_waitcnt vmcnt(4)
	ds_write_b128 v0, v[2:5]
.LBB41_235:
	s_or_b64 exec, exec, s[4:5]
	s_waitcnt lgkmcnt(0)
	; wave barrier
	s_waitcnt lgkmcnt(0)
	buffer_load_dword v26, off, s[0:3], 0 offset:272
	buffer_load_dword v27, off, s[0:3], 0 offset:276
	;; [unrolled: 1-line block ×24, first 2 shown]
	ds_read_b128 v[22:25], v114 offset:928
	ds_read_b128 v[18:21], v114 offset:944
	;; [unrolled: 1-line block ×6, first 2 shown]
	buffer_load_dword v51, off, s[0:3], 0 offset:380
	buffer_load_dword v50, off, s[0:3], 0 offset:376
	;; [unrolled: 1-line block ×40, first 2 shown]
	v_cmp_lt_u32_e32 vcc, 14, v118
	s_waitcnt vmcnt(34) lgkmcnt(0)
	v_mul_f64 v[124:125], v[14:15], v[54:55]
	s_waitcnt vmcnt(32)
	v_fmac_f64_e32 v[124:125], v[16:17], v[56:57]
	v_mul_f64 v[90:91], v[22:23], v[28:29]
	v_fmac_f64_e32 v[90:91], v[24:25], v[26:27]
	v_mul_f64 v[92:93], v[18:19], v[30:31]
	v_add_f64 v[90:91], v[90:91], 0
	v_mul_f64 v[94:95], v[10:11], v[32:33]
	v_mul_f64 v[24:25], v[24:25], v[28:29]
	;; [unrolled: 1-line block ×3, first 2 shown]
	v_fma_f64 v[22:23], v[22:23], v[26:27], -v[24:25]
	v_add_f64 v[22:23], v[22:23], 0
	v_mul_f64 v[96:97], v[6:7], v[42:43]
	v_fmac_f64_e32 v[92:93], v[20:21], v[48:49]
	v_add_f64 v[90:91], v[90:91], v[92:93]
	v_fmac_f64_e32 v[94:95], v[12:13], v[46:47]
	v_add_f64 v[90:91], v[90:91], v[94:95]
	;; [unrolled: 2-line block ×3, first 2 shown]
	buffer_load_dword v91, off, s[0:3], 0 offset:540
	buffer_load_dword v90, off, s[0:3], 0 offset:536
	;; [unrolled: 1-line block ×40, first 2 shown]
	v_fmac_f64_e32 v[116:117], v[4:5], v[40:41]
	v_add_f64 v[116:117], v[120:121], v[116:117]
	ds_read_b128 v[120:123], v114 offset:1024
	buffer_load_dword v213, off, s[0:3], 0 offset:684
	buffer_load_dword v212, off, s[0:3], 0 offset:680
	;; [unrolled: 1-line block ×4, first 2 shown]
	v_add_f64 v[116:117], v[116:117], v[124:125]
	ds_read_b128 v[124:127], v114 offset:1040
	v_mul_f64 v[20:21], v[20:21], v[30:31]
	s_waitcnt lgkmcnt(1)
	v_mul_f64 v[128:129], v[120:121], v[50:51]
	v_fmac_f64_e32 v[128:129], v[122:123], v[52:53]
	v_add_f64 v[116:117], v[116:117], v[128:129]
	ds_read_b128 v[128:131], v114 offset:1056
	s_waitcnt vmcnt(62) lgkmcnt(1)
	v_mul_f64 v[132:133], v[124:125], v[62:63]
	v_fmac_f64_e32 v[132:133], v[126:127], v[64:65]
	v_add_f64 v[116:117], v[116:117], v[132:133]
	ds_read_b128 v[132:135], v114 offset:1072
	s_waitcnt lgkmcnt(1)
	v_mul_f64 v[136:137], v[128:129], v[58:59]
	v_fmac_f64_e32 v[136:137], v[130:131], v[60:61]
	v_add_f64 v[116:117], v[116:117], v[136:137]
	ds_read_b128 v[136:139], v114 offset:1088
	s_waitcnt lgkmcnt(1)
	v_mul_f64 v[140:141], v[132:133], v[70:71]
	s_waitcnt vmcnt(60)
	v_fmac_f64_e32 v[140:141], v[134:135], v[72:73]
	v_add_f64 v[116:117], v[116:117], v[140:141]
	ds_read_b128 v[140:143], v114 offset:1104
	s_waitcnt lgkmcnt(1)
	v_mul_f64 v[144:145], v[136:137], v[66:67]
	v_fmac_f64_e32 v[144:145], v[138:139], v[68:69]
	v_add_f64 v[116:117], v[116:117], v[144:145]
	ds_read_b128 v[144:147], v114 offset:1120
	s_waitcnt vmcnt(54) lgkmcnt(1)
	v_mul_f64 v[148:149], v[140:141], v[78:79]
	s_waitcnt vmcnt(52)
	v_fmac_f64_e32 v[148:149], v[142:143], v[80:81]
	v_add_f64 v[116:117], v[116:117], v[148:149]
	ds_read_b128 v[148:151], v114 offset:1136
	s_waitcnt lgkmcnt(1)
	v_mul_f64 v[152:153], v[144:145], v[74:75]
	v_fmac_f64_e32 v[152:153], v[146:147], v[76:77]
	v_fma_f64 v[18:19], v[18:19], v[48:49], -v[20:21]
	v_mul_f64 v[12:13], v[12:13], v[32:33]
	v_add_f64 v[116:117], v[116:117], v[152:153]
	ds_read_b128 v[152:155], v114 offset:1152
	v_add_f64 v[18:19], v[22:23], v[18:19]
	v_fma_f64 v[10:11], v[10:11], v[46:47], -v[12:13]
	v_mul_f64 v[8:9], v[8:9], v[42:43]
	v_add_f64 v[10:11], v[18:19], v[10:11]
	v_fma_f64 v[6:7], v[6:7], v[44:45], -v[8:9]
	v_mul_f64 v[4:5], v[4:5], v[38:39]
	;; [unrolled: 3-line block ×3, first 2 shown]
	s_waitcnt vmcnt(46) lgkmcnt(1)
	v_mul_f64 v[156:157], v[148:149], v[86:87]
	v_add_f64 v[2:3], v[6:7], v[2:3]
	v_fma_f64 v[4:5], v[14:15], v[56:57], -v[4:5]
	s_waitcnt vmcnt(44)
	v_fmac_f64_e32 v[156:157], v[150:151], v[88:89]
	v_add_f64 v[2:3], v[2:3], v[4:5]
	v_mul_f64 v[4:5], v[122:123], v[50:51]
	v_add_f64 v[116:117], v[116:117], v[156:157]
	ds_read_b128 v[156:159], v114 offset:1168
	s_waitcnt lgkmcnt(1)
	v_mul_f64 v[160:161], v[152:153], v[82:83]
	v_fma_f64 v[4:5], v[120:121], v[52:53], -v[4:5]
	v_fmac_f64_e32 v[160:161], v[154:155], v[84:85]
	v_add_f64 v[2:3], v[2:3], v[4:5]
	v_mul_f64 v[4:5], v[126:127], v[62:63]
	v_add_f64 v[116:117], v[116:117], v[160:161]
	ds_read_b128 v[160:163], v114 offset:1184
	v_fma_f64 v[4:5], v[124:125], v[64:65], -v[4:5]
	v_add_f64 v[2:3], v[2:3], v[4:5]
	v_mul_f64 v[4:5], v[130:131], v[58:59]
	v_fma_f64 v[4:5], v[128:129], v[60:61], -v[4:5]
	s_waitcnt vmcnt(38) lgkmcnt(1)
	v_mul_f64 v[164:165], v[156:157], v[94:95]
	v_add_f64 v[2:3], v[2:3], v[4:5]
	v_mul_f64 v[4:5], v[134:135], v[70:71]
	s_waitcnt vmcnt(36)
	v_fmac_f64_e32 v[164:165], v[158:159], v[96:97]
	v_fma_f64 v[4:5], v[132:133], v[72:73], -v[4:5]
	v_add_f64 v[116:117], v[116:117], v[164:165]
	ds_read_b128 v[164:167], v114 offset:1200
	s_waitcnt lgkmcnt(1)
	v_mul_f64 v[168:169], v[160:161], v[90:91]
	v_add_f64 v[2:3], v[2:3], v[4:5]
	v_mul_f64 v[4:5], v[138:139], v[66:67]
	v_fmac_f64_e32 v[168:169], v[162:163], v[92:93]
	v_fma_f64 v[4:5], v[136:137], v[68:69], -v[4:5]
	v_add_f64 v[116:117], v[116:117], v[168:169]
	ds_read_b128 v[168:171], v114 offset:1216
	v_add_f64 v[2:3], v[2:3], v[4:5]
	v_mul_f64 v[4:5], v[142:143], v[78:79]
	v_fma_f64 v[4:5], v[140:141], v[80:81], -v[4:5]
	v_add_f64 v[2:3], v[2:3], v[4:5]
	v_mul_f64 v[4:5], v[146:147], v[74:75]
	s_waitcnt vmcnt(30) lgkmcnt(1)
	v_mul_f64 v[172:173], v[164:165], v[102:103]
	v_fma_f64 v[4:5], v[144:145], v[76:77], -v[4:5]
	s_waitcnt vmcnt(28)
	v_fmac_f64_e32 v[172:173], v[166:167], v[104:105]
	v_add_f64 v[2:3], v[2:3], v[4:5]
	v_mul_f64 v[4:5], v[150:151], v[86:87]
	v_add_f64 v[116:117], v[116:117], v[172:173]
	ds_read_b128 v[172:175], v114 offset:1232
	s_waitcnt lgkmcnt(1)
	v_mul_f64 v[176:177], v[168:169], v[98:99]
	v_fma_f64 v[4:5], v[148:149], v[88:89], -v[4:5]
	v_fmac_f64_e32 v[176:177], v[170:171], v[100:101]
	v_add_f64 v[2:3], v[2:3], v[4:5]
	v_mul_f64 v[4:5], v[154:155], v[82:83]
	v_add_f64 v[116:117], v[116:117], v[176:177]
	ds_read_b128 v[176:179], v114 offset:1248
	v_fma_f64 v[4:5], v[152:153], v[84:85], -v[4:5]
	v_add_f64 v[2:3], v[2:3], v[4:5]
	v_mul_f64 v[4:5], v[158:159], v[94:95]
	v_fma_f64 v[4:5], v[156:157], v[96:97], -v[4:5]
	s_waitcnt vmcnt(22) lgkmcnt(1)
	v_mul_f64 v[180:181], v[172:173], v[110:111]
	v_add_f64 v[2:3], v[2:3], v[4:5]
	v_mul_f64 v[4:5], v[162:163], v[90:91]
	s_waitcnt vmcnt(20)
	v_fmac_f64_e32 v[180:181], v[174:175], v[112:113]
	v_fma_f64 v[4:5], v[160:161], v[92:93], -v[4:5]
	v_add_f64 v[116:117], v[116:117], v[180:181]
	ds_read_b128 v[180:183], v114 offset:1264
	s_waitcnt lgkmcnt(1)
	v_mul_f64 v[184:185], v[176:177], v[106:107]
	v_add_f64 v[2:3], v[2:3], v[4:5]
	v_mul_f64 v[4:5], v[166:167], v[102:103]
	v_fmac_f64_e32 v[184:185], v[178:179], v[108:109]
	v_fma_f64 v[4:5], v[164:165], v[104:105], -v[4:5]
	v_add_f64 v[116:117], v[116:117], v[184:185]
	ds_read_b128 v[184:187], v114 offset:1280
	v_add_f64 v[2:3], v[2:3], v[4:5]
	v_mul_f64 v[4:5], v[170:171], v[98:99]
	v_fma_f64 v[4:5], v[168:169], v[100:101], -v[4:5]
	v_add_f64 v[2:3], v[2:3], v[4:5]
	v_mul_f64 v[4:5], v[174:175], v[110:111]
	s_waitcnt vmcnt(14) lgkmcnt(1)
	v_mul_f64 v[188:189], v[180:181], v[196:197]
	v_fma_f64 v[4:5], v[172:173], v[112:113], -v[4:5]
	s_waitcnt vmcnt(12)
	v_fmac_f64_e32 v[188:189], v[182:183], v[198:199]
	v_add_f64 v[2:3], v[2:3], v[4:5]
	v_mul_f64 v[4:5], v[178:179], v[106:107]
	v_add_f64 v[116:117], v[116:117], v[188:189]
	ds_read_b128 v[188:191], v114 offset:1296
	s_waitcnt lgkmcnt(1)
	v_mul_f64 v[202:203], v[184:185], v[192:193]
	v_fma_f64 v[4:5], v[176:177], v[108:109], -v[4:5]
	v_fmac_f64_e32 v[202:203], v[186:187], v[194:195]
	v_add_f64 v[2:3], v[2:3], v[4:5]
	v_mul_f64 v[4:5], v[182:183], v[196:197]
	v_add_f64 v[216:217], v[116:117], v[202:203]
	ds_read_b128 v[202:205], v114 offset:1312
	v_fma_f64 v[4:5], v[180:181], v[198:199], -v[4:5]
	v_add_f64 v[2:3], v[2:3], v[4:5]
	v_mul_f64 v[4:5], v[186:187], v[192:193]
	ds_read_b128 v[114:117], v114 offset:1328
	v_fma_f64 v[4:5], v[184:185], v[194:195], -v[4:5]
	v_add_f64 v[2:3], v[2:3], v[4:5]
	s_waitcnt vmcnt(6) lgkmcnt(2)
	v_mul_f64 v[4:5], v[190:191], v[208:209]
	v_mul_f64 v[218:219], v[188:189], v[208:209]
	s_waitcnt vmcnt(4)
	v_fma_f64 v[4:5], v[188:189], v[210:211], -v[4:5]
	v_fmac_f64_e32 v[218:219], v[190:191], v[210:211]
	v_add_f64 v[2:3], v[2:3], v[4:5]
	s_waitcnt lgkmcnt(1)
	v_mul_f64 v[4:5], v[204:205], v[200:201]
	v_add_f64 v[216:217], v[216:217], v[218:219]
	v_mul_f64 v[218:219], v[202:203], v[200:201]
	v_fma_f64 v[4:5], v[202:203], v[206:207], -v[4:5]
	v_fmac_f64_e32 v[218:219], v[204:205], v[206:207]
	v_add_f64 v[2:3], v[2:3], v[4:5]
	s_waitcnt vmcnt(2) lgkmcnt(0)
	v_mul_f64 v[4:5], v[116:117], v[212:213]
	v_add_f64 v[216:217], v[216:217], v[218:219]
	v_mul_f64 v[218:219], v[114:115], v[212:213]
	s_waitcnt vmcnt(0)
	v_fma_f64 v[4:5], v[114:115], v[214:215], -v[4:5]
	v_fmac_f64_e32 v[218:219], v[116:117], v[214:215]
	v_add_f64 v[2:3], v[2:3], v[4:5]
	v_add_f64 v[216:217], v[216:217], v[218:219]
	v_add_f64 v[2:3], v[36:37], -v[2:3]
	v_add_f64 v[4:5], v[34:35], -v[216:217]
	buffer_store_dword v3, off, s[0:3], 0 offset:260
	buffer_store_dword v2, off, s[0:3], 0 offset:256
	;; [unrolled: 1-line block ×4, first 2 shown]
	s_and_saveexec_b64 s[4:5], vcc
	s_cbranch_execz .LBB41_237
; %bb.236:
	v_accvgpr_read_b32 v0, a111
	buffer_load_dword v2, v0, s[0:3], 0 offen
	buffer_load_dword v3, v0, s[0:3], 0 offen offset:4
	buffer_load_dword v4, v0, s[0:3], 0 offen offset:8
	;; [unrolled: 1-line block ×3, first 2 shown]
	v_mov_b32_e32 v0, 0
	v_accvgpr_read_b32 v1, a126
	buffer_store_dword v0, off, s[0:3], 0 offset:240
	buffer_store_dword v0, off, s[0:3], 0 offset:244
	;; [unrolled: 1-line block ×4, first 2 shown]
	s_waitcnt vmcnt(4)
	ds_write_b128 v1, v[2:5]
.LBB41_237:
	s_or_b64 exec, exec, s[4:5]
	s_waitcnt lgkmcnt(0)
	; wave barrier
	s_waitcnt lgkmcnt(0)
	buffer_load_dword v30, off, s[0:3], 0 offset:256
	buffer_load_dword v31, off, s[0:3], 0 offset:260
	;; [unrolled: 1-line block ×56, first 2 shown]
	v_mov_b32_e32 v136, 0
	ds_read_b128 v[26:29], v136 offset:912
	ds_read_b128 v[22:25], v136 offset:928
	;; [unrolled: 1-line block ×7, first 2 shown]
	v_cmp_lt_u32_e32 vcc, 13, v118
	s_waitcnt vmcnt(52) lgkmcnt(6)
	v_mul_f64 v[86:87], v[26:27], v[34:35]
	v_fmac_f64_e32 v[86:87], v[28:29], v[30:31]
	v_add_f64 v[86:87], v[86:87], 0
	v_mul_f64 v[28:29], v[28:29], v[34:35]
	s_waitcnt vmcnt(48) lgkmcnt(5)
	v_mul_f64 v[88:89], v[22:23], v[36:37]
	v_fmac_f64_e32 v[88:89], v[24:25], v[32:33]
	s_waitcnt vmcnt(46) lgkmcnt(4)
	v_mul_f64 v[90:91], v[18:19], v[38:39]
	v_add_f64 v[86:87], v[86:87], v[88:89]
	s_waitcnt vmcnt(44) lgkmcnt(2)
	v_mul_f64 v[94:95], v[10:11], v[40:41]
	v_fma_f64 v[26:27], v[26:27], v[30:31], -v[28:29]
	s_waitcnt vmcnt(42)
	v_fmac_f64_e32 v[94:95], v[12:13], v[42:43]
	v_mul_f64 v[24:25], v[24:25], v[36:37]
	s_waitcnt vmcnt(40)
	v_mul_f64 v[92:93], v[14:15], v[48:49]
	v_add_f64 v[26:27], v[26:27], 0
	v_fma_f64 v[22:23], v[22:23], v[32:33], -v[24:25]
	v_add_f64 v[22:23], v[26:27], v[22:23]
	s_waitcnt vmcnt(36) lgkmcnt(1)
	v_mul_f64 v[110:111], v[6:7], v[54:55]
	v_mul_f64 v[12:13], v[12:13], v[40:41]
	s_waitcnt vmcnt(34)
	v_fmac_f64_e32 v[90:91], v[20:21], v[60:61]
	v_add_f64 v[86:87], v[86:87], v[90:91]
	s_waitcnt vmcnt(32)
	v_fmac_f64_e32 v[92:93], v[16:17], v[58:59]
	v_add_f64 v[86:87], v[86:87], v[92:93]
	v_add_f64 v[116:117], v[86:87], v[94:95]
	buffer_load_dword v87, off, s[0:3], 0 offset:492
	buffer_load_dword v86, off, s[0:3], 0 offset:488
	;; [unrolled: 1-line block ×56, first 2 shown]
	ds_read_b128 v[126:129], v136 offset:1024
	ds_read_b128 v[130:133], v136 offset:1040
	v_mul_f64 v[20:21], v[20:21], v[38:39]
	v_fma_f64 v[18:19], v[18:19], v[60:61], -v[20:21]
	v_mul_f64 v[16:17], v[16:17], v[48:49]
	s_waitcnt vmcnt(62)
	v_fmac_f64_e32 v[110:111], v[8:9], v[56:57]
	v_add_f64 v[18:19], v[22:23], v[18:19]
	v_fma_f64 v[14:15], v[14:15], v[58:59], -v[16:17]
	v_add_f64 v[110:111], v[116:117], v[110:111]
	s_waitcnt lgkmcnt(2)
	v_mul_f64 v[116:117], v[2:3], v[50:51]
	v_add_f64 v[14:15], v[18:19], v[14:15]
	v_fma_f64 v[10:11], v[10:11], v[42:43], -v[12:13]
	v_mul_f64 v[8:9], v[8:9], v[54:55]
	v_fmac_f64_e32 v[116:117], v[4:5], v[52:53]
	ds_read_b128 v[138:141], v136 offset:1056
	ds_read_b128 v[142:145], v136 offset:1072
	v_add_f64 v[10:11], v[14:15], v[10:11]
	v_fma_f64 v[6:7], v[6:7], v[56:57], -v[8:9]
	v_mul_f64 v[4:5], v[4:5], v[50:51]
	v_add_f64 v[6:7], v[10:11], v[6:7]
	v_fma_f64 v[2:3], v[2:3], v[52:53], -v[4:5]
	s_waitcnt lgkmcnt(3)
	v_mul_f64 v[4:5], v[128:129], v[66:67]
	v_add_f64 v[110:111], v[110:111], v[116:117]
	v_mul_f64 v[116:117], v[126:127], v[66:67]
	v_add_f64 v[2:3], v[6:7], v[2:3]
	v_fma_f64 v[4:5], v[126:127], v[68:69], -v[4:5]
	v_fmac_f64_e32 v[116:117], v[128:129], v[68:69]
	v_add_f64 v[2:3], v[2:3], v[4:5]
	s_waitcnt lgkmcnt(2)
	v_mul_f64 v[4:5], v[132:133], v[62:63]
	v_add_f64 v[110:111], v[110:111], v[116:117]
	v_mul_f64 v[116:117], v[130:131], v[62:63]
	ds_read_b128 v[146:149], v136 offset:1088
	ds_read_b128 v[150:153], v136 offset:1104
	v_fma_f64 v[4:5], v[130:131], v[64:65], -v[4:5]
	v_fmac_f64_e32 v[116:117], v[132:133], v[64:65]
	v_add_f64 v[2:3], v[2:3], v[4:5]
	s_waitcnt lgkmcnt(3)
	v_mul_f64 v[4:5], v[140:141], v[74:75]
	v_add_f64 v[110:111], v[110:111], v[116:117]
	v_mul_f64 v[116:117], v[138:139], v[74:75]
	v_fma_f64 v[4:5], v[138:139], v[76:77], -v[4:5]
	v_fmac_f64_e32 v[116:117], v[140:141], v[76:77]
	v_add_f64 v[2:3], v[2:3], v[4:5]
	s_waitcnt lgkmcnt(2)
	v_mul_f64 v[4:5], v[144:145], v[70:71]
	v_add_f64 v[110:111], v[110:111], v[116:117]
	v_mul_f64 v[116:117], v[142:143], v[70:71]
	ds_read_b128 v[154:157], v136 offset:1120
	ds_read_b128 v[158:161], v136 offset:1136
	v_fma_f64 v[4:5], v[142:143], v[72:73], -v[4:5]
	v_fmac_f64_e32 v[116:117], v[144:145], v[72:73]
	v_add_f64 v[2:3], v[2:3], v[4:5]
	s_waitcnt vmcnt(58) lgkmcnt(3)
	v_mul_f64 v[4:5], v[148:149], v[82:83]
	v_add_f64 v[110:111], v[110:111], v[116:117]
	v_mul_f64 v[116:117], v[146:147], v[82:83]
	s_waitcnt vmcnt(56)
	v_fma_f64 v[4:5], v[146:147], v[84:85], -v[4:5]
	v_fmac_f64_e32 v[116:117], v[148:149], v[84:85]
	v_add_f64 v[2:3], v[2:3], v[4:5]
	s_waitcnt lgkmcnt(2)
	v_mul_f64 v[4:5], v[152:153], v[78:79]
	v_add_f64 v[110:111], v[110:111], v[116:117]
	v_mul_f64 v[116:117], v[150:151], v[78:79]
	ds_read_b128 v[162:165], v136 offset:1152
	ds_read_b128 v[166:169], v136 offset:1168
	v_fma_f64 v[4:5], v[150:151], v[80:81], -v[4:5]
	v_fmac_f64_e32 v[116:117], v[152:153], v[80:81]
	v_add_f64 v[2:3], v[2:3], v[4:5]
	s_waitcnt vmcnt(50) lgkmcnt(3)
	v_mul_f64 v[4:5], v[156:157], v[90:91]
	v_add_f64 v[110:111], v[110:111], v[116:117]
	v_mul_f64 v[116:117], v[154:155], v[90:91]
	s_waitcnt vmcnt(48)
	;; [unrolled: 17-line block ×7, first 2 shown]
	v_fma_f64 v[4:5], v[202:203], v[220:221], -v[4:5]
	v_fmac_f64_e32 v[116:117], v[204:205], v[220:221]
	v_add_f64 v[2:3], v[2:3], v[4:5]
	s_waitcnt lgkmcnt(2)
	v_mul_f64 v[4:5], v[208:209], v[198:199]
	v_add_f64 v[110:111], v[110:111], v[116:117]
	v_mul_f64 v[116:117], v[206:207], v[198:199]
	v_fma_f64 v[4:5], v[206:207], v[200:201], -v[4:5]
	v_fmac_f64_e32 v[116:117], v[208:209], v[200:201]
	v_add_f64 v[2:3], v[2:3], v[4:5]
	s_waitcnt vmcnt(2) lgkmcnt(1)
	v_mul_f64 v[4:5], v[212:213], v[226:227]
	v_add_f64 v[110:111], v[110:111], v[116:117]
	v_mul_f64 v[116:117], v[210:211], v[226:227]
	s_waitcnt vmcnt(0)
	v_fma_f64 v[4:5], v[210:211], v[228:229], -v[4:5]
	v_fmac_f64_e32 v[116:117], v[212:213], v[228:229]
	v_add_f64 v[2:3], v[2:3], v[4:5]
	s_waitcnt lgkmcnt(0)
	v_mul_f64 v[4:5], v[216:217], v[222:223]
	v_add_f64 v[110:111], v[110:111], v[116:117]
	v_mul_f64 v[116:117], v[214:215], v[222:223]
	v_fma_f64 v[4:5], v[214:215], v[224:225], -v[4:5]
	v_fmac_f64_e32 v[116:117], v[216:217], v[224:225]
	v_add_f64 v[2:3], v[2:3], v[4:5]
	v_add_f64 v[110:111], v[110:111], v[116:117]
	v_add_f64 v[2:3], v[46:47], -v[2:3]
	v_add_f64 v[4:5], v[44:45], -v[110:111]
	buffer_store_dword v3, off, s[0:3], 0 offset:244
	buffer_store_dword v2, off, s[0:3], 0 offset:240
	;; [unrolled: 1-line block ×4, first 2 shown]
	s_and_saveexec_b64 s[4:5], vcc
	s_cbranch_execz .LBB41_239
; %bb.238:
	v_accvgpr_read_b32 v0, a112
	buffer_load_dword v2, v0, s[0:3], 0 offen
	buffer_load_dword v3, v0, s[0:3], 0 offen offset:4
	buffer_load_dword v4, v0, s[0:3], 0 offen offset:8
	;; [unrolled: 1-line block ×3, first 2 shown]
	v_accvgpr_read_b32 v0, a126
	buffer_store_dword v136, off, s[0:3], 0 offset:224
	buffer_store_dword v136, off, s[0:3], 0 offset:228
	;; [unrolled: 1-line block ×4, first 2 shown]
	s_waitcnt vmcnt(4)
	ds_write_b128 v0, v[2:5]
.LBB41_239:
	s_or_b64 exec, exec, s[4:5]
	s_waitcnt lgkmcnt(0)
	; wave barrier
	s_waitcnt lgkmcnt(0)
	buffer_load_dword v34, off, s[0:3], 0 offset:240
	buffer_load_dword v35, off, s[0:3], 0 offset:244
	;; [unrolled: 1-line block ×32, first 2 shown]
	ds_read_b128 v[30:33], v136 offset:896
	ds_read_b128 v[26:29], v136 offset:912
	;; [unrolled: 1-line block ×8, first 2 shown]
	buffer_load_dword v67, off, s[0:3], 0 offset:380
	buffer_load_dword v66, off, s[0:3], 0 offset:376
	;; [unrolled: 1-line block ×24, first 2 shown]
	v_cmp_lt_u32_e32 vcc, 12, v118
	s_waitcnt vmcnt(52) lgkmcnt(7)
	v_mul_f64 v[90:91], v[30:31], v[38:39]
	v_fmac_f64_e32 v[90:91], v[32:33], v[34:35]
	v_add_f64 v[90:91], v[90:91], 0
	v_mul_f64 v[32:33], v[32:33], v[38:39]
	s_waitcnt vmcnt(48) lgkmcnt(6)
	v_mul_f64 v[92:93], v[26:27], v[40:41]
	v_fmac_f64_e32 v[92:93], v[28:29], v[36:37]
	s_waitcnt vmcnt(46) lgkmcnt(5)
	v_mul_f64 v[94:95], v[22:23], v[42:43]
	v_add_f64 v[90:91], v[90:91], v[92:93]
	s_waitcnt vmcnt(44) lgkmcnt(4)
	v_mul_f64 v[96:97], v[18:19], v[48:49]
	v_fma_f64 v[30:31], v[30:31], v[34:35], -v[32:33]
	s_waitcnt vmcnt(42) lgkmcnt(1)
	v_mul_f64 v[124:125], v[2:3], v[50:51]
	v_mul_f64 v[28:29], v[28:29], v[40:41]
	s_waitcnt vmcnt(18) lgkmcnt(0)
	v_mul_f64 v[140:141], v[14:15], v[70:71]
	v_mul_f64 v[100:101], v[6:7], v[54:55]
	s_waitcnt vmcnt(16)
	v_fmac_f64_e32 v[140:141], v[16:17], v[72:73]
	v_mul_f64 v[98:99], v[10:11], v[56:57]
	v_add_f64 v[30:31], v[30:31], 0
	v_fmac_f64_e32 v[98:99], v[12:13], v[58:59]
	v_fma_f64 v[26:27], v[26:27], v[36:37], -v[28:29]
	v_fmac_f64_e32 v[94:95], v[24:25], v[64:65]
	v_add_f64 v[90:91], v[90:91], v[94:95]
	v_fmac_f64_e32 v[96:97], v[20:21], v[62:63]
	v_add_f64 v[90:91], v[90:91], v[96:97]
	;; [unrolled: 2-line block ×3, first 2 shown]
	v_add_f64 v[126:127], v[90:91], v[100:101]
	buffer_load_dword v91, off, s[0:3], 0 offset:476
	buffer_load_dword v90, off, s[0:3], 0 offset:472
	;; [unrolled: 1-line block ×56, first 2 shown]
	v_fmac_f64_e32 v[124:125], v[4:5], v[52:53]
	v_add_f64 v[138:139], v[126:127], v[124:125]
	ds_read_b128 v[124:127], v136 offset:1024
	buffer_load_dword v231, off, s[0:3], 0 offset:684
	buffer_load_dword v230, off, s[0:3], 0 offset:680
	;; [unrolled: 1-line block ×4, first 2 shown]
	v_add_f64 v[142:143], v[138:139], v[140:141]
	ds_read_b128 v[138:141], v136 offset:1040
	v_mul_f64 v[24:25], v[24:25], v[42:43]
	s_waitcnt lgkmcnt(1)
	v_mul_f64 v[144:145], v[124:125], v[66:67]
	v_fmac_f64_e32 v[144:145], v[126:127], v[68:69]
	v_add_f64 v[146:147], v[142:143], v[144:145]
	ds_read_b128 v[142:145], v136 offset:1056
	s_waitcnt vmcnt(62) lgkmcnt(1)
	v_mul_f64 v[148:149], v[138:139], v[78:79]
	v_fmac_f64_e32 v[148:149], v[140:141], v[80:81]
	v_add_f64 v[150:151], v[146:147], v[148:149]
	ds_read_b128 v[146:149], v136 offset:1072
	s_waitcnt lgkmcnt(1)
	v_mul_f64 v[152:153], v[142:143], v[74:75]
	v_fmac_f64_e32 v[152:153], v[144:145], v[76:77]
	v_add_f64 v[154:155], v[150:151], v[152:153]
	ds_read_b128 v[150:153], v136 offset:1088
	s_waitcnt lgkmcnt(1)
	v_mul_f64 v[156:157], v[146:147], v[86:87]
	s_waitcnt vmcnt(60)
	v_fmac_f64_e32 v[156:157], v[148:149], v[88:89]
	v_add_f64 v[158:159], v[154:155], v[156:157]
	ds_read_b128 v[154:157], v136 offset:1104
	s_waitcnt lgkmcnt(1)
	v_mul_f64 v[160:161], v[150:151], v[82:83]
	v_fmac_f64_e32 v[160:161], v[152:153], v[84:85]
	v_add_f64 v[162:163], v[158:159], v[160:161]
	ds_read_b128 v[158:161], v136 offset:1120
	v_add_f64 v[26:27], v[30:31], v[26:27]
	v_fma_f64 v[22:23], v[22:23], v[64:65], -v[24:25]
	s_waitcnt vmcnt(54) lgkmcnt(1)
	v_mul_f64 v[164:165], v[154:155], v[94:95]
	v_mul_f64 v[20:21], v[20:21], v[48:49]
	s_waitcnt vmcnt(52)
	v_fmac_f64_e32 v[164:165], v[156:157], v[96:97]
	v_add_f64 v[166:167], v[162:163], v[164:165]
	ds_read_b128 v[162:165], v136 offset:1136
	s_waitcnt lgkmcnt(1)
	v_mul_f64 v[168:169], v[158:159], v[90:91]
	v_fmac_f64_e32 v[168:169], v[160:161], v[92:93]
	v_add_f64 v[22:23], v[26:27], v[22:23]
	v_fma_f64 v[18:19], v[18:19], v[62:63], -v[20:21]
	v_mul_f64 v[12:13], v[12:13], v[56:57]
	v_add_f64 v[170:171], v[166:167], v[168:169]
	ds_read_b128 v[166:169], v136 offset:1152
	v_add_f64 v[18:19], v[22:23], v[18:19]
	v_fma_f64 v[10:11], v[10:11], v[58:59], -v[12:13]
	v_mul_f64 v[8:9], v[8:9], v[54:55]
	v_add_f64 v[10:11], v[18:19], v[10:11]
	v_fma_f64 v[6:7], v[6:7], v[60:61], -v[8:9]
	v_mul_f64 v[4:5], v[4:5], v[50:51]
	;; [unrolled: 3-line block ×3, first 2 shown]
	s_waitcnt vmcnt(46) lgkmcnt(1)
	v_mul_f64 v[172:173], v[162:163], v[102:103]
	v_add_f64 v[2:3], v[6:7], v[2:3]
	v_fma_f64 v[4:5], v[14:15], v[72:73], -v[4:5]
	s_waitcnt vmcnt(44)
	v_fmac_f64_e32 v[172:173], v[164:165], v[104:105]
	v_add_f64 v[2:3], v[2:3], v[4:5]
	v_mul_f64 v[4:5], v[126:127], v[66:67]
	v_add_f64 v[174:175], v[170:171], v[172:173]
	ds_read_b128 v[170:173], v136 offset:1168
	s_waitcnt lgkmcnt(1)
	v_mul_f64 v[176:177], v[166:167], v[98:99]
	v_fma_f64 v[4:5], v[124:125], v[68:69], -v[4:5]
	v_fmac_f64_e32 v[176:177], v[168:169], v[100:101]
	v_add_f64 v[2:3], v[2:3], v[4:5]
	v_mul_f64 v[4:5], v[140:141], v[78:79]
	v_add_f64 v[178:179], v[174:175], v[176:177]
	ds_read_b128 v[174:177], v136 offset:1184
	v_fma_f64 v[4:5], v[138:139], v[80:81], -v[4:5]
	v_add_f64 v[2:3], v[2:3], v[4:5]
	v_mul_f64 v[4:5], v[144:145], v[74:75]
	v_fma_f64 v[4:5], v[142:143], v[76:77], -v[4:5]
	s_waitcnt vmcnt(38) lgkmcnt(1)
	v_mul_f64 v[180:181], v[170:171], v[110:111]
	v_add_f64 v[2:3], v[2:3], v[4:5]
	v_mul_f64 v[4:5], v[148:149], v[86:87]
	s_waitcnt vmcnt(36)
	v_fmac_f64_e32 v[180:181], v[172:173], v[112:113]
	v_fma_f64 v[4:5], v[146:147], v[88:89], -v[4:5]
	v_add_f64 v[182:183], v[178:179], v[180:181]
	ds_read_b128 v[178:181], v136 offset:1200
	s_waitcnt lgkmcnt(1)
	v_mul_f64 v[184:185], v[174:175], v[106:107]
	v_add_f64 v[2:3], v[2:3], v[4:5]
	v_mul_f64 v[4:5], v[152:153], v[82:83]
	v_fmac_f64_e32 v[184:185], v[176:177], v[108:109]
	v_fma_f64 v[4:5], v[150:151], v[84:85], -v[4:5]
	v_add_f64 v[186:187], v[182:183], v[184:185]
	ds_read_b128 v[182:185], v136 offset:1216
	v_add_f64 v[2:3], v[2:3], v[4:5]
	v_mul_f64 v[4:5], v[156:157], v[94:95]
	v_fma_f64 v[4:5], v[154:155], v[96:97], -v[4:5]
	v_add_f64 v[2:3], v[2:3], v[4:5]
	v_mul_f64 v[4:5], v[160:161], v[90:91]
	s_waitcnt vmcnt(30) lgkmcnt(1)
	v_mul_f64 v[188:189], v[178:179], v[120:121]
	v_fma_f64 v[4:5], v[158:159], v[92:93], -v[4:5]
	s_waitcnt vmcnt(28)
	v_fmac_f64_e32 v[188:189], v[180:181], v[122:123]
	v_add_f64 v[2:3], v[2:3], v[4:5]
	v_mul_f64 v[4:5], v[164:165], v[102:103]
	v_add_f64 v[190:191], v[186:187], v[188:189]
	ds_read_b128 v[186:189], v136 offset:1232
	s_waitcnt lgkmcnt(1)
	v_mul_f64 v[192:193], v[182:183], v[114:115]
	v_fma_f64 v[4:5], v[162:163], v[104:105], -v[4:5]
	v_fmac_f64_e32 v[192:193], v[184:185], v[116:117]
	v_add_f64 v[2:3], v[2:3], v[4:5]
	v_mul_f64 v[4:5], v[168:169], v[98:99]
	v_add_f64 v[202:203], v[190:191], v[192:193]
	ds_read_b128 v[190:193], v136 offset:1248
	v_fma_f64 v[4:5], v[166:167], v[100:101], -v[4:5]
	v_add_f64 v[2:3], v[2:3], v[4:5]
	v_mul_f64 v[4:5], v[172:173], v[110:111]
	v_fma_f64 v[4:5], v[170:171], v[112:113], -v[4:5]
	s_waitcnt vmcnt(22) lgkmcnt(1)
	v_mul_f64 v[204:205], v[186:187], v[132:133]
	v_add_f64 v[2:3], v[2:3], v[4:5]
	v_mul_f64 v[4:5], v[176:177], v[106:107]
	s_waitcnt vmcnt(20)
	v_fmac_f64_e32 v[204:205], v[188:189], v[134:135]
	v_fma_f64 v[4:5], v[174:175], v[108:109], -v[4:5]
	v_add_f64 v[206:207], v[202:203], v[204:205]
	ds_read_b128 v[202:205], v136 offset:1264
	s_waitcnt lgkmcnt(1)
	v_mul_f64 v[208:209], v[190:191], v[128:129]
	v_add_f64 v[2:3], v[2:3], v[4:5]
	v_mul_f64 v[4:5], v[180:181], v[120:121]
	v_fmac_f64_e32 v[208:209], v[192:193], v[130:131]
	v_fma_f64 v[4:5], v[178:179], v[122:123], -v[4:5]
	v_add_f64 v[210:211], v[206:207], v[208:209]
	ds_read_b128 v[206:209], v136 offset:1280
	v_add_f64 v[2:3], v[2:3], v[4:5]
	v_mul_f64 v[4:5], v[184:185], v[114:115]
	v_fma_f64 v[4:5], v[182:183], v[116:117], -v[4:5]
	v_add_f64 v[2:3], v[2:3], v[4:5]
	v_mul_f64 v[4:5], v[188:189], v[132:133]
	s_waitcnt vmcnt(14) lgkmcnt(1)
	v_mul_f64 v[212:213], v[202:203], v[198:199]
	v_fma_f64 v[4:5], v[186:187], v[134:135], -v[4:5]
	s_waitcnt vmcnt(12)
	v_fmac_f64_e32 v[212:213], v[204:205], v[200:201]
	v_add_f64 v[2:3], v[2:3], v[4:5]
	v_mul_f64 v[4:5], v[192:193], v[128:129]
	v_add_f64 v[214:215], v[210:211], v[212:213]
	ds_read_b128 v[210:213], v136 offset:1296
	s_waitcnt lgkmcnt(1)
	v_mul_f64 v[216:217], v[206:207], v[194:195]
	v_fma_f64 v[4:5], v[190:191], v[130:131], -v[4:5]
	v_fmac_f64_e32 v[216:217], v[208:209], v[196:197]
	v_add_f64 v[2:3], v[2:3], v[4:5]
	v_mul_f64 v[4:5], v[204:205], v[198:199]
	v_add_f64 v[234:235], v[214:215], v[216:217]
	ds_read_b128 v[214:217], v136 offset:1312
	v_fma_f64 v[4:5], v[202:203], v[200:201], -v[4:5]
	v_add_f64 v[2:3], v[2:3], v[4:5]
	v_mul_f64 v[4:5], v[208:209], v[194:195]
	ds_read_b128 v[218:221], v136 offset:1328
	v_fma_f64 v[4:5], v[206:207], v[196:197], -v[4:5]
	v_add_f64 v[2:3], v[2:3], v[4:5]
	s_waitcnt vmcnt(6) lgkmcnt(2)
	v_mul_f64 v[4:5], v[212:213], v[226:227]
	v_mul_f64 v[236:237], v[210:211], v[226:227]
	s_waitcnt vmcnt(4)
	v_fma_f64 v[4:5], v[210:211], v[228:229], -v[4:5]
	v_fmac_f64_e32 v[236:237], v[212:213], v[228:229]
	v_add_f64 v[2:3], v[2:3], v[4:5]
	s_waitcnt lgkmcnt(1)
	v_mul_f64 v[4:5], v[216:217], v[222:223]
	v_add_f64 v[136:137], v[234:235], v[236:237]
	v_mul_f64 v[234:235], v[214:215], v[222:223]
	v_fma_f64 v[4:5], v[214:215], v[224:225], -v[4:5]
	v_fmac_f64_e32 v[234:235], v[216:217], v[224:225]
	v_add_f64 v[2:3], v[2:3], v[4:5]
	s_waitcnt vmcnt(2) lgkmcnt(0)
	v_mul_f64 v[4:5], v[220:221], v[230:231]
	v_add_f64 v[136:137], v[136:137], v[234:235]
	v_mul_f64 v[234:235], v[218:219], v[230:231]
	s_waitcnt vmcnt(0)
	v_fma_f64 v[4:5], v[218:219], v[232:233], -v[4:5]
	v_fmac_f64_e32 v[234:235], v[220:221], v[232:233]
	v_add_f64 v[2:3], v[2:3], v[4:5]
	v_add_f64 v[136:137], v[136:137], v[234:235]
	v_add_f64 v[2:3], v[46:47], -v[2:3]
	v_add_f64 v[4:5], v[44:45], -v[136:137]
	buffer_store_dword v3, off, s[0:3], 0 offset:228
	buffer_store_dword v2, off, s[0:3], 0 offset:224
	;; [unrolled: 1-line block ×4, first 2 shown]
	s_and_saveexec_b64 s[4:5], vcc
	s_cbranch_execz .LBB41_241
; %bb.240:
	v_accvgpr_read_b32 v0, a113
	buffer_load_dword v2, v0, s[0:3], 0 offen
	buffer_load_dword v3, v0, s[0:3], 0 offen offset:4
	buffer_load_dword v4, v0, s[0:3], 0 offen offset:8
	buffer_load_dword v5, v0, s[0:3], 0 offen offset:12
	v_mov_b32_e32 v0, 0
	v_accvgpr_read_b32 v1, a126
	buffer_store_dword v0, off, s[0:3], 0 offset:208
	buffer_store_dword v0, off, s[0:3], 0 offset:212
	;; [unrolled: 1-line block ×4, first 2 shown]
	s_waitcnt vmcnt(4)
	ds_write_b128 v1, v[2:5]
.LBB41_241:
	s_or_b64 exec, exec, s[4:5]
	s_waitcnt lgkmcnt(0)
	; wave barrier
	s_waitcnt lgkmcnt(0)
	buffer_load_dword v38, off, s[0:3], 0 offset:224
	buffer_load_dword v39, off, s[0:3], 0 offset:228
	;; [unrolled: 1-line block ×48, first 2 shown]
	v_mov_b32_e32 v152, 0
	ds_read_b128 v[34:37], v152 offset:880
	ds_read_b128 v[30:33], v152 offset:896
	;; [unrolled: 1-line block ×9, first 2 shown]
	v_cmp_lt_u32_e32 vcc, 11, v118
	s_waitcnt vmcnt(44) lgkmcnt(8)
	v_mul_f64 v[86:87], v[34:35], v[42:43]
	v_fmac_f64_e32 v[86:87], v[36:37], v[38:39]
	v_add_f64 v[86:87], v[86:87], 0
	v_mul_f64 v[36:37], v[36:37], v[42:43]
	s_waitcnt vmcnt(40) lgkmcnt(7)
	v_mul_f64 v[88:89], v[30:31], v[44:45]
	v_fmac_f64_e32 v[88:89], v[32:33], v[40:41]
	s_waitcnt vmcnt(38) lgkmcnt(6)
	v_mul_f64 v[90:91], v[26:27], v[46:47]
	v_add_f64 v[86:87], v[86:87], v[88:89]
	s_waitcnt vmcnt(36) lgkmcnt(4)
	v_mul_f64 v[94:95], v[18:19], v[48:49]
	v_fma_f64 v[34:35], v[34:35], v[38:39], -v[36:37]
	s_waitcnt vmcnt(34)
	v_fmac_f64_e32 v[94:95], v[20:21], v[50:51]
	v_mul_f64 v[32:33], v[32:33], v[44:45]
	s_waitcnt vmcnt(32)
	v_mul_f64 v[92:93], v[22:23], v[52:53]
	v_add_f64 v[34:35], v[34:35], 0
	s_waitcnt vmcnt(30) lgkmcnt(2)
	v_mul_f64 v[98:99], v[10:11], v[54:55]
	v_fma_f64 v[30:31], v[30:31], v[40:41], -v[32:33]
	s_waitcnt vmcnt(28)
	v_fmac_f64_e32 v[98:99], v[12:13], v[56:57]
	v_add_f64 v[30:31], v[34:35], v[30:31]
	s_waitcnt vmcnt(26)
	v_mul_f64 v[96:97], v[14:15], v[58:59]
	v_mul_f64 v[20:21], v[20:21], v[48:49]
	v_fma_f64 v[18:19], v[18:19], v[50:51], -v[20:21]
	v_mul_f64 v[12:13], v[12:13], v[54:55]
	s_waitcnt vmcnt(22) lgkmcnt(1)
	v_mul_f64 v[110:111], v[6:7], v[68:69]
	v_fma_f64 v[10:11], v[10:11], v[56:57], -v[12:13]
	s_waitcnt vmcnt(20)
	v_fmac_f64_e32 v[90:91], v[28:29], v[76:77]
	v_add_f64 v[86:87], v[86:87], v[90:91]
	s_waitcnt vmcnt(18)
	v_fmac_f64_e32 v[92:93], v[24:25], v[74:75]
	v_add_f64 v[86:87], v[86:87], v[92:93]
	;; [unrolled: 3-line block ×3, first 2 shown]
	v_add_f64 v[86:87], v[86:87], v[96:97]
	v_add_f64 v[112:113], v[86:87], v[98:99]
	buffer_load_dword v87, off, s[0:3], 0 offset:428
	buffer_load_dword v86, off, s[0:3], 0 offset:424
	;; [unrolled: 1-line block ×72, first 2 shown]
	s_waitcnt vmcnt(62)
	v_fmac_f64_e32 v[110:111], v[8:9], v[70:71]
	v_add_f64 v[144:145], v[112:113], v[110:111]
	ds_read_b128 v[110:113], v152 offset:1024
	s_waitcnt lgkmcnt(1)
	v_mul_f64 v[146:147], v[2:3], v[64:65]
	v_fmac_f64_e32 v[146:147], v[4:5], v[66:67]
	v_add_f64 v[148:149], v[144:145], v[146:147]
	ds_read_b128 v[144:147], v152 offset:1040
	s_waitcnt lgkmcnt(1)
	v_mul_f64 v[150:151], v[110:111], v[82:83]
	;; [unrolled: 5-line block ×5, first 2 shown]
	v_fmac_f64_e32 v[164:165], v[156:157], v[88:89]
	v_add_f64 v[166:167], v[162:163], v[164:165]
	ds_read_b128 v[162:165], v152 offset:1104
	s_waitcnt vmcnt(58) lgkmcnt(1)
	v_mul_f64 v[168:169], v[158:159], v[98:99]
	s_waitcnt vmcnt(56)
	v_fmac_f64_e32 v[168:169], v[160:161], v[100:101]
	v_add_f64 v[170:171], v[166:167], v[168:169]
	ds_read_b128 v[166:169], v152 offset:1120
	s_waitcnt lgkmcnt(1)
	v_mul_f64 v[172:173], v[162:163], v[94:95]
	v_fmac_f64_e32 v[172:173], v[164:165], v[96:97]
	v_mul_f64 v[28:29], v[28:29], v[46:47]
	v_add_f64 v[174:175], v[170:171], v[172:173]
	ds_read_b128 v[170:173], v152 offset:1136
	s_waitcnt vmcnt(50) lgkmcnt(1)
	v_mul_f64 v[176:177], v[166:167], v[106:107]
	v_fma_f64 v[26:27], v[26:27], v[76:77], -v[28:29]
	v_mul_f64 v[24:25], v[24:25], v[52:53]
	s_waitcnt vmcnt(48)
	v_fmac_f64_e32 v[176:177], v[168:169], v[108:109]
	v_add_f64 v[26:27], v[30:31], v[26:27]
	v_fma_f64 v[22:23], v[22:23], v[74:75], -v[24:25]
	v_add_f64 v[178:179], v[174:175], v[176:177]
	ds_read_b128 v[174:177], v152 offset:1152
	v_add_f64 v[22:23], v[26:27], v[22:23]
	v_mul_f64 v[16:17], v[16:17], v[58:59]
	v_add_f64 v[18:19], v[22:23], v[18:19]
	v_fma_f64 v[14:15], v[14:15], v[72:73], -v[16:17]
	v_add_f64 v[14:15], v[18:19], v[14:15]
	v_mul_f64 v[8:9], v[8:9], v[68:69]
	s_waitcnt lgkmcnt(1)
	v_mul_f64 v[180:181], v[170:171], v[102:103]
	v_add_f64 v[10:11], v[14:15], v[10:11]
	v_fma_f64 v[6:7], v[6:7], v[70:71], -v[8:9]
	v_mul_f64 v[4:5], v[4:5], v[64:65]
	v_fmac_f64_e32 v[180:181], v[172:173], v[104:105]
	v_add_f64 v[6:7], v[10:11], v[6:7]
	v_fma_f64 v[2:3], v[2:3], v[66:67], -v[4:5]
	v_mul_f64 v[4:5], v[112:113], v[82:83]
	v_add_f64 v[182:183], v[178:179], v[180:181]
	ds_read_b128 v[178:181], v152 offset:1168
	s_waitcnt vmcnt(42) lgkmcnt(1)
	v_mul_f64 v[184:185], v[174:175], v[120:121]
	v_add_f64 v[2:3], v[6:7], v[2:3]
	v_fma_f64 v[4:5], v[110:111], v[84:85], -v[4:5]
	s_waitcnt vmcnt(40)
	v_fmac_f64_e32 v[184:185], v[176:177], v[122:123]
	v_add_f64 v[2:3], v[2:3], v[4:5]
	v_mul_f64 v[4:5], v[146:147], v[78:79]
	v_add_f64 v[186:187], v[182:183], v[184:185]
	ds_read_b128 v[182:185], v152 offset:1184
	v_fma_f64 v[4:5], v[144:145], v[80:81], -v[4:5]
	v_add_f64 v[2:3], v[2:3], v[4:5]
	v_mul_f64 v[4:5], v[150:151], v[90:91]
	v_fma_f64 v[4:5], v[148:149], v[92:93], -v[4:5]
	s_waitcnt lgkmcnt(1)
	v_mul_f64 v[188:189], v[178:179], v[114:115]
	v_add_f64 v[2:3], v[2:3], v[4:5]
	v_mul_f64 v[4:5], v[156:157], v[86:87]
	v_fmac_f64_e32 v[188:189], v[180:181], v[116:117]
	v_fma_f64 v[4:5], v[154:155], v[88:89], -v[4:5]
	v_add_f64 v[190:191], v[186:187], v[188:189]
	ds_read_b128 v[186:189], v152 offset:1200
	s_waitcnt vmcnt(34) lgkmcnt(1)
	v_mul_f64 v[192:193], v[182:183], v[128:129]
	v_add_f64 v[2:3], v[2:3], v[4:5]
	v_mul_f64 v[4:5], v[160:161], v[98:99]
	s_waitcnt vmcnt(32)
	v_fmac_f64_e32 v[192:193], v[184:185], v[130:131]
	v_fma_f64 v[4:5], v[158:159], v[100:101], -v[4:5]
	v_add_f64 v[202:203], v[190:191], v[192:193]
	ds_read_b128 v[190:193], v152 offset:1216
	v_add_f64 v[2:3], v[2:3], v[4:5]
	v_mul_f64 v[4:5], v[164:165], v[94:95]
	v_fma_f64 v[4:5], v[162:163], v[96:97], -v[4:5]
	v_add_f64 v[2:3], v[2:3], v[4:5]
	v_mul_f64 v[4:5], v[168:169], v[106:107]
	s_waitcnt lgkmcnt(1)
	v_mul_f64 v[204:205], v[186:187], v[124:125]
	v_fma_f64 v[4:5], v[166:167], v[108:109], -v[4:5]
	v_fmac_f64_e32 v[204:205], v[188:189], v[126:127]
	v_add_f64 v[2:3], v[2:3], v[4:5]
	v_mul_f64 v[4:5], v[172:173], v[102:103]
	v_add_f64 v[206:207], v[202:203], v[204:205]
	ds_read_b128 v[202:205], v152 offset:1232
	s_waitcnt vmcnt(26) lgkmcnt(1)
	v_mul_f64 v[208:209], v[190:191], v[136:137]
	v_fma_f64 v[4:5], v[170:171], v[104:105], -v[4:5]
	s_waitcnt vmcnt(24)
	v_fmac_f64_e32 v[208:209], v[192:193], v[138:139]
	v_add_f64 v[2:3], v[2:3], v[4:5]
	v_mul_f64 v[4:5], v[176:177], v[120:121]
	v_add_f64 v[210:211], v[206:207], v[208:209]
	ds_read_b128 v[206:209], v152 offset:1248
	v_fma_f64 v[4:5], v[174:175], v[122:123], -v[4:5]
	v_add_f64 v[2:3], v[2:3], v[4:5]
	v_mul_f64 v[4:5], v[180:181], v[114:115]
	v_fma_f64 v[4:5], v[178:179], v[116:117], -v[4:5]
	s_waitcnt lgkmcnt(1)
	v_mul_f64 v[212:213], v[202:203], v[132:133]
	v_add_f64 v[2:3], v[2:3], v[4:5]
	v_mul_f64 v[4:5], v[184:185], v[128:129]
	v_fmac_f64_e32 v[212:213], v[204:205], v[134:135]
	v_fma_f64 v[4:5], v[182:183], v[130:131], -v[4:5]
	v_add_f64 v[214:215], v[210:211], v[212:213]
	ds_read_b128 v[210:213], v152 offset:1264
	s_waitcnt vmcnt(18) lgkmcnt(1)
	v_mul_f64 v[216:217], v[206:207], v[194:195]
	v_add_f64 v[2:3], v[2:3], v[4:5]
	v_mul_f64 v[4:5], v[188:189], v[124:125]
	s_waitcnt vmcnt(16)
	v_fmac_f64_e32 v[216:217], v[208:209], v[196:197]
	v_fma_f64 v[4:5], v[186:187], v[126:127], -v[4:5]
	v_add_f64 v[218:219], v[214:215], v[216:217]
	ds_read_b128 v[214:217], v152 offset:1280
	v_add_f64 v[2:3], v[2:3], v[4:5]
	v_mul_f64 v[4:5], v[192:193], v[136:137]
	v_fma_f64 v[4:5], v[190:191], v[138:139], -v[4:5]
	v_add_f64 v[2:3], v[2:3], v[4:5]
	v_mul_f64 v[4:5], v[204:205], v[132:133]
	s_waitcnt lgkmcnt(1)
	v_mul_f64 v[220:221], v[210:211], v[140:141]
	v_fma_f64 v[4:5], v[202:203], v[134:135], -v[4:5]
	v_fmac_f64_e32 v[220:221], v[212:213], v[142:143]
	v_add_f64 v[2:3], v[2:3], v[4:5]
	v_mul_f64 v[4:5], v[208:209], v[194:195]
	v_add_f64 v[222:223], v[218:219], v[220:221]
	ds_read_b128 v[218:221], v152 offset:1296
	s_waitcnt vmcnt(10) lgkmcnt(1)
	v_mul_f64 v[224:225], v[214:215], v[230:231]
	v_fma_f64 v[4:5], v[206:207], v[196:197], -v[4:5]
	s_waitcnt vmcnt(8)
	v_fmac_f64_e32 v[224:225], v[216:217], v[232:233]
	v_add_f64 v[2:3], v[2:3], v[4:5]
	v_mul_f64 v[4:5], v[212:213], v[140:141]
	v_add_f64 v[242:243], v[222:223], v[224:225]
	ds_read_b128 v[222:225], v152 offset:1312
	ds_read_b128 v[226:229], v152 offset:1328
	v_fma_f64 v[4:5], v[210:211], v[142:143], -v[4:5]
	v_add_f64 v[2:3], v[2:3], v[4:5]
	v_mul_f64 v[4:5], v[216:217], v[230:231]
	v_fma_f64 v[4:5], v[214:215], v[232:233], -v[4:5]
	v_add_f64 v[2:3], v[2:3], v[4:5]
	s_waitcnt lgkmcnt(2)
	v_mul_f64 v[4:5], v[220:221], v[198:199]
	v_mul_f64 v[244:245], v[218:219], v[198:199]
	v_fma_f64 v[4:5], v[218:219], v[200:201], -v[4:5]
	v_fmac_f64_e32 v[244:245], v[220:221], v[200:201]
	v_add_f64 v[2:3], v[2:3], v[4:5]
	s_waitcnt vmcnt(2) lgkmcnt(1)
	v_mul_f64 v[4:5], v[224:225], v[238:239]
	v_add_f64 v[242:243], v[242:243], v[244:245]
	v_mul_f64 v[244:245], v[222:223], v[238:239]
	s_waitcnt vmcnt(0)
	v_fma_f64 v[4:5], v[222:223], v[240:241], -v[4:5]
	v_fmac_f64_e32 v[244:245], v[224:225], v[240:241]
	v_add_f64 v[2:3], v[2:3], v[4:5]
	s_waitcnt lgkmcnt(0)
	v_mul_f64 v[4:5], v[228:229], v[234:235]
	v_add_f64 v[242:243], v[242:243], v[244:245]
	v_mul_f64 v[244:245], v[226:227], v[234:235]
	v_fma_f64 v[4:5], v[226:227], v[236:237], -v[4:5]
	v_fmac_f64_e32 v[244:245], v[228:229], v[236:237]
	v_add_f64 v[2:3], v[2:3], v[4:5]
	v_add_f64 v[242:243], v[242:243], v[244:245]
	v_add_f64 v[2:3], v[62:63], -v[2:3]
	v_add_f64 v[4:5], v[60:61], -v[242:243]
	buffer_store_dword v3, off, s[0:3], 0 offset:212
	buffer_store_dword v2, off, s[0:3], 0 offset:208
	;; [unrolled: 1-line block ×4, first 2 shown]
	s_and_saveexec_b64 s[4:5], vcc
	s_cbranch_execz .LBB41_243
; %bb.242:
	v_accvgpr_read_b32 v0, a114
	buffer_load_dword v2, v0, s[0:3], 0 offen
	buffer_load_dword v3, v0, s[0:3], 0 offen offset:4
	buffer_load_dword v4, v0, s[0:3], 0 offen offset:8
	;; [unrolled: 1-line block ×3, first 2 shown]
	v_accvgpr_read_b32 v0, a126
	buffer_store_dword v152, off, s[0:3], 0 offset:192
	buffer_store_dword v152, off, s[0:3], 0 offset:196
	;; [unrolled: 1-line block ×4, first 2 shown]
	s_waitcnt vmcnt(4)
	ds_write_b128 v0, v[2:5]
.LBB41_243:
	s_or_b64 exec, exec, s[4:5]
	s_waitcnt lgkmcnt(0)
	; wave barrier
	s_waitcnt lgkmcnt(0)
	buffer_load_dword v48, off, s[0:3], 0 offset:208
	buffer_load_dword v49, off, s[0:3], 0 offset:212
	;; [unrolled: 1-line block ×40, first 2 shown]
	ds_read_b128 v[38:41], v152 offset:864
	ds_read_b128 v[34:37], v152 offset:880
	;; [unrolled: 1-line block ×10, first 2 shown]
	buffer_load_dword v83, off, s[0:3], 0 offset:380
	buffer_load_dword v82, off, s[0:3], 0 offset:376
	;; [unrolled: 1-line block ×8, first 2 shown]
	v_cmp_lt_u32_e32 vcc, 10, v118
	s_waitcnt vmcnt(44) lgkmcnt(9)
	v_mul_f64 v[90:91], v[38:39], v[50:51]
	v_fmac_f64_e32 v[90:91], v[40:41], v[48:49]
	v_add_f64 v[90:91], v[90:91], 0
	v_mul_f64 v[40:41], v[40:41], v[50:51]
	s_waitcnt vmcnt(40) lgkmcnt(8)
	v_mul_f64 v[92:93], v[34:35], v[44:45]
	v_fmac_f64_e32 v[92:93], v[36:37], v[42:43]
	s_waitcnt vmcnt(38) lgkmcnt(7)
	v_mul_f64 v[94:95], v[30:31], v[46:47]
	v_add_f64 v[90:91], v[90:91], v[92:93]
	s_waitcnt vmcnt(36) lgkmcnt(5)
	v_mul_f64 v[98:99], v[22:23], v[52:53]
	v_mul_f64 v[36:37], v[36:37], v[44:45]
	s_waitcnt vmcnt(34)
	v_fmac_f64_e32 v[98:99], v[24:25], v[54:55]
	v_fma_f64 v[34:35], v[34:35], v[42:43], -v[36:37]
	s_waitcnt vmcnt(32)
	v_mul_f64 v[96:97], v[26:27], v[56:57]
	v_mul_f64 v[24:25], v[24:25], v[52:53]
	s_waitcnt vmcnt(30) lgkmcnt(4)
	v_mul_f64 v[100:101], v[18:19], v[62:63]
	v_fma_f64 v[22:23], v[22:23], v[54:55], -v[24:25]
	s_waitcnt vmcnt(28) lgkmcnt(1)
	v_mul_f64 v[124:125], v[2:3], v[64:65]
	s_waitcnt vmcnt(25)
	v_mul_f64 v[104:105], v[6:7], v[68:69]
	s_waitcnt vmcnt(23)
	;; [unrolled: 2-line block ×3, first 2 shown]
	v_fmac_f64_e32 v[102:103], v[12:13], v[72:73]
	v_mul_f64 v[12:13], v[12:13], v[70:71]
	s_waitcnt vmcnt(19)
	v_fmac_f64_e32 v[94:95], v[32:33], v[80:81]
	v_add_f64 v[90:91], v[90:91], v[94:95]
	s_waitcnt vmcnt(17)
	v_fmac_f64_e32 v[96:97], v[28:29], v[78:79]
	v_add_f64 v[90:91], v[90:91], v[96:97]
	;; [unrolled: 3-line block ×3, first 2 shown]
	v_add_f64 v[90:91], v[90:91], v[100:101]
	s_waitcnt vmcnt(13)
	v_fmac_f64_e32 v[104:105], v[8:9], v[74:75]
	v_add_f64 v[90:91], v[90:91], v[102:103]
	v_add_f64 v[126:127], v[90:91], v[104:105]
	buffer_load_dword v91, off, s[0:3], 0 offset:412
	buffer_load_dword v90, off, s[0:3], 0 offset:408
	;; [unrolled: 1-line block ×72, first 2 shown]
	s_waitcnt vmcnt(62)
	v_fmac_f64_e32 v[124:125], v[4:5], v[66:67]
	v_add_f64 v[154:155], v[126:127], v[124:125]
	ds_read_b128 v[124:127], v152 offset:1024
	buffer_load_dword v239, off, s[0:3], 0 offset:684
	buffer_load_dword v238, off, s[0:3], 0 offset:680
	;; [unrolled: 1-line block ×4, first 2 shown]
	s_waitcnt lgkmcnt(1)
	v_mul_f64 v[156:157], v[14:15], v[86:87]
	v_fmac_f64_e32 v[156:157], v[16:17], v[88:89]
	v_add_f64 v[158:159], v[154:155], v[156:157]
	ds_read_b128 v[154:157], v152 offset:1040
	s_waitcnt lgkmcnt(1)
	v_mul_f64 v[160:161], v[124:125], v[82:83]
	v_fmac_f64_e32 v[160:161], v[126:127], v[84:85]
	v_add_f64 v[162:163], v[158:159], v[160:161]
	ds_read_b128 v[158:161], v152 offset:1056
	v_mul_f64 v[32:33], v[32:33], v[46:47]
	s_waitcnt lgkmcnt(1)
	v_mul_f64 v[164:165], v[154:155], v[94:95]
	v_fma_f64 v[30:31], v[30:31], v[80:81], -v[32:33]
	v_fmac_f64_e32 v[164:165], v[156:157], v[96:97]
	v_add_f64 v[166:167], v[162:163], v[164:165]
	ds_read_b128 v[162:165], v152 offset:1072
	s_waitcnt lgkmcnt(1)
	v_mul_f64 v[168:169], v[158:159], v[90:91]
	v_fmac_f64_e32 v[168:169], v[160:161], v[92:93]
	v_add_f64 v[170:171], v[166:167], v[168:169]
	ds_read_b128 v[166:169], v152 offset:1088
	s_waitcnt vmcnt(62) lgkmcnt(1)
	v_mul_f64 v[172:173], v[162:163], v[102:103]
	s_waitcnt vmcnt(60)
	v_fmac_f64_e32 v[172:173], v[164:165], v[104:105]
	v_add_f64 v[174:175], v[170:171], v[172:173]
	ds_read_b128 v[170:173], v152 offset:1104
	s_waitcnt lgkmcnt(1)
	v_mul_f64 v[176:177], v[166:167], v[98:99]
	v_fmac_f64_e32 v[176:177], v[168:169], v[100:101]
	v_add_f64 v[178:179], v[174:175], v[176:177]
	ds_read_b128 v[174:177], v152 offset:1120
	s_waitcnt vmcnt(54) lgkmcnt(1)
	v_mul_f64 v[180:181], v[170:171], v[110:111]
	s_waitcnt vmcnt(52)
	v_fmac_f64_e32 v[180:181], v[172:173], v[112:113]
	v_add_f64 v[182:183], v[178:179], v[180:181]
	ds_read_b128 v[178:181], v152 offset:1136
	s_waitcnt lgkmcnt(1)
	v_mul_f64 v[184:185], v[174:175], v[106:107]
	v_fmac_f64_e32 v[184:185], v[176:177], v[108:109]
	v_add_f64 v[186:187], v[182:183], v[184:185]
	ds_read_b128 v[182:185], v152 offset:1152
	s_waitcnt vmcnt(46) lgkmcnt(1)
	v_mul_f64 v[188:189], v[178:179], v[120:121]
	s_waitcnt vmcnt(44)
	v_fmac_f64_e32 v[188:189], v[180:181], v[122:123]
	v_add_f64 v[190:191], v[186:187], v[188:189]
	ds_read_b128 v[186:189], v152 offset:1168
	s_waitcnt lgkmcnt(1)
	v_mul_f64 v[192:193], v[182:183], v[114:115]
	v_fmac_f64_e32 v[192:193], v[184:185], v[116:117]
	v_add_f64 v[202:203], v[190:191], v[192:193]
	ds_read_b128 v[190:193], v152 offset:1184
	s_waitcnt vmcnt(38) lgkmcnt(1)
	v_mul_f64 v[204:205], v[186:187], v[132:133]
	s_waitcnt vmcnt(36)
	v_fmac_f64_e32 v[204:205], v[188:189], v[134:135]
	v_add_f64 v[206:207], v[202:203], v[204:205]
	ds_read_b128 v[202:205], v152 offset:1200
	s_waitcnt lgkmcnt(1)
	v_mul_f64 v[208:209], v[190:191], v[128:129]
	v_fmac_f64_e32 v[208:209], v[192:193], v[130:131]
	v_add_f64 v[210:211], v[206:207], v[208:209]
	ds_read_b128 v[206:209], v152 offset:1216
	s_waitcnt vmcnt(30) lgkmcnt(1)
	v_mul_f64 v[212:213], v[202:203], v[140:141]
	s_waitcnt vmcnt(28)
	v_fmac_f64_e32 v[212:213], v[204:205], v[142:143]
	v_add_f64 v[214:215], v[210:211], v[212:213]
	ds_read_b128 v[210:213], v152 offset:1232
	s_waitcnt lgkmcnt(1)
	v_mul_f64 v[216:217], v[206:207], v[136:137]
	v_fmac_f64_e32 v[216:217], v[208:209], v[138:139]
	v_add_f64 v[218:219], v[214:215], v[216:217]
	ds_read_b128 v[214:217], v152 offset:1248
	s_waitcnt vmcnt(22) lgkmcnt(1)
	v_mul_f64 v[220:221], v[210:211], v[148:149]
	s_waitcnt vmcnt(20)
	v_fmac_f64_e32 v[220:221], v[212:213], v[150:151]
	v_add_f64 v[222:223], v[218:219], v[220:221]
	ds_read_b128 v[218:221], v152 offset:1264
	s_waitcnt lgkmcnt(1)
	v_mul_f64 v[224:225], v[214:215], v[144:145]
	v_fmac_f64_e32 v[224:225], v[216:217], v[146:147]
	v_add_f64 v[226:227], v[222:223], v[224:225]
	ds_read_b128 v[222:225], v152 offset:1280
	s_waitcnt vmcnt(14) lgkmcnt(1)
	v_mul_f64 v[228:229], v[218:219], v[198:199]
	s_waitcnt vmcnt(12)
	v_fmac_f64_e32 v[228:229], v[220:221], v[200:201]
	v_add_f64 v[242:243], v[226:227], v[228:229]
	ds_read_b128 v[226:229], v152 offset:1296
	s_waitcnt lgkmcnt(1)
	v_mul_f64 v[244:245], v[222:223], v[194:195]
	v_fmac_f64_e32 v[244:245], v[224:225], v[196:197]
	v_add_f64 v[242:243], v[242:243], v[244:245]
	v_fma_f64 v[244:245], v[38:39], v[48:49], -v[40:41]
	ds_read_b128 v[38:41], v152 offset:1312
	ds_read_b128 v[48:51], v152 offset:1328
	s_waitcnt vmcnt(6) lgkmcnt(2)
	v_mul_f64 v[246:247], v[226:227], v[234:235]
	s_waitcnt vmcnt(4)
	v_fmac_f64_e32 v[246:247], v[228:229], v[236:237]
	v_add_f64 v[152:153], v[242:243], v[246:247]
	s_waitcnt lgkmcnt(1)
	v_mul_f64 v[242:243], v[38:39], v[230:231]
	v_fmac_f64_e32 v[242:243], v[40:41], v[232:233]
	v_add_f64 v[152:153], v[152:153], v[242:243]
	s_waitcnt vmcnt(2) lgkmcnt(0)
	v_mul_f64 v[242:243], v[48:49], v[238:239]
	s_waitcnt vmcnt(0)
	v_fmac_f64_e32 v[242:243], v[50:51], v[240:241]
	v_add_f64 v[152:153], v[152:153], v[242:243]
	v_add_f64 v[242:243], v[244:245], 0
	;; [unrolled: 1-line block ×3, first 2 shown]
	v_mul_f64 v[28:29], v[28:29], v[56:57]
	v_add_f64 v[30:31], v[34:35], v[30:31]
	v_fma_f64 v[26:27], v[26:27], v[78:79], -v[28:29]
	v_add_f64 v[26:27], v[30:31], v[26:27]
	v_mul_f64 v[20:21], v[20:21], v[62:63]
	v_add_f64 v[22:23], v[26:27], v[22:23]
	v_fma_f64 v[18:19], v[18:19], v[76:77], -v[20:21]
	v_add_f64 v[18:19], v[22:23], v[18:19]
	v_fma_f64 v[10:11], v[10:11], v[72:73], -v[12:13]
	v_mul_f64 v[8:9], v[8:9], v[68:69]
	v_add_f64 v[10:11], v[18:19], v[10:11]
	v_fma_f64 v[6:7], v[6:7], v[74:75], -v[8:9]
	v_mul_f64 v[4:5], v[4:5], v[64:65]
	;; [unrolled: 3-line block ×3, first 2 shown]
	v_add_f64 v[2:3], v[6:7], v[2:3]
	v_fma_f64 v[4:5], v[14:15], v[88:89], -v[4:5]
	v_add_f64 v[2:3], v[2:3], v[4:5]
	v_mul_f64 v[4:5], v[126:127], v[82:83]
	v_fma_f64 v[4:5], v[124:125], v[84:85], -v[4:5]
	v_add_f64 v[2:3], v[2:3], v[4:5]
	v_mul_f64 v[4:5], v[156:157], v[94:95]
	;; [unrolled: 3-line block ×20, first 2 shown]
	v_fma_f64 v[4:5], v[48:49], v[240:241], -v[4:5]
	v_add_f64 v[2:3], v[2:3], v[4:5]
	v_add_f64 v[2:3], v[60:61], -v[2:3]
	v_add_f64 v[4:5], v[58:59], -v[152:153]
	buffer_store_dword v3, off, s[0:3], 0 offset:196
	buffer_store_dword v2, off, s[0:3], 0 offset:192
	;; [unrolled: 1-line block ×4, first 2 shown]
	s_and_saveexec_b64 s[4:5], vcc
	s_cbranch_execz .LBB41_245
; %bb.244:
	v_accvgpr_read_b32 v0, a115
	buffer_load_dword v2, v0, s[0:3], 0 offen
	buffer_load_dword v3, v0, s[0:3], 0 offen offset:4
	buffer_load_dword v4, v0, s[0:3], 0 offen offset:8
	;; [unrolled: 1-line block ×3, first 2 shown]
	v_mov_b32_e32 v0, 0
	v_accvgpr_read_b32 v1, a126
	buffer_store_dword v0, off, s[0:3], 0 offset:176
	buffer_store_dword v0, off, s[0:3], 0 offset:180
	;; [unrolled: 1-line block ×4, first 2 shown]
	s_waitcnt vmcnt(4)
	ds_write_b128 v1, v[2:5]
.LBB41_245:
	s_or_b64 exec, exec, s[4:5]
	s_waitcnt lgkmcnt(0)
	; wave barrier
	s_waitcnt lgkmcnt(0)
	buffer_load_dword v106, off, s[0:3], 0 offset:192
	buffer_load_dword v107, off, s[0:3], 0 offset:196
	;; [unrolled: 1-line block ×49, first 2 shown]
	v_mov_b32_e32 v254, 0
	ds_read_b128 v[110:113], v254 offset:848
	ds_read_b128 v[250:253], v254 offset:864
	;; [unrolled: 1-line block ×10, first 2 shown]
	buffer_load_dword v160, off, s[0:3], 0 offset:384
	buffer_load_dword v175, off, s[0:3], 0 offset:380
	;; [unrolled: 1-line block ×69, first 2 shown]
	v_cmp_lt_u32_e32 vcc, 9, v118
	s_waitcnt vmcnt(62) lgkmcnt(9)
	v_mul_f64 v[34:35], v[110:111], v[108:109]
	v_fmac_f64_e32 v[34:35], v[112:113], v[106:107]
	v_add_f64 v[34:35], v[34:35], 0
	v_mul_f64 v[108:109], v[112:113], v[108:109]
	s_waitcnt lgkmcnt(8)
	v_mul_f64 v[36:37], v[250:251], v[116:117]
	v_fmac_f64_e32 v[36:37], v[252:253], v[114:115]
	s_waitcnt lgkmcnt(7)
	v_mul_f64 v[38:39], v[30:31], v[120:121]
	v_add_f64 v[34:35], v[34:35], v[36:37]
	s_waitcnt lgkmcnt(5)
	v_mul_f64 v[42:43], v[22:23], v[122:123]
	v_mul_f64 v[116:117], v[252:253], v[116:117]
	v_fmac_f64_e32 v[42:43], v[24:25], v[124:125]
	v_fma_f64 v[248:249], v[110:111], v[106:107], -v[108:109]
	v_mul_f64 v[40:41], v[26:27], v[126:127]
	v_fma_f64 v[250:251], v[250:251], v[114:115], -v[116:117]
	s_waitcnt lgkmcnt(3)
	v_mul_f64 v[46:47], v[14:15], v[128:129]
	v_mul_f64 v[24:25], v[24:25], v[122:123]
	v_fmac_f64_e32 v[46:47], v[16:17], v[130:131]
	v_fma_f64 v[22:23], v[22:23], v[124:125], -v[24:25]
	v_mul_f64 v[44:45], v[18:19], v[132:133]
	v_mul_f64 v[16:17], v[16:17], v[128:129]
	s_waitcnt lgkmcnt(1)
	v_mul_f64 v[50:51], v[6:7], v[134:135]
	v_fma_f64 v[14:15], v[14:15], v[130:131], -v[16:17]
	v_fmac_f64_e32 v[50:51], v[8:9], v[136:137]
	v_mul_f64 v[8:9], v[8:9], v[134:135]
	v_mul_f64 v[48:49], v[10:11], v[142:143]
	v_fma_f64 v[6:7], v[6:7], v[136:137], -v[8:9]
	s_waitcnt lgkmcnt(0)
	v_mul_f64 v[52:53], v[2:3], v[138:139]
	v_fmac_f64_e32 v[38:39], v[32:33], v[154:155]
	v_add_f64 v[34:35], v[34:35], v[38:39]
	v_fmac_f64_e32 v[40:41], v[28:29], v[152:153]
	v_add_f64 v[34:35], v[34:35], v[40:41]
	;; [unrolled: 2-line block ×3, first 2 shown]
	v_add_f64 v[34:35], v[34:35], v[44:45]
	v_fmac_f64_e32 v[48:49], v[12:13], v[148:149]
	v_add_f64 v[34:35], v[34:35], v[46:47]
	v_add_f64 v[34:35], v[34:35], v[48:49]
	v_fmac_f64_e32 v[52:53], v[4:5], v[146:147]
	v_add_f64 v[34:35], v[34:35], v[50:51]
	v_add_f64 v[42:43], v[34:35], v[52:53]
	ds_read_b128 v[38:41], v254 offset:1008
	ds_read_b128 v[34:37], v254 offset:1024
	buffer_load_dword v231, off, s[0:3], 0 offset:684
	buffer_load_dword v230, off, s[0:3], 0 offset:680
	;; [unrolled: 1-line block ×8, first 2 shown]
	ds_read_b128 v[110:113], v254 offset:1296
	ds_read_b128 v[106:109], v254 offset:1312
	s_waitcnt lgkmcnt(3)
	v_mul_f64 v[44:45], v[38:39], v[144:145]
	v_fmac_f64_e32 v[44:45], v[40:41], v[156:157]
	v_add_f64 v[46:47], v[42:43], v[44:45]
	ds_read_b128 v[42:45], v254 offset:1040
	s_waitcnt lgkmcnt(3)
	v_mul_f64 v[48:49], v[34:35], v[174:175]
	v_fmac_f64_e32 v[48:49], v[36:37], v[178:179]
	v_add_f64 v[50:51], v[46:47], v[48:49]
	;; [unrolled: 5-line block ×3, first 2 shown]
	ds_read_b128 v[50:53], v254 offset:1072
	s_waitcnt vmcnt(62) lgkmcnt(1)
	v_mul_f64 v[56:57], v[46:47], v[182:183]
	v_fmac_f64_e32 v[56:57], v[48:49], v[186:187]
	v_add_f64 v[58:59], v[54:55], v[56:57]
	ds_read_b128 v[54:57], v254 offset:1088
	s_waitcnt lgkmcnt(1)
	v_mul_f64 v[60:61], v[50:51], v[162:163]
	v_fmac_f64_e32 v[60:61], v[52:53], v[164:165]
	v_add_f64 v[62:63], v[58:59], v[60:61]
	ds_read_b128 v[58:61], v254 offset:1104
	s_waitcnt vmcnt(58) lgkmcnt(1)
	v_mul_f64 v[64:65], v[54:55], v[190:191]
	s_waitcnt vmcnt(56)
	v_fmac_f64_e32 v[64:65], v[56:57], v[202:203]
	v_add_f64 v[66:67], v[62:63], v[64:65]
	ds_read_b128 v[62:65], v254 offset:1120
	s_waitcnt lgkmcnt(1)
	v_mul_f64 v[68:69], v[58:59], v[166:167]
	v_fmac_f64_e32 v[68:69], v[60:61], v[168:169]
	v_add_f64 v[70:71], v[66:67], v[68:69]
	ds_read_b128 v[66:69], v254 offset:1136
	s_waitcnt vmcnt(50) lgkmcnt(1)
	v_mul_f64 v[72:73], v[62:63], v[206:207]
	s_waitcnt vmcnt(48)
	;; [unrolled: 11-line block ×5, first 2 shown]
	v_fmac_f64_e32 v[96:97], v[88:89], v[228:229]
	v_add_f64 v[98:99], v[94:95], v[96:97]
	ds_read_b128 v[94:97], v254 offset:1248
	s_waitcnt lgkmcnt(1)
	v_mul_f64 v[100:101], v[90:91], v[192:193]
	v_fmac_f64_e32 v[100:101], v[92:93], v[204:205]
	v_add_f64 v[194:195], v[98:99], v[100:101]
	ds_read_b128 v[98:101], v254 offset:1264
	ds_read_b128 v[102:105], v254 offset:1280
	;; [unrolled: 1-line block ×3, first 2 shown]
	buffer_load_dword v252, off, s[0:3], 0 offset:184
	buffer_load_dword v253, off, s[0:3], 0 offset:188
	s_waitcnt vmcnt(20) lgkmcnt(3)
	v_mul_f64 v[196:197], v[94:95], v[232:233]
	s_waitcnt vmcnt(18)
	v_fmac_f64_e32 v[196:197], v[96:97], v[236:237]
	v_add_f64 v[194:195], v[194:195], v[196:197]
	s_waitcnt lgkmcnt(2)
	v_mul_f64 v[196:197], v[98:99], v[208:209]
	v_fmac_f64_e32 v[196:197], v[100:101], v[212:213]
	v_add_f64 v[194:195], v[194:195], v[196:197]
	s_waitcnt vmcnt(12) lgkmcnt(1)
	v_mul_f64 v[196:197], v[102:103], v[238:239]
	s_waitcnt vmcnt(10)
	v_fmac_f64_e32 v[196:197], v[104:105], v[240:241]
	v_add_f64 v[194:195], v[194:195], v[196:197]
	v_mul_f64 v[196:197], v[110:111], v[216:217]
	v_fmac_f64_e32 v[196:197], v[112:113], v[220:221]
	v_add_f64 v[194:195], v[194:195], v[196:197]
	s_waitcnt vmcnt(4)
	v_mul_f64 v[196:197], v[106:107], v[242:243]
	v_mul_f64 v[32:33], v[32:33], v[120:121]
	s_waitcnt vmcnt(2)
	v_fmac_f64_e32 v[196:197], v[108:109], v[244:245]
	v_add_f64 v[194:195], v[194:195], v[196:197]
	s_waitcnt lgkmcnt(0)
	v_mul_f64 v[196:197], v[114:115], v[230:231]
	v_fmac_f64_e32 v[196:197], v[116:117], v[234:235]
	v_add_f64 v[246:247], v[194:195], v[196:197]
	v_add_f64 v[194:195], v[248:249], 0
	;; [unrolled: 1-line block ×3, first 2 shown]
	v_fma_f64 v[30:31], v[30:31], v[154:155], -v[32:33]
	v_mul_f64 v[28:29], v[28:29], v[126:127]
	v_add_f64 v[30:31], v[194:195], v[30:31]
	v_fma_f64 v[26:27], v[26:27], v[152:153], -v[28:29]
	v_add_f64 v[26:27], v[30:31], v[26:27]
	v_mul_f64 v[20:21], v[20:21], v[132:133]
	v_add_f64 v[22:23], v[26:27], v[22:23]
	v_fma_f64 v[18:19], v[18:19], v[150:151], -v[20:21]
	v_add_f64 v[18:19], v[22:23], v[18:19]
	;; [unrolled: 4-line block ×3, first 2 shown]
	v_mul_f64 v[4:5], v[4:5], v[138:139]
	v_add_f64 v[6:7], v[10:11], v[6:7]
	v_fma_f64 v[2:3], v[2:3], v[146:147], -v[4:5]
	v_mul_f64 v[4:5], v[40:41], v[144:145]
	v_add_f64 v[2:3], v[6:7], v[2:3]
	v_fma_f64 v[4:5], v[38:39], v[156:157], -v[4:5]
	v_add_f64 v[2:3], v[2:3], v[4:5]
	v_mul_f64 v[4:5], v[36:37], v[174:175]
	v_fma_f64 v[4:5], v[34:35], v[178:179], -v[4:5]
	v_add_f64 v[2:3], v[2:3], v[4:5]
	v_mul_f64 v[4:5], v[44:45], v[158:159]
	;; [unrolled: 3-line block ×20, first 2 shown]
	v_fma_f64 v[4:5], v[114:115], v[234:235], -v[4:5]
	v_add_f64 v[2:3], v[2:3], v[4:5]
	v_add_f64 v[2:3], v[140:141], -v[2:3]
	s_waitcnt vmcnt(0)
	v_add_f64 v[4:5], v[252:253], -v[246:247]
	buffer_store_dword v3, off, s[0:3], 0 offset:180
	buffer_store_dword v2, off, s[0:3], 0 offset:176
	;; [unrolled: 1-line block ×4, first 2 shown]
	s_and_saveexec_b64 s[4:5], vcc
	s_cbranch_execz .LBB41_247
; %bb.246:
	v_accvgpr_read_b32 v0, a116
	buffer_load_dword v2, v0, s[0:3], 0 offen
	buffer_load_dword v3, v0, s[0:3], 0 offen offset:4
	buffer_load_dword v4, v0, s[0:3], 0 offen offset:8
	;; [unrolled: 1-line block ×3, first 2 shown]
	v_accvgpr_read_b32 v0, a126
	buffer_store_dword v254, off, s[0:3], 0 offset:160
	buffer_store_dword v254, off, s[0:3], 0 offset:164
	;; [unrolled: 1-line block ×4, first 2 shown]
	s_waitcnt vmcnt(4)
	ds_write_b128 v0, v[2:5]
.LBB41_247:
	s_or_b64 exec, exec, s[4:5]
	s_waitcnt lgkmcnt(0)
	; wave barrier
	s_waitcnt lgkmcnt(0)
	buffer_load_dword v112, off, s[0:3], 0 offset:176
	buffer_load_dword v113, off, s[0:3], 0 offset:180
	;; [unrolled: 1-line block ×36, first 2 shown]
	ds_read_b128 v[102:105], v254 offset:832
	ds_read_b128 v[106:109], v254 offset:848
	;; [unrolled: 1-line block ×9, first 2 shown]
	buffer_load_dword v145, off, s[0:3], 0 offset:348
	buffer_load_dword v144, off, s[0:3], 0 offset:344
	;; [unrolled: 1-line block ×78, first 2 shown]
	v_cmp_lt_u32_e32 vcc, 8, v118
	s_waitcnt vmcnt(62) lgkmcnt(8)
	v_mul_f64 v[26:27], v[102:103], v[246:247]
	v_fmac_f64_e32 v[26:27], v[104:105], v[112:113]
	v_add_f64 v[26:27], v[26:27], 0
	v_mul_f64 v[104:105], v[104:105], v[246:247]
	s_waitcnt lgkmcnt(7)
	v_mul_f64 v[28:29], v[106:107], v[248:249]
	v_fmac_f64_e32 v[28:29], v[108:109], v[110:111]
	s_waitcnt lgkmcnt(6)
	v_mul_f64 v[30:31], v[114:115], v[244:245]
	v_add_f64 v[26:27], v[26:27], v[28:29]
	s_waitcnt lgkmcnt(4)
	v_mul_f64 v[34:35], v[18:19], v[120:121]
	v_fma_f64 v[246:247], v[102:103], v[112:113], -v[104:105]
	v_fmac_f64_e32 v[34:35], v[20:21], v[122:123]
	v_mul_f64 v[108:109], v[108:109], v[248:249]
	v_mul_f64 v[32:33], v[22:23], v[124:125]
	v_fma_f64 v[248:249], v[106:107], v[110:111], -v[108:109]
	s_waitcnt lgkmcnt(2)
	v_mul_f64 v[38:39], v[10:11], v[126:127]
	v_mul_f64 v[20:21], v[20:21], v[120:121]
	v_fmac_f64_e32 v[38:39], v[12:13], v[128:129]
	v_fma_f64 v[18:19], v[18:19], v[122:123], -v[20:21]
	v_mul_f64 v[36:37], v[14:15], v[132:133]
	v_mul_f64 v[12:13], v[12:13], v[126:127]
	s_waitcnt lgkmcnt(1)
	v_mul_f64 v[40:41], v[6:7], v[130:131]
	v_fma_f64 v[10:11], v[10:11], v[128:129], -v[12:13]
	v_fmac_f64_e32 v[30:31], v[116:117], v[250:251]
	v_add_f64 v[26:27], v[26:27], v[30:31]
	v_fmac_f64_e32 v[32:33], v[24:25], v[140:141]
	v_add_f64 v[26:27], v[26:27], v[32:33]
	v_fmac_f64_e32 v[36:37], v[16:17], v[138:139]
	v_add_f64 v[26:27], v[26:27], v[34:35]
	v_add_f64 v[26:27], v[26:27], v[36:37]
	v_fmac_f64_e32 v[40:41], v[8:9], v[136:137]
	v_add_f64 v[30:31], v[26:27], v[38:39]
	v_add_f64 v[30:31], v[30:31], v[40:41]
	s_waitcnt lgkmcnt(0)
	v_mul_f64 v[32:33], v[2:3], v[134:135]
	v_fmac_f64_e32 v[32:33], v[4:5], v[142:143]
	ds_read_b128 v[26:29], v254 offset:976
	v_add_f64 v[34:35], v[30:31], v[32:33]
	ds_read_b128 v[30:33], v254 offset:992
	buffer_load_dword v231, off, s[0:3], 0 offset:612
	buffer_load_dword v230, off, s[0:3], 0 offset:608
	v_mul_f64 v[116:117], v[116:117], v[244:245]
	s_waitcnt lgkmcnt(1)
	v_mul_f64 v[36:37], v[26:27], v[148:149]
	v_fmac_f64_e32 v[36:37], v[28:29], v[150:151]
	v_add_f64 v[38:39], v[34:35], v[36:37]
	ds_read_b128 v[34:37], v254 offset:1008
	s_waitcnt lgkmcnt(1)
	v_mul_f64 v[40:41], v[30:31], v[144:145]
	v_fmac_f64_e32 v[40:41], v[32:33], v[146:147]
	v_add_f64 v[42:43], v[38:39], v[40:41]
	ds_read_b128 v[38:41], v254 offset:1024
	;; [unrolled: 5-line block ×4, first 2 shown]
	buffer_load_dword v233, off, s[0:3], 0 offset:668
	buffer_load_dword v235, off, s[0:3], 0 offset:652
	buffer_load_dword v234, off, s[0:3], 0 offset:648
	buffer_load_dword v241, off, s[0:3], 0 offset:644
	buffer_load_dword v240, off, s[0:3], 0 offset:640
	buffer_load_dword v232, off, s[0:3], 0 offset:664
	buffer_load_dword v239, off, s[0:3], 0 offset:660
	buffer_load_dword v238, off, s[0:3], 0 offset:656
	buffer_load_dword v237, off, s[0:3], 0 offset:684
	buffer_load_dword v236, off, s[0:3], 0 offset:680
	buffer_load_dword v243, off, s[0:3], 0 offset:676
	buffer_load_dword v242, off, s[0:3], 0 offset:672
	s_waitcnt vmcnt(62) lgkmcnt(1)
	v_mul_f64 v[52:53], v[42:43], v[176:177]
	v_fmac_f64_e32 v[52:53], v[44:45], v[180:181]
	v_add_f64 v[54:55], v[50:51], v[52:53]
	ds_read_b128 v[50:53], v254 offset:1072
	s_waitcnt lgkmcnt(1)
	v_mul_f64 v[56:57], v[46:47], v[156:157]
	v_fmac_f64_e32 v[56:57], v[48:49], v[158:159]
	v_add_f64 v[58:59], v[54:55], v[56:57]
	ds_read_b128 v[54:57], v254 offset:1088
	s_waitcnt lgkmcnt(1)
	v_mul_f64 v[60:61], v[50:51], v[184:185]
	s_waitcnt vmcnt(60)
	v_fmac_f64_e32 v[60:61], v[52:53], v[188:189]
	v_add_f64 v[62:63], v[58:59], v[60:61]
	ds_read_b128 v[58:61], v254 offset:1104
	s_waitcnt lgkmcnt(1)
	v_mul_f64 v[64:65], v[54:55], v[164:165]
	v_fmac_f64_e32 v[64:65], v[56:57], v[166:167]
	v_add_f64 v[66:67], v[62:63], v[64:65]
	ds_read_b128 v[62:65], v254 offset:1120
	s_waitcnt vmcnt(54) lgkmcnt(1)
	v_mul_f64 v[68:69], v[58:59], v[192:193]
	s_waitcnt vmcnt(52)
	v_fmac_f64_e32 v[68:69], v[60:61], v[204:205]
	v_add_f64 v[70:71], v[66:67], v[68:69]
	ds_read_b128 v[66:69], v254 offset:1136
	s_waitcnt lgkmcnt(1)
	v_mul_f64 v[72:73], v[62:63], v[168:169]
	v_fmac_f64_e32 v[72:73], v[64:65], v[170:171]
	v_add_f64 v[74:75], v[70:71], v[72:73]
	ds_read_b128 v[70:73], v254 offset:1152
	s_waitcnt vmcnt(46) lgkmcnt(1)
	;; [unrolled: 11-line block ×4, first 2 shown]
	v_mul_f64 v[92:93], v[82:83], v[220:221]
	s_waitcnt vmcnt(28)
	v_fmac_f64_e32 v[92:93], v[84:85], v[222:223]
	v_add_f64 v[98:99], v[90:91], v[92:93]
	ds_read_b128 v[90:93], v254 offset:1232
	ds_read_b128 v[94:97], v254 offset:1248
	s_waitcnt lgkmcnt(2)
	v_mul_f64 v[100:101], v[86:87], v[186:187]
	v_fmac_f64_e32 v[100:101], v[88:89], v[190:191]
	v_add_f64 v[98:99], v[98:99], v[100:101]
	s_waitcnt vmcnt(22) lgkmcnt(1)
	v_mul_f64 v[100:101], v[90:91], v[224:225]
	s_waitcnt vmcnt(20)
	v_fmac_f64_e32 v[100:101], v[92:93], v[226:227]
	v_add_f64 v[98:99], v[98:99], v[100:101]
	s_waitcnt lgkmcnt(0)
	v_mul_f64 v[100:101], v[94:95], v[202:203]
	v_fmac_f64_e32 v[100:101], v[96:97], v[206:207]
	v_add_f64 v[194:195], v[98:99], v[100:101]
	ds_read_b128 v[98:101], v254 offset:1264
	ds_read_b128 v[102:105], v254 offset:1280
	;; [unrolled: 1-line block ×3, first 2 shown]
	v_fma_f64 v[250:251], v[114:115], v[250:251], -v[116:117]
	ds_read_b128 v[114:117], v254 offset:1328
	s_waitcnt vmcnt(14) lgkmcnt(3)
	v_mul_f64 v[112:113], v[98:99], v[228:229]
	s_waitcnt lgkmcnt(2)
	v_mul_f64 v[110:111], v[102:103], v[210:211]
	s_waitcnt vmcnt(12)
	v_fmac_f64_e32 v[112:113], v[100:101], v[230:231]
	v_add_f64 v[112:113], v[194:195], v[112:113]
	v_fmac_f64_e32 v[110:111], v[104:105], v[214:215]
	v_add_f64 v[194:195], v[112:113], v[110:111]
	ds_read_b128 v[110:113], v254 offset:1312
	buffer_load_dword v254, off, s[0:3], 0 offset:160
	buffer_load_dword v255, off, s[0:3], 0 offset:164
	;; [unrolled: 1-line block ×4, first 2 shown]
	v_mul_f64 v[24:25], v[24:25], v[124:125]
	v_fma_f64 v[22:23], v[22:23], v[140:141], -v[24:25]
	v_mul_f64 v[16:17], v[16:17], v[132:133]
	s_waitcnt vmcnt(13) lgkmcnt(2)
	v_mul_f64 v[196:197], v[106:107], v[234:235]
	v_fma_f64 v[14:15], v[14:15], v[138:139], -v[16:17]
	s_waitcnt vmcnt(11)
	v_fmac_f64_e32 v[196:197], v[108:109], v[240:241]
	v_add_f64 v[194:195], v[194:195], v[196:197]
	s_waitcnt vmcnt(10) lgkmcnt(0)
	v_mul_f64 v[196:197], v[110:111], v[232:233]
	s_waitcnt vmcnt(8)
	v_fmac_f64_e32 v[196:197], v[112:113], v[238:239]
	v_add_f64 v[194:195], v[194:195], v[196:197]
	s_waitcnt vmcnt(6)
	v_mul_f64 v[196:197], v[114:115], v[236:237]
	v_mul_f64 v[8:9], v[8:9], v[130:131]
	s_waitcnt vmcnt(4)
	v_fmac_f64_e32 v[196:197], v[116:117], v[242:243]
	v_add_f64 v[244:245], v[194:195], v[196:197]
	v_add_f64 v[194:195], v[246:247], 0
	;; [unrolled: 1-line block ×8, first 2 shown]
	v_fma_f64 v[6:7], v[6:7], v[136:137], -v[8:9]
	v_mul_f64 v[4:5], v[4:5], v[134:135]
	v_add_f64 v[6:7], v[10:11], v[6:7]
	v_fma_f64 v[2:3], v[2:3], v[142:143], -v[4:5]
	v_mul_f64 v[4:5], v[28:29], v[148:149]
	v_add_f64 v[2:3], v[6:7], v[2:3]
	v_fma_f64 v[4:5], v[26:27], v[150:151], -v[4:5]
	v_add_f64 v[2:3], v[2:3], v[4:5]
	v_mul_f64 v[4:5], v[32:33], v[144:145]
	v_fma_f64 v[4:5], v[30:31], v[146:147], -v[4:5]
	v_add_f64 v[2:3], v[2:3], v[4:5]
	v_mul_f64 v[4:5], v[36:37], v[160:161]
	;; [unrolled: 3-line block ×22, first 2 shown]
	v_fma_f64 v[4:5], v[114:115], v[242:243], -v[4:5]
	v_add_f64 v[2:3], v[2:3], v[4:5]
	s_waitcnt vmcnt(2)
	v_add_f64 v[2:3], v[254:255], -v[2:3]
	s_waitcnt vmcnt(0)
	v_add_f64 v[4:5], v[252:253], -v[244:245]
	buffer_store_dword v3, off, s[0:3], 0 offset:164
	buffer_store_dword v2, off, s[0:3], 0 offset:160
	;; [unrolled: 1-line block ×4, first 2 shown]
	s_and_saveexec_b64 s[4:5], vcc
	s_cbranch_execz .LBB41_249
; %bb.248:
	v_accvgpr_read_b32 v0, a117
	buffer_load_dword v2, v0, s[0:3], 0 offen
	buffer_load_dword v3, v0, s[0:3], 0 offen offset:4
	buffer_load_dword v4, v0, s[0:3], 0 offen offset:8
	buffer_load_dword v5, v0, s[0:3], 0 offen offset:12
	v_mov_b32_e32 v0, 0
	v_accvgpr_read_b32 v1, a126
	buffer_store_dword v0, off, s[0:3], 0 offset:144
	buffer_store_dword v0, off, s[0:3], 0 offset:148
	;; [unrolled: 1-line block ×4, first 2 shown]
	s_waitcnt vmcnt(4)
	ds_write_b128 v1, v[2:5]
.LBB41_249:
	s_or_b64 exec, exec, s[4:5]
	s_waitcnt lgkmcnt(0)
	; wave barrier
	s_waitcnt lgkmcnt(0)
	buffer_load_dword v94, off, s[0:3], 0 offset:160
	buffer_load_dword v95, off, s[0:3], 0 offset:164
	;; [unrolled: 1-line block ×52, first 2 shown]
	v_mov_b32_e32 v254, 0
	ds_read_b128 v[102:105], v254 offset:816
	ds_read_b128 v[114:117], v254 offset:832
	;; [unrolled: 1-line block ×10, first 2 shown]
	v_cmp_lt_u32_e32 vcc, 7, v118
	s_waitcnt vmcnt(48) lgkmcnt(9)
	v_mul_f64 v[26:27], v[102:103], v[96:97]
	v_fmac_f64_e32 v[26:27], v[104:105], v[94:95]
	v_add_f64 v[26:27], v[26:27], 0
	v_mul_f64 v[96:97], v[104:105], v[96:97]
	s_waitcnt vmcnt(44) lgkmcnt(8)
	v_mul_f64 v[28:29], v[114:115], v[100:101]
	v_fmac_f64_e32 v[28:29], v[116:117], v[98:99]
	s_waitcnt vmcnt(42) lgkmcnt(7)
	v_mul_f64 v[30:31], v[244:245], v[106:107]
	v_add_f64 v[26:27], v[26:27], v[28:29]
	s_waitcnt vmcnt(40) lgkmcnt(5)
	v_mul_f64 v[34:35], v[22:23], v[122:123]
	v_fma_f64 v[196:197], v[102:103], v[94:95], -v[96:97]
	s_waitcnt vmcnt(38)
	v_fmac_f64_e32 v[34:35], v[24:25], v[126:127]
	v_mul_f64 v[100:101], v[116:117], v[100:101]
	s_waitcnt vmcnt(36)
	v_mul_f64 v[32:33], v[250:251], v[110:111]
	v_fma_f64 v[198:199], v[114:115], v[98:99], -v[100:101]
	s_waitcnt vmcnt(34) lgkmcnt(3)
	v_mul_f64 v[38:39], v[14:15], v[120:121]
	v_mul_f64 v[106:107], v[246:247], v[106:107]
	s_waitcnt vmcnt(32)
	v_fmac_f64_e32 v[38:39], v[16:17], v[124:125]
	v_mul_f64 v[110:111], v[252:253], v[110:111]
	s_waitcnt vmcnt(30)
	v_mul_f64 v[36:37], v[18:19], v[132:133]
	v_mul_f64 v[24:25], v[24:25], v[122:123]
	v_fma_f64 v[22:23], v[22:23], v[126:127], -v[24:25]
	s_waitcnt vmcnt(27) lgkmcnt(2)
	v_mul_f64 v[40:41], v[10:11], v[130:131]
	s_waitcnt vmcnt(26) lgkmcnt(1)
	v_mul_f64 v[42:43], v[6:7], v[128:129]
	v_mul_f64 v[16:17], v[16:17], v[120:121]
	s_waitcnt vmcnt(24)
	v_fmac_f64_e32 v[30:31], v[246:247], v[108:109]
	v_add_f64 v[26:27], v[26:27], v[30:31]
	s_waitcnt vmcnt(22)
	v_fmac_f64_e32 v[32:33], v[252:253], v[112:113]
	v_add_f64 v[26:27], v[26:27], v[32:33]
	;; [unrolled: 3-line block ×3, first 2 shown]
	v_add_f64 v[26:27], v[26:27], v[36:37]
	s_waitcnt vmcnt(18)
	v_fmac_f64_e32 v[40:41], v[12:13], v[134:135]
	v_add_f64 v[26:27], v[26:27], v[38:39]
	v_add_f64 v[26:27], v[26:27], v[40:41]
	s_waitcnt vmcnt(16)
	v_fmac_f64_e32 v[42:43], v[8:9], v[140:141]
	v_add_f64 v[34:35], v[26:27], v[42:43]
	ds_read_b128 v[26:29], v254 offset:976
	ds_read_b128 v[30:33], v254 offset:992
	buffer_load_dword v157, off, s[0:3], 0 offset:396
	buffer_load_dword v156, off, s[0:3], 0 offset:392
	;; [unrolled: 1-line block ×56, first 2 shown]
	s_waitcnt vmcnt(62) lgkmcnt(2)
	v_mul_f64 v[36:37], v[2:3], v[144:145]
	v_fmac_f64_e32 v[36:37], v[4:5], v[146:147]
	v_add_f64 v[34:35], v[34:35], v[36:37]
	s_waitcnt lgkmcnt(1)
	v_mul_f64 v[36:37], v[26:27], v[138:139]
	v_fmac_f64_e32 v[36:37], v[28:29], v[142:143]
	v_add_f64 v[34:35], v[34:35], v[36:37]
	s_waitcnt lgkmcnt(0)
	v_mul_f64 v[36:37], v[30:31], v[148:149]
	s_waitcnt vmcnt(60)
	v_fmac_f64_e32 v[36:37], v[32:33], v[152:153]
	v_add_f64 v[42:43], v[34:35], v[36:37]
	ds_read_b128 v[34:37], v254 offset:1008
	buffer_load_dword v209, off, s[0:3], 0 offset:620
	buffer_load_dword v208, off, s[0:3], 0 offset:616
	;; [unrolled: 1-line block ×16, first 2 shown]
	ds_read_b128 v[38:41], v254 offset:1024
	buffer_load_dword v231, off, s[0:3], 0 offset:684
	buffer_load_dword v230, off, s[0:3], 0 offset:680
	;; [unrolled: 1-line block ×8, first 2 shown]
	ds_read_b128 v[98:101], v254 offset:1264
	s_waitcnt vmcnt(62) lgkmcnt(2)
	v_mul_f64 v[44:45], v[34:35], v[150:151]
	v_fmac_f64_e32 v[44:45], v[36:37], v[154:155]
	v_add_f64 v[46:47], v[42:43], v[44:45]
	ds_read_b128 v[42:45], v254 offset:1040
	v_fma_f64 v[248:249], v[244:245], v[108:109], -v[106:107]
	ds_read_b128 v[106:109], v254 offset:1296
	v_fma_f64 v[246:247], v[250:251], v[112:113], -v[110:111]
	v_mul_f64 v[20:21], v[20:21], v[132:133]
	v_fma_f64 v[18:19], v[18:19], v[136:137], -v[20:21]
	v_fma_f64 v[14:15], v[14:15], v[124:125], -v[16:17]
	v_mul_f64 v[12:13], v[12:13], v[130:131]
	v_fma_f64 v[10:11], v[10:11], v[134:135], -v[12:13]
	v_mul_f64 v[8:9], v[8:9], v[128:129]
	;; [unrolled: 2-line block ×3, first 2 shown]
	s_waitcnt lgkmcnt(3)
	v_mul_f64 v[48:49], v[38:39], v[172:173]
	v_fma_f64 v[2:3], v[2:3], v[146:147], -v[4:5]
	v_fmac_f64_e32 v[48:49], v[40:41], v[176:177]
	v_add_f64 v[50:51], v[46:47], v[48:49]
	ds_read_b128 v[46:49], v254 offset:1056
	s_waitcnt lgkmcnt(2)
	v_mul_f64 v[52:53], v[42:43], v[156:157]
	v_fmac_f64_e32 v[52:53], v[44:45], v[158:159]
	v_add_f64 v[54:55], v[50:51], v[52:53]
	ds_read_b128 v[50:53], v254 offset:1072
	s_waitcnt lgkmcnt(1)
	v_mul_f64 v[56:57], v[46:47], v[180:181]
	;; [unrolled: 5-line block ×3, first 2 shown]
	v_fmac_f64_e32 v[60:61], v[52:53], v[162:163]
	v_add_f64 v[62:63], v[58:59], v[60:61]
	ds_read_b128 v[58:61], v254 offset:1104
	s_waitcnt vmcnt(58) lgkmcnt(1)
	v_mul_f64 v[64:65], v[54:55], v[188:189]
	s_waitcnt vmcnt(56)
	v_fmac_f64_e32 v[64:65], v[56:57], v[192:193]
	v_add_f64 v[66:67], v[62:63], v[64:65]
	ds_read_b128 v[62:65], v254 offset:1120
	s_waitcnt lgkmcnt(1)
	v_mul_f64 v[68:69], v[58:59], v[164:165]
	v_fmac_f64_e32 v[68:69], v[60:61], v[166:167]
	v_add_f64 v[70:71], v[66:67], v[68:69]
	ds_read_b128 v[66:69], v254 offset:1136
	s_waitcnt vmcnt(50) lgkmcnt(1)
	v_mul_f64 v[72:73], v[62:63], v[204:205]
	s_waitcnt vmcnt(48)
	v_fmac_f64_e32 v[72:73], v[64:65], v[206:207]
	v_add_f64 v[74:75], v[70:71], v[72:73]
	ds_read_b128 v[70:73], v254 offset:1152
	s_waitcnt lgkmcnt(1)
	v_mul_f64 v[76:77], v[66:67], v[168:169]
	;; [unrolled: 11-line block ×3, first 2 shown]
	v_fmac_f64_e32 v[84:85], v[76:77], v[178:179]
	v_add_f64 v[90:91], v[82:83], v[84:85]
	ds_read_b128 v[82:85], v254 offset:1200
	ds_read_b128 v[86:89], v254 offset:1216
	s_waitcnt vmcnt(34) lgkmcnt(2)
	v_mul_f64 v[92:93], v[78:79], v[218:219]
	s_waitcnt vmcnt(32)
	v_fmac_f64_e32 v[92:93], v[80:81], v[224:225]
	v_add_f64 v[90:91], v[90:91], v[92:93]
	s_waitcnt lgkmcnt(1)
	v_mul_f64 v[92:93], v[82:83], v[182:183]
	v_fmac_f64_e32 v[92:93], v[84:85], v[186:187]
	v_add_f64 v[90:91], v[90:91], v[92:93]
	s_waitcnt vmcnt(27) lgkmcnt(0)
	v_mul_f64 v[92:93], v[86:87], v[222:223]
	s_waitcnt vmcnt(25)
	v_fmac_f64_e32 v[92:93], v[88:89], v[226:227]
	v_add_f64 v[194:195], v[90:91], v[92:93]
	ds_read_b128 v[90:93], v254 offset:1232
	ds_read_b128 v[94:97], v254 offset:1248
	;; [unrolled: 1-line block ×3, first 2 shown]
	v_mul_f64 v[4:5], v[28:29], v[138:139]
	v_fma_f64 v[4:5], v[26:27], v[142:143], -v[4:5]
	s_waitcnt lgkmcnt(2)
	v_mul_f64 v[102:103], v[90:91], v[190:191]
	s_waitcnt vmcnt(24)
	v_fmac_f64_e32 v[102:103], v[92:93], v[202:203]
	s_waitcnt vmcnt(18) lgkmcnt(1)
	v_mul_f64 v[104:105], v[94:95], v[228:229]
	v_add_f64 v[102:103], v[194:195], v[102:103]
	s_waitcnt vmcnt(16)
	v_fmac_f64_e32 v[104:105], v[96:97], v[232:233]
	v_add_f64 v[102:103], v[102:103], v[104:105]
	v_mul_f64 v[104:105], v[98:99], v[208:209]
	v_fmac_f64_e32 v[104:105], v[100:101], v[212:213]
	v_add_f64 v[114:115], v[102:103], v[104:105]
	ds_read_b128 v[102:105], v254 offset:1280
	s_waitcnt vmcnt(10) lgkmcnt(0)
	v_mul_f64 v[116:117], v[102:103], v[236:237]
	s_waitcnt vmcnt(8)
	v_fmac_f64_e32 v[116:117], v[104:105], v[238:239]
	v_add_f64 v[114:115], v[114:115], v[116:117]
	v_mul_f64 v[116:117], v[106:107], v[216:217]
	v_fmac_f64_e32 v[116:117], v[108:109], v[220:221]
	v_add_f64 v[114:115], v[114:115], v[116:117]
	s_waitcnt vmcnt(2)
	v_mul_f64 v[116:117], v[110:111], v[240:241]
	s_waitcnt vmcnt(0)
	v_fmac_f64_e32 v[116:117], v[112:113], v[242:243]
	v_add_f64 v[194:195], v[114:115], v[116:117]
	ds_read_b128 v[114:117], v254 offset:1328
	buffer_load_dword v252, off, s[0:3], 0 offset:144
	buffer_load_dword v253, off, s[0:3], 0 offset:148
	s_waitcnt lgkmcnt(0)
	v_mul_f64 v[200:201], v[114:115], v[230:231]
	v_fmac_f64_e32 v[200:201], v[116:117], v[234:235]
	v_add_f64 v[244:245], v[194:195], v[200:201]
	v_add_f64 v[194:195], v[196:197], 0
	;; [unrolled: 1-line block ×4, first 2 shown]
	buffer_load_dword v248, off, s[0:3], 0 offset:152
	buffer_load_dword v249, off, s[0:3], 0 offset:156
	v_add_f64 v[194:195], v[194:195], v[246:247]
	v_add_f64 v[22:23], v[194:195], v[22:23]
	;; [unrolled: 1-line block ×8, first 2 shown]
	v_mul_f64 v[4:5], v[32:33], v[148:149]
	v_fma_f64 v[4:5], v[30:31], v[152:153], -v[4:5]
	v_add_f64 v[2:3], v[2:3], v[4:5]
	v_mul_f64 v[4:5], v[36:37], v[150:151]
	v_fma_f64 v[4:5], v[34:35], v[154:155], -v[4:5]
	v_add_f64 v[2:3], v[2:3], v[4:5]
	;; [unrolled: 3-line block ×22, first 2 shown]
	s_waitcnt vmcnt(2)
	v_add_f64 v[2:3], v[252:253], -v[2:3]
	s_waitcnt vmcnt(0)
	v_add_f64 v[4:5], v[248:249], -v[244:245]
	buffer_store_dword v3, off, s[0:3], 0 offset:148
	buffer_store_dword v2, off, s[0:3], 0 offset:144
	;; [unrolled: 1-line block ×4, first 2 shown]
	s_and_saveexec_b64 s[4:5], vcc
	s_cbranch_execz .LBB41_251
; %bb.250:
	v_accvgpr_read_b32 v0, a118
	buffer_load_dword v2, v0, s[0:3], 0 offen
	buffer_load_dword v3, v0, s[0:3], 0 offen offset:4
	buffer_load_dword v4, v0, s[0:3], 0 offen offset:8
	;; [unrolled: 1-line block ×3, first 2 shown]
	v_accvgpr_read_b32 v0, a126
	buffer_store_dword v254, off, s[0:3], 0 offset:128
	buffer_store_dword v254, off, s[0:3], 0 offset:132
	;; [unrolled: 1-line block ×4, first 2 shown]
	s_waitcnt vmcnt(4)
	ds_write_b128 v0, v[2:5]
.LBB41_251:
	s_or_b64 exec, exec, s[4:5]
	s_waitcnt lgkmcnt(0)
	; wave barrier
	s_waitcnt lgkmcnt(0)
	buffer_load_dword v86, off, s[0:3], 0 offset:144
	buffer_load_dword v87, off, s[0:3], 0 offset:148
	;; [unrolled: 1-line block ×42, first 2 shown]
	ds_read_b128 v[94:97], v254 offset:800
	ds_read_b128 v[106:109], v254 offset:816
	;; [unrolled: 1-line block ×10, first 2 shown]
	buffer_load_dword v147, off, s[0:3], 0 offset:292
	buffer_load_dword v146, off, s[0:3], 0 offset:288
	ds_read_b128 v[6:9], v254 offset:960
	buffer_load_dword v143, off, s[0:3], 0 offset:348
	buffer_load_dword v142, off, s[0:3], 0 offset:344
	;; [unrolled: 1-line block ×80, first 2 shown]
	v_cmp_lt_u32_e32 vcc, 6, v118
	s_waitcnt vmcnt(62) lgkmcnt(10)
	v_mul_f64 v[26:27], v[94:95], v[88:89]
	v_fmac_f64_e32 v[26:27], v[96:97], v[86:87]
	v_add_f64 v[26:27], v[26:27], 0
	v_mul_f64 v[88:89], v[96:97], v[88:89]
	s_waitcnt lgkmcnt(9)
	v_mul_f64 v[28:29], v[106:107], v[92:93]
	v_fmac_f64_e32 v[28:29], v[108:109], v[90:91]
	s_waitcnt lgkmcnt(8)
	v_mul_f64 v[30:31], v[114:115], v[98:99]
	v_add_f64 v[26:27], v[26:27], v[28:29]
	s_waitcnt lgkmcnt(6)
	v_mul_f64 v[34:35], v[248:249], v[110:111]
	v_fma_f64 v[196:197], v[94:95], v[86:87], -v[88:89]
	v_fmac_f64_e32 v[34:35], v[250:251], v[112:113]
	v_mul_f64 v[92:93], v[108:109], v[92:93]
	v_mul_f64 v[32:33], v[244:245], v[102:103]
	;; [unrolled: 1-line block ×3, first 2 shown]
	s_waitcnt lgkmcnt(4)
	v_mul_f64 v[38:39], v[18:19], v[120:121]
	v_mul_f64 v[102:103], v[246:247], v[102:103]
	v_fmac_f64_e32 v[38:39], v[20:21], v[122:123]
	v_mul_f64 v[110:111], v[250:251], v[110:111]
	v_mul_f64 v[36:37], v[22:23], v[124:125]
	v_fma_f64 v[248:249], v[248:249], v[112:113], -v[110:111]
	s_waitcnt lgkmcnt(2)
	v_mul_f64 v[42:43], v[10:11], v[126:127]
	v_add_f64 v[196:197], v[196:197], 0
	v_mul_f64 v[20:21], v[20:21], v[120:121]
	v_mul_f64 v[40:41], v[14:15], v[132:133]
	v_fma_f64 v[18:19], v[18:19], v[122:123], -v[20:21]
	s_waitcnt lgkmcnt(1)
	v_mul_f64 v[44:45], v[2:3], v[130:131]
	v_fmac_f64_e32 v[30:31], v[116:117], v[100:101]
	v_add_f64 v[26:27], v[26:27], v[30:31]
	v_fmac_f64_e32 v[32:33], v[246:247], v[104:105]
	v_add_f64 v[26:27], v[26:27], v[32:33]
	;; [unrolled: 2-line block ×3, first 2 shown]
	v_add_f64 v[26:27], v[26:27], v[36:37]
	v_fmac_f64_e32 v[40:41], v[16:17], v[134:135]
	v_add_f64 v[26:27], v[26:27], v[38:39]
	v_fmac_f64_e32 v[42:43], v[12:13], v[128:129]
	v_add_f64 v[26:27], v[26:27], v[40:41]
	v_add_f64 v[26:27], v[26:27], v[42:43]
	s_waitcnt lgkmcnt(0)
	v_mul_f64 v[32:33], v[6:7], v[138:139]
	v_fmac_f64_e32 v[44:45], v[4:5], v[146:147]
	v_add_f64 v[30:31], v[26:27], v[44:45]
	ds_read_b128 v[26:29], v254 offset:976
	v_fmac_f64_e32 v[32:33], v[8:9], v[140:141]
	v_add_f64 v[34:35], v[30:31], v[32:33]
	ds_read_b128 v[30:33], v254 offset:992
	v_fma_f64 v[198:199], v[114:115], v[100:101], -v[98:99]
	s_waitcnt lgkmcnt(1)
	v_mul_f64 v[36:37], v[26:27], v[148:149]
	v_fmac_f64_e32 v[36:37], v[28:29], v[164:165]
	v_add_f64 v[38:39], v[34:35], v[36:37]
	ds_read_b128 v[34:37], v254 offset:1008
	s_waitcnt lgkmcnt(1)
	v_mul_f64 v[40:41], v[30:31], v[142:143]
	v_fmac_f64_e32 v[40:41], v[32:33], v[144:145]
	v_add_f64 v[42:43], v[38:39], v[40:41]
	ds_read_b128 v[38:41], v254 offset:1024
	s_waitcnt lgkmcnt(1)
	v_mul_f64 v[44:45], v[34:35], v[168:169]
	v_fmac_f64_e32 v[44:45], v[36:37], v[172:173]
	v_add_f64 v[46:47], v[42:43], v[44:45]
	ds_read_b128 v[42:45], v254 offset:1040
	s_waitcnt lgkmcnt(1)
	v_mul_f64 v[48:49], v[38:39], v[150:151]
	v_fmac_f64_e32 v[48:49], v[40:41], v[152:153]
	v_add_f64 v[50:51], v[46:47], v[48:49]
	ds_read_b128 v[46:49], v254 offset:1056
	s_waitcnt vmcnt(58) lgkmcnt(1)
	v_mul_f64 v[52:53], v[42:43], v[176:177]
	s_waitcnt vmcnt(56)
	v_fmac_f64_e32 v[52:53], v[44:45], v[180:181]
	v_add_f64 v[54:55], v[50:51], v[52:53]
	ds_read_b128 v[50:53], v254 offset:1072
	buffer_load_dword v232, off, s[0:3], 0 offset:664
	buffer_load_dword v237, off, s[0:3], 0 offset:652
	;; [unrolled: 1-line block ×8, first 2 shown]
	s_waitcnt lgkmcnt(1)
	v_mul_f64 v[56:57], v[46:47], v[154:155]
	v_fmac_f64_e32 v[56:57], v[48:49], v[156:157]
	v_add_f64 v[58:59], v[54:55], v[56:57]
	ds_read_b128 v[54:57], v254 offset:1088
	s_waitcnt vmcnt(58) lgkmcnt(1)
	v_mul_f64 v[60:61], v[50:51], v[184:185]
	s_waitcnt vmcnt(56)
	v_fmac_f64_e32 v[60:61], v[52:53], v[188:189]
	buffer_load_dword v241, off, s[0:3], 0 offset:684
	buffer_load_dword v240, off, s[0:3], 0 offset:680
	;; [unrolled: 1-line block ×4, first 2 shown]
	v_add_f64 v[62:63], v[58:59], v[60:61]
	ds_read_b128 v[58:61], v254 offset:1104
	s_waitcnt lgkmcnt(1)
	v_mul_f64 v[64:65], v[54:55], v[158:159]
	v_fmac_f64_e32 v[64:65], v[56:57], v[160:161]
	v_add_f64 v[66:67], v[62:63], v[64:65]
	ds_read_b128 v[62:65], v254 offset:1120
	s_waitcnt vmcnt(54) lgkmcnt(1)
	v_mul_f64 v[68:69], v[58:59], v[192:193]
	s_waitcnt vmcnt(52)
	v_fmac_f64_e32 v[68:69], v[60:61], v[204:205]
	v_add_f64 v[70:71], v[66:67], v[68:69]
	ds_read_b128 v[66:69], v254 offset:1136
	s_waitcnt lgkmcnt(1)
	v_mul_f64 v[72:73], v[62:63], v[162:163]
	v_fmac_f64_e32 v[72:73], v[64:65], v[166:167]
	v_add_f64 v[74:75], v[70:71], v[72:73]
	ds_read_b128 v[70:73], v254 offset:1152
	s_waitcnt vmcnt(46) lgkmcnt(1)
	v_mul_f64 v[76:77], v[66:67], v[208:209]
	s_waitcnt vmcnt(44)
	v_fmac_f64_e32 v[76:77], v[68:69], v[212:213]
	v_add_f64 v[82:83], v[74:75], v[76:77]
	ds_read_b128 v[74:77], v254 offset:1168
	ds_read_b128 v[78:81], v254 offset:1184
	s_waitcnt lgkmcnt(2)
	v_mul_f64 v[84:85], v[70:71], v[170:171]
	v_fmac_f64_e32 v[84:85], v[72:73], v[174:175]
	v_add_f64 v[82:83], v[82:83], v[84:85]
	s_waitcnt vmcnt(38) lgkmcnt(1)
	v_mul_f64 v[84:85], v[74:75], v[216:217]
	s_waitcnt vmcnt(36)
	v_fmac_f64_e32 v[84:85], v[76:77], v[218:219]
	v_add_f64 v[82:83], v[82:83], v[84:85]
	s_waitcnt lgkmcnt(0)
	v_mul_f64 v[84:85], v[78:79], v[178:179]
	v_fmac_f64_e32 v[84:85], v[80:81], v[182:183]
	v_add_f64 v[194:195], v[82:83], v[84:85]
	ds_read_b128 v[82:85], v254 offset:1200
	ds_read_b128 v[86:89], v254 offset:1216
	ds_read_b128 v[98:101], v254 offset:1264
	v_fma_f64 v[246:247], v[244:245], v[104:105], -v[102:103]
	ds_read_b128 v[102:105], v254 offset:1296
	ds_read_b128 v[110:113], v254 offset:1312
	s_waitcnt vmcnt(30) lgkmcnt(4)
	v_mul_f64 v[94:95], v[82:83], v[220:221]
	s_waitcnt vmcnt(28)
	v_fmac_f64_e32 v[94:95], v[84:85], v[222:223]
	v_add_f64 v[94:95], v[194:195], v[94:95]
	v_fma_f64 v[194:195], v[106:107], v[90:91], -v[92:93]
	ds_read_b128 v[90:93], v254 offset:1232
	s_waitcnt lgkmcnt(4)
	v_mul_f64 v[96:97], v[86:87], v[186:187]
	v_fmac_f64_e32 v[96:97], v[88:89], v[190:191]
	v_add_f64 v[106:107], v[94:95], v[96:97]
	ds_read_b128 v[94:97], v254 offset:1248
	s_waitcnt vmcnt(22) lgkmcnt(1)
	v_mul_f64 v[108:109], v[90:91], v[224:225]
	s_waitcnt vmcnt(20)
	v_fmac_f64_e32 v[108:109], v[92:93], v[226:227]
	v_add_f64 v[106:107], v[106:107], v[108:109]
	v_add_f64 v[194:195], v[196:197], v[194:195]
	s_waitcnt lgkmcnt(0)
	v_mul_f64 v[108:109], v[94:95], v[202:203]
	v_fmac_f64_e32 v[108:109], v[96:97], v[206:207]
	v_add_f64 v[114:115], v[106:107], v[108:109]
	ds_read_b128 v[106:109], v254 offset:1280
	s_waitcnt vmcnt(14)
	v_mul_f64 v[116:117], v[98:99], v[228:229]
	s_waitcnt vmcnt(12)
	v_fmac_f64_e32 v[116:117], v[100:101], v[230:231]
	v_add_f64 v[114:115], v[114:115], v[116:117]
	v_add_f64 v[250:251], v[194:195], v[198:199]
	s_waitcnt lgkmcnt(0)
	v_mul_f64 v[116:117], v[106:107], v[210:211]
	v_fmac_f64_e32 v[116:117], v[108:109], v[214:215]
	v_add_f64 v[114:115], v[114:115], v[116:117]
	v_add_f64 v[194:195], v[250:251], v[246:247]
	v_mul_f64 v[24:25], v[24:25], v[124:125]
	v_add_f64 v[194:195], v[194:195], v[248:249]
	v_fma_f64 v[22:23], v[22:23], v[136:137], -v[24:25]
	v_add_f64 v[22:23], v[194:195], v[22:23]
	v_mul_f64 v[16:17], v[16:17], v[132:133]
	v_add_f64 v[18:19], v[22:23], v[18:19]
	v_fma_f64 v[14:15], v[14:15], v[134:135], -v[16:17]
	v_mul_f64 v[12:13], v[12:13], v[126:127]
	s_waitcnt vmcnt(9)
	v_mul_f64 v[116:117], v[102:103], v[236:237]
	v_add_f64 v[14:15], v[18:19], v[14:15]
	s_waitcnt vmcnt(7)
	v_fmac_f64_e32 v[116:117], v[104:105], v[238:239]
	v_add_f64 v[114:115], v[114:115], v[116:117]
	s_waitcnt vmcnt(5)
	v_mul_f64 v[116:117], v[110:111], v[232:233]
	s_waitcnt vmcnt(4)
	v_fmac_f64_e32 v[116:117], v[112:113], v[234:235]
	v_add_f64 v[200:201], v[114:115], v[116:117]
	ds_read_b128 v[114:117], v254 offset:1328
	buffer_load_dword v254, off, s[0:3], 0 offset:128
	buffer_load_dword v255, off, s[0:3], 0 offset:132
	;; [unrolled: 1-line block ×4, first 2 shown]
	v_fma_f64 v[10:11], v[10:11], v[128:129], -v[12:13]
	v_mul_f64 v[4:5], v[4:5], v[130:131]
	v_add_f64 v[10:11], v[14:15], v[10:11]
	v_fma_f64 v[2:3], v[2:3], v[146:147], -v[4:5]
	v_mul_f64 v[4:5], v[8:9], v[138:139]
	v_add_f64 v[2:3], v[10:11], v[2:3]
	v_fma_f64 v[4:5], v[6:7], v[140:141], -v[4:5]
	v_add_f64 v[2:3], v[2:3], v[4:5]
	v_mul_f64 v[4:5], v[28:29], v[148:149]
	v_fma_f64 v[4:5], v[26:27], v[164:165], -v[4:5]
	v_add_f64 v[2:3], v[2:3], v[4:5]
	v_mul_f64 v[4:5], v[32:33], v[142:143]
	v_fma_f64 v[4:5], v[30:31], v[144:145], -v[4:5]
	v_add_f64 v[2:3], v[2:3], v[4:5]
	v_mul_f64 v[4:5], v[36:37], v[168:169]
	v_fma_f64 v[4:5], v[34:35], v[172:173], -v[4:5]
	v_add_f64 v[2:3], v[2:3], v[4:5]
	v_mul_f64 v[4:5], v[40:41], v[150:151]
	v_fma_f64 v[4:5], v[38:39], v[152:153], -v[4:5]
	v_add_f64 v[2:3], v[2:3], v[4:5]
	v_mul_f64 v[4:5], v[44:45], v[176:177]
	v_fma_f64 v[4:5], v[42:43], v[180:181], -v[4:5]
	v_add_f64 v[2:3], v[2:3], v[4:5]
	v_mul_f64 v[4:5], v[48:49], v[154:155]
	v_fma_f64 v[4:5], v[46:47], v[156:157], -v[4:5]
	v_add_f64 v[2:3], v[2:3], v[4:5]
	v_mul_f64 v[4:5], v[52:53], v[184:185]
	v_fma_f64 v[4:5], v[50:51], v[188:189], -v[4:5]
	v_add_f64 v[2:3], v[2:3], v[4:5]
	v_mul_f64 v[4:5], v[56:57], v[158:159]
	v_fma_f64 v[4:5], v[54:55], v[160:161], -v[4:5]
	v_add_f64 v[2:3], v[2:3], v[4:5]
	v_mul_f64 v[4:5], v[60:61], v[192:193]
	v_fma_f64 v[4:5], v[58:59], v[204:205], -v[4:5]
	v_add_f64 v[2:3], v[2:3], v[4:5]
	v_mul_f64 v[4:5], v[64:65], v[162:163]
	v_fma_f64 v[4:5], v[62:63], v[166:167], -v[4:5]
	v_add_f64 v[2:3], v[2:3], v[4:5]
	v_mul_f64 v[4:5], v[68:69], v[208:209]
	v_fma_f64 v[4:5], v[66:67], v[212:213], -v[4:5]
	v_add_f64 v[2:3], v[2:3], v[4:5]
	v_mul_f64 v[4:5], v[72:73], v[170:171]
	v_fma_f64 v[4:5], v[70:71], v[174:175], -v[4:5]
	v_add_f64 v[2:3], v[2:3], v[4:5]
	v_mul_f64 v[4:5], v[76:77], v[216:217]
	v_fma_f64 v[4:5], v[74:75], v[218:219], -v[4:5]
	v_add_f64 v[2:3], v[2:3], v[4:5]
	v_mul_f64 v[4:5], v[80:81], v[178:179]
	v_fma_f64 v[4:5], v[78:79], v[182:183], -v[4:5]
	v_add_f64 v[2:3], v[2:3], v[4:5]
	v_mul_f64 v[4:5], v[84:85], v[220:221]
	v_fma_f64 v[4:5], v[82:83], v[222:223], -v[4:5]
	v_add_f64 v[2:3], v[2:3], v[4:5]
	v_mul_f64 v[4:5], v[88:89], v[186:187]
	v_fma_f64 v[4:5], v[86:87], v[190:191], -v[4:5]
	v_add_f64 v[2:3], v[2:3], v[4:5]
	v_mul_f64 v[4:5], v[92:93], v[224:225]
	v_fma_f64 v[4:5], v[90:91], v[226:227], -v[4:5]
	v_add_f64 v[2:3], v[2:3], v[4:5]
	v_mul_f64 v[4:5], v[96:97], v[202:203]
	v_fma_f64 v[4:5], v[94:95], v[206:207], -v[4:5]
	v_add_f64 v[2:3], v[2:3], v[4:5]
	v_mul_f64 v[4:5], v[100:101], v[228:229]
	v_fma_f64 v[4:5], v[98:99], v[230:231], -v[4:5]
	v_add_f64 v[2:3], v[2:3], v[4:5]
	v_mul_f64 v[4:5], v[108:109], v[210:211]
	v_fma_f64 v[4:5], v[106:107], v[214:215], -v[4:5]
	v_add_f64 v[2:3], v[2:3], v[4:5]
	v_mul_f64 v[4:5], v[104:105], v[236:237]
	v_fma_f64 v[4:5], v[102:103], v[238:239], -v[4:5]
	v_add_f64 v[2:3], v[2:3], v[4:5]
	v_mul_f64 v[4:5], v[112:113], v[232:233]
	v_fma_f64 v[4:5], v[110:111], v[234:235], -v[4:5]
	v_add_f64 v[2:3], v[2:3], v[4:5]
	s_waitcnt vmcnt(6) lgkmcnt(0)
	v_mul_f64 v[4:5], v[116:117], v[240:241]
	v_mul_f64 v[244:245], v[114:115], v[240:241]
	s_waitcnt vmcnt(4)
	v_fma_f64 v[4:5], v[114:115], v[242:243], -v[4:5]
	v_fmac_f64_e32 v[244:245], v[116:117], v[242:243]
	v_add_f64 v[2:3], v[2:3], v[4:5]
	v_add_f64 v[244:245], v[200:201], v[244:245]
	s_waitcnt vmcnt(2)
	v_add_f64 v[2:3], v[254:255], -v[2:3]
	s_waitcnt vmcnt(0)
	v_add_f64 v[4:5], v[252:253], -v[244:245]
	buffer_store_dword v3, off, s[0:3], 0 offset:132
	buffer_store_dword v2, off, s[0:3], 0 offset:128
	;; [unrolled: 1-line block ×4, first 2 shown]
	s_and_saveexec_b64 s[4:5], vcc
	s_cbranch_execz .LBB41_253
; %bb.252:
	v_accvgpr_read_b32 v0, a119
	buffer_load_dword v2, v0, s[0:3], 0 offen
	buffer_load_dword v3, v0, s[0:3], 0 offen offset:4
	buffer_load_dword v4, v0, s[0:3], 0 offen offset:8
	;; [unrolled: 1-line block ×3, first 2 shown]
	v_mov_b32_e32 v0, 0
	v_accvgpr_read_b32 v1, a126
	buffer_store_dword v0, off, s[0:3], 0 offset:112
	buffer_store_dword v0, off, s[0:3], 0 offset:116
	;; [unrolled: 1-line block ×4, first 2 shown]
	s_waitcnt vmcnt(4)
	ds_write_b128 v1, v[2:5]
.LBB41_253:
	s_or_b64 exec, exec, s[4:5]
	s_waitcnt lgkmcnt(0)
	; wave barrier
	s_waitcnt lgkmcnt(0)
	buffer_load_dword v82, off, s[0:3], 0 offset:128
	buffer_load_dword v83, off, s[0:3], 0 offset:132
	;; [unrolled: 1-line block ×54, first 2 shown]
	v_mov_b32_e32 v254, 0
	ds_read_b128 v[90:93], v254 offset:784
	ds_read_b128 v[106:109], v254 offset:800
	;; [unrolled: 1-line block ×9, first 2 shown]
	buffer_load_dword v151, off, s[0:3], 0 offset:356
	buffer_load_dword v150, off, s[0:3], 0 offset:352
	;; [unrolled: 1-line block ×62, first 2 shown]
	v_cmp_lt_u32_e32 vcc, 5, v118
	s_waitcnt vmcnt(62) lgkmcnt(8)
	v_mul_f64 v[14:15], v[90:91], v[84:85]
	v_fmac_f64_e32 v[14:15], v[92:93], v[82:83]
	v_add_f64 v[14:15], v[14:15], 0
	v_mul_f64 v[84:85], v[92:93], v[84:85]
	s_waitcnt lgkmcnt(7)
	v_mul_f64 v[16:17], v[106:107], v[88:89]
	v_fmac_f64_e32 v[16:17], v[108:109], v[86:87]
	s_waitcnt lgkmcnt(6)
	v_mul_f64 v[18:19], v[114:115], v[94:95]
	v_add_f64 v[14:15], v[14:15], v[16:17]
	s_waitcnt lgkmcnt(4)
	v_mul_f64 v[22:23], v[246:247], v[102:103]
	v_fma_f64 v[196:197], v[90:91], v[82:83], -v[84:85]
	v_fmac_f64_e32 v[22:23], v[248:249], v[104:105]
	v_mul_f64 v[88:89], v[108:109], v[88:89]
	v_mul_f64 v[20:21], v[242:243], v[98:99]
	v_fma_f64 v[198:199], v[106:107], v[86:87], -v[88:89]
	s_waitcnt lgkmcnt(2)
	v_mul_f64 v[26:27], v[10:11], v[120:121]
	v_mul_f64 v[94:95], v[116:117], v[94:95]
	v_fmac_f64_e32 v[26:27], v[12:13], v[122:123]
	v_mul_f64 v[98:99], v[244:245], v[98:99]
	v_mul_f64 v[24:25], v[250:251], v[110:111]
	;; [unrolled: 1-line block ×3, first 2 shown]
	s_waitcnt lgkmcnt(1)
	v_mul_f64 v[28:29], v[6:7], v[124:125]
	v_mul_f64 v[110:111], v[252:253], v[110:111]
	v_fmac_f64_e32 v[18:19], v[116:117], v[96:97]
	v_add_f64 v[14:15], v[14:15], v[18:19]
	v_fmac_f64_e32 v[20:21], v[244:245], v[100:101]
	v_add_f64 v[14:15], v[14:15], v[20:21]
	;; [unrolled: 2-line block ×3, first 2 shown]
	v_add_f64 v[14:15], v[14:15], v[24:25]
	v_fmac_f64_e32 v[28:29], v[8:9], v[128:129]
	v_add_f64 v[14:15], v[14:15], v[26:27]
	v_add_f64 v[18:19], v[14:15], v[28:29]
	ds_read_b128 v[14:17], v254 offset:928
	s_waitcnt lgkmcnt(1)
	v_mul_f64 v[20:21], v[2:3], v[126:127]
	v_fmac_f64_e32 v[20:21], v[4:5], v[130:131]
	v_add_f64 v[22:23], v[18:19], v[20:21]
	ds_read_b128 v[18:21], v254 offset:944
	s_waitcnt lgkmcnt(1)
	v_mul_f64 v[24:25], v[14:15], v[136:137]
	v_fmac_f64_e32 v[24:25], v[16:17], v[138:139]
	;; [unrolled: 5-line block ×5, first 2 shown]
	v_add_f64 v[38:39], v[34:35], v[36:37]
	ds_read_b128 v[34:37], v254 offset:1008
	s_waitcnt vmcnt(58) lgkmcnt(1)
	v_mul_f64 v[40:41], v[30:31], v[164:165]
	s_waitcnt vmcnt(56)
	v_fmac_f64_e32 v[40:41], v[32:33], v[168:169]
	v_add_f64 v[42:43], v[38:39], v[40:41]
	ds_read_b128 v[38:41], v254 offset:1024
	s_waitcnt lgkmcnt(1)
	v_mul_f64 v[44:45], v[34:35], v[144:145]
	v_fmac_f64_e32 v[44:45], v[36:37], v[150:151]
	v_add_f64 v[46:47], v[42:43], v[44:45]
	ds_read_b128 v[42:45], v254 offset:1040
	s_waitcnt vmcnt(50) lgkmcnt(1)
	v_mul_f64 v[48:49], v[38:39], v[172:173]
	s_waitcnt vmcnt(48)
	v_fmac_f64_e32 v[48:49], v[40:41], v[176:177]
	v_add_f64 v[50:51], v[46:47], v[48:49]
	ds_read_b128 v[46:49], v254 offset:1056
	buffer_load_dword v221, off, s[0:3], 0 offset:604
	buffer_load_dword v220, off, s[0:3], 0 offset:600
	buffer_load_dword v223, off, s[0:3], 0 offset:596
	buffer_load_dword v222, off, s[0:3], 0 offset:592
	buffer_load_dword v227, off, s[0:3], 0 offset:620
	buffer_load_dword v226, off, s[0:3], 0 offset:616
	buffer_load_dword v229, off, s[0:3], 0 offset:612
	buffer_load_dword v228, off, s[0:3], 0 offset:608
	s_waitcnt lgkmcnt(1)
	v_mul_f64 v[52:53], v[42:43], v[152:153]
	v_fmac_f64_e32 v[52:53], v[44:45], v[154:155]
	v_add_f64 v[54:55], v[50:51], v[52:53]
	ds_read_b128 v[50:53], v254 offset:1072
	s_waitcnt vmcnt(50) lgkmcnt(1)
	v_mul_f64 v[56:57], v[46:47], v[180:181]
	s_waitcnt vmcnt(48)
	v_fmac_f64_e32 v[56:57], v[48:49], v[184:185]
	buffer_load_dword v225, off, s[0:3], 0 offset:652
	buffer_load_dword v231, off, s[0:3], 0 offset:636
	;; [unrolled: 1-line block ×12, first 2 shown]
	v_add_f64 v[58:59], v[54:55], v[56:57]
	ds_read_b128 v[54:57], v254 offset:1088
	s_waitcnt lgkmcnt(1)
	v_mul_f64 v[60:61], v[50:51], v[156:157]
	v_fmac_f64_e32 v[60:61], v[52:53], v[158:159]
	v_add_f64 v[62:63], v[58:59], v[60:61]
	ds_read_b128 v[58:61], v254 offset:1104
	s_waitcnt vmcnt(54) lgkmcnt(1)
	v_mul_f64 v[64:65], v[54:55], v[188:189]
	s_waitcnt vmcnt(52)
	v_fmac_f64_e32 v[64:65], v[56:57], v[192:193]
	v_add_f64 v[66:67], v[62:63], v[64:65]
	ds_read_b128 v[62:65], v254 offset:1120
	s_waitcnt lgkmcnt(1)
	v_mul_f64 v[68:69], v[58:59], v[160:161]
	v_fmac_f64_e32 v[68:69], v[60:61], v[162:163]
	v_add_f64 v[70:71], v[66:67], v[68:69]
	ds_read_b128 v[66:69], v254 offset:1136
	s_waitcnt vmcnt(46) lgkmcnt(1)
	v_mul_f64 v[72:73], v[62:63], v[204:205]
	s_waitcnt vmcnt(44)
	v_fmac_f64_e32 v[72:73], v[64:65], v[206:207]
	v_add_f64 v[78:79], v[70:71], v[72:73]
	ds_read_b128 v[70:73], v254 offset:1152
	ds_read_b128 v[74:77], v254 offset:1168
	s_waitcnt lgkmcnt(2)
	v_mul_f64 v[80:81], v[66:67], v[166:167]
	v_fmac_f64_e32 v[80:81], v[68:69], v[170:171]
	v_add_f64 v[78:79], v[78:79], v[80:81]
	s_waitcnt vmcnt(38) lgkmcnt(1)
	v_mul_f64 v[80:81], v[70:71], v[208:209]
	s_waitcnt vmcnt(36)
	v_fmac_f64_e32 v[80:81], v[72:73], v[210:211]
	v_add_f64 v[78:79], v[78:79], v[80:81]
	s_waitcnt lgkmcnt(0)
	v_mul_f64 v[80:81], v[74:75], v[174:175]
	v_fmac_f64_e32 v[80:81], v[76:77], v[178:179]
	v_add_f64 v[194:195], v[78:79], v[80:81]
	ds_read_b128 v[78:81], v254 offset:1184
	ds_read_b128 v[82:85], v254 offset:1200
	;; [unrolled: 1-line block ×3, first 2 shown]
	v_fma_f64 v[200:201], v[242:243], v[100:101], -v[98:99]
	ds_read_b128 v[98:101], v254 offset:1264
	s_waitcnt vmcnt(30) lgkmcnt(3)
	v_mul_f64 v[90:91], v[78:79], v[212:213]
	s_waitcnt vmcnt(28)
	v_fmac_f64_e32 v[90:91], v[80:81], v[214:215]
	s_waitcnt lgkmcnt(2)
	v_mul_f64 v[92:93], v[82:83], v[182:183]
	v_add_f64 v[90:91], v[194:195], v[90:91]
	v_fmac_f64_e32 v[92:93], v[84:85], v[186:187]
	v_add_f64 v[90:91], v[90:91], v[92:93]
	v_fma_f64 v[194:195], v[114:115], v[96:97], -v[94:95]
	ds_read_b128 v[94:97], v254 offset:1248
	s_waitcnt vmcnt(22) lgkmcnt(2)
	v_mul_f64 v[92:93], v[86:87], v[216:217]
	s_waitcnt vmcnt(20)
	v_fmac_f64_e32 v[92:93], v[88:89], v[218:219]
	v_add_f64 v[106:107], v[90:91], v[92:93]
	ds_read_b128 v[90:93], v254 offset:1232
	buffer_load_dword v240, off, s[0:3], 0 offset:680
	v_fma_f64 v[246:247], v[246:247], v[104:105], -v[102:103]
	ds_read_b128 v[102:105], v254 offset:1280
	v_fma_f64 v[250:251], v[250:251], v[112:113], -v[110:111]
	s_waitcnt lgkmcnt(1)
	v_mul_f64 v[108:109], v[90:91], v[190:191]
	v_fmac_f64_e32 v[108:109], v[92:93], v[202:203]
	v_add_f64 v[106:107], v[106:107], v[108:109]
	ds_read_b128 v[110:113], v254 offset:1312
	v_add_f64 v[196:197], v[196:197], 0
	v_add_f64 v[196:197], v[196:197], v[198:199]
	;; [unrolled: 1-line block ×5, first 2 shown]
	v_mul_f64 v[12:13], v[12:13], v[120:121]
	v_add_f64 v[194:195], v[252:253], v[250:251]
	v_fma_f64 v[10:11], v[10:11], v[122:123], -v[12:13]
	v_mul_f64 v[8:9], v[8:9], v[124:125]
	v_add_f64 v[10:11], v[194:195], v[10:11]
	v_fma_f64 v[6:7], v[6:7], v[128:129], -v[8:9]
	;; [unrolled: 3-line block ×3, first 2 shown]
	v_mul_f64 v[4:5], v[16:17], v[136:137]
	v_add_f64 v[2:3], v[6:7], v[2:3]
	s_waitcnt vmcnt(19)
	v_mul_f64 v[108:109], v[94:95], v[220:221]
	v_fma_f64 v[4:5], v[14:15], v[138:139], -v[4:5]
	s_waitcnt vmcnt(17)
	v_fmac_f64_e32 v[108:109], v[96:97], v[222:223]
	v_add_f64 v[106:107], v[106:107], v[108:109]
	s_waitcnt vmcnt(15)
	v_mul_f64 v[108:109], v[98:99], v[226:227]
	s_waitcnt vmcnt(13)
	v_fmac_f64_e32 v[108:109], v[100:101], v[228:229]
	v_add_f64 v[114:115], v[106:107], v[108:109]
	ds_read_b128 v[106:109], v254 offset:1296
	buffer_load_dword v244, off, s[0:3], 0 offset:672
	buffer_load_dword v241, off, s[0:3], 0 offset:684
	;; [unrolled: 1-line block ×3, first 2 shown]
	s_waitcnt vmcnt(13) lgkmcnt(2)
	v_mul_f64 v[116:117], v[102:103], v[230:231]
	s_waitcnt vmcnt(11)
	v_fmac_f64_e32 v[116:117], v[104:105], v[236:237]
	v_add_f64 v[114:115], v[114:115], v[116:117]
	s_waitcnt vmcnt(10) lgkmcnt(0)
	v_mul_f64 v[116:117], v[106:107], v[224:225]
	s_waitcnt vmcnt(8)
	v_fmac_f64_e32 v[116:117], v[108:109], v[234:235]
	v_add_f64 v[114:115], v[114:115], v[116:117]
	s_waitcnt vmcnt(6)
	v_mul_f64 v[116:117], v[110:111], v[232:233]
	s_waitcnt vmcnt(4)
	v_fmac_f64_e32 v[116:117], v[112:113], v[238:239]
	v_add_f64 v[242:243], v[114:115], v[116:117]
	ds_read_b128 v[114:117], v254 offset:1328
	v_add_f64 v[2:3], v[2:3], v[4:5]
	v_mul_f64 v[4:5], v[20:21], v[132:133]
	v_fma_f64 v[4:5], v[18:19], v[134:135], -v[4:5]
	v_add_f64 v[2:3], v[2:3], v[4:5]
	v_mul_f64 v[4:5], v[24:25], v[146:147]
	v_fma_f64 v[4:5], v[22:23], v[148:149], -v[4:5]
	;; [unrolled: 3-line block ×22, first 2 shown]
	v_add_f64 v[2:3], v[2:3], v[4:5]
	v_mul_f64 v[4:5], v[108:109], v[224:225]
	s_waitcnt vmcnt(1) lgkmcnt(0)
	v_mul_f64 v[248:249], v[114:115], v[240:241]
	s_waitcnt vmcnt(0)
	v_fmac_f64_e32 v[248:249], v[116:117], v[244:245]
	v_add_f64 v[242:243], v[242:243], v[248:249]
	buffer_load_dword v248, off, s[0:3], 0 offset:112
	buffer_load_dword v249, off, s[0:3], 0 offset:116
	;; [unrolled: 1-line block ×4, first 2 shown]
	v_fma_f64 v[4:5], v[106:107], v[234:235], -v[4:5]
	v_add_f64 v[2:3], v[2:3], v[4:5]
	v_mul_f64 v[4:5], v[112:113], v[232:233]
	v_fma_f64 v[4:5], v[110:111], v[238:239], -v[4:5]
	v_add_f64 v[2:3], v[2:3], v[4:5]
	v_mul_f64 v[4:5], v[116:117], v[240:241]
	v_fma_f64 v[4:5], v[114:115], v[244:245], -v[4:5]
	v_add_f64 v[2:3], v[2:3], v[4:5]
	s_waitcnt vmcnt(2)
	v_add_f64 v[2:3], v[248:249], -v[2:3]
	s_waitcnt vmcnt(0)
	v_add_f64 v[4:5], v[246:247], -v[242:243]
	buffer_store_dword v3, off, s[0:3], 0 offset:116
	buffer_store_dword v2, off, s[0:3], 0 offset:112
	;; [unrolled: 1-line block ×4, first 2 shown]
	s_and_saveexec_b64 s[4:5], vcc
	s_cbranch_execz .LBB41_255
; %bb.254:
	v_accvgpr_read_b32 v0, a120
	buffer_load_dword v2, v0, s[0:3], 0 offen
	buffer_load_dword v3, v0, s[0:3], 0 offen offset:4
	buffer_load_dword v4, v0, s[0:3], 0 offen offset:8
	buffer_load_dword v5, v0, s[0:3], 0 offen offset:12
	v_accvgpr_read_b32 v0, a126
	buffer_store_dword v254, off, s[0:3], 0 offset:96
	buffer_store_dword v254, off, s[0:3], 0 offset:100
	;; [unrolled: 1-line block ×4, first 2 shown]
	s_waitcnt vmcnt(4)
	ds_write_b128 v0, v[2:5]
.LBB41_255:
	s_or_b64 exec, exec, s[4:5]
	s_waitcnt lgkmcnt(0)
	; wave barrier
	s_waitcnt lgkmcnt(0)
	buffer_load_dword v84, off, s[0:3], 0 offset:112
	buffer_load_dword v85, off, s[0:3], 0 offset:116
	;; [unrolled: 1-line block ×34, first 2 shown]
	ds_read_b128 v[74:77], v254 offset:768
	ds_read_b128 v[78:81], v254 offset:784
	;; [unrolled: 1-line block ×8, first 2 shown]
	buffer_load_dword v127, off, s[0:3], 0 offset:228
	buffer_load_dword v126, off, s[0:3], 0 offset:224
	ds_read_b128 v[6:9], v254 offset:896
	buffer_load_dword v129, off, s[0:3], 0 offset:284
	buffer_load_dword v128, off, s[0:3], 0 offset:280
	;; [unrolled: 1-line block ×80, first 2 shown]
	v_accvgpr_write_b32 a125, v118
	v_cmp_lt_u32_e32 vcc, 4, v118
	s_waitcnt vmcnt(62) lgkmcnt(8)
	v_mul_f64 v[10:11], v[74:75], v[106:107]
	v_fmac_f64_e32 v[10:11], v[76:77], v[84:85]
	v_add_f64 v[10:11], v[10:11], 0
	v_mul_f64 v[76:77], v[76:77], v[106:107]
	s_waitcnt lgkmcnt(7)
	v_mul_f64 v[12:13], v[78:79], v[96:97]
	v_fmac_f64_e32 v[12:13], v[80:81], v[82:83]
	s_waitcnt lgkmcnt(6)
	v_mul_f64 v[14:15], v[86:87], v[94:95]
	v_add_f64 v[10:11], v[10:11], v[12:13]
	s_waitcnt lgkmcnt(4)
	v_mul_f64 v[18:19], v[98:99], v[108:109]
	v_fma_f64 v[196:197], v[74:75], v[84:85], -v[76:77]
	v_fmac_f64_e32 v[18:19], v[100:101], v[114:115]
	v_mul_f64 v[80:81], v[80:81], v[96:97]
	v_mul_f64 v[16:17], v[90:91], v[116:117]
	v_fma_f64 v[198:199], v[78:79], v[82:83], -v[80:81]
	s_waitcnt lgkmcnt(2)
	v_mul_f64 v[22:23], v[110:111], v[240:241]
	v_mul_f64 v[100:101], v[100:101], v[108:109]
	v_add_f64 v[196:197], v[196:197], 0
	v_mul_f64 v[20:21], v[102:103], v[244:245]
	v_add_f64 v[196:197], v[196:197], v[198:199]
	s_waitcnt lgkmcnt(1)
	v_mul_f64 v[24:25], v[2:3], v[120:121]
	v_fmac_f64_e32 v[14:15], v[88:89], v[250:251]
	v_add_f64 v[10:11], v[10:11], v[14:15]
	v_fmac_f64_e32 v[16:17], v[92:93], v[248:249]
	v_add_f64 v[10:11], v[10:11], v[16:17]
	;; [unrolled: 2-line block ×4, first 2 shown]
	v_add_f64 v[10:11], v[10:11], v[22:23]
	s_waitcnt lgkmcnt(0)
	v_mul_f64 v[16:17], v[6:7], v[122:123]
	v_fmac_f64_e32 v[16:17], v[8:9], v[124:125]
	v_fmac_f64_e32 v[24:25], v[4:5], v[126:127]
	v_add_f64 v[14:15], v[10:11], v[24:25]
	ds_read_b128 v[10:13], v254 offset:912
	v_add_f64 v[18:19], v[14:15], v[16:17]
	ds_read_b128 v[14:17], v254 offset:928
	v_mul_f64 v[88:89], v[88:89], v[94:95]
	v_mul_f64 v[92:93], v[92:93], v[116:117]
	s_waitcnt lgkmcnt(1)
	v_mul_f64 v[20:21], v[10:11], v[132:133]
	v_fmac_f64_e32 v[20:21], v[12:13], v[134:135]
	s_waitcnt lgkmcnt(0)
	v_mul_f64 v[24:25], v[14:15], v[128:129]
	v_add_f64 v[22:23], v[18:19], v[20:21]
	ds_read_b128 v[18:21], v254 offset:944
	v_fmac_f64_e32 v[24:25], v[16:17], v[130:131]
	v_add_f64 v[26:27], v[22:23], v[24:25]
	ds_read_b128 v[22:25], v254 offset:960
	v_fma_f64 v[200:201], v[90:91], v[248:249], -v[92:93]
	s_waitcnt lgkmcnt(1)
	v_mul_f64 v[28:29], v[18:19], v[144:145]
	v_fmac_f64_e32 v[28:29], v[20:21], v[146:147]
	v_add_f64 v[30:31], v[26:27], v[28:29]
	s_waitcnt lgkmcnt(0)
	v_mul_f64 v[32:33], v[22:23], v[136:137]
	ds_read_b128 v[26:29], v254 offset:976
	v_fmac_f64_e32 v[32:33], v[24:25], v[138:139]
	v_add_f64 v[34:35], v[30:31], v[32:33]
	ds_read_b128 v[30:33], v254 offset:992
	v_fma_f64 v[248:249], v[98:99], v[114:115], -v[100:101]
	s_waitcnt vmcnt(58) lgkmcnt(1)
	v_mul_f64 v[36:37], v[26:27], v[160:161]
	s_waitcnt vmcnt(56)
	v_fmac_f64_e32 v[36:37], v[28:29], v[164:165]
	v_add_f64 v[38:39], v[34:35], v[36:37]
	s_waitcnt lgkmcnt(0)
	v_mul_f64 v[40:41], v[30:31], v[140:141]
	ds_read_b128 v[34:37], v254 offset:1008
	v_fmac_f64_e32 v[40:41], v[32:33], v[142:143]
	v_add_f64 v[42:43], v[38:39], v[40:41]
	ds_read_b128 v[38:41], v254 offset:1024
	v_mul_f64 v[104:105], v[104:105], v[244:245]
	s_waitcnt vmcnt(50) lgkmcnt(1)
	v_mul_f64 v[44:45], v[34:35], v[168:169]
	s_waitcnt vmcnt(48)
	v_fmac_f64_e32 v[44:45], v[36:37], v[172:173]
	v_add_f64 v[46:47], v[42:43], v[44:45]
	s_waitcnt lgkmcnt(0)
	v_mul_f64 v[48:49], v[38:39], v[148:149]
	v_fmac_f64_e32 v[48:49], v[40:41], v[150:151]
	ds_read_b128 v[42:45], v254 offset:1040
	v_add_f64 v[50:51], v[46:47], v[48:49]
	ds_read_b128 v[46:49], v254 offset:1056
	buffer_load_dword v217, off, s[0:3], 0 offset:604
	buffer_load_dword v219, off, s[0:3], 0 offset:588
	;; [unrolled: 1-line block ×12, first 2 shown]
	v_mul_f64 v[112:113], v[112:113], v[240:241]
	s_waitcnt vmcnt(54) lgkmcnt(1)
	v_mul_f64 v[52:53], v[42:43], v[176:177]
	s_waitcnt vmcnt(52)
	v_fmac_f64_e32 v[52:53], v[44:45], v[180:181]
	v_add_f64 v[54:55], v[50:51], v[52:53]
	ds_read_b128 v[50:53], v254 offset:1072
	s_waitcnt lgkmcnt(1)
	v_mul_f64 v[56:57], v[46:47], v[152:153]
	v_fmac_f64_e32 v[56:57], v[48:49], v[154:155]
	buffer_load_dword v231, off, s[0:3], 0 offset:636
	buffer_load_dword v230, off, s[0:3], 0 offset:632
	;; [unrolled: 1-line block ×12, first 2 shown]
	v_add_f64 v[58:59], v[54:55], v[56:57]
	ds_read_b128 v[54:57], v254 offset:1088
	s_waitcnt vmcnt(58) lgkmcnt(1)
	v_mul_f64 v[60:61], v[50:51], v[184:185]
	s_waitcnt vmcnt(56)
	v_fmac_f64_e32 v[60:61], v[52:53], v[188:189]
	v_add_f64 v[62:63], v[58:59], v[60:61]
	ds_read_b128 v[58:61], v254 offset:1104
	s_waitcnt lgkmcnt(1)
	v_mul_f64 v[64:65], v[54:55], v[156:157]
	v_fmac_f64_e32 v[64:65], v[56:57], v[158:159]
	v_add_f64 v[70:71], v[62:63], v[64:65]
	ds_read_b128 v[62:65], v254 offset:1120
	ds_read_b128 v[66:69], v254 offset:1136
	s_waitcnt vmcnt(50) lgkmcnt(2)
	v_mul_f64 v[72:73], v[58:59], v[192:193]
	s_waitcnt vmcnt(48)
	v_fmac_f64_e32 v[72:73], v[60:61], v[202:203]
	v_add_f64 v[70:71], v[70:71], v[72:73]
	s_waitcnt lgkmcnt(1)
	v_mul_f64 v[72:73], v[62:63], v[162:163]
	v_fmac_f64_e32 v[72:73], v[64:65], v[166:167]
	v_add_f64 v[70:71], v[70:71], v[72:73]
	s_waitcnt vmcnt(42) lgkmcnt(0)
	v_mul_f64 v[72:73], v[66:67], v[204:205]
	s_waitcnt vmcnt(40)
	v_fmac_f64_e32 v[72:73], v[68:69], v[206:207]
	v_add_f64 v[194:195], v[70:71], v[72:73]
	ds_read_b128 v[70:73], v254 offset:1152
	ds_read_b128 v[74:77], v254 offset:1168
	;; [unrolled: 1-line block ×5, first 2 shown]
	s_waitcnt lgkmcnt(4)
	v_mul_f64 v[84:85], v[70:71], v[170:171]
	v_fmac_f64_e32 v[84:85], v[72:73], v[174:175]
	v_add_f64 v[82:83], v[194:195], v[84:85]
	s_waitcnt vmcnt(34) lgkmcnt(3)
	v_mul_f64 v[84:85], v[74:75], v[208:209]
	s_waitcnt vmcnt(32)
	v_fmac_f64_e32 v[84:85], v[76:77], v[210:211]
	v_add_f64 v[82:83], v[82:83], v[84:85]
	v_fma_f64 v[194:195], v[86:87], v[250:251], -v[88:89]
	ds_read_b128 v[86:89], v254 offset:1216
	s_waitcnt lgkmcnt(3)
	v_mul_f64 v[84:85], v[78:79], v[178:179]
	v_fmac_f64_e32 v[84:85], v[80:81], v[182:183]
	v_add_f64 v[96:97], v[82:83], v[84:85]
	ds_read_b128 v[82:85], v254 offset:1200
	v_fma_f64 v[250:251], v[102:103], v[246:247], -v[104:105]
	v_fma_f64 v[252:253], v[110:111], v[242:243], -v[112:113]
	ds_read_b128 v[110:113], v254 offset:1312
	v_add_f64 v[194:195], v[196:197], v[194:195]
	s_waitcnt vmcnt(26) lgkmcnt(1)
	v_mul_f64 v[94:95], v[82:83], v[212:213]
	s_waitcnt vmcnt(24)
	v_fmac_f64_e32 v[94:95], v[84:85], v[214:215]
	v_add_f64 v[94:95], v[96:97], v[94:95]
	v_mul_f64 v[96:97], v[86:87], v[186:187]
	v_fmac_f64_e32 v[96:97], v[88:89], v[190:191]
	v_add_f64 v[106:107], v[94:95], v[96:97]
	ds_read_b128 v[94:97], v254 offset:1248
	v_add_f64 v[194:195], v[194:195], v[200:201]
	v_mul_f64 v[4:5], v[4:5], v[120:121]
	v_fma_f64 v[2:3], v[2:3], v[126:127], -v[4:5]
	v_mul_f64 v[4:5], v[8:9], v[122:123]
	ds_read_b128 v[102:105], v254 offset:1296
	v_fma_f64 v[4:5], v[6:7], v[124:125], -v[4:5]
	s_waitcnt vmcnt(21)
	v_mul_f64 v[108:109], v[90:91], v[218:219]
	s_waitcnt vmcnt(19)
	v_fmac_f64_e32 v[108:109], v[92:93], v[224:225]
	v_add_f64 v[106:107], v[106:107], v[108:109]
	s_waitcnt vmcnt(18) lgkmcnt(1)
	v_mul_f64 v[108:109], v[94:95], v[216:217]
	s_waitcnt vmcnt(16)
	v_fmac_f64_e32 v[108:109], v[96:97], v[222:223]
	v_add_f64 v[114:115], v[106:107], v[108:109]
	ds_read_b128 v[106:109], v254 offset:1280
	buffer_load_dword v243, off, s[0:3], 0 offset:684
	buffer_load_dword v242, off, s[0:3], 0 offset:680
	;; [unrolled: 1-line block ×4, first 2 shown]
	s_waitcnt vmcnt(18)
	v_mul_f64 v[116:117], v[98:99], v[220:221]
	s_waitcnt vmcnt(16)
	v_fmac_f64_e32 v[116:117], v[100:101], v[226:227]
	v_add_f64 v[114:115], v[114:115], v[116:117]
	s_waitcnt vmcnt(14) lgkmcnt(0)
	v_mul_f64 v[116:117], v[106:107], v[230:231]
	s_waitcnt vmcnt(12)
	v_fmac_f64_e32 v[116:117], v[108:109], v[232:233]
	v_add_f64 v[114:115], v[114:115], v[116:117]
	s_waitcnt vmcnt(9)
	v_mul_f64 v[116:117], v[102:103], v[236:237]
	s_waitcnt vmcnt(7)
	v_fmac_f64_e32 v[116:117], v[104:105], v[238:239]
	v_add_f64 v[114:115], v[114:115], v[116:117]
	s_waitcnt vmcnt(5)
	v_mul_f64 v[116:117], v[110:111], v[228:229]
	s_waitcnt vmcnt(4)
	v_fmac_f64_e32 v[116:117], v[112:113], v[234:235]
	v_add_f64 v[240:241], v[114:115], v[116:117]
	ds_read_b128 v[114:117], v254 offset:1328
	v_add_f64 v[254:255], v[194:195], v[248:249]
	v_add_f64 v[194:195], v[254:255], v[250:251]
	;; [unrolled: 1-line block ×5, first 2 shown]
	v_mul_f64 v[4:5], v[12:13], v[132:133]
	v_fma_f64 v[4:5], v[10:11], v[134:135], -v[4:5]
	v_add_f64 v[2:3], v[2:3], v[4:5]
	v_mul_f64 v[4:5], v[16:17], v[128:129]
	v_fma_f64 v[4:5], v[14:15], v[130:131], -v[4:5]
	v_add_f64 v[2:3], v[2:3], v[4:5]
	;; [unrolled: 3-line block ×19, first 2 shown]
	v_mul_f64 v[4:5], v[88:89], v[186:187]
	v_fma_f64 v[4:5], v[86:87], v[190:191], -v[4:5]
	s_waitcnt vmcnt(2) lgkmcnt(0)
	v_mul_f64 v[246:247], v[114:115], v[242:243]
	v_add_f64 v[2:3], v[2:3], v[4:5]
	s_waitcnt vmcnt(0)
	v_fmac_f64_e32 v[246:247], v[116:117], v[244:245]
	v_add_f64 v[240:241], v[240:241], v[246:247]
	buffer_load_dword v248, off, s[0:3], 0 offset:96
	buffer_load_dword v249, off, s[0:3], 0 offset:100
	;; [unrolled: 1-line block ×4, first 2 shown]
	v_mul_f64 v[4:5], v[92:93], v[218:219]
	v_fma_f64 v[4:5], v[90:91], v[224:225], -v[4:5]
	v_add_f64 v[2:3], v[2:3], v[4:5]
	v_mul_f64 v[4:5], v[96:97], v[216:217]
	v_fma_f64 v[4:5], v[94:95], v[222:223], -v[4:5]
	v_add_f64 v[2:3], v[2:3], v[4:5]
	;; [unrolled: 3-line block ×7, first 2 shown]
	s_waitcnt vmcnt(2)
	v_add_f64 v[2:3], v[248:249], -v[2:3]
	s_waitcnt vmcnt(0)
	v_add_f64 v[4:5], v[246:247], -v[240:241]
	buffer_store_dword v3, off, s[0:3], 0 offset:100
	buffer_store_dword v2, off, s[0:3], 0 offset:96
	;; [unrolled: 1-line block ×4, first 2 shown]
	s_and_saveexec_b64 s[4:5], vcc
	s_cbranch_execz .LBB41_257
; %bb.256:
	v_accvgpr_read_b32 v0, a121
	buffer_load_dword v2, v0, s[0:3], 0 offen
	buffer_load_dword v3, v0, s[0:3], 0 offen offset:4
	buffer_load_dword v4, v0, s[0:3], 0 offen offset:8
	;; [unrolled: 1-line block ×3, first 2 shown]
	v_mov_b32_e32 v0, 0
	v_accvgpr_read_b32 v1, a126
	buffer_store_dword v0, off, s[0:3], 0 offset:80
	buffer_store_dword v0, off, s[0:3], 0 offset:84
	;; [unrolled: 1-line block ×4, first 2 shown]
	s_waitcnt vmcnt(4)
	ds_write_b128 v1, v[2:5]
.LBB41_257:
	s_or_b64 exec, exec, s[4:5]
	s_waitcnt lgkmcnt(0)
	; wave barrier
	s_waitcnt lgkmcnt(0)
	buffer_load_dword v66, off, s[0:3], 0 offset:96
	buffer_load_dword v67, off, s[0:3], 0 offset:100
	;; [unrolled: 1-line block ×55, first 2 shown]
	v_mov_b32_e32 v254, 0
	ds_read_b128 v[74:77], v254 offset:752
	ds_read_b128 v[86:89], v254 offset:768
	;; [unrolled: 1-line block ×9, first 2 shown]
	buffer_load_dword v138, off, s[0:3], 0 offset:320
	buffer_load_dword v157, off, s[0:3], 0 offset:316
	;; [unrolled: 1-line block ×61, first 2 shown]
	s_waitcnt vmcnt(62) lgkmcnt(8)
	v_mul_f64 v[6:7], v[74:75], v[68:69]
	v_fmac_f64_e32 v[6:7], v[76:77], v[66:67]
	v_add_f64 v[6:7], v[6:7], 0
	v_mul_f64 v[68:69], v[76:77], v[68:69]
	s_waitcnt lgkmcnt(7)
	v_mul_f64 v[8:9], v[86:87], v[72:73]
	v_fmac_f64_e32 v[8:9], v[88:89], v[70:71]
	s_waitcnt lgkmcnt(6)
	v_mul_f64 v[10:11], v[98:99], v[78:79]
	v_add_f64 v[6:7], v[6:7], v[8:9]
	s_waitcnt lgkmcnt(4)
	v_mul_f64 v[14:15], v[114:115], v[90:91]
	v_fma_f64 v[194:195], v[74:75], v[66:67], -v[68:69]
	v_fmac_f64_e32 v[14:15], v[116:117], v[92:93]
	v_mul_f64 v[72:73], v[88:89], v[72:73]
	v_mul_f64 v[12:13], v[110:111], v[82:83]
	v_fma_f64 v[196:197], v[86:87], v[70:71], -v[72:73]
	s_waitcnt lgkmcnt(2)
	v_mul_f64 v[18:19], v[246:247], v[102:103]
	v_mul_f64 v[78:79], v[100:101], v[78:79]
	;; [unrolled: 1-line block ×5, first 2 shown]
	s_waitcnt lgkmcnt(1)
	v_mul_f64 v[20:21], v[250:251], v[106:107]
	v_fmac_f64_e32 v[20:21], v[252:253], v[108:109]
	v_fmac_f64_e32 v[10:11], v[100:101], v[80:81]
	v_add_f64 v[6:7], v[6:7], v[10:11]
	v_fmac_f64_e32 v[12:13], v[112:113], v[84:85]
	v_add_f64 v[6:7], v[6:7], v[12:13]
	;; [unrolled: 2-line block ×4, first 2 shown]
	v_add_f64 v[6:7], v[6:7], v[18:19]
	v_add_f64 v[10:11], v[6:7], v[20:21]
	ds_read_b128 v[6:9], v254 offset:896
	s_waitcnt lgkmcnt(1)
	v_mul_f64 v[12:13], v[2:3], v[120:121]
	v_fmac_f64_e32 v[12:13], v[4:5], v[122:123]
	v_add_f64 v[14:15], v[10:11], v[12:13]
	ds_read_b128 v[10:13], v254 offset:912
	s_waitcnt lgkmcnt(1)
	v_mul_f64 v[16:17], v[6:7], v[128:129]
	v_fmac_f64_e32 v[16:17], v[8:9], v[130:131]
	;; [unrolled: 5-line block ×5, first 2 shown]
	v_add_f64 v[30:31], v[26:27], v[28:29]
	ds_read_b128 v[26:29], v254 offset:976
	s_waitcnt vmcnt(58) lgkmcnt(1)
	v_mul_f64 v[32:33], v[22:23], v[156:157]
	s_waitcnt vmcnt(56)
	v_fmac_f64_e32 v[32:33], v[24:25], v[160:161]
	v_add_f64 v[34:35], v[30:31], v[32:33]
	ds_read_b128 v[30:33], v254 offset:992
	s_waitcnt lgkmcnt(1)
	v_mul_f64 v[36:37], v[26:27], v[136:137]
	v_fmac_f64_e32 v[36:37], v[28:29], v[138:139]
	v_add_f64 v[38:39], v[34:35], v[36:37]
	ds_read_b128 v[34:37], v254 offset:1008
	s_waitcnt vmcnt(50) lgkmcnt(1)
	v_mul_f64 v[40:41], v[30:31], v[164:165]
	s_waitcnt vmcnt(48)
	v_fmac_f64_e32 v[40:41], v[32:33], v[168:169]
	v_add_f64 v[42:43], v[38:39], v[40:41]
	ds_read_b128 v[38:41], v254 offset:1024
	s_waitcnt lgkmcnt(1)
	v_mul_f64 v[44:45], v[34:35], v[144:145]
	v_fmac_f64_e32 v[44:45], v[36:37], v[146:147]
	v_add_f64 v[46:47], v[42:43], v[44:45]
	ds_read_b128 v[42:45], v254 offset:1040
	s_waitcnt vmcnt(42) lgkmcnt(1)
	v_mul_f64 v[48:49], v[38:39], v[172:173]
	s_waitcnt vmcnt(40)
	v_fmac_f64_e32 v[48:49], v[40:41], v[176:177]
	v_add_f64 v[50:51], v[46:47], v[48:49]
	ds_read_b128 v[46:49], v254 offset:1056
	buffer_load_dword v215, off, s[0:3], 0 offset:572
	buffer_load_dword v214, off, s[0:3], 0 offset:568
	buffer_load_dword v217, off, s[0:3], 0 offset:564
	buffer_load_dword v216, off, s[0:3], 0 offset:560
	s_waitcnt lgkmcnt(1)
	v_mul_f64 v[52:53], v[42:43], v[148:149]
	v_fmac_f64_e32 v[52:53], v[44:45], v[150:151]
	v_add_f64 v[54:55], v[50:51], v[52:53]
	ds_read_b128 v[50:53], v254 offset:1072
	buffer_load_dword v219, off, s[0:3], 0 offset:588
	buffer_load_dword v218, off, s[0:3], 0 offset:584
	;; [unrolled: 1-line block ×8, first 2 shown]
	s_waitcnt vmcnt(46) lgkmcnt(1)
	v_mul_f64 v[56:57], v[46:47], v[180:181]
	s_waitcnt vmcnt(44)
	v_fmac_f64_e32 v[56:57], v[48:49], v[184:185]
	v_add_f64 v[58:59], v[54:55], v[56:57]
	ds_read_b128 v[54:57], v254 offset:1088
	buffer_load_dword v229, off, s[0:3], 0 offset:620
	buffer_load_dword v228, off, s[0:3], 0 offset:616
	buffer_load_dword v231, off, s[0:3], 0 offset:612
	buffer_load_dword v230, off, s[0:3], 0 offset:608
	buffer_load_dword v226, off, s[0:3], 0 offset:648
	buffer_load_dword v235, off, s[0:3], 0 offset:636
	buffer_load_dword v234, off, s[0:3], 0 offset:632
	buffer_load_dword v237, off, s[0:3], 0 offset:628
	buffer_load_dword v236, off, s[0:3], 0 offset:624
	buffer_load_dword v232, off, s[0:3], 0 offset:640
	buffer_load_dword v227, off, s[0:3], 0 offset:652
	buffer_load_dword v233, off, s[0:3], 0 offset:644
	s_waitcnt lgkmcnt(1)
	v_mul_f64 v[60:61], v[50:51], v[152:153]
	v_fmac_f64_e32 v[60:61], v[52:53], v[154:155]
	v_add_f64 v[62:63], v[58:59], v[60:61]
	ds_read_b128 v[58:61], v254 offset:1104
	s_waitcnt vmcnt(50) lgkmcnt(1)
	v_mul_f64 v[64:65], v[54:55], v[188:189]
	s_waitcnt vmcnt(48)
	v_fmac_f64_e32 v[64:65], v[56:57], v[190:191]
	v_add_f64 v[62:63], v[62:63], v[64:65]
	buffer_load_dword v239, off, s[0:3], 0 offset:668
	buffer_load_dword v238, off, s[0:3], 0 offset:664
	;; [unrolled: 1-line block ×4, first 2 shown]
	s_waitcnt lgkmcnt(0)
	v_mul_f64 v[64:65], v[58:59], v[158:159]
	v_fmac_f64_e32 v[64:65], v[60:61], v[162:163]
	v_add_f64 v[192:193], v[62:63], v[64:65]
	ds_read_b128 v[62:65], v254 offset:1120
	ds_read_b128 v[66:69], v254 offset:1136
	;; [unrolled: 1-line block ×3, first 2 shown]
	v_fma_f64 v[198:199], v[98:99], v[80:81], -v[78:79]
	ds_read_b128 v[78:81], v254 offset:1184
	s_waitcnt vmcnt(46) lgkmcnt(3)
	v_mul_f64 v[74:75], v[62:63], v[202:203]
	s_waitcnt vmcnt(44)
	v_fmac_f64_e32 v[74:75], v[64:65], v[204:205]
	s_waitcnt lgkmcnt(2)
	v_mul_f64 v[76:77], v[66:67], v[166:167]
	v_add_f64 v[74:75], v[192:193], v[74:75]
	v_fmac_f64_e32 v[76:77], v[68:69], v[170:171]
	v_add_f64 v[86:87], v[74:75], v[76:77]
	ds_read_b128 v[74:77], v254 offset:1168
	s_waitcnt vmcnt(38) lgkmcnt(2)
	v_mul_f64 v[88:89], v[70:71], v[206:207]
	s_waitcnt vmcnt(36)
	v_fmac_f64_e32 v[88:89], v[72:73], v[208:209]
	v_fma_f64 v[200:201], v[110:111], v[84:85], -v[82:83]
	ds_read_b128 v[82:85], v254 offset:1200
	v_add_f64 v[86:87], v[86:87], v[88:89]
	s_waitcnt lgkmcnt(1)
	v_mul_f64 v[88:89], v[74:75], v[174:175]
	v_fmac_f64_e32 v[88:89], v[76:77], v[178:179]
	v_add_f64 v[86:87], v[86:87], v[88:89]
	s_waitcnt vmcnt(30)
	v_mul_f64 v[88:89], v[78:79], v[210:211]
	s_waitcnt vmcnt(28)
	v_fmac_f64_e32 v[88:89], v[80:81], v[212:213]
	v_add_f64 v[86:87], v[86:87], v[88:89]
	s_waitcnt lgkmcnt(0)
	v_mul_f64 v[88:89], v[82:83], v[182:183]
	v_fmac_f64_e32 v[88:89], v[84:85], v[186:187]
	v_add_f64 v[98:99], v[86:87], v[88:89]
	ds_read_b128 v[86:89], v254 offset:1216
	v_fma_f64 v[118:119], v[114:115], v[92:93], -v[90:91]
	ds_read_b128 v[90:93], v254 offset:1232
	v_mul_f64 v[94:95], v[244:245], v[94:95]
	v_fma_f64 v[0:1], v[242:243], v[96:97], -v[94:95]
	ds_read_b128 v[94:97], v254 offset:1248
	v_mul_f64 v[102:103], v[248:249], v[102:103]
	;; [unrolled: 3-line block ×3, first 2 shown]
	v_fma_f64 v[250:251], v[250:251], v[108:109], -v[106:107]
	v_add_f64 v[194:195], v[194:195], 0
	v_add_f64 v[194:195], v[194:195], v[196:197]
	;; [unrolled: 1-line block ×7, first 2 shown]
	v_mul_f64 v[4:5], v[4:5], v[120:121]
	v_add_f64 v[0:1], v[252:253], v[250:251]
	v_fma_f64 v[2:3], v[2:3], v[122:123], -v[4:5]
	v_add_f64 v[0:1], v[0:1], v[2:3]
	v_mul_f64 v[2:3], v[8:9], v[128:129]
	v_fma_f64 v[2:3], v[6:7], v[130:131], -v[2:3]
	v_add_f64 v[0:1], v[0:1], v[2:3]
	ds_read_b128 v[106:109], v254 offset:1296
	v_mul_f64 v[2:3], v[12:13], v[124:125]
	v_fma_f64 v[2:3], v[10:11], v[126:127], -v[2:3]
	v_add_f64 v[0:1], v[0:1], v[2:3]
	s_waitcnt vmcnt(26) lgkmcnt(4)
	v_mul_f64 v[100:101], v[86:87], v[214:215]
	v_mul_f64 v[2:3], v[16:17], v[140:141]
	s_waitcnt vmcnt(24)
	v_fmac_f64_e32 v[100:101], v[88:89], v[216:217]
	v_add_f64 v[98:99], v[98:99], v[100:101]
	s_waitcnt vmcnt(22) lgkmcnt(3)
	v_mul_f64 v[100:101], v[90:91], v[218:219]
	s_waitcnt vmcnt(20)
	v_fmac_f64_e32 v[100:101], v[92:93], v[222:223]
	v_add_f64 v[98:99], v[98:99], v[100:101]
	s_waitcnt vmcnt(18) lgkmcnt(2)
	v_mul_f64 v[100:101], v[94:95], v[220:221]
	s_waitcnt vmcnt(16)
	v_fmac_f64_e32 v[100:101], v[96:97], v[224:225]
	v_add_f64 v[110:111], v[98:99], v[100:101]
	ds_read_b128 v[98:101], v254 offset:1264
	v_fma_f64 v[2:3], v[14:15], v[142:143], -v[2:3]
	v_add_f64 v[0:1], v[0:1], v[2:3]
	v_mul_f64 v[2:3], v[20:21], v[132:133]
	v_fma_f64 v[2:3], v[18:19], v[134:135], -v[2:3]
	s_waitcnt vmcnt(14) lgkmcnt(0)
	v_mul_f64 v[112:113], v[98:99], v[228:229]
	s_waitcnt vmcnt(12)
	v_fmac_f64_e32 v[112:113], v[100:101], v[230:231]
	v_add_f64 v[110:111], v[110:111], v[112:113]
	s_waitcnt vmcnt(9)
	v_mul_f64 v[112:113], v[102:103], v[234:235]
	s_waitcnt vmcnt(7)
	v_fmac_f64_e32 v[112:113], v[104:105], v[236:237]
	v_add_f64 v[110:111], v[110:111], v[112:113]
	s_waitcnt vmcnt(5)
	v_mul_f64 v[112:113], v[106:107], v[226:227]
	s_waitcnt vmcnt(4)
	v_fmac_f64_e32 v[112:113], v[108:109], v[232:233]
	v_add_f64 v[114:115], v[110:111], v[112:113]
	ds_read_b128 v[110:113], v254 offset:1312
	buffer_load_dword v242, off, s[0:3], 0 offset:680
	buffer_load_dword v243, off, s[0:3], 0 offset:684
	;; [unrolled: 1-line block ×4, first 2 shown]
	v_add_f64 v[0:1], v[0:1], v[2:3]
	v_mul_f64 v[2:3], v[24:25], v[156:157]
	v_fma_f64 v[2:3], v[22:23], v[160:161], -v[2:3]
	s_waitcnt vmcnt(6) lgkmcnt(0)
	v_mul_f64 v[116:117], v[110:111], v[238:239]
	s_waitcnt vmcnt(4)
	v_fmac_f64_e32 v[116:117], v[112:113], v[240:241]
	v_add_f64 v[192:193], v[114:115], v[116:117]
	ds_read_b128 v[114:117], v254 offset:1328
	v_add_f64 v[0:1], v[0:1], v[2:3]
	v_mul_f64 v[2:3], v[28:29], v[136:137]
	v_fma_f64 v[2:3], v[26:27], v[138:139], -v[2:3]
	v_add_f64 v[0:1], v[0:1], v[2:3]
	v_mul_f64 v[2:3], v[32:33], v[164:165]
	v_fma_f64 v[2:3], v[30:31], v[168:169], -v[2:3]
	;; [unrolled: 3-line block ×22, first 2 shown]
	v_add_f64 v[0:1], v[0:1], v[2:3]
	s_waitcnt vmcnt(2) lgkmcnt(0)
	v_mul_f64 v[248:249], v[114:115], v[242:243]
	v_mul_f64 v[2:3], v[116:117], v[242:243]
	s_waitcnt vmcnt(0)
	v_fmac_f64_e32 v[248:249], v[116:117], v[244:245]
	v_add_f64 v[192:193], v[192:193], v[248:249]
	buffer_load_dword v248, off, s[0:3], 0 offset:80
	buffer_load_dword v249, off, s[0:3], 0 offset:84
	buffer_load_dword v246, off, s[0:3], 0 offset:88
	buffer_load_dword v247, off, s[0:3], 0 offset:92
	v_fma_f64 v[2:3], v[114:115], v[244:245], -v[2:3]
	v_add_f64 v[0:1], v[0:1], v[2:3]
	s_waitcnt vmcnt(2)
	v_add_f64 v[0:1], v[248:249], -v[0:1]
	s_waitcnt vmcnt(0)
	v_add_f64 v[2:3], v[246:247], -v[192:193]
	buffer_store_dword v1, off, s[0:3], 0 offset:84
	buffer_store_dword v0, off, s[0:3], 0 offset:80
	;; [unrolled: 1-line block ×4, first 2 shown]
	v_accvgpr_read_b32 v0, a125
	v_cmp_lt_u32_e32 vcc, 3, v0
	s_and_saveexec_b64 s[4:5], vcc
	s_cbranch_execz .LBB41_259
; %bb.258:
	v_accvgpr_read_b32 v0, a122
	buffer_load_dword v2, v0, s[0:3], 0 offen
	buffer_load_dword v3, v0, s[0:3], 0 offen offset:4
	buffer_load_dword v4, v0, s[0:3], 0 offen offset:8
	;; [unrolled: 1-line block ×3, first 2 shown]
	v_accvgpr_read_b32 v0, a126
	buffer_store_dword v254, off, s[0:3], 0 offset:64
	buffer_store_dword v254, off, s[0:3], 0 offset:68
	;; [unrolled: 1-line block ×4, first 2 shown]
	s_waitcnt vmcnt(4)
	ds_write_b128 v0, v[2:5]
.LBB41_259:
	s_or_b64 exec, exec, s[4:5]
	s_waitcnt lgkmcnt(0)
	; wave barrier
	s_waitcnt lgkmcnt(0)
	buffer_load_dword v66, off, s[0:3], 0 offset:80
	buffer_load_dword v67, off, s[0:3], 0 offset:84
	;; [unrolled: 1-line block ×42, first 2 shown]
	ds_read_b128 v[78:81], v254 offset:736
	ds_read_b128 v[90:93], v254 offset:752
	;; [unrolled: 1-line block ×10, first 2 shown]
	buffer_load_dword v131, off, s[0:3], 0 offset:228
	buffer_load_dword v130, off, s[0:3], 0 offset:224
	ds_read_b128 v[6:9], v254 offset:896
	buffer_load_dword v127, off, s[0:3], 0 offset:284
	buffer_load_dword v126, off, s[0:3], 0 offset:280
	;; [unrolled: 1-line block ×80, first 2 shown]
	s_waitcnt vmcnt(62) lgkmcnt(9)
	v_mul_f64 v[10:11], v[90:91], v[64:65]
	v_fmac_f64_e32 v[10:11], v[92:93], v[62:63]
	s_waitcnt lgkmcnt(8)
	v_mul_f64 v[12:13], v[102:103], v[70:71]
	v_mul_f64 v[64:65], v[92:93], v[64:65]
	s_waitcnt lgkmcnt(6)
	v_mul_f64 v[16:17], v[114:115], v[82:83]
	v_fma_f64 v[196:197], v[90:91], v[62:63], -v[64:65]
	v_fmac_f64_e32 v[16:17], v[116:117], v[84:85]
	v_mul_f64 v[70:71], v[104:105], v[70:71]
	v_mul_f64 v[14:15], v[110:111], v[74:75]
	;; [unrolled: 1-line block ×3, first 2 shown]
	s_waitcnt lgkmcnt(4)
	v_mul_f64 v[20:21], v[246:247], v[94:95]
	v_mul_f64 v[82:83], v[116:117], v[82:83]
	v_fmac_f64_e32 v[20:21], v[248:249], v[96:97]
	v_mul_f64 v[94:95], v[248:249], v[94:95]
	v_mul_f64 v[18:19], v[242:243], v[86:87]
	;; [unrolled: 1-line block ×3, first 2 shown]
	s_waitcnt lgkmcnt(2)
	v_mul_f64 v[24:25], v[192:193], v[106:107]
	v_fma_f64 v[246:247], v[246:247], v[96:97], -v[94:95]
	v_mul_f64 v[106:107], v[194:195], v[106:107]
	v_mul_f64 v[22:23], v[250:251], v[98:99]
	v_mul_f64 v[98:99], v[252:253], v[98:99]
	s_waitcnt lgkmcnt(1)
	v_mul_f64 v[26:27], v[120:121], v[4:5]
	v_mul_f64 v[4:5], v[122:123], v[4:5]
	v_fmac_f64_e32 v[12:13], v[104:105], v[72:73]
	v_fma_f64 v[198:199], v[102:103], v[72:73], -v[70:71]
	v_fmac_f64_e32 v[14:15], v[112:113], v[76:77]
	v_fma_f64 v[200:201], v[110:111], v[76:77], -v[74:75]
	;; [unrolled: 2-line block ×3, first 2 shown]
	v_fmac_f64_e32 v[22:23], v[252:253], v[100:101]
	v_fmac_f64_e32 v[24:25], v[194:195], v[108:109]
	v_fma_f64 v[250:251], v[250:251], v[100:101], -v[98:99]
	v_fma_f64 v[252:253], v[192:193], v[108:109], -v[106:107]
	v_pk_mov_b32 v[2:3], v[0:1], v[0:1] op_sel:[0,1]
	v_mul_f64 v[0:1], v[78:79], v[68:69]
	v_fmac_f64_e32 v[0:1], v[80:81], v[66:67]
	v_add_f64 v[0:1], v[0:1], 0
	v_add_f64 v[0:1], v[0:1], v[10:11]
	;; [unrolled: 1-line block ×9, first 2 shown]
	v_fmac_f64_e32 v[26:27], v[122:123], v[130:131]
	ds_read_b128 v[10:13], v254 offset:912
	s_waitcnt lgkmcnt(1)
	v_mul_f64 v[14:15], v[6:7], v[2:3]
	v_add_f64 v[0:1], v[0:1], v[26:27]
	v_fmac_f64_e32 v[14:15], v[8:9], v[124:125]
	v_add_f64 v[0:1], v[0:1], v[14:15]
	ds_read_b128 v[14:17], v254 offset:928
	s_waitcnt lgkmcnt(1)
	v_mul_f64 v[18:19], v[10:11], v[132:133]
	v_fmac_f64_e32 v[18:19], v[12:13], v[148:149]
	v_add_f64 v[0:1], v[0:1], v[18:19]
	ds_read_b128 v[18:21], v254 offset:944
	s_waitcnt lgkmcnt(1)
	v_mul_f64 v[22:23], v[14:15], v[126:127]
	;; [unrolled: 5-line block ×4, first 2 shown]
	v_fmac_f64_e32 v[30:31], v[24:25], v[136:137]
	v_add_f64 v[0:1], v[0:1], v[30:31]
	ds_read_b128 v[30:33], v254 offset:992
	s_waitcnt vmcnt(58) lgkmcnt(1)
	v_mul_f64 v[34:35], v[26:27], v[160:161]
	s_waitcnt vmcnt(56)
	v_fmac_f64_e32 v[34:35], v[28:29], v[164:165]
	v_add_f64 v[0:1], v[0:1], v[34:35]
	ds_read_b128 v[34:37], v254 offset:1008
	s_waitcnt lgkmcnt(1)
	v_mul_f64 v[38:39], v[30:31], v[138:139]
	v_fmac_f64_e32 v[38:39], v[32:33], v[140:141]
	v_add_f64 v[0:1], v[0:1], v[38:39]
	ds_read_b128 v[38:41], v254 offset:1024
	s_waitcnt vmcnt(50) lgkmcnt(1)
	v_mul_f64 v[42:43], v[34:35], v[168:169]
	s_waitcnt vmcnt(48)
	v_fmac_f64_e32 v[42:43], v[36:37], v[172:173]
	v_add_f64 v[0:1], v[0:1], v[42:43]
	ds_read_b128 v[42:45], v254 offset:1040
	s_waitcnt lgkmcnt(1)
	v_mul_f64 v[46:47], v[38:39], v[142:143]
	;; [unrolled: 11-line block ×3, first 2 shown]
	buffer_load_dword v191, off, s[0:3], 0 offset:588
	buffer_load_dword v190, off, s[0:3], 0 offset:584
	;; [unrolled: 1-line block ×4, first 2 shown]
	v_fmac_f64_e32 v[54:55], v[48:49], v[150:151]
	v_add_f64 v[0:1], v[0:1], v[54:55]
	ds_read_b128 v[54:57], v254 offset:1088
	buffer_load_dword v224, off, s[0:3], 0 offset:600
	buffer_load_dword v226, off, s[0:3], 0 offset:592
	;; [unrolled: 1-line block ×16, first 2 shown]
	s_waitcnt vmcnt(54) lgkmcnt(1)
	v_mul_f64 v[58:59], v[50:51], v[184:185]
	s_waitcnt vmcnt(52)
	v_fmac_f64_e32 v[58:59], v[52:53], v[188:189]
	v_add_f64 v[0:1], v[0:1], v[58:59]
	ds_read_b128 v[58:61], v254 offset:1104
	buffer_load_dword v238, off, s[0:3], 0 offset:664
	buffer_load_dword v240, off, s[0:3], 0 offset:656
	;; [unrolled: 1-line block ×4, first 2 shown]
	v_mul_f64 v[68:69], v[80:81], v[68:69]
	ds_read_b128 v[62:65], v254 offset:1120
	ds_read_b128 v[70:73], v254 offset:1152
	v_fma_f64 v[118:119], v[78:79], v[66:67], -v[68:69]
	s_waitcnt lgkmcnt(3)
	v_mul_f64 v[66:67], v[54:55], v[154:155]
	v_fmac_f64_e32 v[66:67], v[56:57], v[158:159]
	v_add_f64 v[0:1], v[0:1], v[66:67]
	s_waitcnt vmcnt(50) lgkmcnt(2)
	v_mul_f64 v[66:67], v[58:59], v[204:205]
	s_waitcnt vmcnt(48)
	v_fmac_f64_e32 v[66:67], v[60:61], v[206:207]
	v_add_f64 v[0:1], v[0:1], v[66:67]
	s_waitcnt lgkmcnt(1)
	v_mul_f64 v[66:67], v[62:63], v[162:163]
	v_fmac_f64_e32 v[66:67], v[64:65], v[166:167]
	v_add_f64 v[0:1], v[0:1], v[66:67]
	ds_read_b128 v[66:69], v254 offset:1136
	ds_read_b128 v[74:77], v254 offset:1168
	v_accvgpr_write_b32 a129, v3
	v_accvgpr_write_b32 a128, v2
	v_fma_f64 v[2:3], v[114:115], v[84:85], -v[82:83]
	s_waitcnt vmcnt(42) lgkmcnt(1)
	v_mul_f64 v[78:79], v[66:67], v[208:209]
	s_waitcnt vmcnt(40)
	v_fmac_f64_e32 v[78:79], v[68:69], v[210:211]
	v_add_f64 v[0:1], v[0:1], v[78:79]
	v_mul_f64 v[78:79], v[70:71], v[170:171]
	v_fmac_f64_e32 v[78:79], v[72:73], v[174:175]
	v_add_f64 v[0:1], v[0:1], v[78:79]
	ds_read_b128 v[78:81], v254 offset:1184
	ds_read_b128 v[82:85], v254 offset:1200
	s_waitcnt vmcnt(34) lgkmcnt(2)
	v_mul_f64 v[90:91], v[74:75], v[212:213]
	s_waitcnt vmcnt(32)
	v_fmac_f64_e32 v[90:91], v[76:77], v[214:215]
	ds_read_b128 v[86:89], v254 offset:1216
	ds_read_b128 v[94:97], v254 offset:1248
	v_add_f64 v[0:1], v[0:1], v[90:91]
	s_waitcnt lgkmcnt(3)
	v_mul_f64 v[90:91], v[78:79], v[178:179]
	v_fmac_f64_e32 v[90:91], v[80:81], v[182:183]
	v_add_f64 v[0:1], v[0:1], v[90:91]
	s_waitcnt vmcnt(26) lgkmcnt(2)
	v_mul_f64 v[90:91], v[82:83], v[216:217]
	s_waitcnt vmcnt(24)
	v_fmac_f64_e32 v[90:91], v[84:85], v[218:219]
	v_add_f64 v[0:1], v[0:1], v[90:91]
	s_waitcnt lgkmcnt(1)
	v_mul_f64 v[90:91], v[86:87], v[186:187]
	v_fmac_f64_e32 v[90:91], v[88:89], v[202:203]
	v_add_f64 v[0:1], v[0:1], v[90:91]
	ds_read_b128 v[90:93], v254 offset:1232
	ds_read_b128 v[98:101], v254 offset:1264
	v_add_f64 v[118:119], v[118:119], 0
	v_add_f64 v[118:119], v[118:119], v[196:197]
	;; [unrolled: 1-line block ×6, first 2 shown]
	v_fma_f64 v[4:5], v[120:121], v[130:131], -v[4:5]
	ds_read_b128 v[106:109], v254 offset:1296
	s_waitcnt vmcnt(13) lgkmcnt(1)
	v_mul_f64 v[110:111], v[98:99], v[228:229]
	v_mul_f64 v[102:103], v[90:91], v[190:191]
	s_waitcnt vmcnt(11)
	v_fmac_f64_e32 v[110:111], v[100:101], v[234:235]
	v_fmac_f64_e32 v[102:103], v[92:93], v[220:221]
	v_add_f64 v[0:1], v[0:1], v[102:103]
	v_mul_f64 v[102:103], v[94:95], v[224:225]
	v_fmac_f64_e32 v[102:103], v[96:97], v[226:227]
	v_add_f64 v[0:1], v[0:1], v[102:103]
	ds_read_b128 v[102:105], v254 offset:1280
	v_add_f64 v[0:1], v[0:1], v[110:111]
	s_waitcnt vmcnt(10) lgkmcnt(0)
	v_mul_f64 v[110:111], v[102:103], v[222:223]
	s_waitcnt vmcnt(8)
	v_fmac_f64_e32 v[110:111], v[104:105], v[232:233]
	v_add_f64 v[0:1], v[0:1], v[110:111]
	s_waitcnt vmcnt(6)
	v_mul_f64 v[110:111], v[106:107], v[230:231]
	s_waitcnt vmcnt(4)
	v_fmac_f64_e32 v[110:111], v[108:109], v[236:237]
	v_add_f64 v[0:1], v[0:1], v[110:111]
	ds_read_b128 v[110:113], v254 offset:1312
	s_waitcnt vmcnt(1) lgkmcnt(0)
	v_mul_f64 v[114:115], v[110:111], v[238:239]
	s_waitcnt vmcnt(0)
	v_fmac_f64_e32 v[114:115], v[112:113], v[240:241]
	v_add_f64 v[192:193], v[0:1], v[114:115]
	buffer_load_dword v1, off, s[0:3], 0 offset:684
	buffer_load_dword v0, off, s[0:3], 0 offset:680
	;; [unrolled: 1-line block ×4, first 2 shown]
	ds_read_b128 v[114:117], v254 offset:1328
	v_add_f64 v[254:255], v[2:3], v[246:247]
	buffer_load_dword v248, off, s[0:3], 0 offset:64
	buffer_load_dword v249, off, s[0:3], 0 offset:68
	;; [unrolled: 1-line block ×4, first 2 shown]
	v_add_f64 v[2:3], v[254:255], v[250:251]
	v_add_f64 v[2:3], v[2:3], v[252:253]
	v_add_f64 v[2:3], v[2:3], v[4:5]
	v_accvgpr_read_b32 v4, a128
	v_accvgpr_read_b32 v5, a129
	v_mul_f64 v[4:5], v[8:9], v[4:5]
	v_fma_f64 v[4:5], v[6:7], v[124:125], -v[4:5]
	v_add_f64 v[2:3], v[2:3], v[4:5]
	v_mul_f64 v[4:5], v[12:13], v[132:133]
	v_fma_f64 v[4:5], v[10:11], v[148:149], -v[4:5]
	v_add_f64 v[2:3], v[2:3], v[4:5]
	;; [unrolled: 3-line block ×26, first 2 shown]
	v_mul_f64 v[4:5], v[112:113], v[238:239]
	s_waitcnt vmcnt(6) lgkmcnt(0)
	v_mul_f64 v[194:195], v[114:115], v[0:1]
	v_fma_f64 v[4:5], v[110:111], v[240:241], -v[4:5]
	v_mul_f64 v[0:1], v[116:117], v[0:1]
	v_add_f64 v[2:3], v[2:3], v[4:5]
	s_waitcnt vmcnt(4)
	v_fma_f64 v[0:1], v[114:115], v[244:245], -v[0:1]
	v_fmac_f64_e32 v[194:195], v[116:117], v[244:245]
	v_add_f64 v[0:1], v[2:3], v[0:1]
	v_add_f64 v[192:193], v[192:193], v[194:195]
	s_waitcnt vmcnt(2)
	v_add_f64 v[0:1], v[248:249], -v[0:1]
	s_waitcnt vmcnt(0)
	v_add_f64 v[2:3], v[246:247], -v[192:193]
	buffer_store_dword v1, off, s[0:3], 0 offset:68
	buffer_store_dword v0, off, s[0:3], 0 offset:64
	;; [unrolled: 1-line block ×4, first 2 shown]
	v_accvgpr_read_b32 v0, a125
	v_cmp_lt_u32_e32 vcc, 2, v0
	s_and_saveexec_b64 s[4:5], vcc
	s_cbranch_execz .LBB41_261
; %bb.260:
	v_accvgpr_read_b32 v0, a123
	buffer_load_dword v2, v0, s[0:3], 0 offen
	buffer_load_dword v3, v0, s[0:3], 0 offen offset:4
	buffer_load_dword v4, v0, s[0:3], 0 offen offset:8
	;; [unrolled: 1-line block ×3, first 2 shown]
	v_mov_b32_e32 v0, 0
	v_accvgpr_read_b32 v1, a126
	buffer_store_dword v0, off, s[0:3], 0 offset:48
	buffer_store_dword v0, off, s[0:3], 0 offset:52
	buffer_store_dword v0, off, s[0:3], 0 offset:56
	buffer_store_dword v0, off, s[0:3], 0 offset:60
	s_waitcnt vmcnt(4)
	ds_write_b128 v1, v[2:5]
.LBB41_261:
	s_or_b64 exec, exec, s[4:5]
	s_waitcnt lgkmcnt(0)
	; wave barrier
	s_waitcnt lgkmcnt(0)
	buffer_load_dword v54, off, s[0:3], 0 offset:64
	buffer_load_dword v55, off, s[0:3], 0 offset:68
	;; [unrolled: 1-line block ×49, first 2 shown]
	v_mov_b32_e32 v192, 0
	ds_read_b128 v[62:65], v192 offset:720
	ds_read_b128 v[74:77], v192 offset:736
	;; [unrolled: 1-line block ×11, first 2 shown]
	buffer_load_dword v128, off, s[0:3], 0 offset:248
	buffer_load_dword v145, off, s[0:3], 0 offset:244
	buffer_load_dword v144, off, s[0:3], 0 offset:240
	buffer_load_dword v131, off, s[0:3], 0 offset:300
	buffer_load_dword v130, off, s[0:3], 0 offset:296
	buffer_load_dword v133, off, s[0:3], 0 offset:292
	buffer_load_dword v132, off, s[0:3], 0 offset:288
	buffer_load_dword v149, off, s[0:3], 0 offset:284
	buffer_load_dword v148, off, s[0:3], 0 offset:280
	buffer_load_dword v153, off, s[0:3], 0 offset:276
	buffer_load_dword v152, off, s[0:3], 0 offset:272
	buffer_load_dword v135, off, s[0:3], 0 offset:332
	buffer_load_dword v134, off, s[0:3], 0 offset:328
	buffer_load_dword v137, off, s[0:3], 0 offset:324
	buffer_load_dword v136, off, s[0:3], 0 offset:320
	buffer_load_dword v157, off, s[0:3], 0 offset:316
	buffer_load_dword v156, off, s[0:3], 0 offset:312
	buffer_load_dword v161, off, s[0:3], 0 offset:308
	buffer_load_dword v160, off, s[0:3], 0 offset:304
	buffer_load_dword v139, off, s[0:3], 0 offset:364
	buffer_load_dword v138, off, s[0:3], 0 offset:360
	buffer_load_dword v141, off, s[0:3], 0 offset:356
	buffer_load_dword v140, off, s[0:3], 0 offset:352
	buffer_load_dword v165, off, s[0:3], 0 offset:348
	buffer_load_dword v164, off, s[0:3], 0 offset:344
	buffer_load_dword v169, off, s[0:3], 0 offset:340
	buffer_load_dword v168, off, s[0:3], 0 offset:336
	buffer_load_dword v143, off, s[0:3], 0 offset:396
	buffer_load_dword v142, off, s[0:3], 0 offset:392
	buffer_load_dword v147, off, s[0:3], 0 offset:388
	buffer_load_dword v146, off, s[0:3], 0 offset:384
	buffer_load_dword v203, off, s[0:3], 0 offset:380
	buffer_load_dword v202, off, s[0:3], 0 offset:376
	buffer_load_dword v207, off, s[0:3], 0 offset:372
	buffer_load_dword v206, off, s[0:3], 0 offset:368
	buffer_load_dword v151, off, s[0:3], 0 offset:428
	buffer_load_dword v150, off, s[0:3], 0 offset:424
	buffer_load_dword v155, off, s[0:3], 0 offset:420
	buffer_load_dword v154, off, s[0:3], 0 offset:416
	buffer_load_dword v211, off, s[0:3], 0 offset:412
	buffer_load_dword v210, off, s[0:3], 0 offset:408
	buffer_load_dword v215, off, s[0:3], 0 offset:404
	buffer_load_dword v214, off, s[0:3], 0 offset:400
	buffer_load_dword v159, off, s[0:3], 0 offset:460
	buffer_load_dword v158, off, s[0:3], 0 offset:456
	buffer_load_dword v163, off, s[0:3], 0 offset:452
	buffer_load_dword v162, off, s[0:3], 0 offset:448
	buffer_load_dword v219, off, s[0:3], 0 offset:444
	buffer_load_dword v218, off, s[0:3], 0 offset:440
	buffer_load_dword v221, off, s[0:3], 0 offset:436
	buffer_load_dword v220, off, s[0:3], 0 offset:432
	buffer_load_dword v167, off, s[0:3], 0 offset:492
	buffer_load_dword v166, off, s[0:3], 0 offset:488
	buffer_load_dword v171, off, s[0:3], 0 offset:484
	buffer_load_dword v170, off, s[0:3], 0 offset:480
	buffer_load_dword v223, off, s[0:3], 0 offset:476
	buffer_load_dword v222, off, s[0:3], 0 offset:472
	buffer_load_dword v225, off, s[0:3], 0 offset:468
	buffer_load_dword v224, off, s[0:3], 0 offset:464
	buffer_load_dword v205, off, s[0:3], 0 offset:524
	buffer_load_dword v204, off, s[0:3], 0 offset:520
	buffer_load_dword v209, off, s[0:3], 0 offset:516
	buffer_load_dword v208, off, s[0:3], 0 offset:512
	buffer_load_dword v227, off, s[0:3], 0 offset:508
	buffer_load_dword v226, off, s[0:3], 0 offset:504
	buffer_load_dword v229, off, s[0:3], 0 offset:500
	buffer_load_dword v228, off, s[0:3], 0 offset:496
	buffer_load_dword v213, off, s[0:3], 0 offset:556
	buffer_load_dword v212, off, s[0:3], 0 offset:552
	buffer_load_dword v217, off, s[0:3], 0 offset:548
	buffer_load_dword v216, off, s[0:3], 0 offset:544
	buffer_load_dword v231, off, s[0:3], 0 offset:540
	buffer_load_dword v230, off, s[0:3], 0 offset:536
	buffer_load_dword v233, off, s[0:3], 0 offset:532
	buffer_load_dword v232, off, s[0:3], 0 offset:528
	s_waitcnt vmcnt(62) lgkmcnt(9)
	v_mul_f64 v[6:7], v[74:75], v[60:61]
	v_fmac_f64_e32 v[6:7], v[76:77], v[58:59]
	s_waitcnt lgkmcnt(8)
	v_mul_f64 v[8:9], v[86:87], v[66:67]
	v_mul_f64 v[60:61], v[76:77], v[60:61]
	s_waitcnt lgkmcnt(6)
	v_mul_f64 v[12:13], v[110:111], v[78:79]
	v_fma_f64 v[190:191], v[74:75], v[58:59], -v[60:61]
	v_fmac_f64_e32 v[12:13], v[112:113], v[80:81]
	v_mul_f64 v[66:67], v[88:89], v[66:67]
	v_mul_f64 v[10:11], v[98:99], v[70:71]
	;; [unrolled: 1-line block ×3, first 2 shown]
	s_waitcnt lgkmcnt(4)
	v_mul_f64 v[16:17], v[186:187], v[90:91]
	v_mul_f64 v[78:79], v[112:113], v[78:79]
	v_fmac_f64_e32 v[16:17], v[188:189], v[92:93]
	v_fma_f64 v[198:199], v[110:111], v[80:81], -v[78:79]
	v_mul_f64 v[14:15], v[114:115], v[82:83]
	v_mul_f64 v[82:83], v[116:117], v[82:83]
	s_waitcnt lgkmcnt(2)
	v_mul_f64 v[20:21], v[248:249], v[102:103]
	v_mul_f64 v[90:91], v[188:189], v[90:91]
	;; [unrolled: 1-line block ×5, first 2 shown]
	s_waitcnt lgkmcnt(1)
	v_mul_f64 v[22:23], v[252:253], v[106:107]
	v_mul_f64 v[106:107], v[254:255], v[106:107]
	v_fmac_f64_e32 v[8:9], v[88:89], v[68:69]
	v_fma_f64 v[194:195], v[86:87], v[68:69], -v[66:67]
	v_fmac_f64_e32 v[10:11], v[100:101], v[72:73]
	v_fma_f64 v[196:197], v[98:99], v[72:73], -v[70:71]
	;; [unrolled: 2-line block ×3, first 2 shown]
	v_fmac_f64_e32 v[18:19], v[246:247], v[96:97]
	v_fmac_f64_e32 v[20:21], v[250:251], v[104:105]
	;; [unrolled: 1-line block ×3, first 2 shown]
	v_fma_f64 v[244:245], v[244:245], v[96:97], -v[94:95]
	v_pk_mov_b32 v[2:3], v[0:1], v[0:1] op_sel:[0,1]
	v_mul_f64 v[0:1], v[62:63], v[56:57]
	v_fmac_f64_e32 v[0:1], v[64:65], v[54:55]
	v_add_f64 v[0:1], v[0:1], 0
	v_add_f64 v[0:1], v[0:1], v[6:7]
	;; [unrolled: 1-line block ×9, first 2 shown]
	ds_read_b128 v[6:9], v192 offset:896
	s_waitcnt lgkmcnt(1)
	v_mul_f64 v[10:11], v[120:121], v[4:5]
	v_add_f64 v[0:1], v[0:1], v[22:23]
	v_fmac_f64_e32 v[10:11], v[122:123], v[2:3]
	v_add_f64 v[0:1], v[0:1], v[10:11]
	ds_read_b128 v[10:13], v192 offset:912
	s_waitcnt lgkmcnt(1)
	v_mul_f64 v[14:15], v[6:7], v[128:129]
	v_fmac_f64_e32 v[14:15], v[8:9], v[144:145]
	v_add_f64 v[0:1], v[0:1], v[14:15]
	ds_read_b128 v[14:17], v192 offset:928
	s_waitcnt lgkmcnt(1)
	v_mul_f64 v[18:19], v[10:11], v[124:125]
	;; [unrolled: 5-line block ×4, first 2 shown]
	v_fmac_f64_e32 v[26:27], v[20:21], v[132:133]
	v_add_f64 v[0:1], v[0:1], v[26:27]
	ds_read_b128 v[26:29], v192 offset:976
	s_waitcnt vmcnt(58) lgkmcnt(1)
	v_mul_f64 v[30:31], v[22:23], v[156:157]
	s_waitcnt vmcnt(56)
	v_fmac_f64_e32 v[30:31], v[24:25], v[160:161]
	v_add_f64 v[0:1], v[0:1], v[30:31]
	ds_read_b128 v[30:33], v192 offset:992
	s_waitcnt lgkmcnt(1)
	v_mul_f64 v[34:35], v[26:27], v[134:135]
	v_fmac_f64_e32 v[34:35], v[28:29], v[136:137]
	v_add_f64 v[0:1], v[0:1], v[34:35]
	ds_read_b128 v[34:37], v192 offset:1008
	s_waitcnt vmcnt(50) lgkmcnt(1)
	v_mul_f64 v[38:39], v[30:31], v[164:165]
	s_waitcnt vmcnt(48)
	v_fmac_f64_e32 v[38:39], v[32:33], v[168:169]
	v_add_f64 v[0:1], v[0:1], v[38:39]
	ds_read_b128 v[38:41], v192 offset:1024
	s_waitcnt lgkmcnt(1)
	v_mul_f64 v[42:43], v[34:35], v[138:139]
	;; [unrolled: 11-line block ×3, first 2 shown]
	buffer_load_dword v173, off, s[0:3], 0 offset:572
	buffer_load_dword v172, off, s[0:3], 0 offset:568
	;; [unrolled: 1-line block ×4, first 2 shown]
	v_fmac_f64_e32 v[50:51], v[44:45], v[146:147]
	v_add_f64 v[0:1], v[0:1], v[50:51]
	ds_read_b128 v[50:53], v192 offset:1072
	buffer_load_dword v176, off, s[0:3], 0 offset:584
	buffer_load_dword v178, off, s[0:3], 0 offset:576
	;; [unrolled: 1-line block ×20, first 2 shown]
	s_waitcnt vmcnt(58) lgkmcnt(1)
	v_mul_f64 v[118:119], v[46:47], v[210:211]
	s_waitcnt vmcnt(56)
	v_fmac_f64_e32 v[118:119], v[48:49], v[214:215]
	v_mul_f64 v[56:57], v[64:65], v[56:57]
	v_add_f64 v[0:1], v[0:1], v[118:119]
	v_fma_f64 v[118:119], v[62:63], v[54:55], -v[56:57]
	ds_read_b128 v[54:57], v192 offset:1088
	ds_read_b128 v[58:61], v192 offset:1104
	s_waitcnt lgkmcnt(2)
	v_mul_f64 v[62:63], v[50:51], v[150:151]
	v_fmac_f64_e32 v[62:63], v[52:53], v[154:155]
	v_add_f64 v[0:1], v[0:1], v[62:63]
	s_waitcnt vmcnt(50) lgkmcnt(1)
	v_mul_f64 v[62:63], v[54:55], v[218:219]
	s_waitcnt vmcnt(48)
	v_fmac_f64_e32 v[62:63], v[56:57], v[220:221]
	v_add_f64 v[0:1], v[0:1], v[62:63]
	s_waitcnt lgkmcnt(0)
	v_mul_f64 v[62:63], v[58:59], v[158:159]
	v_fmac_f64_e32 v[62:63], v[60:61], v[162:163]
	v_add_f64 v[0:1], v[0:1], v[62:63]
	ds_read_b128 v[62:65], v192 offset:1120
	ds_read_b128 v[66:69], v192 offset:1136
	;; [unrolled: 1-line block ×5, first 2 shown]
	s_waitcnt vmcnt(42) lgkmcnt(4)
	v_mul_f64 v[74:75], v[62:63], v[222:223]
	s_waitcnt vmcnt(40)
	v_fmac_f64_e32 v[74:75], v[64:65], v[224:225]
	v_add_f64 v[0:1], v[0:1], v[74:75]
	s_waitcnt lgkmcnt(3)
	v_mul_f64 v[74:75], v[66:67], v[166:167]
	v_fmac_f64_e32 v[74:75], v[68:69], v[170:171]
	v_add_f64 v[0:1], v[0:1], v[74:75]
	ds_read_b128 v[74:77], v192 offset:1168
	s_waitcnt vmcnt(34) lgkmcnt(3)
	v_mul_f64 v[86:87], v[70:71], v[226:227]
	s_waitcnt vmcnt(32)
	v_fmac_f64_e32 v[86:87], v[72:73], v[228:229]
	v_add_f64 v[0:1], v[0:1], v[86:87]
	v_accvgpr_write_b32 a129, v3
	s_waitcnt lgkmcnt(0)
	v_mul_f64 v[86:87], v[74:75], v[204:205]
	v_fmac_f64_e32 v[86:87], v[76:77], v[208:209]
	v_add_f64 v[0:1], v[0:1], v[86:87]
	s_waitcnt vmcnt(26)
	v_mul_f64 v[86:87], v[78:79], v[230:231]
	s_waitcnt vmcnt(24)
	v_fmac_f64_e32 v[86:87], v[80:81], v[232:233]
	v_add_f64 v[0:1], v[0:1], v[86:87]
	v_mul_f64 v[86:87], v[82:83], v[212:213]
	v_fmac_f64_e32 v[86:87], v[84:85], v[216:217]
	v_add_f64 v[0:1], v[0:1], v[86:87]
	ds_read_b128 v[86:89], v192 offset:1216
	v_accvgpr_write_b32 a128, v2
	v_fma_f64 v[2:3], v[186:187], v[92:93], -v[90:91]
	ds_read_b128 v[90:93], v192 offset:1232
	ds_read_b128 v[94:97], v192 offset:1248
	v_fma_f64 v[250:251], v[248:249], v[104:105], -v[102:103]
	ds_read_b128 v[102:105], v192 offset:1280
	v_fma_f64 v[252:253], v[252:253], v[108:109], -v[106:107]
	ds_read_b128 v[106:109], v192 offset:1296
	v_add_f64 v[118:119], v[118:119], 0
	v_add_f64 v[118:119], v[118:119], v[190:191]
	;; [unrolled: 1-line block ×8, first 2 shown]
	v_mul_f64 v[4:5], v[122:123], v[4:5]
	v_accvgpr_read_b32 v122, a128
	v_accvgpr_read_b32 v123, a129
	v_fma_f64 v[4:5], v[120:121], v[122:123], -v[4:5]
	v_mul_f64 v[8:9], v[8:9], v[128:129]
	v_fma_f64 v[6:7], v[6:7], v[144:145], -v[8:9]
	s_waitcnt vmcnt(22) lgkmcnt(4)
	v_mul_f64 v[98:99], v[86:87], v[172:173]
	s_waitcnt vmcnt(20)
	v_fmac_f64_e32 v[98:99], v[88:89], v[174:175]
	v_add_f64 v[0:1], v[0:1], v[98:99]
	s_waitcnt vmcnt(17) lgkmcnt(3)
	v_mul_f64 v[98:99], v[90:91], v[176:177]
	s_waitcnt vmcnt(16)
	v_fmac_f64_e32 v[98:99], v[92:93], v[178:179]
	v_add_f64 v[0:1], v[0:1], v[98:99]
	ds_read_b128 v[98:101], v192 offset:1264
	buffer_load_dword v187, off, s[0:3], 0 offset:668
	buffer_load_dword v186, off, s[0:3], 0 offset:664
	;; [unrolled: 1-line block ×4, first 2 shown]
	s_waitcnt vmcnt(18) lgkmcnt(3)
	v_mul_f64 v[110:111], v[94:95], v[234:235]
	s_waitcnt vmcnt(16)
	v_fmac_f64_e32 v[110:111], v[96:97], v[238:239]
	v_add_f64 v[0:1], v[0:1], v[110:111]
	s_waitcnt vmcnt(14) lgkmcnt(0)
	v_mul_f64 v[110:111], v[98:99], v[236:237]
	s_waitcnt vmcnt(12)
	v_fmac_f64_e32 v[110:111], v[100:101], v[240:241]
	v_add_f64 v[0:1], v[0:1], v[110:111]
	s_waitcnt vmcnt(9)
	v_mul_f64 v[110:111], v[102:103], v[184:185]
	s_waitcnt vmcnt(7)
	v_fmac_f64_e32 v[110:111], v[104:105], v[242:243]
	v_add_f64 v[0:1], v[0:1], v[110:111]
	s_waitcnt vmcnt(5)
	v_mul_f64 v[110:111], v[106:107], v[180:181]
	s_waitcnt vmcnt(4)
	v_fmac_f64_e32 v[110:111], v[108:109], v[182:183]
	v_add_f64 v[0:1], v[0:1], v[110:111]
	ds_read_b128 v[110:113], v192 offset:1312
	buffer_load_dword v246, off, s[0:3], 0 offset:680
	buffer_load_dword v247, off, s[0:3], 0 offset:684
	;; [unrolled: 1-line block ×4, first 2 shown]
	s_waitcnt vmcnt(6) lgkmcnt(0)
	v_mul_f64 v[114:115], v[110:111], v[186:187]
	s_waitcnt vmcnt(4)
	v_fmac_f64_e32 v[114:115], v[112:113], v[188:189]
	v_add_f64 v[0:1], v[0:1], v[114:115]
	ds_read_b128 v[114:117], v192 offset:1328
	buffer_load_dword v2, off, s[0:3], 0 offset:48
	buffer_load_dword v3, off, s[0:3], 0 offset:52
	;; [unrolled: 1-line block ×4, first 2 shown]
	s_waitcnt vmcnt(6) lgkmcnt(0)
	v_mul_f64 v[254:255], v[114:115], v[246:247]
	s_waitcnt vmcnt(4)
	v_fmac_f64_e32 v[254:255], v[116:117], v[248:249]
	v_add_f64 v[0:1], v[0:1], v[254:255]
	v_add_f64 v[254:255], v[118:119], v[250:251]
	;; [unrolled: 1-line block ×5, first 2 shown]
	v_mul_f64 v[6:7], v[12:13], v[124:125]
	v_fma_f64 v[6:7], v[10:11], v[126:127], -v[6:7]
	v_add_f64 v[4:5], v[4:5], v[6:7]
	v_mul_f64 v[6:7], v[16:17], v[148:149]
	v_fma_f64 v[6:7], v[14:15], v[152:153], -v[6:7]
	v_add_f64 v[4:5], v[4:5], v[6:7]
	;; [unrolled: 3-line block ×27, first 2 shown]
	s_waitcnt vmcnt(2)
	v_add_f64 v[2:3], v[2:3], -v[4:5]
	s_waitcnt vmcnt(0)
	v_add_f64 v[0:1], v[190:191], -v[0:1]
	buffer_store_dword v3, off, s[0:3], 0 offset:52
	buffer_store_dword v2, off, s[0:3], 0 offset:48
	;; [unrolled: 1-line block ×4, first 2 shown]
	v_accvgpr_read_b32 v0, a125
	v_cmp_lt_u32_e32 vcc, 1, v0
	s_and_saveexec_b64 s[4:5], vcc
	s_cbranch_execz .LBB41_263
; %bb.262:
	v_accvgpr_read_b32 v0, a124
	buffer_load_dword v2, v0, s[0:3], 0 offen
	buffer_load_dword v3, v0, s[0:3], 0 offen offset:4
	buffer_load_dword v4, v0, s[0:3], 0 offen offset:8
	;; [unrolled: 1-line block ×3, first 2 shown]
	v_accvgpr_read_b32 v0, a126
	buffer_store_dword v192, off, s[0:3], 0 offset:32
	buffer_store_dword v192, off, s[0:3], 0 offset:36
	buffer_store_dword v192, off, s[0:3], 0 offset:40
	buffer_store_dword v192, off, s[0:3], 0 offset:44
	s_waitcnt vmcnt(4)
	ds_write_b128 v0, v[2:5]
.LBB41_263:
	s_or_b64 exec, exec, s[4:5]
	s_waitcnt lgkmcnt(0)
	; wave barrier
	s_waitcnt lgkmcnt(0)
	buffer_load_dword v56, off, s[0:3], 0 offset:48
	buffer_load_dword v57, off, s[0:3], 0 offset:52
	;; [unrolled: 1-line block ×42, first 2 shown]
	ds_read_b128 v[78:81], v192 offset:704
	ds_read_b128 v[90:93], v192 offset:720
	;; [unrolled: 1-line block ×10, first 2 shown]
	buffer_load_dword v1, off, s[0:3], 0 offset:196
	buffer_load_dword v0, off, s[0:3], 0 offset:192
	ds_read_b128 v[106:109], v192 offset:864
	buffer_load_dword v3, off, s[0:3], 0 offset:252
	buffer_load_dword v2, off, s[0:3], 0 offset:248
	s_waitcnt vmcnt(38) lgkmcnt(9)
	v_mul_f64 v[4:5], v[90:91], v[62:63]
	v_fmac_f64_e32 v[4:5], v[92:93], v[54:55]
	s_waitcnt vmcnt(36) lgkmcnt(8)
	v_mul_f64 v[6:7], v[114:115], v[58:59]
	v_mul_f64 v[58:59], v[116:117], v[58:59]
	s_waitcnt vmcnt(34) lgkmcnt(6)
	v_mul_f64 v[10:11], v[244:245], v[70:71]
	v_mul_f64 v[70:71], v[246:247], v[70:71]
	s_waitcnt vmcnt(32)
	v_fmac_f64_e32 v[10:11], v[246:247], v[72:73]
	s_waitcnt vmcnt(30)
	v_mul_f64 v[8:9], v[186:187], v[64:65]
	s_waitcnt vmcnt(28) lgkmcnt(4)
	v_mul_f64 v[14:15], v[252:253], v[82:83]
	v_mul_f64 v[82:83], v[254:255], v[82:83]
	s_waitcnt vmcnt(26)
	v_fmac_f64_e32 v[14:15], v[254:255], v[84:85]
	s_waitcnt vmcnt(24)
	v_mul_f64 v[12:13], v[248:249], v[74:75]
	v_mul_f64 v[74:75], v[250:251], v[74:75]
	s_waitcnt vmcnt(22) lgkmcnt(2)
	v_mul_f64 v[18:19], v[198:199], v[94:95]
	s_waitcnt vmcnt(19)
	v_mul_f64 v[16:17], v[194:195], v[86:87]
	v_mul_f64 v[86:87], v[196:197], v[86:87]
	s_waitcnt vmcnt(17) lgkmcnt(1)
	v_mul_f64 v[20:21], v[98:99], v[102:103]
	s_waitcnt vmcnt(15)
	v_fmac_f64_e32 v[6:7], v[116:117], v[68:69]
	s_waitcnt vmcnt(13)
	v_fmac_f64_e32 v[8:9], v[188:189], v[66:67]
	;; [unrolled: 2-line block ×3, first 2 shown]
	v_fma_f64 v[248:249], v[248:249], v[76:77], -v[74:75]
	s_waitcnt vmcnt(9)
	v_fmac_f64_e32 v[16:17], v[196:197], v[88:89]
	s_waitcnt vmcnt(8)
	v_fmac_f64_e32 v[18:19], v[200:201], v[96:97]
	v_fma_f64 v[250:251], v[252:253], v[84:85], -v[82:83]
	v_fma_f64 v[252:253], v[194:195], v[88:89], -v[86:87]
	s_waitcnt vmcnt(2)
	v_fmac_f64_e32 v[20:21], v[100:101], v[0:1]
	s_waitcnt vmcnt(0)
	v_pk_mov_b32 v[22:23], v[2:3], v[2:3] op_sel:[0,1]
	buffer_load_dword v3, off, s[0:3], 0 offset:244
	buffer_load_dword v2, off, s[0:3], 0 offset:240
	;; [unrolled: 1-line block ×78, first 2 shown]
	ds_read_b128 v[120:123], v192 offset:880
	v_accvgpr_write_b32 a129, v23
	v_accvgpr_write_b32 a128, v22
	s_waitcnt vmcnt(62)
	v_pk_mov_b32 v[24:25], v[2:3], v[2:3] op_sel:[0,1]
	v_mul_f64 v[2:3], v[78:79], v[60:61]
	v_fmac_f64_e32 v[2:3], v[80:81], v[56:57]
	v_add_f64 v[2:3], v[2:3], 0
	v_add_f64 v[2:3], v[2:3], v[4:5]
	;; [unrolled: 1-line block ×9, first 2 shown]
	s_waitcnt lgkmcnt(1)
	v_mul_f64 v[8:9], v[106:107], v[110:111]
	v_add_f64 v[6:7], v[2:3], v[20:21]
	v_fmac_f64_e32 v[8:9], v[108:109], v[112:113]
	v_add_f64 v[10:11], v[6:7], v[8:9]
	ds_read_b128 v[6:9], v192 offset:896
	s_waitcnt lgkmcnt(1)
	v_mul_f64 v[12:13], v[120:121], v[124:125]
	v_fmac_f64_e32 v[12:13], v[122:123], v[140:141]
	v_add_f64 v[14:15], v[10:11], v[12:13]
	ds_read_b128 v[10:13], v192 offset:912
	s_waitcnt lgkmcnt(1)
	v_mul_f64 v[16:17], v[6:7], v[22:23]
	;; [unrolled: 5-line block ×3, first 2 shown]
	v_fmac_f64_e32 v[20:21], v[12:13], v[148:149]
	v_add_f64 v[22:23], v[18:19], v[20:21]
	ds_read_b128 v[18:21], v192 offset:944
	v_accvgpr_write_b32 a131, v25
	v_accvgpr_write_b32 a130, v24
	s_waitcnt lgkmcnt(1)
	v_mul_f64 v[24:25], v[14:15], v[126:127]
	v_fmac_f64_e32 v[24:25], v[16:17], v[128:129]
	v_add_f64 v[26:27], v[22:23], v[24:25]
	ds_read_b128 v[22:25], v192 offset:960
	s_waitcnt vmcnt(58) lgkmcnt(1)
	v_mul_f64 v[28:29], v[18:19], v[152:153]
	s_waitcnt vmcnt(56)
	v_fmac_f64_e32 v[28:29], v[20:21], v[156:157]
	v_add_f64 v[30:31], v[26:27], v[28:29]
	ds_read_b128 v[26:29], v192 offset:976
	s_waitcnt lgkmcnt(1)
	v_mul_f64 v[32:33], v[22:23], v[130:131]
	v_fmac_f64_e32 v[32:33], v[24:25], v[132:133]
	v_add_f64 v[34:35], v[30:31], v[32:33]
	ds_read_b128 v[30:33], v192 offset:992
	s_waitcnt vmcnt(50) lgkmcnt(1)
	v_mul_f64 v[36:37], v[26:27], v[160:161]
	s_waitcnt vmcnt(48)
	v_fmac_f64_e32 v[36:37], v[28:29], v[164:165]
	v_add_f64 v[38:39], v[34:35], v[36:37]
	ds_read_b128 v[34:37], v192 offset:1008
	;; [unrolled: 11-line block ×4, first 2 shown]
	buffer_load_dword v172, off, s[0:3], 0 offset:568
	buffer_load_dword v177, off, s[0:3], 0 offset:556
	buffer_load_dword v176, off, s[0:3], 0 offset:552
	buffer_load_dword v179, off, s[0:3], 0 offset:548
	buffer_load_dword v178, off, s[0:3], 0 offset:544
	buffer_load_dword v174, off, s[0:3], 0 offset:560
	buffer_load_dword v173, off, s[0:3], 0 offset:572
	buffer_load_dword v175, off, s[0:3], 0 offset:564
	buffer_load_dword v181, off, s[0:3], 0 offset:588
	buffer_load_dword v180, off, s[0:3], 0 offset:584
	buffer_load_dword v183, off, s[0:3], 0 offset:580
	buffer_load_dword v182, off, s[0:3], 0 offset:576
	buffer_load_dword v231, off, s[0:3], 0 offset:604
	buffer_load_dword v230, off, s[0:3], 0 offset:600
	buffer_load_dword v233, off, s[0:3], 0 offset:596
	buffer_load_dword v232, off, s[0:3], 0 offset:592
	buffer_load_dword v184, off, s[0:3], 0 offset:632
	buffer_load_dword v237, off, s[0:3], 0 offset:620
	buffer_load_dword v236, off, s[0:3], 0 offset:616
	buffer_load_dword v241, off, s[0:3], 0 offset:612
	buffer_load_dword v240, off, s[0:3], 0 offset:608
	buffer_load_dword v234, off, s[0:3], 0 offset:624
	buffer_load_dword v185, off, s[0:3], 0 offset:636
	buffer_load_dword v235, off, s[0:3], 0 offset:628
	buffer_load_dword v239, off, s[0:3], 0 offset:652
	buffer_load_dword v238, off, s[0:3], 0 offset:648
	buffer_load_dword v243, off, s[0:3], 0 offset:644
	buffer_load_dword v242, off, s[0:3], 0 offset:640
	s_waitcnt lgkmcnt(1)
	v_mul_f64 v[118:119], v[46:47], v[146:147]
	v_fmac_f64_e32 v[118:119], v[48:49], v[150:151]
	v_mul_f64 v[60:61], v[80:81], v[60:61]
	v_add_f64 v[104:105], v[104:105], v[118:119]
	s_waitcnt vmcnt(54) lgkmcnt(0)
	v_mul_f64 v[118:119], v[50:51], v[214:215]
	v_fma_f64 v[190:191], v[78:79], v[56:57], -v[60:61]
	v_mul_f64 v[56:57], v[92:93], v[62:63]
	v_fma_f64 v[2:3], v[90:91], v[54:55], -v[56:57]
	s_waitcnt vmcnt(52)
	v_fmac_f64_e32 v[118:119], v[52:53], v[216:217]
	ds_read_b128 v[54:57], v192 offset:1088
	v_add_f64 v[4:5], v[104:105], v[118:119]
	v_fma_f64 v[118:119], v[114:115], v[68:69], -v[58:59]
	ds_read_b128 v[58:61], v192 offset:1104
	v_mul_f64 v[62:63], v[188:189], v[64:65]
	v_fma_f64 v[90:91], v[186:187], v[66:67], -v[62:63]
	ds_read_b128 v[62:65], v192 offset:1120
	s_waitcnt lgkmcnt(2)
	v_mul_f64 v[68:69], v[54:55], v[154:155]
	v_fmac_f64_e32 v[68:69], v[56:57], v[158:159]
	s_waitcnt vmcnt(46) lgkmcnt(1)
	v_mul_f64 v[66:67], v[58:59], v[218:219]
	v_add_f64 v[4:5], v[4:5], v[68:69]
	s_waitcnt vmcnt(44)
	v_fmac_f64_e32 v[66:67], v[60:61], v[220:221]
	v_add_f64 v[4:5], v[4:5], v[66:67]
	v_fma_f64 v[92:93], v[244:245], v[72:73], -v[70:71]
	ds_read_b128 v[70:73], v192 offset:1152
	s_waitcnt lgkmcnt(1)
	v_mul_f64 v[66:67], v[62:63], v[162:163]
	v_fmac_f64_e32 v[66:67], v[64:65], v[166:167]
	v_add_f64 v[4:5], v[4:5], v[66:67]
	ds_read_b128 v[66:69], v192 offset:1136
	ds_read_b128 v[74:77], v192 offset:1168
	;; [unrolled: 1-line block ×5, first 2 shown]
	s_waitcnt vmcnt(38) lgkmcnt(4)
	v_mul_f64 v[78:79], v[66:67], v[222:223]
	s_waitcnt vmcnt(36)
	v_fmac_f64_e32 v[78:79], v[68:69], v[224:225]
	v_add_f64 v[4:5], v[4:5], v[78:79]
	v_mul_f64 v[78:79], v[70:71], v[170:171]
	v_fmac_f64_e32 v[78:79], v[72:73], v[204:205]
	v_add_f64 v[4:5], v[4:5], v[78:79]
	s_waitcnt vmcnt(30) lgkmcnt(3)
	v_mul_f64 v[78:79], v[74:75], v[226:227]
	s_waitcnt vmcnt(28)
	v_fmac_f64_e32 v[78:79], v[76:77], v[228:229]
	v_add_f64 v[4:5], v[4:5], v[78:79]
	ds_read_b128 v[78:81], v192 offset:1184
	v_mul_f64 v[108:109], v[108:109], v[110:111]
	v_fma_f64 v[254:255], v[106:107], v[112:113], -v[108:109]
	v_add_f64 v[190:191], v[190:191], 0
	v_add_f64 v[2:3], v[190:191], v[2:3]
	s_waitcnt lgkmcnt(0)
	v_mul_f64 v[104:105], v[78:79], v[208:209]
	v_fmac_f64_e32 v[104:105], v[80:81], v[212:213]
	v_add_f64 v[4:5], v[4:5], v[104:105]
	v_add_f64 v[2:3], v[2:3], v[118:119]
	;; [unrolled: 1-line block ×7, first 2 shown]
	ds_read_b128 v[106:109], v192 offset:1296
	s_waitcnt vmcnt(25)
	v_mul_f64 v[104:105], v[82:83], v[176:177]
	s_waitcnt vmcnt(23)
	v_fmac_f64_e32 v[104:105], v[84:85], v[178:179]
	v_add_f64 v[4:5], v[4:5], v[104:105]
	s_waitcnt vmcnt(21)
	v_mul_f64 v[104:105], v[86:87], v[172:173]
	s_waitcnt vmcnt(20)
	v_fmac_f64_e32 v[104:105], v[88:89], v[174:175]
	v_add_f64 v[104:105], v[4:5], v[104:105]
	v_mul_f64 v[4:5], v[200:201], v[94:95]
	v_fma_f64 v[198:199], v[198:199], v[96:97], -v[4:5]
	ds_read_b128 v[94:97], v192 offset:1248
	s_waitcnt vmcnt(18)
	v_mul_f64 v[114:115], v[194:195], v[180:181]
	v_mul_f64 v[4:5], v[100:101], v[102:103]
	s_waitcnt vmcnt(16)
	v_fmac_f64_e32 v[114:115], v[196:197], v[182:183]
	v_fma_f64 v[4:5], v[98:99], v[0:1], -v[4:5]
	ds_read_b128 v[98:101], v192 offset:1264
	s_waitcnt vmcnt(14) lgkmcnt(1)
	v_mul_f64 v[102:103], v[94:95], v[230:231]
	v_add_f64 v[0:1], v[104:105], v[114:115]
	s_waitcnt vmcnt(12)
	v_fmac_f64_e32 v[102:103], v[96:97], v[232:233]
	v_add_f64 v[0:1], v[0:1], v[102:103]
	ds_read_b128 v[102:105], v192 offset:1280
	buffer_load_dword v186, off, s[0:3], 0 offset:664
	buffer_load_dword v187, off, s[0:3], 0 offset:668
	buffer_load_dword v188, off, s[0:3], 0 offset:656
	buffer_load_dword v189, off, s[0:3], 0 offset:660
	s_waitcnt vmcnt(13) lgkmcnt(1)
	v_mul_f64 v[110:111], v[98:99], v[236:237]
	s_waitcnt vmcnt(11)
	v_fmac_f64_e32 v[110:111], v[100:101], v[240:241]
	v_add_f64 v[0:1], v[0:1], v[110:111]
	s_waitcnt vmcnt(9) lgkmcnt(0)
	v_mul_f64 v[110:111], v[102:103], v[184:185]
	s_waitcnt vmcnt(8)
	v_fmac_f64_e32 v[110:111], v[104:105], v[234:235]
	v_add_f64 v[0:1], v[0:1], v[110:111]
	s_waitcnt vmcnt(6)
	v_mul_f64 v[110:111], v[106:107], v[238:239]
	s_waitcnt vmcnt(4)
	v_fmac_f64_e32 v[110:111], v[108:109], v[242:243]
	v_add_f64 v[0:1], v[0:1], v[110:111]
	ds_read_b128 v[110:113], v192 offset:1312
	buffer_load_dword v245, off, s[0:3], 0 offset:684
	buffer_load_dword v244, off, s[0:3], 0 offset:680
	;; [unrolled: 1-line block ×4, first 2 shown]
	s_waitcnt vmcnt(6) lgkmcnt(0)
	v_mul_f64 v[114:115], v[110:111], v[186:187]
	s_waitcnt vmcnt(4)
	v_fmac_f64_e32 v[114:115], v[112:113], v[188:189]
	v_add_f64 v[0:1], v[0:1], v[114:115]
	ds_read_b128 v[114:117], v192 offset:1328
	buffer_load_dword v250, off, s[0:3], 0 offset:32
	buffer_load_dword v251, off, s[0:3], 0 offset:36
	;; [unrolled: 1-line block ×4, first 2 shown]
	s_waitcnt vmcnt(6) lgkmcnt(0)
	v_mul_f64 v[192:193], v[114:115], v[244:245]
	s_waitcnt vmcnt(4)
	v_fmac_f64_e32 v[192:193], v[116:117], v[246:247]
	v_add_f64 v[0:1], v[0:1], v[192:193]
	v_add_f64 v[192:193], v[2:3], v[198:199]
	;; [unrolled: 1-line block ×3, first 2 shown]
	v_mul_f64 v[4:5], v[122:123], v[124:125]
	v_add_f64 v[2:3], v[2:3], v[254:255]
	v_fma_f64 v[4:5], v[120:121], v[140:141], -v[4:5]
	v_add_f64 v[2:3], v[2:3], v[4:5]
	v_accvgpr_read_b32 v4, a128
	v_accvgpr_read_b32 v5, a129
	v_mul_f64 v[4:5], v[8:9], v[4:5]
	v_accvgpr_read_b32 v8, a130
	v_accvgpr_read_b32 v9, a131
	v_fma_f64 v[4:5], v[6:7], v[8:9], -v[4:5]
	v_add_f64 v[2:3], v[2:3], v[4:5]
	v_mul_f64 v[4:5], v[12:13], v[144:145]
	v_fma_f64 v[4:5], v[10:11], v[148:149], -v[4:5]
	v_add_f64 v[2:3], v[2:3], v[4:5]
	v_mul_f64 v[4:5], v[16:17], v[126:127]
	;; [unrolled: 3-line block ×27, first 2 shown]
	v_fma_f64 v[4:5], v[114:115], v[246:247], -v[4:5]
	v_add_f64 v[2:3], v[2:3], v[4:5]
	s_waitcnt vmcnt(2)
	v_add_f64 v[2:3], v[250:251], -v[2:3]
	s_waitcnt vmcnt(0)
	v_add_f64 v[0:1], v[248:249], -v[0:1]
	buffer_store_dword v3, off, s[0:3], 0 offset:36
	buffer_store_dword v2, off, s[0:3], 0 offset:32
	;; [unrolled: 1-line block ×4, first 2 shown]
	v_accvgpr_read_b32 v0, a125
	v_cmp_ne_u32_e32 vcc, 0, v0
	s_and_saveexec_b64 s[4:5], vcc
	s_cbranch_execz .LBB41_265
; %bb.264:
	buffer_load_dword v2, off, s[0:3], 0 offset:16
	buffer_load_dword v3, off, s[0:3], 0 offset:20
	;; [unrolled: 1-line block ×4, first 2 shown]
	v_mov_b32_e32 v0, 0
	v_accvgpr_read_b32 v1, a126
	buffer_store_dword v0, off, s[0:3], 0 offset:16
	buffer_store_dword v0, off, s[0:3], 0 offset:20
	;; [unrolled: 1-line block ×4, first 2 shown]
	s_waitcnt vmcnt(4)
	ds_write_b128 v1, v[2:5]
.LBB41_265:
	s_or_b64 exec, exec, s[4:5]
	s_waitcnt lgkmcnt(0)
	; wave barrier
	s_waitcnt lgkmcnt(0)
	buffer_load_dword v58, off, s[0:3], 0 offset:32
	buffer_load_dword v59, off, s[0:3], 0 offset:36
	;; [unrolled: 1-line block ×46, first 2 shown]
	v_mov_b32_e32 v110, 0
	s_and_b64 vcc, exec, s[20:21]
	s_waitcnt vmcnt(0)
	v_pk_mov_b32 v[20:21], v[0:1], v[0:1] op_sel:[0,1]
	buffer_load_dword v1, off, s[0:3], 0 offset:228
	buffer_load_dword v0, off, s[0:3], 0 offset:224
	;; [unrolled: 1-line block ×3, first 2 shown]
	ds_read_b128 v[88:91], v110 offset:688
	ds_read_b128 v[106:109], v110 offset:704
	;; [unrolled: 1-line block ×11, first 2 shown]
	s_waitcnt lgkmcnt(9)
	v_mul_f64 v[2:3], v[106:107], v[54:55]
	v_fmac_f64_e32 v[2:3], v[108:109], v[52:53]
	s_waitcnt lgkmcnt(8)
	v_mul_f64 v[4:5], v[160:161], v[56:57]
	s_waitcnt lgkmcnt(7)
	v_mul_f64 v[6:7], v[172:173], v[66:67]
	v_fmac_f64_e32 v[4:5], v[162:163], v[78:79]
	s_waitcnt lgkmcnt(6)
	v_mul_f64 v[8:9], v[176:177], v[62:63]
	v_fmac_f64_e32 v[6:7], v[174:175], v[76:77]
	s_waitcnt lgkmcnt(5)
	v_mul_f64 v[10:11], v[180:181], v[68:69]
	v_fmac_f64_e32 v[8:9], v[178:179], v[64:65]
	s_waitcnt lgkmcnt(4)
	v_mul_f64 v[12:13], v[184:185], v[72:73]
	v_fmac_f64_e32 v[10:11], v[182:183], v[70:71]
	s_waitcnt lgkmcnt(3)
	v_mul_f64 v[14:15], v[188:189], v[80:81]
	v_fmac_f64_e32 v[12:13], v[186:187], v[74:75]
	s_waitcnt lgkmcnt(2)
	v_mul_f64 v[16:17], v[192:193], v[84:85]
	v_fmac_f64_e32 v[14:15], v[190:191], v[82:83]
	s_waitcnt lgkmcnt(1)
	v_mul_f64 v[18:19], v[196:197], v[92:93]
	v_fmac_f64_e32 v[16:17], v[194:195], v[86:87]
	v_fmac_f64_e32 v[18:19], v[198:199], v[94:95]
	v_accvgpr_write_b32 a127, v21
	v_accvgpr_write_b32 a126, v20
	v_mul_f64 v[54:55], v[108:109], v[54:55]
	v_fma_f64 v[52:53], v[106:107], v[52:53], -v[54:55]
	v_mul_f64 v[54:55], v[162:163], v[56:57]
	v_fma_f64 v[54:55], v[160:161], v[78:79], -v[54:55]
	v_mul_f64 v[56:57], v[174:175], v[66:67]
	v_mul_f64 v[68:69], v[182:183], v[68:69]
	v_fma_f64 v[182:183], v[180:181], v[70:71], -v[68:69]
	v_mul_f64 v[72:73], v[186:187], v[72:73]
	v_fma_f64 v[184:185], v[184:185], v[74:75], -v[72:73]
	;; [unrolled: 2-line block ×5, first 2 shown]
	s_waitcnt vmcnt(1)
	v_pk_mov_b32 v[22:23], v[0:1], v[0:1] op_sel:[0,1]
	v_mul_f64 v[0:1], v[88:89], v[60:61]
	v_fmac_f64_e32 v[0:1], v[90:91], v[58:59]
	v_add_f64 v[0:1], v[0:1], 0
	v_add_f64 v[0:1], v[0:1], v[2:3]
	buffer_load_dword v104, off, s[0:3], 0 offset:216
	buffer_load_dword v119, off, s[0:3], 0 offset:212
	;; [unrolled: 1-line block ×5, first 2 shown]
	v_add_f64 v[0:1], v[0:1], v[4:5]
	v_add_f64 v[0:1], v[0:1], v[6:7]
	;; [unrolled: 1-line block ×8, first 2 shown]
	v_accvgpr_write_b32 a129, v23
	v_accvgpr_write_b32 a128, v22
	v_mul_f64 v[60:61], v[90:91], v[60:61]
	s_waitcnt vmcnt(0)
	v_pk_mov_b32 v[24:25], v[2:3], v[2:3] op_sel:[0,1]
	buffer_load_dword v3, off, s[0:3], 0 offset:260
	buffer_load_dword v2, off, s[0:3], 0 offset:256
	v_accvgpr_write_b32 a131, v25
	v_accvgpr_write_b32 a130, v24
	s_waitcnt vmcnt(0)
	v_pk_mov_b32 v[26:27], v[2:3], v[2:3] op_sel:[0,1]
	buffer_load_dword v221, off, s[0:3], 0 offset:252
	buffer_load_dword v220, off, s[0:3], 0 offset:248
	;; [unrolled: 1-line block ×68, first 2 shown]
	ds_read_b128 v[114:117], v110 offset:864
	ds_read_b128 v[120:123], v110 offset:880
	;; [unrolled: 1-line block ×4, first 2 shown]
	v_accvgpr_write_b32 a133, v27
	s_waitcnt lgkmcnt(3)
	v_mul_f64 v[6:7], v[114:115], v[104:105]
	v_fmac_f64_e32 v[6:7], v[116:117], v[118:119]
	s_waitcnt lgkmcnt(2)
	v_mul_f64 v[10:11], v[120:121], v[20:21]
	v_fmac_f64_e32 v[10:11], v[122:123], v[22:23]
	;; [unrolled: 3-line block ×3, first 2 shown]
	v_accvgpr_write_b32 a132, v26
	v_mul_f64 v[104:105], v[116:117], v[104:105]
	v_fma_f64 v[188:189], v[114:115], v[118:119], -v[104:105]
	s_waitcnt vmcnt(62)
	v_mul_f64 v[14:15], v[140:141], v[220:221]
	v_fmac_f64_e32 v[14:15], v[142:143], v[224:225]
	v_pk_mov_b32 v[28:29], v[2:3], v[2:3] op_sel:[0,1]
	v_mul_f64 v[2:3], v[96:97], v[100:101]
	v_fmac_f64_e32 v[2:3], v[98:99], v[102:103]
	v_add_f64 v[4:5], v[0:1], v[2:3]
	v_add_f64 v[8:9], v[4:5], v[6:7]
	v_add_f64 v[12:13], v[8:9], v[10:11]
	v_add_f64 v[16:17], v[12:13], v[14:15]
	ds_read_b128 v[12:15], v110 offset:928
	v_add_f64 v[20:21], v[16:17], v[18:19]
	ds_read_b128 v[16:19], v110 offset:944
	v_accvgpr_write_b32 a135, v29
	v_accvgpr_write_b32 a134, v28
	s_waitcnt vmcnt(58) lgkmcnt(1)
	v_mul_f64 v[22:23], v[12:13], v[228:229]
	s_waitcnt vmcnt(56)
	v_fmac_f64_e32 v[22:23], v[14:15], v[232:233]
	s_waitcnt lgkmcnt(0)
	v_mul_f64 v[26:27], v[16:17], v[28:29]
	v_add_f64 v[24:25], v[20:21], v[22:23]
	ds_read_b128 v[20:23], v110 offset:960
	v_fmac_f64_e32 v[26:27], v[18:19], v[210:211]
	v_add_f64 v[28:29], v[24:25], v[26:27]
	ds_read_b128 v[24:27], v110 offset:976
	v_fma_f64 v[4:5], v[88:89], v[58:59], -v[60:61]
	s_waitcnt vmcnt(50) lgkmcnt(1)
	v_mul_f64 v[30:31], v[20:21], v[236:237]
	s_waitcnt vmcnt(48)
	v_fmac_f64_e32 v[30:31], v[22:23], v[240:241]
	v_add_f64 v[32:33], v[28:29], v[30:31]
	s_waitcnt lgkmcnt(0)
	v_mul_f64 v[34:35], v[24:25], v[212:213]
	ds_read_b128 v[28:31], v110 offset:992
	v_fmac_f64_e32 v[34:35], v[26:27], v[214:215]
	v_add_f64 v[36:37], v[32:33], v[34:35]
	ds_read_b128 v[32:35], v110 offset:1008
	v_mul_f64 v[98:99], v[98:99], v[100:101]
	s_waitcnt vmcnt(42) lgkmcnt(1)
	v_mul_f64 v[38:39], v[28:29], v[244:245]
	s_waitcnt vmcnt(40)
	v_fmac_f64_e32 v[38:39], v[30:31], v[248:249]
	v_add_f64 v[40:41], v[36:37], v[38:39]
	s_waitcnt lgkmcnt(0)
	v_mul_f64 v[42:43], v[32:33], v[216:217]
	ds_read_b128 v[36:39], v110 offset:1024
	v_fmac_f64_e32 v[42:43], v[34:35], v[218:219]
	v_add_f64 v[44:45], v[40:41], v[42:43]
	ds_read_b128 v[40:43], v110 offset:1040
	v_fma_f64 v[186:187], v[96:97], v[102:103], -v[98:99]
	s_waitcnt vmcnt(34) lgkmcnt(1)
	v_mul_f64 v[46:47], v[36:37], v[252:253]
	s_waitcnt vmcnt(32)
	v_fmac_f64_e32 v[46:47], v[38:39], v[206:207]
	v_add_f64 v[48:49], v[44:45], v[46:47]
	s_waitcnt lgkmcnt(0)
	v_mul_f64 v[50:51], v[40:41], v[222:223]
	v_fmac_f64_e32 v[50:51], v[42:43], v[226:227]
	ds_read_b128 v[44:47], v110 offset:1056
	v_add_f64 v[0:1], v[48:49], v[50:51]
	ds_read_b128 v[48:51], v110 offset:1072
	buffer_load_dword v11, off, s[0:3], 0 offset:540
	buffer_load_dword v10, off, s[0:3], 0 offset:536
	;; [unrolled: 1-line block ×20, first 2 shown]
	s_waitcnt vmcnt(46) lgkmcnt(1)
	v_mul_f64 v[2:3], v[44:45], v[204:205]
	s_waitcnt vmcnt(44)
	v_fmac_f64_e32 v[2:3], v[46:47], v[200:201]
	buffer_load_dword v162, off, s[0:3], 0 offset:616
	buffer_load_dword v164, off, s[0:3], 0 offset:608
	;; [unrolled: 1-line block ×12, first 2 shown]
	ds_read_b128 v[6:9], v110 offset:1088
	v_add_f64 v[0:1], v[0:1], v[2:3]
	s_waitcnt lgkmcnt(1)
	v_mul_f64 v[2:3], v[48:49], v[230:231]
	v_fmac_f64_e32 v[2:3], v[50:51], v[234:235]
	v_add_f64 v[60:61], v[0:1], v[2:3]
	v_fma_f64 v[0:1], v[172:173], v[76:77], -v[56:57]
	ds_read_b128 v[56:59], v110 offset:1104
	s_waitcnt vmcnt(50) lgkmcnt(1)
	v_mul_f64 v[2:3], v[6:7], v[202:203]
	s_waitcnt vmcnt(48)
	v_fmac_f64_e32 v[2:3], v[8:9], v[130:131]
	v_add_f64 v[2:3], v[60:61], v[2:3]
	v_mul_f64 v[60:61], v[178:179], v[62:63]
	v_fma_f64 v[176:177], v[176:177], v[64:65], -v[60:61]
	ds_read_b128 v[60:63], v110 offset:1120
	s_waitcnt lgkmcnt(1)
	v_mul_f64 v[64:65], v[56:57], v[238:239]
	v_fmac_f64_e32 v[64:65], v[58:59], v[242:243]
	v_add_f64 v[2:3], v[2:3], v[64:65]
	ds_read_b128 v[64:67], v110 offset:1136
	ds_read_b128 v[68:71], v110 offset:1152
	;; [unrolled: 1-line block ×3, first 2 shown]
	s_waitcnt vmcnt(42) lgkmcnt(3)
	v_mul_f64 v[76:77], v[60:61], v[132:133]
	s_waitcnt vmcnt(40)
	v_fmac_f64_e32 v[76:77], v[62:63], v[134:135]
	v_add_f64 v[2:3], v[2:3], v[76:77]
	s_waitcnt lgkmcnt(2)
	v_mul_f64 v[76:77], v[64:65], v[246:247]
	v_fmac_f64_e32 v[76:77], v[66:67], v[250:251]
	v_add_f64 v[2:3], v[2:3], v[76:77]
	s_waitcnt vmcnt(34) lgkmcnt(1)
	v_mul_f64 v[76:77], v[68:69], v[136:137]
	s_waitcnt vmcnt(32)
	v_fmac_f64_e32 v[76:77], v[70:71], v[138:139]
	v_add_f64 v[2:3], v[2:3], v[76:77]
	s_waitcnt lgkmcnt(0)
	v_mul_f64 v[76:77], v[72:73], v[254:255]
	v_fmac_f64_e32 v[76:77], v[74:75], v[208:209]
	v_add_f64 v[2:3], v[2:3], v[76:77]
	ds_read_b128 v[76:79], v110 offset:1184
	ds_read_b128 v[80:83], v110 offset:1200
	;; [unrolled: 1-line block ×6, first 2 shown]
	v_add_f64 v[4:5], v[4:5], 0
	v_add_f64 v[4:5], v[4:5], v[52:53]
	;; [unrolled: 1-line block ×9, first 2 shown]
	v_accvgpr_read_b32 v4, a126
	v_add_f64 v[190:191], v[0:1], v[194:195]
	v_accvgpr_read_b32 v5, a127
	v_accvgpr_read_b32 v52, a128
	v_add_f64 v[0:1], v[190:191], v[186:187]
	v_mul_f64 v[4:5], v[122:123], v[4:5]
	v_accvgpr_read_b32 v53, a129
	v_add_f64 v[0:1], v[0:1], v[188:189]
	v_fma_f64 v[4:5], v[120:121], v[52:53], -v[4:5]
	v_add_f64 v[0:1], v[0:1], v[4:5]
	v_mul_f64 v[4:5], v[142:143], v[220:221]
	v_fma_f64 v[4:5], v[140:141], v[224:225], -v[4:5]
	v_add_f64 v[0:1], v[0:1], v[4:5]
	v_accvgpr_read_b32 v4, a130
	v_accvgpr_read_b32 v5, a131
	;; [unrolled: 1-line block ×3, first 2 shown]
	v_mul_f64 v[4:5], v[146:147], v[4:5]
	v_accvgpr_read_b32 v53, a133
	v_fma_f64 v[4:5], v[144:145], v[52:53], -v[4:5]
	v_add_f64 v[0:1], v[0:1], v[4:5]
	v_mul_f64 v[4:5], v[14:15], v[228:229]
	v_fma_f64 v[4:5], v[12:13], v[232:233], -v[4:5]
	v_add_f64 v[0:1], v[0:1], v[4:5]
	v_accvgpr_read_b32 v4, a134
	s_waitcnt vmcnt(9) lgkmcnt(1)
	v_mul_f64 v[108:109], v[100:101], v[162:163]
	s_waitcnt vmcnt(8)
	v_fmac_f64_e32 v[108:109], v[102:103], v[164:165]
	v_mul_f64 v[88:89], v[76:77], v[10:11]
	v_accvgpr_read_b32 v5, a135
	v_fmac_f64_e32 v[88:89], v[78:79], v[126:127]
	v_add_f64 v[2:3], v[2:3], v[88:89]
	v_mul_f64 v[88:89], v[80:81], v[128:129]
	v_fmac_f64_e32 v[88:89], v[82:83], v[148:149]
	v_add_f64 v[2:3], v[2:3], v[88:89]
	ds_read_b128 v[88:91], v110 offset:1232
	v_mul_f64 v[106:107], v[84:85], v[150:151]
	v_fmac_f64_e32 v[106:107], v[86:87], v[156:157]
	v_add_f64 v[2:3], v[2:3], v[106:107]
	v_mul_f64 v[4:5], v[18:19], v[4:5]
	s_waitcnt lgkmcnt(0)
	v_mul_f64 v[106:107], v[88:89], v[124:125]
	v_fmac_f64_e32 v[106:107], v[90:91], v[154:155]
	v_add_f64 v[2:3], v[2:3], v[106:107]
	v_mul_f64 v[106:107], v[92:93], v[152:153]
	v_fmac_f64_e32 v[106:107], v[94:95], v[158:159]
	v_add_f64 v[2:3], v[2:3], v[106:107]
	ds_read_b128 v[104:107], v110 offset:1296
	buffer_load_dword v173, off, s[0:3], 0 offset:668
	buffer_load_dword v172, off, s[0:3], 0 offset:664
	;; [unrolled: 1-line block ×4, first 2 shown]
	ds_read_b128 v[196:199], v110 offset:1312
	v_add_f64 v[2:3], v[2:3], v[108:109]
	s_waitcnt vmcnt(9)
	v_mul_f64 v[108:109], v[96:97], v[168:169]
	s_waitcnt vmcnt(7)
	v_fmac_f64_e32 v[108:109], v[98:99], v[170:171]
	v_add_f64 v[2:3], v[2:3], v[108:109]
	s_waitcnt vmcnt(5) lgkmcnt(1)
	v_mul_f64 v[108:109], v[104:105], v[160:161]
	s_waitcnt vmcnt(4)
	v_fmac_f64_e32 v[108:109], v[106:107], v[166:167]
	buffer_load_dword v178, off, s[0:3], 0 offset:680
	buffer_load_dword v179, off, s[0:3], 0 offset:684
	;; [unrolled: 1-line block ×4, first 2 shown]
	v_add_f64 v[2:3], v[2:3], v[108:109]
	v_fma_f64 v[4:5], v[16:17], v[210:211], -v[4:5]
	v_add_f64 v[0:1], v[0:1], v[4:5]
	v_mul_f64 v[4:5], v[22:23], v[236:237]
	v_fma_f64 v[4:5], v[20:21], v[240:241], -v[4:5]
	v_add_f64 v[0:1], v[0:1], v[4:5]
	v_mul_f64 v[4:5], v[26:27], v[212:213]
	;; [unrolled: 3-line block ×22, first 2 shown]
	v_fma_f64 v[4:5], v[104:105], v[166:167], -v[4:5]
	v_add_f64 v[0:1], v[0:1], v[4:5]
	s_waitcnt vmcnt(6) lgkmcnt(0)
	v_mul_f64 v[112:113], v[196:197], v[172:173]
	v_mul_f64 v[4:5], v[198:199], v[172:173]
	s_waitcnt vmcnt(4)
	v_fmac_f64_e32 v[112:113], v[198:199], v[174:175]
	v_add_f64 v[2:3], v[2:3], v[112:113]
	ds_read_b128 v[112:115], v110 offset:1328
	buffer_load_dword v184, off, s[0:3], 0 offset:16
	buffer_load_dword v185, off, s[0:3], 0 offset:20
	;; [unrolled: 1-line block ×4, first 2 shown]
	v_fma_f64 v[4:5], v[196:197], v[174:175], -v[4:5]
	v_add_f64 v[0:1], v[0:1], v[4:5]
	s_waitcnt vmcnt(6) lgkmcnt(0)
	v_mul_f64 v[4:5], v[114:115], v[178:179]
	v_mul_f64 v[116:117], v[112:113], v[178:179]
	s_waitcnt vmcnt(4)
	v_fma_f64 v[4:5], v[112:113], v[180:181], -v[4:5]
	v_fmac_f64_e32 v[116:117], v[114:115], v[180:181]
	v_add_f64 v[0:1], v[0:1], v[4:5]
	v_add_f64 v[2:3], v[2:3], v[116:117]
	s_waitcnt vmcnt(2)
	v_add_f64 v[0:1], v[184:185], -v[0:1]
	s_waitcnt vmcnt(0)
	v_add_f64 v[2:3], v[182:183], -v[2:3]
	buffer_store_dword v1, off, s[0:3], 0 offset:20
	buffer_store_dword v0, off, s[0:3], 0 offset:16
	;; [unrolled: 1-line block ×4, first 2 shown]
	s_cbranch_vccz .LBB41_349
; %bb.266:
	v_pk_mov_b32 v[0:1], s[10:11], s[10:11] op_sel:[0,1]
	flat_load_dword v0, v[0:1] offset:160
	s_waitcnt vmcnt(0) lgkmcnt(0)
	v_add_u32_e32 v0, -1, v0
	v_cmp_ne_u32_e32 vcc, 40, v0
	s_and_saveexec_b64 s[4:5], vcc
	s_cbranch_execz .LBB41_268
; %bb.267:
	v_mov_b32_e32 v1, 16
	v_accvgpr_read_b32 v9, a85
	v_lshl_add_u32 v0, v0, 4, v1
	buffer_load_dword v1, v9, s[0:3], 0 offen offset:4
	buffer_load_dword v2, v9, s[0:3], 0 offen offset:8
	buffer_load_dword v3, v9, s[0:3], 0 offen offset:12
	buffer_load_dword v4, v0, s[0:3], 0 offen
	buffer_load_dword v5, v0, s[0:3], 0 offen offset:4
	buffer_load_dword v6, v0, s[0:3], 0 offen offset:8
	buffer_load_dword v7, v0, s[0:3], 0 offen offset:12
	buffer_load_dword v8, v9, s[0:3], 0 offen
	s_waitcnt vmcnt(4)
	buffer_store_dword v4, v9, s[0:3], 0 offen
	s_waitcnt vmcnt(4)
	buffer_store_dword v5, v9, s[0:3], 0 offen offset:4
	s_waitcnt vmcnt(4)
	buffer_store_dword v6, v9, s[0:3], 0 offen offset:8
	s_waitcnt vmcnt(4)
	buffer_store_dword v7, v9, s[0:3], 0 offen offset:12
	buffer_store_dword v3, v0, s[0:3], 0 offen offset:12
	buffer_store_dword v2, v0, s[0:3], 0 offen offset:8
	buffer_store_dword v1, v0, s[0:3], 0 offen offset:4
	s_waitcnt vmcnt(7)
	buffer_store_dword v8, v0, s[0:3], 0 offen
.LBB41_268:
	s_or_b64 exec, exec, s[4:5]
	v_pk_mov_b32 v[0:1], s[10:11], s[10:11] op_sel:[0,1]
	flat_load_dword v0, v[0:1] offset:156
	s_waitcnt vmcnt(0) lgkmcnt(0)
	v_add_u32_e32 v0, -1, v0
	v_cmp_ne_u32_e32 vcc, 39, v0
	s_and_saveexec_b64 s[4:5], vcc
	s_cbranch_execz .LBB41_270
; %bb.269:
	v_mov_b32_e32 v1, 16
	v_accvgpr_read_b32 v9, a86
	v_lshl_add_u32 v0, v0, 4, v1
	buffer_load_dword v1, v9, s[0:3], 0 offen offset:4
	buffer_load_dword v2, v9, s[0:3], 0 offen offset:8
	buffer_load_dword v3, v9, s[0:3], 0 offen offset:12
	buffer_load_dword v4, v0, s[0:3], 0 offen
	buffer_load_dword v5, v0, s[0:3], 0 offen offset:4
	buffer_load_dword v6, v0, s[0:3], 0 offen offset:8
	buffer_load_dword v7, v0, s[0:3], 0 offen offset:12
	buffer_load_dword v8, v9, s[0:3], 0 offen
	s_waitcnt vmcnt(4)
	buffer_store_dword v4, v9, s[0:3], 0 offen
	s_waitcnt vmcnt(4)
	buffer_store_dword v5, v9, s[0:3], 0 offen offset:4
	s_waitcnt vmcnt(4)
	buffer_store_dword v6, v9, s[0:3], 0 offen offset:8
	s_waitcnt vmcnt(4)
	buffer_store_dword v7, v9, s[0:3], 0 offen offset:12
	buffer_store_dword v3, v0, s[0:3], 0 offen offset:12
	buffer_store_dword v2, v0, s[0:3], 0 offen offset:8
	buffer_store_dword v1, v0, s[0:3], 0 offen offset:4
	s_waitcnt vmcnt(7)
	buffer_store_dword v8, v0, s[0:3], 0 offen
.LBB41_270:
	s_or_b64 exec, exec, s[4:5]
	;; [unrolled: 34-line block ×40, first 2 shown]
	v_pk_mov_b32 v[0:1], s[10:11], s[10:11] op_sel:[0,1]
	flat_load_dword v0, v[0:1]
	s_waitcnt vmcnt(0) lgkmcnt(0)
	v_add_u32_e32 v0, -1, v0
	v_cmp_ne_u32_e32 vcc, 0, v0
	s_and_saveexec_b64 s[4:5], vcc
	s_cbranch_execz .LBB41_348
; %bb.347:
	v_mov_b32_e32 v1, 16
	v_lshl_add_u32 v0, v0, 4, v1
	buffer_load_dword v1, v0, s[0:3], 0 offen
	buffer_load_dword v2, v0, s[0:3], 0 offen offset:4
	buffer_load_dword v3, v0, s[0:3], 0 offen offset:8
	;; [unrolled: 1-line block ×3, first 2 shown]
	buffer_load_dword v5, off, s[0:3], 0 offset:28
	buffer_load_dword v6, off, s[0:3], 0 offset:24
	;; [unrolled: 1-line block ×4, first 2 shown]
	s_waitcnt vmcnt(7)
	buffer_store_dword v1, off, s[0:3], 0 offset:16
	s_waitcnt vmcnt(7)
	buffer_store_dword v2, off, s[0:3], 0 offset:20
	;; [unrolled: 2-line block ×4, first 2 shown]
	s_waitcnt vmcnt(7)
	buffer_store_dword v5, v0, s[0:3], 0 offen offset:12
	s_waitcnt vmcnt(7)
	buffer_store_dword v6, v0, s[0:3], 0 offen offset:8
	;; [unrolled: 2-line block ×3, first 2 shown]
	s_waitcnt vmcnt(7)
	buffer_store_dword v8, v0, s[0:3], 0 offen
.LBB41_348:
	s_or_b64 exec, exec, s[4:5]
.LBB41_349:
	buffer_load_dword v0, off, s[0:3], 0 offset:16
	buffer_load_dword v1, off, s[0:3], 0 offset:20
	;; [unrolled: 1-line block ×4, first 2 shown]
	v_accvgpr_read_b32 v4, a124
	buffer_load_dword v5, v4, s[0:3], 0 offen offset:4
	buffer_load_dword v6, v4, s[0:3], 0 offen offset:8
	buffer_load_dword v7, v4, s[0:3], 0 offen offset:12
	v_accvgpr_read_b32 v11, a123
	buffer_load_dword v8, v11, s[0:3], 0 offen
	buffer_load_dword v9, v11, s[0:3], 0 offen offset:4
	buffer_load_dword v10, v11, s[0:3], 0 offen offset:8
	s_nop 0
	buffer_load_dword v4, v4, s[0:3], 0 offen
	s_nop 0
	buffer_load_dword v11, v11, s[0:3], 0 offen offset:12
	v_accvgpr_read_b32 v12, a122
	buffer_load_dword v13, v12, s[0:3], 0 offen offset:4
	buffer_load_dword v14, v12, s[0:3], 0 offen offset:8
	buffer_load_dword v15, v12, s[0:3], 0 offen offset:12
	v_accvgpr_read_b32 v19, a121
	buffer_load_dword v16, v19, s[0:3], 0 offen
	buffer_load_dword v17, v19, s[0:3], 0 offen offset:4
	buffer_load_dword v18, v19, s[0:3], 0 offen offset:8
	s_nop 0
	buffer_load_dword v12, v12, s[0:3], 0 offen
	s_nop 0
	buffer_load_dword v19, v19, s[0:3], 0 offen offset:12
	;; [unrolled: 12-line block ×14, first 2 shown]
	v_accvgpr_read_b32 v117, a96
	buffer_load_dword v121, v117, s[0:3], 0 offen offset:4
	buffer_load_dword v122, v117, s[0:3], 0 offen offset:8
	buffer_load_dword v123, v117, s[0:3], 0 offen offset:12
	v_accvgpr_read_b32 v116, a95
	buffer_load_dword v124, v116, s[0:3], 0 offen
	buffer_load_dword v125, v116, s[0:3], 0 offen offset:4
	buffer_load_dword v126, v116, s[0:3], 0 offen offset:8
	buffer_load_dword v120, v117, s[0:3], 0 offen
	buffer_load_dword v127, v116, s[0:3], 0 offen offset:12
	v_accvgpr_read_b32 v117, a94
	buffer_load_dword v129, v117, s[0:3], 0 offen offset:4
	buffer_load_dword v130, v117, s[0:3], 0 offen offset:8
	buffer_load_dword v131, v117, s[0:3], 0 offen offset:12
	v_accvgpr_read_b32 v116, a93
	buffer_load_dword v132, v116, s[0:3], 0 offen
	buffer_load_dword v133, v116, s[0:3], 0 offen offset:4
	buffer_load_dword v134, v116, s[0:3], 0 offen offset:8
	buffer_load_dword v128, v117, s[0:3], 0 offen
	buffer_load_dword v135, v116, s[0:3], 0 offen offset:12
	;; [unrolled: 10-line block ×5, first 2 shown]
	v_accvgpr_read_b32 v117, a86
	v_accvgpr_read_b32 v116, a85
	buffer_load_dword v161, v117, s[0:3], 0 offen offset:4
	buffer_load_dword v162, v117, s[0:3], 0 offen offset:8
	;; [unrolled: 1-line block ×3, first 2 shown]
	buffer_load_dword v164, v116, s[0:3], 0 offen
	buffer_load_dword v165, v116, s[0:3], 0 offen offset:4
	buffer_load_dword v166, v116, s[0:3], 0 offen offset:8
	buffer_load_dword v160, v117, s[0:3], 0 offen
	buffer_load_dword v167, v116, s[0:3], 0 offen offset:12
	v_accvgpr_read_b32 v116, a84
	buffer_load_dword v168, v116, s[0:3], 0 offen
	buffer_load_dword v169, v116, s[0:3], 0 offen offset:4
	buffer_load_dword v170, v116, s[0:3], 0 offen offset:8
	buffer_load_dword v171, v116, s[0:3], 0 offen offset:12
	v_accvgpr_read_b32 v117, a1
	v_accvgpr_read_b32 v116, a0
	s_waitcnt vmcnt(62)
	global_store_dwordx4 v[116:117], v[0:3], off
	s_nop 0
	v_accvgpr_read_b32 v0, a2
	v_accvgpr_read_b32 v1, a3
	global_store_dwordx4 v[0:1], v[4:7], off
	v_accvgpr_read_b32 v0, a4
	v_accvgpr_read_b32 v1, a5
	global_store_dwordx4 v[0:1], v[8:11], off
	;; [unrolled: 3-line block ×24, first 2 shown]
	v_accvgpr_read_b32 v0, a52
	v_accvgpr_read_b32 v1, a53
	s_waitcnt vmcnt(62)
	global_store_dwordx4 v[0:1], v[100:103], off
	v_accvgpr_read_b32 v0, a54
	v_accvgpr_read_b32 v1, a55
	global_store_dwordx4 v[0:1], v[104:107], off
	v_accvgpr_read_b32 v0, a56
	v_accvgpr_read_b32 v1, a57
	;; [unrolled: 3-line block ×7, first 2 shown]
	s_waitcnt vmcnt(62)
	global_store_dwordx4 v[0:1], v[132:135], off
	v_accvgpr_read_b32 v0, a68
	v_accvgpr_read_b32 v1, a69
	s_waitcnt vmcnt(62)
	global_store_dwordx4 v[0:1], v[136:139], off
	v_accvgpr_read_b32 v0, a70
	v_accvgpr_read_b32 v1, a71
	;; [unrolled: 4-line block ×9, first 2 shown]
	s_waitcnt vmcnt(41)
	global_store_dwordx4 v[0:1], v[168:171], off
	s_endpgm
	.section	.rodata,"a",@progbits
	.p2align	6, 0x0
	.amdhsa_kernel _ZN9rocsolver6v33100L18getri_kernel_smallILi42E19rocblas_complex_numIdEPS3_EEvT1_iilPiilS6_bb
		.amdhsa_group_segment_fixed_size 1352
		.amdhsa_private_segment_fixed_size 704
		.amdhsa_kernarg_size 60
		.amdhsa_user_sgpr_count 8
		.amdhsa_user_sgpr_private_segment_buffer 1
		.amdhsa_user_sgpr_dispatch_ptr 0
		.amdhsa_user_sgpr_queue_ptr 0
		.amdhsa_user_sgpr_kernarg_segment_ptr 1
		.amdhsa_user_sgpr_dispatch_id 0
		.amdhsa_user_sgpr_flat_scratch_init 1
		.amdhsa_user_sgpr_kernarg_preload_length 0
		.amdhsa_user_sgpr_kernarg_preload_offset 0
		.amdhsa_user_sgpr_private_segment_size 0
		.amdhsa_uses_dynamic_stack 0
		.amdhsa_system_sgpr_private_segment_wavefront_offset 1
		.amdhsa_system_sgpr_workgroup_id_x 1
		.amdhsa_system_sgpr_workgroup_id_y 0
		.amdhsa_system_sgpr_workgroup_id_z 0
		.amdhsa_system_sgpr_workgroup_info 0
		.amdhsa_system_vgpr_workitem_id 0
		.amdhsa_next_free_vgpr 392
		.amdhsa_next_free_sgpr 23
		.amdhsa_accum_offset 256
		.amdhsa_reserve_vcc 1
		.amdhsa_reserve_flat_scratch 1
		.amdhsa_float_round_mode_32 0
		.amdhsa_float_round_mode_16_64 0
		.amdhsa_float_denorm_mode_32 3
		.amdhsa_float_denorm_mode_16_64 3
		.amdhsa_dx10_clamp 1
		.amdhsa_ieee_mode 1
		.amdhsa_fp16_overflow 0
		.amdhsa_tg_split 0
		.amdhsa_exception_fp_ieee_invalid_op 0
		.amdhsa_exception_fp_denorm_src 0
		.amdhsa_exception_fp_ieee_div_zero 0
		.amdhsa_exception_fp_ieee_overflow 0
		.amdhsa_exception_fp_ieee_underflow 0
		.amdhsa_exception_fp_ieee_inexact 0
		.amdhsa_exception_int_div_zero 0
	.end_amdhsa_kernel
	.section	.text._ZN9rocsolver6v33100L18getri_kernel_smallILi42E19rocblas_complex_numIdEPS3_EEvT1_iilPiilS6_bb,"axG",@progbits,_ZN9rocsolver6v33100L18getri_kernel_smallILi42E19rocblas_complex_numIdEPS3_EEvT1_iilPiilS6_bb,comdat
.Lfunc_end41:
	.size	_ZN9rocsolver6v33100L18getri_kernel_smallILi42E19rocblas_complex_numIdEPS3_EEvT1_iilPiilS6_bb, .Lfunc_end41-_ZN9rocsolver6v33100L18getri_kernel_smallILi42E19rocblas_complex_numIdEPS3_EEvT1_iilPiilS6_bb
                                        ; -- End function
	.section	.AMDGPU.csdata,"",@progbits
; Kernel info:
; codeLenInByte = 115724
; NumSgprs: 29
; NumVgprs: 256
; NumAgprs: 136
; TotalNumVgprs: 392
; ScratchSize: 704
; MemoryBound: 0
; FloatMode: 240
; IeeeMode: 1
; LDSByteSize: 1352 bytes/workgroup (compile time only)
; SGPRBlocks: 3
; VGPRBlocks: 48
; NumSGPRsForWavesPerEU: 29
; NumVGPRsForWavesPerEU: 392
; AccumOffset: 256
; Occupancy: 1
; WaveLimiterHint : 1
; COMPUTE_PGM_RSRC2:SCRATCH_EN: 1
; COMPUTE_PGM_RSRC2:USER_SGPR: 8
; COMPUTE_PGM_RSRC2:TRAP_HANDLER: 0
; COMPUTE_PGM_RSRC2:TGID_X_EN: 1
; COMPUTE_PGM_RSRC2:TGID_Y_EN: 0
; COMPUTE_PGM_RSRC2:TGID_Z_EN: 0
; COMPUTE_PGM_RSRC2:TIDIG_COMP_CNT: 0
; COMPUTE_PGM_RSRC3_GFX90A:ACCUM_OFFSET: 63
; COMPUTE_PGM_RSRC3_GFX90A:TG_SPLIT: 0
	.section	.text._ZN9rocsolver6v33100L18getri_kernel_smallILi43E19rocblas_complex_numIdEPS3_EEvT1_iilPiilS6_bb,"axG",@progbits,_ZN9rocsolver6v33100L18getri_kernel_smallILi43E19rocblas_complex_numIdEPS3_EEvT1_iilPiilS6_bb,comdat
	.globl	_ZN9rocsolver6v33100L18getri_kernel_smallILi43E19rocblas_complex_numIdEPS3_EEvT1_iilPiilS6_bb ; -- Begin function _ZN9rocsolver6v33100L18getri_kernel_smallILi43E19rocblas_complex_numIdEPS3_EEvT1_iilPiilS6_bb
	.p2align	8
	.type	_ZN9rocsolver6v33100L18getri_kernel_smallILi43E19rocblas_complex_numIdEPS3_EEvT1_iilPiilS6_bb,@function
_ZN9rocsolver6v33100L18getri_kernel_smallILi43E19rocblas_complex_numIdEPS3_EEvT1_iilPiilS6_bb: ; @_ZN9rocsolver6v33100L18getri_kernel_smallILi43E19rocblas_complex_numIdEPS3_EEvT1_iilPiilS6_bb
; %bb.0:
	s_add_u32 flat_scratch_lo, s6, s9
	s_addc_u32 flat_scratch_hi, s7, 0
	s_add_u32 s0, s0, s9
	v_mov_b32_e32 v255, v0
	s_addc_u32 s1, s1, 0
	v_cmp_gt_u32_e32 vcc, 43, v255
	s_and_saveexec_b64 s[6:7], vcc
	s_cbranch_execz .LBB42_186
; %bb.1:
	s_load_dword s22, s[4:5], 0x38
	s_load_dwordx4 s[16:19], s[4:5], 0x10
	s_load_dwordx4 s[12:15], s[4:5], 0x28
                                        ; implicit-def: $sgpr10_sgpr11
	s_waitcnt lgkmcnt(0)
	s_bitcmp1_b32 s22, 8
	s_cselect_b64 s[20:21], -1, 0
	s_ashr_i32 s9, s8, 31
	s_bfe_u32 s6, s22, 0x10008
	s_cmp_eq_u32 s6, 0
	s_cbranch_scc1 .LBB42_3
; %bb.2:
	s_load_dword s6, s[4:5], 0x20
	s_mul_i32 s7, s8, s13
	s_mul_hi_u32 s10, s8, s12
	s_mul_i32 s11, s9, s12
	s_add_i32 s10, s10, s7
	s_add_i32 s11, s10, s11
	s_mul_i32 s10, s8, s12
	s_waitcnt lgkmcnt(0)
	s_ashr_i32 s7, s6, 31
	s_lshl_b64 s[10:11], s[10:11], 2
	s_add_u32 s10, s18, s10
	s_addc_u32 s11, s19, s11
	s_lshl_b64 s[6:7], s[6:7], 2
	s_add_u32 s10, s10, s6
	s_addc_u32 s11, s11, s7
.LBB42_3:
	s_load_dwordx4 s[4:7], s[4:5], 0x0
	s_mul_i32 s12, s8, s17
	s_mul_hi_u32 s13, s8, s16
	s_add_i32 s17, s13, s12
	v_lshlrev_b32_e32 v1, 4, v255
	s_waitcnt lgkmcnt(0)
	s_ashr_i32 s13, s6, 31
	s_mov_b32 s12, s6
	s_mul_i32 s6, s9, s16
	s_add_i32 s17, s17, s6
	s_mul_i32 s16, s8, s16
	s_lshl_b64 s[16:17], s[16:17], 4
	s_add_u32 s6, s4, s16
	s_addc_u32 s16, s5, s17
	s_lshl_b64 s[4:5], s[12:13], 4
	s_add_u32 s4, s6, s4
	s_addc_u32 s5, s16, s5
	v_mov_b32_e32 v0, s5
	v_add_co_u32_e32 v6, vcc, s4, v1
	s_ashr_i32 s13, s7, 31
	s_mov_b32 s12, s7
	s_add_i32 s6, s7, s7
	v_addc_co_u32_e32 v7, vcc, 0, v0, vcc
	s_lshl_b64 s[12:13], s[12:13], 4
	v_add_u32_e32 v10, s6, v255
	v_mov_b32_e32 v0, s13
	v_add_co_u32_e32 v8, vcc, s12, v6
	v_accvgpr_write_b32 a0, v6
	v_ashrrev_i32_e32 v11, 31, v10
	global_load_dwordx4 v[2:5], v1, s[4:5]
	v_accvgpr_write_b32 a1, v7
	v_addc_co_u32_e32 v9, vcc, v7, v0, vcc
	v_lshlrev_b64 v[6:7], 4, v[10:11]
	v_add_u32_e32 v10, s7, v10
	v_mov_b32_e32 v0, s5
	v_add_co_u32_e32 v6, vcc, s4, v6
	v_ashrrev_i32_e32 v11, 31, v10
	v_addc_co_u32_e32 v7, vcc, v0, v7, vcc
	v_add_u32_e32 v12, s7, v10
	v_lshlrev_b64 v[10:11], 4, v[10:11]
	v_ashrrev_i32_e32 v13, 31, v12
	v_add_co_u32_e32 v30, vcc, s4, v10
	global_load_dwordx4 v[26:29], v[8:9], off
	v_addc_co_u32_e32 v31, vcc, v0, v11, vcc
	v_lshlrev_b64 v[10:11], 4, v[12:13]
	v_mov_b32_e32 v16, s5
	v_add_co_u32_e32 v10, vcc, s4, v10
	v_addc_co_u32_e32 v11, vcc, v16, v11, vcc
	v_accvgpr_write_b32 a2, v8
	v_accvgpr_write_b32 a4, v6
	;; [unrolled: 1-line block ×5, first 2 shown]
	v_add_u32_e32 v14, s7, v12
	v_accvgpr_write_b32 a20, v10
	global_load_dwordx4 v[10:13], v[10:11], off
	v_ashrrev_i32_e32 v15, 31, v14
	global_load_dwordx4 v[6:9], v[6:7], off
	v_add_u32_e32 v18, s7, v14
	v_lshlrev_b64 v[20:21], 4, v[14:15]
	global_load_dwordx4 v[14:17], v[30:31], off
	v_mov_b32_e32 v23, s5
	v_ashrrev_i32_e32 v19, 31, v18
	v_add_co_u32_e32 v20, vcc, s4, v20
	v_add_u32_e32 v22, s7, v18
	v_addc_co_u32_e32 v21, vcc, v23, v21, vcc
	v_lshlrev_b64 v[18:19], 4, v[18:19]
	v_mov_b32_e32 v24, s5
	v_accvgpr_write_b32 a24, v30
	v_ashrrev_i32_e32 v23, 31, v22
	v_add_co_u32_e32 v18, vcc, s4, v18
	v_accvgpr_write_b32 a25, v31
	v_add_u32_e32 v34, s7, v22
	v_addc_co_u32_e32 v19, vcc, v24, v19, vcc
	v_lshlrev_b64 v[30:31], 4, v[22:23]
	global_load_dwordx4 v[22:25], v[20:21], off
	v_accvgpr_write_b32 a14, v20
	v_accvgpr_write_b32 a16, v18
	;; [unrolled: 1-line block ×4, first 2 shown]
	global_load_dwordx4 v[18:21], v[18:19], off
	v_mov_b32_e32 v32, s5
	v_add_co_u32_e32 v30, vcc, s4, v30
	v_ashrrev_i32_e32 v35, 31, v34
	v_addc_co_u32_e32 v31, vcc, v32, v31, vcc
	s_waitcnt vmcnt(6)
	buffer_store_dword v5, off, s[0:3], 0 offset:28
	buffer_store_dword v4, off, s[0:3], 0 offset:24
	;; [unrolled: 1-line block ×4, first 2 shown]
	s_waitcnt vmcnt(9)
	buffer_store_dword v29, off, s[0:3], 0 offset:44
	buffer_store_dword v28, off, s[0:3], 0 offset:40
	;; [unrolled: 1-line block ×4, first 2 shown]
	s_waitcnt vmcnt(11)
	buffer_store_dword v9, off, s[0:3], 0 offset:60
	v_lshlrev_b64 v[2:3], 4, v[34:35]
	v_add_co_u32_e32 v2, vcc, s4, v2
	global_load_dwordx4 v[26:29], v[30:31], off
	v_addc_co_u32_e32 v3, vcc, v0, v3, vcc
	v_accvgpr_write_b32 a6, v30
	v_accvgpr_write_b32 a9, v3
	;; [unrolled: 1-line block ×4, first 2 shown]
	global_load_dwordx4 v[30:33], v[2:3], off
	v_add_u32_e32 v2, s7, v34
	v_ashrrev_i32_e32 v3, 31, v2
	v_lshlrev_b64 v[4:5], 4, v[2:3]
	v_add_co_u32_e32 v34, vcc, s4, v4
	v_addc_co_u32_e32 v35, vcc, v0, v5, vcc
	v_add_u32_e32 v2, s7, v2
	v_accvgpr_write_b32 a10, v34
	v_ashrrev_i32_e32 v3, 31, v2
	v_accvgpr_write_b32 a11, v35
	global_load_dwordx4 v[34:37], v[34:35], off
	v_lshlrev_b64 v[4:5], 4, v[2:3]
	v_add_co_u32_e32 v4, vcc, s4, v4
	v_addc_co_u32_e32 v5, vcc, v0, v5, vcc
	v_add_u32_e32 v2, s7, v2
	v_accvgpr_write_b32 a13, v5
	global_load_dwordx4 v[38:41], v[4:5], off
	v_ashrrev_i32_e32 v3, 31, v2
	v_accvgpr_write_b32 a12, v4
	v_lshlrev_b64 v[4:5], 4, v[2:3]
	v_add_co_u32_e32 v42, vcc, s4, v4
	v_addc_co_u32_e32 v43, vcc, v0, v5, vcc
	v_add_u32_e32 v2, s7, v2
	v_accvgpr_write_b32 a18, v42
	v_ashrrev_i32_e32 v3, 31, v2
	v_accvgpr_write_b32 a19, v43
	global_load_dwordx4 v[42:45], v[42:43], off
	v_lshlrev_b64 v[4:5], 4, v[2:3]
	v_add_co_u32_e32 v4, vcc, s4, v4
	v_addc_co_u32_e32 v5, vcc, v0, v5, vcc
	global_load_dwordx4 v[46:49], v[4:5], off
	v_add_u32_e32 v2, s7, v2
	v_accvgpr_write_b32 a23, v5
	v_ashrrev_i32_e32 v3, 31, v2
	v_accvgpr_write_b32 a22, v4
	v_lshlrev_b64 v[4:5], 4, v[2:3]
	v_add_co_u32_e32 v50, vcc, s4, v4
	v_addc_co_u32_e32 v51, vcc, v0, v5, vcc
	v_add_u32_e32 v2, s7, v2
	v_accvgpr_write_b32 a26, v50
	v_ashrrev_i32_e32 v3, 31, v2
	v_accvgpr_write_b32 a27, v51
	global_load_dwordx4 v[50:53], v[50:51], off
	v_lshlrev_b64 v[4:5], 4, v[2:3]
	v_add_co_u32_e32 v4, vcc, s4, v4
	v_addc_co_u32_e32 v5, vcc, v0, v5, vcc
	global_load_dwordx4 v[54:57], v[4:5], off
	v_add_u32_e32 v2, s7, v2
	v_accvgpr_write_b32 a29, v5
	;; [unrolled: 16-line block ×5, first 2 shown]
	v_ashrrev_i32_e32 v3, 31, v2
	v_accvgpr_write_b32 a40, v4
	v_lshlrev_b64 v[4:5], 4, v[2:3]
	v_add_co_u32_e32 v4, vcc, s4, v4
	v_add_u32_e32 v86, s7, v2
	v_addc_co_u32_e32 v5, vcc, v0, v5, vcc
	v_ashrrev_i32_e32 v87, 31, v86
	global_load_dwordx4 v[82:85], v[4:5], off
	v_lshlrev_b64 v[2:3], 4, v[86:87]
	v_add_co_u32_e32 v2, vcc, s4, v2
	v_addc_co_u32_e32 v3, vcc, v0, v3, vcc
	v_accvgpr_write_b32 a43, v5
	v_accvgpr_write_b32 a45, v3
	v_accvgpr_write_b32 a42, v4
	v_accvgpr_write_b32 a44, v2
	global_load_dwordx4 v[2:5], v[2:3], off
	s_nop 0
	buffer_store_dword v8, off, s[0:3], 0 offset:56
	buffer_store_dword v7, off, s[0:3], 0 offset:52
	;; [unrolled: 1-line block ×3, first 2 shown]
	s_waitcnt vmcnt(30)
	buffer_store_dword v17, off, s[0:3], 0 offset:76
	buffer_store_dword v16, off, s[0:3], 0 offset:72
	;; [unrolled: 1-line block ×8, first 2 shown]
	s_waitcnt vmcnt(37)
	buffer_store_dword v25, off, s[0:3], 0 offset:108
	buffer_store_dword v24, off, s[0:3], 0 offset:104
	buffer_store_dword v23, off, s[0:3], 0 offset:100
	buffer_store_dword v22, off, s[0:3], 0 offset:96
	s_waitcnt vmcnt(40)
	buffer_store_dword v21, off, s[0:3], 0 offset:124
	buffer_store_dword v20, off, s[0:3], 0 offset:120
	buffer_store_dword v19, off, s[0:3], 0 offset:116
	buffer_store_dword v18, off, s[0:3], 0 offset:112
	;; [unrolled: 5-line block ×13, first 2 shown]
	buffer_store_dword v73, off, s[0:3], 0 offset:316
	buffer_store_dword v72, off, s[0:3], 0 offset:312
	;; [unrolled: 1-line block ×8, first 2 shown]
	s_waitcnt vmcnt(62)
	buffer_store_dword v81, off, s[0:3], 0 offset:348
	buffer_store_dword v80, off, s[0:3], 0 offset:344
	;; [unrolled: 1-line block ×9, first 2 shown]
	v_add_u32_e32 v6, s7, v86
	v_ashrrev_i32_e32 v7, 31, v6
	v_lshlrev_b64 v[8:9], 4, v[6:7]
	v_add_u32_e32 v14, s7, v6
	v_add_co_u32_e32 v8, vcc, s4, v8
	v_ashrrev_i32_e32 v15, 31, v14
	v_addc_co_u32_e32 v9, vcc, v0, v9, vcc
	v_lshlrev_b64 v[6:7], 4, v[14:15]
	v_add_co_u32_e32 v10, vcc, s4, v6
	v_accvgpr_write_b32 a49, v9
	v_addc_co_u32_e32 v11, vcc, v0, v7, vcc
	v_accvgpr_write_b32 a48, v8
	global_load_dwordx4 v[6:9], v[8:9], off
	v_add_u32_e32 v14, s7, v14
	v_accvgpr_write_b32 a51, v11
	v_ashrrev_i32_e32 v15, 31, v14
	v_accvgpr_write_b32 a50, v10
	global_load_dwordx4 v[10:13], v[10:11], off
	v_lshlrev_b64 v[16:17], 4, v[14:15]
	v_add_u32_e32 v22, s7, v14
	v_add_co_u32_e32 v16, vcc, s4, v16
	v_ashrrev_i32_e32 v23, 31, v22
	v_addc_co_u32_e32 v17, vcc, v0, v17, vcc
	v_lshlrev_b64 v[14:15], 4, v[22:23]
	v_add_co_u32_e32 v18, vcc, s4, v14
	v_accvgpr_write_b32 a53, v17
	v_addc_co_u32_e32 v19, vcc, v0, v15, vcc
	v_accvgpr_write_b32 a52, v16
	global_load_dwordx4 v[14:17], v[16:17], off
	v_add_u32_e32 v22, s7, v22
	v_accvgpr_write_b32 a55, v19
	v_ashrrev_i32_e32 v23, 31, v22
	v_accvgpr_write_b32 a54, v18
	global_load_dwordx4 v[18:21], v[18:19], off
	;; [unrolled: 16-line block ×9, first 2 shown]
	v_lshlrev_b64 v[80:81], 4, v[78:79]
	v_add_co_u32_e32 v80, vcc, s4, v80
	v_addc_co_u32_e32 v81, vcc, v0, v81, vcc
	v_add_u32_e32 v78, s7, v78
	v_ashrrev_i32_e32 v79, 31, v78
	v_accvgpr_write_b32 a85, v81
	v_lshlrev_b64 v[82:83], 4, v[78:79]
	v_accvgpr_write_b32 a84, v80
	global_load_dwordx4 v[78:81], v[80:81], off
	v_add_co_u32_e32 v82, vcc, s4, v82
	v_addc_co_u32_e32 v83, vcc, v0, v83, vcc
	v_accvgpr_write_b32 a46, v82
	v_accvgpr_write_b32 a47, v83
	global_load_dwordx4 v[82:85], v[82:83], off
	v_mov_b32_e32 v0, 16
	buffer_store_dword v4, off, s[0:3], 0 offset:376
	buffer_store_dword v3, off, s[0:3], 0 offset:372
	buffer_store_dword v2, off, s[0:3], 0 offset:368
	s_waitcnt vmcnt(22)
	buffer_store_dword v9, off, s[0:3], 0 offset:396
	buffer_store_dword v8, off, s[0:3], 0 offset:392
	buffer_store_dword v7, off, s[0:3], 0 offset:388
	buffer_store_dword v6, off, s[0:3], 0 offset:384
	s_waitcnt vmcnt(25)
	buffer_store_dword v13, off, s[0:3], 0 offset:412
	;; [unrolled: 5-line block ×15, first 2 shown]
	buffer_store_dword v64, off, s[0:3], 0 offset:616
	buffer_store_dword v63, off, s[0:3], 0 offset:612
	;; [unrolled: 1-line block ×11, first 2 shown]
	s_waitcnt vmcnt(62)
	buffer_store_dword v77, off, s[0:3], 0 offset:668
	buffer_store_dword v76, off, s[0:3], 0 offset:664
	;; [unrolled: 1-line block ×12, first 2 shown]
	v_add_u32_e32 v2, 16, v0
	v_accvgpr_write_b32 a127, v2
	v_add_u32_e32 v2, 32, v0
	v_accvgpr_write_b32 a126, v2
	;; [unrolled: 2-line block ×40, first 2 shown]
	v_add_u32_e32 v2, 0x290, v0
	v_add_u32_e32 v0, 0x2a0, v0
	v_accvgpr_write_b32 a87, v2
	v_accvgpr_write_b32 a86, v0
	s_bitcmp0_b32 s22, 0
	s_mov_b64 s[6:7], -1
	s_cbranch_scc1 .LBB42_184
; %bb.4:
	v_cmp_eq_u32_e64 s[4:5], 0, v255
	s_and_saveexec_b64 s[6:7], s[4:5]
	s_cbranch_execz .LBB42_6
; %bb.5:
	v_mov_b32_e32 v0, 0
	ds_write_b32 v0, v0 offset:1376
.LBB42_6:
	s_or_b64 exec, exec, s[6:7]
	v_mov_b32_e32 v0, 16
	v_lshl_add_u32 v12, v255, 4, v0
	s_waitcnt lgkmcnt(0)
	; wave barrier
	s_waitcnt lgkmcnt(0)
	buffer_load_dword v2, v12, s[0:3], 0 offen
	buffer_load_dword v3, v12, s[0:3], 0 offen offset:4
	buffer_load_dword v4, v12, s[0:3], 0 offen offset:8
	;; [unrolled: 1-line block ×3, first 2 shown]
	s_waitcnt vmcnt(2)
	v_cmp_eq_f64_e32 vcc, 0, v[2:3]
	s_waitcnt vmcnt(0)
	v_cmp_eq_f64_e64 s[6:7], 0, v[4:5]
	s_and_b64 s[6:7], vcc, s[6:7]
	s_and_saveexec_b64 s[12:13], s[6:7]
	s_cbranch_execz .LBB42_10
; %bb.7:
	v_mov_b32_e32 v2, 0
	ds_read_b32 v0, v2 offset:1376
	v_add_u32_e32 v3, 1, v255
	s_waitcnt lgkmcnt(0)
	v_readfirstlane_b32 s6, v0
	s_cmp_eq_u32 s6, 0
	s_cselect_b64 s[16:17], -1, 0
	v_cmp_gt_i32_e32 vcc, s6, v3
	s_or_b64 s[16:17], s[16:17], vcc
	s_and_b64 exec, exec, s[16:17]
	s_cbranch_execz .LBB42_10
; %bb.8:
	s_mov_b64 s[16:17], 0
	v_mov_b32_e32 v4, s6
.LBB42_9:                               ; =>This Inner Loop Header: Depth=1
	ds_cmpst_rtn_b32 v4, v2, v4, v3 offset:1376
	s_waitcnt lgkmcnt(0)
	v_cmp_ne_u32_e32 vcc, 0, v4
	v_cmp_le_i32_e64 s[6:7], v4, v3
	s_and_b64 s[6:7], vcc, s[6:7]
	s_and_b64 s[6:7], exec, s[6:7]
	s_or_b64 s[16:17], s[6:7], s[16:17]
	s_andn2_b64 exec, exec, s[16:17]
	s_cbranch_execnz .LBB42_9
.LBB42_10:
	s_or_b64 exec, exec, s[12:13]
	v_mov_b32_e32 v3, 0
	s_waitcnt lgkmcnt(0)
	; wave barrier
	ds_read_b32 v2, v3 offset:1376
	s_and_saveexec_b64 s[6:7], s[4:5]
	s_cbranch_execz .LBB42_12
; %bb.11:
	s_lshl_b64 s[12:13], s[8:9], 2
	s_add_u32 s12, s14, s12
	s_addc_u32 s13, s15, s13
	s_waitcnt lgkmcnt(0)
	global_store_dword v3, v2, s[12:13]
.LBB42_12:
	s_or_b64 exec, exec, s[6:7]
	s_waitcnt lgkmcnt(0)
	v_cmp_ne_u32_e32 vcc, 0, v2
	s_mov_b64 s[6:7], 0
	s_cbranch_vccnz .LBB42_184
; %bb.13:
	buffer_load_dword v7, v12, s[0:3], 0 offen offset:4
	buffer_load_dword v6, v12, s[0:3], 0 offen
	buffer_load_dword v9, v12, s[0:3], 0 offen offset:12
	buffer_load_dword v8, v12, s[0:3], 0 offen offset:8
                                        ; implicit-def: $vgpr10_vgpr11
	s_waitcnt vmcnt(3)
	v_xor_b32_e32 v0, 0x80000000, v7
	s_waitcnt vmcnt(2)
	v_cmp_gt_f64_e32 vcc, 0, v[6:7]
	s_waitcnt vmcnt(1)
	v_xor_b32_e32 v4, 0x80000000, v9
	v_cndmask_b32_e32 v3, v7, v0, vcc
	s_waitcnt vmcnt(0)
	v_cmp_gt_f64_e32 vcc, 0, v[8:9]
	v_mov_b32_e32 v2, v6
	v_cndmask_b32_e32 v5, v9, v4, vcc
	v_mov_b32_e32 v4, v8
	v_cmp_ngt_f64_e32 vcc, v[2:3], v[4:5]
                                        ; implicit-def: $vgpr4_vgpr5
	s_and_saveexec_b64 s[6:7], vcc
	s_xor_b64 s[6:7], exec, s[6:7]
	s_cbranch_execz .LBB42_15
; %bb.14:
	v_div_scale_f64 v[2:3], s[12:13], v[8:9], v[8:9], v[6:7]
	v_rcp_f64_e32 v[4:5], v[2:3]
	v_div_scale_f64 v[10:11], vcc, v[6:7], v[8:9], v[6:7]
	v_fma_f64 v[14:15], -v[2:3], v[4:5], 1.0
	v_fmac_f64_e32 v[4:5], v[4:5], v[14:15]
	v_fma_f64 v[14:15], -v[2:3], v[4:5], 1.0
	v_fmac_f64_e32 v[4:5], v[4:5], v[14:15]
	v_mul_f64 v[14:15], v[10:11], v[4:5]
	v_fma_f64 v[2:3], -v[2:3], v[14:15], v[10:11]
	v_div_fmas_f64 v[2:3], v[2:3], v[4:5], v[14:15]
	v_div_fixup_f64 v[2:3], v[2:3], v[8:9], v[6:7]
	v_fmac_f64_e32 v[8:9], v[6:7], v[2:3]
	v_div_scale_f64 v[4:5], s[12:13], v[8:9], v[8:9], 1.0
	v_rcp_f64_e32 v[6:7], v[4:5]
	v_fma_f64 v[10:11], -v[4:5], v[6:7], 1.0
	v_fmac_f64_e32 v[6:7], v[6:7], v[10:11]
	v_fma_f64 v[10:11], -v[4:5], v[6:7], 1.0
	v_fmac_f64_e32 v[6:7], v[6:7], v[10:11]
	v_div_scale_f64 v[10:11], vcc, 1.0, v[8:9], 1.0
	v_mul_f64 v[14:15], v[10:11], v[6:7]
	v_fma_f64 v[4:5], -v[4:5], v[14:15], v[10:11]
	s_nop 1
	v_div_fmas_f64 v[4:5], v[4:5], v[6:7], v[14:15]
	v_div_fixup_f64 v[4:5], v[4:5], v[8:9], 1.0
	v_mul_f64 v[10:11], v[2:3], v[4:5]
	v_xor_b32_e32 v5, 0x80000000, v5
	v_xor_b32_e32 v3, 0x80000000, v11
	v_mov_b32_e32 v2, v10
                                        ; implicit-def: $vgpr6_vgpr7
                                        ; implicit-def: $vgpr8_vgpr9
.LBB42_15:
	s_andn2_saveexec_b64 s[6:7], s[6:7]
	s_cbranch_execz .LBB42_17
; %bb.16:
	v_div_scale_f64 v[2:3], s[12:13], v[6:7], v[6:7], v[8:9]
	v_rcp_f64_e32 v[4:5], v[2:3]
	v_div_scale_f64 v[10:11], vcc, v[8:9], v[6:7], v[8:9]
	v_fma_f64 v[14:15], -v[2:3], v[4:5], 1.0
	v_fmac_f64_e32 v[4:5], v[4:5], v[14:15]
	v_fma_f64 v[14:15], -v[2:3], v[4:5], 1.0
	v_fmac_f64_e32 v[4:5], v[4:5], v[14:15]
	v_mul_f64 v[14:15], v[10:11], v[4:5]
	v_fma_f64 v[2:3], -v[2:3], v[14:15], v[10:11]
	v_div_fmas_f64 v[2:3], v[2:3], v[4:5], v[14:15]
	v_div_fixup_f64 v[4:5], v[2:3], v[6:7], v[8:9]
	v_fmac_f64_e32 v[6:7], v[8:9], v[4:5]
	v_div_scale_f64 v[2:3], s[12:13], v[6:7], v[6:7], 1.0
	v_rcp_f64_e32 v[8:9], v[2:3]
	v_fma_f64 v[10:11], -v[2:3], v[8:9], 1.0
	v_fmac_f64_e32 v[8:9], v[8:9], v[10:11]
	v_fma_f64 v[10:11], -v[2:3], v[8:9], 1.0
	v_fmac_f64_e32 v[8:9], v[8:9], v[10:11]
	v_div_scale_f64 v[10:11], vcc, 1.0, v[6:7], 1.0
	v_mul_f64 v[14:15], v[10:11], v[8:9]
	v_fma_f64 v[2:3], -v[2:3], v[14:15], v[10:11]
	s_nop 1
	v_div_fmas_f64 v[2:3], v[2:3], v[8:9], v[14:15]
	v_div_fixup_f64 v[10:11], v[2:3], v[6:7], 1.0
	v_xor_b32_e32 v3, 0x80000000, v11
	v_mov_b32_e32 v2, v10
	v_mul_f64 v[4:5], v[4:5], -v[10:11]
.LBB42_17:
	s_or_b64 exec, exec, s[6:7]
	buffer_store_dword v11, v12, s[0:3], 0 offen offset:4
	buffer_store_dword v10, v12, s[0:3], 0 offen
	buffer_store_dword v5, v12, s[0:3], 0 offen offset:12
	buffer_store_dword v4, v12, s[0:3], 0 offen offset:8
	v_accvgpr_read_b32 v0, a127
	buffer_load_dword v11, v0, s[0:3], 0 offen offset:12
	buffer_load_dword v10, v0, s[0:3], 0 offen offset:8
	;; [unrolled: 1-line block ×3, first 2 shown]
	buffer_load_dword v8, v0, s[0:3], 0 offen
	v_xor_b32_e32 v5, 0x80000000, v5
	v_add_u32_e32 v6, 0x2b0, v1
	ds_write_b128 v1, v[2:5]
	s_waitcnt vmcnt(0)
	ds_write_b128 v1, v[8:11] offset:688
	s_waitcnt lgkmcnt(0)
	; wave barrier
	s_waitcnt lgkmcnt(0)
	s_and_saveexec_b64 s[6:7], s[4:5]
	s_cbranch_execz .LBB42_19
; %bb.18:
	buffer_load_dword v14, v12, s[0:3], 0 offen offset:8
	buffer_load_dword v15, v12, s[0:3], 0 offen offset:12
	buffer_load_dword v16, v12, s[0:3], 0 offen
	buffer_load_dword v17, v12, s[0:3], 0 offen offset:4
	ds_read_b128 v[2:5], v6
	v_mov_b32_e32 v0, 0
	ds_read_b128 v[8:11], v0 offset:16
	s_waitcnt vmcnt(2) lgkmcnt(1)
	v_mul_f64 v[18:19], v[4:5], v[14:15]
	v_mul_f64 v[14:15], v[2:3], v[14:15]
	s_waitcnt vmcnt(0)
	v_fmac_f64_e32 v[14:15], v[4:5], v[16:17]
	v_fma_f64 v[2:3], v[2:3], v[16:17], -v[18:19]
	v_add_f64 v[4:5], v[14:15], 0
	v_add_f64 v[2:3], v[2:3], 0
	s_waitcnt lgkmcnt(0)
	v_mul_f64 v[14:15], v[4:5], v[10:11]
	v_mul_f64 v[10:11], v[2:3], v[10:11]
	v_fma_f64 v[2:3], v[2:3], v[8:9], -v[14:15]
	v_fmac_f64_e32 v[10:11], v[4:5], v[8:9]
	buffer_store_dword v2, off, s[0:3], 0 offset:32
	buffer_store_dword v3, off, s[0:3], 0 offset:36
	;; [unrolled: 1-line block ×4, first 2 shown]
.LBB42_19:
	s_or_b64 exec, exec, s[6:7]
	v_accvgpr_read_b32 v0, a126
	s_waitcnt lgkmcnt(0)
	; wave barrier
	buffer_load_dword v2, v0, s[0:3], 0 offen
	buffer_load_dword v3, v0, s[0:3], 0 offen offset:4
	buffer_load_dword v4, v0, s[0:3], 0 offen offset:8
	;; [unrolled: 1-line block ×3, first 2 shown]
	v_cmp_gt_u32_e32 vcc, 2, v255
	s_waitcnt vmcnt(0)
	ds_write_b128 v6, v[2:5]
	s_waitcnt lgkmcnt(0)
	; wave barrier
	s_waitcnt lgkmcnt(0)
	s_and_saveexec_b64 s[6:7], vcc
	s_cbranch_execz .LBB42_23
; %bb.20:
	buffer_load_dword v8, v12, s[0:3], 0 offen offset:8
	buffer_load_dword v9, v12, s[0:3], 0 offen offset:12
	buffer_load_dword v10, v12, s[0:3], 0 offen
	buffer_load_dword v11, v12, s[0:3], 0 offen offset:4
	ds_read_b128 v[2:5], v6
	s_waitcnt vmcnt(2) lgkmcnt(0)
	v_mul_f64 v[12:13], v[4:5], v[8:9]
	v_mul_f64 v[8:9], v[2:3], v[8:9]
	s_waitcnt vmcnt(0)
	v_fma_f64 v[2:3], v[2:3], v[10:11], -v[12:13]
	v_fmac_f64_e32 v[8:9], v[4:5], v[10:11]
	v_add_f64 v[4:5], v[2:3], 0
	v_add_f64 v[2:3], v[8:9], 0
	s_and_saveexec_b64 s[12:13], s[4:5]
	s_cbranch_execz .LBB42_22
; %bb.21:
	buffer_load_dword v12, off, s[0:3], 0 offset:40
	buffer_load_dword v13, off, s[0:3], 0 offset:44
	;; [unrolled: 1-line block ×4, first 2 shown]
	v_mov_b32_e32 v0, 0
	ds_read_b128 v[8:11], v0 offset:704
	s_waitcnt vmcnt(2) lgkmcnt(0)
	v_mul_f64 v[16:17], v[8:9], v[12:13]
	v_mul_f64 v[12:13], v[10:11], v[12:13]
	s_waitcnt vmcnt(0)
	v_fmac_f64_e32 v[16:17], v[10:11], v[14:15]
	v_fma_f64 v[8:9], v[8:9], v[14:15], -v[12:13]
	v_add_f64 v[2:3], v[2:3], v[16:17]
	v_add_f64 v[4:5], v[4:5], v[8:9]
.LBB42_22:
	s_or_b64 exec, exec, s[12:13]
	v_mov_b32_e32 v0, 0
	ds_read_b128 v[8:11], v0 offset:32
	s_waitcnt lgkmcnt(0)
	v_mul_f64 v[12:13], v[2:3], v[10:11]
	v_mul_f64 v[10:11], v[4:5], v[10:11]
	v_fma_f64 v[4:5], v[4:5], v[8:9], -v[12:13]
	v_fmac_f64_e32 v[10:11], v[2:3], v[8:9]
	buffer_store_dword v5, off, s[0:3], 0 offset:52
	buffer_store_dword v4, off, s[0:3], 0 offset:48
	;; [unrolled: 1-line block ×4, first 2 shown]
.LBB42_23:
	s_or_b64 exec, exec, s[6:7]
	v_accvgpr_read_b32 v0, a125
	s_waitcnt lgkmcnt(0)
	; wave barrier
	buffer_load_dword v2, v0, s[0:3], 0 offen
	buffer_load_dword v3, v0, s[0:3], 0 offen offset:4
	buffer_load_dword v4, v0, s[0:3], 0 offen offset:8
	;; [unrolled: 1-line block ×3, first 2 shown]
	v_cmp_gt_u32_e32 vcc, 3, v255
	v_add_u32_e32 v7, -1, v255
	s_waitcnt vmcnt(0)
	ds_write_b128 v6, v[2:5]
	s_waitcnt lgkmcnt(0)
	; wave barrier
	s_waitcnt lgkmcnt(0)
	s_and_saveexec_b64 s[4:5], vcc
	s_cbranch_execz .LBB42_27
; %bb.24:
	v_pk_mov_b32 v[2:3], 0, 0
	v_add_u32_e32 v8, -1, v255
	v_add_u32_e32 v9, 0x2b0, v1
	v_add_u32_e32 v10, 16, v1
	s_mov_b64 s[6:7], 0
	v_pk_mov_b32 v[4:5], v[2:3], v[2:3] op_sel:[0,1]
.LBB42_25:                              ; =>This Inner Loop Header: Depth=1
	buffer_load_dword v16, v10, s[0:3], 0 offen offset:8
	buffer_load_dword v17, v10, s[0:3], 0 offen offset:12
	buffer_load_dword v18, v10, s[0:3], 0 offen
	buffer_load_dword v19, v10, s[0:3], 0 offen offset:4
	ds_read_b128 v[12:15], v9
	v_add_u32_e32 v8, 1, v8
	v_cmp_lt_u32_e32 vcc, 1, v8
	v_add_u32_e32 v9, 16, v9
	v_add_u32_e32 v10, 16, v10
	s_or_b64 s[6:7], vcc, s[6:7]
	s_waitcnt vmcnt(2) lgkmcnt(0)
	v_mul_f64 v[20:21], v[14:15], v[16:17]
	v_mul_f64 v[16:17], v[12:13], v[16:17]
	s_waitcnt vmcnt(0)
	v_fma_f64 v[12:13], v[12:13], v[18:19], -v[20:21]
	v_fmac_f64_e32 v[16:17], v[14:15], v[18:19]
	v_add_f64 v[4:5], v[4:5], v[12:13]
	v_add_f64 v[2:3], v[2:3], v[16:17]
	s_andn2_b64 exec, exec, s[6:7]
	s_cbranch_execnz .LBB42_25
; %bb.26:
	s_or_b64 exec, exec, s[6:7]
	v_mov_b32_e32 v0, 0
	ds_read_b128 v[8:11], v0 offset:48
	s_waitcnt lgkmcnt(0)
	v_mul_f64 v[12:13], v[2:3], v[10:11]
	v_mul_f64 v[10:11], v[4:5], v[10:11]
	v_fma_f64 v[4:5], v[4:5], v[8:9], -v[12:13]
	v_fmac_f64_e32 v[10:11], v[2:3], v[8:9]
	buffer_store_dword v5, off, s[0:3], 0 offset:68
	buffer_store_dword v4, off, s[0:3], 0 offset:64
	buffer_store_dword v11, off, s[0:3], 0 offset:76
	buffer_store_dword v10, off, s[0:3], 0 offset:72
.LBB42_27:
	s_or_b64 exec, exec, s[4:5]
	v_accvgpr_read_b32 v0, a124
	s_waitcnt lgkmcnt(0)
	; wave barrier
	buffer_load_dword v2, v0, s[0:3], 0 offen
	buffer_load_dword v3, v0, s[0:3], 0 offen offset:4
	buffer_load_dword v4, v0, s[0:3], 0 offen offset:8
	buffer_load_dword v5, v0, s[0:3], 0 offen offset:12
	v_cmp_gt_u32_e32 vcc, 4, v255
	s_waitcnt vmcnt(0)
	ds_write_b128 v6, v[2:5]
	s_waitcnt lgkmcnt(0)
	; wave barrier
	s_waitcnt lgkmcnt(0)
	s_and_saveexec_b64 s[4:5], vcc
	s_cbranch_execz .LBB42_31
; %bb.28:
	v_pk_mov_b32 v[2:3], 0, 0
	v_add_u32_e32 v8, -1, v255
	v_add_u32_e32 v9, 0x2b0, v1
	v_add_u32_e32 v10, 16, v1
	s_mov_b64 s[6:7], 0
	v_pk_mov_b32 v[4:5], v[2:3], v[2:3] op_sel:[0,1]
.LBB42_29:                              ; =>This Inner Loop Header: Depth=1
	buffer_load_dword v16, v10, s[0:3], 0 offen offset:8
	buffer_load_dword v17, v10, s[0:3], 0 offen offset:12
	buffer_load_dword v18, v10, s[0:3], 0 offen
	buffer_load_dword v19, v10, s[0:3], 0 offen offset:4
	ds_read_b128 v[12:15], v9
	v_add_u32_e32 v8, 1, v8
	v_cmp_lt_u32_e32 vcc, 2, v8
	v_add_u32_e32 v9, 16, v9
	v_add_u32_e32 v10, 16, v10
	s_or_b64 s[6:7], vcc, s[6:7]
	s_waitcnt vmcnt(2) lgkmcnt(0)
	v_mul_f64 v[20:21], v[14:15], v[16:17]
	v_mul_f64 v[16:17], v[12:13], v[16:17]
	s_waitcnt vmcnt(0)
	v_fma_f64 v[12:13], v[12:13], v[18:19], -v[20:21]
	v_fmac_f64_e32 v[16:17], v[14:15], v[18:19]
	v_add_f64 v[4:5], v[4:5], v[12:13]
	v_add_f64 v[2:3], v[2:3], v[16:17]
	s_andn2_b64 exec, exec, s[6:7]
	s_cbranch_execnz .LBB42_29
; %bb.30:
	s_or_b64 exec, exec, s[6:7]
	v_mov_b32_e32 v0, 0
	ds_read_b128 v[8:11], v0 offset:64
	s_waitcnt lgkmcnt(0)
	v_mul_f64 v[12:13], v[2:3], v[10:11]
	v_mul_f64 v[10:11], v[4:5], v[10:11]
	v_fma_f64 v[4:5], v[4:5], v[8:9], -v[12:13]
	v_fmac_f64_e32 v[10:11], v[2:3], v[8:9]
	buffer_store_dword v5, off, s[0:3], 0 offset:84
	buffer_store_dword v4, off, s[0:3], 0 offset:80
	buffer_store_dword v11, off, s[0:3], 0 offset:92
	buffer_store_dword v10, off, s[0:3], 0 offset:88
.LBB42_31:
	s_or_b64 exec, exec, s[4:5]
	v_accvgpr_read_b32 v0, a123
	s_waitcnt lgkmcnt(0)
	; wave barrier
	buffer_load_dword v2, v0, s[0:3], 0 offen
	buffer_load_dword v3, v0, s[0:3], 0 offen offset:4
	buffer_load_dword v4, v0, s[0:3], 0 offen offset:8
	buffer_load_dword v5, v0, s[0:3], 0 offen offset:12
	v_cmp_gt_u32_e32 vcc, 5, v255
	s_waitcnt vmcnt(0)
	ds_write_b128 v6, v[2:5]
	s_waitcnt lgkmcnt(0)
	; wave barrier
	s_waitcnt lgkmcnt(0)
	s_and_saveexec_b64 s[4:5], vcc
	s_cbranch_execz .LBB42_35
; %bb.32:
	v_pk_mov_b32 v[2:3], 0, 0
	v_add_u32_e32 v8, -1, v255
	v_add_u32_e32 v9, 0x2b0, v1
	v_add_u32_e32 v10, 16, v1
	s_mov_b64 s[6:7], 0
	v_pk_mov_b32 v[4:5], v[2:3], v[2:3] op_sel:[0,1]
.LBB42_33:                              ; =>This Inner Loop Header: Depth=1
	buffer_load_dword v16, v10, s[0:3], 0 offen offset:8
	buffer_load_dword v17, v10, s[0:3], 0 offen offset:12
	buffer_load_dword v18, v10, s[0:3], 0 offen
	buffer_load_dword v19, v10, s[0:3], 0 offen offset:4
	ds_read_b128 v[12:15], v9
	v_add_u32_e32 v8, 1, v8
	v_cmp_lt_u32_e32 vcc, 3, v8
	v_add_u32_e32 v9, 16, v9
	v_add_u32_e32 v10, 16, v10
	s_or_b64 s[6:7], vcc, s[6:7]
	s_waitcnt vmcnt(2) lgkmcnt(0)
	v_mul_f64 v[20:21], v[14:15], v[16:17]
	v_mul_f64 v[16:17], v[12:13], v[16:17]
	s_waitcnt vmcnt(0)
	v_fma_f64 v[12:13], v[12:13], v[18:19], -v[20:21]
	v_fmac_f64_e32 v[16:17], v[14:15], v[18:19]
	v_add_f64 v[4:5], v[4:5], v[12:13]
	v_add_f64 v[2:3], v[2:3], v[16:17]
	s_andn2_b64 exec, exec, s[6:7]
	s_cbranch_execnz .LBB42_33
; %bb.34:
	s_or_b64 exec, exec, s[6:7]
	v_mov_b32_e32 v0, 0
	ds_read_b128 v[8:11], v0 offset:80
	s_waitcnt lgkmcnt(0)
	v_mul_f64 v[12:13], v[2:3], v[10:11]
	v_mul_f64 v[10:11], v[4:5], v[10:11]
	v_fma_f64 v[4:5], v[4:5], v[8:9], -v[12:13]
	v_fmac_f64_e32 v[10:11], v[2:3], v[8:9]
	buffer_store_dword v5, off, s[0:3], 0 offset:100
	buffer_store_dword v4, off, s[0:3], 0 offset:96
	buffer_store_dword v11, off, s[0:3], 0 offset:108
	buffer_store_dword v10, off, s[0:3], 0 offset:104
.LBB42_35:
	s_or_b64 exec, exec, s[4:5]
	v_accvgpr_read_b32 v0, a122
	s_waitcnt lgkmcnt(0)
	; wave barrier
	buffer_load_dword v2, v0, s[0:3], 0 offen
	buffer_load_dword v3, v0, s[0:3], 0 offen offset:4
	buffer_load_dword v4, v0, s[0:3], 0 offen offset:8
	buffer_load_dword v5, v0, s[0:3], 0 offen offset:12
	v_cmp_gt_u32_e32 vcc, 6, v255
	s_waitcnt vmcnt(0)
	ds_write_b128 v6, v[2:5]
	s_waitcnt lgkmcnt(0)
	; wave barrier
	s_waitcnt lgkmcnt(0)
	s_and_saveexec_b64 s[4:5], vcc
	s_cbranch_execz .LBB42_39
; %bb.36:
	v_pk_mov_b32 v[2:3], 0, 0
	v_add_u32_e32 v8, -1, v255
	v_add_u32_e32 v9, 0x2b0, v1
	v_add_u32_e32 v10, 16, v1
	s_mov_b64 s[6:7], 0
	v_pk_mov_b32 v[4:5], v[2:3], v[2:3] op_sel:[0,1]
.LBB42_37:                              ; =>This Inner Loop Header: Depth=1
	buffer_load_dword v16, v10, s[0:3], 0 offen offset:8
	buffer_load_dword v17, v10, s[0:3], 0 offen offset:12
	buffer_load_dword v18, v10, s[0:3], 0 offen
	buffer_load_dword v19, v10, s[0:3], 0 offen offset:4
	ds_read_b128 v[12:15], v9
	v_add_u32_e32 v8, 1, v8
	v_cmp_lt_u32_e32 vcc, 4, v8
	v_add_u32_e32 v9, 16, v9
	v_add_u32_e32 v10, 16, v10
	s_or_b64 s[6:7], vcc, s[6:7]
	s_waitcnt vmcnt(2) lgkmcnt(0)
	v_mul_f64 v[20:21], v[14:15], v[16:17]
	v_mul_f64 v[16:17], v[12:13], v[16:17]
	s_waitcnt vmcnt(0)
	v_fma_f64 v[12:13], v[12:13], v[18:19], -v[20:21]
	v_fmac_f64_e32 v[16:17], v[14:15], v[18:19]
	v_add_f64 v[4:5], v[4:5], v[12:13]
	v_add_f64 v[2:3], v[2:3], v[16:17]
	s_andn2_b64 exec, exec, s[6:7]
	s_cbranch_execnz .LBB42_37
; %bb.38:
	s_or_b64 exec, exec, s[6:7]
	v_mov_b32_e32 v0, 0
	ds_read_b128 v[8:11], v0 offset:96
	s_waitcnt lgkmcnt(0)
	v_mul_f64 v[12:13], v[2:3], v[10:11]
	v_mul_f64 v[10:11], v[4:5], v[10:11]
	v_fma_f64 v[4:5], v[4:5], v[8:9], -v[12:13]
	v_fmac_f64_e32 v[10:11], v[2:3], v[8:9]
	buffer_store_dword v5, off, s[0:3], 0 offset:116
	buffer_store_dword v4, off, s[0:3], 0 offset:112
	buffer_store_dword v11, off, s[0:3], 0 offset:124
	buffer_store_dword v10, off, s[0:3], 0 offset:120
.LBB42_39:
	s_or_b64 exec, exec, s[4:5]
	v_accvgpr_read_b32 v0, a121
	s_waitcnt lgkmcnt(0)
	; wave barrier
	buffer_load_dword v2, v0, s[0:3], 0 offen
	buffer_load_dword v3, v0, s[0:3], 0 offen offset:4
	buffer_load_dword v4, v0, s[0:3], 0 offen offset:8
	buffer_load_dword v5, v0, s[0:3], 0 offen offset:12
	v_cmp_gt_u32_e32 vcc, 7, v255
	s_waitcnt vmcnt(0)
	ds_write_b128 v6, v[2:5]
	s_waitcnt lgkmcnt(0)
	; wave barrier
	s_waitcnt lgkmcnt(0)
	s_and_saveexec_b64 s[4:5], vcc
	s_cbranch_execz .LBB42_43
; %bb.40:
	v_pk_mov_b32 v[2:3], 0, 0
	v_add_u32_e32 v8, -1, v255
	v_add_u32_e32 v9, 0x2b0, v1
	v_add_u32_e32 v10, 16, v1
	s_mov_b64 s[6:7], 0
	v_pk_mov_b32 v[4:5], v[2:3], v[2:3] op_sel:[0,1]
.LBB42_41:                              ; =>This Inner Loop Header: Depth=1
	buffer_load_dword v16, v10, s[0:3], 0 offen offset:8
	buffer_load_dword v17, v10, s[0:3], 0 offen offset:12
	buffer_load_dword v18, v10, s[0:3], 0 offen
	buffer_load_dword v19, v10, s[0:3], 0 offen offset:4
	ds_read_b128 v[12:15], v9
	v_add_u32_e32 v8, 1, v8
	v_cmp_lt_u32_e32 vcc, 5, v8
	v_add_u32_e32 v9, 16, v9
	v_add_u32_e32 v10, 16, v10
	s_or_b64 s[6:7], vcc, s[6:7]
	s_waitcnt vmcnt(2) lgkmcnt(0)
	v_mul_f64 v[20:21], v[14:15], v[16:17]
	v_mul_f64 v[16:17], v[12:13], v[16:17]
	s_waitcnt vmcnt(0)
	v_fma_f64 v[12:13], v[12:13], v[18:19], -v[20:21]
	v_fmac_f64_e32 v[16:17], v[14:15], v[18:19]
	v_add_f64 v[4:5], v[4:5], v[12:13]
	v_add_f64 v[2:3], v[2:3], v[16:17]
	s_andn2_b64 exec, exec, s[6:7]
	s_cbranch_execnz .LBB42_41
; %bb.42:
	s_or_b64 exec, exec, s[6:7]
	v_mov_b32_e32 v0, 0
	ds_read_b128 v[8:11], v0 offset:112
	s_waitcnt lgkmcnt(0)
	v_mul_f64 v[12:13], v[2:3], v[10:11]
	v_mul_f64 v[10:11], v[4:5], v[10:11]
	v_fma_f64 v[4:5], v[4:5], v[8:9], -v[12:13]
	v_fmac_f64_e32 v[10:11], v[2:3], v[8:9]
	buffer_store_dword v5, off, s[0:3], 0 offset:132
	buffer_store_dword v4, off, s[0:3], 0 offset:128
	buffer_store_dword v11, off, s[0:3], 0 offset:140
	buffer_store_dword v10, off, s[0:3], 0 offset:136
.LBB42_43:
	s_or_b64 exec, exec, s[4:5]
	v_accvgpr_read_b32 v0, a120
	s_waitcnt lgkmcnt(0)
	; wave barrier
	buffer_load_dword v2, v0, s[0:3], 0 offen
	buffer_load_dword v3, v0, s[0:3], 0 offen offset:4
	buffer_load_dword v4, v0, s[0:3], 0 offen offset:8
	buffer_load_dword v5, v0, s[0:3], 0 offen offset:12
	v_cmp_gt_u32_e32 vcc, 8, v255
	s_waitcnt vmcnt(0)
	ds_write_b128 v6, v[2:5]
	s_waitcnt lgkmcnt(0)
	; wave barrier
	s_waitcnt lgkmcnt(0)
	s_and_saveexec_b64 s[4:5], vcc
	s_cbranch_execz .LBB42_47
; %bb.44:
	v_pk_mov_b32 v[2:3], 0, 0
	v_add_u32_e32 v8, -1, v255
	v_add_u32_e32 v9, 0x2b0, v1
	v_add_u32_e32 v10, 16, v1
	s_mov_b64 s[6:7], 0
	v_pk_mov_b32 v[4:5], v[2:3], v[2:3] op_sel:[0,1]
.LBB42_45:                              ; =>This Inner Loop Header: Depth=1
	buffer_load_dword v16, v10, s[0:3], 0 offen offset:8
	buffer_load_dword v17, v10, s[0:3], 0 offen offset:12
	buffer_load_dword v18, v10, s[0:3], 0 offen
	buffer_load_dword v19, v10, s[0:3], 0 offen offset:4
	ds_read_b128 v[12:15], v9
	v_add_u32_e32 v8, 1, v8
	v_cmp_lt_u32_e32 vcc, 6, v8
	v_add_u32_e32 v9, 16, v9
	v_add_u32_e32 v10, 16, v10
	s_or_b64 s[6:7], vcc, s[6:7]
	s_waitcnt vmcnt(2) lgkmcnt(0)
	v_mul_f64 v[20:21], v[14:15], v[16:17]
	v_mul_f64 v[16:17], v[12:13], v[16:17]
	s_waitcnt vmcnt(0)
	v_fma_f64 v[12:13], v[12:13], v[18:19], -v[20:21]
	v_fmac_f64_e32 v[16:17], v[14:15], v[18:19]
	v_add_f64 v[4:5], v[4:5], v[12:13]
	v_add_f64 v[2:3], v[2:3], v[16:17]
	s_andn2_b64 exec, exec, s[6:7]
	s_cbranch_execnz .LBB42_45
; %bb.46:
	s_or_b64 exec, exec, s[6:7]
	v_mov_b32_e32 v0, 0
	ds_read_b128 v[8:11], v0 offset:128
	s_waitcnt lgkmcnt(0)
	v_mul_f64 v[12:13], v[2:3], v[10:11]
	v_mul_f64 v[10:11], v[4:5], v[10:11]
	v_fma_f64 v[4:5], v[4:5], v[8:9], -v[12:13]
	v_fmac_f64_e32 v[10:11], v[2:3], v[8:9]
	buffer_store_dword v5, off, s[0:3], 0 offset:148
	buffer_store_dword v4, off, s[0:3], 0 offset:144
	buffer_store_dword v11, off, s[0:3], 0 offset:156
	buffer_store_dword v10, off, s[0:3], 0 offset:152
.LBB42_47:
	s_or_b64 exec, exec, s[4:5]
	v_accvgpr_read_b32 v0, a119
	s_waitcnt lgkmcnt(0)
	; wave barrier
	buffer_load_dword v2, v0, s[0:3], 0 offen
	buffer_load_dword v3, v0, s[0:3], 0 offen offset:4
	buffer_load_dword v4, v0, s[0:3], 0 offen offset:8
	buffer_load_dword v5, v0, s[0:3], 0 offen offset:12
	v_cmp_gt_u32_e32 vcc, 9, v255
	s_waitcnt vmcnt(0)
	ds_write_b128 v6, v[2:5]
	s_waitcnt lgkmcnt(0)
	; wave barrier
	s_waitcnt lgkmcnt(0)
	s_and_saveexec_b64 s[4:5], vcc
	s_cbranch_execz .LBB42_51
; %bb.48:
	v_pk_mov_b32 v[2:3], 0, 0
	v_add_u32_e32 v8, -1, v255
	v_add_u32_e32 v9, 0x2b0, v1
	v_add_u32_e32 v10, 16, v1
	s_mov_b64 s[6:7], 0
	v_pk_mov_b32 v[4:5], v[2:3], v[2:3] op_sel:[0,1]
.LBB42_49:                              ; =>This Inner Loop Header: Depth=1
	buffer_load_dword v16, v10, s[0:3], 0 offen offset:8
	buffer_load_dword v17, v10, s[0:3], 0 offen offset:12
	buffer_load_dword v18, v10, s[0:3], 0 offen
	buffer_load_dword v19, v10, s[0:3], 0 offen offset:4
	ds_read_b128 v[12:15], v9
	v_add_u32_e32 v8, 1, v8
	v_cmp_lt_u32_e32 vcc, 7, v8
	v_add_u32_e32 v9, 16, v9
	v_add_u32_e32 v10, 16, v10
	s_or_b64 s[6:7], vcc, s[6:7]
	s_waitcnt vmcnt(2) lgkmcnt(0)
	v_mul_f64 v[20:21], v[14:15], v[16:17]
	v_mul_f64 v[16:17], v[12:13], v[16:17]
	s_waitcnt vmcnt(0)
	v_fma_f64 v[12:13], v[12:13], v[18:19], -v[20:21]
	v_fmac_f64_e32 v[16:17], v[14:15], v[18:19]
	v_add_f64 v[4:5], v[4:5], v[12:13]
	v_add_f64 v[2:3], v[2:3], v[16:17]
	s_andn2_b64 exec, exec, s[6:7]
	s_cbranch_execnz .LBB42_49
; %bb.50:
	s_or_b64 exec, exec, s[6:7]
	v_mov_b32_e32 v0, 0
	ds_read_b128 v[8:11], v0 offset:144
	s_waitcnt lgkmcnt(0)
	v_mul_f64 v[12:13], v[2:3], v[10:11]
	v_mul_f64 v[10:11], v[4:5], v[10:11]
	v_fma_f64 v[4:5], v[4:5], v[8:9], -v[12:13]
	v_fmac_f64_e32 v[10:11], v[2:3], v[8:9]
	buffer_store_dword v5, off, s[0:3], 0 offset:164
	buffer_store_dword v4, off, s[0:3], 0 offset:160
	buffer_store_dword v11, off, s[0:3], 0 offset:172
	buffer_store_dword v10, off, s[0:3], 0 offset:168
.LBB42_51:
	s_or_b64 exec, exec, s[4:5]
	v_accvgpr_read_b32 v0, a118
	s_waitcnt lgkmcnt(0)
	; wave barrier
	buffer_load_dword v2, v0, s[0:3], 0 offen
	buffer_load_dword v3, v0, s[0:3], 0 offen offset:4
	buffer_load_dword v4, v0, s[0:3], 0 offen offset:8
	buffer_load_dword v5, v0, s[0:3], 0 offen offset:12
	v_cmp_gt_u32_e32 vcc, 10, v255
	s_waitcnt vmcnt(0)
	ds_write_b128 v6, v[2:5]
	s_waitcnt lgkmcnt(0)
	; wave barrier
	s_waitcnt lgkmcnt(0)
	s_and_saveexec_b64 s[4:5], vcc
	s_cbranch_execz .LBB42_55
; %bb.52:
	v_pk_mov_b32 v[2:3], 0, 0
	v_add_u32_e32 v8, -1, v255
	v_add_u32_e32 v9, 0x2b0, v1
	v_add_u32_e32 v10, 16, v1
	s_mov_b64 s[6:7], 0
	v_pk_mov_b32 v[4:5], v[2:3], v[2:3] op_sel:[0,1]
.LBB42_53:                              ; =>This Inner Loop Header: Depth=1
	buffer_load_dword v16, v10, s[0:3], 0 offen offset:8
	buffer_load_dword v17, v10, s[0:3], 0 offen offset:12
	buffer_load_dword v18, v10, s[0:3], 0 offen
	buffer_load_dword v19, v10, s[0:3], 0 offen offset:4
	ds_read_b128 v[12:15], v9
	v_add_u32_e32 v8, 1, v8
	v_cmp_lt_u32_e32 vcc, 8, v8
	v_add_u32_e32 v9, 16, v9
	v_add_u32_e32 v10, 16, v10
	s_or_b64 s[6:7], vcc, s[6:7]
	s_waitcnt vmcnt(2) lgkmcnt(0)
	v_mul_f64 v[20:21], v[14:15], v[16:17]
	v_mul_f64 v[16:17], v[12:13], v[16:17]
	s_waitcnt vmcnt(0)
	v_fma_f64 v[12:13], v[12:13], v[18:19], -v[20:21]
	v_fmac_f64_e32 v[16:17], v[14:15], v[18:19]
	v_add_f64 v[4:5], v[4:5], v[12:13]
	v_add_f64 v[2:3], v[2:3], v[16:17]
	s_andn2_b64 exec, exec, s[6:7]
	s_cbranch_execnz .LBB42_53
; %bb.54:
	s_or_b64 exec, exec, s[6:7]
	v_mov_b32_e32 v0, 0
	ds_read_b128 v[8:11], v0 offset:160
	s_waitcnt lgkmcnt(0)
	v_mul_f64 v[12:13], v[2:3], v[10:11]
	v_mul_f64 v[10:11], v[4:5], v[10:11]
	v_fma_f64 v[4:5], v[4:5], v[8:9], -v[12:13]
	v_fmac_f64_e32 v[10:11], v[2:3], v[8:9]
	buffer_store_dword v5, off, s[0:3], 0 offset:180
	buffer_store_dword v4, off, s[0:3], 0 offset:176
	buffer_store_dword v11, off, s[0:3], 0 offset:188
	buffer_store_dword v10, off, s[0:3], 0 offset:184
.LBB42_55:
	s_or_b64 exec, exec, s[4:5]
	v_accvgpr_read_b32 v0, a117
	s_waitcnt lgkmcnt(0)
	; wave barrier
	buffer_load_dword v2, v0, s[0:3], 0 offen
	buffer_load_dword v3, v0, s[0:3], 0 offen offset:4
	buffer_load_dword v4, v0, s[0:3], 0 offen offset:8
	buffer_load_dword v5, v0, s[0:3], 0 offen offset:12
	v_cmp_gt_u32_e32 vcc, 11, v255
	s_waitcnt vmcnt(0)
	ds_write_b128 v6, v[2:5]
	s_waitcnt lgkmcnt(0)
	; wave barrier
	s_waitcnt lgkmcnt(0)
	s_and_saveexec_b64 s[4:5], vcc
	s_cbranch_execz .LBB42_59
; %bb.56:
	v_pk_mov_b32 v[2:3], 0, 0
	v_add_u32_e32 v8, -1, v255
	v_add_u32_e32 v9, 0x2b0, v1
	v_add_u32_e32 v10, 16, v1
	s_mov_b64 s[6:7], 0
	v_pk_mov_b32 v[4:5], v[2:3], v[2:3] op_sel:[0,1]
.LBB42_57:                              ; =>This Inner Loop Header: Depth=1
	buffer_load_dword v16, v10, s[0:3], 0 offen offset:8
	buffer_load_dword v17, v10, s[0:3], 0 offen offset:12
	buffer_load_dword v18, v10, s[0:3], 0 offen
	buffer_load_dword v19, v10, s[0:3], 0 offen offset:4
	ds_read_b128 v[12:15], v9
	v_add_u32_e32 v8, 1, v8
	v_cmp_lt_u32_e32 vcc, 9, v8
	v_add_u32_e32 v9, 16, v9
	v_add_u32_e32 v10, 16, v10
	s_or_b64 s[6:7], vcc, s[6:7]
	s_waitcnt vmcnt(2) lgkmcnt(0)
	v_mul_f64 v[20:21], v[14:15], v[16:17]
	v_mul_f64 v[16:17], v[12:13], v[16:17]
	s_waitcnt vmcnt(0)
	v_fma_f64 v[12:13], v[12:13], v[18:19], -v[20:21]
	v_fmac_f64_e32 v[16:17], v[14:15], v[18:19]
	v_add_f64 v[4:5], v[4:5], v[12:13]
	v_add_f64 v[2:3], v[2:3], v[16:17]
	s_andn2_b64 exec, exec, s[6:7]
	s_cbranch_execnz .LBB42_57
; %bb.58:
	s_or_b64 exec, exec, s[6:7]
	v_mov_b32_e32 v0, 0
	ds_read_b128 v[8:11], v0 offset:176
	s_waitcnt lgkmcnt(0)
	v_mul_f64 v[12:13], v[2:3], v[10:11]
	v_mul_f64 v[10:11], v[4:5], v[10:11]
	v_fma_f64 v[4:5], v[4:5], v[8:9], -v[12:13]
	v_fmac_f64_e32 v[10:11], v[2:3], v[8:9]
	buffer_store_dword v5, off, s[0:3], 0 offset:196
	buffer_store_dword v4, off, s[0:3], 0 offset:192
	buffer_store_dword v11, off, s[0:3], 0 offset:204
	buffer_store_dword v10, off, s[0:3], 0 offset:200
.LBB42_59:
	s_or_b64 exec, exec, s[4:5]
	v_accvgpr_read_b32 v0, a116
	s_waitcnt lgkmcnt(0)
	; wave barrier
	buffer_load_dword v2, v0, s[0:3], 0 offen
	buffer_load_dword v3, v0, s[0:3], 0 offen offset:4
	buffer_load_dword v4, v0, s[0:3], 0 offen offset:8
	buffer_load_dword v5, v0, s[0:3], 0 offen offset:12
	v_cmp_gt_u32_e32 vcc, 12, v255
	s_waitcnt vmcnt(0)
	ds_write_b128 v6, v[2:5]
	s_waitcnt lgkmcnt(0)
	; wave barrier
	s_waitcnt lgkmcnt(0)
	s_and_saveexec_b64 s[4:5], vcc
	s_cbranch_execz .LBB42_63
; %bb.60:
	v_pk_mov_b32 v[2:3], 0, 0
	v_add_u32_e32 v8, -1, v255
	v_add_u32_e32 v9, 0x2b0, v1
	v_add_u32_e32 v10, 16, v1
	s_mov_b64 s[6:7], 0
	v_pk_mov_b32 v[4:5], v[2:3], v[2:3] op_sel:[0,1]
.LBB42_61:                              ; =>This Inner Loop Header: Depth=1
	buffer_load_dword v16, v10, s[0:3], 0 offen offset:8
	buffer_load_dword v17, v10, s[0:3], 0 offen offset:12
	buffer_load_dword v18, v10, s[0:3], 0 offen
	buffer_load_dword v19, v10, s[0:3], 0 offen offset:4
	ds_read_b128 v[12:15], v9
	v_add_u32_e32 v8, 1, v8
	v_cmp_lt_u32_e32 vcc, 10, v8
	v_add_u32_e32 v9, 16, v9
	v_add_u32_e32 v10, 16, v10
	s_or_b64 s[6:7], vcc, s[6:7]
	s_waitcnt vmcnt(2) lgkmcnt(0)
	v_mul_f64 v[20:21], v[14:15], v[16:17]
	v_mul_f64 v[16:17], v[12:13], v[16:17]
	s_waitcnt vmcnt(0)
	v_fma_f64 v[12:13], v[12:13], v[18:19], -v[20:21]
	v_fmac_f64_e32 v[16:17], v[14:15], v[18:19]
	v_add_f64 v[4:5], v[4:5], v[12:13]
	v_add_f64 v[2:3], v[2:3], v[16:17]
	s_andn2_b64 exec, exec, s[6:7]
	s_cbranch_execnz .LBB42_61
; %bb.62:
	s_or_b64 exec, exec, s[6:7]
	v_mov_b32_e32 v0, 0
	ds_read_b128 v[8:11], v0 offset:192
	s_waitcnt lgkmcnt(0)
	v_mul_f64 v[12:13], v[2:3], v[10:11]
	v_mul_f64 v[10:11], v[4:5], v[10:11]
	v_fma_f64 v[4:5], v[4:5], v[8:9], -v[12:13]
	v_fmac_f64_e32 v[10:11], v[2:3], v[8:9]
	buffer_store_dword v5, off, s[0:3], 0 offset:212
	buffer_store_dword v4, off, s[0:3], 0 offset:208
	buffer_store_dword v11, off, s[0:3], 0 offset:220
	buffer_store_dword v10, off, s[0:3], 0 offset:216
.LBB42_63:
	s_or_b64 exec, exec, s[4:5]
	v_accvgpr_read_b32 v0, a115
	s_waitcnt lgkmcnt(0)
	; wave barrier
	buffer_load_dword v2, v0, s[0:3], 0 offen
	buffer_load_dword v3, v0, s[0:3], 0 offen offset:4
	buffer_load_dword v4, v0, s[0:3], 0 offen offset:8
	buffer_load_dword v5, v0, s[0:3], 0 offen offset:12
	v_cmp_gt_u32_e32 vcc, 13, v255
	s_waitcnt vmcnt(0)
	ds_write_b128 v6, v[2:5]
	s_waitcnt lgkmcnt(0)
	; wave barrier
	s_waitcnt lgkmcnt(0)
	s_and_saveexec_b64 s[4:5], vcc
	s_cbranch_execz .LBB42_67
; %bb.64:
	v_pk_mov_b32 v[2:3], 0, 0
	v_add_u32_e32 v8, -1, v255
	v_add_u32_e32 v9, 0x2b0, v1
	v_add_u32_e32 v10, 16, v1
	s_mov_b64 s[6:7], 0
	v_pk_mov_b32 v[4:5], v[2:3], v[2:3] op_sel:[0,1]
.LBB42_65:                              ; =>This Inner Loop Header: Depth=1
	buffer_load_dword v16, v10, s[0:3], 0 offen offset:8
	buffer_load_dword v17, v10, s[0:3], 0 offen offset:12
	buffer_load_dword v18, v10, s[0:3], 0 offen
	buffer_load_dword v19, v10, s[0:3], 0 offen offset:4
	ds_read_b128 v[12:15], v9
	v_add_u32_e32 v8, 1, v8
	v_cmp_lt_u32_e32 vcc, 11, v8
	v_add_u32_e32 v9, 16, v9
	v_add_u32_e32 v10, 16, v10
	s_or_b64 s[6:7], vcc, s[6:7]
	s_waitcnt vmcnt(2) lgkmcnt(0)
	v_mul_f64 v[20:21], v[14:15], v[16:17]
	v_mul_f64 v[16:17], v[12:13], v[16:17]
	s_waitcnt vmcnt(0)
	v_fma_f64 v[12:13], v[12:13], v[18:19], -v[20:21]
	v_fmac_f64_e32 v[16:17], v[14:15], v[18:19]
	v_add_f64 v[4:5], v[4:5], v[12:13]
	v_add_f64 v[2:3], v[2:3], v[16:17]
	s_andn2_b64 exec, exec, s[6:7]
	s_cbranch_execnz .LBB42_65
; %bb.66:
	s_or_b64 exec, exec, s[6:7]
	v_mov_b32_e32 v0, 0
	ds_read_b128 v[8:11], v0 offset:208
	s_waitcnt lgkmcnt(0)
	v_mul_f64 v[12:13], v[2:3], v[10:11]
	v_mul_f64 v[10:11], v[4:5], v[10:11]
	v_fma_f64 v[4:5], v[4:5], v[8:9], -v[12:13]
	v_fmac_f64_e32 v[10:11], v[2:3], v[8:9]
	buffer_store_dword v5, off, s[0:3], 0 offset:228
	buffer_store_dword v4, off, s[0:3], 0 offset:224
	buffer_store_dword v11, off, s[0:3], 0 offset:236
	buffer_store_dword v10, off, s[0:3], 0 offset:232
.LBB42_67:
	s_or_b64 exec, exec, s[4:5]
	v_accvgpr_read_b32 v0, a114
	s_waitcnt lgkmcnt(0)
	; wave barrier
	buffer_load_dword v2, v0, s[0:3], 0 offen
	buffer_load_dword v3, v0, s[0:3], 0 offen offset:4
	buffer_load_dword v4, v0, s[0:3], 0 offen offset:8
	buffer_load_dword v5, v0, s[0:3], 0 offen offset:12
	v_cmp_gt_u32_e32 vcc, 14, v255
	s_waitcnt vmcnt(0)
	ds_write_b128 v6, v[2:5]
	s_waitcnt lgkmcnt(0)
	; wave barrier
	s_waitcnt lgkmcnt(0)
	s_and_saveexec_b64 s[4:5], vcc
	s_cbranch_execz .LBB42_71
; %bb.68:
	v_pk_mov_b32 v[2:3], 0, 0
	v_add_u32_e32 v8, -1, v255
	v_add_u32_e32 v9, 0x2b0, v1
	v_add_u32_e32 v10, 16, v1
	s_mov_b64 s[6:7], 0
	v_pk_mov_b32 v[4:5], v[2:3], v[2:3] op_sel:[0,1]
.LBB42_69:                              ; =>This Inner Loop Header: Depth=1
	buffer_load_dword v16, v10, s[0:3], 0 offen offset:8
	buffer_load_dword v17, v10, s[0:3], 0 offen offset:12
	buffer_load_dword v18, v10, s[0:3], 0 offen
	buffer_load_dword v19, v10, s[0:3], 0 offen offset:4
	ds_read_b128 v[12:15], v9
	v_add_u32_e32 v8, 1, v8
	v_cmp_lt_u32_e32 vcc, 12, v8
	v_add_u32_e32 v9, 16, v9
	v_add_u32_e32 v10, 16, v10
	s_or_b64 s[6:7], vcc, s[6:7]
	s_waitcnt vmcnt(2) lgkmcnt(0)
	v_mul_f64 v[20:21], v[14:15], v[16:17]
	v_mul_f64 v[16:17], v[12:13], v[16:17]
	s_waitcnt vmcnt(0)
	v_fma_f64 v[12:13], v[12:13], v[18:19], -v[20:21]
	v_fmac_f64_e32 v[16:17], v[14:15], v[18:19]
	v_add_f64 v[4:5], v[4:5], v[12:13]
	v_add_f64 v[2:3], v[2:3], v[16:17]
	s_andn2_b64 exec, exec, s[6:7]
	s_cbranch_execnz .LBB42_69
; %bb.70:
	s_or_b64 exec, exec, s[6:7]
	v_mov_b32_e32 v0, 0
	ds_read_b128 v[8:11], v0 offset:224
	s_waitcnt lgkmcnt(0)
	v_mul_f64 v[12:13], v[2:3], v[10:11]
	v_mul_f64 v[10:11], v[4:5], v[10:11]
	v_fma_f64 v[4:5], v[4:5], v[8:9], -v[12:13]
	v_fmac_f64_e32 v[10:11], v[2:3], v[8:9]
	buffer_store_dword v5, off, s[0:3], 0 offset:244
	buffer_store_dword v4, off, s[0:3], 0 offset:240
	buffer_store_dword v11, off, s[0:3], 0 offset:252
	buffer_store_dword v10, off, s[0:3], 0 offset:248
.LBB42_71:
	s_or_b64 exec, exec, s[4:5]
	v_accvgpr_read_b32 v0, a113
	s_waitcnt lgkmcnt(0)
	; wave barrier
	buffer_load_dword v2, v0, s[0:3], 0 offen
	buffer_load_dword v3, v0, s[0:3], 0 offen offset:4
	buffer_load_dword v4, v0, s[0:3], 0 offen offset:8
	buffer_load_dword v5, v0, s[0:3], 0 offen offset:12
	v_cmp_gt_u32_e32 vcc, 15, v255
	s_waitcnt vmcnt(0)
	ds_write_b128 v6, v[2:5]
	s_waitcnt lgkmcnt(0)
	; wave barrier
	s_waitcnt lgkmcnt(0)
	s_and_saveexec_b64 s[4:5], vcc
	s_cbranch_execz .LBB42_75
; %bb.72:
	v_pk_mov_b32 v[2:3], 0, 0
	v_add_u32_e32 v8, -1, v255
	v_add_u32_e32 v9, 0x2b0, v1
	v_add_u32_e32 v10, 16, v1
	s_mov_b64 s[6:7], 0
	v_pk_mov_b32 v[4:5], v[2:3], v[2:3] op_sel:[0,1]
.LBB42_73:                              ; =>This Inner Loop Header: Depth=1
	buffer_load_dword v16, v10, s[0:3], 0 offen offset:8
	buffer_load_dword v17, v10, s[0:3], 0 offen offset:12
	buffer_load_dword v18, v10, s[0:3], 0 offen
	buffer_load_dword v19, v10, s[0:3], 0 offen offset:4
	ds_read_b128 v[12:15], v9
	v_add_u32_e32 v8, 1, v8
	v_cmp_lt_u32_e32 vcc, 13, v8
	v_add_u32_e32 v9, 16, v9
	v_add_u32_e32 v10, 16, v10
	s_or_b64 s[6:7], vcc, s[6:7]
	s_waitcnt vmcnt(2) lgkmcnt(0)
	v_mul_f64 v[20:21], v[14:15], v[16:17]
	v_mul_f64 v[16:17], v[12:13], v[16:17]
	s_waitcnt vmcnt(0)
	v_fma_f64 v[12:13], v[12:13], v[18:19], -v[20:21]
	v_fmac_f64_e32 v[16:17], v[14:15], v[18:19]
	v_add_f64 v[4:5], v[4:5], v[12:13]
	v_add_f64 v[2:3], v[2:3], v[16:17]
	s_andn2_b64 exec, exec, s[6:7]
	s_cbranch_execnz .LBB42_73
; %bb.74:
	s_or_b64 exec, exec, s[6:7]
	v_mov_b32_e32 v0, 0
	ds_read_b128 v[8:11], v0 offset:240
	s_waitcnt lgkmcnt(0)
	v_mul_f64 v[12:13], v[2:3], v[10:11]
	v_mul_f64 v[10:11], v[4:5], v[10:11]
	v_fma_f64 v[4:5], v[4:5], v[8:9], -v[12:13]
	v_fmac_f64_e32 v[10:11], v[2:3], v[8:9]
	buffer_store_dword v5, off, s[0:3], 0 offset:260
	buffer_store_dword v4, off, s[0:3], 0 offset:256
	buffer_store_dword v11, off, s[0:3], 0 offset:268
	buffer_store_dword v10, off, s[0:3], 0 offset:264
.LBB42_75:
	s_or_b64 exec, exec, s[4:5]
	v_accvgpr_read_b32 v0, a112
	s_waitcnt lgkmcnt(0)
	; wave barrier
	buffer_load_dword v2, v0, s[0:3], 0 offen
	buffer_load_dword v3, v0, s[0:3], 0 offen offset:4
	buffer_load_dword v4, v0, s[0:3], 0 offen offset:8
	buffer_load_dword v5, v0, s[0:3], 0 offen offset:12
	v_cmp_gt_u32_e32 vcc, 16, v255
	s_waitcnt vmcnt(0)
	ds_write_b128 v6, v[2:5]
	s_waitcnt lgkmcnt(0)
	; wave barrier
	s_waitcnt lgkmcnt(0)
	s_and_saveexec_b64 s[4:5], vcc
	s_cbranch_execz .LBB42_79
; %bb.76:
	v_pk_mov_b32 v[2:3], 0, 0
	v_add_u32_e32 v8, -1, v255
	v_add_u32_e32 v9, 0x2b0, v1
	v_add_u32_e32 v10, 16, v1
	s_mov_b64 s[6:7], 0
	v_pk_mov_b32 v[4:5], v[2:3], v[2:3] op_sel:[0,1]
.LBB42_77:                              ; =>This Inner Loop Header: Depth=1
	buffer_load_dword v16, v10, s[0:3], 0 offen offset:8
	buffer_load_dword v17, v10, s[0:3], 0 offen offset:12
	buffer_load_dword v18, v10, s[0:3], 0 offen
	buffer_load_dword v19, v10, s[0:3], 0 offen offset:4
	ds_read_b128 v[12:15], v9
	v_add_u32_e32 v8, 1, v8
	v_cmp_lt_u32_e32 vcc, 14, v8
	v_add_u32_e32 v9, 16, v9
	v_add_u32_e32 v10, 16, v10
	s_or_b64 s[6:7], vcc, s[6:7]
	s_waitcnt vmcnt(2) lgkmcnt(0)
	v_mul_f64 v[20:21], v[14:15], v[16:17]
	v_mul_f64 v[16:17], v[12:13], v[16:17]
	s_waitcnt vmcnt(0)
	v_fma_f64 v[12:13], v[12:13], v[18:19], -v[20:21]
	v_fmac_f64_e32 v[16:17], v[14:15], v[18:19]
	v_add_f64 v[4:5], v[4:5], v[12:13]
	v_add_f64 v[2:3], v[2:3], v[16:17]
	s_andn2_b64 exec, exec, s[6:7]
	s_cbranch_execnz .LBB42_77
; %bb.78:
	s_or_b64 exec, exec, s[6:7]
	v_mov_b32_e32 v0, 0
	ds_read_b128 v[8:11], v0 offset:256
	s_waitcnt lgkmcnt(0)
	v_mul_f64 v[12:13], v[2:3], v[10:11]
	v_mul_f64 v[10:11], v[4:5], v[10:11]
	v_fma_f64 v[4:5], v[4:5], v[8:9], -v[12:13]
	v_fmac_f64_e32 v[10:11], v[2:3], v[8:9]
	buffer_store_dword v5, off, s[0:3], 0 offset:276
	buffer_store_dword v4, off, s[0:3], 0 offset:272
	buffer_store_dword v11, off, s[0:3], 0 offset:284
	buffer_store_dword v10, off, s[0:3], 0 offset:280
.LBB42_79:
	s_or_b64 exec, exec, s[4:5]
	v_accvgpr_read_b32 v0, a111
	s_waitcnt lgkmcnt(0)
	; wave barrier
	buffer_load_dword v2, v0, s[0:3], 0 offen
	buffer_load_dword v3, v0, s[0:3], 0 offen offset:4
	buffer_load_dword v4, v0, s[0:3], 0 offen offset:8
	buffer_load_dword v5, v0, s[0:3], 0 offen offset:12
	v_cmp_gt_u32_e32 vcc, 17, v255
	s_waitcnt vmcnt(0)
	ds_write_b128 v6, v[2:5]
	s_waitcnt lgkmcnt(0)
	; wave barrier
	s_waitcnt lgkmcnt(0)
	s_and_saveexec_b64 s[4:5], vcc
	s_cbranch_execz .LBB42_83
; %bb.80:
	v_pk_mov_b32 v[2:3], 0, 0
	v_add_u32_e32 v8, -1, v255
	v_add_u32_e32 v9, 0x2b0, v1
	v_add_u32_e32 v10, 16, v1
	s_mov_b64 s[6:7], 0
	v_pk_mov_b32 v[4:5], v[2:3], v[2:3] op_sel:[0,1]
.LBB42_81:                              ; =>This Inner Loop Header: Depth=1
	buffer_load_dword v16, v10, s[0:3], 0 offen offset:8
	buffer_load_dword v17, v10, s[0:3], 0 offen offset:12
	buffer_load_dword v18, v10, s[0:3], 0 offen
	buffer_load_dword v19, v10, s[0:3], 0 offen offset:4
	ds_read_b128 v[12:15], v9
	v_add_u32_e32 v8, 1, v8
	v_cmp_lt_u32_e32 vcc, 15, v8
	v_add_u32_e32 v9, 16, v9
	v_add_u32_e32 v10, 16, v10
	s_or_b64 s[6:7], vcc, s[6:7]
	s_waitcnt vmcnt(2) lgkmcnt(0)
	v_mul_f64 v[20:21], v[14:15], v[16:17]
	v_mul_f64 v[16:17], v[12:13], v[16:17]
	s_waitcnt vmcnt(0)
	v_fma_f64 v[12:13], v[12:13], v[18:19], -v[20:21]
	v_fmac_f64_e32 v[16:17], v[14:15], v[18:19]
	v_add_f64 v[4:5], v[4:5], v[12:13]
	v_add_f64 v[2:3], v[2:3], v[16:17]
	s_andn2_b64 exec, exec, s[6:7]
	s_cbranch_execnz .LBB42_81
; %bb.82:
	s_or_b64 exec, exec, s[6:7]
	v_mov_b32_e32 v0, 0
	ds_read_b128 v[8:11], v0 offset:272
	s_waitcnt lgkmcnt(0)
	v_mul_f64 v[12:13], v[2:3], v[10:11]
	v_mul_f64 v[10:11], v[4:5], v[10:11]
	v_fma_f64 v[4:5], v[4:5], v[8:9], -v[12:13]
	v_fmac_f64_e32 v[10:11], v[2:3], v[8:9]
	buffer_store_dword v5, off, s[0:3], 0 offset:292
	buffer_store_dword v4, off, s[0:3], 0 offset:288
	buffer_store_dword v11, off, s[0:3], 0 offset:300
	buffer_store_dword v10, off, s[0:3], 0 offset:296
.LBB42_83:
	s_or_b64 exec, exec, s[4:5]
	v_accvgpr_read_b32 v0, a110
	s_waitcnt lgkmcnt(0)
	; wave barrier
	buffer_load_dword v2, v0, s[0:3], 0 offen
	buffer_load_dword v3, v0, s[0:3], 0 offen offset:4
	buffer_load_dword v4, v0, s[0:3], 0 offen offset:8
	buffer_load_dword v5, v0, s[0:3], 0 offen offset:12
	v_cmp_gt_u32_e32 vcc, 18, v255
	s_waitcnt vmcnt(0)
	ds_write_b128 v6, v[2:5]
	s_waitcnt lgkmcnt(0)
	; wave barrier
	s_waitcnt lgkmcnt(0)
	s_and_saveexec_b64 s[4:5], vcc
	s_cbranch_execz .LBB42_87
; %bb.84:
	v_pk_mov_b32 v[2:3], 0, 0
	v_add_u32_e32 v8, -1, v255
	v_add_u32_e32 v9, 0x2b0, v1
	v_add_u32_e32 v10, 16, v1
	s_mov_b64 s[6:7], 0
	v_pk_mov_b32 v[4:5], v[2:3], v[2:3] op_sel:[0,1]
.LBB42_85:                              ; =>This Inner Loop Header: Depth=1
	buffer_load_dword v16, v10, s[0:3], 0 offen offset:8
	buffer_load_dword v17, v10, s[0:3], 0 offen offset:12
	buffer_load_dword v18, v10, s[0:3], 0 offen
	buffer_load_dword v19, v10, s[0:3], 0 offen offset:4
	ds_read_b128 v[12:15], v9
	v_add_u32_e32 v8, 1, v8
	v_cmp_lt_u32_e32 vcc, 16, v8
	v_add_u32_e32 v9, 16, v9
	v_add_u32_e32 v10, 16, v10
	s_or_b64 s[6:7], vcc, s[6:7]
	s_waitcnt vmcnt(2) lgkmcnt(0)
	v_mul_f64 v[20:21], v[14:15], v[16:17]
	v_mul_f64 v[16:17], v[12:13], v[16:17]
	s_waitcnt vmcnt(0)
	v_fma_f64 v[12:13], v[12:13], v[18:19], -v[20:21]
	v_fmac_f64_e32 v[16:17], v[14:15], v[18:19]
	v_add_f64 v[4:5], v[4:5], v[12:13]
	v_add_f64 v[2:3], v[2:3], v[16:17]
	s_andn2_b64 exec, exec, s[6:7]
	s_cbranch_execnz .LBB42_85
; %bb.86:
	s_or_b64 exec, exec, s[6:7]
	v_mov_b32_e32 v0, 0
	ds_read_b128 v[8:11], v0 offset:288
	s_waitcnt lgkmcnt(0)
	v_mul_f64 v[12:13], v[2:3], v[10:11]
	v_mul_f64 v[10:11], v[4:5], v[10:11]
	v_fma_f64 v[4:5], v[4:5], v[8:9], -v[12:13]
	v_fmac_f64_e32 v[10:11], v[2:3], v[8:9]
	buffer_store_dword v5, off, s[0:3], 0 offset:308
	buffer_store_dword v4, off, s[0:3], 0 offset:304
	buffer_store_dword v11, off, s[0:3], 0 offset:316
	buffer_store_dword v10, off, s[0:3], 0 offset:312
.LBB42_87:
	s_or_b64 exec, exec, s[4:5]
	v_accvgpr_read_b32 v0, a109
	s_waitcnt lgkmcnt(0)
	; wave barrier
	buffer_load_dword v2, v0, s[0:3], 0 offen
	buffer_load_dword v3, v0, s[0:3], 0 offen offset:4
	buffer_load_dword v4, v0, s[0:3], 0 offen offset:8
	buffer_load_dword v5, v0, s[0:3], 0 offen offset:12
	v_cmp_gt_u32_e32 vcc, 19, v255
	s_waitcnt vmcnt(0)
	ds_write_b128 v6, v[2:5]
	s_waitcnt lgkmcnt(0)
	; wave barrier
	s_waitcnt lgkmcnt(0)
	s_and_saveexec_b64 s[4:5], vcc
	s_cbranch_execz .LBB42_91
; %bb.88:
	v_pk_mov_b32 v[2:3], 0, 0
	v_add_u32_e32 v8, -1, v255
	v_add_u32_e32 v9, 0x2b0, v1
	v_add_u32_e32 v10, 16, v1
	s_mov_b64 s[6:7], 0
	v_pk_mov_b32 v[4:5], v[2:3], v[2:3] op_sel:[0,1]
.LBB42_89:                              ; =>This Inner Loop Header: Depth=1
	buffer_load_dword v16, v10, s[0:3], 0 offen offset:8
	buffer_load_dword v17, v10, s[0:3], 0 offen offset:12
	buffer_load_dword v18, v10, s[0:3], 0 offen
	buffer_load_dword v19, v10, s[0:3], 0 offen offset:4
	ds_read_b128 v[12:15], v9
	v_add_u32_e32 v8, 1, v8
	v_cmp_lt_u32_e32 vcc, 17, v8
	v_add_u32_e32 v9, 16, v9
	v_add_u32_e32 v10, 16, v10
	s_or_b64 s[6:7], vcc, s[6:7]
	s_waitcnt vmcnt(2) lgkmcnt(0)
	v_mul_f64 v[20:21], v[14:15], v[16:17]
	v_mul_f64 v[16:17], v[12:13], v[16:17]
	s_waitcnt vmcnt(0)
	v_fma_f64 v[12:13], v[12:13], v[18:19], -v[20:21]
	v_fmac_f64_e32 v[16:17], v[14:15], v[18:19]
	v_add_f64 v[4:5], v[4:5], v[12:13]
	v_add_f64 v[2:3], v[2:3], v[16:17]
	s_andn2_b64 exec, exec, s[6:7]
	s_cbranch_execnz .LBB42_89
; %bb.90:
	s_or_b64 exec, exec, s[6:7]
	v_mov_b32_e32 v0, 0
	ds_read_b128 v[8:11], v0 offset:304
	s_waitcnt lgkmcnt(0)
	v_mul_f64 v[12:13], v[2:3], v[10:11]
	v_mul_f64 v[10:11], v[4:5], v[10:11]
	v_fma_f64 v[4:5], v[4:5], v[8:9], -v[12:13]
	v_fmac_f64_e32 v[10:11], v[2:3], v[8:9]
	buffer_store_dword v5, off, s[0:3], 0 offset:324
	buffer_store_dword v4, off, s[0:3], 0 offset:320
	buffer_store_dword v11, off, s[0:3], 0 offset:332
	buffer_store_dword v10, off, s[0:3], 0 offset:328
.LBB42_91:
	s_or_b64 exec, exec, s[4:5]
	v_accvgpr_read_b32 v0, a108
	s_waitcnt lgkmcnt(0)
	; wave barrier
	buffer_load_dword v2, v0, s[0:3], 0 offen
	buffer_load_dword v3, v0, s[0:3], 0 offen offset:4
	buffer_load_dword v4, v0, s[0:3], 0 offen offset:8
	buffer_load_dword v5, v0, s[0:3], 0 offen offset:12
	v_cmp_gt_u32_e32 vcc, 20, v255
	s_waitcnt vmcnt(0)
	ds_write_b128 v6, v[2:5]
	s_waitcnt lgkmcnt(0)
	; wave barrier
	s_waitcnt lgkmcnt(0)
	s_and_saveexec_b64 s[4:5], vcc
	s_cbranch_execz .LBB42_95
; %bb.92:
	v_pk_mov_b32 v[2:3], 0, 0
	v_add_u32_e32 v8, -1, v255
	v_add_u32_e32 v9, 0x2b0, v1
	v_add_u32_e32 v10, 16, v1
	s_mov_b64 s[6:7], 0
	v_pk_mov_b32 v[4:5], v[2:3], v[2:3] op_sel:[0,1]
.LBB42_93:                              ; =>This Inner Loop Header: Depth=1
	buffer_load_dword v16, v10, s[0:3], 0 offen offset:8
	buffer_load_dword v17, v10, s[0:3], 0 offen offset:12
	buffer_load_dword v18, v10, s[0:3], 0 offen
	buffer_load_dword v19, v10, s[0:3], 0 offen offset:4
	ds_read_b128 v[12:15], v9
	v_add_u32_e32 v8, 1, v8
	v_cmp_lt_u32_e32 vcc, 18, v8
	v_add_u32_e32 v9, 16, v9
	v_add_u32_e32 v10, 16, v10
	s_or_b64 s[6:7], vcc, s[6:7]
	s_waitcnt vmcnt(2) lgkmcnt(0)
	v_mul_f64 v[20:21], v[14:15], v[16:17]
	v_mul_f64 v[16:17], v[12:13], v[16:17]
	s_waitcnt vmcnt(0)
	v_fma_f64 v[12:13], v[12:13], v[18:19], -v[20:21]
	v_fmac_f64_e32 v[16:17], v[14:15], v[18:19]
	v_add_f64 v[4:5], v[4:5], v[12:13]
	v_add_f64 v[2:3], v[2:3], v[16:17]
	s_andn2_b64 exec, exec, s[6:7]
	s_cbranch_execnz .LBB42_93
; %bb.94:
	s_or_b64 exec, exec, s[6:7]
	v_mov_b32_e32 v0, 0
	ds_read_b128 v[8:11], v0 offset:320
	s_waitcnt lgkmcnt(0)
	v_mul_f64 v[12:13], v[2:3], v[10:11]
	v_mul_f64 v[10:11], v[4:5], v[10:11]
	v_fma_f64 v[4:5], v[4:5], v[8:9], -v[12:13]
	v_fmac_f64_e32 v[10:11], v[2:3], v[8:9]
	buffer_store_dword v5, off, s[0:3], 0 offset:340
	buffer_store_dword v4, off, s[0:3], 0 offset:336
	buffer_store_dword v11, off, s[0:3], 0 offset:348
	buffer_store_dword v10, off, s[0:3], 0 offset:344
.LBB42_95:
	s_or_b64 exec, exec, s[4:5]
	v_accvgpr_read_b32 v0, a107
	s_waitcnt lgkmcnt(0)
	; wave barrier
	buffer_load_dword v2, v0, s[0:3], 0 offen
	buffer_load_dword v3, v0, s[0:3], 0 offen offset:4
	buffer_load_dword v4, v0, s[0:3], 0 offen offset:8
	buffer_load_dword v5, v0, s[0:3], 0 offen offset:12
	v_cmp_gt_u32_e32 vcc, 21, v255
	s_waitcnt vmcnt(0)
	ds_write_b128 v6, v[2:5]
	s_waitcnt lgkmcnt(0)
	; wave barrier
	s_waitcnt lgkmcnt(0)
	s_and_saveexec_b64 s[4:5], vcc
	s_cbranch_execz .LBB42_99
; %bb.96:
	v_pk_mov_b32 v[2:3], 0, 0
	v_add_u32_e32 v8, -1, v255
	v_add_u32_e32 v9, 0x2b0, v1
	v_add_u32_e32 v10, 16, v1
	s_mov_b64 s[6:7], 0
	v_pk_mov_b32 v[4:5], v[2:3], v[2:3] op_sel:[0,1]
.LBB42_97:                              ; =>This Inner Loop Header: Depth=1
	buffer_load_dword v16, v10, s[0:3], 0 offen offset:8
	buffer_load_dword v17, v10, s[0:3], 0 offen offset:12
	buffer_load_dword v18, v10, s[0:3], 0 offen
	buffer_load_dword v19, v10, s[0:3], 0 offen offset:4
	ds_read_b128 v[12:15], v9
	v_add_u32_e32 v8, 1, v8
	v_cmp_lt_u32_e32 vcc, 19, v8
	v_add_u32_e32 v9, 16, v9
	v_add_u32_e32 v10, 16, v10
	s_or_b64 s[6:7], vcc, s[6:7]
	s_waitcnt vmcnt(2) lgkmcnt(0)
	v_mul_f64 v[20:21], v[14:15], v[16:17]
	v_mul_f64 v[16:17], v[12:13], v[16:17]
	s_waitcnt vmcnt(0)
	v_fma_f64 v[12:13], v[12:13], v[18:19], -v[20:21]
	v_fmac_f64_e32 v[16:17], v[14:15], v[18:19]
	v_add_f64 v[4:5], v[4:5], v[12:13]
	v_add_f64 v[2:3], v[2:3], v[16:17]
	s_andn2_b64 exec, exec, s[6:7]
	s_cbranch_execnz .LBB42_97
; %bb.98:
	s_or_b64 exec, exec, s[6:7]
	v_mov_b32_e32 v0, 0
	ds_read_b128 v[8:11], v0 offset:336
	s_waitcnt lgkmcnt(0)
	v_mul_f64 v[12:13], v[2:3], v[10:11]
	v_mul_f64 v[10:11], v[4:5], v[10:11]
	v_fma_f64 v[4:5], v[4:5], v[8:9], -v[12:13]
	v_fmac_f64_e32 v[10:11], v[2:3], v[8:9]
	buffer_store_dword v5, off, s[0:3], 0 offset:356
	buffer_store_dword v4, off, s[0:3], 0 offset:352
	buffer_store_dword v11, off, s[0:3], 0 offset:364
	buffer_store_dword v10, off, s[0:3], 0 offset:360
.LBB42_99:
	s_or_b64 exec, exec, s[4:5]
	v_accvgpr_read_b32 v0, a106
	s_waitcnt lgkmcnt(0)
	; wave barrier
	buffer_load_dword v2, v0, s[0:3], 0 offen
	buffer_load_dword v3, v0, s[0:3], 0 offen offset:4
	buffer_load_dword v4, v0, s[0:3], 0 offen offset:8
	buffer_load_dword v5, v0, s[0:3], 0 offen offset:12
	v_cmp_gt_u32_e32 vcc, 22, v255
	s_waitcnt vmcnt(0)
	ds_write_b128 v6, v[2:5]
	s_waitcnt lgkmcnt(0)
	; wave barrier
	s_waitcnt lgkmcnt(0)
	s_and_saveexec_b64 s[4:5], vcc
	s_cbranch_execz .LBB42_103
; %bb.100:
	v_pk_mov_b32 v[2:3], 0, 0
	v_add_u32_e32 v8, -1, v255
	v_add_u32_e32 v9, 0x2b0, v1
	v_add_u32_e32 v10, 16, v1
	s_mov_b64 s[6:7], 0
	v_pk_mov_b32 v[4:5], v[2:3], v[2:3] op_sel:[0,1]
.LBB42_101:                             ; =>This Inner Loop Header: Depth=1
	buffer_load_dword v16, v10, s[0:3], 0 offen offset:8
	buffer_load_dword v17, v10, s[0:3], 0 offen offset:12
	buffer_load_dword v18, v10, s[0:3], 0 offen
	buffer_load_dword v19, v10, s[0:3], 0 offen offset:4
	ds_read_b128 v[12:15], v9
	v_add_u32_e32 v8, 1, v8
	v_cmp_lt_u32_e32 vcc, 20, v8
	v_add_u32_e32 v9, 16, v9
	v_add_u32_e32 v10, 16, v10
	s_or_b64 s[6:7], vcc, s[6:7]
	s_waitcnt vmcnt(2) lgkmcnt(0)
	v_mul_f64 v[20:21], v[14:15], v[16:17]
	v_mul_f64 v[16:17], v[12:13], v[16:17]
	s_waitcnt vmcnt(0)
	v_fma_f64 v[12:13], v[12:13], v[18:19], -v[20:21]
	v_fmac_f64_e32 v[16:17], v[14:15], v[18:19]
	v_add_f64 v[4:5], v[4:5], v[12:13]
	v_add_f64 v[2:3], v[2:3], v[16:17]
	s_andn2_b64 exec, exec, s[6:7]
	s_cbranch_execnz .LBB42_101
; %bb.102:
	s_or_b64 exec, exec, s[6:7]
	v_mov_b32_e32 v0, 0
	ds_read_b128 v[8:11], v0 offset:352
	s_waitcnt lgkmcnt(0)
	v_mul_f64 v[12:13], v[2:3], v[10:11]
	v_mul_f64 v[10:11], v[4:5], v[10:11]
	v_fma_f64 v[4:5], v[4:5], v[8:9], -v[12:13]
	v_fmac_f64_e32 v[10:11], v[2:3], v[8:9]
	buffer_store_dword v5, off, s[0:3], 0 offset:372
	buffer_store_dword v4, off, s[0:3], 0 offset:368
	buffer_store_dword v11, off, s[0:3], 0 offset:380
	buffer_store_dword v10, off, s[0:3], 0 offset:376
.LBB42_103:
	s_or_b64 exec, exec, s[4:5]
	v_accvgpr_read_b32 v0, a105
	s_waitcnt lgkmcnt(0)
	; wave barrier
	buffer_load_dword v2, v0, s[0:3], 0 offen
	buffer_load_dword v3, v0, s[0:3], 0 offen offset:4
	buffer_load_dword v4, v0, s[0:3], 0 offen offset:8
	buffer_load_dword v5, v0, s[0:3], 0 offen offset:12
	v_cmp_gt_u32_e32 vcc, 23, v255
	s_waitcnt vmcnt(0)
	ds_write_b128 v6, v[2:5]
	s_waitcnt lgkmcnt(0)
	; wave barrier
	s_waitcnt lgkmcnt(0)
	s_and_saveexec_b64 s[4:5], vcc
	s_cbranch_execz .LBB42_107
; %bb.104:
	v_pk_mov_b32 v[2:3], 0, 0
	v_add_u32_e32 v8, -1, v255
	v_add_u32_e32 v9, 0x2b0, v1
	v_add_u32_e32 v10, 16, v1
	s_mov_b64 s[6:7], 0
	v_pk_mov_b32 v[4:5], v[2:3], v[2:3] op_sel:[0,1]
.LBB42_105:                             ; =>This Inner Loop Header: Depth=1
	buffer_load_dword v16, v10, s[0:3], 0 offen offset:8
	buffer_load_dword v17, v10, s[0:3], 0 offen offset:12
	buffer_load_dword v18, v10, s[0:3], 0 offen
	buffer_load_dword v19, v10, s[0:3], 0 offen offset:4
	ds_read_b128 v[12:15], v9
	v_add_u32_e32 v8, 1, v8
	v_cmp_lt_u32_e32 vcc, 21, v8
	v_add_u32_e32 v9, 16, v9
	v_add_u32_e32 v10, 16, v10
	s_or_b64 s[6:7], vcc, s[6:7]
	s_waitcnt vmcnt(2) lgkmcnt(0)
	v_mul_f64 v[20:21], v[14:15], v[16:17]
	v_mul_f64 v[16:17], v[12:13], v[16:17]
	s_waitcnt vmcnt(0)
	v_fma_f64 v[12:13], v[12:13], v[18:19], -v[20:21]
	v_fmac_f64_e32 v[16:17], v[14:15], v[18:19]
	v_add_f64 v[4:5], v[4:5], v[12:13]
	v_add_f64 v[2:3], v[2:3], v[16:17]
	s_andn2_b64 exec, exec, s[6:7]
	s_cbranch_execnz .LBB42_105
; %bb.106:
	s_or_b64 exec, exec, s[6:7]
	v_mov_b32_e32 v0, 0
	ds_read_b128 v[8:11], v0 offset:368
	s_waitcnt lgkmcnt(0)
	v_mul_f64 v[12:13], v[2:3], v[10:11]
	v_mul_f64 v[10:11], v[4:5], v[10:11]
	v_fma_f64 v[4:5], v[4:5], v[8:9], -v[12:13]
	v_fmac_f64_e32 v[10:11], v[2:3], v[8:9]
	buffer_store_dword v5, off, s[0:3], 0 offset:388
	buffer_store_dword v4, off, s[0:3], 0 offset:384
	buffer_store_dword v11, off, s[0:3], 0 offset:396
	buffer_store_dword v10, off, s[0:3], 0 offset:392
.LBB42_107:
	s_or_b64 exec, exec, s[4:5]
	v_accvgpr_read_b32 v0, a104
	s_waitcnt lgkmcnt(0)
	; wave barrier
	buffer_load_dword v2, v0, s[0:3], 0 offen
	buffer_load_dword v3, v0, s[0:3], 0 offen offset:4
	buffer_load_dword v4, v0, s[0:3], 0 offen offset:8
	buffer_load_dword v5, v0, s[0:3], 0 offen offset:12
	v_cmp_gt_u32_e32 vcc, 24, v255
	;; [unrolled: 58-line block ×19, first 2 shown]
	s_waitcnt vmcnt(0)
	ds_write_b128 v6, v[2:5]
	s_waitcnt lgkmcnt(0)
	; wave barrier
	s_waitcnt lgkmcnt(0)
	s_and_saveexec_b64 s[4:5], vcc
	s_cbranch_execz .LBB42_179
; %bb.176:
	v_pk_mov_b32 v[2:3], 0, 0
	v_add_u32_e32 v8, -1, v255
	v_add_u32_e32 v9, 0x2b0, v1
	v_add_u32_e32 v10, 16, v1
	s_mov_b64 s[6:7], 0
	v_pk_mov_b32 v[4:5], v[2:3], v[2:3] op_sel:[0,1]
.LBB42_177:                             ; =>This Inner Loop Header: Depth=1
	buffer_load_dword v16, v10, s[0:3], 0 offen offset:8
	buffer_load_dword v17, v10, s[0:3], 0 offen offset:12
	buffer_load_dword v18, v10, s[0:3], 0 offen
	buffer_load_dword v19, v10, s[0:3], 0 offen offset:4
	ds_read_b128 v[12:15], v9
	v_add_u32_e32 v8, 1, v8
	v_cmp_lt_u32_e32 vcc, 39, v8
	v_add_u32_e32 v9, 16, v9
	v_add_u32_e32 v10, 16, v10
	s_or_b64 s[6:7], vcc, s[6:7]
	s_waitcnt vmcnt(2) lgkmcnt(0)
	v_mul_f64 v[20:21], v[14:15], v[16:17]
	v_mul_f64 v[16:17], v[12:13], v[16:17]
	s_waitcnt vmcnt(0)
	v_fma_f64 v[12:13], v[12:13], v[18:19], -v[20:21]
	v_fmac_f64_e32 v[16:17], v[14:15], v[18:19]
	v_add_f64 v[4:5], v[4:5], v[12:13]
	v_add_f64 v[2:3], v[2:3], v[16:17]
	s_andn2_b64 exec, exec, s[6:7]
	s_cbranch_execnz .LBB42_177
; %bb.178:
	s_or_b64 exec, exec, s[6:7]
	v_mov_b32_e32 v0, 0
	ds_read_b128 v[8:11], v0 offset:656
	s_waitcnt lgkmcnt(0)
	v_mul_f64 v[12:13], v[2:3], v[10:11]
	v_mul_f64 v[10:11], v[4:5], v[10:11]
	v_fma_f64 v[4:5], v[4:5], v[8:9], -v[12:13]
	v_fmac_f64_e32 v[10:11], v[2:3], v[8:9]
	buffer_store_dword v5, off, s[0:3], 0 offset:676
	buffer_store_dword v4, off, s[0:3], 0 offset:672
	;; [unrolled: 1-line block ×4, first 2 shown]
.LBB42_179:
	s_or_b64 exec, exec, s[4:5]
	v_accvgpr_read_b32 v0, a86
	s_waitcnt lgkmcnt(0)
	; wave barrier
	buffer_load_dword v2, v0, s[0:3], 0 offen
	buffer_load_dword v3, v0, s[0:3], 0 offen offset:4
	buffer_load_dword v4, v0, s[0:3], 0 offen offset:8
	;; [unrolled: 1-line block ×3, first 2 shown]
	v_cmp_ne_u32_e32 vcc, 42, v255
	s_waitcnt vmcnt(0)
	ds_write_b128 v6, v[2:5]
	s_waitcnt lgkmcnt(0)
	; wave barrier
	s_waitcnt lgkmcnt(0)
	s_and_saveexec_b64 s[4:5], vcc
	s_cbranch_execz .LBB42_183
; %bb.180:
	v_pk_mov_b32 v[2:3], 0, 0
	v_add_u32_e32 v6, 0x2b0, v1
	v_add_u32_e32 v1, 16, v1
	s_mov_b64 s[6:7], 0
	v_pk_mov_b32 v[4:5], v[2:3], v[2:3] op_sel:[0,1]
.LBB42_181:                             ; =>This Inner Loop Header: Depth=1
	buffer_load_dword v12, v1, s[0:3], 0 offen offset:8
	buffer_load_dword v13, v1, s[0:3], 0 offen offset:12
	buffer_load_dword v14, v1, s[0:3], 0 offen
	buffer_load_dword v15, v1, s[0:3], 0 offen offset:4
	ds_read_b128 v[8:11], v6
	v_add_u32_e32 v7, 1, v7
	v_cmp_lt_u32_e32 vcc, 40, v7
	v_add_u32_e32 v6, 16, v6
	v_add_u32_e32 v1, 16, v1
	s_or_b64 s[6:7], vcc, s[6:7]
	s_waitcnt vmcnt(2) lgkmcnt(0)
	v_mul_f64 v[16:17], v[10:11], v[12:13]
	v_mul_f64 v[12:13], v[8:9], v[12:13]
	s_waitcnt vmcnt(0)
	v_fma_f64 v[8:9], v[8:9], v[14:15], -v[16:17]
	v_fmac_f64_e32 v[12:13], v[10:11], v[14:15]
	v_add_f64 v[4:5], v[4:5], v[8:9]
	v_add_f64 v[2:3], v[2:3], v[12:13]
	s_andn2_b64 exec, exec, s[6:7]
	s_cbranch_execnz .LBB42_181
; %bb.182:
	s_or_b64 exec, exec, s[6:7]
	v_mov_b32_e32 v0, 0
	ds_read_b128 v[6:9], v0 offset:672
	s_waitcnt lgkmcnt(0)
	v_mul_f64 v[10:11], v[2:3], v[8:9]
	v_mul_f64 v[8:9], v[4:5], v[8:9]
	v_fma_f64 v[4:5], v[4:5], v[6:7], -v[10:11]
	v_fmac_f64_e32 v[8:9], v[2:3], v[6:7]
	buffer_store_dword v5, off, s[0:3], 0 offset:692
	buffer_store_dword v4, off, s[0:3], 0 offset:688
	;; [unrolled: 1-line block ×4, first 2 shown]
.LBB42_183:
	s_or_b64 exec, exec, s[4:5]
	s_mov_b64 s[6:7], -1
	s_waitcnt lgkmcnt(0)
	; wave barrier
.LBB42_184:
	s_and_b64 vcc, exec, s[6:7]
	s_cbranch_vccz .LBB42_186
; %bb.185:
	s_lshl_b64 s[4:5], s[8:9], 2
	s_add_u32 s4, s14, s4
	s_addc_u32 s5, s15, s5
	v_mov_b32_e32 v0, 0
	global_load_dword v0, v0, s[4:5]
	s_waitcnt vmcnt(0)
	v_cmp_ne_u32_e32 vcc, 0, v0
	s_cbranch_vccz .LBB42_187
.LBB42_186:
	s_endpgm
.LBB42_187:
	v_mov_b32_e32 v0, 0x2b0
	v_lshl_add_u32 v0, v255, 4, v0
	v_accvgpr_write_b32 a129, v0
	v_cmp_eq_u32_e32 vcc, 42, v255
	s_and_saveexec_b64 s[4:5], vcc
	s_cbranch_execz .LBB42_189
; %bb.188:
	v_accvgpr_read_b32 v0, a87
	buffer_load_dword v2, v0, s[0:3], 0 offen
	buffer_load_dword v3, v0, s[0:3], 0 offen offset:4
	buffer_load_dword v4, v0, s[0:3], 0 offen offset:8
	;; [unrolled: 1-line block ×3, first 2 shown]
	v_mov_b32_e32 v0, 0
	v_accvgpr_read_b32 v1, a129
	buffer_store_dword v0, off, s[0:3], 0 offset:672
	buffer_store_dword v0, off, s[0:3], 0 offset:676
	;; [unrolled: 1-line block ×4, first 2 shown]
	s_waitcnt vmcnt(4)
	ds_write_b128 v1, v[2:5]
.LBB42_189:
	s_or_b64 exec, exec, s[4:5]
	s_waitcnt lgkmcnt(0)
	; wave barrier
	s_waitcnt lgkmcnt(0)
	buffer_load_dword v8, off, s[0:3], 0 offset:696
	buffer_load_dword v9, off, s[0:3], 0 offset:700
	;; [unrolled: 1-line block ×8, first 2 shown]
	v_mov_b32_e32 v2, 0
	ds_read_b128 v[4:7], v2 offset:1360
	v_cmp_lt_u32_e32 vcc, 40, v255
	s_waitcnt vmcnt(6) lgkmcnt(0)
	v_mul_f64 v[16:17], v[4:5], v[8:9]
	v_mul_f64 v[8:9], v[6:7], v[8:9]
	s_waitcnt vmcnt(4)
	v_fma_f64 v[4:5], v[4:5], v[10:11], -v[8:9]
	v_fmac_f64_e32 v[16:17], v[6:7], v[10:11]
	v_add_f64 v[4:5], v[4:5], 0
	v_add_f64 v[6:7], v[16:17], 0
	s_waitcnt vmcnt(2)
	v_add_f64 v[4:5], v[12:13], -v[4:5]
	s_waitcnt vmcnt(0)
	v_add_f64 v[6:7], v[14:15], -v[6:7]
	buffer_store_dword v4, off, s[0:3], 0 offset:672
	buffer_store_dword v5, off, s[0:3], 0 offset:676
	;; [unrolled: 1-line block ×4, first 2 shown]
	s_and_saveexec_b64 s[4:5], vcc
	s_cbranch_execz .LBB42_191
; %bb.190:
	v_accvgpr_read_b32 v0, a88
	buffer_load_dword v4, v0, s[0:3], 0 offen
	buffer_load_dword v5, v0, s[0:3], 0 offen offset:4
	buffer_load_dword v6, v0, s[0:3], 0 offen offset:8
	buffer_load_dword v7, v0, s[0:3], 0 offen offset:12
	v_accvgpr_read_b32 v0, a129
	buffer_store_dword v2, off, s[0:3], 0 offset:656
	buffer_store_dword v2, off, s[0:3], 0 offset:660
	buffer_store_dword v2, off, s[0:3], 0 offset:664
	buffer_store_dword v2, off, s[0:3], 0 offset:668
	s_waitcnt vmcnt(4)
	ds_write_b128 v0, v[4:7]
.LBB42_191:
	s_or_b64 exec, exec, s[4:5]
	s_waitcnt lgkmcnt(0)
	; wave barrier
	s_waitcnt lgkmcnt(0)
	buffer_load_dword v12, off, s[0:3], 0 offset:680
	buffer_load_dword v13, off, s[0:3], 0 offset:684
	;; [unrolled: 1-line block ×12, first 2 shown]
	ds_read_b128 v[4:7], v2 offset:1344
	ds_read_b128 v[8:11], v2 offset:1360
	v_cmp_lt_u32_e32 vcc, 39, v255
	s_waitcnt vmcnt(10) lgkmcnt(1)
	v_mul_f64 v[2:3], v[4:5], v[12:13]
	v_mul_f64 v[12:13], v[6:7], v[12:13]
	s_waitcnt vmcnt(8) lgkmcnt(0)
	v_mul_f64 v[24:25], v[8:9], v[14:15]
	v_mul_f64 v[14:15], v[10:11], v[14:15]
	s_waitcnt vmcnt(6)
	v_fma_f64 v[4:5], v[4:5], v[16:17], -v[12:13]
	v_fmac_f64_e32 v[2:3], v[6:7], v[16:17]
	s_waitcnt vmcnt(4)
	v_fma_f64 v[6:7], v[8:9], v[18:19], -v[14:15]
	v_add_f64 v[4:5], v[4:5], 0
	v_fmac_f64_e32 v[24:25], v[10:11], v[18:19]
	v_add_f64 v[2:3], v[2:3], 0
	v_add_f64 v[4:5], v[4:5], v[6:7]
	;; [unrolled: 1-line block ×3, first 2 shown]
	s_waitcnt vmcnt(2)
	v_add_f64 v[4:5], v[20:21], -v[4:5]
	s_waitcnt vmcnt(0)
	v_add_f64 v[2:3], v[22:23], -v[2:3]
	buffer_store_dword v4, off, s[0:3], 0 offset:656
	buffer_store_dword v5, off, s[0:3], 0 offset:660
	buffer_store_dword v2, off, s[0:3], 0 offset:664
	buffer_store_dword v3, off, s[0:3], 0 offset:668
	s_and_saveexec_b64 s[4:5], vcc
	s_cbranch_execz .LBB42_193
; %bb.192:
	v_accvgpr_read_b32 v0, a89
	buffer_load_dword v2, v0, s[0:3], 0 offen
	buffer_load_dword v3, v0, s[0:3], 0 offen offset:4
	buffer_load_dword v4, v0, s[0:3], 0 offen offset:8
	;; [unrolled: 1-line block ×3, first 2 shown]
	v_mov_b32_e32 v0, 0
	v_accvgpr_read_b32 v1, a129
	buffer_store_dword v0, off, s[0:3], 0 offset:640
	buffer_store_dword v0, off, s[0:3], 0 offset:644
	;; [unrolled: 1-line block ×4, first 2 shown]
	s_waitcnt vmcnt(4)
	ds_write_b128 v1, v[2:5]
.LBB42_193:
	s_or_b64 exec, exec, s[4:5]
	s_waitcnt lgkmcnt(0)
	; wave barrier
	s_waitcnt lgkmcnt(0)
	buffer_load_dword v16, off, s[0:3], 0 offset:664
	buffer_load_dword v17, off, s[0:3], 0 offset:668
	;; [unrolled: 1-line block ×16, first 2 shown]
	v_mov_b32_e32 v2, 0
	ds_read_b128 v[4:7], v2 offset:1328
	ds_read_b128 v[8:11], v2 offset:1344
	;; [unrolled: 1-line block ×3, first 2 shown]
	v_cmp_lt_u32_e32 vcc, 38, v255
	s_waitcnt vmcnt(14) lgkmcnt(2)
	v_mul_f64 v[32:33], v[4:5], v[16:17]
	v_mul_f64 v[16:17], v[6:7], v[16:17]
	s_waitcnt vmcnt(12) lgkmcnt(1)
	v_mul_f64 v[34:35], v[8:9], v[18:19]
	v_mul_f64 v[18:19], v[10:11], v[18:19]
	;; [unrolled: 3-line block ×3, first 2 shown]
	s_waitcnt vmcnt(8)
	v_fma_f64 v[4:5], v[4:5], v[22:23], -v[16:17]
	v_fmac_f64_e32 v[32:33], v[6:7], v[22:23]
	s_waitcnt vmcnt(6)
	v_fma_f64 v[6:7], v[8:9], v[24:25], -v[18:19]
	v_add_f64 v[4:5], v[4:5], 0
	v_fmac_f64_e32 v[34:35], v[10:11], v[24:25]
	s_waitcnt vmcnt(4)
	v_fma_f64 v[8:9], v[12:13], v[26:27], -v[20:21]
	v_add_f64 v[10:11], v[32:33], 0
	v_add_f64 v[4:5], v[4:5], v[6:7]
	v_fmac_f64_e32 v[36:37], v[14:15], v[26:27]
	v_add_f64 v[10:11], v[10:11], v[34:35]
	v_add_f64 v[4:5], v[4:5], v[8:9]
	;; [unrolled: 1-line block ×3, first 2 shown]
	s_waitcnt vmcnt(2)
	v_add_f64 v[4:5], v[28:29], -v[4:5]
	s_waitcnt vmcnt(0)
	v_add_f64 v[6:7], v[30:31], -v[6:7]
	buffer_store_dword v4, off, s[0:3], 0 offset:640
	buffer_store_dword v5, off, s[0:3], 0 offset:644
	;; [unrolled: 1-line block ×4, first 2 shown]
	s_and_saveexec_b64 s[4:5], vcc
	s_cbranch_execz .LBB42_195
; %bb.194:
	v_accvgpr_read_b32 v0, a90
	buffer_load_dword v4, v0, s[0:3], 0 offen
	buffer_load_dword v5, v0, s[0:3], 0 offen offset:4
	buffer_load_dword v6, v0, s[0:3], 0 offen offset:8
	buffer_load_dword v7, v0, s[0:3], 0 offen offset:12
	v_accvgpr_read_b32 v0, a129
	buffer_store_dword v2, off, s[0:3], 0 offset:624
	buffer_store_dword v2, off, s[0:3], 0 offset:628
	;; [unrolled: 1-line block ×4, first 2 shown]
	s_waitcnt vmcnt(4)
	ds_write_b128 v0, v[4:7]
.LBB42_195:
	s_or_b64 exec, exec, s[4:5]
	s_waitcnt lgkmcnt(0)
	; wave barrier
	s_waitcnt lgkmcnt(0)
	buffer_load_dword v20, off, s[0:3], 0 offset:648
	buffer_load_dword v21, off, s[0:3], 0 offset:652
	;; [unrolled: 1-line block ×20, first 2 shown]
	ds_read_b128 v[4:7], v2 offset:1312
	ds_read_b128 v[8:11], v2 offset:1328
	;; [unrolled: 1-line block ×4, first 2 shown]
	v_cmp_lt_u32_e32 vcc, 37, v255
	s_waitcnt vmcnt(18) lgkmcnt(3)
	v_mul_f64 v[2:3], v[4:5], v[20:21]
	v_mul_f64 v[20:21], v[6:7], v[20:21]
	s_waitcnt vmcnt(16) lgkmcnt(2)
	v_mul_f64 v[40:41], v[8:9], v[22:23]
	v_mul_f64 v[22:23], v[10:11], v[22:23]
	s_waitcnt vmcnt(14) lgkmcnt(1)
	v_mul_f64 v[42:43], v[12:13], v[24:25]
	v_mul_f64 v[24:25], v[14:15], v[24:25]
	s_waitcnt vmcnt(12) lgkmcnt(0)
	v_mul_f64 v[44:45], v[16:17], v[26:27]
	v_mul_f64 v[26:27], v[18:19], v[26:27]
	s_waitcnt vmcnt(10)
	v_fma_f64 v[4:5], v[4:5], v[28:29], -v[20:21]
	v_fmac_f64_e32 v[2:3], v[6:7], v[28:29]
	s_waitcnt vmcnt(8)
	v_fma_f64 v[6:7], v[8:9], v[30:31], -v[22:23]
	v_add_f64 v[4:5], v[4:5], 0
	v_fmac_f64_e32 v[40:41], v[10:11], v[30:31]
	s_waitcnt vmcnt(6)
	v_fma_f64 v[8:9], v[12:13], v[32:33], -v[24:25]
	v_add_f64 v[2:3], v[2:3], 0
	v_add_f64 v[4:5], v[4:5], v[6:7]
	v_fmac_f64_e32 v[42:43], v[14:15], v[32:33]
	s_waitcnt vmcnt(4)
	v_fma_f64 v[10:11], v[16:17], v[34:35], -v[26:27]
	v_add_f64 v[2:3], v[2:3], v[40:41]
	v_add_f64 v[4:5], v[4:5], v[8:9]
	v_fmac_f64_e32 v[44:45], v[18:19], v[34:35]
	v_add_f64 v[2:3], v[2:3], v[42:43]
	v_add_f64 v[4:5], v[4:5], v[10:11]
	;; [unrolled: 1-line block ×3, first 2 shown]
	s_waitcnt vmcnt(2)
	v_add_f64 v[4:5], v[36:37], -v[4:5]
	s_waitcnt vmcnt(0)
	v_add_f64 v[2:3], v[38:39], -v[2:3]
	buffer_store_dword v4, off, s[0:3], 0 offset:624
	buffer_store_dword v5, off, s[0:3], 0 offset:628
	;; [unrolled: 1-line block ×4, first 2 shown]
	s_and_saveexec_b64 s[4:5], vcc
	s_cbranch_execz .LBB42_197
; %bb.196:
	v_accvgpr_read_b32 v0, a91
	buffer_load_dword v2, v0, s[0:3], 0 offen
	buffer_load_dword v3, v0, s[0:3], 0 offen offset:4
	buffer_load_dword v4, v0, s[0:3], 0 offen offset:8
	;; [unrolled: 1-line block ×3, first 2 shown]
	v_mov_b32_e32 v0, 0
	v_accvgpr_read_b32 v1, a129
	buffer_store_dword v0, off, s[0:3], 0 offset:608
	buffer_store_dword v0, off, s[0:3], 0 offset:612
	;; [unrolled: 1-line block ×4, first 2 shown]
	s_waitcnt vmcnt(4)
	ds_write_b128 v1, v[2:5]
.LBB42_197:
	s_or_b64 exec, exec, s[4:5]
	s_waitcnt lgkmcnt(0)
	; wave barrier
	s_waitcnt lgkmcnt(0)
	buffer_load_dword v24, off, s[0:3], 0 offset:632
	buffer_load_dword v25, off, s[0:3], 0 offset:636
	;; [unrolled: 1-line block ×24, first 2 shown]
	v_mov_b32_e32 v2, 0
	ds_read_b128 v[4:7], v2 offset:1296
	ds_read_b128 v[8:11], v2 offset:1312
	;; [unrolled: 1-line block ×5, first 2 shown]
	v_cmp_lt_u32_e32 vcc, 36, v255
	s_waitcnt vmcnt(22) lgkmcnt(4)
	v_mul_f64 v[48:49], v[4:5], v[24:25]
	v_mul_f64 v[24:25], v[6:7], v[24:25]
	s_waitcnt vmcnt(20) lgkmcnt(3)
	v_mul_f64 v[50:51], v[8:9], v[26:27]
	v_mul_f64 v[26:27], v[10:11], v[26:27]
	;; [unrolled: 3-line block ×4, first 2 shown]
	s_waitcnt vmcnt(13) lgkmcnt(0)
	v_mul_f64 v[56:57], v[20:21], v[30:31]
	s_waitcnt vmcnt(11)
	v_fma_f64 v[4:5], v[4:5], v[36:37], -v[24:25]
	v_fmac_f64_e32 v[48:49], v[6:7], v[36:37]
	s_waitcnt vmcnt(9)
	v_fma_f64 v[6:7], v[8:9], v[38:39], -v[26:27]
	v_add_f64 v[4:5], v[4:5], 0
	v_fmac_f64_e32 v[50:51], v[10:11], v[38:39]
	s_waitcnt vmcnt(7)
	v_fmac_f64_e32 v[52:53], v[14:15], v[40:41]
	v_fma_f64 v[8:9], v[12:13], v[40:41], -v[28:29]
	v_add_f64 v[14:15], v[48:49], 0
	v_add_f64 v[4:5], v[4:5], v[6:7]
	v_mul_f64 v[30:31], v[22:23], v[30:31]
	s_waitcnt vmcnt(5)
	v_fma_f64 v[10:11], v[16:17], v[42:43], -v[34:35]
	v_add_f64 v[14:15], v[14:15], v[50:51]
	v_add_f64 v[4:5], v[4:5], v[8:9]
	v_fmac_f64_e32 v[54:55], v[18:19], v[42:43]
	s_waitcnt vmcnt(4)
	v_fma_f64 v[12:13], v[20:21], v[32:33], -v[30:31]
	v_add_f64 v[6:7], v[14:15], v[52:53]
	v_add_f64 v[4:5], v[4:5], v[10:11]
	v_fmac_f64_e32 v[56:57], v[22:23], v[32:33]
	v_add_f64 v[6:7], v[6:7], v[54:55]
	v_add_f64 v[4:5], v[4:5], v[12:13]
	;; [unrolled: 1-line block ×3, first 2 shown]
	s_waitcnt vmcnt(2)
	v_add_f64 v[4:5], v[44:45], -v[4:5]
	s_waitcnt vmcnt(0)
	v_add_f64 v[6:7], v[46:47], -v[6:7]
	buffer_store_dword v5, off, s[0:3], 0 offset:612
	buffer_store_dword v4, off, s[0:3], 0 offset:608
	;; [unrolled: 1-line block ×4, first 2 shown]
	s_and_saveexec_b64 s[4:5], vcc
	s_cbranch_execz .LBB42_199
; %bb.198:
	v_accvgpr_read_b32 v0, a92
	buffer_load_dword v4, v0, s[0:3], 0 offen
	buffer_load_dword v5, v0, s[0:3], 0 offen offset:4
	buffer_load_dword v6, v0, s[0:3], 0 offen offset:8
	;; [unrolled: 1-line block ×3, first 2 shown]
	v_accvgpr_read_b32 v0, a129
	buffer_store_dword v2, off, s[0:3], 0 offset:592
	buffer_store_dword v2, off, s[0:3], 0 offset:596
	;; [unrolled: 1-line block ×4, first 2 shown]
	s_waitcnt vmcnt(4)
	ds_write_b128 v0, v[4:7]
.LBB42_199:
	s_or_b64 exec, exec, s[4:5]
	s_waitcnt lgkmcnt(0)
	; wave barrier
	s_waitcnt lgkmcnt(0)
	buffer_load_dword v28, off, s[0:3], 0 offset:616
	buffer_load_dword v29, off, s[0:3], 0 offset:620
	;; [unrolled: 1-line block ×28, first 2 shown]
	ds_read_b128 v[4:7], v2 offset:1280
	ds_read_b128 v[8:11], v2 offset:1296
	;; [unrolled: 1-line block ×6, first 2 shown]
	v_cmp_lt_u32_e32 vcc, 35, v255
	s_waitcnt vmcnt(26) lgkmcnt(5)
	v_mul_f64 v[2:3], v[4:5], v[28:29]
	v_mul_f64 v[28:29], v[6:7], v[28:29]
	s_waitcnt vmcnt(24) lgkmcnt(4)
	v_mul_f64 v[56:57], v[8:9], v[30:31]
	v_mul_f64 v[30:31], v[10:11], v[30:31]
	;; [unrolled: 3-line block ×4, first 2 shown]
	s_waitcnt vmcnt(17)
	v_mul_f64 v[60:61], v[16:17], v[38:39]
	v_mul_f64 v[38:39], v[18:19], v[38:39]
	s_waitcnt vmcnt(15) lgkmcnt(0)
	v_mul_f64 v[64:65], v[24:25], v[40:41]
	v_mul_f64 v[40:41], v[26:27], v[40:41]
	s_waitcnt vmcnt(14)
	v_fmac_f64_e32 v[62:63], v[22:23], v[36:37]
	s_waitcnt vmcnt(12)
	v_fma_f64 v[4:5], v[4:5], v[42:43], -v[28:29]
	v_fmac_f64_e32 v[2:3], v[6:7], v[42:43]
	s_waitcnt vmcnt(10)
	v_fma_f64 v[6:7], v[8:9], v[44:45], -v[30:31]
	v_add_f64 v[4:5], v[4:5], 0
	v_fmac_f64_e32 v[56:57], v[10:11], v[44:45]
	s_waitcnt vmcnt(8)
	v_fma_f64 v[8:9], v[12:13], v[46:47], -v[32:33]
	v_add_f64 v[2:3], v[2:3], 0
	v_add_f64 v[4:5], v[4:5], v[6:7]
	v_fmac_f64_e32 v[58:59], v[14:15], v[46:47]
	s_waitcnt vmcnt(6)
	v_fma_f64 v[10:11], v[16:17], v[48:49], -v[38:39]
	v_add_f64 v[2:3], v[2:3], v[56:57]
	v_add_f64 v[4:5], v[4:5], v[8:9]
	v_fmac_f64_e32 v[60:61], v[18:19], v[48:49]
	v_fma_f64 v[12:13], v[20:21], v[36:37], -v[34:35]
	v_add_f64 v[2:3], v[2:3], v[58:59]
	v_add_f64 v[4:5], v[4:5], v[10:11]
	s_waitcnt vmcnt(4)
	v_fma_f64 v[14:15], v[24:25], v[50:51], -v[40:41]
	v_add_f64 v[2:3], v[2:3], v[60:61]
	v_add_f64 v[4:5], v[4:5], v[12:13]
	v_fmac_f64_e32 v[64:65], v[26:27], v[50:51]
	v_add_f64 v[2:3], v[2:3], v[62:63]
	v_add_f64 v[4:5], v[4:5], v[14:15]
	;; [unrolled: 1-line block ×3, first 2 shown]
	s_waitcnt vmcnt(2)
	v_add_f64 v[4:5], v[52:53], -v[4:5]
	s_waitcnt vmcnt(0)
	v_add_f64 v[2:3], v[54:55], -v[2:3]
	buffer_store_dword v5, off, s[0:3], 0 offset:596
	buffer_store_dword v4, off, s[0:3], 0 offset:592
	;; [unrolled: 1-line block ×4, first 2 shown]
	s_and_saveexec_b64 s[4:5], vcc
	s_cbranch_execz .LBB42_201
; %bb.200:
	v_accvgpr_read_b32 v0, a93
	buffer_load_dword v2, v0, s[0:3], 0 offen
	buffer_load_dword v3, v0, s[0:3], 0 offen offset:4
	buffer_load_dword v4, v0, s[0:3], 0 offen offset:8
	;; [unrolled: 1-line block ×3, first 2 shown]
	v_mov_b32_e32 v0, 0
	v_accvgpr_read_b32 v1, a129
	buffer_store_dword v0, off, s[0:3], 0 offset:576
	buffer_store_dword v0, off, s[0:3], 0 offset:580
	;; [unrolled: 1-line block ×4, first 2 shown]
	s_waitcnt vmcnt(4)
	ds_write_b128 v1, v[2:5]
.LBB42_201:
	s_or_b64 exec, exec, s[4:5]
	s_waitcnt lgkmcnt(0)
	; wave barrier
	s_waitcnt lgkmcnt(0)
	buffer_load_dword v32, off, s[0:3], 0 offset:600
	buffer_load_dword v33, off, s[0:3], 0 offset:604
	;; [unrolled: 1-line block ×32, first 2 shown]
	v_mov_b32_e32 v2, 0
	ds_read_b128 v[4:7], v2 offset:1264
	ds_read_b128 v[8:11], v2 offset:1280
	;; [unrolled: 1-line block ×7, first 2 shown]
	v_cmp_lt_u32_e32 vcc, 34, v255
	s_waitcnt vmcnt(30) lgkmcnt(6)
	v_mul_f64 v[64:65], v[4:5], v[32:33]
	v_mul_f64 v[32:33], v[6:7], v[32:33]
	s_waitcnt vmcnt(28) lgkmcnt(5)
	v_mul_f64 v[66:67], v[8:9], v[34:35]
	v_mul_f64 v[34:35], v[10:11], v[34:35]
	;; [unrolled: 3-line block ×4, first 2 shown]
	s_waitcnt vmcnt(21)
	v_mul_f64 v[70:71], v[16:17], v[42:43]
	v_mul_f64 v[42:43], v[18:19], v[42:43]
	s_waitcnt vmcnt(17) lgkmcnt(1)
	v_mul_f64 v[74:75], v[24:25], v[48:49]
	v_mul_f64 v[48:49], v[26:27], v[48:49]
	s_waitcnt vmcnt(16) lgkmcnt(0)
	v_mul_f64 v[76:77], v[28:29], v[44:45]
	v_mul_f64 v[44:45], v[30:31], v[44:45]
	s_waitcnt vmcnt(13)
	v_fma_f64 v[4:5], v[4:5], v[50:51], -v[32:33]
	v_fmac_f64_e32 v[64:65], v[6:7], v[50:51]
	s_waitcnt vmcnt(11)
	v_fma_f64 v[6:7], v[8:9], v[52:53], -v[34:35]
	v_add_f64 v[4:5], v[4:5], 0
	v_fmac_f64_e32 v[66:67], v[10:11], v[52:53]
	s_waitcnt vmcnt(9)
	v_fma_f64 v[8:9], v[12:13], v[54:55], -v[36:37]
	s_waitcnt vmcnt(7)
	v_fmac_f64_e32 v[70:71], v[18:19], v[56:57]
	v_add_f64 v[18:19], v[64:65], 0
	v_add_f64 v[4:5], v[4:5], v[6:7]
	v_fmac_f64_e32 v[68:69], v[14:15], v[54:55]
	v_fma_f64 v[10:11], v[16:17], v[56:57], -v[42:43]
	v_add_f64 v[18:19], v[18:19], v[66:67]
	v_add_f64 v[4:5], v[4:5], v[8:9]
	v_fma_f64 v[12:13], v[20:21], v[40:41], -v[38:39]
	v_add_f64 v[6:7], v[18:19], v[68:69]
	v_add_f64 v[4:5], v[4:5], v[10:11]
	v_fmac_f64_e32 v[72:73], v[22:23], v[40:41]
	s_waitcnt vmcnt(5)
	v_fma_f64 v[14:15], v[24:25], v[58:59], -v[48:49]
	v_add_f64 v[6:7], v[6:7], v[70:71]
	v_add_f64 v[4:5], v[4:5], v[12:13]
	v_fmac_f64_e32 v[74:75], v[26:27], v[58:59]
	s_waitcnt vmcnt(4)
	v_fma_f64 v[16:17], v[28:29], v[46:47], -v[44:45]
	v_add_f64 v[6:7], v[6:7], v[72:73]
	v_add_f64 v[4:5], v[4:5], v[14:15]
	v_fmac_f64_e32 v[76:77], v[30:31], v[46:47]
	v_add_f64 v[6:7], v[6:7], v[74:75]
	v_add_f64 v[4:5], v[4:5], v[16:17]
	;; [unrolled: 1-line block ×3, first 2 shown]
	s_waitcnt vmcnt(2)
	v_add_f64 v[4:5], v[60:61], -v[4:5]
	s_waitcnt vmcnt(0)
	v_add_f64 v[6:7], v[62:63], -v[6:7]
	buffer_store_dword v5, off, s[0:3], 0 offset:580
	buffer_store_dword v4, off, s[0:3], 0 offset:576
	;; [unrolled: 1-line block ×4, first 2 shown]
	s_and_saveexec_b64 s[4:5], vcc
	s_cbranch_execz .LBB42_203
; %bb.202:
	v_accvgpr_read_b32 v0, a94
	buffer_load_dword v4, v0, s[0:3], 0 offen
	buffer_load_dword v5, v0, s[0:3], 0 offen offset:4
	buffer_load_dword v6, v0, s[0:3], 0 offen offset:8
	;; [unrolled: 1-line block ×3, first 2 shown]
	v_accvgpr_read_b32 v0, a129
	buffer_store_dword v2, off, s[0:3], 0 offset:560
	buffer_store_dword v2, off, s[0:3], 0 offset:564
	;; [unrolled: 1-line block ×4, first 2 shown]
	s_waitcnt vmcnt(4)
	ds_write_b128 v0, v[4:7]
.LBB42_203:
	s_or_b64 exec, exec, s[4:5]
	s_waitcnt lgkmcnt(0)
	; wave barrier
	s_waitcnt lgkmcnt(0)
	buffer_load_dword v36, off, s[0:3], 0 offset:584
	buffer_load_dword v37, off, s[0:3], 0 offset:588
	buffer_load_dword v38, off, s[0:3], 0 offset:600
	buffer_load_dword v39, off, s[0:3], 0 offset:604
	buffer_load_dword v40, off, s[0:3], 0 offset:616
	buffer_load_dword v41, off, s[0:3], 0 offset:620
	buffer_load_dword v43, off, s[0:3], 0 offset:652
	buffer_load_dword v42, off, s[0:3], 0 offset:648
	buffer_load_dword v44, off, s[0:3], 0 offset:640
	buffer_load_dword v47, off, s[0:3], 0 offset:636
	buffer_load_dword v46, off, s[0:3], 0 offset:632
	buffer_load_dword v49, off, s[0:3], 0 offset:684
	buffer_load_dword v48, off, s[0:3], 0 offset:680
	buffer_load_dword v50, off, s[0:3], 0 offset:672
	buffer_load_dword v53, off, s[0:3], 0 offset:668
	buffer_load_dword v52, off, s[0:3], 0 offset:664
	buffer_load_dword v55, off, s[0:3], 0 offset:700
	buffer_load_dword v54, off, s[0:3], 0 offset:696
	buffer_load_dword v45, off, s[0:3], 0 offset:644
	buffer_load_dword v51, off, s[0:3], 0 offset:676
	buffer_load_dword v56, off, s[0:3], 0 offset:576
	buffer_load_dword v57, off, s[0:3], 0 offset:580
	buffer_load_dword v58, off, s[0:3], 0 offset:592
	buffer_load_dword v59, off, s[0:3], 0 offset:596
	buffer_load_dword v60, off, s[0:3], 0 offset:608
	buffer_load_dword v61, off, s[0:3], 0 offset:612
	buffer_load_dword v63, off, s[0:3], 0 offset:628
	buffer_load_dword v62, off, s[0:3], 0 offset:624
	buffer_load_dword v65, off, s[0:3], 0 offset:660
	buffer_load_dword v64, off, s[0:3], 0 offset:656
	buffer_load_dword v67, off, s[0:3], 0 offset:692
	buffer_load_dword v66, off, s[0:3], 0 offset:688
	buffer_load_dword v68, off, s[0:3], 0 offset:560
	buffer_load_dword v69, off, s[0:3], 0 offset:564
	buffer_load_dword v70, off, s[0:3], 0 offset:568
	buffer_load_dword v71, off, s[0:3], 0 offset:572
	ds_read_b128 v[4:7], v2 offset:1248
	ds_read_b128 v[8:11], v2 offset:1264
	;; [unrolled: 1-line block ×8, first 2 shown]
	v_cmp_lt_u32_e32 vcc, 33, v255
	s_waitcnt vmcnt(34) lgkmcnt(7)
	v_mul_f64 v[2:3], v[4:5], v[36:37]
	v_mul_f64 v[36:37], v[6:7], v[36:37]
	s_waitcnt vmcnt(32) lgkmcnt(6)
	v_mul_f64 v[72:73], v[8:9], v[38:39]
	v_mul_f64 v[38:39], v[10:11], v[38:39]
	;; [unrolled: 3-line block ×4, first 2 shown]
	s_waitcnt vmcnt(25)
	v_mul_f64 v[76:77], v[16:17], v[46:47]
	v_mul_f64 v[46:47], v[18:19], v[46:47]
	s_waitcnt vmcnt(23) lgkmcnt(1)
	v_mul_f64 v[82:83], v[28:29], v[48:49]
	v_mul_f64 v[48:49], v[30:31], v[48:49]
	s_waitcnt vmcnt(20)
	v_mul_f64 v[80:81], v[24:25], v[52:53]
	v_mul_f64 v[52:53], v[26:27], v[52:53]
	s_waitcnt vmcnt(18) lgkmcnt(0)
	v_mul_f64 v[84:85], v[32:33], v[54:55]
	s_waitcnt vmcnt(17)
	v_fmac_f64_e32 v[78:79], v[22:23], v[44:45]
	s_waitcnt vmcnt(16)
	v_fmac_f64_e32 v[82:83], v[30:31], v[50:51]
	s_waitcnt vmcnt(14)
	v_fma_f64 v[4:5], v[4:5], v[56:57], -v[36:37]
	v_fmac_f64_e32 v[2:3], v[6:7], v[56:57]
	s_waitcnt vmcnt(12)
	v_fma_f64 v[6:7], v[8:9], v[58:59], -v[38:39]
	v_add_f64 v[4:5], v[4:5], 0
	v_fmac_f64_e32 v[72:73], v[10:11], v[58:59]
	s_waitcnt vmcnt(10)
	v_fma_f64 v[8:9], v[12:13], v[60:61], -v[40:41]
	v_add_f64 v[2:3], v[2:3], 0
	v_add_f64 v[4:5], v[4:5], v[6:7]
	v_fmac_f64_e32 v[74:75], v[14:15], v[60:61]
	s_waitcnt vmcnt(8)
	v_fma_f64 v[10:11], v[16:17], v[62:63], -v[46:47]
	v_add_f64 v[2:3], v[2:3], v[72:73]
	v_add_f64 v[4:5], v[4:5], v[8:9]
	v_fmac_f64_e32 v[76:77], v[18:19], v[62:63]
	v_fma_f64 v[12:13], v[20:21], v[44:45], -v[42:43]
	v_add_f64 v[2:3], v[2:3], v[74:75]
	v_add_f64 v[4:5], v[4:5], v[10:11]
	s_waitcnt vmcnt(6)
	v_fma_f64 v[14:15], v[24:25], v[64:65], -v[52:53]
	v_add_f64 v[2:3], v[2:3], v[76:77]
	v_add_f64 v[4:5], v[4:5], v[12:13]
	v_fmac_f64_e32 v[80:81], v[26:27], v[64:65]
	v_fma_f64 v[16:17], v[28:29], v[50:51], -v[48:49]
	v_add_f64 v[2:3], v[2:3], v[78:79]
	v_add_f64 v[4:5], v[4:5], v[14:15]
	v_mul_f64 v[6:7], v[34:35], v[54:55]
	v_add_f64 v[2:3], v[2:3], v[80:81]
	v_add_f64 v[4:5], v[4:5], v[16:17]
	s_waitcnt vmcnt(4)
	v_fma_f64 v[6:7], v[32:33], v[66:67], -v[6:7]
	v_fmac_f64_e32 v[84:85], v[34:35], v[66:67]
	v_add_f64 v[2:3], v[2:3], v[82:83]
	v_add_f64 v[4:5], v[4:5], v[6:7]
	;; [unrolled: 1-line block ×3, first 2 shown]
	s_waitcnt vmcnt(2)
	v_add_f64 v[4:5], v[68:69], -v[4:5]
	s_waitcnt vmcnt(0)
	v_add_f64 v[2:3], v[70:71], -v[2:3]
	buffer_store_dword v5, off, s[0:3], 0 offset:564
	buffer_store_dword v4, off, s[0:3], 0 offset:560
	;; [unrolled: 1-line block ×4, first 2 shown]
	s_and_saveexec_b64 s[4:5], vcc
	s_cbranch_execz .LBB42_205
; %bb.204:
	v_accvgpr_read_b32 v0, a95
	buffer_load_dword v2, v0, s[0:3], 0 offen
	buffer_load_dword v3, v0, s[0:3], 0 offen offset:4
	buffer_load_dword v4, v0, s[0:3], 0 offen offset:8
	;; [unrolled: 1-line block ×3, first 2 shown]
	v_mov_b32_e32 v0, 0
	v_accvgpr_read_b32 v1, a129
	buffer_store_dword v0, off, s[0:3], 0 offset:544
	buffer_store_dword v0, off, s[0:3], 0 offset:548
	;; [unrolled: 1-line block ×4, first 2 shown]
	s_waitcnt vmcnt(4)
	ds_write_b128 v1, v[2:5]
.LBB42_205:
	s_or_b64 exec, exec, s[4:5]
	s_waitcnt lgkmcnt(0)
	; wave barrier
	s_waitcnt lgkmcnt(0)
	buffer_load_dword v40, off, s[0:3], 0 offset:568
	buffer_load_dword v41, off, s[0:3], 0 offset:572
	;; [unrolled: 1-line block ×40, first 2 shown]
	v_mov_b32_e32 v6, 0
	ds_read_b128 v[2:5], v6 offset:1232
	ds_read_b128 v[8:11], v6 offset:1248
	;; [unrolled: 1-line block ×9, first 2 shown]
	v_cmp_lt_u32_e32 vcc, 32, v255
	s_waitcnt vmcnt(38) lgkmcnt(8)
	v_mul_f64 v[80:81], v[2:3], v[40:41]
	v_mul_f64 v[40:41], v[4:5], v[40:41]
	s_waitcnt vmcnt(36) lgkmcnt(7)
	v_mul_f64 v[82:83], v[8:9], v[42:43]
	v_mul_f64 v[42:43], v[10:11], v[42:43]
	;; [unrolled: 3-line block ×3, first 2 shown]
	s_waitcnt vmcnt(32) lgkmcnt(4)
	v_mul_f64 v[88:89], v[20:21], v[46:47]
	s_waitcnt vmcnt(30)
	v_fmac_f64_e32 v[88:89], v[22:23], v[48:49]
	s_waitcnt vmcnt(28)
	v_mul_f64 v[86:87], v[16:17], v[50:51]
	v_mul_f64 v[50:51], v[18:19], v[50:51]
	s_waitcnt vmcnt(26) lgkmcnt(2)
	v_mul_f64 v[92:93], v[28:29], v[52:53]
	s_waitcnt vmcnt(24)
	v_fmac_f64_e32 v[92:93], v[30:31], v[54:55]
	s_waitcnt vmcnt(22)
	v_mul_f64 v[90:91], v[24:25], v[56:57]
	s_waitcnt vmcnt(18) lgkmcnt(1)
	v_mul_f64 v[94:95], v[32:33], v[62:63]
	s_waitcnt vmcnt(17) lgkmcnt(0)
	v_mul_f64 v[96:97], v[36:37], v[58:59]
	s_waitcnt vmcnt(15)
	v_fma_f64 v[2:3], v[2:3], v[64:65], -v[40:41]
	v_fmac_f64_e32 v[80:81], v[4:5], v[64:65]
	s_waitcnt vmcnt(13)
	v_fma_f64 v[4:5], v[8:9], v[66:67], -v[42:43]
	v_add_f64 v[2:3], v[2:3], 0
	s_waitcnt vmcnt(11)
	v_fma_f64 v[8:9], v[12:13], v[68:69], -v[44:45]
	v_add_f64 v[2:3], v[2:3], v[4:5]
	v_fmac_f64_e32 v[82:83], v[10:11], v[66:67]
	s_waitcnt vmcnt(9)
	v_fma_f64 v[10:11], v[16:17], v[70:71], -v[50:51]
	v_add_f64 v[2:3], v[2:3], v[8:9]
	v_mul_f64 v[8:9], v[22:23], v[46:47]
	v_add_f64 v[2:3], v[2:3], v[10:11]
	v_fma_f64 v[8:9], v[20:21], v[48:49], -v[8:9]
	v_add_f64 v[2:3], v[2:3], v[8:9]
	v_mul_f64 v[8:9], v[26:27], v[56:57]
	v_add_f64 v[12:13], v[80:81], 0
	s_waitcnt vmcnt(7)
	v_fma_f64 v[8:9], v[24:25], v[72:73], -v[8:9]
	v_fmac_f64_e32 v[84:85], v[14:15], v[68:69]
	v_add_f64 v[12:13], v[12:13], v[82:83]
	v_add_f64 v[2:3], v[2:3], v[8:9]
	v_mul_f64 v[8:9], v[30:31], v[52:53]
	v_fmac_f64_e32 v[86:87], v[18:19], v[70:71]
	v_add_f64 v[4:5], v[12:13], v[84:85]
	v_fma_f64 v[8:9], v[28:29], v[54:55], -v[8:9]
	v_add_f64 v[4:5], v[4:5], v[86:87]
	v_add_f64 v[2:3], v[2:3], v[8:9]
	v_mul_f64 v[8:9], v[34:35], v[62:63]
	v_fmac_f64_e32 v[90:91], v[26:27], v[72:73]
	v_add_f64 v[4:5], v[4:5], v[88:89]
	s_waitcnt vmcnt(5)
	v_fma_f64 v[8:9], v[32:33], v[74:75], -v[8:9]
	v_add_f64 v[4:5], v[4:5], v[90:91]
	v_add_f64 v[2:3], v[2:3], v[8:9]
	v_mul_f64 v[8:9], v[38:39], v[58:59]
	v_fmac_f64_e32 v[94:95], v[34:35], v[74:75]
	v_add_f64 v[4:5], v[4:5], v[92:93]
	s_waitcnt vmcnt(4)
	v_fma_f64 v[8:9], v[36:37], v[60:61], -v[8:9]
	v_fmac_f64_e32 v[96:97], v[38:39], v[60:61]
	v_add_f64 v[4:5], v[4:5], v[94:95]
	v_add_f64 v[2:3], v[2:3], v[8:9]
	;; [unrolled: 1-line block ×3, first 2 shown]
	s_waitcnt vmcnt(2)
	v_add_f64 v[2:3], v[76:77], -v[2:3]
	s_waitcnt vmcnt(0)
	v_add_f64 v[4:5], v[78:79], -v[4:5]
	buffer_store_dword v3, off, s[0:3], 0 offset:548
	buffer_store_dword v2, off, s[0:3], 0 offset:544
	;; [unrolled: 1-line block ×4, first 2 shown]
	s_and_saveexec_b64 s[4:5], vcc
	s_cbranch_execz .LBB42_207
; %bb.206:
	v_accvgpr_read_b32 v0, a96
	buffer_load_dword v2, v0, s[0:3], 0 offen
	buffer_load_dword v3, v0, s[0:3], 0 offen offset:4
	buffer_load_dword v4, v0, s[0:3], 0 offen offset:8
	;; [unrolled: 1-line block ×3, first 2 shown]
	v_accvgpr_read_b32 v0, a129
	buffer_store_dword v6, off, s[0:3], 0 offset:528
	buffer_store_dword v6, off, s[0:3], 0 offset:532
	;; [unrolled: 1-line block ×4, first 2 shown]
	s_waitcnt vmcnt(4)
	ds_write_b128 v0, v[2:5]
.LBB42_207:
	s_or_b64 exec, exec, s[4:5]
	s_waitcnt lgkmcnt(0)
	; wave barrier
	s_waitcnt lgkmcnt(0)
	buffer_load_dword v4, off, s[0:3], 0 offset:544
	buffer_load_dword v5, off, s[0:3], 0 offset:548
	;; [unrolled: 1-line block ×44, first 2 shown]
	ds_read_b128 v[8:11], v6 offset:1216
	ds_read_b128 v[12:15], v6 offset:1232
	;; [unrolled: 1-line block ×10, first 2 shown]
	v_cmp_lt_u32_e32 vcc, 31, v255
	s_waitcnt vmcnt(40) lgkmcnt(9)
	v_mul_f64 v[6:7], v[8:9], v[48:49]
	v_mul_f64 v[48:49], v[10:11], v[48:49]
	s_waitcnt vmcnt(38) lgkmcnt(8)
	v_mul_f64 v[88:89], v[12:13], v[50:51]
	v_mul_f64 v[50:51], v[14:15], v[50:51]
	v_fmac_f64_e32 v[6:7], v[10:11], v[4:5]
	v_fma_f64 v[4:5], v[8:9], v[4:5], -v[48:49]
	s_waitcnt vmcnt(36) lgkmcnt(7)
	v_mul_f64 v[90:91], v[16:17], v[2:3]
	v_add_f64 v[4:5], v[4:5], 0
	v_mul_f64 v[2:3], v[18:19], v[2:3]
	v_add_f64 v[6:7], v[6:7], 0
	s_waitcnt vmcnt(30) lgkmcnt(6)
	v_mul_f64 v[92:93], v[20:21], v[56:57]
	s_waitcnt lgkmcnt(5)
	v_mul_f64 v[94:95], v[24:25], v[52:53]
	v_fmac_f64_e32 v[94:95], v[26:27], v[54:55]
	s_waitcnt vmcnt(28) lgkmcnt(3)
	v_mul_f64 v[98:99], v[32:33], v[58:59]
	s_waitcnt vmcnt(26)
	v_fmac_f64_e32 v[98:99], v[34:35], v[60:61]
	s_waitcnt vmcnt(24)
	v_mul_f64 v[96:97], v[28:29], v[62:63]
	s_waitcnt vmcnt(22) lgkmcnt(1)
	v_mul_f64 v[102:103], v[40:41], v[64:65]
	s_waitcnt vmcnt(20)
	v_fmac_f64_e32 v[102:103], v[42:43], v[66:67]
	s_waitcnt vmcnt(18)
	v_mul_f64 v[100:101], v[36:37], v[68:69]
	s_waitcnt vmcnt(16) lgkmcnt(0)
	v_mul_f64 v[104:105], v[44:45], v[70:71]
	s_waitcnt vmcnt(14)
	v_fma_f64 v[8:9], v[12:13], v[72:73], -v[50:51]
	v_add_f64 v[4:5], v[4:5], v[8:9]
	s_waitcnt vmcnt(12)
	v_fma_f64 v[2:3], v[16:17], v[74:75], -v[2:3]
	v_add_f64 v[2:3], v[4:5], v[2:3]
	v_mul_f64 v[4:5], v[22:23], v[56:57]
	s_waitcnt vmcnt(10)
	v_fma_f64 v[4:5], v[20:21], v[76:77], -v[4:5]
	v_add_f64 v[2:3], v[2:3], v[4:5]
	v_mul_f64 v[4:5], v[26:27], v[52:53]
	v_fma_f64 v[4:5], v[24:25], v[54:55], -v[4:5]
	v_add_f64 v[2:3], v[2:3], v[4:5]
	v_mul_f64 v[4:5], v[30:31], v[62:63]
	s_waitcnt vmcnt(8)
	v_fma_f64 v[4:5], v[28:29], v[78:79], -v[4:5]
	v_fmac_f64_e32 v[88:89], v[14:15], v[72:73]
	v_add_f64 v[2:3], v[2:3], v[4:5]
	v_mul_f64 v[4:5], v[34:35], v[58:59]
	v_fmac_f64_e32 v[90:91], v[18:19], v[74:75]
	v_add_f64 v[6:7], v[6:7], v[88:89]
	v_fma_f64 v[4:5], v[32:33], v[60:61], -v[4:5]
	v_fmac_f64_e32 v[92:93], v[22:23], v[76:77]
	v_add_f64 v[6:7], v[6:7], v[90:91]
	v_add_f64 v[2:3], v[2:3], v[4:5]
	v_mul_f64 v[4:5], v[38:39], v[68:69]
	v_add_f64 v[6:7], v[6:7], v[92:93]
	s_waitcnt vmcnt(6)
	v_fma_f64 v[4:5], v[36:37], v[80:81], -v[4:5]
	v_fmac_f64_e32 v[96:97], v[30:31], v[78:79]
	v_add_f64 v[6:7], v[6:7], v[94:95]
	v_add_f64 v[2:3], v[2:3], v[4:5]
	v_mul_f64 v[4:5], v[42:43], v[64:65]
	v_add_f64 v[6:7], v[6:7], v[96:97]
	v_fma_f64 v[4:5], v[40:41], v[66:67], -v[4:5]
	v_fmac_f64_e32 v[100:101], v[38:39], v[80:81]
	v_add_f64 v[6:7], v[6:7], v[98:99]
	v_add_f64 v[2:3], v[2:3], v[4:5]
	v_mul_f64 v[4:5], v[46:47], v[70:71]
	v_add_f64 v[6:7], v[6:7], v[100:101]
	s_waitcnt vmcnt(4)
	v_fma_f64 v[4:5], v[44:45], v[82:83], -v[4:5]
	v_fmac_f64_e32 v[104:105], v[46:47], v[82:83]
	v_add_f64 v[6:7], v[6:7], v[102:103]
	v_add_f64 v[2:3], v[2:3], v[4:5]
	v_add_f64 v[6:7], v[6:7], v[104:105]
	s_waitcnt vmcnt(2)
	v_add_f64 v[2:3], v[84:85], -v[2:3]
	s_waitcnt vmcnt(0)
	v_add_f64 v[4:5], v[86:87], -v[6:7]
	buffer_store_dword v3, off, s[0:3], 0 offset:532
	buffer_store_dword v2, off, s[0:3], 0 offset:528
	;; [unrolled: 1-line block ×4, first 2 shown]
	s_and_saveexec_b64 s[4:5], vcc
	s_cbranch_execz .LBB42_209
; %bb.208:
	v_accvgpr_read_b32 v0, a97
	buffer_load_dword v2, v0, s[0:3], 0 offen
	buffer_load_dword v3, v0, s[0:3], 0 offen offset:4
	buffer_load_dword v4, v0, s[0:3], 0 offen offset:8
	;; [unrolled: 1-line block ×3, first 2 shown]
	v_mov_b32_e32 v0, 0
	v_accvgpr_read_b32 v1, a129
	buffer_store_dword v0, off, s[0:3], 0 offset:512
	buffer_store_dword v0, off, s[0:3], 0 offset:516
	;; [unrolled: 1-line block ×4, first 2 shown]
	s_waitcnt vmcnt(4)
	ds_write_b128 v1, v[2:5]
.LBB42_209:
	s_or_b64 exec, exec, s[4:5]
	s_waitcnt lgkmcnt(0)
	; wave barrier
	s_waitcnt lgkmcnt(0)
	buffer_load_dword v2, off, s[0:3], 0 offset:528
	buffer_load_dword v3, off, s[0:3], 0 offset:532
	;; [unrolled: 1-line block ×48, first 2 shown]
	v_mov_b32_e32 v12, 0
	ds_read_b128 v[14:17], v12 offset:1200
	ds_read_b128 v[18:21], v12 offset:1216
	;; [unrolled: 1-line block ×11, first 2 shown]
	v_cmp_lt_u32_e32 vcc, 30, v255
	s_waitcnt vmcnt(44) lgkmcnt(10)
	v_mul_f64 v[96:97], v[14:15], v[6:7]
	v_mul_f64 v[6:7], v[16:17], v[6:7]
	v_fmac_f64_e32 v[96:97], v[16:17], v[2:3]
	v_fma_f64 v[2:3], v[14:15], v[2:3], -v[6:7]
	s_waitcnt vmcnt(40) lgkmcnt(9)
	v_mul_f64 v[98:99], v[18:19], v[8:9]
	v_mul_f64 v[6:7], v[20:21], v[8:9]
	v_fmac_f64_e32 v[98:99], v[20:21], v[4:5]
	v_add_f64 v[2:3], v[2:3], 0
	v_fma_f64 v[4:5], v[18:19], v[4:5], -v[6:7]
	v_add_f64 v[2:3], v[2:3], v[4:5]
	s_waitcnt vmcnt(38) lgkmcnt(8)
	v_mul_f64 v[4:5], v[24:25], v[10:11]
	v_mul_f64 v[100:101], v[22:23], v[10:11]
	v_add_f64 v[96:97], v[96:97], 0
	s_waitcnt vmcnt(32) lgkmcnt(7)
	v_mul_f64 v[102:103], v[26:27], v[62:63]
	v_add_f64 v[96:97], v[96:97], v[98:99]
	s_waitcnt lgkmcnt(6)
	v_mul_f64 v[104:105], v[30:31], v[58:59]
	v_fmac_f64_e32 v[104:105], v[32:33], v[60:61]
	s_waitcnt vmcnt(30) lgkmcnt(4)
	v_mul_f64 v[108:109], v[38:39], v[64:65]
	s_waitcnt vmcnt(26)
	v_mul_f64 v[106:107], v[34:35], v[68:69]
	v_fmac_f64_e32 v[108:109], v[40:41], v[66:67]
	s_waitcnt vmcnt(24) lgkmcnt(2)
	v_mul_f64 v[112:113], v[46:47], v[70:71]
	s_waitcnt vmcnt(22)
	v_fmac_f64_e32 v[112:113], v[48:49], v[72:73]
	s_waitcnt vmcnt(20)
	v_mul_f64 v[110:111], v[42:43], v[74:75]
	s_waitcnt vmcnt(16) lgkmcnt(1)
	v_mul_f64 v[114:115], v[50:51], v[80:81]
	s_waitcnt vmcnt(14)
	v_fma_f64 v[4:5], v[22:23], v[82:83], -v[4:5]
	v_add_f64 v[2:3], v[2:3], v[4:5]
	v_mul_f64 v[4:5], v[28:29], v[62:63]
	s_waitcnt vmcnt(12)
	v_fma_f64 v[4:5], v[26:27], v[84:85], -v[4:5]
	v_add_f64 v[2:3], v[2:3], v[4:5]
	v_mul_f64 v[4:5], v[32:33], v[58:59]
	v_fma_f64 v[4:5], v[30:31], v[60:61], -v[4:5]
	v_add_f64 v[2:3], v[2:3], v[4:5]
	v_mul_f64 v[4:5], v[36:37], v[68:69]
	s_waitcnt vmcnt(10)
	v_fma_f64 v[4:5], v[34:35], v[86:87], -v[4:5]
	v_add_f64 v[2:3], v[2:3], v[4:5]
	v_mul_f64 v[4:5], v[40:41], v[64:65]
	v_fma_f64 v[4:5], v[38:39], v[66:67], -v[4:5]
	v_fmac_f64_e32 v[100:101], v[24:25], v[82:83]
	v_add_f64 v[2:3], v[2:3], v[4:5]
	v_mul_f64 v[4:5], v[44:45], v[74:75]
	v_fmac_f64_e32 v[102:103], v[28:29], v[84:85]
	v_add_f64 v[96:97], v[96:97], v[100:101]
	s_waitcnt vmcnt(8)
	v_fma_f64 v[4:5], v[42:43], v[88:89], -v[4:5]
	v_add_f64 v[96:97], v[96:97], v[102:103]
	v_add_f64 v[2:3], v[2:3], v[4:5]
	v_mul_f64 v[4:5], v[48:49], v[70:71]
	v_fmac_f64_e32 v[106:107], v[36:37], v[86:87]
	v_add_f64 v[96:97], v[96:97], v[104:105]
	v_fma_f64 v[4:5], v[46:47], v[72:73], -v[4:5]
	v_add_f64 v[96:97], v[96:97], v[106:107]
	v_add_f64 v[2:3], v[2:3], v[4:5]
	v_mul_f64 v[4:5], v[52:53], v[80:81]
	v_fmac_f64_e32 v[110:111], v[44:45], v[88:89]
	v_add_f64 v[96:97], v[96:97], v[108:109]
	s_waitcnt vmcnt(6)
	v_fma_f64 v[4:5], v[50:51], v[90:91], -v[4:5]
	v_add_f64 v[96:97], v[96:97], v[110:111]
	v_add_f64 v[2:3], v[2:3], v[4:5]
	s_waitcnt vmcnt(5) lgkmcnt(0)
	v_mul_f64 v[4:5], v[56:57], v[76:77]
	v_fmac_f64_e32 v[114:115], v[52:53], v[90:91]
	v_add_f64 v[96:97], v[96:97], v[112:113]
	v_mul_f64 v[98:99], v[54:55], v[76:77]
	s_waitcnt vmcnt(4)
	v_fma_f64 v[4:5], v[54:55], v[78:79], -v[4:5]
	v_add_f64 v[96:97], v[96:97], v[114:115]
	v_fmac_f64_e32 v[98:99], v[56:57], v[78:79]
	v_add_f64 v[2:3], v[2:3], v[4:5]
	v_add_f64 v[96:97], v[96:97], v[98:99]
	s_waitcnt vmcnt(2)
	v_add_f64 v[2:3], v[92:93], -v[2:3]
	s_waitcnt vmcnt(0)
	v_add_f64 v[4:5], v[94:95], -v[96:97]
	buffer_store_dword v3, off, s[0:3], 0 offset:516
	buffer_store_dword v2, off, s[0:3], 0 offset:512
	;; [unrolled: 1-line block ×4, first 2 shown]
	s_and_saveexec_b64 s[4:5], vcc
	s_cbranch_execz .LBB42_211
; %bb.210:
	v_accvgpr_read_b32 v0, a98
	buffer_load_dword v2, v0, s[0:3], 0 offen
	buffer_load_dword v3, v0, s[0:3], 0 offen offset:4
	buffer_load_dword v4, v0, s[0:3], 0 offen offset:8
	;; [unrolled: 1-line block ×3, first 2 shown]
	v_accvgpr_read_b32 v0, a129
	buffer_store_dword v12, off, s[0:3], 0 offset:496
	buffer_store_dword v12, off, s[0:3], 0 offset:500
	buffer_store_dword v12, off, s[0:3], 0 offset:504
	buffer_store_dword v12, off, s[0:3], 0 offset:508
	s_waitcnt vmcnt(4)
	ds_write_b128 v0, v[2:5]
.LBB42_211:
	s_or_b64 exec, exec, s[4:5]
	s_waitcnt lgkmcnt(0)
	; wave barrier
	s_waitcnt lgkmcnt(0)
	buffer_load_dword v2, off, s[0:3], 0 offset:512
	buffer_load_dword v3, off, s[0:3], 0 offset:516
	;; [unrolled: 1-line block ×52, first 2 shown]
	ds_read_b128 v[14:17], v12 offset:1184
	ds_read_b128 v[18:21], v12 offset:1200
	;; [unrolled: 1-line block ×10, first 2 shown]
	v_cmp_lt_u32_e32 vcc, 29, v255
	s_waitcnt vmcnt(48) lgkmcnt(9)
	v_mul_f64 v[54:55], v[14:15], v[6:7]
	v_mul_f64 v[6:7], v[16:17], v[6:7]
	v_fmac_f64_e32 v[54:55], v[16:17], v[2:3]
	v_fma_f64 v[2:3], v[14:15], v[2:3], -v[6:7]
	s_waitcnt vmcnt(44) lgkmcnt(8)
	v_mul_f64 v[56:57], v[18:19], v[8:9]
	v_mul_f64 v[6:7], v[20:21], v[8:9]
	v_fmac_f64_e32 v[56:57], v[20:21], v[4:5]
	v_add_f64 v[2:3], v[2:3], 0
	v_fma_f64 v[4:5], v[18:19], v[4:5], -v[6:7]
	v_add_f64 v[2:3], v[2:3], v[4:5]
	s_waitcnt vmcnt(42) lgkmcnt(7)
	v_mul_f64 v[4:5], v[24:25], v[10:11]
	v_mul_f64 v[58:59], v[22:23], v[10:11]
	v_add_f64 v[54:55], v[54:55], 0
	s_waitcnt vmcnt(36) lgkmcnt(6)
	v_mul_f64 v[60:61], v[26:27], v[66:67]
	v_add_f64 v[54:55], v[54:55], v[56:57]
	s_waitcnt lgkmcnt(5)
	v_mul_f64 v[104:105], v[30:31], v[62:63]
	v_fmac_f64_e32 v[104:105], v[32:33], v[64:65]
	s_waitcnt vmcnt(34) lgkmcnt(3)
	v_mul_f64 v[108:109], v[38:39], v[68:69]
	s_waitcnt vmcnt(30)
	v_mul_f64 v[106:107], v[34:35], v[72:73]
	v_fmac_f64_e32 v[108:109], v[40:41], v[70:71]
	s_waitcnt vmcnt(26) lgkmcnt(2)
	v_mul_f64 v[110:111], v[42:43], v[78:79]
	s_waitcnt vmcnt(25) lgkmcnt(1)
	v_mul_f64 v[112:113], v[46:47], v[74:75]
	s_waitcnt vmcnt(23)
	v_fma_f64 v[4:5], v[22:23], v[80:81], -v[4:5]
	v_add_f64 v[2:3], v[2:3], v[4:5]
	v_mul_f64 v[4:5], v[28:29], v[66:67]
	s_waitcnt vmcnt(21)
	v_fma_f64 v[4:5], v[26:27], v[82:83], -v[4:5]
	v_fmac_f64_e32 v[58:59], v[24:25], v[80:81]
	v_add_f64 v[2:3], v[2:3], v[4:5]
	v_mul_f64 v[4:5], v[32:33], v[62:63]
	v_fmac_f64_e32 v[60:61], v[28:29], v[82:83]
	v_add_f64 v[54:55], v[54:55], v[58:59]
	v_fma_f64 v[4:5], v[30:31], v[64:65], -v[4:5]
	v_add_f64 v[54:55], v[54:55], v[60:61]
	v_add_f64 v[2:3], v[2:3], v[4:5]
	v_mul_f64 v[4:5], v[36:37], v[72:73]
	s_waitcnt vmcnt(19)
	v_fmac_f64_e32 v[106:107], v[36:37], v[84:85]
	v_add_f64 v[54:55], v[54:55], v[104:105]
	v_fma_f64 v[4:5], v[34:35], v[84:85], -v[4:5]
	v_add_f64 v[54:55], v[54:55], v[106:107]
	v_add_f64 v[2:3], v[2:3], v[4:5]
	v_mul_f64 v[4:5], v[40:41], v[68:69]
	s_waitcnt vmcnt(17)
	v_fmac_f64_e32 v[110:111], v[44:45], v[86:87]
	v_add_f64 v[54:55], v[54:55], v[108:109]
	v_fma_f64 v[4:5], v[38:39], v[70:71], -v[4:5]
	s_waitcnt vmcnt(16)
	v_fmac_f64_e32 v[112:113], v[48:49], v[76:77]
	v_add_f64 v[54:55], v[54:55], v[110:111]
	v_add_f64 v[2:3], v[2:3], v[4:5]
	v_mul_f64 v[4:5], v[44:45], v[78:79]
	v_add_f64 v[104:105], v[54:55], v[112:113]
	ds_read_b128 v[54:57], v12 offset:1344
	ds_read_b128 v[58:61], v12 offset:1360
	v_fma_f64 v[4:5], v[42:43], v[86:87], -v[4:5]
	v_add_f64 v[2:3], v[2:3], v[4:5]
	v_mul_f64 v[4:5], v[48:49], v[74:75]
	v_fma_f64 v[4:5], v[46:47], v[76:77], -v[4:5]
	v_add_f64 v[2:3], v[2:3], v[4:5]
	s_waitcnt vmcnt(12) lgkmcnt(2)
	v_mul_f64 v[4:5], v[52:53], v[92:93]
	v_mul_f64 v[106:107], v[50:51], v[92:93]
	s_waitcnt vmcnt(10)
	v_fma_f64 v[4:5], v[50:51], v[94:95], -v[4:5]
	v_fmac_f64_e32 v[106:107], v[52:53], v[94:95]
	v_add_f64 v[2:3], v[2:3], v[4:5]
	s_waitcnt vmcnt(8) lgkmcnt(1)
	v_mul_f64 v[4:5], v[56:57], v[88:89]
	v_add_f64 v[12:13], v[104:105], v[106:107]
	v_mul_f64 v[104:105], v[54:55], v[88:89]
	v_fma_f64 v[4:5], v[54:55], v[90:91], -v[4:5]
	v_fmac_f64_e32 v[104:105], v[56:57], v[90:91]
	v_add_f64 v[2:3], v[2:3], v[4:5]
	s_waitcnt vmcnt(6) lgkmcnt(0)
	v_mul_f64 v[4:5], v[60:61], v[96:97]
	v_add_f64 v[12:13], v[12:13], v[104:105]
	v_mul_f64 v[104:105], v[58:59], v[96:97]
	s_waitcnt vmcnt(4)
	v_fma_f64 v[4:5], v[58:59], v[98:99], -v[4:5]
	v_fmac_f64_e32 v[104:105], v[60:61], v[98:99]
	v_add_f64 v[2:3], v[2:3], v[4:5]
	v_add_f64 v[12:13], v[12:13], v[104:105]
	s_waitcnt vmcnt(2)
	v_add_f64 v[2:3], v[100:101], -v[2:3]
	s_waitcnt vmcnt(0)
	v_add_f64 v[4:5], v[102:103], -v[12:13]
	buffer_store_dword v3, off, s[0:3], 0 offset:500
	buffer_store_dword v2, off, s[0:3], 0 offset:496
	;; [unrolled: 1-line block ×4, first 2 shown]
	s_and_saveexec_b64 s[4:5], vcc
	s_cbranch_execz .LBB42_213
; %bb.212:
	v_accvgpr_read_b32 v0, a99
	buffer_load_dword v2, v0, s[0:3], 0 offen
	buffer_load_dword v3, v0, s[0:3], 0 offen offset:4
	buffer_load_dword v4, v0, s[0:3], 0 offen offset:8
	;; [unrolled: 1-line block ×3, first 2 shown]
	v_mov_b32_e32 v0, 0
	v_accvgpr_read_b32 v1, a129
	buffer_store_dword v0, off, s[0:3], 0 offset:480
	buffer_store_dword v0, off, s[0:3], 0 offset:484
	;; [unrolled: 1-line block ×4, first 2 shown]
	s_waitcnt vmcnt(4)
	ds_write_b128 v1, v[2:5]
.LBB42_213:
	s_or_b64 exec, exec, s[4:5]
	s_waitcnt lgkmcnt(0)
	; wave barrier
	s_waitcnt lgkmcnt(0)
	buffer_load_dword v2, off, s[0:3], 0 offset:496
	buffer_load_dword v3, off, s[0:3], 0 offset:500
	;; [unrolled: 1-line block ×56, first 2 shown]
	v_mov_b32_e32 v24, 0
	ds_read_b128 v[18:21], v24 offset:1168
	ds_read_b128 v[26:29], v24 offset:1184
	;; [unrolled: 1-line block ×9, first 2 shown]
	v_cmp_lt_u32_e32 vcc, 28, v255
	s_waitcnt vmcnt(52) lgkmcnt(8)
	v_mul_f64 v[54:55], v[18:19], v[6:7]
	v_fmac_f64_e32 v[54:55], v[20:21], v[2:3]
	v_mul_f64 v[6:7], v[20:21], v[6:7]
	v_add_f64 v[54:55], v[54:55], 0
	s_waitcnt vmcnt(48) lgkmcnt(7)
	v_mul_f64 v[56:57], v[26:27], v[8:9]
	v_fmac_f64_e32 v[56:57], v[28:29], v[4:5]
	s_waitcnt vmcnt(46) lgkmcnt(6)
	v_mul_f64 v[58:59], v[30:31], v[10:11]
	v_fma_f64 v[2:3], v[18:19], v[2:3], -v[6:7]
	v_mul_f64 v[6:7], v[28:29], v[8:9]
	v_add_f64 v[54:55], v[54:55], v[56:57]
	v_add_f64 v[2:3], v[2:3], 0
	v_fma_f64 v[4:5], v[26:27], v[4:5], -v[6:7]
	s_waitcnt vmcnt(40) lgkmcnt(5)
	v_mul_f64 v[60:61], v[34:35], v[16:17]
	s_waitcnt lgkmcnt(4)
	v_mul_f64 v[62:63], v[38:39], v[12:13]
	v_add_f64 v[2:3], v[2:3], v[4:5]
	v_mul_f64 v[4:5], v[32:33], v[10:11]
	s_waitcnt vmcnt(36) lgkmcnt(3)
	v_mul_f64 v[64:65], v[42:43], v[76:77]
	v_fmac_f64_e32 v[62:63], v[40:41], v[14:15]
	s_waitcnt vmcnt(35) lgkmcnt(2)
	v_mul_f64 v[66:67], v[46:47], v[22:23]
	s_waitcnt vmcnt(33)
	v_fmac_f64_e32 v[58:59], v[32:33], v[78:79]
	v_add_f64 v[54:55], v[54:55], v[58:59]
	s_waitcnt vmcnt(31)
	v_fmac_f64_e32 v[60:61], v[36:37], v[80:81]
	v_add_f64 v[54:55], v[54:55], v[60:61]
	v_fma_f64 v[4:5], v[30:31], v[78:79], -v[4:5]
	s_waitcnt vmcnt(29)
	v_fmac_f64_e32 v[64:65], v[44:45], v[82:83]
	v_add_f64 v[54:55], v[54:55], v[62:63]
	v_add_f64 v[2:3], v[2:3], v[4:5]
	v_mul_f64 v[4:5], v[36:37], v[16:17]
	s_waitcnt vmcnt(28)
	v_fmac_f64_e32 v[66:67], v[48:49], v[74:75]
	v_add_f64 v[54:55], v[54:55], v[64:65]
	v_fma_f64 v[4:5], v[34:35], v[80:81], -v[4:5]
	v_add_f64 v[58:59], v[54:55], v[66:67]
	ds_read_b128 v[54:57], v24 offset:1296
	s_waitcnt vmcnt(24) lgkmcnt(2)
	v_mul_f64 v[60:61], v[50:51], v[88:89]
	v_add_f64 v[2:3], v[2:3], v[4:5]
	v_mul_f64 v[4:5], v[40:41], v[12:13]
	s_waitcnt vmcnt(22)
	v_fmac_f64_e32 v[60:61], v[52:53], v[90:91]
	v_fma_f64 v[4:5], v[38:39], v[14:15], -v[4:5]
	v_add_f64 v[62:63], v[58:59], v[60:61]
	ds_read_b128 v[58:61], v24 offset:1312
	v_add_f64 v[2:3], v[2:3], v[4:5]
	v_mul_f64 v[4:5], v[44:45], v[76:77]
	v_fma_f64 v[4:5], v[42:43], v[82:83], -v[4:5]
	v_add_f64 v[2:3], v[2:3], v[4:5]
	v_mul_f64 v[4:5], v[48:49], v[22:23]
	s_waitcnt vmcnt(20) lgkmcnt(1)
	v_mul_f64 v[64:65], v[54:55], v[84:85]
	v_fma_f64 v[4:5], v[46:47], v[74:75], -v[4:5]
	v_fmac_f64_e32 v[64:65], v[56:57], v[86:87]
	v_add_f64 v[2:3], v[2:3], v[4:5]
	v_mul_f64 v[4:5], v[52:53], v[88:89]
	v_add_f64 v[66:67], v[62:63], v[64:65]
	ds_read_b128 v[62:65], v24 offset:1328
	s_waitcnt vmcnt(16) lgkmcnt(1)
	v_mul_f64 v[68:69], v[58:59], v[96:97]
	v_fma_f64 v[4:5], v[50:51], v[90:91], -v[4:5]
	s_waitcnt vmcnt(14)
	v_fmac_f64_e32 v[68:69], v[60:61], v[98:99]
	v_add_f64 v[2:3], v[2:3], v[4:5]
	v_mul_f64 v[4:5], v[56:57], v[84:85]
	v_add_f64 v[112:113], v[66:67], v[68:69]
	ds_read_b128 v[66:69], v24 offset:1344
	v_fma_f64 v[4:5], v[54:55], v[86:87], -v[4:5]
	v_add_f64 v[2:3], v[2:3], v[4:5]
	v_mul_f64 v[4:5], v[60:61], v[96:97]
	v_fma_f64 v[4:5], v[58:59], v[98:99], -v[4:5]
	v_add_f64 v[2:3], v[2:3], v[4:5]
	s_waitcnt vmcnt(12) lgkmcnt(1)
	v_mul_f64 v[4:5], v[64:65], v[92:93]
	v_mul_f64 v[114:115], v[62:63], v[92:93]
	v_fma_f64 v[4:5], v[62:63], v[94:95], -v[4:5]
	v_fmac_f64_e32 v[114:115], v[64:65], v[94:95]
	v_add_f64 v[2:3], v[2:3], v[4:5]
	s_waitcnt vmcnt(8) lgkmcnt(0)
	v_mul_f64 v[4:5], v[68:69], v[104:105]
	v_add_f64 v[112:113], v[112:113], v[114:115]
	v_mul_f64 v[114:115], v[66:67], v[104:105]
	s_waitcnt vmcnt(6)
	v_fma_f64 v[4:5], v[66:67], v[106:107], -v[4:5]
	v_fmac_f64_e32 v[114:115], v[68:69], v[106:107]
	v_add_f64 v[2:3], v[2:3], v[4:5]
	s_waitcnt vmcnt(5)
	v_mul_f64 v[4:5], v[72:73], v[100:101]
	v_add_f64 v[112:113], v[112:113], v[114:115]
	v_mul_f64 v[114:115], v[70:71], v[100:101]
	s_waitcnt vmcnt(4)
	v_fma_f64 v[4:5], v[70:71], v[102:103], -v[4:5]
	v_fmac_f64_e32 v[114:115], v[72:73], v[102:103]
	v_add_f64 v[2:3], v[2:3], v[4:5]
	v_add_f64 v[112:113], v[112:113], v[114:115]
	s_waitcnt vmcnt(2)
	v_add_f64 v[2:3], v[108:109], -v[2:3]
	s_waitcnt vmcnt(0)
	v_add_f64 v[4:5], v[110:111], -v[112:113]
	buffer_store_dword v3, off, s[0:3], 0 offset:484
	buffer_store_dword v2, off, s[0:3], 0 offset:480
	;; [unrolled: 1-line block ×4, first 2 shown]
	s_and_saveexec_b64 s[4:5], vcc
	s_cbranch_execz .LBB42_215
; %bb.214:
	v_accvgpr_read_b32 v0, a100
	buffer_load_dword v2, v0, s[0:3], 0 offen
	buffer_load_dword v3, v0, s[0:3], 0 offen offset:4
	buffer_load_dword v4, v0, s[0:3], 0 offen offset:8
	;; [unrolled: 1-line block ×3, first 2 shown]
	v_accvgpr_read_b32 v0, a129
	buffer_store_dword v24, off, s[0:3], 0 offset:464
	buffer_store_dword v24, off, s[0:3], 0 offset:468
	buffer_store_dword v24, off, s[0:3], 0 offset:472
	buffer_store_dword v24, off, s[0:3], 0 offset:476
	s_waitcnt vmcnt(4)
	ds_write_b128 v0, v[2:5]
.LBB42_215:
	s_or_b64 exec, exec, s[4:5]
	s_waitcnt lgkmcnt(0)
	; wave barrier
	s_waitcnt lgkmcnt(0)
	buffer_load_dword v2, off, s[0:3], 0 offset:480
	buffer_load_dword v3, off, s[0:3], 0 offset:484
	;; [unrolled: 1-line block ×60, first 2 shown]
	ds_read_b128 v[26:29], v24 offset:1152
	ds_read_b128 v[30:33], v24 offset:1168
	;; [unrolled: 1-line block ×8, first 2 shown]
	v_cmp_lt_u32_e32 vcc, 27, v255
	ds_read_b128 v[78:81], v24 offset:1360
	s_waitcnt vmcnt(56) lgkmcnt(8)
	v_mul_f64 v[58:59], v[26:27], v[6:7]
	v_fmac_f64_e32 v[58:59], v[28:29], v[2:3]
	v_add_f64 v[58:59], v[58:59], 0
	v_mul_f64 v[6:7], v[28:29], v[6:7]
	s_waitcnt vmcnt(52) lgkmcnt(7)
	v_mul_f64 v[60:61], v[30:31], v[8:9]
	v_fmac_f64_e32 v[60:61], v[32:33], v[4:5]
	s_waitcnt vmcnt(50) lgkmcnt(6)
	v_mul_f64 v[62:63], v[34:35], v[10:11]
	v_add_f64 v[58:59], v[58:59], v[60:61]
	s_waitcnt vmcnt(48) lgkmcnt(4)
	v_mul_f64 v[66:67], v[42:43], v[12:13]
	v_fma_f64 v[2:3], v[26:27], v[2:3], -v[6:7]
	s_waitcnt vmcnt(46)
	v_fmac_f64_e32 v[66:67], v[44:45], v[14:15]
	v_mul_f64 v[6:7], v[32:33], v[8:9]
	s_waitcnt vmcnt(44)
	v_mul_f64 v[64:65], v[38:39], v[16:17]
	v_add_f64 v[2:3], v[2:3], 0
	v_fma_f64 v[4:5], v[30:31], v[4:5], -v[6:7]
	v_add_f64 v[2:3], v[2:3], v[4:5]
	s_waitcnt vmcnt(40) lgkmcnt(3)
	v_mul_f64 v[68:69], v[46:47], v[22:23]
	v_mul_f64 v[4:5], v[36:37], v[10:11]
	s_waitcnt vmcnt(38)
	v_fmac_f64_e32 v[62:63], v[36:37], v[82:83]
	v_add_f64 v[58:59], v[58:59], v[62:63]
	s_waitcnt vmcnt(36)
	v_fmac_f64_e32 v[64:65], v[40:41], v[84:85]
	v_add_f64 v[58:59], v[58:59], v[64:65]
	s_waitcnt vmcnt(34)
	v_fmac_f64_e32 v[68:69], v[48:49], v[86:87]
	v_add_f64 v[58:59], v[58:59], v[66:67]
	s_waitcnt vmcnt(32) lgkmcnt(2)
	v_mul_f64 v[60:61], v[50:51], v[18:19]
	v_add_f64 v[58:59], v[58:59], v[68:69]
	v_fmac_f64_e32 v[60:61], v[52:53], v[20:21]
	v_add_f64 v[62:63], v[58:59], v[60:61]
	ds_read_b128 v[58:61], v24 offset:1280
	v_fma_f64 v[4:5], v[34:35], v[82:83], -v[4:5]
	v_add_f64 v[2:3], v[2:3], v[4:5]
	v_mul_f64 v[4:5], v[40:41], v[16:17]
	v_fma_f64 v[4:5], v[38:39], v[84:85], -v[4:5]
	s_waitcnt vmcnt(28) lgkmcnt(2)
	v_mul_f64 v[64:65], v[54:55], v[92:93]
	v_add_f64 v[2:3], v[2:3], v[4:5]
	v_mul_f64 v[4:5], v[44:45], v[12:13]
	s_waitcnt vmcnt(26)
	v_fmac_f64_e32 v[64:65], v[56:57], v[94:95]
	v_fma_f64 v[4:5], v[42:43], v[14:15], -v[4:5]
	v_add_f64 v[66:67], v[62:63], v[64:65]
	ds_read_b128 v[62:65], v24 offset:1296
	s_waitcnt vmcnt(24) lgkmcnt(1)
	v_mul_f64 v[68:69], v[58:59], v[88:89]
	v_add_f64 v[2:3], v[2:3], v[4:5]
	v_mul_f64 v[4:5], v[48:49], v[22:23]
	v_fmac_f64_e32 v[68:69], v[60:61], v[90:91]
	v_fma_f64 v[4:5], v[46:47], v[86:87], -v[4:5]
	v_add_f64 v[70:71], v[66:67], v[68:69]
	ds_read_b128 v[66:69], v24 offset:1312
	v_add_f64 v[2:3], v[2:3], v[4:5]
	v_mul_f64 v[4:5], v[52:53], v[18:19]
	v_fma_f64 v[4:5], v[50:51], v[20:21], -v[4:5]
	v_add_f64 v[2:3], v[2:3], v[4:5]
	v_mul_f64 v[4:5], v[56:57], v[92:93]
	s_waitcnt vmcnt(20) lgkmcnt(1)
	v_mul_f64 v[72:73], v[62:63], v[100:101]
	v_fma_f64 v[4:5], v[54:55], v[94:95], -v[4:5]
	s_waitcnt vmcnt(18)
	v_fmac_f64_e32 v[72:73], v[64:65], v[102:103]
	v_add_f64 v[2:3], v[2:3], v[4:5]
	v_mul_f64 v[4:5], v[60:61], v[88:89]
	v_add_f64 v[74:75], v[70:71], v[72:73]
	ds_read_b128 v[70:73], v24 offset:1328
	s_waitcnt vmcnt(16) lgkmcnt(1)
	v_mul_f64 v[76:77], v[66:67], v[96:97]
	v_fma_f64 v[4:5], v[58:59], v[90:91], -v[4:5]
	v_fmac_f64_e32 v[76:77], v[68:69], v[98:99]
	v_add_f64 v[2:3], v[2:3], v[4:5]
	v_mul_f64 v[4:5], v[64:65], v[100:101]
	v_add_f64 v[120:121], v[74:75], v[76:77]
	ds_read_b128 v[74:77], v24 offset:1344
	v_fma_f64 v[4:5], v[62:63], v[102:103], -v[4:5]
	v_add_f64 v[2:3], v[2:3], v[4:5]
	v_mul_f64 v[4:5], v[68:69], v[96:97]
	v_fma_f64 v[4:5], v[66:67], v[98:99], -v[4:5]
	v_add_f64 v[2:3], v[2:3], v[4:5]
	s_waitcnt vmcnt(12) lgkmcnt(1)
	v_mul_f64 v[4:5], v[72:73], v[108:109]
	v_mul_f64 v[122:123], v[70:71], v[108:109]
	s_waitcnt vmcnt(10)
	v_fma_f64 v[4:5], v[70:71], v[110:111], -v[4:5]
	v_fmac_f64_e32 v[122:123], v[72:73], v[110:111]
	v_add_f64 v[2:3], v[2:3], v[4:5]
	s_waitcnt vmcnt(8) lgkmcnt(0)
	v_mul_f64 v[4:5], v[76:77], v[104:105]
	v_add_f64 v[24:25], v[120:121], v[122:123]
	v_mul_f64 v[120:121], v[74:75], v[104:105]
	v_fma_f64 v[4:5], v[74:75], v[106:107], -v[4:5]
	v_fmac_f64_e32 v[120:121], v[76:77], v[106:107]
	v_add_f64 v[2:3], v[2:3], v[4:5]
	s_waitcnt vmcnt(6)
	v_mul_f64 v[4:5], v[80:81], v[112:113]
	v_add_f64 v[24:25], v[24:25], v[120:121]
	v_mul_f64 v[120:121], v[78:79], v[112:113]
	s_waitcnt vmcnt(4)
	v_fma_f64 v[4:5], v[78:79], v[114:115], -v[4:5]
	v_fmac_f64_e32 v[120:121], v[80:81], v[114:115]
	v_add_f64 v[2:3], v[2:3], v[4:5]
	v_add_f64 v[24:25], v[24:25], v[120:121]
	s_waitcnt vmcnt(2)
	v_add_f64 v[2:3], v[116:117], -v[2:3]
	s_waitcnt vmcnt(0)
	v_add_f64 v[4:5], v[118:119], -v[24:25]
	buffer_store_dword v3, off, s[0:3], 0 offset:468
	buffer_store_dword v2, off, s[0:3], 0 offset:464
	;; [unrolled: 1-line block ×4, first 2 shown]
	s_and_saveexec_b64 s[4:5], vcc
	s_cbranch_execz .LBB42_217
; %bb.216:
	v_accvgpr_read_b32 v0, a101
	buffer_load_dword v2, v0, s[0:3], 0 offen
	buffer_load_dword v3, v0, s[0:3], 0 offen offset:4
	buffer_load_dword v4, v0, s[0:3], 0 offen offset:8
	buffer_load_dword v5, v0, s[0:3], 0 offen offset:12
	v_mov_b32_e32 v0, 0
	v_accvgpr_read_b32 v1, a129
	buffer_store_dword v0, off, s[0:3], 0 offset:448
	buffer_store_dword v0, off, s[0:3], 0 offset:452
	;; [unrolled: 1-line block ×4, first 2 shown]
	s_waitcnt vmcnt(4)
	ds_write_b128 v1, v[2:5]
.LBB42_217:
	s_or_b64 exec, exec, s[4:5]
	s_waitcnt lgkmcnt(0)
	; wave barrier
	s_waitcnt lgkmcnt(0)
	buffer_load_dword v2, off, s[0:3], 0 offset:464
	buffer_load_dword v3, off, s[0:3], 0 offset:468
	;; [unrolled: 1-line block ×64, first 2 shown]
	v_mov_b32_e32 v46, 0
	ds_read_b128 v[38:41], v46 offset:1136
	ds_read_b128 v[42:45], v46 offset:1152
	;; [unrolled: 1-line block ×7, first 2 shown]
	v_cmp_lt_u32_e32 vcc, 26, v255
	s_waitcnt vmcnt(60) lgkmcnt(6)
	v_mul_f64 v[64:65], v[38:39], v[4:5]
	v_fmac_f64_e32 v[64:65], v[40:41], v[2:3]
	s_waitcnt vmcnt(58) lgkmcnt(5)
	v_mul_f64 v[66:67], v[42:43], v[6:7]
	v_add_f64 v[64:65], v[64:65], 0
	s_waitcnt vmcnt(56) lgkmcnt(4)
	v_mul_f64 v[68:69], v[48:49], v[8:9]
	v_mul_f64 v[4:5], v[40:41], v[4:5]
	s_waitcnt vmcnt(54) lgkmcnt(2)
	v_mul_f64 v[72:73], v[56:57], v[10:11]
	v_fma_f64 v[2:3], v[38:39], v[2:3], -v[4:5]
	v_mul_f64 v[4:5], v[44:45], v[6:7]
	s_waitcnt vmcnt(51)
	v_mul_f64 v[70:71], v[52:53], v[14:15]
	v_add_f64 v[2:3], v[2:3], 0
	s_waitcnt vmcnt(49)
	v_fmac_f64_e32 v[66:67], v[44:45], v[20:21]
	v_add_f64 v[64:65], v[64:65], v[66:67]
	s_waitcnt vmcnt(47)
	v_fmac_f64_e32 v[68:69], v[50:51], v[18:19]
	;; [unrolled: 3-line block ×4, first 2 shown]
	v_add_f64 v[68:69], v[64:65], v[72:73]
	ds_read_b128 v[64:67], v46 offset:1232
	s_waitcnt vmcnt(40) lgkmcnt(2)
	v_mul_f64 v[70:71], v[60:61], v[26:27]
	v_fma_f64 v[4:5], v[42:43], v[20:21], -v[4:5]
	s_waitcnt vmcnt(38)
	v_fmac_f64_e32 v[70:71], v[62:63], v[28:29]
	v_add_f64 v[72:73], v[68:69], v[70:71]
	ds_read_b128 v[68:71], v46 offset:1248
	s_waitcnt vmcnt(37) lgkmcnt(1)
	v_mul_f64 v[74:75], v[64:65], v[22:23]
	s_waitcnt vmcnt(36)
	v_fmac_f64_e32 v[74:75], v[66:67], v[24:25]
	v_add_f64 v[2:3], v[2:3], v[4:5]
	v_mul_f64 v[4:5], v[50:51], v[8:9]
	v_add_f64 v[76:77], v[72:73], v[74:75]
	ds_read_b128 v[72:75], v46 offset:1264
	s_waitcnt vmcnt(32) lgkmcnt(1)
	v_mul_f64 v[78:79], v[68:69], v[34:35]
	v_fma_f64 v[4:5], v[48:49], v[18:19], -v[4:5]
	s_waitcnt vmcnt(30)
	v_fmac_f64_e32 v[78:79], v[70:71], v[36:37]
	v_add_f64 v[2:3], v[2:3], v[4:5]
	v_mul_f64 v[4:5], v[54:55], v[14:15]
	v_add_f64 v[80:81], v[76:77], v[78:79]
	ds_read_b128 v[76:79], v46 offset:1280
	v_fma_f64 v[4:5], v[52:53], v[16:17], -v[4:5]
	v_add_f64 v[2:3], v[2:3], v[4:5]
	v_mul_f64 v[4:5], v[58:59], v[10:11]
	v_fma_f64 v[4:5], v[56:57], v[12:13], -v[4:5]
	s_waitcnt vmcnt(29) lgkmcnt(1)
	v_mul_f64 v[82:83], v[72:73], v[30:31]
	v_add_f64 v[2:3], v[2:3], v[4:5]
	v_mul_f64 v[4:5], v[62:63], v[26:27]
	s_waitcnt vmcnt(28)
	v_fmac_f64_e32 v[82:83], v[74:75], v[32:33]
	v_fma_f64 v[4:5], v[60:61], v[28:29], -v[4:5]
	v_add_f64 v[84:85], v[80:81], v[82:83]
	ds_read_b128 v[80:83], v46 offset:1296
	s_waitcnt vmcnt(24) lgkmcnt(1)
	v_mul_f64 v[86:87], v[76:77], v[104:105]
	v_add_f64 v[2:3], v[2:3], v[4:5]
	v_mul_f64 v[4:5], v[66:67], v[22:23]
	s_waitcnt vmcnt(22)
	v_fmac_f64_e32 v[86:87], v[78:79], v[106:107]
	v_fma_f64 v[4:5], v[64:65], v[24:25], -v[4:5]
	v_add_f64 v[88:89], v[84:85], v[86:87]
	ds_read_b128 v[84:87], v46 offset:1312
	v_add_f64 v[2:3], v[2:3], v[4:5]
	v_mul_f64 v[4:5], v[70:71], v[34:35]
	v_fma_f64 v[4:5], v[68:69], v[36:37], -v[4:5]
	v_add_f64 v[2:3], v[2:3], v[4:5]
	v_mul_f64 v[4:5], v[74:75], v[30:31]
	s_waitcnt vmcnt(21) lgkmcnt(1)
	v_mul_f64 v[90:91], v[80:81], v[100:101]
	v_fma_f64 v[4:5], v[72:73], v[32:33], -v[4:5]
	s_waitcnt vmcnt(20)
	v_fmac_f64_e32 v[90:91], v[82:83], v[102:103]
	v_add_f64 v[2:3], v[2:3], v[4:5]
	v_mul_f64 v[4:5], v[78:79], v[104:105]
	v_add_f64 v[92:93], v[88:89], v[90:91]
	ds_read_b128 v[88:91], v46 offset:1328
	s_waitcnt vmcnt(16) lgkmcnt(1)
	v_mul_f64 v[94:95], v[84:85], v[112:113]
	v_fma_f64 v[4:5], v[76:77], v[106:107], -v[4:5]
	s_waitcnt vmcnt(14)
	v_fmac_f64_e32 v[94:95], v[86:87], v[114:115]
	v_add_f64 v[2:3], v[2:3], v[4:5]
	v_mul_f64 v[4:5], v[82:83], v[100:101]
	v_add_f64 v[128:129], v[92:93], v[94:95]
	ds_read_b128 v[92:95], v46 offset:1344
	v_fma_f64 v[4:5], v[80:81], v[102:103], -v[4:5]
	v_add_f64 v[2:3], v[2:3], v[4:5]
	v_mul_f64 v[4:5], v[86:87], v[112:113]
	v_fma_f64 v[4:5], v[84:85], v[114:115], -v[4:5]
	v_add_f64 v[2:3], v[2:3], v[4:5]
	s_waitcnt vmcnt(13) lgkmcnt(1)
	v_mul_f64 v[4:5], v[90:91], v[108:109]
	v_mul_f64 v[130:131], v[88:89], v[108:109]
	s_waitcnt vmcnt(12)
	v_fma_f64 v[4:5], v[88:89], v[110:111], -v[4:5]
	v_fmac_f64_e32 v[130:131], v[90:91], v[110:111]
	v_add_f64 v[2:3], v[2:3], v[4:5]
	s_waitcnt vmcnt(8) lgkmcnt(0)
	v_mul_f64 v[4:5], v[94:95], v[120:121]
	v_add_f64 v[128:129], v[128:129], v[130:131]
	v_mul_f64 v[130:131], v[92:93], v[120:121]
	s_waitcnt vmcnt(6)
	v_fma_f64 v[4:5], v[92:93], v[122:123], -v[4:5]
	v_fmac_f64_e32 v[130:131], v[94:95], v[122:123]
	v_add_f64 v[2:3], v[2:3], v[4:5]
	s_waitcnt vmcnt(5)
	v_mul_f64 v[4:5], v[98:99], v[116:117]
	v_add_f64 v[128:129], v[128:129], v[130:131]
	v_mul_f64 v[130:131], v[96:97], v[116:117]
	s_waitcnt vmcnt(4)
	v_fma_f64 v[4:5], v[96:97], v[118:119], -v[4:5]
	v_fmac_f64_e32 v[130:131], v[98:99], v[118:119]
	v_add_f64 v[2:3], v[2:3], v[4:5]
	v_add_f64 v[128:129], v[128:129], v[130:131]
	s_waitcnt vmcnt(2)
	v_add_f64 v[2:3], v[124:125], -v[2:3]
	s_waitcnt vmcnt(0)
	v_add_f64 v[4:5], v[126:127], -v[128:129]
	buffer_store_dword v3, off, s[0:3], 0 offset:452
	buffer_store_dword v2, off, s[0:3], 0 offset:448
	buffer_store_dword v5, off, s[0:3], 0 offset:460
	buffer_store_dword v4, off, s[0:3], 0 offset:456
	s_and_saveexec_b64 s[4:5], vcc
	s_cbranch_execz .LBB42_219
; %bb.218:
	v_accvgpr_read_b32 v0, a102
	buffer_load_dword v2, v0, s[0:3], 0 offen
	buffer_load_dword v3, v0, s[0:3], 0 offen offset:4
	buffer_load_dword v4, v0, s[0:3], 0 offen offset:8
	;; [unrolled: 1-line block ×3, first 2 shown]
	v_accvgpr_read_b32 v0, a129
	buffer_store_dword v46, off, s[0:3], 0 offset:432
	buffer_store_dword v46, off, s[0:3], 0 offset:436
	;; [unrolled: 1-line block ×4, first 2 shown]
	s_waitcnt vmcnt(4)
	ds_write_b128 v0, v[2:5]
.LBB42_219:
	s_or_b64 exec, exec, s[4:5]
	s_waitcnt lgkmcnt(0)
	; wave barrier
	s_waitcnt lgkmcnt(0)
	buffer_load_dword v2, off, s[0:3], 0 offset:448
	buffer_load_dword v3, off, s[0:3], 0 offset:452
	;; [unrolled: 1-line block ×64, first 2 shown]
	ds_read_b128 v[48:51], v46 offset:1120
	ds_read_b128 v[52:55], v46 offset:1136
	;; [unrolled: 1-line block ×4, first 2 shown]
	buffer_load_dword v132, off, s[0:3], 0 offset:432
	buffer_load_dword v133, off, s[0:3], 0 offset:436
	;; [unrolled: 1-line block ×4, first 2 shown]
	v_cmp_lt_u32_e32 vcc, 25, v255
	ds_read_b128 v[108:111], v46 offset:1360
	s_waitcnt vmcnt(62) lgkmcnt(4)
	v_mul_f64 v[64:65], v[48:49], v[4:5]
	v_fmac_f64_e32 v[64:65], v[50:51], v[2:3]
	v_add_f64 v[64:65], v[64:65], 0
	s_waitcnt lgkmcnt(2)
	v_mul_f64 v[68:69], v[56:57], v[6:7]
	v_mul_f64 v[4:5], v[50:51], v[4:5]
	v_fma_f64 v[2:3], v[48:49], v[2:3], -v[4:5]
	s_waitcnt vmcnt(58) lgkmcnt(1)
	v_mul_f64 v[70:71], v[60:61], v[12:13]
	v_add_f64 v[2:3], v[2:3], 0
	s_waitcnt vmcnt(56)
	v_mul_f64 v[66:67], v[52:53], v[18:19]
	v_mul_f64 v[4:5], v[54:55], v[18:19]
	s_waitcnt vmcnt(53)
	v_fmac_f64_e32 v[68:69], v[58:59], v[16:17]
	s_waitcnt vmcnt(52)
	v_fmac_f64_e32 v[66:67], v[54:55], v[20:21]
	v_add_f64 v[72:73], v[64:65], v[66:67]
	ds_read_b128 v[64:67], v46 offset:1184
	v_add_f64 v[68:69], v[72:73], v[68:69]
	s_waitcnt vmcnt(50)
	v_fmac_f64_e32 v[70:71], v[62:63], v[14:15]
	v_add_f64 v[72:73], v[68:69], v[70:71]
	ds_read_b128 v[68:71], v46 offset:1200
	s_waitcnt vmcnt(49) lgkmcnt(1)
	v_mul_f64 v[74:75], v[64:65], v[8:9]
	s_waitcnt vmcnt(48)
	v_fmac_f64_e32 v[74:75], v[66:67], v[10:11]
	v_add_f64 v[76:77], v[72:73], v[74:75]
	ds_read_b128 v[72:75], v46 offset:1216
	s_waitcnt vmcnt(44) lgkmcnt(1)
	v_mul_f64 v[78:79], v[68:69], v[26:27]
	;; [unrolled: 6-line block ×3, first 2 shown]
	s_waitcnt vmcnt(40)
	v_fmac_f64_e32 v[82:83], v[74:75], v[24:25]
	v_add_f64 v[84:85], v[80:81], v[82:83]
	ds_read_b128 v[80:83], v46 offset:1248
	v_fma_f64 v[4:5], v[52:53], v[20:21], -v[4:5]
	v_add_f64 v[2:3], v[2:3], v[4:5]
	v_mul_f64 v[4:5], v[58:59], v[6:7]
	s_waitcnt vmcnt(36) lgkmcnt(1)
	v_mul_f64 v[86:87], v[76:77], v[34:35]
	v_fma_f64 v[4:5], v[56:57], v[16:17], -v[4:5]
	s_waitcnt vmcnt(34)
	v_fmac_f64_e32 v[86:87], v[78:79], v[36:37]
	v_add_f64 v[2:3], v[2:3], v[4:5]
	v_mul_f64 v[4:5], v[62:63], v[12:13]
	v_add_f64 v[88:89], v[84:85], v[86:87]
	ds_read_b128 v[84:87], v46 offset:1264
	s_waitcnt vmcnt(33) lgkmcnt(1)
	v_mul_f64 v[90:91], v[80:81], v[30:31]
	v_fma_f64 v[4:5], v[60:61], v[14:15], -v[4:5]
	s_waitcnt vmcnt(32)
	v_fmac_f64_e32 v[90:91], v[82:83], v[32:33]
	v_add_f64 v[2:3], v[2:3], v[4:5]
	v_mul_f64 v[4:5], v[66:67], v[8:9]
	v_add_f64 v[92:93], v[88:89], v[90:91]
	ds_read_b128 v[88:91], v46 offset:1280
	v_fma_f64 v[4:5], v[64:65], v[10:11], -v[4:5]
	v_add_f64 v[2:3], v[2:3], v[4:5]
	v_mul_f64 v[4:5], v[70:71], v[26:27]
	v_fma_f64 v[4:5], v[68:69], v[28:29], -v[4:5]
	s_waitcnt vmcnt(28) lgkmcnt(1)
	v_mul_f64 v[94:95], v[84:85], v[42:43]
	v_add_f64 v[2:3], v[2:3], v[4:5]
	v_mul_f64 v[4:5], v[74:75], v[22:23]
	s_waitcnt vmcnt(26)
	v_fmac_f64_e32 v[94:95], v[86:87], v[44:45]
	v_fma_f64 v[4:5], v[72:73], v[24:25], -v[4:5]
	v_add_f64 v[96:97], v[92:93], v[94:95]
	ds_read_b128 v[92:95], v46 offset:1296
	s_waitcnt vmcnt(25) lgkmcnt(1)
	v_mul_f64 v[98:99], v[88:89], v[38:39]
	v_add_f64 v[2:3], v[2:3], v[4:5]
	v_mul_f64 v[4:5], v[78:79], v[34:35]
	s_waitcnt vmcnt(24)
	v_fmac_f64_e32 v[98:99], v[90:91], v[40:41]
	v_fma_f64 v[4:5], v[76:77], v[36:37], -v[4:5]
	v_add_f64 v[100:101], v[96:97], v[98:99]
	ds_read_b128 v[96:99], v46 offset:1312
	v_add_f64 v[2:3], v[2:3], v[4:5]
	v_mul_f64 v[4:5], v[82:83], v[30:31]
	v_fma_f64 v[4:5], v[80:81], v[32:33], -v[4:5]
	v_add_f64 v[2:3], v[2:3], v[4:5]
	v_mul_f64 v[4:5], v[86:87], v[42:43]
	s_waitcnt vmcnt(20) lgkmcnt(1)
	v_mul_f64 v[102:103], v[92:93], v[116:117]
	v_fma_f64 v[4:5], v[84:85], v[44:45], -v[4:5]
	s_waitcnt vmcnt(18)
	v_fmac_f64_e32 v[102:103], v[94:95], v[118:119]
	v_add_f64 v[2:3], v[2:3], v[4:5]
	v_mul_f64 v[4:5], v[90:91], v[38:39]
	v_add_f64 v[104:105], v[100:101], v[102:103]
	ds_read_b128 v[100:103], v46 offset:1328
	s_waitcnt vmcnt(17) lgkmcnt(1)
	v_mul_f64 v[106:107], v[96:97], v[112:113]
	v_fma_f64 v[4:5], v[88:89], v[40:41], -v[4:5]
	s_waitcnt vmcnt(16)
	v_fmac_f64_e32 v[106:107], v[98:99], v[114:115]
	v_add_f64 v[2:3], v[2:3], v[4:5]
	v_mul_f64 v[4:5], v[94:95], v[116:117]
	v_add_f64 v[136:137], v[104:105], v[106:107]
	ds_read_b128 v[104:107], v46 offset:1344
	v_fma_f64 v[4:5], v[92:93], v[118:119], -v[4:5]
	v_add_f64 v[2:3], v[2:3], v[4:5]
	v_mul_f64 v[4:5], v[98:99], v[112:113]
	v_fma_f64 v[4:5], v[96:97], v[114:115], -v[4:5]
	v_add_f64 v[2:3], v[2:3], v[4:5]
	s_waitcnt vmcnt(12) lgkmcnt(1)
	v_mul_f64 v[4:5], v[102:103], v[124:125]
	v_mul_f64 v[138:139], v[100:101], v[124:125]
	s_waitcnt vmcnt(10)
	v_fma_f64 v[4:5], v[100:101], v[126:127], -v[4:5]
	v_fmac_f64_e32 v[138:139], v[102:103], v[126:127]
	v_add_f64 v[2:3], v[2:3], v[4:5]
	s_waitcnt vmcnt(9) lgkmcnt(0)
	v_mul_f64 v[4:5], v[106:107], v[120:121]
	v_add_f64 v[46:47], v[136:137], v[138:139]
	v_mul_f64 v[136:137], v[104:105], v[120:121]
	s_waitcnt vmcnt(8)
	v_fma_f64 v[4:5], v[104:105], v[122:123], -v[4:5]
	v_fmac_f64_e32 v[136:137], v[106:107], v[122:123]
	v_add_f64 v[2:3], v[2:3], v[4:5]
	s_waitcnt vmcnt(6)
	v_mul_f64 v[4:5], v[110:111], v[128:129]
	v_add_f64 v[46:47], v[46:47], v[136:137]
	v_mul_f64 v[136:137], v[108:109], v[128:129]
	s_waitcnt vmcnt(4)
	v_fma_f64 v[4:5], v[108:109], v[130:131], -v[4:5]
	v_fmac_f64_e32 v[136:137], v[110:111], v[130:131]
	v_add_f64 v[2:3], v[2:3], v[4:5]
	v_add_f64 v[46:47], v[46:47], v[136:137]
	s_waitcnt vmcnt(2)
	v_add_f64 v[2:3], v[132:133], -v[2:3]
	s_waitcnt vmcnt(0)
	v_add_f64 v[4:5], v[134:135], -v[46:47]
	buffer_store_dword v3, off, s[0:3], 0 offset:436
	buffer_store_dword v2, off, s[0:3], 0 offset:432
	;; [unrolled: 1-line block ×4, first 2 shown]
	s_and_saveexec_b64 s[4:5], vcc
	s_cbranch_execz .LBB42_221
; %bb.220:
	v_accvgpr_read_b32 v0, a103
	buffer_load_dword v2, v0, s[0:3], 0 offen
	buffer_load_dword v3, v0, s[0:3], 0 offen offset:4
	buffer_load_dword v4, v0, s[0:3], 0 offen offset:8
	;; [unrolled: 1-line block ×3, first 2 shown]
	v_mov_b32_e32 v0, 0
	v_accvgpr_read_b32 v1, a129
	buffer_store_dword v0, off, s[0:3], 0 offset:416
	buffer_store_dword v0, off, s[0:3], 0 offset:420
	;; [unrolled: 1-line block ×4, first 2 shown]
	s_waitcnt vmcnt(4)
	ds_write_b128 v1, v[2:5]
.LBB42_221:
	s_or_b64 exec, exec, s[4:5]
	s_waitcnt lgkmcnt(0)
	; wave barrier
	s_waitcnt lgkmcnt(0)
	buffer_load_dword v2, off, s[0:3], 0 offset:432
	buffer_load_dword v3, off, s[0:3], 0 offset:436
	;; [unrolled: 1-line block ×68, first 2 shown]
	v_mov_b32_e32 v52, 0
	buffer_load_dword v140, off, s[0:3], 0 offset:416
	buffer_load_dword v141, off, s[0:3], 0 offset:420
	;; [unrolled: 1-line block ×3, first 2 shown]
	ds_read_b128 v[46:49], v52 offset:1104
	ds_read_b128 v[54:57], v52 offset:1120
	buffer_load_dword v143, off, s[0:3], 0 offset:428
	ds_read_b128 v[58:61], v52 offset:1136
	ds_read_b128 v[62:65], v52 offset:1152
	;; [unrolled: 1-line block ×3, first 2 shown]
	v_cmp_lt_u32_e32 vcc, 24, v255
	s_waitcnt vmcnt(62) lgkmcnt(4)
	v_mul_f64 v[66:67], v[46:47], v[6:7]
	v_fmac_f64_e32 v[66:67], v[48:49], v[2:3]
	v_add_f64 v[66:67], v[66:67], 0
	v_mul_f64 v[6:7], v[48:49], v[6:7]
	s_waitcnt lgkmcnt(3)
	v_mul_f64 v[68:69], v[54:55], v[10:11]
	v_fmac_f64_e32 v[68:69], v[56:57], v[4:5]
	v_add_f64 v[66:67], v[66:67], v[68:69]
	v_fma_f64 v[2:3], v[46:47], v[2:3], -v[6:7]
	s_waitcnt vmcnt(60) lgkmcnt(2)
	v_mul_f64 v[68:69], v[58:59], v[12:13]
	v_fmac_f64_e32 v[68:69], v[60:61], v[8:9]
	v_add_f64 v[70:71], v[66:67], v[68:69]
	ds_read_b128 v[66:69], v52 offset:1168
	s_waitcnt vmcnt(56) lgkmcnt(2)
	v_mul_f64 v[72:73], v[62:63], v[18:19]
	v_mul_f64 v[6:7], v[56:57], v[10:11]
	s_waitcnt vmcnt(54)
	v_fmac_f64_e32 v[72:73], v[64:65], v[20:21]
	v_add_f64 v[74:75], v[70:71], v[72:73]
	ds_read_b128 v[70:73], v52 offset:1184
	s_waitcnt vmcnt(53) lgkmcnt(1)
	v_mul_f64 v[76:77], v[66:67], v[14:15]
	s_waitcnt vmcnt(52)
	v_fmac_f64_e32 v[76:77], v[68:69], v[16:17]
	v_add_f64 v[78:79], v[74:75], v[76:77]
	ds_read_b128 v[74:77], v52 offset:1200
	s_waitcnt vmcnt(48) lgkmcnt(1)
	;; [unrolled: 6-line block ×4, first 2 shown]
	v_mul_f64 v[88:89], v[78:79], v[34:35]
	s_waitcnt vmcnt(38)
	v_fmac_f64_e32 v[88:89], v[80:81], v[36:37]
	v_add_f64 v[2:3], v[2:3], 0
	v_fma_f64 v[4:5], v[54:55], v[4:5], -v[6:7]
	v_add_f64 v[90:91], v[86:87], v[88:89]
	ds_read_b128 v[86:89], v52 offset:1248
	v_add_f64 v[2:3], v[2:3], v[4:5]
	v_mul_f64 v[4:5], v[60:61], v[12:13]
	v_fma_f64 v[4:5], v[58:59], v[8:9], -v[4:5]
	v_add_f64 v[2:3], v[2:3], v[4:5]
	v_mul_f64 v[4:5], v[64:65], v[18:19]
	s_waitcnt vmcnt(37) lgkmcnt(1)
	v_mul_f64 v[92:93], v[82:83], v[30:31]
	v_fma_f64 v[4:5], v[62:63], v[20:21], -v[4:5]
	s_waitcnt vmcnt(36)
	v_fmac_f64_e32 v[92:93], v[84:85], v[32:33]
	v_add_f64 v[2:3], v[2:3], v[4:5]
	v_mul_f64 v[4:5], v[68:69], v[14:15]
	v_add_f64 v[94:95], v[90:91], v[92:93]
	ds_read_b128 v[90:93], v52 offset:1264
	s_waitcnt vmcnt(32) lgkmcnt(1)
	v_mul_f64 v[96:97], v[86:87], v[42:43]
	v_fma_f64 v[4:5], v[66:67], v[16:17], -v[4:5]
	s_waitcnt vmcnt(30)
	v_fmac_f64_e32 v[96:97], v[88:89], v[44:45]
	v_add_f64 v[2:3], v[2:3], v[4:5]
	v_mul_f64 v[4:5], v[72:73], v[26:27]
	v_add_f64 v[98:99], v[94:95], v[96:97]
	ds_read_b128 v[94:97], v52 offset:1280
	v_fma_f64 v[4:5], v[70:71], v[28:29], -v[4:5]
	v_add_f64 v[2:3], v[2:3], v[4:5]
	v_mul_f64 v[4:5], v[76:77], v[22:23]
	v_fma_f64 v[4:5], v[74:75], v[24:25], -v[4:5]
	s_waitcnt vmcnt(29) lgkmcnt(1)
	v_mul_f64 v[100:101], v[90:91], v[38:39]
	v_add_f64 v[2:3], v[2:3], v[4:5]
	v_mul_f64 v[4:5], v[80:81], v[34:35]
	s_waitcnt vmcnt(28)
	v_fmac_f64_e32 v[100:101], v[92:93], v[40:41]
	v_fma_f64 v[4:5], v[78:79], v[36:37], -v[4:5]
	v_add_f64 v[102:103], v[98:99], v[100:101]
	ds_read_b128 v[98:101], v52 offset:1296
	s_waitcnt vmcnt(24) lgkmcnt(1)
	v_mul_f64 v[104:105], v[94:95], v[120:121]
	v_add_f64 v[2:3], v[2:3], v[4:5]
	v_mul_f64 v[4:5], v[84:85], v[30:31]
	s_waitcnt vmcnt(22)
	v_fmac_f64_e32 v[104:105], v[96:97], v[122:123]
	v_fma_f64 v[4:5], v[82:83], v[32:33], -v[4:5]
	v_add_f64 v[106:107], v[102:103], v[104:105]
	ds_read_b128 v[102:105], v52 offset:1312
	v_add_f64 v[2:3], v[2:3], v[4:5]
	v_mul_f64 v[4:5], v[88:89], v[42:43]
	v_fma_f64 v[4:5], v[86:87], v[44:45], -v[4:5]
	v_add_f64 v[2:3], v[2:3], v[4:5]
	v_mul_f64 v[4:5], v[92:93], v[38:39]
	s_waitcnt vmcnt(21) lgkmcnt(1)
	v_mul_f64 v[108:109], v[98:99], v[50:51]
	v_fma_f64 v[4:5], v[90:91], v[40:41], -v[4:5]
	s_waitcnt vmcnt(20)
	v_fmac_f64_e32 v[108:109], v[100:101], v[118:119]
	v_add_f64 v[2:3], v[2:3], v[4:5]
	v_mul_f64 v[4:5], v[96:97], v[120:121]
	v_add_f64 v[110:111], v[106:107], v[108:109]
	ds_read_b128 v[106:109], v52 offset:1328
	s_waitcnt vmcnt(16) lgkmcnt(1)
	v_mul_f64 v[112:113], v[102:103], v[128:129]
	v_fma_f64 v[4:5], v[94:95], v[122:123], -v[4:5]
	s_waitcnt vmcnt(14)
	v_fmac_f64_e32 v[112:113], v[104:105], v[130:131]
	v_add_f64 v[2:3], v[2:3], v[4:5]
	v_mul_f64 v[4:5], v[100:101], v[50:51]
	v_add_f64 v[144:145], v[110:111], v[112:113]
	ds_read_b128 v[110:113], v52 offset:1344
	v_fma_f64 v[4:5], v[98:99], v[118:119], -v[4:5]
	v_add_f64 v[2:3], v[2:3], v[4:5]
	v_mul_f64 v[4:5], v[104:105], v[128:129]
	v_fma_f64 v[4:5], v[102:103], v[130:131], -v[4:5]
	v_add_f64 v[2:3], v[2:3], v[4:5]
	s_waitcnt vmcnt(13) lgkmcnt(1)
	v_mul_f64 v[4:5], v[108:109], v[124:125]
	v_mul_f64 v[146:147], v[106:107], v[124:125]
	s_waitcnt vmcnt(12)
	v_fma_f64 v[4:5], v[106:107], v[126:127], -v[4:5]
	v_fmac_f64_e32 v[146:147], v[108:109], v[126:127]
	v_add_f64 v[2:3], v[2:3], v[4:5]
	s_waitcnt vmcnt(8) lgkmcnt(0)
	v_mul_f64 v[4:5], v[112:113], v[136:137]
	v_add_f64 v[144:145], v[144:145], v[146:147]
	v_mul_f64 v[146:147], v[110:111], v[136:137]
	s_waitcnt vmcnt(6)
	v_fma_f64 v[4:5], v[110:111], v[138:139], -v[4:5]
	v_fmac_f64_e32 v[146:147], v[112:113], v[138:139]
	v_add_f64 v[2:3], v[2:3], v[4:5]
	s_waitcnt vmcnt(5)
	v_mul_f64 v[4:5], v[116:117], v[132:133]
	v_add_f64 v[144:145], v[144:145], v[146:147]
	v_mul_f64 v[146:147], v[114:115], v[132:133]
	s_waitcnt vmcnt(4)
	v_fma_f64 v[4:5], v[114:115], v[134:135], -v[4:5]
	v_fmac_f64_e32 v[146:147], v[116:117], v[134:135]
	v_add_f64 v[2:3], v[2:3], v[4:5]
	v_add_f64 v[144:145], v[144:145], v[146:147]
	s_waitcnt vmcnt(2)
	v_add_f64 v[2:3], v[140:141], -v[2:3]
	s_waitcnt vmcnt(0)
	v_add_f64 v[4:5], v[142:143], -v[144:145]
	buffer_store_dword v3, off, s[0:3], 0 offset:420
	buffer_store_dword v2, off, s[0:3], 0 offset:416
	;; [unrolled: 1-line block ×4, first 2 shown]
	s_and_saveexec_b64 s[4:5], vcc
	s_cbranch_execz .LBB42_223
; %bb.222:
	v_accvgpr_read_b32 v0, a104
	buffer_load_dword v2, v0, s[0:3], 0 offen
	buffer_load_dword v3, v0, s[0:3], 0 offen offset:4
	buffer_load_dword v4, v0, s[0:3], 0 offen offset:8
	;; [unrolled: 1-line block ×3, first 2 shown]
	v_accvgpr_read_b32 v0, a129
	buffer_store_dword v52, off, s[0:3], 0 offset:400
	buffer_store_dword v52, off, s[0:3], 0 offset:404
	;; [unrolled: 1-line block ×4, first 2 shown]
	s_waitcnt vmcnt(4)
	ds_write_b128 v0, v[2:5]
.LBB42_223:
	s_or_b64 exec, exec, s[4:5]
	s_waitcnt lgkmcnt(0)
	; wave barrier
	s_waitcnt lgkmcnt(0)
	buffer_load_dword v2, off, s[0:3], 0 offset:416
	buffer_load_dword v3, off, s[0:3], 0 offset:420
	;; [unrolled: 1-line block ×72, first 2 shown]
	ds_read_b128 v[54:57], v52 offset:1088
	buffer_load_dword v148, off, s[0:3], 0 offset:400
	buffer_load_dword v149, off, s[0:3], 0 offset:404
	;; [unrolled: 1-line block ×4, first 2 shown]
	ds_read_b128 v[58:61], v52 offset:1104
	ds_read_b128 v[62:65], v52 offset:1120
	;; [unrolled: 1-line block ×3, first 2 shown]
	v_cmp_lt_u32_e32 vcc, 23, v255
	ds_read_b128 v[124:127], v52 offset:1360
	s_waitcnt vmcnt(62) lgkmcnt(4)
	v_mul_f64 v[70:71], v[54:55], v[8:9]
	v_fmac_f64_e32 v[70:71], v[56:57], v[2:3]
	v_add_f64 v[70:71], v[70:71], 0
	v_mul_f64 v[8:9], v[56:57], v[8:9]
	s_waitcnt lgkmcnt(3)
	v_mul_f64 v[72:73], v[58:59], v[10:11]
	v_fmac_f64_e32 v[72:73], v[60:61], v[4:5]
	v_add_f64 v[70:71], v[70:71], v[72:73]
	v_fma_f64 v[2:3], v[54:55], v[2:3], -v[8:9]
	s_waitcnt lgkmcnt(2)
	v_mul_f64 v[72:73], v[62:63], v[12:13]
	v_fmac_f64_e32 v[72:73], v[64:65], v[6:7]
	v_add_f64 v[74:75], v[70:71], v[72:73]
	ds_read_b128 v[70:73], v52 offset:1152
	s_waitcnt vmcnt(60) lgkmcnt(2)
	v_mul_f64 v[76:77], v[66:67], v[18:19]
	v_mul_f64 v[8:9], v[60:61], v[10:11]
	s_waitcnt vmcnt(58)
	v_fmac_f64_e32 v[76:77], v[68:69], v[20:21]
	v_add_f64 v[78:79], v[74:75], v[76:77]
	ds_read_b128 v[74:77], v52 offset:1168
	s_waitcnt vmcnt(57) lgkmcnt(1)
	v_mul_f64 v[80:81], v[70:71], v[14:15]
	s_waitcnt vmcnt(56)
	v_fmac_f64_e32 v[80:81], v[72:73], v[16:17]
	v_add_f64 v[82:83], v[78:79], v[80:81]
	ds_read_b128 v[78:81], v52 offset:1184
	s_waitcnt vmcnt(52) lgkmcnt(1)
	v_mul_f64 v[84:85], v[74:75], v[26:27]
	s_waitcnt vmcnt(50)
	v_fmac_f64_e32 v[84:85], v[76:77], v[28:29]
	v_add_f64 v[86:87], v[82:83], v[84:85]
	ds_read_b128 v[82:85], v52 offset:1200
	s_waitcnt vmcnt(49) lgkmcnt(1)
	v_mul_f64 v[88:89], v[78:79], v[22:23]
	s_waitcnt vmcnt(48)
	v_fmac_f64_e32 v[88:89], v[80:81], v[24:25]
	v_add_f64 v[90:91], v[86:87], v[88:89]
	ds_read_b128 v[86:89], v52 offset:1216
	s_waitcnt vmcnt(44) lgkmcnt(1)
	v_mul_f64 v[92:93], v[82:83], v[34:35]
	s_waitcnt vmcnt(42)
	v_fmac_f64_e32 v[92:93], v[84:85], v[36:37]
	v_add_f64 v[2:3], v[2:3], 0
	v_fma_f64 v[4:5], v[58:59], v[4:5], -v[8:9]
	v_add_f64 v[94:95], v[90:91], v[92:93]
	ds_read_b128 v[90:93], v52 offset:1232
	s_waitcnt vmcnt(41) lgkmcnt(1)
	v_mul_f64 v[96:97], v[86:87], v[30:31]
	v_add_f64 v[2:3], v[2:3], v[4:5]
	v_mul_f64 v[4:5], v[64:65], v[12:13]
	s_waitcnt vmcnt(40)
	v_fmac_f64_e32 v[96:97], v[88:89], v[32:33]
	v_fma_f64 v[4:5], v[62:63], v[6:7], -v[4:5]
	v_add_f64 v[98:99], v[94:95], v[96:97]
	ds_read_b128 v[94:97], v52 offset:1248
	v_add_f64 v[2:3], v[2:3], v[4:5]
	v_mul_f64 v[4:5], v[68:69], v[18:19]
	v_fma_f64 v[4:5], v[66:67], v[20:21], -v[4:5]
	v_add_f64 v[2:3], v[2:3], v[4:5]
	v_mul_f64 v[4:5], v[72:73], v[14:15]
	s_waitcnt vmcnt(36) lgkmcnt(1)
	v_mul_f64 v[100:101], v[90:91], v[42:43]
	v_fma_f64 v[4:5], v[70:71], v[16:17], -v[4:5]
	s_waitcnt vmcnt(34)
	v_fmac_f64_e32 v[100:101], v[92:93], v[44:45]
	v_add_f64 v[2:3], v[2:3], v[4:5]
	v_mul_f64 v[4:5], v[76:77], v[26:27]
	v_add_f64 v[102:103], v[98:99], v[100:101]
	ds_read_b128 v[98:101], v52 offset:1264
	s_waitcnt vmcnt(33) lgkmcnt(1)
	v_mul_f64 v[104:105], v[94:95], v[38:39]
	v_fma_f64 v[4:5], v[74:75], v[28:29], -v[4:5]
	s_waitcnt vmcnt(32)
	v_fmac_f64_e32 v[104:105], v[96:97], v[40:41]
	v_add_f64 v[2:3], v[2:3], v[4:5]
	v_mul_f64 v[4:5], v[80:81], v[22:23]
	v_add_f64 v[106:107], v[102:103], v[104:105]
	ds_read_b128 v[102:105], v52 offset:1280
	v_fma_f64 v[4:5], v[78:79], v[24:25], -v[4:5]
	v_add_f64 v[2:3], v[2:3], v[4:5]
	v_mul_f64 v[4:5], v[84:85], v[34:35]
	v_fma_f64 v[4:5], v[82:83], v[36:37], -v[4:5]
	s_waitcnt vmcnt(28) lgkmcnt(1)
	v_mul_f64 v[108:109], v[98:99], v[50:51]
	v_add_f64 v[2:3], v[2:3], v[4:5]
	v_mul_f64 v[4:5], v[88:89], v[30:31]
	s_waitcnt vmcnt(26)
	v_fmac_f64_e32 v[108:109], v[100:101], v[118:119]
	v_fma_f64 v[4:5], v[86:87], v[32:33], -v[4:5]
	v_add_f64 v[110:111], v[106:107], v[108:109]
	ds_read_b128 v[106:109], v52 offset:1296
	s_waitcnt vmcnt(25) lgkmcnt(1)
	v_mul_f64 v[112:113], v[102:103], v[46:47]
	v_add_f64 v[2:3], v[2:3], v[4:5]
	v_mul_f64 v[4:5], v[92:93], v[42:43]
	s_waitcnt vmcnt(24)
	v_fmac_f64_e32 v[112:113], v[104:105], v[48:49]
	v_fma_f64 v[4:5], v[90:91], v[44:45], -v[4:5]
	v_add_f64 v[114:115], v[110:111], v[112:113]
	ds_read_b128 v[110:113], v52 offset:1312
	v_add_f64 v[2:3], v[2:3], v[4:5]
	v_mul_f64 v[4:5], v[96:97], v[38:39]
	v_fma_f64 v[4:5], v[94:95], v[40:41], -v[4:5]
	v_add_f64 v[2:3], v[2:3], v[4:5]
	v_mul_f64 v[4:5], v[100:101], v[50:51]
	s_waitcnt vmcnt(20) lgkmcnt(1)
	v_mul_f64 v[116:117], v[106:107], v[132:133]
	v_fma_f64 v[4:5], v[98:99], v[118:119], -v[4:5]
	s_waitcnt vmcnt(18)
	v_fmac_f64_e32 v[116:117], v[108:109], v[134:135]
	v_add_f64 v[2:3], v[2:3], v[4:5]
	v_mul_f64 v[4:5], v[104:105], v[46:47]
	v_add_f64 v[120:121], v[114:115], v[116:117]
	ds_read_b128 v[114:117], v52 offset:1328
	s_waitcnt vmcnt(17) lgkmcnt(1)
	v_mul_f64 v[122:123], v[110:111], v[128:129]
	v_fma_f64 v[4:5], v[102:103], v[48:49], -v[4:5]
	s_waitcnt vmcnt(16)
	v_fmac_f64_e32 v[122:123], v[112:113], v[130:131]
	v_add_f64 v[2:3], v[2:3], v[4:5]
	v_mul_f64 v[4:5], v[108:109], v[132:133]
	v_add_f64 v[152:153], v[120:121], v[122:123]
	ds_read_b128 v[120:123], v52 offset:1344
	v_fma_f64 v[4:5], v[106:107], v[134:135], -v[4:5]
	v_add_f64 v[2:3], v[2:3], v[4:5]
	v_mul_f64 v[4:5], v[112:113], v[128:129]
	v_fma_f64 v[4:5], v[110:111], v[130:131], -v[4:5]
	v_add_f64 v[2:3], v[2:3], v[4:5]
	s_waitcnt vmcnt(12) lgkmcnt(1)
	v_mul_f64 v[4:5], v[116:117], v[140:141]
	v_mul_f64 v[154:155], v[114:115], v[140:141]
	s_waitcnt vmcnt(10)
	v_fma_f64 v[4:5], v[114:115], v[142:143], -v[4:5]
	v_fmac_f64_e32 v[154:155], v[116:117], v[142:143]
	v_add_f64 v[2:3], v[2:3], v[4:5]
	s_waitcnt vmcnt(9) lgkmcnt(0)
	v_mul_f64 v[4:5], v[122:123], v[136:137]
	v_add_f64 v[52:53], v[152:153], v[154:155]
	v_mul_f64 v[152:153], v[120:121], v[136:137]
	s_waitcnt vmcnt(8)
	v_fma_f64 v[4:5], v[120:121], v[138:139], -v[4:5]
	v_fmac_f64_e32 v[152:153], v[122:123], v[138:139]
	v_add_f64 v[2:3], v[2:3], v[4:5]
	s_waitcnt vmcnt(6)
	v_mul_f64 v[4:5], v[126:127], v[144:145]
	v_add_f64 v[52:53], v[52:53], v[152:153]
	v_mul_f64 v[152:153], v[124:125], v[144:145]
	s_waitcnt vmcnt(4)
	v_fma_f64 v[4:5], v[124:125], v[146:147], -v[4:5]
	v_fmac_f64_e32 v[152:153], v[126:127], v[146:147]
	v_add_f64 v[2:3], v[2:3], v[4:5]
	v_add_f64 v[52:53], v[52:53], v[152:153]
	s_waitcnt vmcnt(2)
	v_add_f64 v[2:3], v[148:149], -v[2:3]
	s_waitcnt vmcnt(0)
	v_add_f64 v[4:5], v[150:151], -v[52:53]
	buffer_store_dword v3, off, s[0:3], 0 offset:404
	buffer_store_dword v2, off, s[0:3], 0 offset:400
	;; [unrolled: 1-line block ×4, first 2 shown]
	s_and_saveexec_b64 s[4:5], vcc
	s_cbranch_execz .LBB42_225
; %bb.224:
	v_accvgpr_read_b32 v0, a105
	buffer_load_dword v2, v0, s[0:3], 0 offen
	buffer_load_dword v3, v0, s[0:3], 0 offen offset:4
	buffer_load_dword v4, v0, s[0:3], 0 offen offset:8
	;; [unrolled: 1-line block ×3, first 2 shown]
	v_mov_b32_e32 v0, 0
	v_accvgpr_read_b32 v1, a129
	buffer_store_dword v0, off, s[0:3], 0 offset:384
	buffer_store_dword v0, off, s[0:3], 0 offset:388
	buffer_store_dword v0, off, s[0:3], 0 offset:392
	buffer_store_dword v0, off, s[0:3], 0 offset:396
	s_waitcnt vmcnt(4)
	ds_write_b128 v1, v[2:5]
.LBB42_225:
	s_or_b64 exec, exec, s[4:5]
	s_waitcnt lgkmcnt(0)
	; wave barrier
	s_waitcnt lgkmcnt(0)
	buffer_load_dword v2, off, s[0:3], 0 offset:400
	buffer_load_dword v3, off, s[0:3], 0 offset:404
	;; [unrolled: 1-line block ×76, first 2 shown]
	v_mov_b32_e32 v54, 0
	ds_read_b128 v[56:59], v54 offset:1072
	buffer_load_dword v156, off, s[0:3], 0 offset:384
	buffer_load_dword v157, off, s[0:3], 0 offset:388
	;; [unrolled: 1-line block ×4, first 2 shown]
	ds_read_b128 v[60:63], v54 offset:1088
	ds_read_b128 v[64:67], v54 offset:1104
	;; [unrolled: 1-line block ×4, first 2 shown]
	v_cmp_lt_u32_e32 vcc, 22, v255
	s_waitcnt vmcnt(62) lgkmcnt(4)
	v_mul_f64 v[72:73], v[56:57], v[8:9]
	v_fmac_f64_e32 v[72:73], v[58:59], v[2:3]
	v_add_f64 v[72:73], v[72:73], 0
	v_mul_f64 v[8:9], v[58:59], v[8:9]
	s_waitcnt lgkmcnt(3)
	v_mul_f64 v[74:75], v[60:61], v[10:11]
	v_fmac_f64_e32 v[74:75], v[62:63], v[4:5]
	v_add_f64 v[72:73], v[72:73], v[74:75]
	v_fma_f64 v[2:3], v[56:57], v[2:3], -v[8:9]
	s_waitcnt lgkmcnt(2)
	v_mul_f64 v[74:75], v[64:65], v[12:13]
	v_fmac_f64_e32 v[74:75], v[66:67], v[6:7]
	v_add_f64 v[76:77], v[72:73], v[74:75]
	ds_read_b128 v[72:75], v54 offset:1136
	s_waitcnt lgkmcnt(2)
	v_mul_f64 v[78:79], v[68:69], v[18:19]
	v_mul_f64 v[8:9], v[62:63], v[10:11]
	v_fmac_f64_e32 v[78:79], v[70:71], v[20:21]
	v_add_f64 v[80:81], v[76:77], v[78:79]
	ds_read_b128 v[76:79], v54 offset:1152
	s_waitcnt vmcnt(61) lgkmcnt(1)
	v_mul_f64 v[82:83], v[72:73], v[14:15]
	s_waitcnt vmcnt(60)
	v_fmac_f64_e32 v[82:83], v[74:75], v[16:17]
	v_add_f64 v[84:85], v[80:81], v[82:83]
	ds_read_b128 v[80:83], v54 offset:1168
	s_waitcnt vmcnt(56) lgkmcnt(1)
	v_mul_f64 v[86:87], v[76:77], v[26:27]
	s_waitcnt vmcnt(54)
	;; [unrolled: 6-line block ×4, first 2 shown]
	v_fmac_f64_e32 v[94:95], v[86:87], v[36:37]
	v_add_f64 v[96:97], v[92:93], v[94:95]
	ds_read_b128 v[92:95], v54 offset:1216
	v_add_f64 v[2:3], v[2:3], 0
	v_fma_f64 v[4:5], v[60:61], v[4:5], -v[8:9]
	s_waitcnt vmcnt(45) lgkmcnt(1)
	v_mul_f64 v[98:99], v[88:89], v[30:31]
	v_add_f64 v[2:3], v[2:3], v[4:5]
	v_mul_f64 v[4:5], v[66:67], v[12:13]
	s_waitcnt vmcnt(44)
	v_fmac_f64_e32 v[98:99], v[90:91], v[32:33]
	v_fma_f64 v[4:5], v[64:65], v[6:7], -v[4:5]
	v_add_f64 v[100:101], v[96:97], v[98:99]
	ds_read_b128 v[96:99], v54 offset:1232
	s_waitcnt vmcnt(40) lgkmcnt(1)
	v_mul_f64 v[102:103], v[92:93], v[42:43]
	v_add_f64 v[2:3], v[2:3], v[4:5]
	v_mul_f64 v[4:5], v[70:71], v[18:19]
	s_waitcnt vmcnt(38)
	v_fmac_f64_e32 v[102:103], v[94:95], v[44:45]
	v_fma_f64 v[4:5], v[68:69], v[20:21], -v[4:5]
	v_add_f64 v[104:105], v[100:101], v[102:103]
	ds_read_b128 v[100:103], v54 offset:1248
	v_add_f64 v[2:3], v[2:3], v[4:5]
	v_mul_f64 v[4:5], v[74:75], v[14:15]
	v_fma_f64 v[4:5], v[72:73], v[16:17], -v[4:5]
	v_add_f64 v[2:3], v[2:3], v[4:5]
	v_mul_f64 v[4:5], v[78:79], v[26:27]
	s_waitcnt vmcnt(37) lgkmcnt(1)
	v_mul_f64 v[106:107], v[96:97], v[38:39]
	v_fma_f64 v[4:5], v[76:77], v[28:29], -v[4:5]
	s_waitcnt vmcnt(36)
	v_fmac_f64_e32 v[106:107], v[98:99], v[40:41]
	v_add_f64 v[2:3], v[2:3], v[4:5]
	v_mul_f64 v[4:5], v[82:83], v[22:23]
	v_add_f64 v[108:109], v[104:105], v[106:107]
	ds_read_b128 v[104:107], v54 offset:1264
	s_waitcnt vmcnt(32) lgkmcnt(1)
	v_mul_f64 v[110:111], v[100:101], v[50:51]
	v_fma_f64 v[4:5], v[80:81], v[24:25], -v[4:5]
	s_waitcnt vmcnt(30)
	v_fmac_f64_e32 v[110:111], v[102:103], v[52:53]
	v_add_f64 v[2:3], v[2:3], v[4:5]
	v_mul_f64 v[4:5], v[86:87], v[34:35]
	v_add_f64 v[112:113], v[108:109], v[110:111]
	ds_read_b128 v[108:111], v54 offset:1280
	v_fma_f64 v[4:5], v[84:85], v[36:37], -v[4:5]
	v_add_f64 v[2:3], v[2:3], v[4:5]
	v_mul_f64 v[4:5], v[90:91], v[30:31]
	v_fma_f64 v[4:5], v[88:89], v[32:33], -v[4:5]
	s_waitcnt vmcnt(29) lgkmcnt(1)
	v_mul_f64 v[114:115], v[104:105], v[46:47]
	v_add_f64 v[2:3], v[2:3], v[4:5]
	v_mul_f64 v[4:5], v[94:95], v[42:43]
	s_waitcnt vmcnt(28)
	v_fmac_f64_e32 v[114:115], v[106:107], v[48:49]
	v_fma_f64 v[4:5], v[92:93], v[44:45], -v[4:5]
	v_add_f64 v[120:121], v[112:113], v[114:115]
	ds_read_b128 v[112:115], v54 offset:1296
	s_waitcnt vmcnt(24) lgkmcnt(1)
	v_mul_f64 v[122:123], v[108:109], v[136:137]
	v_add_f64 v[2:3], v[2:3], v[4:5]
	v_mul_f64 v[4:5], v[98:99], v[38:39]
	s_waitcnt vmcnt(22)
	v_fmac_f64_e32 v[122:123], v[110:111], v[138:139]
	v_fma_f64 v[4:5], v[96:97], v[40:41], -v[4:5]
	v_add_f64 v[124:125], v[120:121], v[122:123]
	ds_read_b128 v[120:123], v54 offset:1312
	v_add_f64 v[2:3], v[2:3], v[4:5]
	v_mul_f64 v[4:5], v[102:103], v[50:51]
	v_fma_f64 v[4:5], v[100:101], v[52:53], -v[4:5]
	v_add_f64 v[2:3], v[2:3], v[4:5]
	v_mul_f64 v[4:5], v[106:107], v[46:47]
	s_waitcnt vmcnt(21) lgkmcnt(1)
	v_mul_f64 v[126:127], v[112:113], v[116:117]
	v_fma_f64 v[4:5], v[104:105], v[48:49], -v[4:5]
	s_waitcnt vmcnt(20)
	v_fmac_f64_e32 v[126:127], v[114:115], v[118:119]
	v_add_f64 v[2:3], v[2:3], v[4:5]
	v_mul_f64 v[4:5], v[110:111], v[136:137]
	v_add_f64 v[128:129], v[124:125], v[126:127]
	ds_read_b128 v[124:127], v54 offset:1328
	s_waitcnt vmcnt(16) lgkmcnt(1)
	v_mul_f64 v[130:131], v[120:121], v[144:145]
	v_fma_f64 v[4:5], v[108:109], v[138:139], -v[4:5]
	s_waitcnt vmcnt(14)
	v_fmac_f64_e32 v[130:131], v[122:123], v[146:147]
	v_add_f64 v[2:3], v[2:3], v[4:5]
	v_mul_f64 v[4:5], v[114:115], v[116:117]
	v_add_f64 v[160:161], v[128:129], v[130:131]
	ds_read_b128 v[128:131], v54 offset:1344
	v_fma_f64 v[4:5], v[112:113], v[118:119], -v[4:5]
	v_add_f64 v[2:3], v[2:3], v[4:5]
	v_mul_f64 v[4:5], v[122:123], v[144:145]
	v_fma_f64 v[4:5], v[120:121], v[146:147], -v[4:5]
	v_add_f64 v[2:3], v[2:3], v[4:5]
	s_waitcnt vmcnt(13) lgkmcnt(1)
	v_mul_f64 v[4:5], v[126:127], v[140:141]
	v_mul_f64 v[162:163], v[124:125], v[140:141]
	s_waitcnt vmcnt(12)
	v_fma_f64 v[4:5], v[124:125], v[142:143], -v[4:5]
	v_fmac_f64_e32 v[162:163], v[126:127], v[142:143]
	v_add_f64 v[2:3], v[2:3], v[4:5]
	s_waitcnt vmcnt(8) lgkmcnt(0)
	v_mul_f64 v[4:5], v[130:131], v[152:153]
	v_add_f64 v[160:161], v[160:161], v[162:163]
	v_mul_f64 v[162:163], v[128:129], v[152:153]
	s_waitcnt vmcnt(6)
	v_fma_f64 v[4:5], v[128:129], v[154:155], -v[4:5]
	v_fmac_f64_e32 v[162:163], v[130:131], v[154:155]
	v_add_f64 v[2:3], v[2:3], v[4:5]
	s_waitcnt vmcnt(5)
	v_mul_f64 v[4:5], v[134:135], v[148:149]
	v_add_f64 v[160:161], v[160:161], v[162:163]
	v_mul_f64 v[162:163], v[132:133], v[148:149]
	s_waitcnt vmcnt(4)
	v_fma_f64 v[4:5], v[132:133], v[150:151], -v[4:5]
	v_fmac_f64_e32 v[162:163], v[134:135], v[150:151]
	v_add_f64 v[2:3], v[2:3], v[4:5]
	v_add_f64 v[160:161], v[160:161], v[162:163]
	s_waitcnt vmcnt(2)
	v_add_f64 v[2:3], v[156:157], -v[2:3]
	s_waitcnt vmcnt(0)
	v_add_f64 v[4:5], v[158:159], -v[160:161]
	buffer_store_dword v3, off, s[0:3], 0 offset:388
	buffer_store_dword v2, off, s[0:3], 0 offset:384
	;; [unrolled: 1-line block ×4, first 2 shown]
	s_and_saveexec_b64 s[4:5], vcc
	s_cbranch_execz .LBB42_227
; %bb.226:
	v_accvgpr_read_b32 v0, a106
	buffer_load_dword v2, v0, s[0:3], 0 offen
	buffer_load_dword v3, v0, s[0:3], 0 offen offset:4
	buffer_load_dword v4, v0, s[0:3], 0 offen offset:8
	;; [unrolled: 1-line block ×3, first 2 shown]
	v_accvgpr_read_b32 v0, a129
	buffer_store_dword v54, off, s[0:3], 0 offset:368
	buffer_store_dword v54, off, s[0:3], 0 offset:372
	;; [unrolled: 1-line block ×4, first 2 shown]
	s_waitcnt vmcnt(4)
	ds_write_b128 v0, v[2:5]
.LBB42_227:
	s_or_b64 exec, exec, s[4:5]
	s_waitcnt lgkmcnt(0)
	; wave barrier
	s_waitcnt lgkmcnt(0)
	buffer_load_dword v2, off, s[0:3], 0 offset:384
	buffer_load_dword v3, off, s[0:3], 0 offset:388
	;; [unrolled: 1-line block ×76, first 2 shown]
	ds_read_b128 v[56:59], v54 offset:1056
	buffer_load_dword v161, off, s[0:3], 0 offset:700
	buffer_load_dword v160, off, s[0:3], 0 offset:696
	;; [unrolled: 1-line block ×8, first 2 shown]
	ds_read_b128 v[60:63], v54 offset:1072
	ds_read_b128 v[64:67], v54 offset:1088
	;; [unrolled: 1-line block ×3, first 2 shown]
	v_cmp_lt_u32_e32 vcc, 21, v255
	ds_read_b128 v[136:139], v54 offset:1360
	s_waitcnt vmcnt(62) lgkmcnt(4)
	v_mul_f64 v[72:73], v[56:57], v[8:9]
	v_fmac_f64_e32 v[72:73], v[58:59], v[2:3]
	v_add_f64 v[72:73], v[72:73], 0
	v_mul_f64 v[8:9], v[58:59], v[8:9]
	s_waitcnt lgkmcnt(3)
	v_mul_f64 v[74:75], v[60:61], v[10:11]
	v_fmac_f64_e32 v[74:75], v[62:63], v[4:5]
	v_add_f64 v[72:73], v[72:73], v[74:75]
	v_fma_f64 v[2:3], v[56:57], v[2:3], -v[8:9]
	s_waitcnt lgkmcnt(2)
	v_mul_f64 v[74:75], v[64:65], v[12:13]
	v_fmac_f64_e32 v[74:75], v[66:67], v[6:7]
	v_add_f64 v[76:77], v[72:73], v[74:75]
	ds_read_b128 v[72:75], v54 offset:1120
	v_mul_f64 v[8:9], v[62:63], v[10:11]
	v_add_f64 v[2:3], v[2:3], 0
	s_waitcnt lgkmcnt(2)
	v_mul_f64 v[78:79], v[68:69], v[18:19]
	v_fma_f64 v[4:5], v[60:61], v[4:5], -v[8:9]
	v_fmac_f64_e32 v[78:79], v[70:71], v[20:21]
	v_add_f64 v[80:81], v[76:77], v[78:79]
	ds_read_b128 v[76:79], v54 offset:1136
	s_waitcnt lgkmcnt(1)
	v_mul_f64 v[82:83], v[72:73], v[14:15]
	v_fmac_f64_e32 v[82:83], v[74:75], v[16:17]
	v_add_f64 v[84:85], v[80:81], v[82:83]
	ds_read_b128 v[80:83], v54 offset:1152
	s_waitcnt vmcnt(58) lgkmcnt(1)
	v_mul_f64 v[86:87], v[76:77], v[26:27]
	s_waitcnt vmcnt(56)
	v_fmac_f64_e32 v[86:87], v[78:79], v[28:29]
	v_add_f64 v[88:89], v[84:85], v[86:87]
	ds_read_b128 v[84:87], v54 offset:1168
	s_waitcnt lgkmcnt(1)
	v_mul_f64 v[90:91], v[80:81], v[22:23]
	v_fmac_f64_e32 v[90:91], v[82:83], v[24:25]
	v_add_f64 v[92:93], v[88:89], v[90:91]
	ds_read_b128 v[88:91], v54 offset:1184
	s_waitcnt vmcnt(50) lgkmcnt(1)
	v_mul_f64 v[94:95], v[84:85], v[34:35]
	s_waitcnt vmcnt(48)
	v_fmac_f64_e32 v[94:95], v[86:87], v[36:37]
	v_add_f64 v[96:97], v[92:93], v[94:95]
	ds_read_b128 v[92:95], v54 offset:1200
	s_waitcnt lgkmcnt(1)
	v_mul_f64 v[98:99], v[88:89], v[30:31]
	v_fmac_f64_e32 v[98:99], v[90:91], v[32:33]
	v_add_f64 v[100:101], v[96:97], v[98:99]
	ds_read_b128 v[96:99], v54 offset:1216
	v_add_f64 v[2:3], v[2:3], v[4:5]
	v_mul_f64 v[4:5], v[66:67], v[12:13]
	v_fma_f64 v[4:5], v[64:65], v[6:7], -v[4:5]
	s_waitcnt vmcnt(42) lgkmcnt(1)
	v_mul_f64 v[102:103], v[92:93], v[42:43]
	v_add_f64 v[2:3], v[2:3], v[4:5]
	v_mul_f64 v[4:5], v[70:71], v[18:19]
	s_waitcnt vmcnt(40)
	v_fmac_f64_e32 v[102:103], v[94:95], v[44:45]
	v_fma_f64 v[4:5], v[68:69], v[20:21], -v[4:5]
	v_add_f64 v[104:105], v[100:101], v[102:103]
	ds_read_b128 v[100:103], v54 offset:1232
	s_waitcnt lgkmcnt(1)
	v_mul_f64 v[106:107], v[96:97], v[38:39]
	v_add_f64 v[2:3], v[2:3], v[4:5]
	v_mul_f64 v[4:5], v[74:75], v[14:15]
	v_fmac_f64_e32 v[106:107], v[98:99], v[40:41]
	v_fma_f64 v[4:5], v[72:73], v[16:17], -v[4:5]
	v_add_f64 v[108:109], v[104:105], v[106:107]
	ds_read_b128 v[104:107], v54 offset:1248
	v_add_f64 v[2:3], v[2:3], v[4:5]
	v_mul_f64 v[4:5], v[78:79], v[26:27]
	v_fma_f64 v[4:5], v[76:77], v[28:29], -v[4:5]
	v_add_f64 v[2:3], v[2:3], v[4:5]
	v_mul_f64 v[4:5], v[82:83], v[22:23]
	s_waitcnt vmcnt(34) lgkmcnt(1)
	v_mul_f64 v[110:111], v[100:101], v[50:51]
	v_fma_f64 v[4:5], v[80:81], v[24:25], -v[4:5]
	s_waitcnt vmcnt(32)
	v_fmac_f64_e32 v[110:111], v[102:103], v[52:53]
	v_add_f64 v[2:3], v[2:3], v[4:5]
	v_mul_f64 v[4:5], v[86:87], v[34:35]
	v_add_f64 v[112:113], v[108:109], v[110:111]
	ds_read_b128 v[108:111], v54 offset:1264
	s_waitcnt lgkmcnt(1)
	v_mul_f64 v[114:115], v[104:105], v[46:47]
	v_fma_f64 v[4:5], v[84:85], v[36:37], -v[4:5]
	v_fmac_f64_e32 v[114:115], v[106:107], v[48:49]
	v_add_f64 v[2:3], v[2:3], v[4:5]
	v_mul_f64 v[4:5], v[90:91], v[30:31]
	v_add_f64 v[120:121], v[112:113], v[114:115]
	ds_read_b128 v[112:115], v54 offset:1280
	v_fma_f64 v[4:5], v[88:89], v[32:33], -v[4:5]
	v_add_f64 v[2:3], v[2:3], v[4:5]
	v_mul_f64 v[4:5], v[94:95], v[42:43]
	v_fma_f64 v[4:5], v[92:93], v[44:45], -v[4:5]
	s_waitcnt vmcnt(26) lgkmcnt(1)
	v_mul_f64 v[122:123], v[108:109], v[140:141]
	v_add_f64 v[2:3], v[2:3], v[4:5]
	v_mul_f64 v[4:5], v[98:99], v[38:39]
	s_waitcnt vmcnt(24)
	v_fmac_f64_e32 v[122:123], v[110:111], v[142:143]
	v_fma_f64 v[4:5], v[96:97], v[40:41], -v[4:5]
	v_add_f64 v[124:125], v[120:121], v[122:123]
	ds_read_b128 v[120:123], v54 offset:1296
	s_waitcnt lgkmcnt(1)
	v_mul_f64 v[126:127], v[112:113], v[116:117]
	v_add_f64 v[2:3], v[2:3], v[4:5]
	v_mul_f64 v[4:5], v[102:103], v[50:51]
	v_fmac_f64_e32 v[126:127], v[114:115], v[118:119]
	v_fma_f64 v[4:5], v[100:101], v[52:53], -v[4:5]
	v_add_f64 v[128:129], v[124:125], v[126:127]
	ds_read_b128 v[124:127], v54 offset:1312
	v_add_f64 v[2:3], v[2:3], v[4:5]
	v_mul_f64 v[4:5], v[106:107], v[46:47]
	v_fma_f64 v[4:5], v[104:105], v[48:49], -v[4:5]
	v_add_f64 v[2:3], v[2:3], v[4:5]
	v_mul_f64 v[4:5], v[110:111], v[140:141]
	s_waitcnt vmcnt(18) lgkmcnt(1)
	v_mul_f64 v[130:131], v[120:121], v[148:149]
	v_fma_f64 v[4:5], v[108:109], v[142:143], -v[4:5]
	s_waitcnt vmcnt(16)
	v_fmac_f64_e32 v[130:131], v[122:123], v[150:151]
	v_add_f64 v[2:3], v[2:3], v[4:5]
	v_mul_f64 v[4:5], v[114:115], v[116:117]
	v_add_f64 v[132:133], v[128:129], v[130:131]
	ds_read_b128 v[128:131], v54 offset:1328
	s_waitcnt lgkmcnt(1)
	v_mul_f64 v[134:135], v[124:125], v[144:145]
	v_fma_f64 v[4:5], v[112:113], v[118:119], -v[4:5]
	v_fmac_f64_e32 v[134:135], v[126:127], v[146:147]
	v_add_f64 v[2:3], v[2:3], v[4:5]
	v_mul_f64 v[4:5], v[122:123], v[148:149]
	v_add_f64 v[168:169], v[132:133], v[134:135]
	ds_read_b128 v[132:135], v54 offset:1344
	v_fma_f64 v[4:5], v[120:121], v[150:151], -v[4:5]
	v_add_f64 v[2:3], v[2:3], v[4:5]
	v_mul_f64 v[4:5], v[126:127], v[144:145]
	v_fma_f64 v[4:5], v[124:125], v[146:147], -v[4:5]
	v_add_f64 v[2:3], v[2:3], v[4:5]
	s_waitcnt vmcnt(10) lgkmcnt(1)
	v_mul_f64 v[4:5], v[130:131], v[156:157]
	v_mul_f64 v[170:171], v[128:129], v[156:157]
	s_waitcnt vmcnt(8)
	v_fma_f64 v[4:5], v[128:129], v[158:159], -v[4:5]
	v_fmac_f64_e32 v[170:171], v[130:131], v[158:159]
	v_add_f64 v[2:3], v[2:3], v[4:5]
	s_waitcnt lgkmcnt(0)
	v_mul_f64 v[4:5], v[134:135], v[152:153]
	v_add_f64 v[54:55], v[168:169], v[170:171]
	v_mul_f64 v[168:169], v[132:133], v[152:153]
	v_fma_f64 v[4:5], v[132:133], v[154:155], -v[4:5]
	v_fmac_f64_e32 v[168:169], v[134:135], v[154:155]
	v_add_f64 v[2:3], v[2:3], v[4:5]
	s_waitcnt vmcnt(6)
	v_mul_f64 v[4:5], v[138:139], v[160:161]
	v_add_f64 v[54:55], v[54:55], v[168:169]
	v_mul_f64 v[168:169], v[136:137], v[160:161]
	s_waitcnt vmcnt(4)
	v_fma_f64 v[4:5], v[136:137], v[162:163], -v[4:5]
	v_fmac_f64_e32 v[168:169], v[138:139], v[162:163]
	v_add_f64 v[2:3], v[2:3], v[4:5]
	v_add_f64 v[54:55], v[54:55], v[168:169]
	s_waitcnt vmcnt(2)
	v_add_f64 v[2:3], v[164:165], -v[2:3]
	s_waitcnt vmcnt(0)
	v_add_f64 v[4:5], v[166:167], -v[54:55]
	buffer_store_dword v3, off, s[0:3], 0 offset:372
	buffer_store_dword v2, off, s[0:3], 0 offset:368
	;; [unrolled: 1-line block ×4, first 2 shown]
	s_and_saveexec_b64 s[4:5], vcc
	s_cbranch_execz .LBB42_229
; %bb.228:
	v_accvgpr_read_b32 v0, a107
	buffer_load_dword v2, v0, s[0:3], 0 offen
	buffer_load_dword v3, v0, s[0:3], 0 offen offset:4
	buffer_load_dword v4, v0, s[0:3], 0 offen offset:8
	;; [unrolled: 1-line block ×3, first 2 shown]
	v_mov_b32_e32 v0, 0
	v_accvgpr_read_b32 v1, a129
	buffer_store_dword v0, off, s[0:3], 0 offset:352
	buffer_store_dword v0, off, s[0:3], 0 offset:356
	buffer_store_dword v0, off, s[0:3], 0 offset:360
	buffer_store_dword v0, off, s[0:3], 0 offset:364
	s_waitcnt vmcnt(4)
	ds_write_b128 v1, v[2:5]
.LBB42_229:
	s_or_b64 exec, exec, s[4:5]
	s_waitcnt lgkmcnt(0)
	; wave barrier
	s_waitcnt lgkmcnt(0)
	buffer_load_dword v4, off, s[0:3], 0 offset:352
	buffer_load_dword v5, off, s[0:3], 0 offset:356
	;; [unrolled: 1-line block ×84, first 2 shown]
	v_mov_b32_e32 v86, 0
	ds_read_b128 v[66:69], v86 offset:1040
	buffer_load_dword v173, off, s[0:3], 0 offset:700
	buffer_load_dword v172, off, s[0:3], 0 offset:696
	;; [unrolled: 1-line block ×4, first 2 shown]
	ds_read_b128 v[70:73], v86 offset:1056
	ds_read_b128 v[74:77], v86 offset:1072
	;; [unrolled: 1-line block ×4, first 2 shown]
	v_cmp_lt_u32_e32 vcc, 20, v255
	s_waitcnt vmcnt(62) lgkmcnt(4)
	v_mul_f64 v[82:83], v[66:67], v[12:13]
	v_fmac_f64_e32 v[82:83], v[68:69], v[6:7]
	s_waitcnt lgkmcnt(3)
	v_mul_f64 v[84:85], v[70:71], v[14:15]
	v_add_f64 v[82:83], v[82:83], 0
	v_fmac_f64_e32 v[84:85], v[72:73], v[8:9]
	v_add_f64 v[82:83], v[82:83], v[84:85]
	s_waitcnt lgkmcnt(2)
	v_mul_f64 v[84:85], v[74:75], v[16:17]
	v_fmac_f64_e32 v[84:85], v[76:77], v[10:11]
	v_add_f64 v[88:89], v[82:83], v[84:85]
	ds_read_b128 v[82:85], v86 offset:1104
	v_mul_f64 v[12:13], v[68:69], v[12:13]
	s_waitcnt lgkmcnt(2)
	v_mul_f64 v[90:91], v[78:79], v[22:23]
	v_fma_f64 v[6:7], v[66:67], v[6:7], -v[12:13]
	v_fmac_f64_e32 v[90:91], v[80:81], v[24:25]
	v_add_f64 v[92:93], v[88:89], v[90:91]
	ds_read_b128 v[88:91], v86 offset:1120
	s_waitcnt lgkmcnt(1)
	v_mul_f64 v[94:95], v[82:83], v[18:19]
	v_fmac_f64_e32 v[94:95], v[84:85], v[20:21]
	v_add_f64 v[96:97], v[92:93], v[94:95]
	ds_read_b128 v[92:95], v86 offset:1136
	s_waitcnt vmcnt(58) lgkmcnt(1)
	v_mul_f64 v[98:99], v[88:89], v[30:31]
	s_waitcnt vmcnt(56)
	v_fmac_f64_e32 v[98:99], v[90:91], v[32:33]
	v_add_f64 v[100:101], v[96:97], v[98:99]
	ds_read_b128 v[96:99], v86 offset:1152
	s_waitcnt lgkmcnt(1)
	v_mul_f64 v[102:103], v[92:93], v[26:27]
	v_fmac_f64_e32 v[102:103], v[94:95], v[28:29]
	v_add_f64 v[104:105], v[100:101], v[102:103]
	ds_read_b128 v[100:103], v86 offset:1168
	s_waitcnt vmcnt(50) lgkmcnt(1)
	v_mul_f64 v[106:107], v[96:97], v[38:39]
	s_waitcnt vmcnt(48)
	v_fmac_f64_e32 v[106:107], v[98:99], v[40:41]
	v_add_f64 v[108:109], v[104:105], v[106:107]
	ds_read_b128 v[104:107], v86 offset:1184
	s_waitcnt lgkmcnt(1)
	v_mul_f64 v[110:111], v[100:101], v[34:35]
	v_fmac_f64_e32 v[110:111], v[102:103], v[36:37]
	v_mul_f64 v[12:13], v[72:73], v[14:15]
	v_add_f64 v[112:113], v[108:109], v[110:111]
	ds_read_b128 v[108:111], v86 offset:1200
	s_waitcnt vmcnt(42) lgkmcnt(1)
	v_mul_f64 v[114:115], v[104:105], v[46:47]
	v_add_f64 v[6:7], v[6:7], 0
	v_fma_f64 v[8:9], v[70:71], v[8:9], -v[12:13]
	s_waitcnt vmcnt(40)
	v_fmac_f64_e32 v[114:115], v[106:107], v[48:49]
	v_add_f64 v[6:7], v[6:7], v[8:9]
	v_mul_f64 v[8:9], v[76:77], v[16:17]
	v_add_f64 v[120:121], v[112:113], v[114:115]
	ds_read_b128 v[112:115], v86 offset:1216
	v_fma_f64 v[8:9], v[74:75], v[10:11], -v[8:9]
	v_add_f64 v[6:7], v[6:7], v[8:9]
	v_mul_f64 v[8:9], v[80:81], v[22:23]
	v_fma_f64 v[8:9], v[78:79], v[24:25], -v[8:9]
	s_waitcnt lgkmcnt(1)
	v_mul_f64 v[122:123], v[108:109], v[42:43]
	v_add_f64 v[6:7], v[6:7], v[8:9]
	v_mul_f64 v[8:9], v[84:85], v[18:19]
	v_fmac_f64_e32 v[122:123], v[110:111], v[44:45]
	v_fma_f64 v[8:9], v[82:83], v[20:21], -v[8:9]
	v_add_f64 v[124:125], v[120:121], v[122:123]
	ds_read_b128 v[120:123], v86 offset:1232
	s_waitcnt vmcnt(34) lgkmcnt(1)
	v_mul_f64 v[126:127], v[112:113], v[54:55]
	v_add_f64 v[6:7], v[6:7], v[8:9]
	v_mul_f64 v[8:9], v[90:91], v[30:31]
	s_waitcnt vmcnt(32)
	v_fmac_f64_e32 v[126:127], v[114:115], v[56:57]
	v_fma_f64 v[8:9], v[88:89], v[32:33], -v[8:9]
	v_add_f64 v[128:129], v[124:125], v[126:127]
	ds_read_b128 v[124:127], v86 offset:1248
	v_add_f64 v[6:7], v[6:7], v[8:9]
	v_mul_f64 v[8:9], v[94:95], v[26:27]
	v_fma_f64 v[8:9], v[92:93], v[28:29], -v[8:9]
	v_add_f64 v[6:7], v[6:7], v[8:9]
	v_mul_f64 v[8:9], v[98:99], v[38:39]
	s_waitcnt lgkmcnt(1)
	v_mul_f64 v[130:131], v[120:121], v[50:51]
	v_fma_f64 v[8:9], v[96:97], v[40:41], -v[8:9]
	v_fmac_f64_e32 v[130:131], v[122:123], v[52:53]
	v_add_f64 v[6:7], v[6:7], v[8:9]
	v_mul_f64 v[8:9], v[102:103], v[34:35]
	v_add_f64 v[132:133], v[128:129], v[130:131]
	ds_read_b128 v[128:131], v86 offset:1264
	s_waitcnt vmcnt(26) lgkmcnt(1)
	v_mul_f64 v[134:135], v[124:125], v[62:63]
	v_fma_f64 v[8:9], v[100:101], v[36:37], -v[8:9]
	s_waitcnt vmcnt(24)
	v_fmac_f64_e32 v[134:135], v[126:127], v[64:65]
	v_add_f64 v[6:7], v[6:7], v[8:9]
	v_mul_f64 v[8:9], v[106:107], v[46:47]
	v_add_f64 v[136:137], v[132:133], v[134:135]
	ds_read_b128 v[132:135], v86 offset:1280
	v_fma_f64 v[8:9], v[104:105], v[48:49], -v[8:9]
	v_add_f64 v[6:7], v[6:7], v[8:9]
	v_mul_f64 v[8:9], v[110:111], v[42:43]
	v_fma_f64 v[8:9], v[108:109], v[44:45], -v[8:9]
	s_waitcnt lgkmcnt(1)
	v_mul_f64 v[138:139], v[128:129], v[58:59]
	v_add_f64 v[6:7], v[6:7], v[8:9]
	v_mul_f64 v[8:9], v[114:115], v[54:55]
	v_fmac_f64_e32 v[138:139], v[130:131], v[60:61]
	v_fma_f64 v[8:9], v[112:113], v[56:57], -v[8:9]
	v_add_f64 v[140:141], v[136:137], v[138:139]
	ds_read_b128 v[136:139], v86 offset:1296
	s_waitcnt vmcnt(18) lgkmcnt(1)
	v_mul_f64 v[142:143], v[132:133], v[156:157]
	v_add_f64 v[6:7], v[6:7], v[8:9]
	v_mul_f64 v[8:9], v[122:123], v[50:51]
	s_waitcnt vmcnt(16)
	v_fmac_f64_e32 v[142:143], v[134:135], v[158:159]
	v_fma_f64 v[8:9], v[120:121], v[52:53], -v[8:9]
	v_add_f64 v[144:145], v[140:141], v[142:143]
	ds_read_b128 v[140:143], v86 offset:1312
	v_add_f64 v[6:7], v[6:7], v[8:9]
	v_mul_f64 v[8:9], v[126:127], v[62:63]
	v_fma_f64 v[8:9], v[124:125], v[64:65], -v[8:9]
	v_add_f64 v[6:7], v[6:7], v[8:9]
	v_mul_f64 v[8:9], v[130:131], v[58:59]
	s_waitcnt lgkmcnt(1)
	v_mul_f64 v[146:147], v[136:137], v[116:117]
	v_fma_f64 v[8:9], v[128:129], v[60:61], -v[8:9]
	v_fmac_f64_e32 v[146:147], v[138:139], v[118:119]
	v_add_f64 v[6:7], v[6:7], v[8:9]
	v_mul_f64 v[8:9], v[134:135], v[156:157]
	v_add_f64 v[148:149], v[144:145], v[146:147]
	ds_read_b128 v[144:147], v86 offset:1328
	s_waitcnt vmcnt(10) lgkmcnt(1)
	v_mul_f64 v[150:151], v[140:141], v[164:165]
	v_fma_f64 v[8:9], v[132:133], v[158:159], -v[8:9]
	s_waitcnt vmcnt(8)
	v_fmac_f64_e32 v[150:151], v[142:143], v[166:167]
	v_add_f64 v[6:7], v[6:7], v[8:9]
	v_mul_f64 v[8:9], v[138:139], v[116:117]
	v_add_f64 v[176:177], v[148:149], v[150:151]
	ds_read_b128 v[148:151], v86 offset:1344
	v_fma_f64 v[8:9], v[136:137], v[118:119], -v[8:9]
	v_add_f64 v[6:7], v[6:7], v[8:9]
	v_mul_f64 v[8:9], v[142:143], v[164:165]
	v_fma_f64 v[8:9], v[140:141], v[166:167], -v[8:9]
	v_add_f64 v[6:7], v[6:7], v[8:9]
	s_waitcnt lgkmcnt(1)
	v_mul_f64 v[8:9], v[146:147], v[160:161]
	v_mul_f64 v[178:179], v[144:145], v[160:161]
	v_fma_f64 v[8:9], v[144:145], v[162:163], -v[8:9]
	v_fmac_f64_e32 v[178:179], v[146:147], v[162:163]
	v_add_f64 v[6:7], v[6:7], v[8:9]
	s_waitcnt vmcnt(6) lgkmcnt(0)
	v_mul_f64 v[8:9], v[150:151], v[168:169]
	v_add_f64 v[176:177], v[176:177], v[178:179]
	v_mul_f64 v[178:179], v[148:149], v[168:169]
	s_waitcnt vmcnt(4)
	v_fma_f64 v[8:9], v[148:149], v[170:171], -v[8:9]
	v_fmac_f64_e32 v[178:179], v[150:151], v[170:171]
	v_add_f64 v[6:7], v[6:7], v[8:9]
	s_waitcnt vmcnt(2)
	v_mul_f64 v[8:9], v[154:155], v[172:173]
	v_add_f64 v[176:177], v[176:177], v[178:179]
	v_mul_f64 v[178:179], v[152:153], v[172:173]
	s_waitcnt vmcnt(0)
	v_fma_f64 v[8:9], v[152:153], v[174:175], -v[8:9]
	v_fmac_f64_e32 v[178:179], v[154:155], v[174:175]
	v_add_f64 v[6:7], v[6:7], v[8:9]
	v_add_f64 v[176:177], v[176:177], v[178:179]
	v_add_f64 v[4:5], v[4:5], -v[6:7]
	v_add_f64 v[2:3], v[2:3], -v[176:177]
	buffer_store_dword v5, off, s[0:3], 0 offset:356
	buffer_store_dword v4, off, s[0:3], 0 offset:352
	;; [unrolled: 1-line block ×4, first 2 shown]
	s_and_saveexec_b64 s[4:5], vcc
	s_cbranch_execz .LBB42_231
; %bb.230:
	v_accvgpr_read_b32 v0, a108
	buffer_load_dword v2, v0, s[0:3], 0 offen
	buffer_load_dword v3, v0, s[0:3], 0 offen offset:4
	buffer_load_dword v4, v0, s[0:3], 0 offen offset:8
	buffer_load_dword v5, v0, s[0:3], 0 offen offset:12
	v_accvgpr_read_b32 v0, a129
	buffer_store_dword v86, off, s[0:3], 0 offset:336
	buffer_store_dword v86, off, s[0:3], 0 offset:340
	;; [unrolled: 1-line block ×4, first 2 shown]
	s_waitcnt vmcnt(4)
	ds_write_b128 v0, v[2:5]
.LBB42_231:
	s_or_b64 exec, exec, s[4:5]
	s_waitcnt lgkmcnt(0)
	; wave barrier
	s_waitcnt lgkmcnt(0)
	ds_read_b128 v[14:17], v86 offset:1024
	ds_read_b128 v[10:13], v86 offset:1040
	;; [unrolled: 1-line block ×4, first 2 shown]
	buffer_load_dword v20, off, s[0:3], 0 offset:336
	buffer_load_dword v21, off, s[0:3], 0 offset:340
	;; [unrolled: 1-line block ×92, first 2 shown]
	s_waitcnt vmcnt(62) lgkmcnt(3)
	v_mul_f64 v[88:89], v[14:15], v[28:29]
	v_fmac_f64_e32 v[88:89], v[16:17], v[22:23]
	s_waitcnt lgkmcnt(2)
	v_mul_f64 v[90:91], v[10:11], v[30:31]
	v_add_f64 v[88:89], v[88:89], 0
	v_fmac_f64_e32 v[90:91], v[12:13], v[24:25]
	v_add_f64 v[88:89], v[88:89], v[90:91]
	s_waitcnt lgkmcnt(1)
	v_mul_f64 v[90:91], v[6:7], v[32:33]
	v_fmac_f64_e32 v[90:91], v[8:9], v[26:27]
	v_add_f64 v[92:93], v[88:89], v[90:91]
	ds_read_b128 v[88:91], v86 offset:1088
	v_mul_f64 v[16:17], v[16:17], v[28:29]
	v_fma_f64 v[14:15], v[14:15], v[22:23], -v[16:17]
	s_waitcnt lgkmcnt(1)
	v_mul_f64 v[94:95], v[2:3], v[38:39]
	v_mul_f64 v[12:13], v[12:13], v[30:31]
	v_fmac_f64_e32 v[94:95], v[4:5], v[40:41]
	v_add_f64 v[96:97], v[92:93], v[94:95]
	ds_read_b128 v[92:95], v86 offset:1104
	s_waitcnt lgkmcnt(1)
	v_mul_f64 v[98:99], v[88:89], v[34:35]
	v_fmac_f64_e32 v[98:99], v[90:91], v[36:37]
	v_add_f64 v[100:101], v[96:97], v[98:99]
	ds_read_b128 v[96:99], v86 offset:1120
	s_waitcnt lgkmcnt(1)
	v_mul_f64 v[102:103], v[92:93], v[46:47]
	s_waitcnt vmcnt(60)
	v_fmac_f64_e32 v[102:103], v[94:95], v[48:49]
	v_add_f64 v[104:105], v[100:101], v[102:103]
	ds_read_b128 v[100:103], v86 offset:1136
	s_waitcnt lgkmcnt(1)
	v_mul_f64 v[106:107], v[96:97], v[42:43]
	v_fmac_f64_e32 v[106:107], v[98:99], v[44:45]
	v_add_f64 v[108:109], v[104:105], v[106:107]
	ds_read_b128 v[104:107], v86 offset:1152
	s_waitcnt vmcnt(54) lgkmcnt(1)
	v_mul_f64 v[110:111], v[100:101], v[54:55]
	s_waitcnt vmcnt(52)
	v_fmac_f64_e32 v[110:111], v[102:103], v[56:57]
	v_add_f64 v[112:113], v[108:109], v[110:111]
	ds_read_b128 v[108:111], v86 offset:1168
	s_waitcnt lgkmcnt(1)
	v_mul_f64 v[114:115], v[104:105], v[50:51]
	v_fmac_f64_e32 v[114:115], v[106:107], v[52:53]
	v_add_f64 v[120:121], v[112:113], v[114:115]
	ds_read_b128 v[112:115], v86 offset:1184
	s_waitcnt vmcnt(46) lgkmcnt(1)
	v_mul_f64 v[122:123], v[108:109], v[62:63]
	s_waitcnt vmcnt(44)
	v_fmac_f64_e32 v[122:123], v[110:111], v[64:65]
	v_add_f64 v[124:125], v[120:121], v[122:123]
	ds_read_b128 v[120:123], v86 offset:1200
	s_waitcnt lgkmcnt(1)
	v_mul_f64 v[126:127], v[112:113], v[58:59]
	v_fmac_f64_e32 v[126:127], v[114:115], v[60:61]
	v_add_f64 v[14:15], v[14:15], 0
	v_fma_f64 v[10:11], v[10:11], v[24:25], -v[12:13]
	v_mul_f64 v[8:9], v[8:9], v[32:33]
	v_add_f64 v[128:129], v[124:125], v[126:127]
	ds_read_b128 v[124:127], v86 offset:1216
	v_add_f64 v[10:11], v[14:15], v[10:11]
	v_fma_f64 v[6:7], v[6:7], v[26:27], -v[8:9]
	v_mul_f64 v[4:5], v[4:5], v[38:39]
	v_add_f64 v[6:7], v[10:11], v[6:7]
	v_fma_f64 v[2:3], v[2:3], v[40:41], -v[4:5]
	v_mul_f64 v[4:5], v[90:91], v[34:35]
	v_add_f64 v[2:3], v[6:7], v[2:3]
	v_fma_f64 v[4:5], v[88:89], v[36:37], -v[4:5]
	s_waitcnt vmcnt(38) lgkmcnt(1)
	v_mul_f64 v[130:131], v[120:121], v[70:71]
	v_add_f64 v[2:3], v[2:3], v[4:5]
	v_mul_f64 v[4:5], v[94:95], v[46:47]
	s_waitcnt vmcnt(36)
	v_fmac_f64_e32 v[130:131], v[122:123], v[72:73]
	v_fma_f64 v[4:5], v[92:93], v[48:49], -v[4:5]
	v_add_f64 v[132:133], v[128:129], v[130:131]
	ds_read_b128 v[128:131], v86 offset:1232
	s_waitcnt lgkmcnt(1)
	v_mul_f64 v[134:135], v[124:125], v[66:67]
	v_add_f64 v[2:3], v[2:3], v[4:5]
	v_mul_f64 v[4:5], v[98:99], v[42:43]
	v_fmac_f64_e32 v[134:135], v[126:127], v[68:69]
	v_fma_f64 v[4:5], v[96:97], v[44:45], -v[4:5]
	v_add_f64 v[136:137], v[132:133], v[134:135]
	ds_read_b128 v[132:135], v86 offset:1248
	v_add_f64 v[2:3], v[2:3], v[4:5]
	v_mul_f64 v[4:5], v[102:103], v[54:55]
	v_fma_f64 v[4:5], v[100:101], v[56:57], -v[4:5]
	v_add_f64 v[2:3], v[2:3], v[4:5]
	v_mul_f64 v[4:5], v[106:107], v[50:51]
	s_waitcnt vmcnt(30) lgkmcnt(1)
	v_mul_f64 v[138:139], v[128:129], v[78:79]
	v_fma_f64 v[4:5], v[104:105], v[52:53], -v[4:5]
	s_waitcnt vmcnt(28)
	v_fmac_f64_e32 v[138:139], v[130:131], v[80:81]
	v_add_f64 v[2:3], v[2:3], v[4:5]
	v_mul_f64 v[4:5], v[110:111], v[62:63]
	v_add_f64 v[140:141], v[136:137], v[138:139]
	ds_read_b128 v[136:139], v86 offset:1264
	s_waitcnt lgkmcnt(1)
	v_mul_f64 v[142:143], v[132:133], v[74:75]
	v_fma_f64 v[4:5], v[108:109], v[64:65], -v[4:5]
	v_fmac_f64_e32 v[142:143], v[134:135], v[76:77]
	v_add_f64 v[2:3], v[2:3], v[4:5]
	v_mul_f64 v[4:5], v[114:115], v[58:59]
	v_add_f64 v[144:145], v[140:141], v[142:143]
	ds_read_b128 v[140:143], v86 offset:1280
	v_fma_f64 v[4:5], v[112:113], v[60:61], -v[4:5]
	v_add_f64 v[2:3], v[2:3], v[4:5]
	v_mul_f64 v[4:5], v[122:123], v[70:71]
	v_fma_f64 v[4:5], v[120:121], v[72:73], -v[4:5]
	s_waitcnt vmcnt(22) lgkmcnt(1)
	v_mul_f64 v[146:147], v[136:137], v[116:117]
	v_add_f64 v[2:3], v[2:3], v[4:5]
	v_mul_f64 v[4:5], v[126:127], v[66:67]
	s_waitcnt vmcnt(20)
	v_fmac_f64_e32 v[146:147], v[138:139], v[118:119]
	v_fma_f64 v[4:5], v[124:125], v[68:69], -v[4:5]
	v_add_f64 v[148:149], v[144:145], v[146:147]
	ds_read_b128 v[144:147], v86 offset:1296
	s_waitcnt lgkmcnt(1)
	v_mul_f64 v[150:151], v[140:141], v[82:83]
	v_add_f64 v[2:3], v[2:3], v[4:5]
	v_mul_f64 v[4:5], v[130:131], v[78:79]
	v_fmac_f64_e32 v[150:151], v[142:143], v[84:85]
	v_fma_f64 v[4:5], v[128:129], v[80:81], -v[4:5]
	v_add_f64 v[152:153], v[148:149], v[150:151]
	ds_read_b128 v[148:151], v86 offset:1312
	v_add_f64 v[2:3], v[2:3], v[4:5]
	v_mul_f64 v[4:5], v[134:135], v[74:75]
	v_fma_f64 v[4:5], v[132:133], v[76:77], -v[4:5]
	v_add_f64 v[2:3], v[2:3], v[4:5]
	v_mul_f64 v[4:5], v[138:139], v[116:117]
	s_waitcnt vmcnt(14) lgkmcnt(1)
	v_mul_f64 v[154:155], v[144:145], v[168:169]
	v_fma_f64 v[4:5], v[136:137], v[118:119], -v[4:5]
	s_waitcnt vmcnt(12)
	v_fmac_f64_e32 v[154:155], v[146:147], v[170:171]
	v_add_f64 v[2:3], v[2:3], v[4:5]
	v_mul_f64 v[4:5], v[142:143], v[82:83]
	v_add_f64 v[156:157], v[152:153], v[154:155]
	ds_read_b128 v[152:155], v86 offset:1328
	s_waitcnt lgkmcnt(1)
	v_mul_f64 v[158:159], v[148:149], v[164:165]
	v_fma_f64 v[4:5], v[140:141], v[84:85], -v[4:5]
	v_fmac_f64_e32 v[158:159], v[150:151], v[166:167]
	v_add_f64 v[2:3], v[2:3], v[4:5]
	v_mul_f64 v[4:5], v[146:147], v[168:169]
	v_add_f64 v[184:185], v[156:157], v[158:159]
	ds_read_b128 v[156:159], v86 offset:1344
	ds_read_b128 v[160:163], v86 offset:1360
	v_fma_f64 v[4:5], v[144:145], v[170:171], -v[4:5]
	v_add_f64 v[2:3], v[2:3], v[4:5]
	v_mul_f64 v[4:5], v[150:151], v[164:165]
	v_fma_f64 v[4:5], v[148:149], v[166:167], -v[4:5]
	v_add_f64 v[2:3], v[2:3], v[4:5]
	s_waitcnt vmcnt(6) lgkmcnt(2)
	v_mul_f64 v[4:5], v[154:155], v[176:177]
	v_mul_f64 v[186:187], v[152:153], v[176:177]
	s_waitcnt vmcnt(4)
	v_fma_f64 v[4:5], v[152:153], v[178:179], -v[4:5]
	v_fmac_f64_e32 v[186:187], v[154:155], v[178:179]
	v_add_f64 v[2:3], v[2:3], v[4:5]
	s_waitcnt lgkmcnt(1)
	v_mul_f64 v[4:5], v[158:159], v[172:173]
	v_add_f64 v[86:87], v[184:185], v[186:187]
	v_mul_f64 v[184:185], v[156:157], v[172:173]
	v_fma_f64 v[4:5], v[156:157], v[174:175], -v[4:5]
	v_fmac_f64_e32 v[184:185], v[158:159], v[174:175]
	v_add_f64 v[2:3], v[2:3], v[4:5]
	s_waitcnt vmcnt(2) lgkmcnt(0)
	v_mul_f64 v[4:5], v[162:163], v[180:181]
	v_add_f64 v[86:87], v[86:87], v[184:185]
	v_mul_f64 v[184:185], v[160:161], v[180:181]
	s_waitcnt vmcnt(0)
	v_fma_f64 v[4:5], v[160:161], v[182:183], -v[4:5]
	v_fmac_f64_e32 v[184:185], v[162:163], v[182:183]
	v_add_f64 v[2:3], v[2:3], v[4:5]
	v_add_f64 v[86:87], v[86:87], v[184:185]
	v_add_f64 v[2:3], v[20:21], -v[2:3]
	v_cmp_lt_u32_e32 vcc, 19, v255
	v_add_f64 v[4:5], v[18:19], -v[86:87]
	buffer_store_dword v3, off, s[0:3], 0 offset:340
	buffer_store_dword v2, off, s[0:3], 0 offset:336
	;; [unrolled: 1-line block ×4, first 2 shown]
	s_and_saveexec_b64 s[4:5], vcc
	s_cbranch_execz .LBB42_233
; %bb.232:
	v_accvgpr_read_b32 v0, a109
	buffer_load_dword v2, v0, s[0:3], 0 offen
	buffer_load_dword v3, v0, s[0:3], 0 offen offset:4
	buffer_load_dword v4, v0, s[0:3], 0 offen offset:8
	;; [unrolled: 1-line block ×3, first 2 shown]
	v_mov_b32_e32 v0, 0
	v_accvgpr_read_b32 v1, a129
	buffer_store_dword v0, off, s[0:3], 0 offset:320
	buffer_store_dword v0, off, s[0:3], 0 offset:324
	;; [unrolled: 1-line block ×4, first 2 shown]
	s_waitcnt vmcnt(4)
	ds_write_b128 v1, v[2:5]
.LBB42_233:
	s_or_b64 exec, exec, s[4:5]
	s_waitcnt lgkmcnt(0)
	; wave barrier
	s_waitcnt lgkmcnt(0)
	buffer_load_dword v9, off, s[0:3], 0 offset:348
	buffer_load_dword v6, off, s[0:3], 0 offset:360
	;; [unrolled: 1-line block ×64, first 2 shown]
	v_mov_b32_e32 v98, 0
	ds_read_b128 v[74:77], v98 offset:1008
	ds_read_b128 v[78:81], v98 offset:1024
	buffer_load_dword v67, off, s[0:3], 0 offset:604
	buffer_load_dword v66, off, s[0:3], 0 offset:600
	;; [unrolled: 1-line block ×8, first 2 shown]
	ds_read_b128 v[82:85], v98 offset:1040
	ds_read_b128 v[86:89], v98 offset:1056
	buffer_load_dword v117, off, s[0:3], 0 offset:636
	buffer_load_dword v116, off, s[0:3], 0 offset:632
	;; [unrolled: 1-line block ×24, first 2 shown]
	ds_read_b128 v[168:171], v98 offset:1360
	v_cmp_lt_u32_e32 vcc, 18, v255
	s_waitcnt vmcnt(62) lgkmcnt(1)
	v_mul_f64 v[96:97], v[86:87], v[22:23]
	v_fmac_f64_e32 v[96:97], v[88:89], v[24:25]
	v_mul_f64 v[92:93], v[78:79], v[6:7]
	v_mul_f64 v[90:91], v[74:75], v[8:9]
	;; [unrolled: 1-line block ×3, first 2 shown]
	v_fmac_f64_e32 v[90:91], v[76:77], v[10:11]
	v_add_f64 v[90:91], v[90:91], 0
	v_fma_f64 v[8:9], v[74:75], v[10:11], -v[8:9]
	v_mul_f64 v[6:7], v[80:81], v[6:7]
	v_add_f64 v[8:9], v[8:9], 0
	v_fmac_f64_e32 v[92:93], v[80:81], v[14:15]
	v_add_f64 v[90:91], v[90:91], v[92:93]
	v_mul_f64 v[92:93], v[82:83], v[16:17]
	v_fmac_f64_e32 v[92:93], v[84:85], v[12:13]
	v_add_f64 v[94:95], v[90:91], v[92:93]
	ds_read_b128 v[90:93], v98 offset:1072
	v_add_f64 v[100:101], v[94:95], v[96:97]
	ds_read_b128 v[94:97], v98 offset:1088
	v_fma_f64 v[6:7], v[78:79], v[14:15], -v[6:7]
	v_add_f64 v[6:7], v[8:9], v[6:7]
	s_waitcnt lgkmcnt(1)
	v_mul_f64 v[102:103], v[90:91], v[18:19]
	v_fmac_f64_e32 v[102:103], v[92:93], v[20:21]
	v_add_f64 v[104:105], v[100:101], v[102:103]
	ds_read_b128 v[100:103], v98 offset:1104
	s_waitcnt lgkmcnt(1)
	v_mul_f64 v[106:107], v[94:95], v[30:31]
	v_fmac_f64_e32 v[106:107], v[96:97], v[32:33]
	v_add_f64 v[108:109], v[104:105], v[106:107]
	ds_read_b128 v[104:107], v98 offset:1120
	;; [unrolled: 5-line block ×3, first 2 shown]
	s_waitcnt vmcnt(58) lgkmcnt(1)
	v_mul_f64 v[114:115], v[104:105], v[38:39]
	s_waitcnt vmcnt(56)
	v_fmac_f64_e32 v[114:115], v[106:107], v[40:41]
	v_add_f64 v[120:121], v[112:113], v[114:115]
	ds_read_b128 v[112:115], v98 offset:1152
	s_waitcnt lgkmcnt(1)
	v_mul_f64 v[122:123], v[108:109], v[34:35]
	v_fmac_f64_e32 v[122:123], v[110:111], v[36:37]
	v_add_f64 v[124:125], v[120:121], v[122:123]
	ds_read_b128 v[120:123], v98 offset:1168
	s_waitcnt vmcnt(50) lgkmcnt(1)
	v_mul_f64 v[126:127], v[112:113], v[46:47]
	s_waitcnt vmcnt(48)
	v_fmac_f64_e32 v[126:127], v[114:115], v[48:49]
	v_add_f64 v[128:129], v[124:125], v[126:127]
	ds_read_b128 v[124:127], v98 offset:1184
	v_mul_f64 v[8:9], v[84:85], v[16:17]
	s_waitcnt lgkmcnt(1)
	v_mul_f64 v[130:131], v[120:121], v[42:43]
	v_fma_f64 v[8:9], v[82:83], v[12:13], -v[8:9]
	v_fmac_f64_e32 v[130:131], v[122:123], v[44:45]
	v_add_f64 v[6:7], v[6:7], v[8:9]
	v_mul_f64 v[8:9], v[88:89], v[22:23]
	v_add_f64 v[132:133], v[128:129], v[130:131]
	ds_read_b128 v[128:131], v98 offset:1200
	s_waitcnt vmcnt(42) lgkmcnt(1)
	v_mul_f64 v[134:135], v[124:125], v[54:55]
	v_fma_f64 v[8:9], v[86:87], v[24:25], -v[8:9]
	s_waitcnt vmcnt(40)
	v_fmac_f64_e32 v[134:135], v[126:127], v[56:57]
	v_add_f64 v[6:7], v[6:7], v[8:9]
	v_mul_f64 v[8:9], v[92:93], v[18:19]
	v_add_f64 v[136:137], v[132:133], v[134:135]
	ds_read_b128 v[132:135], v98 offset:1216
	v_fma_f64 v[8:9], v[90:91], v[20:21], -v[8:9]
	v_add_f64 v[6:7], v[6:7], v[8:9]
	v_mul_f64 v[8:9], v[96:97], v[30:31]
	v_fma_f64 v[8:9], v[94:95], v[32:33], -v[8:9]
	s_waitcnt lgkmcnt(1)
	v_mul_f64 v[138:139], v[128:129], v[50:51]
	v_add_f64 v[6:7], v[6:7], v[8:9]
	v_mul_f64 v[8:9], v[102:103], v[26:27]
	v_fmac_f64_e32 v[138:139], v[130:131], v[52:53]
	v_fma_f64 v[8:9], v[100:101], v[28:29], -v[8:9]
	v_add_f64 v[140:141], v[136:137], v[138:139]
	ds_read_b128 v[136:139], v98 offset:1232
	s_waitcnt vmcnt(34) lgkmcnt(1)
	v_mul_f64 v[142:143], v[132:133], v[62:63]
	v_add_f64 v[6:7], v[6:7], v[8:9]
	v_mul_f64 v[8:9], v[106:107], v[38:39]
	s_waitcnt vmcnt(32)
	v_fmac_f64_e32 v[142:143], v[134:135], v[64:65]
	v_fma_f64 v[8:9], v[104:105], v[40:41], -v[8:9]
	v_add_f64 v[144:145], v[140:141], v[142:143]
	ds_read_b128 v[140:143], v98 offset:1248
	v_add_f64 v[6:7], v[6:7], v[8:9]
	v_mul_f64 v[8:9], v[110:111], v[34:35]
	v_fma_f64 v[8:9], v[108:109], v[36:37], -v[8:9]
	v_add_f64 v[6:7], v[6:7], v[8:9]
	v_mul_f64 v[8:9], v[114:115], v[46:47]
	s_waitcnt lgkmcnt(1)
	v_mul_f64 v[146:147], v[136:137], v[58:59]
	v_fma_f64 v[8:9], v[112:113], v[48:49], -v[8:9]
	v_fmac_f64_e32 v[146:147], v[138:139], v[60:61]
	v_add_f64 v[6:7], v[6:7], v[8:9]
	v_mul_f64 v[8:9], v[122:123], v[42:43]
	v_add_f64 v[148:149], v[144:145], v[146:147]
	ds_read_b128 v[144:147], v98 offset:1264
	s_waitcnt vmcnt(26) lgkmcnt(1)
	v_mul_f64 v[150:151], v[140:141], v[70:71]
	v_fma_f64 v[8:9], v[120:121], v[44:45], -v[8:9]
	s_waitcnt vmcnt(24)
	v_fmac_f64_e32 v[150:151], v[142:143], v[72:73]
	v_add_f64 v[6:7], v[6:7], v[8:9]
	v_mul_f64 v[8:9], v[126:127], v[54:55]
	v_add_f64 v[152:153], v[148:149], v[150:151]
	ds_read_b128 v[148:151], v98 offset:1280
	v_fma_f64 v[8:9], v[124:125], v[56:57], -v[8:9]
	v_add_f64 v[6:7], v[6:7], v[8:9]
	v_mul_f64 v[8:9], v[130:131], v[50:51]
	v_fma_f64 v[8:9], v[128:129], v[52:53], -v[8:9]
	s_waitcnt lgkmcnt(1)
	v_mul_f64 v[154:155], v[144:145], v[66:67]
	v_add_f64 v[6:7], v[6:7], v[8:9]
	v_mul_f64 v[8:9], v[134:135], v[62:63]
	v_fmac_f64_e32 v[154:155], v[146:147], v[68:69]
	v_fma_f64 v[8:9], v[132:133], v[64:65], -v[8:9]
	v_add_f64 v[156:157], v[152:153], v[154:155]
	ds_read_b128 v[152:155], v98 offset:1296
	s_waitcnt vmcnt(18) lgkmcnt(1)
	v_mul_f64 v[158:159], v[148:149], v[172:173]
	v_add_f64 v[6:7], v[6:7], v[8:9]
	v_mul_f64 v[8:9], v[138:139], v[58:59]
	s_waitcnt vmcnt(16)
	v_fmac_f64_e32 v[158:159], v[150:151], v[174:175]
	v_fma_f64 v[8:9], v[136:137], v[60:61], -v[8:9]
	v_add_f64 v[160:161], v[156:157], v[158:159]
	ds_read_b128 v[156:159], v98 offset:1312
	v_add_f64 v[6:7], v[6:7], v[8:9]
	v_mul_f64 v[8:9], v[142:143], v[70:71]
	v_fma_f64 v[8:9], v[140:141], v[72:73], -v[8:9]
	v_add_f64 v[6:7], v[6:7], v[8:9]
	v_mul_f64 v[8:9], v[146:147], v[66:67]
	s_waitcnt lgkmcnt(1)
	v_mul_f64 v[162:163], v[152:153], v[116:117]
	v_fma_f64 v[8:9], v[144:145], v[68:69], -v[8:9]
	v_fmac_f64_e32 v[162:163], v[154:155], v[118:119]
	v_add_f64 v[6:7], v[6:7], v[8:9]
	v_mul_f64 v[8:9], v[150:151], v[172:173]
	v_add_f64 v[164:165], v[160:161], v[162:163]
	ds_read_b128 v[160:163], v98 offset:1328
	s_waitcnt vmcnt(10) lgkmcnt(1)
	v_mul_f64 v[166:167], v[156:157], v[180:181]
	v_fma_f64 v[8:9], v[148:149], v[174:175], -v[8:9]
	s_waitcnt vmcnt(8)
	v_fmac_f64_e32 v[166:167], v[158:159], v[182:183]
	v_add_f64 v[6:7], v[6:7], v[8:9]
	v_mul_f64 v[8:9], v[154:155], v[116:117]
	v_add_f64 v[192:193], v[164:165], v[166:167]
	ds_read_b128 v[164:167], v98 offset:1344
	v_fma_f64 v[8:9], v[152:153], v[118:119], -v[8:9]
	v_add_f64 v[6:7], v[6:7], v[8:9]
	v_mul_f64 v[8:9], v[158:159], v[180:181]
	v_fma_f64 v[8:9], v[156:157], v[182:183], -v[8:9]
	v_add_f64 v[6:7], v[6:7], v[8:9]
	s_waitcnt lgkmcnt(1)
	v_mul_f64 v[8:9], v[162:163], v[176:177]
	v_mul_f64 v[194:195], v[160:161], v[176:177]
	v_fma_f64 v[8:9], v[160:161], v[178:179], -v[8:9]
	v_fmac_f64_e32 v[194:195], v[162:163], v[178:179]
	v_add_f64 v[6:7], v[6:7], v[8:9]
	s_waitcnt vmcnt(2) lgkmcnt(0)
	v_mul_f64 v[8:9], v[166:167], v[188:189]
	v_add_f64 v[192:193], v[192:193], v[194:195]
	v_mul_f64 v[194:195], v[164:165], v[188:189]
	s_waitcnt vmcnt(0)
	v_fma_f64 v[8:9], v[164:165], v[190:191], -v[8:9]
	v_fmac_f64_e32 v[194:195], v[166:167], v[190:191]
	v_add_f64 v[6:7], v[6:7], v[8:9]
	v_mul_f64 v[8:9], v[170:171], v[184:185]
	v_add_f64 v[192:193], v[192:193], v[194:195]
	v_mul_f64 v[194:195], v[168:169], v[184:185]
	v_fma_f64 v[8:9], v[168:169], v[186:187], -v[8:9]
	v_fmac_f64_e32 v[194:195], v[170:171], v[186:187]
	v_add_f64 v[6:7], v[6:7], v[8:9]
	v_add_f64 v[192:193], v[192:193], v[194:195]
	v_add_f64 v[4:5], v[4:5], -v[6:7]
	v_add_f64 v[2:3], v[2:3], -v[192:193]
	buffer_store_dword v5, off, s[0:3], 0 offset:324
	buffer_store_dword v4, off, s[0:3], 0 offset:320
	;; [unrolled: 1-line block ×4, first 2 shown]
	s_and_saveexec_b64 s[4:5], vcc
	s_cbranch_execz .LBB42_235
; %bb.234:
	v_accvgpr_read_b32 v0, a110
	buffer_load_dword v2, v0, s[0:3], 0 offen
	buffer_load_dword v3, v0, s[0:3], 0 offen offset:4
	buffer_load_dword v4, v0, s[0:3], 0 offen offset:8
	;; [unrolled: 1-line block ×3, first 2 shown]
	v_accvgpr_read_b32 v0, a129
	buffer_store_dword v98, off, s[0:3], 0 offset:304
	buffer_store_dword v98, off, s[0:3], 0 offset:308
	;; [unrolled: 1-line block ×4, first 2 shown]
	s_waitcnt vmcnt(4)
	ds_write_b128 v0, v[2:5]
.LBB42_235:
	s_or_b64 exec, exec, s[4:5]
	s_waitcnt lgkmcnt(0)
	; wave barrier
	s_waitcnt lgkmcnt(0)
	buffer_load_dword v22, off, s[0:3], 0 offset:320
	buffer_load_dword v23, off, s[0:3], 0 offset:324
	;; [unrolled: 1-line block ×16, first 2 shown]
	ds_read_b128 v[2:5], v98 offset:992
	ds_read_b128 v[6:9], v98 offset:1008
	;; [unrolled: 1-line block ×4, first 2 shown]
	buffer_load_dword v35, off, s[0:3], 0 offset:396
	buffer_load_dword v34, off, s[0:3], 0 offset:392
	buffer_load_dword v37, off, s[0:3], 0 offset:388
	buffer_load_dword v36, off, s[0:3], 0 offset:384
	buffer_load_dword v39, off, s[0:3], 0 offset:380
	buffer_load_dword v38, off, s[0:3], 0 offset:376
	buffer_load_dword v41, off, s[0:3], 0 offset:372
	buffer_load_dword v40, off, s[0:3], 0 offset:368
	buffer_load_dword v43, off, s[0:3], 0 offset:428
	buffer_load_dword v42, off, s[0:3], 0 offset:424
	buffer_load_dword v45, off, s[0:3], 0 offset:420
	buffer_load_dword v44, off, s[0:3], 0 offset:416
	buffer_load_dword v47, off, s[0:3], 0 offset:412
	buffer_load_dword v46, off, s[0:3], 0 offset:408
	buffer_load_dword v49, off, s[0:3], 0 offset:404
	buffer_load_dword v48, off, s[0:3], 0 offset:400
	buffer_load_dword v51, off, s[0:3], 0 offset:460
	buffer_load_dword v50, off, s[0:3], 0 offset:456
	buffer_load_dword v53, off, s[0:3], 0 offset:452
	buffer_load_dword v52, off, s[0:3], 0 offset:448
	buffer_load_dword v55, off, s[0:3], 0 offset:444
	buffer_load_dword v54, off, s[0:3], 0 offset:440
	buffer_load_dword v57, off, s[0:3], 0 offset:436
	buffer_load_dword v56, off, s[0:3], 0 offset:432
	buffer_load_dword v59, off, s[0:3], 0 offset:492
	buffer_load_dword v58, off, s[0:3], 0 offset:488
	buffer_load_dword v61, off, s[0:3], 0 offset:484
	buffer_load_dword v60, off, s[0:3], 0 offset:480
	buffer_load_dword v63, off, s[0:3], 0 offset:476
	buffer_load_dword v62, off, s[0:3], 0 offset:472
	buffer_load_dword v65, off, s[0:3], 0 offset:468
	buffer_load_dword v64, off, s[0:3], 0 offset:464
	buffer_load_dword v67, off, s[0:3], 0 offset:524
	buffer_load_dword v66, off, s[0:3], 0 offset:520
	buffer_load_dword v69, off, s[0:3], 0 offset:516
	buffer_load_dword v68, off, s[0:3], 0 offset:512
	buffer_load_dword v71, off, s[0:3], 0 offset:508
	buffer_load_dword v70, off, s[0:3], 0 offset:504
	buffer_load_dword v73, off, s[0:3], 0 offset:500
	buffer_load_dword v72, off, s[0:3], 0 offset:496
	buffer_load_dword v75, off, s[0:3], 0 offset:556
	buffer_load_dword v74, off, s[0:3], 0 offset:552
	buffer_load_dword v77, off, s[0:3], 0 offset:548
	buffer_load_dword v76, off, s[0:3], 0 offset:544
	buffer_load_dword v79, off, s[0:3], 0 offset:540
	buffer_load_dword v78, off, s[0:3], 0 offset:536
	buffer_load_dword v81, off, s[0:3], 0 offset:532
	buffer_load_dword v80, off, s[0:3], 0 offset:528
	v_cmp_lt_u32_e32 vcc, 17, v255
	s_waitcnt vmcnt(42) lgkmcnt(0)
	v_mul_f64 v[106:107], v[14:15], v[38:39]
	s_waitcnt vmcnt(40)
	v_fmac_f64_e32 v[106:107], v[16:17], v[40:41]
	v_mul_f64 v[82:83], v[2:3], v[24:25]
	v_fmac_f64_e32 v[82:83], v[4:5], v[22:23]
	v_add_f64 v[82:83], v[82:83], 0
	v_mul_f64 v[4:5], v[4:5], v[24:25]
	v_mul_f64 v[84:85], v[6:7], v[32:33]
	v_fma_f64 v[2:3], v[2:3], v[22:23], -v[4:5]
	v_mul_f64 v[100:101], v[10:11], v[26:27]
	v_fmac_f64_e32 v[100:101], v[12:13], v[30:31]
	v_fmac_f64_e32 v[84:85], v[8:9], v[28:29]
	v_add_f64 v[102:103], v[82:83], v[84:85]
	buffer_load_dword v83, off, s[0:3], 0 offset:588
	buffer_load_dword v82, off, s[0:3], 0 offset:584
	buffer_load_dword v85, off, s[0:3], 0 offset:580
	buffer_load_dword v84, off, s[0:3], 0 offset:576
	buffer_load_dword v87, off, s[0:3], 0 offset:572
	buffer_load_dword v86, off, s[0:3], 0 offset:568
	buffer_load_dword v89, off, s[0:3], 0 offset:564
	buffer_load_dword v88, off, s[0:3], 0 offset:560
	buffer_load_dword v91, off, s[0:3], 0 offset:620
	buffer_load_dword v90, off, s[0:3], 0 offset:616
	buffer_load_dword v93, off, s[0:3], 0 offset:612
	buffer_load_dword v92, off, s[0:3], 0 offset:608
	buffer_load_dword v95, off, s[0:3], 0 offset:604
	buffer_load_dword v94, off, s[0:3], 0 offset:600
	buffer_load_dword v97, off, s[0:3], 0 offset:596
	buffer_load_dword v96, off, s[0:3], 0 offset:592
	buffer_load_dword v117, off, s[0:3], 0 offset:652
	buffer_load_dword v116, off, s[0:3], 0 offset:648
	buffer_load_dword v119, off, s[0:3], 0 offset:644
	buffer_load_dword v118, off, s[0:3], 0 offset:640
	buffer_load_dword v185, off, s[0:3], 0 offset:636
	buffer_load_dword v184, off, s[0:3], 0 offset:632
	buffer_load_dword v187, off, s[0:3], 0 offset:628
	buffer_load_dword v186, off, s[0:3], 0 offset:624
	buffer_load_dword v189, off, s[0:3], 0 offset:684
	buffer_load_dword v188, off, s[0:3], 0 offset:680
	buffer_load_dword v191, off, s[0:3], 0 offset:676
	buffer_load_dword v190, off, s[0:3], 0 offset:672
	buffer_load_dword v193, off, s[0:3], 0 offset:668
	buffer_load_dword v192, off, s[0:3], 0 offset:664
	buffer_load_dword v195, off, s[0:3], 0 offset:660
	buffer_load_dword v194, off, s[0:3], 0 offset:656
	v_add_f64 v[104:105], v[102:103], v[100:101]
	ds_read_b128 v[100:103], v98 offset:1056
	buffer_load_dword v197, off, s[0:3], 0 offset:700
	buffer_load_dword v196, off, s[0:3], 0 offset:696
	;; [unrolled: 1-line block ×4, first 2 shown]
	v_add_f64 v[108:109], v[104:105], v[106:107]
	ds_read_b128 v[104:107], v98 offset:1072
	v_mul_f64 v[4:5], v[8:9], v[32:33]
	s_waitcnt lgkmcnt(1)
	v_mul_f64 v[110:111], v[100:101], v[34:35]
	v_fmac_f64_e32 v[110:111], v[102:103], v[36:37]
	v_add_f64 v[112:113], v[108:109], v[110:111]
	ds_read_b128 v[108:111], v98 offset:1088
	s_waitcnt vmcnt(62) lgkmcnt(1)
	v_mul_f64 v[114:115], v[104:105], v[46:47]
	v_fmac_f64_e32 v[114:115], v[106:107], v[48:49]
	v_add_f64 v[120:121], v[112:113], v[114:115]
	ds_read_b128 v[112:115], v98 offset:1104
	s_waitcnt lgkmcnt(1)
	v_mul_f64 v[122:123], v[108:109], v[42:43]
	v_fmac_f64_e32 v[122:123], v[110:111], v[44:45]
	v_add_f64 v[124:125], v[120:121], v[122:123]
	ds_read_b128 v[120:123], v98 offset:1120
	s_waitcnt lgkmcnt(1)
	v_mul_f64 v[126:127], v[112:113], v[54:55]
	s_waitcnt vmcnt(60)
	v_fmac_f64_e32 v[126:127], v[114:115], v[56:57]
	v_add_f64 v[128:129], v[124:125], v[126:127]
	ds_read_b128 v[124:127], v98 offset:1136
	s_waitcnt lgkmcnt(1)
	v_mul_f64 v[130:131], v[120:121], v[50:51]
	v_fmac_f64_e32 v[130:131], v[122:123], v[52:53]
	v_add_f64 v[132:133], v[128:129], v[130:131]
	ds_read_b128 v[128:131], v98 offset:1152
	s_waitcnt vmcnt(54) lgkmcnt(1)
	v_mul_f64 v[134:135], v[124:125], v[62:63]
	s_waitcnt vmcnt(52)
	v_fmac_f64_e32 v[134:135], v[126:127], v[64:65]
	v_add_f64 v[136:137], v[132:133], v[134:135]
	ds_read_b128 v[132:135], v98 offset:1168
	s_waitcnt lgkmcnt(1)
	v_mul_f64 v[138:139], v[128:129], v[58:59]
	v_fmac_f64_e32 v[138:139], v[130:131], v[60:61]
	v_add_f64 v[2:3], v[2:3], 0
	v_fma_f64 v[4:5], v[6:7], v[28:29], -v[4:5]
	v_add_f64 v[140:141], v[136:137], v[138:139]
	ds_read_b128 v[136:139], v98 offset:1184
	v_add_f64 v[2:3], v[2:3], v[4:5]
	v_mul_f64 v[4:5], v[12:13], v[26:27]
	v_fma_f64 v[4:5], v[10:11], v[30:31], -v[4:5]
	v_add_f64 v[2:3], v[2:3], v[4:5]
	v_mul_f64 v[4:5], v[16:17], v[38:39]
	s_waitcnt vmcnt(46) lgkmcnt(1)
	v_mul_f64 v[142:143], v[132:133], v[70:71]
	v_fma_f64 v[4:5], v[14:15], v[40:41], -v[4:5]
	s_waitcnt vmcnt(44)
	v_fmac_f64_e32 v[142:143], v[134:135], v[72:73]
	v_add_f64 v[2:3], v[2:3], v[4:5]
	v_mul_f64 v[4:5], v[102:103], v[34:35]
	v_add_f64 v[144:145], v[140:141], v[142:143]
	ds_read_b128 v[140:143], v98 offset:1200
	s_waitcnt lgkmcnt(1)
	v_mul_f64 v[146:147], v[136:137], v[66:67]
	v_fma_f64 v[4:5], v[100:101], v[36:37], -v[4:5]
	v_fmac_f64_e32 v[146:147], v[138:139], v[68:69]
	v_add_f64 v[2:3], v[2:3], v[4:5]
	v_mul_f64 v[4:5], v[106:107], v[46:47]
	v_add_f64 v[148:149], v[144:145], v[146:147]
	ds_read_b128 v[144:147], v98 offset:1216
	v_fma_f64 v[4:5], v[104:105], v[48:49], -v[4:5]
	v_add_f64 v[2:3], v[2:3], v[4:5]
	v_mul_f64 v[4:5], v[110:111], v[42:43]
	v_fma_f64 v[4:5], v[108:109], v[44:45], -v[4:5]
	s_waitcnt vmcnt(38) lgkmcnt(1)
	v_mul_f64 v[150:151], v[140:141], v[78:79]
	v_add_f64 v[2:3], v[2:3], v[4:5]
	v_mul_f64 v[4:5], v[114:115], v[54:55]
	s_waitcnt vmcnt(36)
	v_fmac_f64_e32 v[150:151], v[142:143], v[80:81]
	v_fma_f64 v[4:5], v[112:113], v[56:57], -v[4:5]
	v_add_f64 v[152:153], v[148:149], v[150:151]
	ds_read_b128 v[148:151], v98 offset:1232
	s_waitcnt lgkmcnt(1)
	v_mul_f64 v[154:155], v[144:145], v[74:75]
	v_add_f64 v[2:3], v[2:3], v[4:5]
	v_mul_f64 v[4:5], v[122:123], v[50:51]
	v_fmac_f64_e32 v[154:155], v[146:147], v[76:77]
	v_fma_f64 v[4:5], v[120:121], v[52:53], -v[4:5]
	v_add_f64 v[156:157], v[152:153], v[154:155]
	ds_read_b128 v[152:155], v98 offset:1248
	v_add_f64 v[2:3], v[2:3], v[4:5]
	v_mul_f64 v[4:5], v[126:127], v[62:63]
	v_fma_f64 v[4:5], v[124:125], v[64:65], -v[4:5]
	v_add_f64 v[2:3], v[2:3], v[4:5]
	v_mul_f64 v[4:5], v[130:131], v[58:59]
	s_waitcnt vmcnt(30) lgkmcnt(1)
	v_mul_f64 v[158:159], v[148:149], v[86:87]
	v_fma_f64 v[4:5], v[128:129], v[60:61], -v[4:5]
	s_waitcnt vmcnt(28)
	v_fmac_f64_e32 v[158:159], v[150:151], v[88:89]
	v_add_f64 v[2:3], v[2:3], v[4:5]
	v_mul_f64 v[4:5], v[134:135], v[70:71]
	v_add_f64 v[160:161], v[156:157], v[158:159]
	ds_read_b128 v[156:159], v98 offset:1264
	s_waitcnt lgkmcnt(1)
	v_mul_f64 v[162:163], v[152:153], v[82:83]
	v_fma_f64 v[4:5], v[132:133], v[72:73], -v[4:5]
	v_fmac_f64_e32 v[162:163], v[154:155], v[84:85]
	v_add_f64 v[2:3], v[2:3], v[4:5]
	v_mul_f64 v[4:5], v[138:139], v[66:67]
	v_add_f64 v[164:165], v[160:161], v[162:163]
	ds_read_b128 v[160:163], v98 offset:1280
	v_fma_f64 v[4:5], v[136:137], v[68:69], -v[4:5]
	v_add_f64 v[2:3], v[2:3], v[4:5]
	v_mul_f64 v[4:5], v[142:143], v[78:79]
	v_fma_f64 v[4:5], v[140:141], v[80:81], -v[4:5]
	s_waitcnt vmcnt(22) lgkmcnt(1)
	v_mul_f64 v[166:167], v[156:157], v[94:95]
	v_add_f64 v[2:3], v[2:3], v[4:5]
	v_mul_f64 v[4:5], v[146:147], v[74:75]
	s_waitcnt vmcnt(20)
	v_fmac_f64_e32 v[166:167], v[158:159], v[96:97]
	v_fma_f64 v[4:5], v[144:145], v[76:77], -v[4:5]
	v_add_f64 v[168:169], v[164:165], v[166:167]
	ds_read_b128 v[164:167], v98 offset:1296
	s_waitcnt lgkmcnt(1)
	v_mul_f64 v[170:171], v[160:161], v[90:91]
	v_add_f64 v[2:3], v[2:3], v[4:5]
	v_mul_f64 v[4:5], v[150:151], v[86:87]
	v_fmac_f64_e32 v[170:171], v[162:163], v[92:93]
	v_fma_f64 v[4:5], v[148:149], v[88:89], -v[4:5]
	v_add_f64 v[172:173], v[168:169], v[170:171]
	ds_read_b128 v[168:171], v98 offset:1312
	v_add_f64 v[2:3], v[2:3], v[4:5]
	v_mul_f64 v[4:5], v[154:155], v[82:83]
	v_fma_f64 v[4:5], v[152:153], v[84:85], -v[4:5]
	v_add_f64 v[2:3], v[2:3], v[4:5]
	v_mul_f64 v[4:5], v[158:159], v[94:95]
	s_waitcnt vmcnt(14) lgkmcnt(1)
	v_mul_f64 v[174:175], v[164:165], v[184:185]
	v_fma_f64 v[4:5], v[156:157], v[96:97], -v[4:5]
	s_waitcnt vmcnt(12)
	v_fmac_f64_e32 v[174:175], v[166:167], v[186:187]
	v_add_f64 v[2:3], v[2:3], v[4:5]
	v_mul_f64 v[4:5], v[162:163], v[90:91]
	v_add_f64 v[176:177], v[172:173], v[174:175]
	ds_read_b128 v[172:175], v98 offset:1328
	s_waitcnt lgkmcnt(1)
	v_mul_f64 v[178:179], v[168:169], v[116:117]
	v_fma_f64 v[4:5], v[160:161], v[92:93], -v[4:5]
	v_fmac_f64_e32 v[178:179], v[170:171], v[118:119]
	v_add_f64 v[2:3], v[2:3], v[4:5]
	v_mul_f64 v[4:5], v[166:167], v[184:185]
	v_add_f64 v[200:201], v[176:177], v[178:179]
	ds_read_b128 v[176:179], v98 offset:1344
	v_fma_f64 v[4:5], v[164:165], v[186:187], -v[4:5]
	v_add_f64 v[2:3], v[2:3], v[4:5]
	v_mul_f64 v[4:5], v[170:171], v[116:117]
	ds_read_b128 v[180:183], v98 offset:1360
	v_fma_f64 v[4:5], v[168:169], v[118:119], -v[4:5]
	v_add_f64 v[2:3], v[2:3], v[4:5]
	s_waitcnt vmcnt(6) lgkmcnt(2)
	v_mul_f64 v[4:5], v[174:175], v[192:193]
	v_mul_f64 v[202:203], v[172:173], v[192:193]
	s_waitcnt vmcnt(4)
	v_fma_f64 v[4:5], v[172:173], v[194:195], -v[4:5]
	v_fmac_f64_e32 v[202:203], v[174:175], v[194:195]
	v_add_f64 v[2:3], v[2:3], v[4:5]
	s_waitcnt lgkmcnt(1)
	v_mul_f64 v[4:5], v[178:179], v[188:189]
	v_add_f64 v[98:99], v[200:201], v[202:203]
	v_mul_f64 v[200:201], v[176:177], v[188:189]
	v_fma_f64 v[4:5], v[176:177], v[190:191], -v[4:5]
	v_fmac_f64_e32 v[200:201], v[178:179], v[190:191]
	v_add_f64 v[2:3], v[2:3], v[4:5]
	s_waitcnt vmcnt(2) lgkmcnt(0)
	v_mul_f64 v[4:5], v[182:183], v[196:197]
	v_add_f64 v[98:99], v[98:99], v[200:201]
	v_mul_f64 v[200:201], v[180:181], v[196:197]
	s_waitcnt vmcnt(0)
	v_fma_f64 v[4:5], v[180:181], v[198:199], -v[4:5]
	v_fmac_f64_e32 v[200:201], v[182:183], v[198:199]
	v_add_f64 v[2:3], v[2:3], v[4:5]
	v_add_f64 v[98:99], v[98:99], v[200:201]
	v_add_f64 v[2:3], v[20:21], -v[2:3]
	v_add_f64 v[4:5], v[18:19], -v[98:99]
	buffer_store_dword v3, off, s[0:3], 0 offset:308
	buffer_store_dword v2, off, s[0:3], 0 offset:304
	;; [unrolled: 1-line block ×4, first 2 shown]
	s_and_saveexec_b64 s[4:5], vcc
	s_cbranch_execz .LBB42_237
; %bb.236:
	v_accvgpr_read_b32 v0, a111
	buffer_load_dword v2, v0, s[0:3], 0 offen
	buffer_load_dword v3, v0, s[0:3], 0 offen offset:4
	buffer_load_dword v4, v0, s[0:3], 0 offen offset:8
	;; [unrolled: 1-line block ×3, first 2 shown]
	v_mov_b32_e32 v0, 0
	v_accvgpr_read_b32 v1, a129
	buffer_store_dword v0, off, s[0:3], 0 offset:288
	buffer_store_dword v0, off, s[0:3], 0 offset:292
	;; [unrolled: 1-line block ×4, first 2 shown]
	s_waitcnt vmcnt(4)
	ds_write_b128 v1, v[2:5]
.LBB42_237:
	s_or_b64 exec, exec, s[4:5]
	s_waitcnt lgkmcnt(0)
	; wave barrier
	s_waitcnt lgkmcnt(0)
	buffer_load_dword v22, off, s[0:3], 0 offset:304
	buffer_load_dword v23, off, s[0:3], 0 offset:308
	;; [unrolled: 1-line block ×64, first 2 shown]
	v_mov_b32_e32 v114, 0
	ds_read_b128 v[18:21], v114 offset:976
	ds_read_b128 v[14:17], v114 offset:992
	;; [unrolled: 1-line block ×5, first 2 shown]
	v_cmp_lt_u32_e32 vcc, 16, v255
	s_waitcnt vmcnt(60) lgkmcnt(4)
	v_mul_f64 v[86:87], v[18:19], v[26:27]
	v_fmac_f64_e32 v[86:87], v[20:21], v[22:23]
	v_add_f64 v[86:87], v[86:87], 0
	v_mul_f64 v[20:21], v[20:21], v[26:27]
	s_waitcnt vmcnt(56) lgkmcnt(3)
	v_mul_f64 v[88:89], v[14:15], v[28:29]
	v_fmac_f64_e32 v[88:89], v[16:17], v[24:25]
	s_waitcnt vmcnt(54) lgkmcnt(2)
	v_mul_f64 v[90:91], v[10:11], v[30:31]
	v_add_f64 v[86:87], v[86:87], v[88:89]
	v_fma_f64 v[18:19], v[18:19], v[22:23], -v[20:21]
	v_mul_f64 v[16:17], v[16:17], v[28:29]
	s_waitcnt vmcnt(50) lgkmcnt(1)
	v_mul_f64 v[102:103], v[6:7], v[40:41]
	v_add_f64 v[18:19], v[18:19], 0
	s_waitcnt vmcnt(48)
	v_fmac_f64_e32 v[90:91], v[12:13], v[44:45]
	v_add_f64 v[104:105], v[86:87], v[90:91]
	buffer_load_dword v87, off, s[0:3], 0 offset:572
	buffer_load_dword v86, off, s[0:3], 0 offset:568
	;; [unrolled: 1-line block ×40, first 2 shown]
	s_waitcnt vmcnt(62)
	v_fmac_f64_e32 v[102:103], v[8:9], v[42:43]
	v_add_f64 v[106:107], v[104:105], v[102:103]
	ds_read_b128 v[102:105], v114 offset:1056
	s_waitcnt lgkmcnt(1)
	v_mul_f64 v[108:109], v[2:3], v[36:37]
	v_fmac_f64_e32 v[108:109], v[4:5], v[38:39]
	v_add_f64 v[110:111], v[106:107], v[108:109]
	ds_read_b128 v[106:109], v114 offset:1072
	s_waitcnt lgkmcnt(1)
	v_mul_f64 v[112:113], v[102:103], v[50:51]
	;; [unrolled: 5-line block ×5, first 2 shown]
	v_fmac_f64_e32 v[130:131], v[122:123], v[56:57]
	v_add_f64 v[132:133], v[128:129], v[130:131]
	ds_read_b128 v[128:131], v114 offset:1136
	s_waitcnt vmcnt(58) lgkmcnt(1)
	v_mul_f64 v[134:135], v[124:125], v[66:67]
	s_waitcnt vmcnt(56)
	v_fmac_f64_e32 v[134:135], v[126:127], v[68:69]
	v_add_f64 v[136:137], v[132:133], v[134:135]
	ds_read_b128 v[132:135], v114 offset:1152
	s_waitcnt lgkmcnt(1)
	v_mul_f64 v[138:139], v[128:129], v[62:63]
	v_fmac_f64_e32 v[138:139], v[130:131], v[64:65]
	v_add_f64 v[140:141], v[136:137], v[138:139]
	ds_read_b128 v[136:139], v114 offset:1168
	s_waitcnt vmcnt(50) lgkmcnt(1)
	v_mul_f64 v[142:143], v[132:133], v[74:75]
	s_waitcnt vmcnt(48)
	v_fmac_f64_e32 v[142:143], v[134:135], v[76:77]
	v_add_f64 v[144:145], v[140:141], v[142:143]
	ds_read_b128 v[140:143], v114 offset:1184
	v_fma_f64 v[14:15], v[14:15], v[24:25], -v[16:17]
	v_mul_f64 v[12:13], v[12:13], v[30:31]
	v_add_f64 v[14:15], v[18:19], v[14:15]
	v_fma_f64 v[10:11], v[10:11], v[44:45], -v[12:13]
	v_mul_f64 v[8:9], v[8:9], v[40:41]
	s_waitcnt lgkmcnt(1)
	v_mul_f64 v[146:147], v[136:137], v[70:71]
	v_add_f64 v[10:11], v[14:15], v[10:11]
	v_fma_f64 v[6:7], v[6:7], v[42:43], -v[8:9]
	v_mul_f64 v[4:5], v[4:5], v[36:37]
	v_fmac_f64_e32 v[146:147], v[138:139], v[72:73]
	v_add_f64 v[6:7], v[10:11], v[6:7]
	v_fma_f64 v[2:3], v[2:3], v[38:39], -v[4:5]
	v_mul_f64 v[4:5], v[104:105], v[50:51]
	v_add_f64 v[148:149], v[144:145], v[146:147]
	ds_read_b128 v[144:147], v114 offset:1200
	s_waitcnt vmcnt(42) lgkmcnt(1)
	v_mul_f64 v[150:151], v[140:141], v[82:83]
	v_add_f64 v[2:3], v[6:7], v[2:3]
	v_fma_f64 v[4:5], v[102:103], v[52:53], -v[4:5]
	s_waitcnt vmcnt(40)
	v_fmac_f64_e32 v[150:151], v[142:143], v[84:85]
	v_add_f64 v[2:3], v[2:3], v[4:5]
	v_mul_f64 v[4:5], v[108:109], v[46:47]
	v_add_f64 v[152:153], v[148:149], v[150:151]
	ds_read_b128 v[148:151], v114 offset:1216
	v_fma_f64 v[4:5], v[106:107], v[48:49], -v[4:5]
	v_add_f64 v[2:3], v[2:3], v[4:5]
	v_mul_f64 v[4:5], v[112:113], v[58:59]
	v_fma_f64 v[4:5], v[110:111], v[60:61], -v[4:5]
	s_waitcnt lgkmcnt(1)
	v_mul_f64 v[154:155], v[144:145], v[78:79]
	v_add_f64 v[2:3], v[2:3], v[4:5]
	v_mul_f64 v[4:5], v[122:123], v[54:55]
	v_fmac_f64_e32 v[154:155], v[146:147], v[80:81]
	v_fma_f64 v[4:5], v[120:121], v[56:57], -v[4:5]
	v_add_f64 v[156:157], v[152:153], v[154:155]
	ds_read_b128 v[152:155], v114 offset:1232
	s_waitcnt vmcnt(34) lgkmcnt(1)
	v_mul_f64 v[158:159], v[148:149], v[90:91]
	v_add_f64 v[2:3], v[2:3], v[4:5]
	v_mul_f64 v[4:5], v[126:127], v[66:67]
	s_waitcnt vmcnt(32)
	v_fmac_f64_e32 v[158:159], v[150:151], v[92:93]
	v_fma_f64 v[4:5], v[124:125], v[68:69], -v[4:5]
	v_add_f64 v[160:161], v[156:157], v[158:159]
	ds_read_b128 v[156:159], v114 offset:1248
	v_add_f64 v[2:3], v[2:3], v[4:5]
	v_mul_f64 v[4:5], v[130:131], v[62:63]
	v_fma_f64 v[4:5], v[128:129], v[64:65], -v[4:5]
	v_add_f64 v[2:3], v[2:3], v[4:5]
	v_mul_f64 v[4:5], v[134:135], v[74:75]
	s_waitcnt lgkmcnt(1)
	v_mul_f64 v[162:163], v[152:153], v[86:87]
	v_fma_f64 v[4:5], v[132:133], v[76:77], -v[4:5]
	v_fmac_f64_e32 v[162:163], v[154:155], v[88:89]
	v_add_f64 v[2:3], v[2:3], v[4:5]
	v_mul_f64 v[4:5], v[138:139], v[70:71]
	v_add_f64 v[164:165], v[160:161], v[162:163]
	ds_read_b128 v[160:163], v114 offset:1264
	s_waitcnt vmcnt(26) lgkmcnt(1)
	v_mul_f64 v[166:167], v[156:157], v[98:99]
	v_fma_f64 v[4:5], v[136:137], v[72:73], -v[4:5]
	s_waitcnt vmcnt(24)
	v_fmac_f64_e32 v[166:167], v[158:159], v[100:101]
	v_add_f64 v[2:3], v[2:3], v[4:5]
	v_mul_f64 v[4:5], v[142:143], v[82:83]
	v_add_f64 v[168:169], v[164:165], v[166:167]
	ds_read_b128 v[164:167], v114 offset:1280
	v_fma_f64 v[4:5], v[140:141], v[84:85], -v[4:5]
	v_add_f64 v[2:3], v[2:3], v[4:5]
	v_mul_f64 v[4:5], v[146:147], v[78:79]
	v_fma_f64 v[4:5], v[144:145], v[80:81], -v[4:5]
	s_waitcnt lgkmcnt(1)
	v_mul_f64 v[170:171], v[160:161], v[94:95]
	v_add_f64 v[2:3], v[2:3], v[4:5]
	v_mul_f64 v[4:5], v[150:151], v[90:91]
	v_fmac_f64_e32 v[170:171], v[162:163], v[96:97]
	v_fma_f64 v[4:5], v[148:149], v[92:93], -v[4:5]
	v_add_f64 v[172:173], v[168:169], v[170:171]
	ds_read_b128 v[168:171], v114 offset:1296
	s_waitcnt vmcnt(18) lgkmcnt(1)
	v_mul_f64 v[174:175], v[164:165], v[188:189]
	v_add_f64 v[2:3], v[2:3], v[4:5]
	v_mul_f64 v[4:5], v[154:155], v[86:87]
	s_waitcnt vmcnt(16)
	v_fmac_f64_e32 v[174:175], v[166:167], v[190:191]
	v_fma_f64 v[4:5], v[152:153], v[88:89], -v[4:5]
	v_add_f64 v[176:177], v[172:173], v[174:175]
	ds_read_b128 v[172:175], v114 offset:1312
	v_add_f64 v[2:3], v[2:3], v[4:5]
	v_mul_f64 v[4:5], v[158:159], v[98:99]
	v_fma_f64 v[4:5], v[156:157], v[100:101], -v[4:5]
	v_add_f64 v[2:3], v[2:3], v[4:5]
	v_mul_f64 v[4:5], v[162:163], v[94:95]
	s_waitcnt lgkmcnt(1)
	v_mul_f64 v[178:179], v[168:169], v[116:117]
	v_fma_f64 v[4:5], v[160:161], v[96:97], -v[4:5]
	v_fmac_f64_e32 v[178:179], v[170:171], v[118:119]
	v_add_f64 v[2:3], v[2:3], v[4:5]
	v_mul_f64 v[4:5], v[166:167], v[188:189]
	v_add_f64 v[180:181], v[176:177], v[178:179]
	ds_read_b128 v[176:179], v114 offset:1328
	s_waitcnt vmcnt(10) lgkmcnt(1)
	v_mul_f64 v[182:183], v[172:173], v[196:197]
	v_fma_f64 v[4:5], v[164:165], v[190:191], -v[4:5]
	s_waitcnt vmcnt(8)
	v_fmac_f64_e32 v[182:183], v[174:175], v[198:199]
	v_add_f64 v[2:3], v[2:3], v[4:5]
	v_mul_f64 v[4:5], v[170:171], v[116:117]
	v_add_f64 v[208:209], v[180:181], v[182:183]
	ds_read_b128 v[180:183], v114 offset:1344
	ds_read_b128 v[184:187], v114 offset:1360
	v_fma_f64 v[4:5], v[168:169], v[118:119], -v[4:5]
	v_add_f64 v[2:3], v[2:3], v[4:5]
	v_mul_f64 v[4:5], v[174:175], v[196:197]
	v_fma_f64 v[4:5], v[172:173], v[198:199], -v[4:5]
	v_add_f64 v[2:3], v[2:3], v[4:5]
	s_waitcnt lgkmcnt(2)
	v_mul_f64 v[4:5], v[178:179], v[192:193]
	v_mul_f64 v[210:211], v[176:177], v[192:193]
	v_fma_f64 v[4:5], v[176:177], v[194:195], -v[4:5]
	v_fmac_f64_e32 v[210:211], v[178:179], v[194:195]
	v_add_f64 v[2:3], v[2:3], v[4:5]
	s_waitcnt vmcnt(2) lgkmcnt(1)
	v_mul_f64 v[4:5], v[182:183], v[204:205]
	v_add_f64 v[208:209], v[208:209], v[210:211]
	v_mul_f64 v[210:211], v[180:181], v[204:205]
	s_waitcnt vmcnt(0)
	v_fma_f64 v[4:5], v[180:181], v[206:207], -v[4:5]
	v_fmac_f64_e32 v[210:211], v[182:183], v[206:207]
	v_add_f64 v[2:3], v[2:3], v[4:5]
	s_waitcnt lgkmcnt(0)
	v_mul_f64 v[4:5], v[186:187], v[200:201]
	v_add_f64 v[208:209], v[208:209], v[210:211]
	v_mul_f64 v[210:211], v[184:185], v[200:201]
	v_fma_f64 v[4:5], v[184:185], v[202:203], -v[4:5]
	v_fmac_f64_e32 v[210:211], v[186:187], v[202:203]
	v_add_f64 v[2:3], v[2:3], v[4:5]
	v_add_f64 v[208:209], v[208:209], v[210:211]
	v_add_f64 v[2:3], v[34:35], -v[2:3]
	v_add_f64 v[4:5], v[32:33], -v[208:209]
	buffer_store_dword v3, off, s[0:3], 0 offset:292
	buffer_store_dword v2, off, s[0:3], 0 offset:288
	;; [unrolled: 1-line block ×4, first 2 shown]
	s_and_saveexec_b64 s[4:5], vcc
	s_cbranch_execz .LBB42_239
; %bb.238:
	v_accvgpr_read_b32 v0, a112
	buffer_load_dword v2, v0, s[0:3], 0 offen
	buffer_load_dword v3, v0, s[0:3], 0 offen offset:4
	buffer_load_dword v4, v0, s[0:3], 0 offen offset:8
	;; [unrolled: 1-line block ×3, first 2 shown]
	v_accvgpr_read_b32 v0, a129
	buffer_store_dword v114, off, s[0:3], 0 offset:272
	buffer_store_dword v114, off, s[0:3], 0 offset:276
	;; [unrolled: 1-line block ×4, first 2 shown]
	s_waitcnt vmcnt(4)
	ds_write_b128 v0, v[2:5]
.LBB42_239:
	s_or_b64 exec, exec, s[4:5]
	s_waitcnt lgkmcnt(0)
	; wave barrier
	s_waitcnt lgkmcnt(0)
	buffer_load_dword v26, off, s[0:3], 0 offset:288
	buffer_load_dword v27, off, s[0:3], 0 offset:292
	;; [unrolled: 1-line block ×24, first 2 shown]
	ds_read_b128 v[22:25], v114 offset:960
	ds_read_b128 v[18:21], v114 offset:976
	;; [unrolled: 1-line block ×6, first 2 shown]
	buffer_load_dword v51, off, s[0:3], 0 offset:396
	buffer_load_dword v50, off, s[0:3], 0 offset:392
	;; [unrolled: 1-line block ×40, first 2 shown]
	v_cmp_lt_u32_e32 vcc, 15, v255
	s_waitcnt vmcnt(60) lgkmcnt(5)
	v_mul_f64 v[90:91], v[22:23], v[28:29]
	v_fmac_f64_e32 v[90:91], v[24:25], v[26:27]
	s_waitcnt vmcnt(58) lgkmcnt(4)
	v_mul_f64 v[92:93], v[18:19], v[30:31]
	v_add_f64 v[90:91], v[90:91], 0
	s_waitcnt vmcnt(56) lgkmcnt(3)
	v_mul_f64 v[94:95], v[10:11], v[32:33]
	v_mul_f64 v[24:25], v[24:25], v[28:29]
	v_fma_f64 v[22:23], v[22:23], v[26:27], -v[24:25]
	s_waitcnt vmcnt(54) lgkmcnt(1)
	v_mul_f64 v[116:117], v[2:3], v[38:39]
	v_add_f64 v[22:23], v[22:23], 0
	s_waitcnt vmcnt(51)
	v_mul_f64 v[96:97], v[6:7], v[42:43]
	s_waitcnt vmcnt(49)
	v_fmac_f64_e32 v[92:93], v[20:21], v[48:49]
	v_add_f64 v[90:91], v[90:91], v[92:93]
	s_waitcnt vmcnt(47)
	v_fmac_f64_e32 v[94:95], v[12:13], v[46:47]
	v_add_f64 v[90:91], v[90:91], v[94:95]
	;; [unrolled: 3-line block ×3, first 2 shown]
	buffer_load_dword v91, off, s[0:3], 0 offset:556
	buffer_load_dword v90, off, s[0:3], 0 offset:552
	;; [unrolled: 1-line block ×40, first 2 shown]
	ds_read_b128 v[120:123], v114 offset:1056
	buffer_load_dword v213, off, s[0:3], 0 offset:700
	buffer_load_dword v212, off, s[0:3], 0 offset:696
	;; [unrolled: 1-line block ×4, first 2 shown]
	v_mul_f64 v[20:21], v[20:21], v[30:31]
	v_fma_f64 v[18:19], v[18:19], v[48:49], -v[20:21]
	v_mul_f64 v[12:13], v[12:13], v[32:33]
	s_waitcnt vmcnt(62)
	v_fmac_f64_e32 v[116:117], v[4:5], v[40:41]
	ds_read_b128 v[124:127], v114 offset:1072
	ds_read_b128 v[128:131], v114 offset:1088
	v_add_f64 v[18:19], v[22:23], v[18:19]
	v_fma_f64 v[10:11], v[10:11], v[46:47], -v[12:13]
	v_mul_f64 v[8:9], v[8:9], v[42:43]
	v_add_f64 v[116:117], v[118:119], v[116:117]
	s_waitcnt lgkmcnt(3)
	v_mul_f64 v[118:119], v[14:15], v[54:55]
	v_add_f64 v[10:11], v[18:19], v[10:11]
	v_fma_f64 v[6:7], v[6:7], v[44:45], -v[8:9]
	v_mul_f64 v[4:5], v[4:5], v[38:39]
	v_fmac_f64_e32 v[118:119], v[16:17], v[56:57]
	v_add_f64 v[6:7], v[10:11], v[6:7]
	v_fma_f64 v[2:3], v[2:3], v[40:41], -v[4:5]
	v_mul_f64 v[4:5], v[16:17], v[54:55]
	v_add_f64 v[116:117], v[116:117], v[118:119]
	s_waitcnt lgkmcnt(2)
	v_mul_f64 v[118:119], v[120:121], v[50:51]
	v_add_f64 v[2:3], v[6:7], v[2:3]
	v_fma_f64 v[4:5], v[14:15], v[56:57], -v[4:5]
	v_fmac_f64_e32 v[118:119], v[122:123], v[52:53]
	ds_read_b128 v[132:135], v114 offset:1104
	ds_read_b128 v[136:139], v114 offset:1120
	v_add_f64 v[2:3], v[2:3], v[4:5]
	v_mul_f64 v[4:5], v[122:123], v[50:51]
	v_add_f64 v[116:117], v[116:117], v[118:119]
	s_waitcnt lgkmcnt(3)
	v_mul_f64 v[118:119], v[124:125], v[62:63]
	v_fma_f64 v[4:5], v[120:121], v[52:53], -v[4:5]
	v_fmac_f64_e32 v[118:119], v[126:127], v[64:65]
	v_add_f64 v[2:3], v[2:3], v[4:5]
	v_mul_f64 v[4:5], v[126:127], v[62:63]
	v_add_f64 v[116:117], v[116:117], v[118:119]
	s_waitcnt lgkmcnt(2)
	v_mul_f64 v[118:119], v[128:129], v[58:59]
	v_fma_f64 v[4:5], v[124:125], v[64:65], -v[4:5]
	v_fmac_f64_e32 v[118:119], v[130:131], v[60:61]
	ds_read_b128 v[140:143], v114 offset:1136
	ds_read_b128 v[144:147], v114 offset:1152
	v_add_f64 v[2:3], v[2:3], v[4:5]
	v_mul_f64 v[4:5], v[130:131], v[58:59]
	v_add_f64 v[116:117], v[116:117], v[118:119]
	s_waitcnt lgkmcnt(3)
	v_mul_f64 v[118:119], v[132:133], v[70:71]
	v_fma_f64 v[4:5], v[128:129], v[60:61], -v[4:5]
	s_waitcnt vmcnt(60)
	v_fmac_f64_e32 v[118:119], v[134:135], v[72:73]
	v_add_f64 v[2:3], v[2:3], v[4:5]
	v_mul_f64 v[4:5], v[134:135], v[70:71]
	v_add_f64 v[116:117], v[116:117], v[118:119]
	s_waitcnt lgkmcnt(2)
	v_mul_f64 v[118:119], v[136:137], v[66:67]
	v_fma_f64 v[4:5], v[132:133], v[72:73], -v[4:5]
	v_fmac_f64_e32 v[118:119], v[138:139], v[68:69]
	ds_read_b128 v[148:151], v114 offset:1168
	ds_read_b128 v[152:155], v114 offset:1184
	v_add_f64 v[2:3], v[2:3], v[4:5]
	v_mul_f64 v[4:5], v[138:139], v[66:67]
	v_add_f64 v[116:117], v[116:117], v[118:119]
	s_waitcnt vmcnt(54) lgkmcnt(3)
	v_mul_f64 v[118:119], v[140:141], v[78:79]
	v_fma_f64 v[4:5], v[136:137], v[68:69], -v[4:5]
	s_waitcnt vmcnt(52)
	v_fmac_f64_e32 v[118:119], v[142:143], v[80:81]
	v_add_f64 v[2:3], v[2:3], v[4:5]
	v_mul_f64 v[4:5], v[142:143], v[78:79]
	v_add_f64 v[116:117], v[116:117], v[118:119]
	s_waitcnt lgkmcnt(2)
	v_mul_f64 v[118:119], v[144:145], v[74:75]
	v_fma_f64 v[4:5], v[140:141], v[80:81], -v[4:5]
	v_fmac_f64_e32 v[118:119], v[146:147], v[76:77]
	ds_read_b128 v[156:159], v114 offset:1200
	ds_read_b128 v[160:163], v114 offset:1216
	v_add_f64 v[2:3], v[2:3], v[4:5]
	v_mul_f64 v[4:5], v[146:147], v[74:75]
	v_add_f64 v[116:117], v[116:117], v[118:119]
	s_waitcnt vmcnt(46) lgkmcnt(3)
	;; [unrolled: 17-line block ×5, first 2 shown]
	v_mul_f64 v[118:119], v[172:173], v[110:111]
	v_fma_f64 v[4:5], v[168:169], v[100:101], -v[4:5]
	s_waitcnt vmcnt(20)
	v_fmac_f64_e32 v[118:119], v[174:175], v[112:113]
	v_add_f64 v[2:3], v[2:3], v[4:5]
	v_mul_f64 v[4:5], v[174:175], v[110:111]
	v_add_f64 v[116:117], v[116:117], v[118:119]
	s_waitcnt lgkmcnt(2)
	v_mul_f64 v[118:119], v[176:177], v[106:107]
	v_fma_f64 v[4:5], v[172:173], v[112:113], -v[4:5]
	v_fmac_f64_e32 v[118:119], v[178:179], v[108:109]
	v_add_f64 v[2:3], v[2:3], v[4:5]
	v_mul_f64 v[4:5], v[178:179], v[106:107]
	v_add_f64 v[116:117], v[116:117], v[118:119]
	s_waitcnt vmcnt(14) lgkmcnt(1)
	v_mul_f64 v[118:119], v[180:181], v[200:201]
	ds_read_b128 v[188:191], v114 offset:1328
	ds_read_b128 v[192:195], v114 offset:1344
	v_fma_f64 v[4:5], v[176:177], v[108:109], -v[4:5]
	s_waitcnt vmcnt(12)
	v_fmac_f64_e32 v[118:119], v[182:183], v[202:203]
	v_add_f64 v[2:3], v[2:3], v[4:5]
	v_mul_f64 v[4:5], v[182:183], v[200:201]
	v_add_f64 v[116:117], v[116:117], v[118:119]
	s_waitcnt lgkmcnt(2)
	v_mul_f64 v[118:119], v[184:185], v[196:197]
	v_fma_f64 v[4:5], v[180:181], v[202:203], -v[4:5]
	v_fmac_f64_e32 v[118:119], v[186:187], v[198:199]
	v_add_f64 v[2:3], v[2:3], v[4:5]
	v_mul_f64 v[4:5], v[186:187], v[196:197]
	v_add_f64 v[118:119], v[116:117], v[118:119]
	ds_read_b128 v[114:117], v114 offset:1360
	v_fma_f64 v[4:5], v[184:185], v[198:199], -v[4:5]
	v_add_f64 v[2:3], v[2:3], v[4:5]
	s_waitcnt vmcnt(6) lgkmcnt(2)
	v_mul_f64 v[4:5], v[190:191], v[208:209]
	v_mul_f64 v[216:217], v[188:189], v[208:209]
	s_waitcnt vmcnt(4)
	v_fma_f64 v[4:5], v[188:189], v[210:211], -v[4:5]
	v_fmac_f64_e32 v[216:217], v[190:191], v[210:211]
	v_add_f64 v[2:3], v[2:3], v[4:5]
	s_waitcnt lgkmcnt(1)
	v_mul_f64 v[4:5], v[194:195], v[204:205]
	v_add_f64 v[118:119], v[118:119], v[216:217]
	v_mul_f64 v[216:217], v[192:193], v[204:205]
	v_fma_f64 v[4:5], v[192:193], v[206:207], -v[4:5]
	v_fmac_f64_e32 v[216:217], v[194:195], v[206:207]
	v_add_f64 v[2:3], v[2:3], v[4:5]
	s_waitcnt vmcnt(2) lgkmcnt(0)
	v_mul_f64 v[4:5], v[116:117], v[212:213]
	v_add_f64 v[118:119], v[118:119], v[216:217]
	v_mul_f64 v[216:217], v[114:115], v[212:213]
	s_waitcnt vmcnt(0)
	v_fma_f64 v[4:5], v[114:115], v[214:215], -v[4:5]
	v_fmac_f64_e32 v[216:217], v[116:117], v[214:215]
	v_add_f64 v[2:3], v[2:3], v[4:5]
	v_add_f64 v[118:119], v[118:119], v[216:217]
	v_add_f64 v[2:3], v[36:37], -v[2:3]
	v_add_f64 v[4:5], v[34:35], -v[118:119]
	buffer_store_dword v3, off, s[0:3], 0 offset:276
	buffer_store_dword v2, off, s[0:3], 0 offset:272
	;; [unrolled: 1-line block ×4, first 2 shown]
	s_and_saveexec_b64 s[4:5], vcc
	s_cbranch_execz .LBB42_241
; %bb.240:
	v_accvgpr_read_b32 v0, a113
	buffer_load_dword v2, v0, s[0:3], 0 offen
	buffer_load_dword v3, v0, s[0:3], 0 offen offset:4
	buffer_load_dword v4, v0, s[0:3], 0 offen offset:8
	;; [unrolled: 1-line block ×3, first 2 shown]
	v_mov_b32_e32 v0, 0
	v_accvgpr_read_b32 v1, a129
	buffer_store_dword v0, off, s[0:3], 0 offset:256
	buffer_store_dword v0, off, s[0:3], 0 offset:260
	buffer_store_dword v0, off, s[0:3], 0 offset:264
	buffer_store_dword v0, off, s[0:3], 0 offset:268
	s_waitcnt vmcnt(4)
	ds_write_b128 v1, v[2:5]
.LBB42_241:
	s_or_b64 exec, exec, s[4:5]
	s_waitcnt lgkmcnt(0)
	; wave barrier
	s_waitcnt lgkmcnt(0)
	buffer_load_dword v30, off, s[0:3], 0 offset:272
	buffer_load_dword v31, off, s[0:3], 0 offset:276
	;; [unrolled: 1-line block ×56, first 2 shown]
	v_mov_b32_e32 v136, 0
	ds_read_b128 v[26:29], v136 offset:944
	ds_read_b128 v[22:25], v136 offset:960
	;; [unrolled: 1-line block ×7, first 2 shown]
	v_cmp_lt_u32_e32 vcc, 14, v255
	s_waitcnt vmcnt(52) lgkmcnt(6)
	v_mul_f64 v[86:87], v[26:27], v[34:35]
	v_fmac_f64_e32 v[86:87], v[28:29], v[30:31]
	v_add_f64 v[86:87], v[86:87], 0
	v_mul_f64 v[28:29], v[28:29], v[34:35]
	s_waitcnt vmcnt(48) lgkmcnt(5)
	v_mul_f64 v[88:89], v[22:23], v[36:37]
	v_fmac_f64_e32 v[88:89], v[24:25], v[32:33]
	s_waitcnt vmcnt(46) lgkmcnt(4)
	v_mul_f64 v[90:91], v[18:19], v[38:39]
	v_add_f64 v[86:87], v[86:87], v[88:89]
	s_waitcnt vmcnt(44) lgkmcnt(2)
	v_mul_f64 v[94:95], v[10:11], v[40:41]
	v_fma_f64 v[26:27], v[26:27], v[30:31], -v[28:29]
	s_waitcnt vmcnt(42)
	v_fmac_f64_e32 v[94:95], v[12:13], v[42:43]
	v_mul_f64 v[24:25], v[24:25], v[36:37]
	s_waitcnt vmcnt(40)
	v_mul_f64 v[92:93], v[14:15], v[48:49]
	v_add_f64 v[26:27], v[26:27], 0
	v_fma_f64 v[22:23], v[22:23], v[32:33], -v[24:25]
	v_add_f64 v[22:23], v[26:27], v[22:23]
	s_waitcnt vmcnt(36) lgkmcnt(1)
	v_mul_f64 v[110:111], v[6:7], v[54:55]
	v_mul_f64 v[12:13], v[12:13], v[40:41]
	s_waitcnt vmcnt(34)
	v_fmac_f64_e32 v[90:91], v[20:21], v[60:61]
	v_add_f64 v[86:87], v[86:87], v[90:91]
	s_waitcnt vmcnt(32)
	v_fmac_f64_e32 v[92:93], v[16:17], v[58:59]
	v_add_f64 v[86:87], v[86:87], v[92:93]
	v_add_f64 v[116:117], v[86:87], v[94:95]
	buffer_load_dword v87, off, s[0:3], 0 offset:508
	buffer_load_dword v86, off, s[0:3], 0 offset:504
	;; [unrolled: 1-line block ×56, first 2 shown]
	ds_read_b128 v[126:129], v136 offset:1056
	ds_read_b128 v[130:133], v136 offset:1072
	v_mul_f64 v[20:21], v[20:21], v[38:39]
	v_fma_f64 v[18:19], v[18:19], v[60:61], -v[20:21]
	v_mul_f64 v[16:17], v[16:17], v[48:49]
	s_waitcnt vmcnt(62)
	v_fmac_f64_e32 v[110:111], v[8:9], v[56:57]
	v_add_f64 v[18:19], v[22:23], v[18:19]
	v_fma_f64 v[14:15], v[14:15], v[58:59], -v[16:17]
	v_add_f64 v[110:111], v[116:117], v[110:111]
	s_waitcnt lgkmcnt(2)
	v_mul_f64 v[116:117], v[2:3], v[50:51]
	v_add_f64 v[14:15], v[18:19], v[14:15]
	v_fma_f64 v[10:11], v[10:11], v[42:43], -v[12:13]
	v_mul_f64 v[8:9], v[8:9], v[54:55]
	v_fmac_f64_e32 v[116:117], v[4:5], v[52:53]
	ds_read_b128 v[138:141], v136 offset:1088
	ds_read_b128 v[142:145], v136 offset:1104
	v_add_f64 v[10:11], v[14:15], v[10:11]
	v_fma_f64 v[6:7], v[6:7], v[56:57], -v[8:9]
	v_mul_f64 v[4:5], v[4:5], v[50:51]
	v_add_f64 v[6:7], v[10:11], v[6:7]
	v_fma_f64 v[2:3], v[2:3], v[52:53], -v[4:5]
	s_waitcnt lgkmcnt(3)
	v_mul_f64 v[4:5], v[128:129], v[66:67]
	v_add_f64 v[110:111], v[110:111], v[116:117]
	v_mul_f64 v[116:117], v[126:127], v[66:67]
	v_add_f64 v[2:3], v[6:7], v[2:3]
	v_fma_f64 v[4:5], v[126:127], v[68:69], -v[4:5]
	v_fmac_f64_e32 v[116:117], v[128:129], v[68:69]
	v_add_f64 v[2:3], v[2:3], v[4:5]
	s_waitcnt lgkmcnt(2)
	v_mul_f64 v[4:5], v[132:133], v[62:63]
	v_add_f64 v[110:111], v[110:111], v[116:117]
	v_mul_f64 v[116:117], v[130:131], v[62:63]
	ds_read_b128 v[146:149], v136 offset:1120
	ds_read_b128 v[150:153], v136 offset:1136
	v_fma_f64 v[4:5], v[130:131], v[64:65], -v[4:5]
	v_fmac_f64_e32 v[116:117], v[132:133], v[64:65]
	v_add_f64 v[2:3], v[2:3], v[4:5]
	s_waitcnt lgkmcnt(3)
	v_mul_f64 v[4:5], v[140:141], v[74:75]
	v_add_f64 v[110:111], v[110:111], v[116:117]
	v_mul_f64 v[116:117], v[138:139], v[74:75]
	v_fma_f64 v[4:5], v[138:139], v[76:77], -v[4:5]
	v_fmac_f64_e32 v[116:117], v[140:141], v[76:77]
	v_add_f64 v[2:3], v[2:3], v[4:5]
	s_waitcnt lgkmcnt(2)
	v_mul_f64 v[4:5], v[144:145], v[70:71]
	v_add_f64 v[110:111], v[110:111], v[116:117]
	v_mul_f64 v[116:117], v[142:143], v[70:71]
	ds_read_b128 v[154:157], v136 offset:1152
	ds_read_b128 v[158:161], v136 offset:1168
	v_fma_f64 v[4:5], v[142:143], v[72:73], -v[4:5]
	v_fmac_f64_e32 v[116:117], v[144:145], v[72:73]
	v_add_f64 v[2:3], v[2:3], v[4:5]
	s_waitcnt vmcnt(58) lgkmcnt(3)
	v_mul_f64 v[4:5], v[148:149], v[82:83]
	v_add_f64 v[110:111], v[110:111], v[116:117]
	v_mul_f64 v[116:117], v[146:147], v[82:83]
	s_waitcnt vmcnt(56)
	v_fma_f64 v[4:5], v[146:147], v[84:85], -v[4:5]
	v_fmac_f64_e32 v[116:117], v[148:149], v[84:85]
	v_add_f64 v[2:3], v[2:3], v[4:5]
	s_waitcnt lgkmcnt(2)
	v_mul_f64 v[4:5], v[152:153], v[78:79]
	v_add_f64 v[110:111], v[110:111], v[116:117]
	v_mul_f64 v[116:117], v[150:151], v[78:79]
	ds_read_b128 v[162:165], v136 offset:1184
	ds_read_b128 v[166:169], v136 offset:1200
	v_fma_f64 v[4:5], v[150:151], v[80:81], -v[4:5]
	v_fmac_f64_e32 v[116:117], v[152:153], v[80:81]
	v_add_f64 v[2:3], v[2:3], v[4:5]
	s_waitcnt vmcnt(50) lgkmcnt(3)
	v_mul_f64 v[4:5], v[156:157], v[90:91]
	v_add_f64 v[110:111], v[110:111], v[116:117]
	v_mul_f64 v[116:117], v[154:155], v[90:91]
	s_waitcnt vmcnt(48)
	;; [unrolled: 17-line block ×7, first 2 shown]
	v_fma_f64 v[4:5], v[204:205], v[202:203], -v[4:5]
	v_fmac_f64_e32 v[116:117], v[206:207], v[202:203]
	v_add_f64 v[2:3], v[2:3], v[4:5]
	s_waitcnt lgkmcnt(2)
	v_mul_f64 v[4:5], v[210:211], v[196:197]
	v_add_f64 v[110:111], v[110:111], v[116:117]
	v_mul_f64 v[116:117], v[208:209], v[196:197]
	v_fma_f64 v[4:5], v[208:209], v[198:199], -v[4:5]
	v_fmac_f64_e32 v[116:117], v[210:211], v[198:199]
	v_add_f64 v[2:3], v[2:3], v[4:5]
	s_waitcnt vmcnt(2) lgkmcnt(1)
	v_mul_f64 v[4:5], v[214:215], v[224:225]
	v_add_f64 v[110:111], v[110:111], v[116:117]
	v_mul_f64 v[116:117], v[212:213], v[224:225]
	s_waitcnt vmcnt(0)
	v_fma_f64 v[4:5], v[212:213], v[226:227], -v[4:5]
	v_fmac_f64_e32 v[116:117], v[214:215], v[226:227]
	v_add_f64 v[2:3], v[2:3], v[4:5]
	s_waitcnt lgkmcnt(0)
	v_mul_f64 v[4:5], v[218:219], v[220:221]
	v_add_f64 v[110:111], v[110:111], v[116:117]
	v_mul_f64 v[116:117], v[216:217], v[220:221]
	v_fma_f64 v[4:5], v[216:217], v[222:223], -v[4:5]
	v_fmac_f64_e32 v[116:117], v[218:219], v[222:223]
	v_add_f64 v[2:3], v[2:3], v[4:5]
	v_add_f64 v[110:111], v[110:111], v[116:117]
	v_add_f64 v[2:3], v[46:47], -v[2:3]
	v_add_f64 v[4:5], v[44:45], -v[110:111]
	buffer_store_dword v3, off, s[0:3], 0 offset:260
	buffer_store_dword v2, off, s[0:3], 0 offset:256
	;; [unrolled: 1-line block ×4, first 2 shown]
	s_and_saveexec_b64 s[4:5], vcc
	s_cbranch_execz .LBB42_243
; %bb.242:
	v_accvgpr_read_b32 v0, a114
	buffer_load_dword v2, v0, s[0:3], 0 offen
	buffer_load_dword v3, v0, s[0:3], 0 offen offset:4
	buffer_load_dword v4, v0, s[0:3], 0 offen offset:8
	;; [unrolled: 1-line block ×3, first 2 shown]
	v_accvgpr_read_b32 v0, a129
	buffer_store_dword v136, off, s[0:3], 0 offset:240
	buffer_store_dword v136, off, s[0:3], 0 offset:244
	;; [unrolled: 1-line block ×4, first 2 shown]
	s_waitcnt vmcnt(4)
	ds_write_b128 v0, v[2:5]
.LBB42_243:
	s_or_b64 exec, exec, s[4:5]
	s_waitcnt lgkmcnt(0)
	; wave barrier
	s_waitcnt lgkmcnt(0)
	buffer_load_dword v34, off, s[0:3], 0 offset:256
	buffer_load_dword v35, off, s[0:3], 0 offset:260
	;; [unrolled: 1-line block ×32, first 2 shown]
	ds_read_b128 v[30:33], v136 offset:928
	ds_read_b128 v[26:29], v136 offset:944
	;; [unrolled: 1-line block ×8, first 2 shown]
	buffer_load_dword v67, off, s[0:3], 0 offset:396
	buffer_load_dword v66, off, s[0:3], 0 offset:392
	;; [unrolled: 1-line block ×24, first 2 shown]
	v_cmp_lt_u32_e32 vcc, 13, v255
	s_waitcnt vmcnt(52) lgkmcnt(7)
	v_mul_f64 v[90:91], v[30:31], v[38:39]
	v_fmac_f64_e32 v[90:91], v[32:33], v[34:35]
	v_add_f64 v[90:91], v[90:91], 0
	v_mul_f64 v[32:33], v[32:33], v[38:39]
	s_waitcnt vmcnt(48) lgkmcnt(6)
	v_mul_f64 v[92:93], v[26:27], v[40:41]
	v_fmac_f64_e32 v[92:93], v[28:29], v[36:37]
	s_waitcnt vmcnt(46) lgkmcnt(5)
	v_mul_f64 v[94:95], v[22:23], v[42:43]
	v_add_f64 v[90:91], v[90:91], v[92:93]
	s_waitcnt vmcnt(44) lgkmcnt(4)
	v_mul_f64 v[96:97], v[18:19], v[48:49]
	v_fma_f64 v[30:31], v[30:31], v[34:35], -v[32:33]
	s_waitcnt vmcnt(42) lgkmcnt(1)
	v_mul_f64 v[124:125], v[2:3], v[50:51]
	v_mul_f64 v[28:29], v[28:29], v[40:41]
	s_waitcnt vmcnt(18) lgkmcnt(0)
	v_mul_f64 v[140:141], v[14:15], v[70:71]
	v_mul_f64 v[100:101], v[6:7], v[54:55]
	s_waitcnt vmcnt(16)
	v_fmac_f64_e32 v[140:141], v[16:17], v[72:73]
	v_mul_f64 v[98:99], v[10:11], v[56:57]
	v_add_f64 v[30:31], v[30:31], 0
	v_fmac_f64_e32 v[98:99], v[12:13], v[58:59]
	v_fma_f64 v[26:27], v[26:27], v[36:37], -v[28:29]
	v_fmac_f64_e32 v[94:95], v[24:25], v[64:65]
	v_add_f64 v[90:91], v[90:91], v[94:95]
	v_fmac_f64_e32 v[96:97], v[20:21], v[62:63]
	v_add_f64 v[90:91], v[90:91], v[96:97]
	;; [unrolled: 2-line block ×3, first 2 shown]
	v_add_f64 v[126:127], v[90:91], v[100:101]
	buffer_load_dword v91, off, s[0:3], 0 offset:492
	buffer_load_dword v90, off, s[0:3], 0 offset:488
	;; [unrolled: 1-line block ×56, first 2 shown]
	v_fmac_f64_e32 v[124:125], v[4:5], v[52:53]
	v_add_f64 v[138:139], v[126:127], v[124:125]
	ds_read_b128 v[124:127], v136 offset:1056
	buffer_load_dword v229, off, s[0:3], 0 offset:700
	buffer_load_dword v228, off, s[0:3], 0 offset:696
	;; [unrolled: 1-line block ×4, first 2 shown]
	v_add_f64 v[142:143], v[138:139], v[140:141]
	ds_read_b128 v[138:141], v136 offset:1072
	v_mul_f64 v[24:25], v[24:25], v[42:43]
	s_waitcnt lgkmcnt(1)
	v_mul_f64 v[144:145], v[124:125], v[66:67]
	v_fmac_f64_e32 v[144:145], v[126:127], v[68:69]
	v_add_f64 v[146:147], v[142:143], v[144:145]
	ds_read_b128 v[142:145], v136 offset:1088
	s_waitcnt vmcnt(62) lgkmcnt(1)
	v_mul_f64 v[148:149], v[138:139], v[78:79]
	v_fmac_f64_e32 v[148:149], v[140:141], v[80:81]
	v_add_f64 v[150:151], v[146:147], v[148:149]
	ds_read_b128 v[146:149], v136 offset:1104
	s_waitcnt lgkmcnt(1)
	v_mul_f64 v[152:153], v[142:143], v[74:75]
	v_fmac_f64_e32 v[152:153], v[144:145], v[76:77]
	v_add_f64 v[154:155], v[150:151], v[152:153]
	ds_read_b128 v[150:153], v136 offset:1120
	s_waitcnt lgkmcnt(1)
	v_mul_f64 v[156:157], v[146:147], v[86:87]
	s_waitcnt vmcnt(60)
	v_fmac_f64_e32 v[156:157], v[148:149], v[88:89]
	v_add_f64 v[158:159], v[154:155], v[156:157]
	ds_read_b128 v[154:157], v136 offset:1136
	s_waitcnt lgkmcnt(1)
	v_mul_f64 v[160:161], v[150:151], v[82:83]
	v_fmac_f64_e32 v[160:161], v[152:153], v[84:85]
	v_add_f64 v[162:163], v[158:159], v[160:161]
	ds_read_b128 v[158:161], v136 offset:1152
	v_add_f64 v[26:27], v[30:31], v[26:27]
	v_fma_f64 v[22:23], v[22:23], v[64:65], -v[24:25]
	s_waitcnt vmcnt(54) lgkmcnt(1)
	v_mul_f64 v[164:165], v[154:155], v[94:95]
	v_mul_f64 v[20:21], v[20:21], v[48:49]
	s_waitcnt vmcnt(52)
	v_fmac_f64_e32 v[164:165], v[156:157], v[96:97]
	v_add_f64 v[166:167], v[162:163], v[164:165]
	ds_read_b128 v[162:165], v136 offset:1168
	s_waitcnt lgkmcnt(1)
	v_mul_f64 v[168:169], v[158:159], v[90:91]
	v_fmac_f64_e32 v[168:169], v[160:161], v[92:93]
	v_add_f64 v[22:23], v[26:27], v[22:23]
	v_fma_f64 v[18:19], v[18:19], v[62:63], -v[20:21]
	v_mul_f64 v[12:13], v[12:13], v[56:57]
	v_add_f64 v[170:171], v[166:167], v[168:169]
	ds_read_b128 v[166:169], v136 offset:1184
	v_add_f64 v[18:19], v[22:23], v[18:19]
	v_fma_f64 v[10:11], v[10:11], v[58:59], -v[12:13]
	v_mul_f64 v[8:9], v[8:9], v[54:55]
	v_add_f64 v[10:11], v[18:19], v[10:11]
	v_fma_f64 v[6:7], v[6:7], v[60:61], -v[8:9]
	v_mul_f64 v[4:5], v[4:5], v[50:51]
	;; [unrolled: 3-line block ×3, first 2 shown]
	s_waitcnt vmcnt(46) lgkmcnt(1)
	v_mul_f64 v[172:173], v[162:163], v[102:103]
	v_add_f64 v[2:3], v[6:7], v[2:3]
	v_fma_f64 v[4:5], v[14:15], v[72:73], -v[4:5]
	s_waitcnt vmcnt(44)
	v_fmac_f64_e32 v[172:173], v[164:165], v[104:105]
	v_add_f64 v[2:3], v[2:3], v[4:5]
	v_mul_f64 v[4:5], v[126:127], v[66:67]
	v_add_f64 v[174:175], v[170:171], v[172:173]
	ds_read_b128 v[170:173], v136 offset:1200
	s_waitcnt lgkmcnt(1)
	v_mul_f64 v[176:177], v[166:167], v[98:99]
	v_fma_f64 v[4:5], v[124:125], v[68:69], -v[4:5]
	v_fmac_f64_e32 v[176:177], v[168:169], v[100:101]
	v_add_f64 v[2:3], v[2:3], v[4:5]
	v_mul_f64 v[4:5], v[140:141], v[78:79]
	v_add_f64 v[178:179], v[174:175], v[176:177]
	ds_read_b128 v[174:177], v136 offset:1216
	v_fma_f64 v[4:5], v[138:139], v[80:81], -v[4:5]
	v_add_f64 v[2:3], v[2:3], v[4:5]
	v_mul_f64 v[4:5], v[144:145], v[74:75]
	v_fma_f64 v[4:5], v[142:143], v[76:77], -v[4:5]
	s_waitcnt vmcnt(38) lgkmcnt(1)
	v_mul_f64 v[180:181], v[170:171], v[110:111]
	v_add_f64 v[2:3], v[2:3], v[4:5]
	v_mul_f64 v[4:5], v[148:149], v[86:87]
	s_waitcnt vmcnt(36)
	v_fmac_f64_e32 v[180:181], v[172:173], v[112:113]
	v_fma_f64 v[4:5], v[146:147], v[88:89], -v[4:5]
	v_add_f64 v[182:183], v[178:179], v[180:181]
	ds_read_b128 v[178:181], v136 offset:1232
	s_waitcnt lgkmcnt(1)
	v_mul_f64 v[184:185], v[174:175], v[106:107]
	v_add_f64 v[2:3], v[2:3], v[4:5]
	v_mul_f64 v[4:5], v[152:153], v[82:83]
	v_fmac_f64_e32 v[184:185], v[176:177], v[108:109]
	v_fma_f64 v[4:5], v[150:151], v[84:85], -v[4:5]
	v_add_f64 v[186:187], v[182:183], v[184:185]
	ds_read_b128 v[182:185], v136 offset:1248
	v_add_f64 v[2:3], v[2:3], v[4:5]
	v_mul_f64 v[4:5], v[156:157], v[94:95]
	v_fma_f64 v[4:5], v[154:155], v[96:97], -v[4:5]
	v_add_f64 v[2:3], v[2:3], v[4:5]
	v_mul_f64 v[4:5], v[160:161], v[90:91]
	s_waitcnt vmcnt(30) lgkmcnt(1)
	v_mul_f64 v[188:189], v[178:179], v[120:121]
	v_fma_f64 v[4:5], v[158:159], v[92:93], -v[4:5]
	s_waitcnt vmcnt(28)
	v_fmac_f64_e32 v[188:189], v[180:181], v[122:123]
	v_add_f64 v[2:3], v[2:3], v[4:5]
	v_mul_f64 v[4:5], v[164:165], v[102:103]
	v_add_f64 v[190:191], v[186:187], v[188:189]
	ds_read_b128 v[186:189], v136 offset:1264
	s_waitcnt lgkmcnt(1)
	v_mul_f64 v[192:193], v[182:183], v[114:115]
	v_fma_f64 v[4:5], v[162:163], v[104:105], -v[4:5]
	v_fmac_f64_e32 v[192:193], v[184:185], v[116:117]
	v_add_f64 v[2:3], v[2:3], v[4:5]
	v_mul_f64 v[4:5], v[168:169], v[98:99]
	v_add_f64 v[204:205], v[190:191], v[192:193]
	ds_read_b128 v[190:193], v136 offset:1280
	v_fma_f64 v[4:5], v[166:167], v[100:101], -v[4:5]
	v_add_f64 v[2:3], v[2:3], v[4:5]
	v_mul_f64 v[4:5], v[172:173], v[110:111]
	v_fma_f64 v[4:5], v[170:171], v[112:113], -v[4:5]
	s_waitcnt vmcnt(22) lgkmcnt(1)
	v_mul_f64 v[206:207], v[186:187], v[132:133]
	v_add_f64 v[2:3], v[2:3], v[4:5]
	v_mul_f64 v[4:5], v[176:177], v[106:107]
	s_waitcnt vmcnt(20)
	v_fmac_f64_e32 v[206:207], v[188:189], v[134:135]
	v_fma_f64 v[4:5], v[174:175], v[108:109], -v[4:5]
	v_add_f64 v[208:209], v[204:205], v[206:207]
	ds_read_b128 v[204:207], v136 offset:1296
	s_waitcnt lgkmcnt(1)
	v_mul_f64 v[210:211], v[190:191], v[128:129]
	v_add_f64 v[2:3], v[2:3], v[4:5]
	v_mul_f64 v[4:5], v[180:181], v[120:121]
	v_fmac_f64_e32 v[210:211], v[192:193], v[130:131]
	v_fma_f64 v[4:5], v[178:179], v[122:123], -v[4:5]
	v_add_f64 v[212:213], v[208:209], v[210:211]
	ds_read_b128 v[208:211], v136 offset:1312
	v_add_f64 v[2:3], v[2:3], v[4:5]
	v_mul_f64 v[4:5], v[184:185], v[114:115]
	v_fma_f64 v[4:5], v[182:183], v[116:117], -v[4:5]
	v_add_f64 v[2:3], v[2:3], v[4:5]
	v_mul_f64 v[4:5], v[188:189], v[132:133]
	s_waitcnt vmcnt(14) lgkmcnt(1)
	v_mul_f64 v[214:215], v[204:205], v[196:197]
	v_fma_f64 v[4:5], v[186:187], v[134:135], -v[4:5]
	s_waitcnt vmcnt(12)
	v_fmac_f64_e32 v[214:215], v[206:207], v[198:199]
	v_add_f64 v[2:3], v[2:3], v[4:5]
	v_mul_f64 v[4:5], v[192:193], v[128:129]
	v_add_f64 v[216:217], v[212:213], v[214:215]
	ds_read_b128 v[212:215], v136 offset:1328
	s_waitcnt lgkmcnt(1)
	v_mul_f64 v[218:219], v[208:209], v[118:119]
	v_fma_f64 v[4:5], v[190:191], v[130:131], -v[4:5]
	v_fmac_f64_e32 v[218:219], v[210:211], v[194:195]
	v_add_f64 v[2:3], v[2:3], v[4:5]
	v_mul_f64 v[4:5], v[206:207], v[196:197]
	v_add_f64 v[232:233], v[216:217], v[218:219]
	ds_read_b128 v[216:219], v136 offset:1344
	v_fma_f64 v[4:5], v[204:205], v[198:199], -v[4:5]
	v_add_f64 v[2:3], v[2:3], v[4:5]
	v_mul_f64 v[4:5], v[210:211], v[118:119]
	ds_read_b128 v[220:223], v136 offset:1360
	v_fma_f64 v[4:5], v[208:209], v[194:195], -v[4:5]
	v_add_f64 v[2:3], v[2:3], v[4:5]
	s_waitcnt vmcnt(6) lgkmcnt(2)
	v_mul_f64 v[4:5], v[214:215], v[224:225]
	v_mul_f64 v[234:235], v[212:213], v[224:225]
	s_waitcnt vmcnt(4)
	v_fma_f64 v[4:5], v[212:213], v[226:227], -v[4:5]
	v_fmac_f64_e32 v[234:235], v[214:215], v[226:227]
	v_add_f64 v[2:3], v[2:3], v[4:5]
	s_waitcnt lgkmcnt(1)
	v_mul_f64 v[4:5], v[218:219], v[200:201]
	v_add_f64 v[136:137], v[232:233], v[234:235]
	v_mul_f64 v[232:233], v[216:217], v[200:201]
	v_fma_f64 v[4:5], v[216:217], v[202:203], -v[4:5]
	v_fmac_f64_e32 v[232:233], v[218:219], v[202:203]
	v_add_f64 v[2:3], v[2:3], v[4:5]
	s_waitcnt vmcnt(2) lgkmcnt(0)
	v_mul_f64 v[4:5], v[222:223], v[228:229]
	v_add_f64 v[136:137], v[136:137], v[232:233]
	v_mul_f64 v[232:233], v[220:221], v[228:229]
	s_waitcnt vmcnt(0)
	v_fma_f64 v[4:5], v[220:221], v[230:231], -v[4:5]
	v_fmac_f64_e32 v[232:233], v[222:223], v[230:231]
	v_add_f64 v[2:3], v[2:3], v[4:5]
	v_add_f64 v[136:137], v[136:137], v[232:233]
	v_add_f64 v[2:3], v[46:47], -v[2:3]
	v_add_f64 v[4:5], v[44:45], -v[136:137]
	buffer_store_dword v3, off, s[0:3], 0 offset:244
	buffer_store_dword v2, off, s[0:3], 0 offset:240
	;; [unrolled: 1-line block ×4, first 2 shown]
	s_and_saveexec_b64 s[4:5], vcc
	s_cbranch_execz .LBB42_245
; %bb.244:
	v_accvgpr_read_b32 v0, a115
	buffer_load_dword v2, v0, s[0:3], 0 offen
	buffer_load_dword v3, v0, s[0:3], 0 offen offset:4
	buffer_load_dword v4, v0, s[0:3], 0 offen offset:8
	;; [unrolled: 1-line block ×3, first 2 shown]
	v_mov_b32_e32 v0, 0
	v_accvgpr_read_b32 v1, a129
	buffer_store_dword v0, off, s[0:3], 0 offset:224
	buffer_store_dword v0, off, s[0:3], 0 offset:228
	;; [unrolled: 1-line block ×4, first 2 shown]
	s_waitcnt vmcnt(4)
	ds_write_b128 v1, v[2:5]
.LBB42_245:
	s_or_b64 exec, exec, s[4:5]
	s_waitcnt lgkmcnt(0)
	; wave barrier
	s_waitcnt lgkmcnt(0)
	buffer_load_dword v38, off, s[0:3], 0 offset:240
	buffer_load_dword v39, off, s[0:3], 0 offset:244
	;; [unrolled: 1-line block ×48, first 2 shown]
	v_mov_b32_e32 v152, 0
	ds_read_b128 v[34:37], v152 offset:912
	ds_read_b128 v[30:33], v152 offset:928
	ds_read_b128 v[26:29], v152 offset:944
	ds_read_b128 v[22:25], v152 offset:960
	ds_read_b128 v[18:21], v152 offset:976
	ds_read_b128 v[14:17], v152 offset:992
	ds_read_b128 v[10:13], v152 offset:1008
	ds_read_b128 v[6:9], v152 offset:1024
	ds_read_b128 v[2:5], v152 offset:1040
	v_cmp_lt_u32_e32 vcc, 12, v255
	s_waitcnt vmcnt(44) lgkmcnt(8)
	v_mul_f64 v[86:87], v[34:35], v[42:43]
	v_fmac_f64_e32 v[86:87], v[36:37], v[38:39]
	v_add_f64 v[86:87], v[86:87], 0
	v_mul_f64 v[36:37], v[36:37], v[42:43]
	s_waitcnt vmcnt(40) lgkmcnt(7)
	v_mul_f64 v[88:89], v[30:31], v[44:45]
	v_fmac_f64_e32 v[88:89], v[32:33], v[40:41]
	s_waitcnt vmcnt(38) lgkmcnt(6)
	v_mul_f64 v[90:91], v[26:27], v[46:47]
	v_add_f64 v[86:87], v[86:87], v[88:89]
	s_waitcnt vmcnt(36) lgkmcnt(4)
	v_mul_f64 v[94:95], v[18:19], v[48:49]
	v_fma_f64 v[34:35], v[34:35], v[38:39], -v[36:37]
	s_waitcnt vmcnt(34)
	v_fmac_f64_e32 v[94:95], v[20:21], v[50:51]
	v_mul_f64 v[32:33], v[32:33], v[44:45]
	s_waitcnt vmcnt(32)
	v_mul_f64 v[92:93], v[22:23], v[52:53]
	v_add_f64 v[34:35], v[34:35], 0
	s_waitcnt vmcnt(30) lgkmcnt(2)
	v_mul_f64 v[98:99], v[10:11], v[54:55]
	v_fma_f64 v[30:31], v[30:31], v[40:41], -v[32:33]
	s_waitcnt vmcnt(28)
	v_fmac_f64_e32 v[98:99], v[12:13], v[56:57]
	v_add_f64 v[30:31], v[34:35], v[30:31]
	s_waitcnt vmcnt(26)
	v_mul_f64 v[96:97], v[14:15], v[58:59]
	v_mul_f64 v[20:21], v[20:21], v[48:49]
	v_fma_f64 v[18:19], v[18:19], v[50:51], -v[20:21]
	v_mul_f64 v[12:13], v[12:13], v[54:55]
	s_waitcnt vmcnt(22) lgkmcnt(1)
	v_mul_f64 v[110:111], v[6:7], v[68:69]
	v_fma_f64 v[10:11], v[10:11], v[56:57], -v[12:13]
	s_waitcnt vmcnt(20)
	v_fmac_f64_e32 v[90:91], v[28:29], v[76:77]
	v_add_f64 v[86:87], v[86:87], v[90:91]
	s_waitcnt vmcnt(18)
	v_fmac_f64_e32 v[92:93], v[24:25], v[74:75]
	v_add_f64 v[86:87], v[86:87], v[92:93]
	s_waitcnt vmcnt(16)
	v_fmac_f64_e32 v[96:97], v[16:17], v[72:73]
	v_add_f64 v[86:87], v[86:87], v[94:95]
	v_add_f64 v[86:87], v[86:87], v[96:97]
	v_add_f64 v[112:113], v[86:87], v[98:99]
	buffer_load_dword v87, off, s[0:3], 0 offset:444
	buffer_load_dword v86, off, s[0:3], 0 offset:440
	;; [unrolled: 1-line block ×72, first 2 shown]
	s_waitcnt vmcnt(62)
	v_fmac_f64_e32 v[110:111], v[8:9], v[70:71]
	v_add_f64 v[144:145], v[112:113], v[110:111]
	ds_read_b128 v[110:113], v152 offset:1056
	s_waitcnt lgkmcnt(1)
	v_mul_f64 v[146:147], v[2:3], v[64:65]
	v_fmac_f64_e32 v[146:147], v[4:5], v[66:67]
	v_add_f64 v[148:149], v[144:145], v[146:147]
	ds_read_b128 v[144:147], v152 offset:1072
	s_waitcnt lgkmcnt(1)
	v_mul_f64 v[150:151], v[110:111], v[82:83]
	v_fmac_f64_e32 v[150:151], v[112:113], v[84:85]
	v_add_f64 v[154:155], v[148:149], v[150:151]
	ds_read_b128 v[148:151], v152 offset:1088
	s_waitcnt lgkmcnt(1)
	v_mul_f64 v[156:157], v[144:145], v[78:79]
	v_fmac_f64_e32 v[156:157], v[146:147], v[80:81]
	v_add_f64 v[158:159], v[154:155], v[156:157]
	ds_read_b128 v[154:157], v152 offset:1104
	s_waitcnt lgkmcnt(1)
	v_mul_f64 v[160:161], v[148:149], v[90:91]
	v_fmac_f64_e32 v[160:161], v[150:151], v[92:93]
	v_add_f64 v[162:163], v[158:159], v[160:161]
	ds_read_b128 v[158:161], v152 offset:1120
	s_waitcnt lgkmcnt(1)
	v_mul_f64 v[164:165], v[154:155], v[86:87]
	v_fmac_f64_e32 v[164:165], v[156:157], v[88:89]
	v_add_f64 v[166:167], v[162:163], v[164:165]
	ds_read_b128 v[162:165], v152 offset:1136
	s_waitcnt vmcnt(58) lgkmcnt(1)
	v_mul_f64 v[168:169], v[158:159], v[98:99]
	s_waitcnt vmcnt(56)
	v_fmac_f64_e32 v[168:169], v[160:161], v[100:101]
	v_add_f64 v[170:171], v[166:167], v[168:169]
	ds_read_b128 v[166:169], v152 offset:1152
	s_waitcnt lgkmcnt(1)
	v_mul_f64 v[172:173], v[162:163], v[94:95]
	v_fmac_f64_e32 v[172:173], v[164:165], v[96:97]
	v_mul_f64 v[28:29], v[28:29], v[46:47]
	v_add_f64 v[174:175], v[170:171], v[172:173]
	ds_read_b128 v[170:173], v152 offset:1168
	s_waitcnt vmcnt(50) lgkmcnt(1)
	v_mul_f64 v[176:177], v[166:167], v[106:107]
	v_fma_f64 v[26:27], v[26:27], v[76:77], -v[28:29]
	v_mul_f64 v[24:25], v[24:25], v[52:53]
	s_waitcnt vmcnt(48)
	v_fmac_f64_e32 v[176:177], v[168:169], v[108:109]
	v_add_f64 v[26:27], v[30:31], v[26:27]
	v_fma_f64 v[22:23], v[22:23], v[74:75], -v[24:25]
	v_add_f64 v[178:179], v[174:175], v[176:177]
	ds_read_b128 v[174:177], v152 offset:1184
	v_add_f64 v[22:23], v[26:27], v[22:23]
	v_mul_f64 v[16:17], v[16:17], v[58:59]
	v_add_f64 v[18:19], v[22:23], v[18:19]
	v_fma_f64 v[14:15], v[14:15], v[72:73], -v[16:17]
	v_add_f64 v[14:15], v[18:19], v[14:15]
	v_mul_f64 v[8:9], v[8:9], v[68:69]
	s_waitcnt lgkmcnt(1)
	v_mul_f64 v[180:181], v[170:171], v[102:103]
	v_add_f64 v[10:11], v[14:15], v[10:11]
	v_fma_f64 v[6:7], v[6:7], v[70:71], -v[8:9]
	v_mul_f64 v[4:5], v[4:5], v[64:65]
	v_fmac_f64_e32 v[180:181], v[172:173], v[104:105]
	v_add_f64 v[6:7], v[10:11], v[6:7]
	v_fma_f64 v[2:3], v[2:3], v[66:67], -v[4:5]
	v_mul_f64 v[4:5], v[112:113], v[82:83]
	v_add_f64 v[182:183], v[178:179], v[180:181]
	ds_read_b128 v[178:181], v152 offset:1200
	s_waitcnt vmcnt(42) lgkmcnt(1)
	v_mul_f64 v[184:185], v[174:175], v[120:121]
	v_add_f64 v[2:3], v[6:7], v[2:3]
	v_fma_f64 v[4:5], v[110:111], v[84:85], -v[4:5]
	s_waitcnt vmcnt(40)
	v_fmac_f64_e32 v[184:185], v[176:177], v[122:123]
	v_add_f64 v[2:3], v[2:3], v[4:5]
	v_mul_f64 v[4:5], v[146:147], v[78:79]
	v_add_f64 v[186:187], v[182:183], v[184:185]
	ds_read_b128 v[182:185], v152 offset:1216
	v_fma_f64 v[4:5], v[144:145], v[80:81], -v[4:5]
	v_add_f64 v[2:3], v[2:3], v[4:5]
	v_mul_f64 v[4:5], v[150:151], v[90:91]
	v_fma_f64 v[4:5], v[148:149], v[92:93], -v[4:5]
	s_waitcnt lgkmcnt(1)
	v_mul_f64 v[188:189], v[178:179], v[114:115]
	v_add_f64 v[2:3], v[2:3], v[4:5]
	v_mul_f64 v[4:5], v[156:157], v[86:87]
	v_fmac_f64_e32 v[188:189], v[180:181], v[116:117]
	v_fma_f64 v[4:5], v[154:155], v[88:89], -v[4:5]
	v_add_f64 v[190:191], v[186:187], v[188:189]
	ds_read_b128 v[186:189], v152 offset:1232
	s_waitcnt vmcnt(34) lgkmcnt(1)
	v_mul_f64 v[192:193], v[182:183], v[128:129]
	v_add_f64 v[2:3], v[2:3], v[4:5]
	v_mul_f64 v[4:5], v[160:161], v[98:99]
	s_waitcnt vmcnt(32)
	v_fmac_f64_e32 v[192:193], v[184:185], v[130:131]
	v_fma_f64 v[4:5], v[158:159], v[100:101], -v[4:5]
	v_add_f64 v[204:205], v[190:191], v[192:193]
	ds_read_b128 v[190:193], v152 offset:1248
	v_add_f64 v[2:3], v[2:3], v[4:5]
	v_mul_f64 v[4:5], v[164:165], v[94:95]
	v_fma_f64 v[4:5], v[162:163], v[96:97], -v[4:5]
	v_add_f64 v[2:3], v[2:3], v[4:5]
	v_mul_f64 v[4:5], v[168:169], v[106:107]
	s_waitcnt lgkmcnt(1)
	v_mul_f64 v[206:207], v[186:187], v[124:125]
	v_fma_f64 v[4:5], v[166:167], v[108:109], -v[4:5]
	v_fmac_f64_e32 v[206:207], v[188:189], v[126:127]
	v_add_f64 v[2:3], v[2:3], v[4:5]
	v_mul_f64 v[4:5], v[172:173], v[102:103]
	v_add_f64 v[208:209], v[204:205], v[206:207]
	ds_read_b128 v[204:207], v152 offset:1264
	s_waitcnt vmcnt(26) lgkmcnt(1)
	v_mul_f64 v[210:211], v[190:191], v[136:137]
	v_fma_f64 v[4:5], v[170:171], v[104:105], -v[4:5]
	s_waitcnt vmcnt(24)
	v_fmac_f64_e32 v[210:211], v[192:193], v[138:139]
	v_add_f64 v[2:3], v[2:3], v[4:5]
	v_mul_f64 v[4:5], v[176:177], v[120:121]
	v_add_f64 v[212:213], v[208:209], v[210:211]
	ds_read_b128 v[208:211], v152 offset:1280
	v_fma_f64 v[4:5], v[174:175], v[122:123], -v[4:5]
	v_add_f64 v[2:3], v[2:3], v[4:5]
	v_mul_f64 v[4:5], v[180:181], v[114:115]
	v_fma_f64 v[4:5], v[178:179], v[116:117], -v[4:5]
	s_waitcnt lgkmcnt(1)
	v_mul_f64 v[214:215], v[204:205], v[132:133]
	v_add_f64 v[2:3], v[2:3], v[4:5]
	v_mul_f64 v[4:5], v[184:185], v[128:129]
	v_fmac_f64_e32 v[214:215], v[206:207], v[134:135]
	v_fma_f64 v[4:5], v[182:183], v[130:131], -v[4:5]
	v_add_f64 v[216:217], v[212:213], v[214:215]
	ds_read_b128 v[212:215], v152 offset:1296
	s_waitcnt vmcnt(18) lgkmcnt(1)
	v_mul_f64 v[218:219], v[208:209], v[118:119]
	v_add_f64 v[2:3], v[2:3], v[4:5]
	v_mul_f64 v[4:5], v[188:189], v[124:125]
	s_waitcnt vmcnt(16)
	v_fmac_f64_e32 v[218:219], v[210:211], v[194:195]
	v_fma_f64 v[4:5], v[186:187], v[126:127], -v[4:5]
	v_add_f64 v[220:221], v[216:217], v[218:219]
	ds_read_b128 v[216:219], v152 offset:1312
	v_add_f64 v[2:3], v[2:3], v[4:5]
	v_mul_f64 v[4:5], v[192:193], v[136:137]
	v_fma_f64 v[4:5], v[190:191], v[138:139], -v[4:5]
	v_add_f64 v[2:3], v[2:3], v[4:5]
	v_mul_f64 v[4:5], v[206:207], v[132:133]
	s_waitcnt lgkmcnt(1)
	v_mul_f64 v[222:223], v[212:213], v[140:141]
	v_fma_f64 v[4:5], v[204:205], v[134:135], -v[4:5]
	v_fmac_f64_e32 v[222:223], v[214:215], v[142:143]
	v_add_f64 v[2:3], v[2:3], v[4:5]
	v_mul_f64 v[4:5], v[210:211], v[118:119]
	v_add_f64 v[224:225], v[220:221], v[222:223]
	ds_read_b128 v[220:223], v152 offset:1328
	s_waitcnt vmcnt(10) lgkmcnt(1)
	v_mul_f64 v[226:227], v[216:217], v[200:201]
	v_fma_f64 v[4:5], v[208:209], v[194:195], -v[4:5]
	s_waitcnt vmcnt(8)
	v_fmac_f64_e32 v[226:227], v[218:219], v[202:203]
	v_add_f64 v[2:3], v[2:3], v[4:5]
	v_mul_f64 v[4:5], v[214:215], v[140:141]
	v_add_f64 v[240:241], v[224:225], v[226:227]
	ds_read_b128 v[224:227], v152 offset:1344
	ds_read_b128 v[228:231], v152 offset:1360
	v_fma_f64 v[4:5], v[212:213], v[142:143], -v[4:5]
	v_add_f64 v[2:3], v[2:3], v[4:5]
	v_mul_f64 v[4:5], v[218:219], v[200:201]
	v_fma_f64 v[4:5], v[216:217], v[202:203], -v[4:5]
	v_add_f64 v[2:3], v[2:3], v[4:5]
	s_waitcnt lgkmcnt(2)
	v_mul_f64 v[4:5], v[222:223], v[196:197]
	v_mul_f64 v[242:243], v[220:221], v[196:197]
	v_fma_f64 v[4:5], v[220:221], v[198:199], -v[4:5]
	v_fmac_f64_e32 v[242:243], v[222:223], v[198:199]
	v_add_f64 v[2:3], v[2:3], v[4:5]
	s_waitcnt vmcnt(2) lgkmcnt(1)
	v_mul_f64 v[4:5], v[226:227], v[236:237]
	v_add_f64 v[240:241], v[240:241], v[242:243]
	v_mul_f64 v[242:243], v[224:225], v[236:237]
	s_waitcnt vmcnt(0)
	v_fma_f64 v[4:5], v[224:225], v[238:239], -v[4:5]
	v_fmac_f64_e32 v[242:243], v[226:227], v[238:239]
	v_add_f64 v[2:3], v[2:3], v[4:5]
	s_waitcnt lgkmcnt(0)
	v_mul_f64 v[4:5], v[230:231], v[232:233]
	v_add_f64 v[240:241], v[240:241], v[242:243]
	v_mul_f64 v[242:243], v[228:229], v[232:233]
	v_fma_f64 v[4:5], v[228:229], v[234:235], -v[4:5]
	v_fmac_f64_e32 v[242:243], v[230:231], v[234:235]
	v_add_f64 v[2:3], v[2:3], v[4:5]
	v_add_f64 v[240:241], v[240:241], v[242:243]
	v_add_f64 v[2:3], v[62:63], -v[2:3]
	v_add_f64 v[4:5], v[60:61], -v[240:241]
	buffer_store_dword v3, off, s[0:3], 0 offset:228
	buffer_store_dword v2, off, s[0:3], 0 offset:224
	;; [unrolled: 1-line block ×4, first 2 shown]
	s_and_saveexec_b64 s[4:5], vcc
	s_cbranch_execz .LBB42_247
; %bb.246:
	v_accvgpr_read_b32 v0, a116
	buffer_load_dword v2, v0, s[0:3], 0 offen
	buffer_load_dword v3, v0, s[0:3], 0 offen offset:4
	buffer_load_dword v4, v0, s[0:3], 0 offen offset:8
	;; [unrolled: 1-line block ×3, first 2 shown]
	v_accvgpr_read_b32 v0, a129
	buffer_store_dword v152, off, s[0:3], 0 offset:208
	buffer_store_dword v152, off, s[0:3], 0 offset:212
	;; [unrolled: 1-line block ×4, first 2 shown]
	s_waitcnt vmcnt(4)
	ds_write_b128 v0, v[2:5]
.LBB42_247:
	s_or_b64 exec, exec, s[4:5]
	s_waitcnt lgkmcnt(0)
	; wave barrier
	s_waitcnt lgkmcnt(0)
	buffer_load_dword v48, off, s[0:3], 0 offset:224
	buffer_load_dword v49, off, s[0:3], 0 offset:228
	;; [unrolled: 1-line block ×40, first 2 shown]
	ds_read_b128 v[38:41], v152 offset:896
	ds_read_b128 v[34:37], v152 offset:912
	;; [unrolled: 1-line block ×10, first 2 shown]
	buffer_load_dword v83, off, s[0:3], 0 offset:396
	buffer_load_dword v82, off, s[0:3], 0 offset:392
	;; [unrolled: 1-line block ×8, first 2 shown]
	v_cmp_lt_u32_e32 vcc, 11, v255
	s_waitcnt vmcnt(44) lgkmcnt(9)
	v_mul_f64 v[90:91], v[38:39], v[50:51]
	v_fmac_f64_e32 v[90:91], v[40:41], v[48:49]
	v_add_f64 v[90:91], v[90:91], 0
	v_mul_f64 v[40:41], v[40:41], v[50:51]
	s_waitcnt vmcnt(40) lgkmcnt(8)
	v_mul_f64 v[92:93], v[34:35], v[44:45]
	v_fmac_f64_e32 v[92:93], v[36:37], v[42:43]
	s_waitcnt vmcnt(38) lgkmcnt(7)
	v_mul_f64 v[94:95], v[30:31], v[46:47]
	v_add_f64 v[90:91], v[90:91], v[92:93]
	s_waitcnt vmcnt(36) lgkmcnt(5)
	v_mul_f64 v[98:99], v[22:23], v[52:53]
	v_mul_f64 v[36:37], v[36:37], v[44:45]
	s_waitcnt vmcnt(34)
	v_fmac_f64_e32 v[98:99], v[24:25], v[54:55]
	v_fma_f64 v[34:35], v[34:35], v[42:43], -v[36:37]
	s_waitcnt vmcnt(32)
	v_mul_f64 v[96:97], v[26:27], v[56:57]
	v_mul_f64 v[24:25], v[24:25], v[52:53]
	s_waitcnt vmcnt(30) lgkmcnt(4)
	v_mul_f64 v[100:101], v[18:19], v[62:63]
	v_fma_f64 v[22:23], v[22:23], v[54:55], -v[24:25]
	s_waitcnt vmcnt(28) lgkmcnt(1)
	v_mul_f64 v[124:125], v[2:3], v[64:65]
	s_waitcnt vmcnt(25)
	v_mul_f64 v[104:105], v[6:7], v[68:69]
	s_waitcnt vmcnt(23)
	;; [unrolled: 2-line block ×3, first 2 shown]
	v_fmac_f64_e32 v[102:103], v[12:13], v[72:73]
	v_mul_f64 v[12:13], v[12:13], v[70:71]
	s_waitcnt vmcnt(19)
	v_fmac_f64_e32 v[94:95], v[32:33], v[80:81]
	v_add_f64 v[90:91], v[90:91], v[94:95]
	s_waitcnt vmcnt(17)
	v_fmac_f64_e32 v[96:97], v[28:29], v[78:79]
	v_add_f64 v[90:91], v[90:91], v[96:97]
	;; [unrolled: 3-line block ×3, first 2 shown]
	v_add_f64 v[90:91], v[90:91], v[100:101]
	s_waitcnt vmcnt(13)
	v_fmac_f64_e32 v[104:105], v[8:9], v[74:75]
	v_add_f64 v[90:91], v[90:91], v[102:103]
	v_add_f64 v[126:127], v[90:91], v[104:105]
	buffer_load_dword v91, off, s[0:3], 0 offset:428
	buffer_load_dword v90, off, s[0:3], 0 offset:424
	;; [unrolled: 1-line block ×72, first 2 shown]
	s_waitcnt vmcnt(62)
	v_fmac_f64_e32 v[124:125], v[4:5], v[66:67]
	v_add_f64 v[154:155], v[126:127], v[124:125]
	ds_read_b128 v[124:127], v152 offset:1056
	buffer_load_dword v237, off, s[0:3], 0 offset:700
	buffer_load_dword v236, off, s[0:3], 0 offset:696
	;; [unrolled: 1-line block ×4, first 2 shown]
	s_waitcnt lgkmcnt(1)
	v_mul_f64 v[156:157], v[14:15], v[86:87]
	v_fmac_f64_e32 v[156:157], v[16:17], v[88:89]
	v_add_f64 v[158:159], v[154:155], v[156:157]
	ds_read_b128 v[154:157], v152 offset:1072
	s_waitcnt lgkmcnt(1)
	v_mul_f64 v[160:161], v[124:125], v[82:83]
	v_fmac_f64_e32 v[160:161], v[126:127], v[84:85]
	v_add_f64 v[162:163], v[158:159], v[160:161]
	ds_read_b128 v[158:161], v152 offset:1088
	v_mul_f64 v[32:33], v[32:33], v[46:47]
	s_waitcnt lgkmcnt(1)
	v_mul_f64 v[164:165], v[154:155], v[94:95]
	v_fma_f64 v[30:31], v[30:31], v[80:81], -v[32:33]
	v_fmac_f64_e32 v[164:165], v[156:157], v[96:97]
	v_add_f64 v[166:167], v[162:163], v[164:165]
	ds_read_b128 v[162:165], v152 offset:1104
	s_waitcnt lgkmcnt(1)
	v_mul_f64 v[168:169], v[158:159], v[90:91]
	v_fmac_f64_e32 v[168:169], v[160:161], v[92:93]
	v_add_f64 v[170:171], v[166:167], v[168:169]
	ds_read_b128 v[166:169], v152 offset:1120
	s_waitcnt vmcnt(62) lgkmcnt(1)
	v_mul_f64 v[172:173], v[162:163], v[102:103]
	s_waitcnt vmcnt(60)
	v_fmac_f64_e32 v[172:173], v[164:165], v[104:105]
	v_add_f64 v[174:175], v[170:171], v[172:173]
	ds_read_b128 v[170:173], v152 offset:1136
	s_waitcnt lgkmcnt(1)
	v_mul_f64 v[176:177], v[166:167], v[98:99]
	v_fmac_f64_e32 v[176:177], v[168:169], v[100:101]
	v_add_f64 v[178:179], v[174:175], v[176:177]
	ds_read_b128 v[174:177], v152 offset:1152
	s_waitcnt vmcnt(54) lgkmcnt(1)
	v_mul_f64 v[180:181], v[170:171], v[110:111]
	s_waitcnt vmcnt(52)
	;; [unrolled: 11-line block ×7, first 2 shown]
	v_fmac_f64_e32 v[230:231], v[222:223], v[198:199]
	v_add_f64 v[240:241], v[228:229], v[230:231]
	ds_read_b128 v[228:231], v152 offset:1328
	s_waitcnt lgkmcnt(1)
	v_mul_f64 v[242:243], v[224:225], v[118:119]
	v_fmac_f64_e32 v[242:243], v[226:227], v[194:195]
	v_add_f64 v[240:241], v[240:241], v[242:243]
	v_fma_f64 v[242:243], v[38:39], v[48:49], -v[40:41]
	ds_read_b128 v[38:41], v152 offset:1344
	ds_read_b128 v[48:51], v152 offset:1360
	s_waitcnt vmcnt(6) lgkmcnt(2)
	v_mul_f64 v[244:245], v[228:229], v[232:233]
	s_waitcnt vmcnt(4)
	v_fmac_f64_e32 v[244:245], v[230:231], v[234:235]
	v_add_f64 v[152:153], v[240:241], v[244:245]
	s_waitcnt lgkmcnt(1)
	v_mul_f64 v[240:241], v[38:39], v[200:201]
	v_fmac_f64_e32 v[240:241], v[40:41], v[202:203]
	v_add_f64 v[152:153], v[152:153], v[240:241]
	s_waitcnt vmcnt(2) lgkmcnt(0)
	v_mul_f64 v[240:241], v[48:49], v[236:237]
	s_waitcnt vmcnt(0)
	v_fmac_f64_e32 v[240:241], v[50:51], v[238:239]
	v_add_f64 v[152:153], v[152:153], v[240:241]
	v_add_f64 v[240:241], v[242:243], 0
	;; [unrolled: 1-line block ×3, first 2 shown]
	v_mul_f64 v[28:29], v[28:29], v[56:57]
	v_add_f64 v[30:31], v[34:35], v[30:31]
	v_fma_f64 v[26:27], v[26:27], v[78:79], -v[28:29]
	v_add_f64 v[26:27], v[30:31], v[26:27]
	v_mul_f64 v[20:21], v[20:21], v[62:63]
	v_add_f64 v[22:23], v[26:27], v[22:23]
	v_fma_f64 v[18:19], v[18:19], v[76:77], -v[20:21]
	v_add_f64 v[18:19], v[22:23], v[18:19]
	v_fma_f64 v[10:11], v[10:11], v[72:73], -v[12:13]
	v_mul_f64 v[8:9], v[8:9], v[68:69]
	v_add_f64 v[10:11], v[18:19], v[10:11]
	v_fma_f64 v[6:7], v[6:7], v[74:75], -v[8:9]
	v_mul_f64 v[4:5], v[4:5], v[64:65]
	;; [unrolled: 3-line block ×3, first 2 shown]
	v_add_f64 v[2:3], v[6:7], v[2:3]
	v_fma_f64 v[4:5], v[14:15], v[88:89], -v[4:5]
	v_add_f64 v[2:3], v[2:3], v[4:5]
	v_mul_f64 v[4:5], v[126:127], v[82:83]
	v_fma_f64 v[4:5], v[124:125], v[84:85], -v[4:5]
	v_add_f64 v[2:3], v[2:3], v[4:5]
	v_mul_f64 v[4:5], v[156:157], v[94:95]
	;; [unrolled: 3-line block ×20, first 2 shown]
	v_fma_f64 v[4:5], v[48:49], v[238:239], -v[4:5]
	v_add_f64 v[2:3], v[2:3], v[4:5]
	v_add_f64 v[2:3], v[60:61], -v[2:3]
	v_add_f64 v[4:5], v[58:59], -v[152:153]
	buffer_store_dword v3, off, s[0:3], 0 offset:212
	buffer_store_dword v2, off, s[0:3], 0 offset:208
	;; [unrolled: 1-line block ×4, first 2 shown]
	s_and_saveexec_b64 s[4:5], vcc
	s_cbranch_execz .LBB42_249
; %bb.248:
	v_accvgpr_read_b32 v0, a117
	buffer_load_dword v2, v0, s[0:3], 0 offen
	buffer_load_dword v3, v0, s[0:3], 0 offen offset:4
	buffer_load_dword v4, v0, s[0:3], 0 offen offset:8
	;; [unrolled: 1-line block ×3, first 2 shown]
	v_mov_b32_e32 v0, 0
	v_accvgpr_read_b32 v1, a129
	buffer_store_dword v0, off, s[0:3], 0 offset:192
	buffer_store_dword v0, off, s[0:3], 0 offset:196
	;; [unrolled: 1-line block ×4, first 2 shown]
	s_waitcnt vmcnt(4)
	ds_write_b128 v1, v[2:5]
.LBB42_249:
	s_or_b64 exec, exec, s[4:5]
	s_waitcnt lgkmcnt(0)
	; wave barrier
	s_waitcnt lgkmcnt(0)
	buffer_load_dword v106, off, s[0:3], 0 offset:208
	buffer_load_dword v107, off, s[0:3], 0 offset:212
	;; [unrolled: 1-line block ×49, first 2 shown]
	v_mov_b32_e32 v254, 0
	ds_read_b128 v[110:113], v254 offset:880
	ds_read_b128 v[250:253], v254 offset:896
	;; [unrolled: 1-line block ×10, first 2 shown]
	buffer_load_dword v160, off, s[0:3], 0 offset:400
	buffer_load_dword v175, off, s[0:3], 0 offset:396
	;; [unrolled: 1-line block ×69, first 2 shown]
	v_accvgpr_write_b32 a128, v255
	v_cmp_lt_u32_e32 vcc, 10, v255
	s_waitcnt vmcnt(62) lgkmcnt(9)
	v_mul_f64 v[34:35], v[110:111], v[108:109]
	v_fmac_f64_e32 v[34:35], v[112:113], v[106:107]
	v_add_f64 v[34:35], v[34:35], 0
	v_mul_f64 v[108:109], v[112:113], v[108:109]
	s_waitcnt lgkmcnt(8)
	v_mul_f64 v[36:37], v[250:251], v[116:117]
	v_fmac_f64_e32 v[36:37], v[252:253], v[114:115]
	s_waitcnt lgkmcnt(7)
	v_mul_f64 v[38:39], v[30:31], v[120:121]
	v_add_f64 v[34:35], v[34:35], v[36:37]
	s_waitcnt lgkmcnt(5)
	v_mul_f64 v[42:43], v[22:23], v[122:123]
	v_mul_f64 v[116:117], v[252:253], v[116:117]
	v_fmac_f64_e32 v[42:43], v[24:25], v[124:125]
	v_fma_f64 v[248:249], v[110:111], v[106:107], -v[108:109]
	v_mul_f64 v[40:41], v[26:27], v[126:127]
	v_fma_f64 v[250:251], v[250:251], v[114:115], -v[116:117]
	s_waitcnt lgkmcnt(3)
	v_mul_f64 v[46:47], v[14:15], v[128:129]
	v_mul_f64 v[24:25], v[24:25], v[122:123]
	v_fmac_f64_e32 v[46:47], v[16:17], v[130:131]
	v_fma_f64 v[22:23], v[22:23], v[124:125], -v[24:25]
	v_mul_f64 v[44:45], v[18:19], v[132:133]
	v_mul_f64 v[16:17], v[16:17], v[128:129]
	s_waitcnt lgkmcnt(1)
	v_mul_f64 v[50:51], v[6:7], v[134:135]
	v_fma_f64 v[14:15], v[14:15], v[130:131], -v[16:17]
	v_fmac_f64_e32 v[50:51], v[8:9], v[136:137]
	v_mul_f64 v[8:9], v[8:9], v[134:135]
	v_mul_f64 v[48:49], v[10:11], v[142:143]
	v_fma_f64 v[6:7], v[6:7], v[136:137], -v[8:9]
	s_waitcnt lgkmcnt(0)
	v_mul_f64 v[52:53], v[2:3], v[138:139]
	v_fmac_f64_e32 v[38:39], v[32:33], v[154:155]
	v_add_f64 v[34:35], v[34:35], v[38:39]
	v_fmac_f64_e32 v[40:41], v[28:29], v[152:153]
	v_add_f64 v[34:35], v[34:35], v[40:41]
	;; [unrolled: 2-line block ×3, first 2 shown]
	v_add_f64 v[34:35], v[34:35], v[44:45]
	v_fmac_f64_e32 v[48:49], v[12:13], v[148:149]
	v_add_f64 v[34:35], v[34:35], v[46:47]
	v_add_f64 v[34:35], v[34:35], v[48:49]
	v_fmac_f64_e32 v[52:53], v[4:5], v[146:147]
	v_add_f64 v[34:35], v[34:35], v[50:51]
	v_add_f64 v[42:43], v[34:35], v[52:53]
	ds_read_b128 v[38:41], v254 offset:1040
	ds_read_b128 v[34:37], v254 offset:1056
	buffer_load_dword v231, off, s[0:3], 0 offset:700
	buffer_load_dword v230, off, s[0:3], 0 offset:696
	;; [unrolled: 1-line block ×8, first 2 shown]
	ds_read_b128 v[110:113], v254 offset:1328
	ds_read_b128 v[106:109], v254 offset:1344
	s_waitcnt lgkmcnt(3)
	v_mul_f64 v[44:45], v[38:39], v[144:145]
	v_fmac_f64_e32 v[44:45], v[40:41], v[156:157]
	v_add_f64 v[46:47], v[42:43], v[44:45]
	ds_read_b128 v[42:45], v254 offset:1072
	s_waitcnt lgkmcnt(3)
	v_mul_f64 v[48:49], v[34:35], v[174:175]
	v_fmac_f64_e32 v[48:49], v[36:37], v[178:179]
	v_add_f64 v[50:51], v[46:47], v[48:49]
	;; [unrolled: 5-line block ×3, first 2 shown]
	ds_read_b128 v[50:53], v254 offset:1104
	s_waitcnt vmcnt(62) lgkmcnt(1)
	v_mul_f64 v[56:57], v[46:47], v[182:183]
	v_fmac_f64_e32 v[56:57], v[48:49], v[186:187]
	v_add_f64 v[58:59], v[54:55], v[56:57]
	ds_read_b128 v[54:57], v254 offset:1120
	s_waitcnt lgkmcnt(1)
	v_mul_f64 v[60:61], v[50:51], v[162:163]
	v_fmac_f64_e32 v[60:61], v[52:53], v[164:165]
	v_add_f64 v[62:63], v[58:59], v[60:61]
	ds_read_b128 v[58:61], v254 offset:1136
	s_waitcnt vmcnt(58) lgkmcnt(1)
	v_mul_f64 v[64:65], v[54:55], v[190:191]
	s_waitcnt vmcnt(56)
	v_fmac_f64_e32 v[64:65], v[56:57], v[194:195]
	v_add_f64 v[66:67], v[62:63], v[64:65]
	ds_read_b128 v[62:65], v254 offset:1152
	s_waitcnt lgkmcnt(1)
	v_mul_f64 v[68:69], v[58:59], v[166:167]
	v_fmac_f64_e32 v[68:69], v[60:61], v[168:169]
	v_add_f64 v[70:71], v[66:67], v[68:69]
	ds_read_b128 v[66:69], v254 offset:1168
	s_waitcnt vmcnt(50) lgkmcnt(1)
	v_mul_f64 v[72:73], v[62:63], v[206:207]
	s_waitcnt vmcnt(48)
	;; [unrolled: 11-line block ×5, first 2 shown]
	v_fmac_f64_e32 v[96:97], v[88:89], v[228:229]
	v_add_f64 v[98:99], v[94:95], v[96:97]
	ds_read_b128 v[94:97], v254 offset:1280
	s_waitcnt lgkmcnt(1)
	v_mul_f64 v[100:101], v[90:91], v[192:193]
	v_fmac_f64_e32 v[100:101], v[92:93], v[204:205]
	v_add_f64 v[118:119], v[98:99], v[100:101]
	ds_read_b128 v[98:101], v254 offset:1296
	ds_read_b128 v[102:105], v254 offset:1312
	ds_read_b128 v[114:117], v254 offset:1360
	buffer_load_dword v252, off, s[0:3], 0 offset:200
	buffer_load_dword v253, off, s[0:3], 0 offset:204
	s_waitcnt vmcnt(20) lgkmcnt(3)
	v_mul_f64 v[196:197], v[94:95], v[232:233]
	s_waitcnt vmcnt(18)
	v_fmac_f64_e32 v[196:197], v[96:97], v[236:237]
	v_add_f64 v[118:119], v[118:119], v[196:197]
	s_waitcnt lgkmcnt(2)
	v_mul_f64 v[196:197], v[98:99], v[208:209]
	v_fmac_f64_e32 v[196:197], v[100:101], v[212:213]
	v_add_f64 v[118:119], v[118:119], v[196:197]
	s_waitcnt vmcnt(12) lgkmcnt(1)
	v_mul_f64 v[196:197], v[102:103], v[238:239]
	s_waitcnt vmcnt(10)
	v_fmac_f64_e32 v[196:197], v[104:105], v[240:241]
	v_add_f64 v[118:119], v[118:119], v[196:197]
	v_mul_f64 v[196:197], v[110:111], v[216:217]
	v_fmac_f64_e32 v[196:197], v[112:113], v[220:221]
	v_add_f64 v[118:119], v[118:119], v[196:197]
	s_waitcnt vmcnt(4)
	v_mul_f64 v[196:197], v[106:107], v[242:243]
	v_mul_f64 v[32:33], v[32:33], v[120:121]
	s_waitcnt vmcnt(2)
	v_fmac_f64_e32 v[196:197], v[108:109], v[244:245]
	v_add_f64 v[118:119], v[118:119], v[196:197]
	s_waitcnt lgkmcnt(0)
	v_mul_f64 v[196:197], v[114:115], v[230:231]
	v_fmac_f64_e32 v[196:197], v[116:117], v[234:235]
	v_add_f64 v[246:247], v[118:119], v[196:197]
	v_add_f64 v[118:119], v[248:249], 0
	;; [unrolled: 1-line block ×3, first 2 shown]
	v_fma_f64 v[30:31], v[30:31], v[154:155], -v[32:33]
	v_mul_f64 v[28:29], v[28:29], v[126:127]
	v_add_f64 v[30:31], v[118:119], v[30:31]
	v_fma_f64 v[26:27], v[26:27], v[152:153], -v[28:29]
	v_add_f64 v[26:27], v[30:31], v[26:27]
	v_mul_f64 v[20:21], v[20:21], v[132:133]
	v_add_f64 v[22:23], v[26:27], v[22:23]
	v_fma_f64 v[18:19], v[18:19], v[150:151], -v[20:21]
	v_add_f64 v[18:19], v[22:23], v[18:19]
	v_mul_f64 v[12:13], v[12:13], v[142:143]
	v_add_f64 v[14:15], v[18:19], v[14:15]
	v_fma_f64 v[10:11], v[10:11], v[148:149], -v[12:13]
	v_add_f64 v[10:11], v[14:15], v[10:11]
	v_mul_f64 v[4:5], v[4:5], v[138:139]
	v_add_f64 v[6:7], v[10:11], v[6:7]
	v_fma_f64 v[2:3], v[2:3], v[146:147], -v[4:5]
	v_mul_f64 v[4:5], v[40:41], v[144:145]
	v_add_f64 v[2:3], v[6:7], v[2:3]
	v_fma_f64 v[4:5], v[38:39], v[156:157], -v[4:5]
	v_add_f64 v[2:3], v[2:3], v[4:5]
	v_mul_f64 v[4:5], v[36:37], v[174:175]
	v_fma_f64 v[4:5], v[34:35], v[178:179], -v[4:5]
	v_add_f64 v[2:3], v[2:3], v[4:5]
	v_mul_f64 v[4:5], v[44:45], v[158:159]
	;; [unrolled: 3-line block ×20, first 2 shown]
	v_fma_f64 v[4:5], v[114:115], v[234:235], -v[4:5]
	v_add_f64 v[2:3], v[2:3], v[4:5]
	v_add_f64 v[2:3], v[140:141], -v[2:3]
	s_waitcnt vmcnt(0)
	v_add_f64 v[4:5], v[252:253], -v[246:247]
	buffer_store_dword v3, off, s[0:3], 0 offset:196
	buffer_store_dword v2, off, s[0:3], 0 offset:192
	;; [unrolled: 1-line block ×4, first 2 shown]
	s_and_saveexec_b64 s[4:5], vcc
	s_cbranch_execz .LBB42_251
; %bb.250:
	v_accvgpr_read_b32 v0, a118
	buffer_load_dword v2, v0, s[0:3], 0 offen
	buffer_load_dword v3, v0, s[0:3], 0 offen offset:4
	buffer_load_dword v4, v0, s[0:3], 0 offen offset:8
	;; [unrolled: 1-line block ×3, first 2 shown]
	v_accvgpr_read_b32 v0, a129
	buffer_store_dword v254, off, s[0:3], 0 offset:176
	buffer_store_dword v254, off, s[0:3], 0 offset:180
	;; [unrolled: 1-line block ×4, first 2 shown]
	s_waitcnt vmcnt(4)
	ds_write_b128 v0, v[2:5]
.LBB42_251:
	s_or_b64 exec, exec, s[4:5]
	s_waitcnt lgkmcnt(0)
	; wave barrier
	s_waitcnt lgkmcnt(0)
	buffer_load_dword v112, off, s[0:3], 0 offset:192
	buffer_load_dword v113, off, s[0:3], 0 offset:196
	;; [unrolled: 1-line block ×36, first 2 shown]
	ds_read_b128 v[102:105], v254 offset:864
	ds_read_b128 v[106:109], v254 offset:880
	ds_read_b128 v[114:117], v254 offset:896
	ds_read_b128 v[22:25], v254 offset:912
	ds_read_b128 v[18:21], v254 offset:928
	ds_read_b128 v[14:17], v254 offset:944
	ds_read_b128 v[10:13], v254 offset:960
	ds_read_b128 v[6:9], v254 offset:976
	ds_read_b128 v[2:5], v254 offset:992
	buffer_load_dword v145, off, s[0:3], 0 offset:364
	buffer_load_dword v144, off, s[0:3], 0 offset:360
	;; [unrolled: 1-line block ×78, first 2 shown]
	v_accvgpr_read_b32 v1, a128
	v_cmp_lt_u32_e32 vcc, 9, v1
	s_waitcnt vmcnt(62) lgkmcnt(8)
	v_mul_f64 v[26:27], v[102:103], v[246:247]
	v_fmac_f64_e32 v[26:27], v[104:105], v[112:113]
	v_add_f64 v[26:27], v[26:27], 0
	v_mul_f64 v[104:105], v[104:105], v[246:247]
	s_waitcnt lgkmcnt(7)
	v_mul_f64 v[28:29], v[106:107], v[248:249]
	v_fmac_f64_e32 v[28:29], v[108:109], v[110:111]
	s_waitcnt lgkmcnt(6)
	v_mul_f64 v[30:31], v[114:115], v[244:245]
	v_add_f64 v[26:27], v[26:27], v[28:29]
	s_waitcnt lgkmcnt(4)
	v_mul_f64 v[34:35], v[18:19], v[120:121]
	v_fma_f64 v[246:247], v[102:103], v[112:113], -v[104:105]
	v_fmac_f64_e32 v[34:35], v[20:21], v[122:123]
	v_mul_f64 v[108:109], v[108:109], v[248:249]
	v_mul_f64 v[32:33], v[22:23], v[124:125]
	v_fma_f64 v[248:249], v[106:107], v[110:111], -v[108:109]
	s_waitcnt lgkmcnt(2)
	v_mul_f64 v[38:39], v[10:11], v[126:127]
	v_mul_f64 v[20:21], v[20:21], v[120:121]
	v_fmac_f64_e32 v[38:39], v[12:13], v[128:129]
	v_fma_f64 v[18:19], v[18:19], v[122:123], -v[20:21]
	v_mul_f64 v[36:37], v[14:15], v[132:133]
	v_mul_f64 v[12:13], v[12:13], v[126:127]
	s_waitcnt lgkmcnt(1)
	v_mul_f64 v[40:41], v[6:7], v[130:131]
	v_fma_f64 v[10:11], v[10:11], v[128:129], -v[12:13]
	v_fmac_f64_e32 v[30:31], v[116:117], v[250:251]
	v_add_f64 v[26:27], v[26:27], v[30:31]
	v_fmac_f64_e32 v[32:33], v[24:25], v[140:141]
	v_add_f64 v[26:27], v[26:27], v[32:33]
	v_fmac_f64_e32 v[36:37], v[16:17], v[138:139]
	v_add_f64 v[26:27], v[26:27], v[34:35]
	v_add_f64 v[26:27], v[26:27], v[36:37]
	v_fmac_f64_e32 v[40:41], v[8:9], v[136:137]
	v_add_f64 v[30:31], v[26:27], v[38:39]
	v_add_f64 v[30:31], v[30:31], v[40:41]
	s_waitcnt lgkmcnt(0)
	v_mul_f64 v[32:33], v[2:3], v[134:135]
	v_fmac_f64_e32 v[32:33], v[4:5], v[142:143]
	ds_read_b128 v[26:29], v254 offset:1008
	v_add_f64 v[34:35], v[30:31], v[32:33]
	ds_read_b128 v[30:33], v254 offset:1024
	buffer_load_dword v231, off, s[0:3], 0 offset:628
	buffer_load_dword v230, off, s[0:3], 0 offset:624
	v_mul_f64 v[116:117], v[116:117], v[244:245]
	s_waitcnt lgkmcnt(1)
	v_mul_f64 v[36:37], v[26:27], v[148:149]
	v_fmac_f64_e32 v[36:37], v[28:29], v[150:151]
	v_add_f64 v[38:39], v[34:35], v[36:37]
	ds_read_b128 v[34:37], v254 offset:1040
	s_waitcnt lgkmcnt(1)
	v_mul_f64 v[40:41], v[30:31], v[144:145]
	v_fmac_f64_e32 v[40:41], v[32:33], v[146:147]
	v_add_f64 v[42:43], v[38:39], v[40:41]
	ds_read_b128 v[38:41], v254 offset:1056
	;; [unrolled: 5-line block ×4, first 2 shown]
	buffer_load_dword v233, off, s[0:3], 0 offset:684
	buffer_load_dword v235, off, s[0:3], 0 offset:668
	;; [unrolled: 1-line block ×12, first 2 shown]
	s_waitcnt vmcnt(62) lgkmcnt(1)
	v_mul_f64 v[52:53], v[42:43], v[176:177]
	v_fmac_f64_e32 v[52:53], v[44:45], v[180:181]
	v_add_f64 v[54:55], v[50:51], v[52:53]
	ds_read_b128 v[50:53], v254 offset:1104
	s_waitcnt lgkmcnt(1)
	v_mul_f64 v[56:57], v[46:47], v[156:157]
	v_fmac_f64_e32 v[56:57], v[48:49], v[158:159]
	v_add_f64 v[58:59], v[54:55], v[56:57]
	ds_read_b128 v[54:57], v254 offset:1120
	s_waitcnt lgkmcnt(1)
	v_mul_f64 v[60:61], v[50:51], v[184:185]
	s_waitcnt vmcnt(60)
	v_fmac_f64_e32 v[60:61], v[52:53], v[188:189]
	v_add_f64 v[62:63], v[58:59], v[60:61]
	ds_read_b128 v[58:61], v254 offset:1136
	s_waitcnt lgkmcnt(1)
	v_mul_f64 v[64:65], v[54:55], v[164:165]
	v_fmac_f64_e32 v[64:65], v[56:57], v[166:167]
	v_add_f64 v[66:67], v[62:63], v[64:65]
	ds_read_b128 v[62:65], v254 offset:1152
	s_waitcnt vmcnt(54) lgkmcnt(1)
	v_mul_f64 v[68:69], v[58:59], v[192:193]
	s_waitcnt vmcnt(52)
	v_fmac_f64_e32 v[68:69], v[60:61], v[204:205]
	v_add_f64 v[70:71], v[66:67], v[68:69]
	ds_read_b128 v[66:69], v254 offset:1168
	s_waitcnt lgkmcnt(1)
	v_mul_f64 v[72:73], v[62:63], v[168:169]
	v_fmac_f64_e32 v[72:73], v[64:65], v[170:171]
	v_add_f64 v[74:75], v[70:71], v[72:73]
	ds_read_b128 v[70:73], v254 offset:1184
	s_waitcnt vmcnt(46) lgkmcnt(1)
	;; [unrolled: 11-line block ×4, first 2 shown]
	v_mul_f64 v[92:93], v[82:83], v[220:221]
	s_waitcnt vmcnt(28)
	v_fmac_f64_e32 v[92:93], v[84:85], v[222:223]
	v_add_f64 v[98:99], v[90:91], v[92:93]
	ds_read_b128 v[90:93], v254 offset:1264
	ds_read_b128 v[94:97], v254 offset:1280
	s_waitcnt lgkmcnt(2)
	v_mul_f64 v[100:101], v[86:87], v[186:187]
	v_fmac_f64_e32 v[100:101], v[88:89], v[190:191]
	v_add_f64 v[98:99], v[98:99], v[100:101]
	s_waitcnt vmcnt(22) lgkmcnt(1)
	v_mul_f64 v[100:101], v[90:91], v[224:225]
	s_waitcnt vmcnt(20)
	v_fmac_f64_e32 v[100:101], v[92:93], v[226:227]
	v_add_f64 v[98:99], v[98:99], v[100:101]
	s_waitcnt lgkmcnt(0)
	v_mul_f64 v[100:101], v[94:95], v[194:195]
	v_fmac_f64_e32 v[100:101], v[96:97], v[206:207]
	v_add_f64 v[118:119], v[98:99], v[100:101]
	ds_read_b128 v[98:101], v254 offset:1296
	ds_read_b128 v[102:105], v254 offset:1312
	;; [unrolled: 1-line block ×3, first 2 shown]
	v_fma_f64 v[250:251], v[114:115], v[250:251], -v[116:117]
	ds_read_b128 v[114:117], v254 offset:1360
	s_waitcnt vmcnt(14) lgkmcnt(3)
	v_mul_f64 v[112:113], v[98:99], v[228:229]
	s_waitcnt lgkmcnt(2)
	v_mul_f64 v[110:111], v[102:103], v[210:211]
	s_waitcnt vmcnt(12)
	v_fmac_f64_e32 v[112:113], v[100:101], v[230:231]
	v_add_f64 v[112:113], v[118:119], v[112:113]
	v_fmac_f64_e32 v[110:111], v[104:105], v[214:215]
	v_add_f64 v[118:119], v[112:113], v[110:111]
	ds_read_b128 v[110:113], v254 offset:1344
	buffer_load_dword v254, off, s[0:3], 0 offset:176
	buffer_load_dword v255, off, s[0:3], 0 offset:180
	;; [unrolled: 1-line block ×4, first 2 shown]
	v_mul_f64 v[24:25], v[24:25], v[124:125]
	v_fma_f64 v[22:23], v[22:23], v[140:141], -v[24:25]
	v_mul_f64 v[16:17], v[16:17], v[132:133]
	s_waitcnt vmcnt(13) lgkmcnt(2)
	v_mul_f64 v[196:197], v[106:107], v[234:235]
	v_fma_f64 v[14:15], v[14:15], v[138:139], -v[16:17]
	s_waitcnt vmcnt(11)
	v_fmac_f64_e32 v[196:197], v[108:109], v[240:241]
	v_add_f64 v[118:119], v[118:119], v[196:197]
	s_waitcnt vmcnt(10) lgkmcnt(0)
	v_mul_f64 v[196:197], v[110:111], v[232:233]
	s_waitcnt vmcnt(8)
	v_fmac_f64_e32 v[196:197], v[112:113], v[238:239]
	v_add_f64 v[118:119], v[118:119], v[196:197]
	s_waitcnt vmcnt(6)
	v_mul_f64 v[196:197], v[114:115], v[236:237]
	v_mul_f64 v[8:9], v[8:9], v[130:131]
	s_waitcnt vmcnt(4)
	v_fmac_f64_e32 v[196:197], v[116:117], v[242:243]
	v_add_f64 v[244:245], v[118:119], v[196:197]
	v_add_f64 v[118:119], v[246:247], 0
	v_add_f64 v[118:119], v[118:119], v[248:249]
	v_add_f64 v[118:119], v[118:119], v[250:251]
	v_add_f64 v[22:23], v[118:119], v[22:23]
	v_add_f64 v[18:19], v[22:23], v[18:19]
	v_add_f64 v[14:15], v[18:19], v[14:15]
	v_add_f64 v[10:11], v[14:15], v[10:11]
	v_fma_f64 v[6:7], v[6:7], v[136:137], -v[8:9]
	v_mul_f64 v[4:5], v[4:5], v[134:135]
	v_add_f64 v[6:7], v[10:11], v[6:7]
	v_fma_f64 v[2:3], v[2:3], v[142:143], -v[4:5]
	v_mul_f64 v[4:5], v[28:29], v[148:149]
	v_add_f64 v[2:3], v[6:7], v[2:3]
	v_fma_f64 v[4:5], v[26:27], v[150:151], -v[4:5]
	v_add_f64 v[2:3], v[2:3], v[4:5]
	v_mul_f64 v[4:5], v[32:33], v[144:145]
	v_fma_f64 v[4:5], v[30:31], v[146:147], -v[4:5]
	v_add_f64 v[2:3], v[2:3], v[4:5]
	v_mul_f64 v[4:5], v[36:37], v[160:161]
	;; [unrolled: 3-line block ×22, first 2 shown]
	v_fma_f64 v[4:5], v[114:115], v[242:243], -v[4:5]
	v_add_f64 v[2:3], v[2:3], v[4:5]
	s_waitcnt vmcnt(2)
	v_add_f64 v[2:3], v[254:255], -v[2:3]
	s_waitcnt vmcnt(0)
	v_add_f64 v[4:5], v[252:253], -v[244:245]
	buffer_store_dword v3, off, s[0:3], 0 offset:180
	buffer_store_dword v2, off, s[0:3], 0 offset:176
	;; [unrolled: 1-line block ×4, first 2 shown]
	s_and_saveexec_b64 s[4:5], vcc
	s_cbranch_execz .LBB42_253
; %bb.252:
	v_accvgpr_read_b32 v0, a119
	buffer_load_dword v2, v0, s[0:3], 0 offen
	buffer_load_dword v3, v0, s[0:3], 0 offen offset:4
	buffer_load_dword v4, v0, s[0:3], 0 offen offset:8
	;; [unrolled: 1-line block ×3, first 2 shown]
	v_mov_b32_e32 v0, 0
	v_accvgpr_read_b32 v6, a129
	buffer_store_dword v0, off, s[0:3], 0 offset:160
	buffer_store_dword v0, off, s[0:3], 0 offset:164
	;; [unrolled: 1-line block ×4, first 2 shown]
	s_waitcnt vmcnt(4)
	ds_write_b128 v6, v[2:5]
.LBB42_253:
	s_or_b64 exec, exec, s[4:5]
	s_waitcnt lgkmcnt(0)
	; wave barrier
	s_waitcnt lgkmcnt(0)
	buffer_load_dword v94, off, s[0:3], 0 offset:176
	buffer_load_dword v95, off, s[0:3], 0 offset:180
	;; [unrolled: 1-line block ×52, first 2 shown]
	v_mov_b32_e32 v254, 0
	ds_read_b128 v[102:105], v254 offset:848
	ds_read_b128 v[114:117], v254 offset:864
	;; [unrolled: 1-line block ×10, first 2 shown]
	v_cmp_lt_u32_e32 vcc, 8, v1
	s_waitcnt vmcnt(48) lgkmcnt(9)
	v_mul_f64 v[26:27], v[102:103], v[96:97]
	v_fmac_f64_e32 v[26:27], v[104:105], v[94:95]
	v_add_f64 v[26:27], v[26:27], 0
	v_mul_f64 v[96:97], v[104:105], v[96:97]
	s_waitcnt vmcnt(44) lgkmcnt(8)
	v_mul_f64 v[28:29], v[114:115], v[100:101]
	v_fmac_f64_e32 v[28:29], v[116:117], v[98:99]
	s_waitcnt vmcnt(42) lgkmcnt(7)
	v_mul_f64 v[30:31], v[244:245], v[106:107]
	v_add_f64 v[26:27], v[26:27], v[28:29]
	s_waitcnt vmcnt(40) lgkmcnt(5)
	v_mul_f64 v[34:35], v[22:23], v[122:123]
	v_fma_f64 v[196:197], v[102:103], v[94:95], -v[96:97]
	s_waitcnt vmcnt(38)
	v_fmac_f64_e32 v[34:35], v[24:25], v[126:127]
	v_mul_f64 v[100:101], v[116:117], v[100:101]
	s_waitcnt vmcnt(36)
	v_mul_f64 v[32:33], v[250:251], v[110:111]
	v_fma_f64 v[198:199], v[114:115], v[98:99], -v[100:101]
	s_waitcnt vmcnt(34) lgkmcnt(3)
	v_mul_f64 v[38:39], v[14:15], v[120:121]
	v_mul_f64 v[106:107], v[246:247], v[106:107]
	s_waitcnt vmcnt(32)
	v_fmac_f64_e32 v[38:39], v[16:17], v[124:125]
	v_mul_f64 v[110:111], v[252:253], v[110:111]
	s_waitcnt vmcnt(30)
	v_mul_f64 v[36:37], v[18:19], v[132:133]
	v_mul_f64 v[24:25], v[24:25], v[122:123]
	v_fma_f64 v[22:23], v[22:23], v[126:127], -v[24:25]
	s_waitcnt vmcnt(27) lgkmcnt(2)
	v_mul_f64 v[40:41], v[10:11], v[130:131]
	s_waitcnt vmcnt(26) lgkmcnt(1)
	v_mul_f64 v[42:43], v[6:7], v[128:129]
	v_mul_f64 v[16:17], v[16:17], v[120:121]
	s_waitcnt vmcnt(24)
	v_fmac_f64_e32 v[30:31], v[246:247], v[108:109]
	v_add_f64 v[26:27], v[26:27], v[30:31]
	s_waitcnt vmcnt(22)
	v_fmac_f64_e32 v[32:33], v[252:253], v[112:113]
	v_add_f64 v[26:27], v[26:27], v[32:33]
	;; [unrolled: 3-line block ×3, first 2 shown]
	v_add_f64 v[26:27], v[26:27], v[36:37]
	s_waitcnt vmcnt(18)
	v_fmac_f64_e32 v[40:41], v[12:13], v[134:135]
	v_add_f64 v[26:27], v[26:27], v[38:39]
	v_add_f64 v[26:27], v[26:27], v[40:41]
	s_waitcnt vmcnt(16)
	v_fmac_f64_e32 v[42:43], v[8:9], v[140:141]
	v_add_f64 v[34:35], v[26:27], v[42:43]
	ds_read_b128 v[26:29], v254 offset:1008
	ds_read_b128 v[30:33], v254 offset:1024
	buffer_load_dword v157, off, s[0:3], 0 offset:412
	buffer_load_dword v156, off, s[0:3], 0 offset:408
	;; [unrolled: 1-line block ×56, first 2 shown]
	s_waitcnt vmcnt(62) lgkmcnt(2)
	v_mul_f64 v[36:37], v[2:3], v[144:145]
	v_fmac_f64_e32 v[36:37], v[4:5], v[146:147]
	v_add_f64 v[34:35], v[34:35], v[36:37]
	s_waitcnt lgkmcnt(1)
	v_mul_f64 v[36:37], v[26:27], v[138:139]
	v_fmac_f64_e32 v[36:37], v[28:29], v[142:143]
	v_add_f64 v[34:35], v[34:35], v[36:37]
	s_waitcnt lgkmcnt(0)
	v_mul_f64 v[36:37], v[30:31], v[148:149]
	s_waitcnt vmcnt(60)
	v_fmac_f64_e32 v[36:37], v[32:33], v[152:153]
	v_add_f64 v[42:43], v[34:35], v[36:37]
	ds_read_b128 v[34:37], v254 offset:1040
	buffer_load_dword v209, off, s[0:3], 0 offset:636
	buffer_load_dword v208, off, s[0:3], 0 offset:632
	buffer_load_dword v213, off, s[0:3], 0 offset:628
	buffer_load_dword v212, off, s[0:3], 0 offset:624
	buffer_load_dword v229, off, s[0:3], 0 offset:620
	buffer_load_dword v228, off, s[0:3], 0 offset:616
	buffer_load_dword v233, off, s[0:3], 0 offset:612
	buffer_load_dword v232, off, s[0:3], 0 offset:608
	buffer_load_dword v217, off, s[0:3], 0 offset:668
	buffer_load_dword v216, off, s[0:3], 0 offset:664
	buffer_load_dword v221, off, s[0:3], 0 offset:660
	buffer_load_dword v220, off, s[0:3], 0 offset:656
	buffer_load_dword v237, off, s[0:3], 0 offset:652
	buffer_load_dword v236, off, s[0:3], 0 offset:648
	buffer_load_dword v239, off, s[0:3], 0 offset:644
	buffer_load_dword v238, off, s[0:3], 0 offset:640
	ds_read_b128 v[38:41], v254 offset:1056
	buffer_load_dword v231, off, s[0:3], 0 offset:700
	buffer_load_dword v230, off, s[0:3], 0 offset:696
	;; [unrolled: 1-line block ×8, first 2 shown]
	ds_read_b128 v[98:101], v254 offset:1296
	s_waitcnt vmcnt(62) lgkmcnt(2)
	v_mul_f64 v[44:45], v[34:35], v[150:151]
	v_fmac_f64_e32 v[44:45], v[36:37], v[154:155]
	v_add_f64 v[46:47], v[42:43], v[44:45]
	ds_read_b128 v[42:45], v254 offset:1072
	v_fma_f64 v[248:249], v[244:245], v[108:109], -v[106:107]
	ds_read_b128 v[106:109], v254 offset:1328
	v_fma_f64 v[246:247], v[250:251], v[112:113], -v[110:111]
	v_mul_f64 v[20:21], v[20:21], v[132:133]
	v_fma_f64 v[18:19], v[18:19], v[136:137], -v[20:21]
	v_fma_f64 v[14:15], v[14:15], v[124:125], -v[16:17]
	v_mul_f64 v[12:13], v[12:13], v[130:131]
	v_fma_f64 v[10:11], v[10:11], v[134:135], -v[12:13]
	v_mul_f64 v[8:9], v[8:9], v[128:129]
	;; [unrolled: 2-line block ×3, first 2 shown]
	s_waitcnt lgkmcnt(3)
	v_mul_f64 v[48:49], v[38:39], v[172:173]
	v_fma_f64 v[2:3], v[2:3], v[146:147], -v[4:5]
	v_fmac_f64_e32 v[48:49], v[40:41], v[176:177]
	v_add_f64 v[50:51], v[46:47], v[48:49]
	ds_read_b128 v[46:49], v254 offset:1088
	s_waitcnt lgkmcnt(2)
	v_mul_f64 v[52:53], v[42:43], v[156:157]
	v_fmac_f64_e32 v[52:53], v[44:45], v[158:159]
	v_add_f64 v[54:55], v[50:51], v[52:53]
	ds_read_b128 v[50:53], v254 offset:1104
	s_waitcnt lgkmcnt(1)
	v_mul_f64 v[56:57], v[46:47], v[180:181]
	;; [unrolled: 5-line block ×3, first 2 shown]
	v_fmac_f64_e32 v[60:61], v[52:53], v[162:163]
	v_add_f64 v[62:63], v[58:59], v[60:61]
	ds_read_b128 v[58:61], v254 offset:1136
	s_waitcnt vmcnt(58) lgkmcnt(1)
	v_mul_f64 v[64:65], v[54:55], v[188:189]
	s_waitcnt vmcnt(56)
	v_fmac_f64_e32 v[64:65], v[56:57], v[192:193]
	v_add_f64 v[66:67], v[62:63], v[64:65]
	ds_read_b128 v[62:65], v254 offset:1152
	s_waitcnt lgkmcnt(1)
	v_mul_f64 v[68:69], v[58:59], v[164:165]
	v_fmac_f64_e32 v[68:69], v[60:61], v[166:167]
	v_add_f64 v[70:71], v[66:67], v[68:69]
	ds_read_b128 v[66:69], v254 offset:1168
	s_waitcnt vmcnt(50) lgkmcnt(1)
	v_mul_f64 v[72:73], v[62:63], v[204:205]
	s_waitcnt vmcnt(48)
	v_fmac_f64_e32 v[72:73], v[64:65], v[206:207]
	v_add_f64 v[74:75], v[70:71], v[72:73]
	ds_read_b128 v[70:73], v254 offset:1184
	s_waitcnt lgkmcnt(1)
	v_mul_f64 v[76:77], v[66:67], v[168:169]
	;; [unrolled: 11-line block ×3, first 2 shown]
	v_fmac_f64_e32 v[84:85], v[76:77], v[178:179]
	v_add_f64 v[90:91], v[82:83], v[84:85]
	ds_read_b128 v[82:85], v254 offset:1232
	ds_read_b128 v[86:89], v254 offset:1248
	s_waitcnt vmcnt(34) lgkmcnt(2)
	v_mul_f64 v[92:93], v[78:79], v[218:219]
	s_waitcnt vmcnt(32)
	v_fmac_f64_e32 v[92:93], v[80:81], v[224:225]
	v_add_f64 v[90:91], v[90:91], v[92:93]
	s_waitcnt lgkmcnt(1)
	v_mul_f64 v[92:93], v[82:83], v[182:183]
	v_fmac_f64_e32 v[92:93], v[84:85], v[186:187]
	v_add_f64 v[90:91], v[90:91], v[92:93]
	s_waitcnt vmcnt(27) lgkmcnt(0)
	v_mul_f64 v[92:93], v[86:87], v[222:223]
	s_waitcnt vmcnt(25)
	v_fmac_f64_e32 v[92:93], v[88:89], v[226:227]
	v_add_f64 v[118:119], v[90:91], v[92:93]
	ds_read_b128 v[90:93], v254 offset:1264
	ds_read_b128 v[94:97], v254 offset:1280
	;; [unrolled: 1-line block ×3, first 2 shown]
	v_mul_f64 v[4:5], v[28:29], v[138:139]
	v_fma_f64 v[4:5], v[26:27], v[142:143], -v[4:5]
	s_waitcnt lgkmcnt(2)
	v_mul_f64 v[102:103], v[90:91], v[190:191]
	s_waitcnt vmcnt(24)
	v_fmac_f64_e32 v[102:103], v[92:93], v[194:195]
	s_waitcnt vmcnt(18) lgkmcnt(1)
	v_mul_f64 v[104:105], v[94:95], v[228:229]
	v_add_f64 v[102:103], v[118:119], v[102:103]
	s_waitcnt vmcnt(16)
	v_fmac_f64_e32 v[104:105], v[96:97], v[232:233]
	v_add_f64 v[102:103], v[102:103], v[104:105]
	v_mul_f64 v[104:105], v[98:99], v[208:209]
	v_fmac_f64_e32 v[104:105], v[100:101], v[212:213]
	v_add_f64 v[114:115], v[102:103], v[104:105]
	ds_read_b128 v[102:105], v254 offset:1312
	s_waitcnt vmcnt(10) lgkmcnt(0)
	v_mul_f64 v[116:117], v[102:103], v[236:237]
	s_waitcnt vmcnt(8)
	v_fmac_f64_e32 v[116:117], v[104:105], v[238:239]
	v_add_f64 v[114:115], v[114:115], v[116:117]
	v_mul_f64 v[116:117], v[106:107], v[216:217]
	v_fmac_f64_e32 v[116:117], v[108:109], v[220:221]
	v_add_f64 v[114:115], v[114:115], v[116:117]
	s_waitcnt vmcnt(2)
	v_mul_f64 v[116:117], v[110:111], v[240:241]
	s_waitcnt vmcnt(0)
	v_fmac_f64_e32 v[116:117], v[112:113], v[242:243]
	v_add_f64 v[118:119], v[114:115], v[116:117]
	ds_read_b128 v[114:117], v254 offset:1360
	buffer_load_dword v252, off, s[0:3], 0 offset:160
	buffer_load_dword v253, off, s[0:3], 0 offset:164
	s_waitcnt lgkmcnt(0)
	v_mul_f64 v[200:201], v[114:115], v[230:231]
	v_fmac_f64_e32 v[200:201], v[116:117], v[234:235]
	v_add_f64 v[244:245], v[118:119], v[200:201]
	v_add_f64 v[118:119], v[196:197], 0
	;; [unrolled: 1-line block ×4, first 2 shown]
	buffer_load_dword v248, off, s[0:3], 0 offset:168
	buffer_load_dword v249, off, s[0:3], 0 offset:172
	v_add_f64 v[118:119], v[118:119], v[246:247]
	v_add_f64 v[22:23], v[118:119], v[22:23]
	;; [unrolled: 1-line block ×8, first 2 shown]
	v_mul_f64 v[4:5], v[32:33], v[148:149]
	v_fma_f64 v[4:5], v[30:31], v[152:153], -v[4:5]
	v_add_f64 v[2:3], v[2:3], v[4:5]
	v_mul_f64 v[4:5], v[36:37], v[150:151]
	v_fma_f64 v[4:5], v[34:35], v[154:155], -v[4:5]
	v_add_f64 v[2:3], v[2:3], v[4:5]
	;; [unrolled: 3-line block ×22, first 2 shown]
	s_waitcnt vmcnt(2)
	v_add_f64 v[2:3], v[252:253], -v[2:3]
	s_waitcnt vmcnt(0)
	v_add_f64 v[4:5], v[248:249], -v[244:245]
	buffer_store_dword v3, off, s[0:3], 0 offset:164
	buffer_store_dword v2, off, s[0:3], 0 offset:160
	;; [unrolled: 1-line block ×4, first 2 shown]
	s_and_saveexec_b64 s[4:5], vcc
	s_cbranch_execz .LBB42_255
; %bb.254:
	v_accvgpr_read_b32 v0, a120
	buffer_load_dword v2, v0, s[0:3], 0 offen
	buffer_load_dword v3, v0, s[0:3], 0 offen offset:4
	buffer_load_dword v4, v0, s[0:3], 0 offen offset:8
	;; [unrolled: 1-line block ×3, first 2 shown]
	v_accvgpr_read_b32 v0, a129
	buffer_store_dword v254, off, s[0:3], 0 offset:144
	buffer_store_dword v254, off, s[0:3], 0 offset:148
	buffer_store_dword v254, off, s[0:3], 0 offset:152
	buffer_store_dword v254, off, s[0:3], 0 offset:156
	s_waitcnt vmcnt(4)
	ds_write_b128 v0, v[2:5]
.LBB42_255:
	s_or_b64 exec, exec, s[4:5]
	s_waitcnt lgkmcnt(0)
	; wave barrier
	s_waitcnt lgkmcnt(0)
	buffer_load_dword v86, off, s[0:3], 0 offset:160
	buffer_load_dword v87, off, s[0:3], 0 offset:164
	;; [unrolled: 1-line block ×42, first 2 shown]
	ds_read_b128 v[94:97], v254 offset:832
	ds_read_b128 v[106:109], v254 offset:848
	;; [unrolled: 1-line block ×10, first 2 shown]
	buffer_load_dword v147, off, s[0:3], 0 offset:308
	buffer_load_dword v146, off, s[0:3], 0 offset:304
	ds_read_b128 v[6:9], v254 offset:992
	buffer_load_dword v143, off, s[0:3], 0 offset:364
	buffer_load_dword v142, off, s[0:3], 0 offset:360
	;; [unrolled: 1-line block ×80, first 2 shown]
	v_accvgpr_read_b32 v1, a128
	v_cmp_lt_u32_e32 vcc, 7, v1
	s_waitcnt vmcnt(62) lgkmcnt(10)
	v_mul_f64 v[26:27], v[94:95], v[88:89]
	v_fmac_f64_e32 v[26:27], v[96:97], v[86:87]
	v_add_f64 v[26:27], v[26:27], 0
	v_mul_f64 v[88:89], v[96:97], v[88:89]
	s_waitcnt lgkmcnt(9)
	v_mul_f64 v[28:29], v[106:107], v[92:93]
	v_fmac_f64_e32 v[28:29], v[108:109], v[90:91]
	s_waitcnt lgkmcnt(8)
	v_mul_f64 v[30:31], v[114:115], v[98:99]
	v_add_f64 v[26:27], v[26:27], v[28:29]
	s_waitcnt lgkmcnt(6)
	v_mul_f64 v[34:35], v[248:249], v[110:111]
	v_fma_f64 v[196:197], v[94:95], v[86:87], -v[88:89]
	v_fmac_f64_e32 v[34:35], v[250:251], v[112:113]
	v_mul_f64 v[92:93], v[108:109], v[92:93]
	v_mul_f64 v[32:33], v[244:245], v[102:103]
	;; [unrolled: 1-line block ×3, first 2 shown]
	s_waitcnt lgkmcnt(4)
	v_mul_f64 v[38:39], v[18:19], v[120:121]
	v_mul_f64 v[102:103], v[246:247], v[102:103]
	v_fmac_f64_e32 v[38:39], v[20:21], v[122:123]
	v_mul_f64 v[110:111], v[250:251], v[110:111]
	v_mul_f64 v[36:37], v[22:23], v[124:125]
	v_fma_f64 v[248:249], v[248:249], v[112:113], -v[110:111]
	s_waitcnt lgkmcnt(2)
	v_mul_f64 v[42:43], v[10:11], v[126:127]
	v_add_f64 v[196:197], v[196:197], 0
	v_mul_f64 v[20:21], v[20:21], v[120:121]
	v_mul_f64 v[40:41], v[14:15], v[132:133]
	v_fma_f64 v[18:19], v[18:19], v[122:123], -v[20:21]
	s_waitcnt lgkmcnt(1)
	v_mul_f64 v[44:45], v[2:3], v[130:131]
	v_fmac_f64_e32 v[30:31], v[116:117], v[100:101]
	v_add_f64 v[26:27], v[26:27], v[30:31]
	v_fmac_f64_e32 v[32:33], v[246:247], v[104:105]
	v_add_f64 v[26:27], v[26:27], v[32:33]
	;; [unrolled: 2-line block ×3, first 2 shown]
	v_add_f64 v[26:27], v[26:27], v[36:37]
	v_fmac_f64_e32 v[40:41], v[16:17], v[134:135]
	v_add_f64 v[26:27], v[26:27], v[38:39]
	v_fmac_f64_e32 v[42:43], v[12:13], v[128:129]
	v_add_f64 v[26:27], v[26:27], v[40:41]
	v_add_f64 v[26:27], v[26:27], v[42:43]
	s_waitcnt lgkmcnt(0)
	v_mul_f64 v[32:33], v[6:7], v[138:139]
	v_fmac_f64_e32 v[44:45], v[4:5], v[146:147]
	v_add_f64 v[30:31], v[26:27], v[44:45]
	ds_read_b128 v[26:29], v254 offset:1008
	v_fmac_f64_e32 v[32:33], v[8:9], v[140:141]
	v_add_f64 v[34:35], v[30:31], v[32:33]
	ds_read_b128 v[30:33], v254 offset:1024
	v_fma_f64 v[198:199], v[114:115], v[100:101], -v[98:99]
	s_waitcnt lgkmcnt(1)
	v_mul_f64 v[36:37], v[26:27], v[148:149]
	v_fmac_f64_e32 v[36:37], v[28:29], v[164:165]
	v_add_f64 v[38:39], v[34:35], v[36:37]
	ds_read_b128 v[34:37], v254 offset:1040
	s_waitcnt lgkmcnt(1)
	v_mul_f64 v[40:41], v[30:31], v[142:143]
	v_fmac_f64_e32 v[40:41], v[32:33], v[144:145]
	v_add_f64 v[42:43], v[38:39], v[40:41]
	ds_read_b128 v[38:41], v254 offset:1056
	;; [unrolled: 5-line block ×4, first 2 shown]
	s_waitcnt vmcnt(58) lgkmcnt(1)
	v_mul_f64 v[52:53], v[42:43], v[176:177]
	s_waitcnt vmcnt(56)
	v_fmac_f64_e32 v[52:53], v[44:45], v[180:181]
	v_add_f64 v[54:55], v[50:51], v[52:53]
	ds_read_b128 v[50:53], v254 offset:1104
	buffer_load_dword v232, off, s[0:3], 0 offset:680
	buffer_load_dword v237, off, s[0:3], 0 offset:668
	;; [unrolled: 1-line block ×8, first 2 shown]
	s_waitcnt lgkmcnt(1)
	v_mul_f64 v[56:57], v[46:47], v[154:155]
	v_fmac_f64_e32 v[56:57], v[48:49], v[156:157]
	v_add_f64 v[58:59], v[54:55], v[56:57]
	ds_read_b128 v[54:57], v254 offset:1120
	s_waitcnt vmcnt(58) lgkmcnt(1)
	v_mul_f64 v[60:61], v[50:51], v[184:185]
	s_waitcnt vmcnt(56)
	v_fmac_f64_e32 v[60:61], v[52:53], v[188:189]
	buffer_load_dword v241, off, s[0:3], 0 offset:700
	buffer_load_dword v240, off, s[0:3], 0 offset:696
	;; [unrolled: 1-line block ×4, first 2 shown]
	v_add_f64 v[62:63], v[58:59], v[60:61]
	ds_read_b128 v[58:61], v254 offset:1136
	s_waitcnt lgkmcnt(1)
	v_mul_f64 v[64:65], v[54:55], v[158:159]
	v_fmac_f64_e32 v[64:65], v[56:57], v[160:161]
	v_add_f64 v[66:67], v[62:63], v[64:65]
	ds_read_b128 v[62:65], v254 offset:1152
	s_waitcnt vmcnt(54) lgkmcnt(1)
	v_mul_f64 v[68:69], v[58:59], v[192:193]
	s_waitcnt vmcnt(52)
	v_fmac_f64_e32 v[68:69], v[60:61], v[204:205]
	v_add_f64 v[70:71], v[66:67], v[68:69]
	ds_read_b128 v[66:69], v254 offset:1168
	s_waitcnt lgkmcnt(1)
	v_mul_f64 v[72:73], v[62:63], v[162:163]
	v_fmac_f64_e32 v[72:73], v[64:65], v[166:167]
	v_add_f64 v[74:75], v[70:71], v[72:73]
	ds_read_b128 v[70:73], v254 offset:1184
	s_waitcnt vmcnt(46) lgkmcnt(1)
	v_mul_f64 v[76:77], v[66:67], v[208:209]
	s_waitcnt vmcnt(44)
	v_fmac_f64_e32 v[76:77], v[68:69], v[212:213]
	v_add_f64 v[82:83], v[74:75], v[76:77]
	ds_read_b128 v[74:77], v254 offset:1200
	ds_read_b128 v[78:81], v254 offset:1216
	s_waitcnt lgkmcnt(2)
	v_mul_f64 v[84:85], v[70:71], v[170:171]
	v_fmac_f64_e32 v[84:85], v[72:73], v[174:175]
	v_add_f64 v[82:83], v[82:83], v[84:85]
	s_waitcnt vmcnt(38) lgkmcnt(1)
	v_mul_f64 v[84:85], v[74:75], v[216:217]
	s_waitcnt vmcnt(36)
	v_fmac_f64_e32 v[84:85], v[76:77], v[218:219]
	v_add_f64 v[82:83], v[82:83], v[84:85]
	s_waitcnt lgkmcnt(0)
	v_mul_f64 v[84:85], v[78:79], v[178:179]
	v_fmac_f64_e32 v[84:85], v[80:81], v[182:183]
	v_add_f64 v[118:119], v[82:83], v[84:85]
	ds_read_b128 v[82:85], v254 offset:1232
	ds_read_b128 v[86:89], v254 offset:1248
	;; [unrolled: 1-line block ×3, first 2 shown]
	v_fma_f64 v[246:247], v[244:245], v[104:105], -v[102:103]
	ds_read_b128 v[102:105], v254 offset:1328
	ds_read_b128 v[110:113], v254 offset:1344
	s_waitcnt vmcnt(30) lgkmcnt(4)
	v_mul_f64 v[94:95], v[82:83], v[220:221]
	s_waitcnt vmcnt(28)
	v_fmac_f64_e32 v[94:95], v[84:85], v[222:223]
	v_add_f64 v[94:95], v[118:119], v[94:95]
	v_fma_f64 v[118:119], v[106:107], v[90:91], -v[92:93]
	ds_read_b128 v[90:93], v254 offset:1264
	s_waitcnt lgkmcnt(4)
	v_mul_f64 v[96:97], v[86:87], v[186:187]
	v_fmac_f64_e32 v[96:97], v[88:89], v[190:191]
	v_add_f64 v[106:107], v[94:95], v[96:97]
	ds_read_b128 v[94:97], v254 offset:1280
	s_waitcnt vmcnt(22) lgkmcnt(1)
	v_mul_f64 v[108:109], v[90:91], v[224:225]
	s_waitcnt vmcnt(20)
	v_fmac_f64_e32 v[108:109], v[92:93], v[226:227]
	v_add_f64 v[106:107], v[106:107], v[108:109]
	v_add_f64 v[118:119], v[196:197], v[118:119]
	s_waitcnt lgkmcnt(0)
	v_mul_f64 v[108:109], v[94:95], v[194:195]
	v_fmac_f64_e32 v[108:109], v[96:97], v[206:207]
	v_add_f64 v[114:115], v[106:107], v[108:109]
	ds_read_b128 v[106:109], v254 offset:1312
	s_waitcnt vmcnt(14)
	v_mul_f64 v[116:117], v[98:99], v[228:229]
	s_waitcnt vmcnt(12)
	v_fmac_f64_e32 v[116:117], v[100:101], v[230:231]
	v_add_f64 v[114:115], v[114:115], v[116:117]
	v_add_f64 v[250:251], v[118:119], v[198:199]
	s_waitcnt lgkmcnt(0)
	v_mul_f64 v[116:117], v[106:107], v[210:211]
	v_fmac_f64_e32 v[116:117], v[108:109], v[214:215]
	v_add_f64 v[114:115], v[114:115], v[116:117]
	v_add_f64 v[118:119], v[250:251], v[246:247]
	v_mul_f64 v[24:25], v[24:25], v[124:125]
	v_add_f64 v[118:119], v[118:119], v[248:249]
	v_fma_f64 v[22:23], v[22:23], v[136:137], -v[24:25]
	v_add_f64 v[22:23], v[118:119], v[22:23]
	v_mul_f64 v[16:17], v[16:17], v[132:133]
	v_add_f64 v[18:19], v[22:23], v[18:19]
	v_fma_f64 v[14:15], v[14:15], v[134:135], -v[16:17]
	v_mul_f64 v[12:13], v[12:13], v[126:127]
	s_waitcnt vmcnt(9)
	v_mul_f64 v[116:117], v[102:103], v[236:237]
	v_add_f64 v[14:15], v[18:19], v[14:15]
	s_waitcnt vmcnt(7)
	v_fmac_f64_e32 v[116:117], v[104:105], v[238:239]
	v_add_f64 v[114:115], v[114:115], v[116:117]
	s_waitcnt vmcnt(5)
	v_mul_f64 v[116:117], v[110:111], v[232:233]
	s_waitcnt vmcnt(4)
	v_fmac_f64_e32 v[116:117], v[112:113], v[234:235]
	v_add_f64 v[200:201], v[114:115], v[116:117]
	ds_read_b128 v[114:117], v254 offset:1360
	buffer_load_dword v254, off, s[0:3], 0 offset:144
	buffer_load_dword v255, off, s[0:3], 0 offset:148
	;; [unrolled: 1-line block ×4, first 2 shown]
	v_fma_f64 v[10:11], v[10:11], v[128:129], -v[12:13]
	v_mul_f64 v[4:5], v[4:5], v[130:131]
	v_add_f64 v[10:11], v[14:15], v[10:11]
	v_fma_f64 v[2:3], v[2:3], v[146:147], -v[4:5]
	v_mul_f64 v[4:5], v[8:9], v[138:139]
	v_add_f64 v[2:3], v[10:11], v[2:3]
	v_fma_f64 v[4:5], v[6:7], v[140:141], -v[4:5]
	v_add_f64 v[2:3], v[2:3], v[4:5]
	v_mul_f64 v[4:5], v[28:29], v[148:149]
	v_fma_f64 v[4:5], v[26:27], v[164:165], -v[4:5]
	v_add_f64 v[2:3], v[2:3], v[4:5]
	v_mul_f64 v[4:5], v[32:33], v[142:143]
	;; [unrolled: 3-line block ×22, first 2 shown]
	v_fma_f64 v[4:5], v[110:111], v[234:235], -v[4:5]
	v_add_f64 v[2:3], v[2:3], v[4:5]
	s_waitcnt vmcnt(6) lgkmcnt(0)
	v_mul_f64 v[4:5], v[116:117], v[240:241]
	v_mul_f64 v[202:203], v[114:115], v[240:241]
	s_waitcnt vmcnt(4)
	v_fma_f64 v[4:5], v[114:115], v[242:243], -v[4:5]
	v_fmac_f64_e32 v[202:203], v[116:117], v[242:243]
	v_add_f64 v[2:3], v[2:3], v[4:5]
	v_add_f64 v[244:245], v[200:201], v[202:203]
	s_waitcnt vmcnt(2)
	v_add_f64 v[2:3], v[254:255], -v[2:3]
	s_waitcnt vmcnt(0)
	v_add_f64 v[4:5], v[252:253], -v[244:245]
	buffer_store_dword v3, off, s[0:3], 0 offset:148
	buffer_store_dword v2, off, s[0:3], 0 offset:144
	;; [unrolled: 1-line block ×4, first 2 shown]
	s_and_saveexec_b64 s[4:5], vcc
	s_cbranch_execz .LBB42_257
; %bb.256:
	v_accvgpr_read_b32 v0, a121
	buffer_load_dword v2, v0, s[0:3], 0 offen
	buffer_load_dword v3, v0, s[0:3], 0 offen offset:4
	buffer_load_dword v4, v0, s[0:3], 0 offen offset:8
	;; [unrolled: 1-line block ×3, first 2 shown]
	v_mov_b32_e32 v0, 0
	v_accvgpr_read_b32 v6, a129
	buffer_store_dword v0, off, s[0:3], 0 offset:128
	buffer_store_dword v0, off, s[0:3], 0 offset:132
	;; [unrolled: 1-line block ×4, first 2 shown]
	s_waitcnt vmcnt(4)
	ds_write_b128 v6, v[2:5]
.LBB42_257:
	s_or_b64 exec, exec, s[4:5]
	s_waitcnt lgkmcnt(0)
	; wave barrier
	s_waitcnt lgkmcnt(0)
	buffer_load_dword v82, off, s[0:3], 0 offset:144
	buffer_load_dword v83, off, s[0:3], 0 offset:148
	;; [unrolled: 1-line block ×54, first 2 shown]
	v_mov_b32_e32 v254, 0
	ds_read_b128 v[90:93], v254 offset:816
	ds_read_b128 v[106:109], v254 offset:832
	;; [unrolled: 1-line block ×9, first 2 shown]
	buffer_load_dword v151, off, s[0:3], 0 offset:372
	buffer_load_dword v150, off, s[0:3], 0 offset:368
	buffer_load_dword v165, off, s[0:3], 0 offset:364
	buffer_load_dword v164, off, s[0:3], 0 offset:360
	buffer_load_dword v169, off, s[0:3], 0 offset:356
	buffer_load_dword v168, off, s[0:3], 0 offset:352
	buffer_load_dword v153, off, s[0:3], 0 offset:412
	buffer_load_dword v152, off, s[0:3], 0 offset:408
	buffer_load_dword v155, off, s[0:3], 0 offset:404
	buffer_load_dword v154, off, s[0:3], 0 offset:400
	buffer_load_dword v173, off, s[0:3], 0 offset:396
	buffer_load_dword v172, off, s[0:3], 0 offset:392
	buffer_load_dword v177, off, s[0:3], 0 offset:388
	buffer_load_dword v176, off, s[0:3], 0 offset:384
	buffer_load_dword v157, off, s[0:3], 0 offset:444
	buffer_load_dword v156, off, s[0:3], 0 offset:440
	buffer_load_dword v159, off, s[0:3], 0 offset:436
	buffer_load_dword v158, off, s[0:3], 0 offset:432
	buffer_load_dword v181, off, s[0:3], 0 offset:428
	buffer_load_dword v180, off, s[0:3], 0 offset:424
	buffer_load_dword v185, off, s[0:3], 0 offset:420
	buffer_load_dword v184, off, s[0:3], 0 offset:416
	buffer_load_dword v161, off, s[0:3], 0 offset:476
	buffer_load_dword v160, off, s[0:3], 0 offset:472
	buffer_load_dword v163, off, s[0:3], 0 offset:468
	buffer_load_dword v162, off, s[0:3], 0 offset:464
	buffer_load_dword v189, off, s[0:3], 0 offset:460
	buffer_load_dword v188, off, s[0:3], 0 offset:456
	buffer_load_dword v193, off, s[0:3], 0 offset:452
	buffer_load_dword v192, off, s[0:3], 0 offset:448
	buffer_load_dword v167, off, s[0:3], 0 offset:508
	buffer_load_dword v166, off, s[0:3], 0 offset:504
	buffer_load_dword v171, off, s[0:3], 0 offset:500
	buffer_load_dword v170, off, s[0:3], 0 offset:496
	buffer_load_dword v205, off, s[0:3], 0 offset:492
	buffer_load_dword v204, off, s[0:3], 0 offset:488
	buffer_load_dword v207, off, s[0:3], 0 offset:484
	buffer_load_dword v206, off, s[0:3], 0 offset:480
	buffer_load_dword v175, off, s[0:3], 0 offset:540
	buffer_load_dword v174, off, s[0:3], 0 offset:536
	buffer_load_dword v179, off, s[0:3], 0 offset:532
	buffer_load_dword v178, off, s[0:3], 0 offset:528
	buffer_load_dword v209, off, s[0:3], 0 offset:524
	buffer_load_dword v208, off, s[0:3], 0 offset:520
	buffer_load_dword v211, off, s[0:3], 0 offset:516
	buffer_load_dword v210, off, s[0:3], 0 offset:512
	buffer_load_dword v183, off, s[0:3], 0 offset:572
	buffer_load_dword v182, off, s[0:3], 0 offset:568
	buffer_load_dword v187, off, s[0:3], 0 offset:564
	buffer_load_dword v186, off, s[0:3], 0 offset:560
	buffer_load_dword v213, off, s[0:3], 0 offset:556
	buffer_load_dword v212, off, s[0:3], 0 offset:552
	buffer_load_dword v215, off, s[0:3], 0 offset:548
	buffer_load_dword v214, off, s[0:3], 0 offset:544
	buffer_load_dword v191, off, s[0:3], 0 offset:604
	buffer_load_dword v190, off, s[0:3], 0 offset:600
	buffer_load_dword v195, off, s[0:3], 0 offset:596
	buffer_load_dword v194, off, s[0:3], 0 offset:592
	buffer_load_dword v217, off, s[0:3], 0 offset:588
	buffer_load_dword v216, off, s[0:3], 0 offset:584
	buffer_load_dword v219, off, s[0:3], 0 offset:580
	buffer_load_dword v218, off, s[0:3], 0 offset:576
	v_cmp_lt_u32_e32 vcc, 6, v1
	s_waitcnt vmcnt(62) lgkmcnt(8)
	v_mul_f64 v[14:15], v[90:91], v[84:85]
	v_fmac_f64_e32 v[14:15], v[92:93], v[82:83]
	v_add_f64 v[14:15], v[14:15], 0
	v_mul_f64 v[84:85], v[92:93], v[84:85]
	s_waitcnt lgkmcnt(7)
	v_mul_f64 v[16:17], v[106:107], v[88:89]
	v_fmac_f64_e32 v[16:17], v[108:109], v[86:87]
	s_waitcnt lgkmcnt(6)
	v_mul_f64 v[18:19], v[114:115], v[94:95]
	v_add_f64 v[14:15], v[14:15], v[16:17]
	s_waitcnt lgkmcnt(4)
	v_mul_f64 v[22:23], v[246:247], v[102:103]
	v_fma_f64 v[196:197], v[90:91], v[82:83], -v[84:85]
	v_fmac_f64_e32 v[22:23], v[248:249], v[104:105]
	v_mul_f64 v[88:89], v[108:109], v[88:89]
	v_mul_f64 v[20:21], v[242:243], v[98:99]
	v_fma_f64 v[198:199], v[106:107], v[86:87], -v[88:89]
	s_waitcnt lgkmcnt(2)
	v_mul_f64 v[26:27], v[10:11], v[120:121]
	v_mul_f64 v[94:95], v[116:117], v[94:95]
	v_fmac_f64_e32 v[26:27], v[12:13], v[122:123]
	v_mul_f64 v[98:99], v[244:245], v[98:99]
	v_mul_f64 v[24:25], v[250:251], v[110:111]
	;; [unrolled: 1-line block ×3, first 2 shown]
	s_waitcnt lgkmcnt(1)
	v_mul_f64 v[28:29], v[6:7], v[124:125]
	v_mul_f64 v[110:111], v[252:253], v[110:111]
	v_fmac_f64_e32 v[18:19], v[116:117], v[96:97]
	v_add_f64 v[14:15], v[14:15], v[18:19]
	v_fmac_f64_e32 v[20:21], v[244:245], v[100:101]
	v_add_f64 v[14:15], v[14:15], v[20:21]
	;; [unrolled: 2-line block ×3, first 2 shown]
	v_add_f64 v[14:15], v[14:15], v[24:25]
	v_fmac_f64_e32 v[28:29], v[8:9], v[128:129]
	v_add_f64 v[14:15], v[14:15], v[26:27]
	v_add_f64 v[18:19], v[14:15], v[28:29]
	ds_read_b128 v[14:17], v254 offset:960
	s_waitcnt lgkmcnt(1)
	v_mul_f64 v[20:21], v[2:3], v[126:127]
	v_fmac_f64_e32 v[20:21], v[4:5], v[130:131]
	v_add_f64 v[22:23], v[18:19], v[20:21]
	ds_read_b128 v[18:21], v254 offset:976
	s_waitcnt lgkmcnt(1)
	v_mul_f64 v[24:25], v[14:15], v[136:137]
	v_fmac_f64_e32 v[24:25], v[16:17], v[138:139]
	;; [unrolled: 5-line block ×5, first 2 shown]
	v_add_f64 v[38:39], v[34:35], v[36:37]
	ds_read_b128 v[34:37], v254 offset:1040
	s_waitcnt vmcnt(58) lgkmcnt(1)
	v_mul_f64 v[40:41], v[30:31], v[164:165]
	s_waitcnt vmcnt(56)
	v_fmac_f64_e32 v[40:41], v[32:33], v[168:169]
	v_add_f64 v[42:43], v[38:39], v[40:41]
	ds_read_b128 v[38:41], v254 offset:1056
	s_waitcnt lgkmcnt(1)
	v_mul_f64 v[44:45], v[34:35], v[144:145]
	v_fmac_f64_e32 v[44:45], v[36:37], v[150:151]
	v_add_f64 v[46:47], v[42:43], v[44:45]
	ds_read_b128 v[42:45], v254 offset:1072
	s_waitcnt vmcnt(50) lgkmcnt(1)
	v_mul_f64 v[48:49], v[38:39], v[172:173]
	s_waitcnt vmcnt(48)
	v_fmac_f64_e32 v[48:49], v[40:41], v[176:177]
	v_add_f64 v[50:51], v[46:47], v[48:49]
	ds_read_b128 v[46:49], v254 offset:1088
	buffer_load_dword v221, off, s[0:3], 0 offset:620
	buffer_load_dword v220, off, s[0:3], 0 offset:616
	;; [unrolled: 1-line block ×8, first 2 shown]
	s_waitcnt lgkmcnt(1)
	v_mul_f64 v[52:53], v[42:43], v[152:153]
	v_fmac_f64_e32 v[52:53], v[44:45], v[154:155]
	v_add_f64 v[54:55], v[50:51], v[52:53]
	ds_read_b128 v[50:53], v254 offset:1104
	s_waitcnt vmcnt(50) lgkmcnt(1)
	v_mul_f64 v[56:57], v[46:47], v[180:181]
	s_waitcnt vmcnt(48)
	v_fmac_f64_e32 v[56:57], v[48:49], v[184:185]
	buffer_load_dword v225, off, s[0:3], 0 offset:668
	buffer_load_dword v231, off, s[0:3], 0 offset:652
	;; [unrolled: 1-line block ×12, first 2 shown]
	v_add_f64 v[58:59], v[54:55], v[56:57]
	ds_read_b128 v[54:57], v254 offset:1120
	s_waitcnt lgkmcnt(1)
	v_mul_f64 v[60:61], v[50:51], v[156:157]
	v_fmac_f64_e32 v[60:61], v[52:53], v[158:159]
	v_add_f64 v[62:63], v[58:59], v[60:61]
	ds_read_b128 v[58:61], v254 offset:1136
	s_waitcnt vmcnt(54) lgkmcnt(1)
	v_mul_f64 v[64:65], v[54:55], v[188:189]
	s_waitcnt vmcnt(52)
	v_fmac_f64_e32 v[64:65], v[56:57], v[192:193]
	v_add_f64 v[66:67], v[62:63], v[64:65]
	ds_read_b128 v[62:65], v254 offset:1152
	s_waitcnt lgkmcnt(1)
	v_mul_f64 v[68:69], v[58:59], v[160:161]
	v_fmac_f64_e32 v[68:69], v[60:61], v[162:163]
	v_add_f64 v[70:71], v[66:67], v[68:69]
	ds_read_b128 v[66:69], v254 offset:1168
	s_waitcnt vmcnt(46) lgkmcnt(1)
	v_mul_f64 v[72:73], v[62:63], v[204:205]
	s_waitcnt vmcnt(44)
	v_fmac_f64_e32 v[72:73], v[64:65], v[206:207]
	v_add_f64 v[78:79], v[70:71], v[72:73]
	ds_read_b128 v[70:73], v254 offset:1184
	ds_read_b128 v[74:77], v254 offset:1200
	s_waitcnt lgkmcnt(2)
	v_mul_f64 v[80:81], v[66:67], v[166:167]
	v_fmac_f64_e32 v[80:81], v[68:69], v[170:171]
	v_add_f64 v[78:79], v[78:79], v[80:81]
	s_waitcnt vmcnt(38) lgkmcnt(1)
	v_mul_f64 v[80:81], v[70:71], v[208:209]
	s_waitcnt vmcnt(36)
	v_fmac_f64_e32 v[80:81], v[72:73], v[210:211]
	v_add_f64 v[78:79], v[78:79], v[80:81]
	s_waitcnt lgkmcnt(0)
	v_mul_f64 v[80:81], v[74:75], v[174:175]
	v_fmac_f64_e32 v[80:81], v[76:77], v[178:179]
	v_add_f64 v[118:119], v[78:79], v[80:81]
	ds_read_b128 v[78:81], v254 offset:1216
	ds_read_b128 v[82:85], v254 offset:1232
	;; [unrolled: 1-line block ×3, first 2 shown]
	v_fma_f64 v[200:201], v[242:243], v[100:101], -v[98:99]
	ds_read_b128 v[98:101], v254 offset:1296
	s_waitcnt vmcnt(30) lgkmcnt(3)
	v_mul_f64 v[90:91], v[78:79], v[212:213]
	s_waitcnt vmcnt(28)
	v_fmac_f64_e32 v[90:91], v[80:81], v[214:215]
	s_waitcnt lgkmcnt(2)
	v_mul_f64 v[92:93], v[82:83], v[182:183]
	v_add_f64 v[90:91], v[118:119], v[90:91]
	v_fmac_f64_e32 v[92:93], v[84:85], v[186:187]
	v_add_f64 v[90:91], v[90:91], v[92:93]
	v_fma_f64 v[118:119], v[114:115], v[96:97], -v[94:95]
	ds_read_b128 v[94:97], v254 offset:1280
	s_waitcnt vmcnt(22) lgkmcnt(2)
	v_mul_f64 v[92:93], v[86:87], v[216:217]
	s_waitcnt vmcnt(20)
	v_fmac_f64_e32 v[92:93], v[88:89], v[218:219]
	v_add_f64 v[106:107], v[90:91], v[92:93]
	ds_read_b128 v[90:93], v254 offset:1264
	buffer_load_dword v240, off, s[0:3], 0 offset:696
	v_fma_f64 v[202:203], v[246:247], v[104:105], -v[102:103]
	ds_read_b128 v[102:105], v254 offset:1312
	v_fma_f64 v[250:251], v[250:251], v[112:113], -v[110:111]
	s_waitcnt lgkmcnt(1)
	v_mul_f64 v[108:109], v[90:91], v[190:191]
	v_fmac_f64_e32 v[108:109], v[92:93], v[194:195]
	v_add_f64 v[106:107], v[106:107], v[108:109]
	ds_read_b128 v[110:113], v254 offset:1344
	v_add_f64 v[196:197], v[196:197], 0
	v_add_f64 v[196:197], v[196:197], v[198:199]
	;; [unrolled: 1-line block ×5, first 2 shown]
	v_mul_f64 v[12:13], v[12:13], v[120:121]
	v_add_f64 v[118:119], v[252:253], v[250:251]
	v_fma_f64 v[10:11], v[10:11], v[122:123], -v[12:13]
	v_mul_f64 v[8:9], v[8:9], v[124:125]
	v_add_f64 v[10:11], v[118:119], v[10:11]
	v_fma_f64 v[6:7], v[6:7], v[128:129], -v[8:9]
	v_mul_f64 v[4:5], v[4:5], v[126:127]
	v_add_f64 v[6:7], v[10:11], v[6:7]
	v_fma_f64 v[2:3], v[2:3], v[130:131], -v[4:5]
	v_mul_f64 v[4:5], v[16:17], v[136:137]
	v_add_f64 v[2:3], v[6:7], v[2:3]
	s_waitcnt vmcnt(19)
	v_mul_f64 v[108:109], v[94:95], v[220:221]
	v_fma_f64 v[4:5], v[14:15], v[138:139], -v[4:5]
	s_waitcnt vmcnt(17)
	v_fmac_f64_e32 v[108:109], v[96:97], v[222:223]
	v_add_f64 v[106:107], v[106:107], v[108:109]
	s_waitcnt vmcnt(15)
	v_mul_f64 v[108:109], v[98:99], v[226:227]
	s_waitcnt vmcnt(13)
	v_fmac_f64_e32 v[108:109], v[100:101], v[228:229]
	v_add_f64 v[114:115], v[106:107], v[108:109]
	ds_read_b128 v[106:109], v254 offset:1328
	buffer_load_dword v244, off, s[0:3], 0 offset:688
	buffer_load_dword v241, off, s[0:3], 0 offset:700
	;; [unrolled: 1-line block ×3, first 2 shown]
	s_waitcnt vmcnt(13) lgkmcnt(2)
	v_mul_f64 v[116:117], v[102:103], v[230:231]
	s_waitcnt vmcnt(11)
	v_fmac_f64_e32 v[116:117], v[104:105], v[236:237]
	v_add_f64 v[114:115], v[114:115], v[116:117]
	s_waitcnt vmcnt(10) lgkmcnt(0)
	v_mul_f64 v[116:117], v[106:107], v[224:225]
	s_waitcnt vmcnt(8)
	v_fmac_f64_e32 v[116:117], v[108:109], v[234:235]
	v_add_f64 v[114:115], v[114:115], v[116:117]
	s_waitcnt vmcnt(6)
	v_mul_f64 v[116:117], v[110:111], v[232:233]
	s_waitcnt vmcnt(4)
	v_fmac_f64_e32 v[116:117], v[112:113], v[238:239]
	v_add_f64 v[242:243], v[114:115], v[116:117]
	ds_read_b128 v[114:117], v254 offset:1360
	buffer_load_dword v248, off, s[0:3], 0 offset:128
	buffer_load_dword v249, off, s[0:3], 0 offset:132
	v_add_f64 v[2:3], v[2:3], v[4:5]
	v_mul_f64 v[4:5], v[20:21], v[132:133]
	v_fma_f64 v[4:5], v[18:19], v[134:135], -v[4:5]
	v_add_f64 v[2:3], v[2:3], v[4:5]
	v_mul_f64 v[4:5], v[24:25], v[146:147]
	v_fma_f64 v[4:5], v[22:23], v[148:149], -v[4:5]
	v_add_f64 v[2:3], v[2:3], v[4:5]
	v_mul_f64 v[4:5], v[28:29], v[140:141]
	v_fma_f64 v[4:5], v[26:27], v[142:143], -v[4:5]
	v_add_f64 v[2:3], v[2:3], v[4:5]
	v_mul_f64 v[4:5], v[32:33], v[164:165]
	v_fma_f64 v[4:5], v[30:31], v[168:169], -v[4:5]
	v_add_f64 v[2:3], v[2:3], v[4:5]
	v_mul_f64 v[4:5], v[36:37], v[144:145]
	v_fma_f64 v[4:5], v[34:35], v[150:151], -v[4:5]
	v_add_f64 v[2:3], v[2:3], v[4:5]
	v_mul_f64 v[4:5], v[40:41], v[172:173]
	v_fma_f64 v[4:5], v[38:39], v[176:177], -v[4:5]
	v_add_f64 v[2:3], v[2:3], v[4:5]
	v_mul_f64 v[4:5], v[44:45], v[152:153]
	v_fma_f64 v[4:5], v[42:43], v[154:155], -v[4:5]
	v_add_f64 v[2:3], v[2:3], v[4:5]
	v_mul_f64 v[4:5], v[48:49], v[180:181]
	v_fma_f64 v[4:5], v[46:47], v[184:185], -v[4:5]
	v_add_f64 v[2:3], v[2:3], v[4:5]
	v_mul_f64 v[4:5], v[52:53], v[156:157]
	v_fma_f64 v[4:5], v[50:51], v[158:159], -v[4:5]
	v_add_f64 v[2:3], v[2:3], v[4:5]
	v_mul_f64 v[4:5], v[56:57], v[188:189]
	v_fma_f64 v[4:5], v[54:55], v[192:193], -v[4:5]
	v_add_f64 v[2:3], v[2:3], v[4:5]
	v_mul_f64 v[4:5], v[60:61], v[160:161]
	v_fma_f64 v[4:5], v[58:59], v[162:163], -v[4:5]
	v_add_f64 v[2:3], v[2:3], v[4:5]
	v_mul_f64 v[4:5], v[64:65], v[204:205]
	v_fma_f64 v[4:5], v[62:63], v[206:207], -v[4:5]
	v_add_f64 v[2:3], v[2:3], v[4:5]
	v_mul_f64 v[4:5], v[68:69], v[166:167]
	v_fma_f64 v[4:5], v[66:67], v[170:171], -v[4:5]
	v_add_f64 v[2:3], v[2:3], v[4:5]
	v_mul_f64 v[4:5], v[72:73], v[208:209]
	v_fma_f64 v[4:5], v[70:71], v[210:211], -v[4:5]
	v_add_f64 v[2:3], v[2:3], v[4:5]
	v_mul_f64 v[4:5], v[76:77], v[174:175]
	v_fma_f64 v[4:5], v[74:75], v[178:179], -v[4:5]
	v_add_f64 v[2:3], v[2:3], v[4:5]
	v_mul_f64 v[4:5], v[80:81], v[212:213]
	v_fma_f64 v[4:5], v[78:79], v[214:215], -v[4:5]
	v_add_f64 v[2:3], v[2:3], v[4:5]
	v_mul_f64 v[4:5], v[84:85], v[182:183]
	v_fma_f64 v[4:5], v[82:83], v[186:187], -v[4:5]
	v_add_f64 v[2:3], v[2:3], v[4:5]
	v_mul_f64 v[4:5], v[88:89], v[216:217]
	v_fma_f64 v[4:5], v[86:87], v[218:219], -v[4:5]
	v_add_f64 v[2:3], v[2:3], v[4:5]
	v_mul_f64 v[4:5], v[92:93], v[190:191]
	v_fma_f64 v[4:5], v[90:91], v[194:195], -v[4:5]
	v_add_f64 v[2:3], v[2:3], v[4:5]
	v_mul_f64 v[4:5], v[96:97], v[220:221]
	v_fma_f64 v[4:5], v[94:95], v[222:223], -v[4:5]
	v_add_f64 v[2:3], v[2:3], v[4:5]
	v_mul_f64 v[4:5], v[100:101], v[226:227]
	v_fma_f64 v[4:5], v[98:99], v[228:229], -v[4:5]
	v_add_f64 v[2:3], v[2:3], v[4:5]
	v_mul_f64 v[4:5], v[104:105], v[230:231]
	v_fma_f64 v[4:5], v[102:103], v[236:237], -v[4:5]
	v_add_f64 v[2:3], v[2:3], v[4:5]
	s_waitcnt vmcnt(3) lgkmcnt(0)
	v_mul_f64 v[246:247], v[114:115], v[240:241]
	s_waitcnt vmcnt(2)
	v_fmac_f64_e32 v[246:247], v[116:117], v[244:245]
	v_add_f64 v[242:243], v[242:243], v[246:247]
	buffer_load_dword v246, off, s[0:3], 0 offset:136
	buffer_load_dword v247, off, s[0:3], 0 offset:140
	v_mul_f64 v[4:5], v[108:109], v[224:225]
	v_fma_f64 v[4:5], v[106:107], v[234:235], -v[4:5]
	v_add_f64 v[2:3], v[2:3], v[4:5]
	v_mul_f64 v[4:5], v[112:113], v[232:233]
	v_fma_f64 v[4:5], v[110:111], v[238:239], -v[4:5]
	v_add_f64 v[2:3], v[2:3], v[4:5]
	;; [unrolled: 3-line block ×3, first 2 shown]
	s_waitcnt vmcnt(2)
	v_add_f64 v[2:3], v[248:249], -v[2:3]
	s_waitcnt vmcnt(0)
	v_add_f64 v[4:5], v[246:247], -v[242:243]
	buffer_store_dword v3, off, s[0:3], 0 offset:132
	buffer_store_dword v2, off, s[0:3], 0 offset:128
	;; [unrolled: 1-line block ×4, first 2 shown]
	s_and_saveexec_b64 s[4:5], vcc
	s_cbranch_execz .LBB42_259
; %bb.258:
	v_accvgpr_read_b32 v0, a122
	buffer_load_dword v2, v0, s[0:3], 0 offen
	buffer_load_dword v3, v0, s[0:3], 0 offen offset:4
	buffer_load_dword v4, v0, s[0:3], 0 offen offset:8
	;; [unrolled: 1-line block ×3, first 2 shown]
	v_accvgpr_read_b32 v0, a129
	buffer_store_dword v254, off, s[0:3], 0 offset:112
	buffer_store_dword v254, off, s[0:3], 0 offset:116
	;; [unrolled: 1-line block ×4, first 2 shown]
	s_waitcnt vmcnt(4)
	ds_write_b128 v0, v[2:5]
.LBB42_259:
	s_or_b64 exec, exec, s[4:5]
	s_waitcnt lgkmcnt(0)
	; wave barrier
	s_waitcnt lgkmcnt(0)
	buffer_load_dword v84, off, s[0:3], 0 offset:128
	buffer_load_dword v85, off, s[0:3], 0 offset:132
	;; [unrolled: 1-line block ×34, first 2 shown]
	ds_read_b128 v[74:77], v254 offset:800
	ds_read_b128 v[78:81], v254 offset:816
	;; [unrolled: 1-line block ×8, first 2 shown]
	buffer_load_dword v127, off, s[0:3], 0 offset:244
	buffer_load_dword v126, off, s[0:3], 0 offset:240
	ds_read_b128 v[6:9], v254 offset:928
	buffer_load_dword v129, off, s[0:3], 0 offset:300
	buffer_load_dword v128, off, s[0:3], 0 offset:296
	;; [unrolled: 1-line block ×80, first 2 shown]
	s_waitcnt vmcnt(62) lgkmcnt(8)
	v_mul_f64 v[10:11], v[74:75], v[106:107]
	v_fmac_f64_e32 v[10:11], v[76:77], v[84:85]
	v_add_f64 v[10:11], v[10:11], 0
	v_mul_f64 v[76:77], v[76:77], v[106:107]
	s_waitcnt lgkmcnt(7)
	v_mul_f64 v[12:13], v[78:79], v[96:97]
	v_fmac_f64_e32 v[12:13], v[80:81], v[82:83]
	s_waitcnt lgkmcnt(6)
	v_mul_f64 v[14:15], v[86:87], v[94:95]
	v_add_f64 v[10:11], v[10:11], v[12:13]
	s_waitcnt lgkmcnt(4)
	v_mul_f64 v[18:19], v[98:99], v[108:109]
	v_fma_f64 v[196:197], v[74:75], v[84:85], -v[76:77]
	v_fmac_f64_e32 v[18:19], v[100:101], v[114:115]
	v_mul_f64 v[80:81], v[80:81], v[96:97]
	v_mul_f64 v[16:17], v[90:91], v[116:117]
	v_fma_f64 v[198:199], v[78:79], v[82:83], -v[80:81]
	s_waitcnt lgkmcnt(2)
	v_mul_f64 v[22:23], v[110:111], v[240:241]
	v_mul_f64 v[100:101], v[100:101], v[108:109]
	v_fma_f64 v[202:203], v[98:99], v[114:115], -v[100:101]
	v_mul_f64 v[20:21], v[102:103], v[244:245]
	v_add_f64 v[196:197], v[196:197], 0
	s_waitcnt lgkmcnt(1)
	v_mul_f64 v[24:25], v[2:3], v[120:121]
	v_add_f64 v[196:197], v[196:197], v[198:199]
	v_fmac_f64_e32 v[14:15], v[88:89], v[250:251]
	v_add_f64 v[10:11], v[10:11], v[14:15]
	v_fmac_f64_e32 v[16:17], v[92:93], v[248:249]
	;; [unrolled: 2-line block ×4, first 2 shown]
	v_add_f64 v[10:11], v[10:11], v[20:21]
	v_add_f64 v[10:11], v[10:11], v[22:23]
	s_waitcnt lgkmcnt(0)
	v_mul_f64 v[16:17], v[6:7], v[122:123]
	v_fmac_f64_e32 v[16:17], v[8:9], v[124:125]
	v_fmac_f64_e32 v[24:25], v[4:5], v[126:127]
	v_add_f64 v[14:15], v[10:11], v[24:25]
	ds_read_b128 v[10:13], v254 offset:944
	v_add_f64 v[18:19], v[14:15], v[16:17]
	ds_read_b128 v[14:17], v254 offset:960
	v_mul_f64 v[88:89], v[88:89], v[94:95]
	v_mul_f64 v[92:93], v[92:93], v[116:117]
	s_waitcnt lgkmcnt(1)
	v_mul_f64 v[20:21], v[10:11], v[132:133]
	v_fmac_f64_e32 v[20:21], v[12:13], v[134:135]
	s_waitcnt lgkmcnt(0)
	v_mul_f64 v[24:25], v[14:15], v[128:129]
	v_add_f64 v[22:23], v[18:19], v[20:21]
	ds_read_b128 v[18:21], v254 offset:976
	v_fmac_f64_e32 v[24:25], v[16:17], v[130:131]
	v_add_f64 v[26:27], v[22:23], v[24:25]
	ds_read_b128 v[22:25], v254 offset:992
	v_fma_f64 v[200:201], v[90:91], v[248:249], -v[92:93]
	s_waitcnt lgkmcnt(1)
	v_mul_f64 v[28:29], v[18:19], v[144:145]
	v_fmac_f64_e32 v[28:29], v[20:21], v[146:147]
	v_add_f64 v[30:31], v[26:27], v[28:29]
	s_waitcnt lgkmcnt(0)
	v_mul_f64 v[32:33], v[22:23], v[136:137]
	ds_read_b128 v[26:29], v254 offset:1008
	v_fmac_f64_e32 v[32:33], v[24:25], v[138:139]
	v_add_f64 v[34:35], v[30:31], v[32:33]
	ds_read_b128 v[30:33], v254 offset:1024
	v_mul_f64 v[104:105], v[104:105], v[244:245]
	s_waitcnt vmcnt(58) lgkmcnt(1)
	v_mul_f64 v[36:37], v[26:27], v[160:161]
	s_waitcnt vmcnt(56)
	v_fmac_f64_e32 v[36:37], v[28:29], v[164:165]
	v_add_f64 v[38:39], v[34:35], v[36:37]
	s_waitcnt lgkmcnt(0)
	v_mul_f64 v[40:41], v[30:31], v[140:141]
	ds_read_b128 v[34:37], v254 offset:1040
	v_fmac_f64_e32 v[40:41], v[32:33], v[142:143]
	v_add_f64 v[42:43], v[38:39], v[40:41]
	ds_read_b128 v[38:41], v254 offset:1056
	v_mul_f64 v[112:113], v[112:113], v[240:241]
	s_waitcnt vmcnt(50) lgkmcnt(1)
	v_mul_f64 v[44:45], v[34:35], v[168:169]
	s_waitcnt vmcnt(48)
	v_fmac_f64_e32 v[44:45], v[36:37], v[172:173]
	v_add_f64 v[46:47], v[42:43], v[44:45]
	s_waitcnt lgkmcnt(0)
	v_mul_f64 v[48:49], v[38:39], v[148:149]
	v_fmac_f64_e32 v[48:49], v[40:41], v[150:151]
	ds_read_b128 v[42:45], v254 offset:1072
	v_add_f64 v[50:51], v[46:47], v[48:49]
	ds_read_b128 v[46:49], v254 offset:1088
	buffer_load_dword v217, off, s[0:3], 0 offset:620
	buffer_load_dword v219, off, s[0:3], 0 offset:604
	buffer_load_dword v218, off, s[0:3], 0 offset:600
	buffer_load_dword v225, off, s[0:3], 0 offset:596
	buffer_load_dword v224, off, s[0:3], 0 offset:592
	buffer_load_dword v216, off, s[0:3], 0 offset:616
	buffer_load_dword v223, off, s[0:3], 0 offset:612
	buffer_load_dword v222, off, s[0:3], 0 offset:608
	buffer_load_dword v221, off, s[0:3], 0 offset:636
	buffer_load_dword v220, off, s[0:3], 0 offset:632
	buffer_load_dword v227, off, s[0:3], 0 offset:628
	buffer_load_dword v226, off, s[0:3], 0 offset:624
	v_fma_f64 v[252:253], v[110:111], v[242:243], -v[112:113]
	s_waitcnt vmcnt(54) lgkmcnt(1)
	v_mul_f64 v[52:53], v[42:43], v[176:177]
	s_waitcnt vmcnt(52)
	v_fmac_f64_e32 v[52:53], v[44:45], v[180:181]
	v_add_f64 v[54:55], v[50:51], v[52:53]
	ds_read_b128 v[50:53], v254 offset:1104
	s_waitcnt lgkmcnt(1)
	v_mul_f64 v[56:57], v[46:47], v[152:153]
	v_fmac_f64_e32 v[56:57], v[48:49], v[154:155]
	buffer_load_dword v231, off, s[0:3], 0 offset:652
	buffer_load_dword v230, off, s[0:3], 0 offset:648
	;; [unrolled: 1-line block ×12, first 2 shown]
	v_add_f64 v[58:59], v[54:55], v[56:57]
	ds_read_b128 v[54:57], v254 offset:1120
	s_waitcnt vmcnt(58) lgkmcnt(1)
	v_mul_f64 v[60:61], v[50:51], v[184:185]
	s_waitcnt vmcnt(56)
	v_fmac_f64_e32 v[60:61], v[52:53], v[188:189]
	v_add_f64 v[62:63], v[58:59], v[60:61]
	ds_read_b128 v[58:61], v254 offset:1136
	s_waitcnt lgkmcnt(1)
	v_mul_f64 v[64:65], v[54:55], v[156:157]
	v_fmac_f64_e32 v[64:65], v[56:57], v[158:159]
	v_add_f64 v[70:71], v[62:63], v[64:65]
	ds_read_b128 v[62:65], v254 offset:1152
	ds_read_b128 v[66:69], v254 offset:1168
	s_waitcnt vmcnt(50) lgkmcnt(2)
	v_mul_f64 v[72:73], v[58:59], v[192:193]
	s_waitcnt vmcnt(48)
	v_fmac_f64_e32 v[72:73], v[60:61], v[194:195]
	v_add_f64 v[70:71], v[70:71], v[72:73]
	s_waitcnt lgkmcnt(1)
	v_mul_f64 v[72:73], v[62:63], v[162:163]
	v_fmac_f64_e32 v[72:73], v[64:65], v[166:167]
	v_add_f64 v[70:71], v[70:71], v[72:73]
	s_waitcnt vmcnt(42) lgkmcnt(0)
	v_mul_f64 v[72:73], v[66:67], v[204:205]
	s_waitcnt vmcnt(40)
	v_fmac_f64_e32 v[72:73], v[68:69], v[206:207]
	v_add_f64 v[118:119], v[70:71], v[72:73]
	ds_read_b128 v[70:73], v254 offset:1184
	ds_read_b128 v[74:77], v254 offset:1200
	;; [unrolled: 1-line block ×5, first 2 shown]
	s_waitcnt lgkmcnt(4)
	v_mul_f64 v[84:85], v[70:71], v[170:171]
	v_fmac_f64_e32 v[84:85], v[72:73], v[174:175]
	v_add_f64 v[82:83], v[118:119], v[84:85]
	s_waitcnt vmcnt(34) lgkmcnt(3)
	v_mul_f64 v[84:85], v[74:75], v[208:209]
	s_waitcnt vmcnt(32)
	v_fmac_f64_e32 v[84:85], v[76:77], v[210:211]
	v_add_f64 v[82:83], v[82:83], v[84:85]
	v_fma_f64 v[118:119], v[86:87], v[250:251], -v[88:89]
	ds_read_b128 v[86:89], v254 offset:1248
	s_waitcnt lgkmcnt(3)
	v_mul_f64 v[84:85], v[78:79], v[178:179]
	v_fmac_f64_e32 v[84:85], v[80:81], v[182:183]
	v_add_f64 v[96:97], v[82:83], v[84:85]
	ds_read_b128 v[82:85], v254 offset:1232
	v_fma_f64 v[250:251], v[102:103], v[246:247], -v[104:105]
	ds_read_b128 v[110:113], v254 offset:1344
	v_add_f64 v[118:119], v[196:197], v[118:119]
	v_add_f64 v[118:119], v[118:119], v[200:201]
	s_waitcnt vmcnt(26) lgkmcnt(1)
	v_mul_f64 v[94:95], v[82:83], v[212:213]
	s_waitcnt vmcnt(24)
	v_fmac_f64_e32 v[94:95], v[84:85], v[214:215]
	v_add_f64 v[94:95], v[96:97], v[94:95]
	v_mul_f64 v[96:97], v[86:87], v[186:187]
	v_fmac_f64_e32 v[96:97], v[88:89], v[190:191]
	v_add_f64 v[106:107], v[94:95], v[96:97]
	ds_read_b128 v[94:97], v254 offset:1280
	v_mul_f64 v[4:5], v[4:5], v[120:121]
	v_fma_f64 v[2:3], v[2:3], v[126:127], -v[4:5]
	v_mul_f64 v[4:5], v[8:9], v[122:123]
	v_fma_f64 v[4:5], v[6:7], v[124:125], -v[4:5]
	ds_read_b128 v[102:105], v254 offset:1328
	s_waitcnt vmcnt(21)
	v_mul_f64 v[108:109], v[90:91], v[218:219]
	s_waitcnt vmcnt(19)
	v_fmac_f64_e32 v[108:109], v[92:93], v[224:225]
	v_add_f64 v[106:107], v[106:107], v[108:109]
	s_waitcnt vmcnt(18) lgkmcnt(1)
	v_mul_f64 v[108:109], v[94:95], v[216:217]
	s_waitcnt vmcnt(16)
	v_fmac_f64_e32 v[108:109], v[96:97], v[222:223]
	v_add_f64 v[114:115], v[106:107], v[108:109]
	ds_read_b128 v[106:109], v254 offset:1312
	buffer_load_dword v243, off, s[0:3], 0 offset:700
	buffer_load_dword v242, off, s[0:3], 0 offset:696
	;; [unrolled: 1-line block ×4, first 2 shown]
	s_waitcnt vmcnt(18)
	v_mul_f64 v[116:117], v[98:99], v[220:221]
	s_waitcnt vmcnt(16)
	v_fmac_f64_e32 v[116:117], v[100:101], v[226:227]
	v_add_f64 v[114:115], v[114:115], v[116:117]
	s_waitcnt vmcnt(14) lgkmcnt(0)
	v_mul_f64 v[116:117], v[106:107], v[230:231]
	s_waitcnt vmcnt(12)
	v_fmac_f64_e32 v[116:117], v[108:109], v[232:233]
	v_add_f64 v[114:115], v[114:115], v[116:117]
	s_waitcnt vmcnt(9)
	v_mul_f64 v[116:117], v[102:103], v[236:237]
	s_waitcnt vmcnt(7)
	v_fmac_f64_e32 v[116:117], v[104:105], v[238:239]
	v_add_f64 v[114:115], v[114:115], v[116:117]
	s_waitcnt vmcnt(5)
	v_mul_f64 v[116:117], v[110:111], v[228:229]
	s_waitcnt vmcnt(4)
	v_fmac_f64_e32 v[116:117], v[112:113], v[234:235]
	v_add_f64 v[240:241], v[114:115], v[116:117]
	ds_read_b128 v[114:117], v254 offset:1360
	v_add_f64 v[254:255], v[118:119], v[202:203]
	v_add_f64 v[118:119], v[254:255], v[250:251]
	;; [unrolled: 1-line block ×5, first 2 shown]
	v_mul_f64 v[4:5], v[12:13], v[132:133]
	v_fma_f64 v[4:5], v[10:11], v[134:135], -v[4:5]
	v_add_f64 v[2:3], v[2:3], v[4:5]
	v_mul_f64 v[4:5], v[16:17], v[128:129]
	v_fma_f64 v[4:5], v[14:15], v[130:131], -v[4:5]
	v_add_f64 v[2:3], v[2:3], v[4:5]
	;; [unrolled: 3-line block ×19, first 2 shown]
	v_mul_f64 v[4:5], v[88:89], v[186:187]
	v_fma_f64 v[4:5], v[86:87], v[190:191], -v[4:5]
	s_waitcnt vmcnt(2) lgkmcnt(0)
	v_mul_f64 v[246:247], v[114:115], v[242:243]
	v_add_f64 v[2:3], v[2:3], v[4:5]
	s_waitcnt vmcnt(0)
	v_fmac_f64_e32 v[246:247], v[116:117], v[244:245]
	v_add_f64 v[240:241], v[240:241], v[246:247]
	buffer_load_dword v248, off, s[0:3], 0 offset:112
	buffer_load_dword v249, off, s[0:3], 0 offset:116
	;; [unrolled: 1-line block ×4, first 2 shown]
	v_mul_f64 v[4:5], v[92:93], v[218:219]
	v_fma_f64 v[4:5], v[90:91], v[224:225], -v[4:5]
	v_add_f64 v[2:3], v[2:3], v[4:5]
	v_mul_f64 v[4:5], v[96:97], v[216:217]
	v_fma_f64 v[4:5], v[94:95], v[222:223], -v[4:5]
	v_add_f64 v[2:3], v[2:3], v[4:5]
	;; [unrolled: 3-line block ×7, first 2 shown]
	v_accvgpr_read_b32 v255, a128
	v_cmp_lt_u32_e32 vcc, 5, v255
	s_waitcnt vmcnt(2)
	v_add_f64 v[2:3], v[248:249], -v[2:3]
	s_waitcnt vmcnt(0)
	v_add_f64 v[4:5], v[246:247], -v[240:241]
	buffer_store_dword v3, off, s[0:3], 0 offset:116
	buffer_store_dword v2, off, s[0:3], 0 offset:112
	buffer_store_dword v5, off, s[0:3], 0 offset:124
	buffer_store_dword v4, off, s[0:3], 0 offset:120
	s_and_saveexec_b64 s[4:5], vcc
	s_cbranch_execz .LBB42_261
; %bb.260:
	v_accvgpr_read_b32 v0, a123
	buffer_load_dword v2, v0, s[0:3], 0 offen
	buffer_load_dword v3, v0, s[0:3], 0 offen offset:4
	buffer_load_dword v4, v0, s[0:3], 0 offen offset:8
	;; [unrolled: 1-line block ×3, first 2 shown]
	v_mov_b32_e32 v0, 0
	v_accvgpr_read_b32 v1, a129
	buffer_store_dword v0, off, s[0:3], 0 offset:96
	buffer_store_dword v0, off, s[0:3], 0 offset:100
	;; [unrolled: 1-line block ×4, first 2 shown]
	s_waitcnt vmcnt(4)
	ds_write_b128 v1, v[2:5]
.LBB42_261:
	s_or_b64 exec, exec, s[4:5]
	s_waitcnt lgkmcnt(0)
	; wave barrier
	s_waitcnt lgkmcnt(0)
	buffer_load_dword v66, off, s[0:3], 0 offset:112
	buffer_load_dword v67, off, s[0:3], 0 offset:116
	;; [unrolled: 1-line block ×55, first 2 shown]
	v_mov_b32_e32 v254, 0
	ds_read_b128 v[74:77], v254 offset:784
	ds_read_b128 v[86:89], v254 offset:800
	;; [unrolled: 1-line block ×9, first 2 shown]
	buffer_load_dword v138, off, s[0:3], 0 offset:336
	buffer_load_dword v157, off, s[0:3], 0 offset:332
	;; [unrolled: 1-line block ×61, first 2 shown]
	v_cmp_lt_u32_e32 vcc, 4, v255
	s_waitcnt vmcnt(62) lgkmcnt(8)
	v_mul_f64 v[6:7], v[74:75], v[68:69]
	v_fmac_f64_e32 v[6:7], v[76:77], v[66:67]
	v_add_f64 v[6:7], v[6:7], 0
	v_mul_f64 v[68:69], v[76:77], v[68:69]
	s_waitcnt lgkmcnt(7)
	v_mul_f64 v[8:9], v[86:87], v[72:73]
	v_fmac_f64_e32 v[8:9], v[88:89], v[70:71]
	s_waitcnt lgkmcnt(6)
	v_mul_f64 v[10:11], v[98:99], v[78:79]
	v_add_f64 v[6:7], v[6:7], v[8:9]
	s_waitcnt lgkmcnt(4)
	v_mul_f64 v[14:15], v[114:115], v[90:91]
	v_fma_f64 v[196:197], v[74:75], v[66:67], -v[68:69]
	v_fmac_f64_e32 v[14:15], v[116:117], v[92:93]
	v_mul_f64 v[72:73], v[88:89], v[72:73]
	v_mul_f64 v[12:13], v[110:111], v[82:83]
	;; [unrolled: 1-line block ×3, first 2 shown]
	s_waitcnt lgkmcnt(2)
	v_mul_f64 v[18:19], v[246:247], v[102:103]
	v_mul_f64 v[82:83], v[112:113], v[82:83]
	;; [unrolled: 1-line block ×4, first 2 shown]
	v_fma_f64 v[202:203], v[114:115], v[92:93], -v[90:91]
	s_waitcnt lgkmcnt(1)
	v_mul_f64 v[20:21], v[250:251], v[106:107]
	v_fmac_f64_e32 v[20:21], v[252:253], v[108:109]
	v_fmac_f64_e32 v[10:11], v[100:101], v[80:81]
	v_add_f64 v[6:7], v[6:7], v[10:11]
	v_fmac_f64_e32 v[12:13], v[112:113], v[84:85]
	v_add_f64 v[6:7], v[6:7], v[12:13]
	;; [unrolled: 2-line block ×4, first 2 shown]
	v_add_f64 v[6:7], v[6:7], v[18:19]
	v_add_f64 v[10:11], v[6:7], v[20:21]
	ds_read_b128 v[6:9], v254 offset:928
	s_waitcnt lgkmcnt(1)
	v_mul_f64 v[12:13], v[2:3], v[120:121]
	v_fmac_f64_e32 v[12:13], v[4:5], v[122:123]
	v_add_f64 v[14:15], v[10:11], v[12:13]
	ds_read_b128 v[10:13], v254 offset:944
	s_waitcnt lgkmcnt(1)
	v_mul_f64 v[16:17], v[6:7], v[128:129]
	v_fmac_f64_e32 v[16:17], v[8:9], v[130:131]
	;; [unrolled: 5-line block ×5, first 2 shown]
	v_add_f64 v[30:31], v[26:27], v[28:29]
	ds_read_b128 v[26:29], v254 offset:1008
	s_waitcnt vmcnt(58) lgkmcnt(1)
	v_mul_f64 v[32:33], v[22:23], v[156:157]
	s_waitcnt vmcnt(56)
	v_fmac_f64_e32 v[32:33], v[24:25], v[160:161]
	v_add_f64 v[34:35], v[30:31], v[32:33]
	ds_read_b128 v[30:33], v254 offset:1024
	s_waitcnt lgkmcnt(1)
	v_mul_f64 v[36:37], v[26:27], v[136:137]
	v_fmac_f64_e32 v[36:37], v[28:29], v[138:139]
	v_add_f64 v[38:39], v[34:35], v[36:37]
	ds_read_b128 v[34:37], v254 offset:1040
	s_waitcnt vmcnt(50) lgkmcnt(1)
	v_mul_f64 v[40:41], v[30:31], v[164:165]
	s_waitcnt vmcnt(48)
	v_fmac_f64_e32 v[40:41], v[32:33], v[168:169]
	v_add_f64 v[42:43], v[38:39], v[40:41]
	ds_read_b128 v[38:41], v254 offset:1056
	s_waitcnt lgkmcnt(1)
	v_mul_f64 v[44:45], v[34:35], v[144:145]
	v_fmac_f64_e32 v[44:45], v[36:37], v[146:147]
	v_add_f64 v[46:47], v[42:43], v[44:45]
	ds_read_b128 v[42:45], v254 offset:1072
	s_waitcnt vmcnt(42) lgkmcnt(1)
	v_mul_f64 v[48:49], v[38:39], v[172:173]
	s_waitcnt vmcnt(40)
	v_fmac_f64_e32 v[48:49], v[40:41], v[176:177]
	v_add_f64 v[50:51], v[46:47], v[48:49]
	ds_read_b128 v[46:49], v254 offset:1088
	buffer_load_dword v215, off, s[0:3], 0 offset:588
	buffer_load_dword v214, off, s[0:3], 0 offset:584
	;; [unrolled: 1-line block ×4, first 2 shown]
	s_waitcnt lgkmcnt(1)
	v_mul_f64 v[52:53], v[42:43], v[148:149]
	v_fmac_f64_e32 v[52:53], v[44:45], v[150:151]
	v_add_f64 v[54:55], v[50:51], v[52:53]
	ds_read_b128 v[50:53], v254 offset:1104
	buffer_load_dword v219, off, s[0:3], 0 offset:604
	buffer_load_dword v218, off, s[0:3], 0 offset:600
	;; [unrolled: 1-line block ×8, first 2 shown]
	s_waitcnt vmcnt(46) lgkmcnt(1)
	v_mul_f64 v[56:57], v[46:47], v[180:181]
	s_waitcnt vmcnt(44)
	v_fmac_f64_e32 v[56:57], v[48:49], v[184:185]
	v_add_f64 v[58:59], v[54:55], v[56:57]
	ds_read_b128 v[54:57], v254 offset:1120
	buffer_load_dword v229, off, s[0:3], 0 offset:636
	buffer_load_dword v228, off, s[0:3], 0 offset:632
	;; [unrolled: 1-line block ×12, first 2 shown]
	s_waitcnt lgkmcnt(1)
	v_mul_f64 v[60:61], v[50:51], v[152:153]
	v_fmac_f64_e32 v[60:61], v[52:53], v[154:155]
	v_add_f64 v[62:63], v[58:59], v[60:61]
	ds_read_b128 v[58:61], v254 offset:1136
	s_waitcnt vmcnt(50) lgkmcnt(1)
	v_mul_f64 v[64:65], v[54:55], v[188:189]
	s_waitcnt vmcnt(48)
	v_fmac_f64_e32 v[64:65], v[56:57], v[190:191]
	v_add_f64 v[62:63], v[62:63], v[64:65]
	buffer_load_dword v239, off, s[0:3], 0 offset:684
	buffer_load_dword v238, off, s[0:3], 0 offset:680
	;; [unrolled: 1-line block ×4, first 2 shown]
	s_waitcnt lgkmcnt(0)
	v_mul_f64 v[64:65], v[58:59], v[158:159]
	v_fmac_f64_e32 v[64:65], v[60:61], v[162:163]
	v_add_f64 v[118:119], v[62:63], v[64:65]
	ds_read_b128 v[62:65], v254 offset:1152
	ds_read_b128 v[66:69], v254 offset:1168
	v_fma_f64 v[198:199], v[98:99], v[80:81], -v[78:79]
	ds_read_b128 v[78:81], v254 offset:1216
	v_fma_f64 v[200:201], v[110:111], v[84:85], -v[82:83]
	ds_read_b128 v[82:85], v254 offset:1232
	s_waitcnt vmcnt(46) lgkmcnt(3)
	v_mul_f64 v[74:75], v[62:63], v[192:193]
	s_waitcnt vmcnt(44)
	v_fmac_f64_e32 v[74:75], v[64:65], v[204:205]
	v_add_f64 v[74:75], v[118:119], v[74:75]
	v_fma_f64 v[118:119], v[86:87], v[70:71], -v[72:73]
	ds_read_b128 v[70:73], v254 offset:1184
	s_waitcnt lgkmcnt(3)
	v_mul_f64 v[76:77], v[66:67], v[166:167]
	v_fmac_f64_e32 v[76:77], v[68:69], v[170:171]
	v_add_f64 v[86:87], v[74:75], v[76:77]
	ds_read_b128 v[74:77], v254 offset:1200
	s_waitcnt vmcnt(38) lgkmcnt(1)
	v_mul_f64 v[88:89], v[70:71], v[206:207]
	s_waitcnt vmcnt(36)
	v_fmac_f64_e32 v[88:89], v[72:73], v[208:209]
	v_add_f64 v[86:87], v[86:87], v[88:89]
	ds_read_b128 v[90:93], v254 offset:1264
	s_waitcnt lgkmcnt(1)
	v_mul_f64 v[88:89], v[74:75], v[174:175]
	v_fmac_f64_e32 v[88:89], v[76:77], v[178:179]
	v_add_f64 v[86:87], v[86:87], v[88:89]
	s_waitcnt vmcnt(30)
	v_mul_f64 v[88:89], v[78:79], v[210:211]
	s_waitcnt vmcnt(28)
	v_fmac_f64_e32 v[88:89], v[80:81], v[212:213]
	v_add_f64 v[86:87], v[86:87], v[88:89]
	v_mul_f64 v[88:89], v[82:83], v[182:183]
	v_fmac_f64_e32 v[88:89], v[84:85], v[186:187]
	v_add_f64 v[98:99], v[86:87], v[88:89]
	ds_read_b128 v[86:89], v254 offset:1248
	v_mul_f64 v[94:95], v[244:245], v[94:95]
	v_fma_f64 v[0:1], v[242:243], v[96:97], -v[94:95]
	ds_read_b128 v[94:97], v254 offset:1280
	v_mul_f64 v[102:103], v[248:249], v[102:103]
	v_fma_f64 v[246:247], v[246:247], v[104:105], -v[102:103]
	;; [unrolled: 3-line block ×3, first 2 shown]
	v_add_f64 v[196:197], v[196:197], 0
	v_add_f64 v[118:119], v[196:197], v[118:119]
	;; [unrolled: 1-line block ×7, first 2 shown]
	v_mul_f64 v[4:5], v[4:5], v[120:121]
	v_add_f64 v[0:1], v[252:253], v[250:251]
	v_fma_f64 v[2:3], v[2:3], v[122:123], -v[4:5]
	v_add_f64 v[0:1], v[0:1], v[2:3]
	v_mul_f64 v[2:3], v[8:9], v[128:129]
	v_fma_f64 v[2:3], v[6:7], v[130:131], -v[2:3]
	v_add_f64 v[0:1], v[0:1], v[2:3]
	ds_read_b128 v[106:109], v254 offset:1328
	v_mul_f64 v[2:3], v[12:13], v[124:125]
	v_fma_f64 v[2:3], v[10:11], v[126:127], -v[2:3]
	v_add_f64 v[0:1], v[0:1], v[2:3]
	s_waitcnt vmcnt(26) lgkmcnt(3)
	v_mul_f64 v[100:101], v[86:87], v[214:215]
	v_mul_f64 v[2:3], v[16:17], v[140:141]
	s_waitcnt vmcnt(24)
	v_fmac_f64_e32 v[100:101], v[88:89], v[216:217]
	v_add_f64 v[98:99], v[98:99], v[100:101]
	s_waitcnt vmcnt(22)
	v_mul_f64 v[100:101], v[90:91], v[218:219]
	s_waitcnt vmcnt(20)
	v_fmac_f64_e32 v[100:101], v[92:93], v[222:223]
	v_add_f64 v[98:99], v[98:99], v[100:101]
	s_waitcnt vmcnt(18) lgkmcnt(2)
	v_mul_f64 v[100:101], v[94:95], v[220:221]
	s_waitcnt vmcnt(16)
	v_fmac_f64_e32 v[100:101], v[96:97], v[224:225]
	v_add_f64 v[110:111], v[98:99], v[100:101]
	ds_read_b128 v[98:101], v254 offset:1296
	v_fma_f64 v[2:3], v[14:15], v[142:143], -v[2:3]
	v_add_f64 v[0:1], v[0:1], v[2:3]
	v_mul_f64 v[2:3], v[20:21], v[132:133]
	v_fma_f64 v[2:3], v[18:19], v[134:135], -v[2:3]
	s_waitcnt vmcnt(14) lgkmcnt(0)
	v_mul_f64 v[112:113], v[98:99], v[228:229]
	s_waitcnt vmcnt(12)
	v_fmac_f64_e32 v[112:113], v[100:101], v[230:231]
	v_add_f64 v[110:111], v[110:111], v[112:113]
	s_waitcnt vmcnt(9)
	v_mul_f64 v[112:113], v[102:103], v[234:235]
	s_waitcnt vmcnt(7)
	v_fmac_f64_e32 v[112:113], v[104:105], v[236:237]
	v_add_f64 v[110:111], v[110:111], v[112:113]
	s_waitcnt vmcnt(5)
	v_mul_f64 v[112:113], v[106:107], v[226:227]
	s_waitcnt vmcnt(4)
	v_fmac_f64_e32 v[112:113], v[108:109], v[232:233]
	v_add_f64 v[114:115], v[110:111], v[112:113]
	ds_read_b128 v[110:113], v254 offset:1344
	buffer_load_dword v242, off, s[0:3], 0 offset:696
	buffer_load_dword v243, off, s[0:3], 0 offset:700
	;; [unrolled: 1-line block ×4, first 2 shown]
	v_add_f64 v[0:1], v[0:1], v[2:3]
	v_mul_f64 v[2:3], v[24:25], v[156:157]
	v_fma_f64 v[2:3], v[22:23], v[160:161], -v[2:3]
	s_waitcnt vmcnt(6) lgkmcnt(0)
	v_mul_f64 v[116:117], v[110:111], v[238:239]
	s_waitcnt vmcnt(4)
	v_fmac_f64_e32 v[116:117], v[112:113], v[240:241]
	v_add_f64 v[194:195], v[114:115], v[116:117]
	ds_read_b128 v[114:117], v254 offset:1360
	v_add_f64 v[0:1], v[0:1], v[2:3]
	v_mul_f64 v[2:3], v[28:29], v[136:137]
	v_fma_f64 v[2:3], v[26:27], v[138:139], -v[2:3]
	v_add_f64 v[0:1], v[0:1], v[2:3]
	v_mul_f64 v[2:3], v[32:33], v[164:165]
	v_fma_f64 v[2:3], v[30:31], v[168:169], -v[2:3]
	v_add_f64 v[0:1], v[0:1], v[2:3]
	v_mul_f64 v[2:3], v[36:37], v[144:145]
	v_fma_f64 v[2:3], v[34:35], v[146:147], -v[2:3]
	v_add_f64 v[0:1], v[0:1], v[2:3]
	v_mul_f64 v[2:3], v[40:41], v[172:173]
	v_fma_f64 v[2:3], v[38:39], v[176:177], -v[2:3]
	v_add_f64 v[0:1], v[0:1], v[2:3]
	v_mul_f64 v[2:3], v[44:45], v[148:149]
	v_fma_f64 v[2:3], v[42:43], v[150:151], -v[2:3]
	v_add_f64 v[0:1], v[0:1], v[2:3]
	v_mul_f64 v[2:3], v[48:49], v[180:181]
	v_fma_f64 v[2:3], v[46:47], v[184:185], -v[2:3]
	v_add_f64 v[0:1], v[0:1], v[2:3]
	v_mul_f64 v[2:3], v[52:53], v[152:153]
	v_fma_f64 v[2:3], v[50:51], v[154:155], -v[2:3]
	v_add_f64 v[0:1], v[0:1], v[2:3]
	v_mul_f64 v[2:3], v[56:57], v[188:189]
	v_fma_f64 v[2:3], v[54:55], v[190:191], -v[2:3]
	v_add_f64 v[0:1], v[0:1], v[2:3]
	v_mul_f64 v[2:3], v[60:61], v[158:159]
	v_fma_f64 v[2:3], v[58:59], v[162:163], -v[2:3]
	v_add_f64 v[0:1], v[0:1], v[2:3]
	v_mul_f64 v[2:3], v[64:65], v[192:193]
	v_fma_f64 v[2:3], v[62:63], v[204:205], -v[2:3]
	v_add_f64 v[0:1], v[0:1], v[2:3]
	v_mul_f64 v[2:3], v[68:69], v[166:167]
	v_fma_f64 v[2:3], v[66:67], v[170:171], -v[2:3]
	v_add_f64 v[0:1], v[0:1], v[2:3]
	v_mul_f64 v[2:3], v[72:73], v[206:207]
	v_fma_f64 v[2:3], v[70:71], v[208:209], -v[2:3]
	v_add_f64 v[0:1], v[0:1], v[2:3]
	v_mul_f64 v[2:3], v[76:77], v[174:175]
	v_fma_f64 v[2:3], v[74:75], v[178:179], -v[2:3]
	v_add_f64 v[0:1], v[0:1], v[2:3]
	v_mul_f64 v[2:3], v[80:81], v[210:211]
	v_fma_f64 v[2:3], v[78:79], v[212:213], -v[2:3]
	v_add_f64 v[0:1], v[0:1], v[2:3]
	v_mul_f64 v[2:3], v[84:85], v[182:183]
	v_fma_f64 v[2:3], v[82:83], v[186:187], -v[2:3]
	v_add_f64 v[0:1], v[0:1], v[2:3]
	v_mul_f64 v[2:3], v[88:89], v[214:215]
	v_fma_f64 v[2:3], v[86:87], v[216:217], -v[2:3]
	v_add_f64 v[0:1], v[0:1], v[2:3]
	v_mul_f64 v[2:3], v[92:93], v[218:219]
	v_fma_f64 v[2:3], v[90:91], v[222:223], -v[2:3]
	v_add_f64 v[0:1], v[0:1], v[2:3]
	v_mul_f64 v[2:3], v[96:97], v[220:221]
	v_fma_f64 v[2:3], v[94:95], v[224:225], -v[2:3]
	v_add_f64 v[0:1], v[0:1], v[2:3]
	v_mul_f64 v[2:3], v[100:101], v[228:229]
	v_fma_f64 v[2:3], v[98:99], v[230:231], -v[2:3]
	v_add_f64 v[0:1], v[0:1], v[2:3]
	v_mul_f64 v[2:3], v[104:105], v[234:235]
	v_fma_f64 v[2:3], v[102:103], v[236:237], -v[2:3]
	v_add_f64 v[0:1], v[0:1], v[2:3]
	v_mul_f64 v[2:3], v[108:109], v[226:227]
	v_fma_f64 v[2:3], v[106:107], v[232:233], -v[2:3]
	v_add_f64 v[0:1], v[0:1], v[2:3]
	v_mul_f64 v[2:3], v[112:113], v[238:239]
	v_fma_f64 v[2:3], v[110:111], v[240:241], -v[2:3]
	v_add_f64 v[0:1], v[0:1], v[2:3]
	s_waitcnt vmcnt(2) lgkmcnt(0)
	v_mul_f64 v[248:249], v[114:115], v[242:243]
	v_mul_f64 v[2:3], v[116:117], v[242:243]
	s_waitcnt vmcnt(0)
	v_fmac_f64_e32 v[248:249], v[116:117], v[244:245]
	v_add_f64 v[194:195], v[194:195], v[248:249]
	buffer_load_dword v248, off, s[0:3], 0 offset:96
	buffer_load_dword v249, off, s[0:3], 0 offset:100
	;; [unrolled: 1-line block ×4, first 2 shown]
	v_fma_f64 v[2:3], v[114:115], v[244:245], -v[2:3]
	v_add_f64 v[0:1], v[0:1], v[2:3]
	s_waitcnt vmcnt(2)
	v_add_f64 v[0:1], v[248:249], -v[0:1]
	s_waitcnt vmcnt(0)
	v_add_f64 v[2:3], v[246:247], -v[194:195]
	buffer_store_dword v1, off, s[0:3], 0 offset:100
	buffer_store_dword v0, off, s[0:3], 0 offset:96
	;; [unrolled: 1-line block ×4, first 2 shown]
	s_and_saveexec_b64 s[4:5], vcc
	s_cbranch_execz .LBB42_263
; %bb.262:
	v_accvgpr_read_b32 v0, a124
	buffer_load_dword v2, v0, s[0:3], 0 offen
	buffer_load_dword v3, v0, s[0:3], 0 offen offset:4
	buffer_load_dword v4, v0, s[0:3], 0 offen offset:8
	;; [unrolled: 1-line block ×3, first 2 shown]
	v_accvgpr_read_b32 v0, a129
	buffer_store_dword v254, off, s[0:3], 0 offset:80
	buffer_store_dword v254, off, s[0:3], 0 offset:84
	;; [unrolled: 1-line block ×4, first 2 shown]
	s_waitcnt vmcnt(4)
	ds_write_b128 v0, v[2:5]
.LBB42_263:
	s_or_b64 exec, exec, s[4:5]
	s_waitcnt lgkmcnt(0)
	; wave barrier
	s_waitcnt lgkmcnt(0)
	buffer_load_dword v66, off, s[0:3], 0 offset:96
	buffer_load_dword v67, off, s[0:3], 0 offset:100
	buffer_load_dword v68, off, s[0:3], 0 offset:104
	buffer_load_dword v69, off, s[0:3], 0 offset:108
	buffer_load_dword v62, off, s[0:3], 0 offset:112
	buffer_load_dword v63, off, s[0:3], 0 offset:116
	buffer_load_dword v64, off, s[0:3], 0 offset:120
	buffer_load_dword v65, off, s[0:3], 0 offset:124
	buffer_load_dword v70, off, s[0:3], 0 offset:136
	buffer_load_dword v71, off, s[0:3], 0 offset:140
	buffer_load_dword v83, off, s[0:3], 0 offset:172
	buffer_load_dword v82, off, s[0:3], 0 offset:168
	buffer_load_dword v85, off, s[0:3], 0 offset:164
	buffer_load_dword v84, off, s[0:3], 0 offset:160
	buffer_load_dword v75, off, s[0:3], 0 offset:156
	buffer_load_dword v74, off, s[0:3], 0 offset:152
	buffer_load_dword v95, off, s[0:3], 0 offset:204
	buffer_load_dword v94, off, s[0:3], 0 offset:200
	buffer_load_dword v97, off, s[0:3], 0 offset:196
	buffer_load_dword v96, off, s[0:3], 0 offset:192
	buffer_load_dword v87, off, s[0:3], 0 offset:188
	buffer_load_dword v86, off, s[0:3], 0 offset:184
	buffer_load_dword v107, off, s[0:3], 0 offset:236
	buffer_load_dword v106, off, s[0:3], 0 offset:232
	buffer_load_dword v108, off, s[0:3], 0 offset:224
	buffer_load_dword v99, off, s[0:3], 0 offset:220
	buffer_load_dword v98, off, s[0:3], 0 offset:216
	buffer_load_dword v5, off, s[0:3], 0 offset:252
	buffer_load_dword v4, off, s[0:3], 0 offset:248
	buffer_load_dword v72, off, s[0:3], 0 offset:128
	buffer_load_dword v73, off, s[0:3], 0 offset:132
	buffer_load_dword v77, off, s[0:3], 0 offset:148
	buffer_load_dword v76, off, s[0:3], 0 offset:144
	buffer_load_dword v89, off, s[0:3], 0 offset:180
	buffer_load_dword v88, off, s[0:3], 0 offset:176
	buffer_load_dword v101, off, s[0:3], 0 offset:212
	buffer_load_dword v100, off, s[0:3], 0 offset:208
	buffer_load_dword v109, off, s[0:3], 0 offset:228
	buffer_load_dword v0, off, s[0:3], 0 offset:264
	buffer_load_dword v124, off, s[0:3], 0 offset:256
	buffer_load_dword v125, off, s[0:3], 0 offset:260
	buffer_load_dword v1, off, s[0:3], 0 offset:268
	ds_read_b128 v[78:81], v254 offset:768
	ds_read_b128 v[90:93], v254 offset:784
	;; [unrolled: 1-line block ×10, first 2 shown]
	buffer_load_dword v131, off, s[0:3], 0 offset:244
	buffer_load_dword v130, off, s[0:3], 0 offset:240
	ds_read_b128 v[6:9], v254 offset:928
	buffer_load_dword v127, off, s[0:3], 0 offset:300
	buffer_load_dword v126, off, s[0:3], 0 offset:296
	;; [unrolled: 1-line block ×80, first 2 shown]
	s_waitcnt vmcnt(62) lgkmcnt(9)
	v_mul_f64 v[10:11], v[90:91], v[64:65]
	v_fmac_f64_e32 v[10:11], v[92:93], v[62:63]
	s_waitcnt lgkmcnt(8)
	v_mul_f64 v[12:13], v[102:103], v[70:71]
	v_mul_f64 v[64:65], v[92:93], v[64:65]
	s_waitcnt lgkmcnt(6)
	v_mul_f64 v[16:17], v[114:115], v[82:83]
	v_fma_f64 v[198:199], v[90:91], v[62:63], -v[64:65]
	v_fmac_f64_e32 v[16:17], v[116:117], v[84:85]
	v_mul_f64 v[70:71], v[104:105], v[70:71]
	v_mul_f64 v[14:15], v[110:111], v[74:75]
	;; [unrolled: 1-line block ×3, first 2 shown]
	s_waitcnt lgkmcnt(4)
	v_mul_f64 v[20:21], v[246:247], v[94:95]
	v_mul_f64 v[82:83], v[116:117], v[82:83]
	v_fmac_f64_e32 v[20:21], v[248:249], v[96:97]
	v_mul_f64 v[94:95], v[248:249], v[94:95]
	v_mul_f64 v[18:19], v[242:243], v[86:87]
	v_mul_f64 v[86:87], v[244:245], v[86:87]
	s_waitcnt lgkmcnt(2)
	v_mul_f64 v[24:25], v[194:195], v[106:107]
	v_fma_f64 v[246:247], v[246:247], v[96:97], -v[94:95]
	v_mul_f64 v[106:107], v[196:197], v[106:107]
	v_mul_f64 v[22:23], v[250:251], v[98:99]
	v_mul_f64 v[98:99], v[252:253], v[98:99]
	s_waitcnt lgkmcnt(1)
	v_mul_f64 v[26:27], v[120:121], v[4:5]
	v_mul_f64 v[4:5], v[122:123], v[4:5]
	v_fmac_f64_e32 v[12:13], v[104:105], v[72:73]
	v_fma_f64 v[200:201], v[102:103], v[72:73], -v[70:71]
	v_fmac_f64_e32 v[14:15], v[112:113], v[76:77]
	v_fma_f64 v[202:203], v[110:111], v[76:77], -v[74:75]
	;; [unrolled: 2-line block ×3, first 2 shown]
	v_fmac_f64_e32 v[22:23], v[252:253], v[100:101]
	v_fmac_f64_e32 v[24:25], v[196:197], v[108:109]
	v_fma_f64 v[250:251], v[250:251], v[100:101], -v[98:99]
	v_fma_f64 v[252:253], v[194:195], v[108:109], -v[106:107]
	v_pk_mov_b32 v[2:3], v[0:1], v[0:1] op_sel:[0,1]
	v_mul_f64 v[0:1], v[78:79], v[68:69]
	v_fmac_f64_e32 v[0:1], v[80:81], v[66:67]
	v_add_f64 v[0:1], v[0:1], 0
	v_add_f64 v[0:1], v[0:1], v[10:11]
	v_add_f64 v[0:1], v[0:1], v[12:13]
	v_add_f64 v[0:1], v[0:1], v[14:15]
	v_add_f64 v[0:1], v[0:1], v[16:17]
	v_add_f64 v[0:1], v[0:1], v[18:19]
	v_add_f64 v[0:1], v[0:1], v[20:21]
	v_add_f64 v[0:1], v[0:1], v[22:23]
	v_add_f64 v[0:1], v[0:1], v[24:25]
	v_fmac_f64_e32 v[26:27], v[122:123], v[130:131]
	ds_read_b128 v[10:13], v254 offset:944
	s_waitcnt lgkmcnt(1)
	v_mul_f64 v[14:15], v[6:7], v[2:3]
	v_add_f64 v[0:1], v[0:1], v[26:27]
	v_fmac_f64_e32 v[14:15], v[8:9], v[124:125]
	v_add_f64 v[0:1], v[0:1], v[14:15]
	ds_read_b128 v[14:17], v254 offset:960
	s_waitcnt lgkmcnt(1)
	v_mul_f64 v[18:19], v[10:11], v[132:133]
	v_fmac_f64_e32 v[18:19], v[12:13], v[148:149]
	v_add_f64 v[0:1], v[0:1], v[18:19]
	ds_read_b128 v[18:21], v254 offset:976
	s_waitcnt lgkmcnt(1)
	v_mul_f64 v[22:23], v[14:15], v[126:127]
	v_fmac_f64_e32 v[22:23], v[16:17], v[128:129]
	v_add_f64 v[0:1], v[0:1], v[22:23]
	ds_read_b128 v[22:25], v254 offset:992
	s_waitcnt lgkmcnt(1)
	v_mul_f64 v[26:27], v[18:19], v[152:153]
	v_fmac_f64_e32 v[26:27], v[20:21], v[156:157]
	v_add_f64 v[0:1], v[0:1], v[26:27]
	ds_read_b128 v[26:29], v254 offset:1008
	s_waitcnt lgkmcnt(1)
	v_mul_f64 v[30:31], v[22:23], v[134:135]
	v_fmac_f64_e32 v[30:31], v[24:25], v[136:137]
	v_add_f64 v[0:1], v[0:1], v[30:31]
	ds_read_b128 v[30:33], v254 offset:1024
	s_waitcnt vmcnt(58) lgkmcnt(1)
	v_mul_f64 v[34:35], v[26:27], v[160:161]
	s_waitcnt vmcnt(56)
	v_fmac_f64_e32 v[34:35], v[28:29], v[164:165]
	v_add_f64 v[0:1], v[0:1], v[34:35]
	ds_read_b128 v[34:37], v254 offset:1040
	s_waitcnt lgkmcnt(1)
	v_mul_f64 v[38:39], v[30:31], v[138:139]
	v_fmac_f64_e32 v[38:39], v[32:33], v[140:141]
	v_add_f64 v[0:1], v[0:1], v[38:39]
	ds_read_b128 v[38:41], v254 offset:1056
	s_waitcnt vmcnt(50) lgkmcnt(1)
	v_mul_f64 v[42:43], v[34:35], v[168:169]
	s_waitcnt vmcnt(48)
	v_fmac_f64_e32 v[42:43], v[36:37], v[172:173]
	v_add_f64 v[0:1], v[0:1], v[42:43]
	ds_read_b128 v[42:45], v254 offset:1072
	s_waitcnt lgkmcnt(1)
	v_mul_f64 v[46:47], v[38:39], v[142:143]
	;; [unrolled: 11-line block ×3, first 2 shown]
	buffer_load_dword v193, off, s[0:3], 0 offset:604
	buffer_load_dword v192, off, s[0:3], 0 offset:600
	;; [unrolled: 1-line block ×4, first 2 shown]
	v_fmac_f64_e32 v[54:55], v[48:49], v[150:151]
	v_add_f64 v[0:1], v[0:1], v[54:55]
	ds_read_b128 v[54:57], v254 offset:1120
	buffer_load_dword v224, off, s[0:3], 0 offset:616
	buffer_load_dword v226, off, s[0:3], 0 offset:608
	;; [unrolled: 1-line block ×16, first 2 shown]
	s_waitcnt vmcnt(54) lgkmcnt(1)
	v_mul_f64 v[58:59], v[50:51], v[184:185]
	s_waitcnt vmcnt(52)
	v_fmac_f64_e32 v[58:59], v[52:53], v[188:189]
	v_add_f64 v[0:1], v[0:1], v[58:59]
	ds_read_b128 v[58:61], v254 offset:1136
	buffer_load_dword v238, off, s[0:3], 0 offset:680
	buffer_load_dword v240, off, s[0:3], 0 offset:672
	;; [unrolled: 1-line block ×4, first 2 shown]
	v_mul_f64 v[68:69], v[80:81], v[68:69]
	ds_read_b128 v[62:65], v254 offset:1152
	ds_read_b128 v[70:73], v254 offset:1184
	v_fma_f64 v[118:119], v[78:79], v[66:67], -v[68:69]
	s_waitcnt lgkmcnt(3)
	v_mul_f64 v[66:67], v[54:55], v[154:155]
	v_fmac_f64_e32 v[66:67], v[56:57], v[158:159]
	v_add_f64 v[0:1], v[0:1], v[66:67]
	s_waitcnt vmcnt(50) lgkmcnt(2)
	v_mul_f64 v[66:67], v[58:59], v[204:205]
	s_waitcnt vmcnt(48)
	v_fmac_f64_e32 v[66:67], v[60:61], v[206:207]
	v_add_f64 v[0:1], v[0:1], v[66:67]
	s_waitcnt lgkmcnt(1)
	v_mul_f64 v[66:67], v[62:63], v[162:163]
	v_fmac_f64_e32 v[66:67], v[64:65], v[166:167]
	v_add_f64 v[0:1], v[0:1], v[66:67]
	ds_read_b128 v[66:69], v254 offset:1168
	ds_read_b128 v[74:77], v254 offset:1200
	v_accvgpr_write_b32 a131, v3
	v_accvgpr_write_b32 a130, v2
	v_fma_f64 v[2:3], v[114:115], v[84:85], -v[82:83]
	s_waitcnt vmcnt(42) lgkmcnt(1)
	v_mul_f64 v[78:79], v[66:67], v[208:209]
	s_waitcnt vmcnt(40)
	v_fmac_f64_e32 v[78:79], v[68:69], v[210:211]
	v_add_f64 v[0:1], v[0:1], v[78:79]
	v_mul_f64 v[78:79], v[70:71], v[170:171]
	v_fmac_f64_e32 v[78:79], v[72:73], v[174:175]
	v_add_f64 v[0:1], v[0:1], v[78:79]
	ds_read_b128 v[78:81], v254 offset:1216
	ds_read_b128 v[82:85], v254 offset:1232
	s_waitcnt vmcnt(34) lgkmcnt(2)
	v_mul_f64 v[90:91], v[74:75], v[212:213]
	s_waitcnt vmcnt(32)
	v_fmac_f64_e32 v[90:91], v[76:77], v[214:215]
	ds_read_b128 v[86:89], v254 offset:1248
	ds_read_b128 v[94:97], v254 offset:1280
	v_add_f64 v[0:1], v[0:1], v[90:91]
	s_waitcnt lgkmcnt(3)
	v_mul_f64 v[90:91], v[78:79], v[178:179]
	v_fmac_f64_e32 v[90:91], v[80:81], v[182:183]
	v_add_f64 v[0:1], v[0:1], v[90:91]
	s_waitcnt vmcnt(26) lgkmcnt(2)
	v_mul_f64 v[90:91], v[82:83], v[216:217]
	s_waitcnt vmcnt(24)
	v_fmac_f64_e32 v[90:91], v[84:85], v[218:219]
	v_add_f64 v[0:1], v[0:1], v[90:91]
	s_waitcnt lgkmcnt(1)
	v_mul_f64 v[90:91], v[86:87], v[186:187]
	v_fmac_f64_e32 v[90:91], v[88:89], v[190:191]
	v_add_f64 v[0:1], v[0:1], v[90:91]
	ds_read_b128 v[90:93], v254 offset:1264
	ds_read_b128 v[98:101], v254 offset:1296
	v_add_f64 v[118:119], v[118:119], 0
	v_add_f64 v[118:119], v[118:119], v[198:199]
	;; [unrolled: 1-line block ×6, first 2 shown]
	v_fma_f64 v[4:5], v[120:121], v[130:131], -v[4:5]
	ds_read_b128 v[106:109], v254 offset:1328
	s_waitcnt vmcnt(13) lgkmcnt(1)
	v_mul_f64 v[110:111], v[98:99], v[228:229]
	v_mul_f64 v[102:103], v[90:91], v[192:193]
	s_waitcnt vmcnt(11)
	v_fmac_f64_e32 v[110:111], v[100:101], v[234:235]
	v_fmac_f64_e32 v[102:103], v[92:93], v[220:221]
	v_add_f64 v[0:1], v[0:1], v[102:103]
	v_mul_f64 v[102:103], v[94:95], v[224:225]
	v_fmac_f64_e32 v[102:103], v[96:97], v[226:227]
	v_add_f64 v[0:1], v[0:1], v[102:103]
	ds_read_b128 v[102:105], v254 offset:1312
	v_add_f64 v[0:1], v[0:1], v[110:111]
	s_waitcnt vmcnt(10) lgkmcnt(0)
	v_mul_f64 v[110:111], v[102:103], v[222:223]
	s_waitcnt vmcnt(8)
	v_fmac_f64_e32 v[110:111], v[104:105], v[232:233]
	v_add_f64 v[0:1], v[0:1], v[110:111]
	s_waitcnt vmcnt(6)
	v_mul_f64 v[110:111], v[106:107], v[230:231]
	s_waitcnt vmcnt(4)
	v_fmac_f64_e32 v[110:111], v[108:109], v[236:237]
	v_add_f64 v[0:1], v[0:1], v[110:111]
	ds_read_b128 v[110:113], v254 offset:1344
	s_waitcnt vmcnt(1) lgkmcnt(0)
	v_mul_f64 v[114:115], v[110:111], v[238:239]
	s_waitcnt vmcnt(0)
	v_fmac_f64_e32 v[114:115], v[112:113], v[240:241]
	v_add_f64 v[194:195], v[0:1], v[114:115]
	buffer_load_dword v1, off, s[0:3], 0 offset:700
	buffer_load_dword v0, off, s[0:3], 0 offset:696
	;; [unrolled: 1-line block ×4, first 2 shown]
	ds_read_b128 v[114:117], v254 offset:1360
	v_add_f64 v[254:255], v[2:3], v[246:247]
	buffer_load_dword v248, off, s[0:3], 0 offset:80
	buffer_load_dword v249, off, s[0:3], 0 offset:84
	;; [unrolled: 1-line block ×4, first 2 shown]
	v_add_f64 v[2:3], v[254:255], v[250:251]
	v_add_f64 v[2:3], v[2:3], v[252:253]
	;; [unrolled: 1-line block ×3, first 2 shown]
	v_accvgpr_read_b32 v4, a130
	v_accvgpr_read_b32 v5, a131
	v_mul_f64 v[4:5], v[8:9], v[4:5]
	v_fma_f64 v[4:5], v[6:7], v[124:125], -v[4:5]
	v_add_f64 v[2:3], v[2:3], v[4:5]
	v_mul_f64 v[4:5], v[12:13], v[132:133]
	v_fma_f64 v[4:5], v[10:11], v[148:149], -v[4:5]
	v_add_f64 v[2:3], v[2:3], v[4:5]
	;; [unrolled: 3-line block ×26, first 2 shown]
	v_mul_f64 v[4:5], v[112:113], v[238:239]
	s_waitcnt vmcnt(6) lgkmcnt(0)
	v_mul_f64 v[196:197], v[114:115], v[0:1]
	v_fma_f64 v[4:5], v[110:111], v[240:241], -v[4:5]
	v_mul_f64 v[0:1], v[116:117], v[0:1]
	v_add_f64 v[2:3], v[2:3], v[4:5]
	s_waitcnt vmcnt(4)
	v_fma_f64 v[0:1], v[114:115], v[244:245], -v[0:1]
	v_fmac_f64_e32 v[196:197], v[116:117], v[244:245]
	v_add_f64 v[0:1], v[2:3], v[0:1]
	v_add_f64 v[194:195], v[194:195], v[196:197]
	s_waitcnt vmcnt(2)
	v_add_f64 v[0:1], v[248:249], -v[0:1]
	s_waitcnt vmcnt(0)
	v_add_f64 v[2:3], v[246:247], -v[194:195]
	buffer_store_dword v1, off, s[0:3], 0 offset:84
	buffer_store_dword v0, off, s[0:3], 0 offset:80
	;; [unrolled: 1-line block ×4, first 2 shown]
	v_accvgpr_read_b32 v0, a128
	v_cmp_lt_u32_e32 vcc, 3, v0
	s_and_saveexec_b64 s[4:5], vcc
	s_cbranch_execz .LBB42_265
; %bb.264:
	v_accvgpr_read_b32 v0, a125
	buffer_load_dword v2, v0, s[0:3], 0 offen
	buffer_load_dword v3, v0, s[0:3], 0 offen offset:4
	buffer_load_dword v4, v0, s[0:3], 0 offen offset:8
	buffer_load_dword v5, v0, s[0:3], 0 offen offset:12
	v_mov_b32_e32 v0, 0
	v_accvgpr_read_b32 v1, a129
	buffer_store_dword v0, off, s[0:3], 0 offset:64
	buffer_store_dword v0, off, s[0:3], 0 offset:68
	;; [unrolled: 1-line block ×4, first 2 shown]
	s_waitcnt vmcnt(4)
	ds_write_b128 v1, v[2:5]
.LBB42_265:
	s_or_b64 exec, exec, s[4:5]
	s_waitcnt lgkmcnt(0)
	; wave barrier
	s_waitcnt lgkmcnt(0)
	buffer_load_dword v54, off, s[0:3], 0 offset:80
	buffer_load_dword v55, off, s[0:3], 0 offset:84
	;; [unrolled: 1-line block ×49, first 2 shown]
	v_mov_b32_e32 v194, 0
	ds_read_b128 v[62:65], v194 offset:752
	ds_read_b128 v[74:77], v194 offset:768
	;; [unrolled: 1-line block ×11, first 2 shown]
	buffer_load_dword v128, off, s[0:3], 0 offset:264
	buffer_load_dword v145, off, s[0:3], 0 offset:260
	;; [unrolled: 1-line block ×75, first 2 shown]
	s_waitcnt vmcnt(62) lgkmcnt(9)
	v_mul_f64 v[6:7], v[74:75], v[60:61]
	v_fmac_f64_e32 v[6:7], v[76:77], v[58:59]
	s_waitcnt lgkmcnt(8)
	v_mul_f64 v[8:9], v[86:87], v[66:67]
	v_mul_f64 v[60:61], v[76:77], v[60:61]
	s_waitcnt lgkmcnt(6)
	v_mul_f64 v[12:13], v[110:111], v[78:79]
	v_fma_f64 v[196:197], v[74:75], v[58:59], -v[60:61]
	v_fmac_f64_e32 v[12:13], v[112:113], v[80:81]
	v_mul_f64 v[66:67], v[88:89], v[66:67]
	v_mul_f64 v[10:11], v[98:99], v[70:71]
	;; [unrolled: 1-line block ×3, first 2 shown]
	s_waitcnt lgkmcnt(4)
	v_mul_f64 v[16:17], v[190:191], v[90:91]
	v_mul_f64 v[78:79], v[112:113], v[78:79]
	v_fmac_f64_e32 v[16:17], v[192:193], v[92:93]
	v_fma_f64 v[202:203], v[110:111], v[80:81], -v[78:79]
	v_mul_f64 v[14:15], v[114:115], v[82:83]
	v_mul_f64 v[82:83], v[116:117], v[82:83]
	s_waitcnt lgkmcnt(2)
	v_mul_f64 v[20:21], v[246:247], v[102:103]
	v_mul_f64 v[90:91], v[192:193], v[90:91]
	v_fma_f64 v[192:193], v[190:191], v[92:93], -v[90:91]
	v_mul_f64 v[18:19], v[242:243], v[94:95]
	v_mul_f64 v[94:95], v[244:245], v[94:95]
	s_waitcnt lgkmcnt(1)
	v_mul_f64 v[22:23], v[250:251], v[106:107]
	v_mul_f64 v[102:103], v[248:249], v[102:103]
	v_fmac_f64_e32 v[8:9], v[88:89], v[68:69]
	v_fma_f64 v[198:199], v[86:87], v[68:69], -v[66:67]
	v_fmac_f64_e32 v[10:11], v[100:101], v[72:73]
	v_fma_f64 v[200:201], v[98:99], v[72:73], -v[70:71]
	;; [unrolled: 2-line block ×3, first 2 shown]
	v_fmac_f64_e32 v[18:19], v[244:245], v[96:97]
	v_fmac_f64_e32 v[20:21], v[248:249], v[104:105]
	;; [unrolled: 1-line block ×3, first 2 shown]
	v_fma_f64 v[244:245], v[242:243], v[96:97], -v[94:95]
	v_pk_mov_b32 v[2:3], v[0:1], v[0:1] op_sel:[0,1]
	v_mul_f64 v[0:1], v[62:63], v[56:57]
	v_fmac_f64_e32 v[0:1], v[64:65], v[54:55]
	v_add_f64 v[0:1], v[0:1], 0
	v_add_f64 v[0:1], v[0:1], v[6:7]
	;; [unrolled: 1-line block ×9, first 2 shown]
	ds_read_b128 v[6:9], v194 offset:928
	s_waitcnt lgkmcnt(1)
	v_mul_f64 v[10:11], v[120:121], v[4:5]
	v_add_f64 v[0:1], v[0:1], v[22:23]
	v_fmac_f64_e32 v[10:11], v[122:123], v[2:3]
	v_add_f64 v[0:1], v[0:1], v[10:11]
	ds_read_b128 v[10:13], v194 offset:944
	s_waitcnt lgkmcnt(1)
	v_mul_f64 v[14:15], v[6:7], v[128:129]
	v_fmac_f64_e32 v[14:15], v[8:9], v[144:145]
	v_add_f64 v[0:1], v[0:1], v[14:15]
	ds_read_b128 v[14:17], v194 offset:960
	s_waitcnt lgkmcnt(1)
	v_mul_f64 v[18:19], v[10:11], v[124:125]
	;; [unrolled: 5-line block ×4, first 2 shown]
	v_fmac_f64_e32 v[26:27], v[20:21], v[132:133]
	v_add_f64 v[0:1], v[0:1], v[26:27]
	ds_read_b128 v[26:29], v194 offset:1008
	s_waitcnt vmcnt(58) lgkmcnt(1)
	v_mul_f64 v[30:31], v[22:23], v[156:157]
	s_waitcnt vmcnt(56)
	v_fmac_f64_e32 v[30:31], v[24:25], v[160:161]
	v_add_f64 v[0:1], v[0:1], v[30:31]
	ds_read_b128 v[30:33], v194 offset:1024
	s_waitcnt lgkmcnt(1)
	v_mul_f64 v[34:35], v[26:27], v[134:135]
	v_fmac_f64_e32 v[34:35], v[28:29], v[136:137]
	v_add_f64 v[0:1], v[0:1], v[34:35]
	ds_read_b128 v[34:37], v194 offset:1040
	s_waitcnt vmcnt(50) lgkmcnt(1)
	v_mul_f64 v[38:39], v[30:31], v[164:165]
	s_waitcnt vmcnt(48)
	v_fmac_f64_e32 v[38:39], v[32:33], v[168:169]
	v_add_f64 v[0:1], v[0:1], v[38:39]
	ds_read_b128 v[38:41], v194 offset:1056
	s_waitcnt lgkmcnt(1)
	v_mul_f64 v[42:43], v[34:35], v[138:139]
	;; [unrolled: 11-line block ×3, first 2 shown]
	buffer_load_dword v177, off, s[0:3], 0 offset:588
	buffer_load_dword v176, off, s[0:3], 0 offset:584
	;; [unrolled: 1-line block ×4, first 2 shown]
	v_fmac_f64_e32 v[50:51], v[44:45], v[146:147]
	v_add_f64 v[0:1], v[0:1], v[50:51]
	ds_read_b128 v[50:53], v194 offset:1104
	buffer_load_dword v180, off, s[0:3], 0 offset:600
	buffer_load_dword v182, off, s[0:3], 0 offset:592
	;; [unrolled: 1-line block ×20, first 2 shown]
	s_waitcnt vmcnt(58) lgkmcnt(1)
	v_mul_f64 v[118:119], v[46:47], v[208:209]
	s_waitcnt vmcnt(56)
	v_fmac_f64_e32 v[118:119], v[48:49], v[212:213]
	v_mul_f64 v[56:57], v[64:65], v[56:57]
	v_add_f64 v[0:1], v[0:1], v[118:119]
	v_fma_f64 v[118:119], v[62:63], v[54:55], -v[56:57]
	ds_read_b128 v[54:57], v194 offset:1120
	ds_read_b128 v[58:61], v194 offset:1136
	s_waitcnt lgkmcnt(2)
	v_mul_f64 v[62:63], v[50:51], v[150:151]
	v_fmac_f64_e32 v[62:63], v[52:53], v[154:155]
	v_add_f64 v[0:1], v[0:1], v[62:63]
	s_waitcnt vmcnt(50) lgkmcnt(1)
	v_mul_f64 v[62:63], v[54:55], v[216:217]
	s_waitcnt vmcnt(48)
	v_fmac_f64_e32 v[62:63], v[56:57], v[218:219]
	v_add_f64 v[0:1], v[0:1], v[62:63]
	s_waitcnt lgkmcnt(0)
	v_mul_f64 v[62:63], v[58:59], v[158:159]
	v_fmac_f64_e32 v[62:63], v[60:61], v[162:163]
	v_add_f64 v[0:1], v[0:1], v[62:63]
	ds_read_b128 v[62:65], v194 offset:1152
	ds_read_b128 v[66:69], v194 offset:1168
	;; [unrolled: 1-line block ×5, first 2 shown]
	s_waitcnt vmcnt(42) lgkmcnt(4)
	v_mul_f64 v[74:75], v[62:63], v[220:221]
	s_waitcnt vmcnt(40)
	v_fmac_f64_e32 v[74:75], v[64:65], v[222:223]
	v_add_f64 v[0:1], v[0:1], v[74:75]
	s_waitcnt lgkmcnt(3)
	v_mul_f64 v[74:75], v[66:67], v[166:167]
	v_fmac_f64_e32 v[74:75], v[68:69], v[170:171]
	v_add_f64 v[0:1], v[0:1], v[74:75]
	ds_read_b128 v[74:77], v194 offset:1200
	s_waitcnt vmcnt(34) lgkmcnt(3)
	v_mul_f64 v[86:87], v[70:71], v[224:225]
	s_waitcnt vmcnt(32)
	v_fmac_f64_e32 v[86:87], v[72:73], v[226:227]
	v_add_f64 v[0:1], v[0:1], v[86:87]
	ds_read_b128 v[90:93], v194 offset:1264
	s_waitcnt lgkmcnt(1)
	v_mul_f64 v[86:87], v[74:75], v[174:175]
	v_fmac_f64_e32 v[86:87], v[76:77], v[206:207]
	v_add_f64 v[0:1], v[0:1], v[86:87]
	s_waitcnt vmcnt(26)
	v_mul_f64 v[86:87], v[78:79], v[228:229]
	s_waitcnt vmcnt(24)
	v_fmac_f64_e32 v[86:87], v[80:81], v[230:231]
	v_add_f64 v[0:1], v[0:1], v[86:87]
	v_mul_f64 v[86:87], v[82:83], v[210:211]
	v_fmac_f64_e32 v[86:87], v[84:85], v[214:215]
	v_add_f64 v[0:1], v[0:1], v[86:87]
	ds_read_b128 v[86:89], v194 offset:1248
	ds_read_b128 v[94:97], v194 offset:1280
	v_accvgpr_write_b32 a131, v3
	v_accvgpr_write_b32 a130, v2
	v_fma_f64 v[2:3], v[246:247], v[104:105], -v[102:103]
	ds_read_b128 v[102:105], v194 offset:1312
	v_mul_f64 v[106:107], v[252:253], v[106:107]
	v_fma_f64 v[252:253], v[250:251], v[108:109], -v[106:107]
	ds_read_b128 v[106:109], v194 offset:1328
	v_add_f64 v[118:119], v[118:119], 0
	v_add_f64 v[118:119], v[118:119], v[196:197]
	;; [unrolled: 1-line block ×9, first 2 shown]
	v_accvgpr_read_b32 v118, a130
	v_mul_f64 v[4:5], v[122:123], v[4:5]
	v_accvgpr_read_b32 v119, a131
	v_add_f64 v[2:3], v[254:255], v[252:253]
	v_fma_f64 v[4:5], v[120:121], v[118:119], -v[4:5]
	v_add_f64 v[2:3], v[2:3], v[4:5]
	v_mul_f64 v[4:5], v[8:9], v[128:129]
	v_fma_f64 v[4:5], v[6:7], v[144:145], -v[4:5]
	v_add_f64 v[2:3], v[2:3], v[4:5]
	v_mul_f64 v[4:5], v[12:13], v[124:125]
	v_fma_f64 v[4:5], v[10:11], v[126:127], -v[4:5]
	v_add_f64 v[2:3], v[2:3], v[4:5]
	s_waitcnt vmcnt(22) lgkmcnt(3)
	v_mul_f64 v[98:99], v[86:87], v[176:177]
	v_mul_f64 v[4:5], v[16:17], v[148:149]
	s_waitcnt vmcnt(20)
	v_fmac_f64_e32 v[98:99], v[88:89], v[178:179]
	v_add_f64 v[0:1], v[0:1], v[98:99]
	v_fma_f64 v[4:5], v[14:15], v[152:153], -v[4:5]
	s_waitcnt vmcnt(17)
	v_mul_f64 v[98:99], v[90:91], v[180:181]
	s_waitcnt vmcnt(16)
	v_fmac_f64_e32 v[98:99], v[92:93], v[182:183]
	v_add_f64 v[0:1], v[0:1], v[98:99]
	ds_read_b128 v[98:101], v194 offset:1296
	s_waitcnt vmcnt(14) lgkmcnt(3)
	v_mul_f64 v[110:111], v[94:95], v[232:233]
	s_waitcnt vmcnt(12)
	v_fmac_f64_e32 v[110:111], v[96:97], v[188:189]
	buffer_load_dword v191, off, s[0:3], 0 offset:684
	buffer_load_dword v190, off, s[0:3], 0 offset:680
	;; [unrolled: 1-line block ×4, first 2 shown]
	v_add_f64 v[0:1], v[0:1], v[110:111]
	s_waitcnt vmcnt(14) lgkmcnt(0)
	v_mul_f64 v[110:111], v[98:99], v[186:187]
	s_waitcnt vmcnt(12)
	v_fmac_f64_e32 v[110:111], v[100:101], v[234:235]
	v_add_f64 v[0:1], v[0:1], v[110:111]
	s_waitcnt vmcnt(9)
	v_mul_f64 v[110:111], v[102:103], v[238:239]
	s_waitcnt vmcnt(7)
	v_fmac_f64_e32 v[110:111], v[104:105], v[240:241]
	v_add_f64 v[0:1], v[0:1], v[110:111]
	s_waitcnt vmcnt(5)
	v_mul_f64 v[110:111], v[106:107], v[184:185]
	s_waitcnt vmcnt(4)
	v_fmac_f64_e32 v[110:111], v[108:109], v[236:237]
	v_add_f64 v[0:1], v[0:1], v[110:111]
	ds_read_b128 v[110:113], v194 offset:1344
	buffer_load_dword v246, off, s[0:3], 0 offset:696
	buffer_load_dword v247, off, s[0:3], 0 offset:700
	;; [unrolled: 1-line block ×4, first 2 shown]
	v_add_f64 v[2:3], v[2:3], v[4:5]
	v_mul_f64 v[4:5], v[20:21], v[130:131]
	v_fma_f64 v[4:5], v[18:19], v[132:133], -v[4:5]
	v_add_f64 v[2:3], v[2:3], v[4:5]
	v_mul_f64 v[4:5], v[24:25], v[156:157]
	v_fma_f64 v[4:5], v[22:23], v[160:161], -v[4:5]
	v_add_f64 v[2:3], v[2:3], v[4:5]
	v_mul_f64 v[4:5], v[28:29], v[134:135]
	v_fma_f64 v[4:5], v[26:27], v[136:137], -v[4:5]
	v_add_f64 v[2:3], v[2:3], v[4:5]
	v_mul_f64 v[4:5], v[32:33], v[164:165]
	v_fma_f64 v[4:5], v[30:31], v[168:169], -v[4:5]
	v_add_f64 v[2:3], v[2:3], v[4:5]
	v_mul_f64 v[4:5], v[36:37], v[138:139]
	v_fma_f64 v[4:5], v[34:35], v[140:141], -v[4:5]
	v_add_f64 v[2:3], v[2:3], v[4:5]
	v_mul_f64 v[4:5], v[40:41], v[172:173]
	v_fma_f64 v[4:5], v[38:39], v[204:205], -v[4:5]
	v_add_f64 v[2:3], v[2:3], v[4:5]
	v_mul_f64 v[4:5], v[44:45], v[142:143]
	v_fma_f64 v[4:5], v[42:43], v[146:147], -v[4:5]
	v_add_f64 v[2:3], v[2:3], v[4:5]
	v_mul_f64 v[4:5], v[48:49], v[208:209]
	v_fma_f64 v[4:5], v[46:47], v[212:213], -v[4:5]
	v_add_f64 v[2:3], v[2:3], v[4:5]
	v_mul_f64 v[4:5], v[52:53], v[150:151]
	v_fma_f64 v[4:5], v[50:51], v[154:155], -v[4:5]
	v_add_f64 v[2:3], v[2:3], v[4:5]
	v_mul_f64 v[4:5], v[56:57], v[216:217]
	v_fma_f64 v[4:5], v[54:55], v[218:219], -v[4:5]
	v_add_f64 v[2:3], v[2:3], v[4:5]
	v_mul_f64 v[4:5], v[60:61], v[158:159]
	v_fma_f64 v[4:5], v[58:59], v[162:163], -v[4:5]
	v_add_f64 v[2:3], v[2:3], v[4:5]
	v_mul_f64 v[4:5], v[64:65], v[220:221]
	v_fma_f64 v[4:5], v[62:63], v[222:223], -v[4:5]
	v_add_f64 v[2:3], v[2:3], v[4:5]
	v_mul_f64 v[4:5], v[68:69], v[166:167]
	v_fma_f64 v[4:5], v[66:67], v[170:171], -v[4:5]
	v_add_f64 v[2:3], v[2:3], v[4:5]
	v_mul_f64 v[4:5], v[72:73], v[224:225]
	v_fma_f64 v[4:5], v[70:71], v[226:227], -v[4:5]
	v_add_f64 v[2:3], v[2:3], v[4:5]
	v_mul_f64 v[4:5], v[76:77], v[174:175]
	v_fma_f64 v[4:5], v[74:75], v[206:207], -v[4:5]
	v_add_f64 v[2:3], v[2:3], v[4:5]
	v_mul_f64 v[4:5], v[80:81], v[228:229]
	v_fma_f64 v[4:5], v[78:79], v[230:231], -v[4:5]
	v_add_f64 v[2:3], v[2:3], v[4:5]
	v_mul_f64 v[4:5], v[84:85], v[210:211]
	v_fma_f64 v[4:5], v[82:83], v[214:215], -v[4:5]
	v_add_f64 v[2:3], v[2:3], v[4:5]
	v_mul_f64 v[4:5], v[88:89], v[176:177]
	v_fma_f64 v[4:5], v[86:87], v[178:179], -v[4:5]
	v_add_f64 v[2:3], v[2:3], v[4:5]
	v_mul_f64 v[4:5], v[92:93], v[180:181]
	v_fma_f64 v[4:5], v[90:91], v[182:183], -v[4:5]
	v_add_f64 v[2:3], v[2:3], v[4:5]
	v_mul_f64 v[4:5], v[96:97], v[232:233]
	v_fma_f64 v[4:5], v[94:95], v[188:189], -v[4:5]
	v_add_f64 v[2:3], v[2:3], v[4:5]
	v_mul_f64 v[4:5], v[100:101], v[186:187]
	v_fma_f64 v[4:5], v[98:99], v[234:235], -v[4:5]
	v_add_f64 v[2:3], v[2:3], v[4:5]
	v_mul_f64 v[4:5], v[104:105], v[238:239]
	s_waitcnt vmcnt(6) lgkmcnt(0)
	v_mul_f64 v[114:115], v[110:111], v[190:191]
	v_fma_f64 v[4:5], v[102:103], v[240:241], -v[4:5]
	s_waitcnt vmcnt(4)
	v_fmac_f64_e32 v[114:115], v[112:113], v[242:243]
	v_add_f64 v[0:1], v[0:1], v[114:115]
	ds_read_b128 v[114:117], v194 offset:1360
	v_add_f64 v[2:3], v[2:3], v[4:5]
	v_mul_f64 v[4:5], v[108:109], v[184:185]
	v_fma_f64 v[4:5], v[106:107], v[236:237], -v[4:5]
	v_add_f64 v[2:3], v[2:3], v[4:5]
	v_mul_f64 v[4:5], v[112:113], v[190:191]
	v_fma_f64 v[4:5], v[110:111], v[242:243], -v[4:5]
	v_add_f64 v[2:3], v[2:3], v[4:5]
	s_waitcnt vmcnt(2) lgkmcnt(0)
	v_mul_f64 v[250:251], v[114:115], v[246:247]
	v_mul_f64 v[4:5], v[116:117], v[246:247]
	s_waitcnt vmcnt(0)
	v_fmac_f64_e32 v[250:251], v[116:117], v[248:249]
	v_add_f64 v[0:1], v[0:1], v[250:251]
	buffer_load_dword v250, off, s[0:3], 0 offset:64
	buffer_load_dword v251, off, s[0:3], 0 offset:68
	;; [unrolled: 1-line block ×4, first 2 shown]
	v_fma_f64 v[4:5], v[114:115], v[248:249], -v[4:5]
	v_add_f64 v[2:3], v[2:3], v[4:5]
	s_waitcnt vmcnt(2)
	v_add_f64 v[2:3], v[250:251], -v[2:3]
	s_waitcnt vmcnt(0)
	v_add_f64 v[0:1], v[192:193], -v[0:1]
	buffer_store_dword v3, off, s[0:3], 0 offset:68
	buffer_store_dword v2, off, s[0:3], 0 offset:64
	;; [unrolled: 1-line block ×4, first 2 shown]
	v_accvgpr_read_b32 v0, a128
	v_cmp_lt_u32_e32 vcc, 2, v0
	s_and_saveexec_b64 s[4:5], vcc
	s_cbranch_execz .LBB42_267
; %bb.266:
	v_accvgpr_read_b32 v0, a126
	buffer_load_dword v2, v0, s[0:3], 0 offen
	buffer_load_dword v3, v0, s[0:3], 0 offen offset:4
	buffer_load_dword v4, v0, s[0:3], 0 offen offset:8
	;; [unrolled: 1-line block ×3, first 2 shown]
	v_accvgpr_read_b32 v0, a129
	buffer_store_dword v194, off, s[0:3], 0 offset:48
	buffer_store_dword v194, off, s[0:3], 0 offset:52
	;; [unrolled: 1-line block ×4, first 2 shown]
	s_waitcnt vmcnt(4)
	ds_write_b128 v0, v[2:5]
.LBB42_267:
	s_or_b64 exec, exec, s[4:5]
	s_waitcnt lgkmcnt(0)
	; wave barrier
	s_waitcnt lgkmcnt(0)
	buffer_load_dword v56, off, s[0:3], 0 offset:64
	buffer_load_dword v57, off, s[0:3], 0 offset:68
	;; [unrolled: 1-line block ×42, first 2 shown]
	ds_read_b128 v[78:81], v194 offset:736
	ds_read_b128 v[90:93], v194 offset:752
	;; [unrolled: 1-line block ×10, first 2 shown]
	buffer_load_dword v1, off, s[0:3], 0 offset:212
	buffer_load_dword v0, off, s[0:3], 0 offset:208
	ds_read_b128 v[106:109], v194 offset:896
	buffer_load_dword v3, off, s[0:3], 0 offset:268
	buffer_load_dword v2, off, s[0:3], 0 offset:264
	s_waitcnt vmcnt(38) lgkmcnt(9)
	v_mul_f64 v[4:5], v[90:91], v[62:63]
	v_fmac_f64_e32 v[4:5], v[92:93], v[54:55]
	s_waitcnt vmcnt(36) lgkmcnt(8)
	v_mul_f64 v[6:7], v[114:115], v[58:59]
	v_mul_f64 v[58:59], v[116:117], v[58:59]
	s_waitcnt vmcnt(34) lgkmcnt(6)
	v_mul_f64 v[10:11], v[242:243], v[70:71]
	v_mul_f64 v[70:71], v[244:245], v[70:71]
	s_waitcnt vmcnt(32)
	v_fmac_f64_e32 v[10:11], v[244:245], v[72:73]
	s_waitcnt vmcnt(30)
	v_mul_f64 v[8:9], v[190:191], v[64:65]
	s_waitcnt vmcnt(28) lgkmcnt(4)
	v_mul_f64 v[14:15], v[250:251], v[82:83]
	v_mul_f64 v[82:83], v[252:253], v[82:83]
	s_waitcnt vmcnt(26)
	v_fmac_f64_e32 v[14:15], v[252:253], v[84:85]
	v_fma_f64 v[250:251], v[250:251], v[84:85], -v[82:83]
	s_waitcnt vmcnt(24)
	v_mul_f64 v[12:13], v[246:247], v[74:75]
	v_mul_f64 v[74:75], v[248:249], v[74:75]
	s_waitcnt vmcnt(22) lgkmcnt(2)
	v_mul_f64 v[18:19], v[200:201], v[94:95]
	v_mul_f64 v[94:95], v[202:203], v[94:95]
	s_waitcnt vmcnt(19)
	v_mul_f64 v[16:17], v[196:197], v[86:87]
	v_mul_f64 v[86:87], v[198:199], v[86:87]
	s_waitcnt vmcnt(17) lgkmcnt(1)
	v_mul_f64 v[20:21], v[98:99], v[102:103]
	s_waitcnt vmcnt(15)
	v_fmac_f64_e32 v[6:7], v[116:117], v[68:69]
	s_waitcnt vmcnt(13)
	v_fmac_f64_e32 v[8:9], v[192:193], v[66:67]
	;; [unrolled: 2-line block ×3, first 2 shown]
	v_fma_f64 v[248:249], v[246:247], v[76:77], -v[74:75]
	s_waitcnt vmcnt(9)
	v_fmac_f64_e32 v[16:17], v[198:199], v[88:89]
	s_waitcnt vmcnt(8)
	v_fmac_f64_e32 v[18:19], v[202:203], v[96:97]
	v_fma_f64 v[200:201], v[200:201], v[96:97], -v[94:95]
	s_waitcnt vmcnt(2)
	v_fmac_f64_e32 v[20:21], v[100:101], v[0:1]
	v_mul_f64 v[100:101], v[100:101], v[102:103]
	s_waitcnt vmcnt(0)
	v_pk_mov_b32 v[22:23], v[2:3], v[2:3] op_sel:[0,1]
	buffer_load_dword v3, off, s[0:3], 0 offset:260
	buffer_load_dword v2, off, s[0:3], 0 offset:256
	;; [unrolled: 1-line block ×78, first 2 shown]
	ds_read_b128 v[120:123], v194 offset:912
	v_accvgpr_write_b32 a131, v23
	v_accvgpr_write_b32 a130, v22
	v_fma_f64 v[252:253], v[98:99], v[0:1], -v[100:101]
	s_waitcnt vmcnt(62)
	v_pk_mov_b32 v[24:25], v[2:3], v[2:3] op_sel:[0,1]
	v_mul_f64 v[2:3], v[78:79], v[60:61]
	v_fmac_f64_e32 v[2:3], v[80:81], v[56:57]
	v_add_f64 v[2:3], v[2:3], 0
	v_add_f64 v[2:3], v[2:3], v[4:5]
	;; [unrolled: 1-line block ×9, first 2 shown]
	s_waitcnt lgkmcnt(1)
	v_mul_f64 v[8:9], v[106:107], v[110:111]
	v_add_f64 v[6:7], v[2:3], v[20:21]
	v_fmac_f64_e32 v[8:9], v[108:109], v[112:113]
	v_add_f64 v[10:11], v[6:7], v[8:9]
	ds_read_b128 v[6:9], v194 offset:928
	s_waitcnt lgkmcnt(1)
	v_mul_f64 v[12:13], v[120:121], v[124:125]
	v_fmac_f64_e32 v[12:13], v[122:123], v[140:141]
	v_add_f64 v[14:15], v[10:11], v[12:13]
	ds_read_b128 v[10:13], v194 offset:944
	s_waitcnt lgkmcnt(1)
	v_mul_f64 v[16:17], v[6:7], v[22:23]
	;; [unrolled: 5-line block ×3, first 2 shown]
	v_fmac_f64_e32 v[20:21], v[12:13], v[148:149]
	v_add_f64 v[22:23], v[18:19], v[20:21]
	ds_read_b128 v[18:21], v194 offset:976
	v_accvgpr_write_b32 a133, v25
	v_accvgpr_write_b32 a132, v24
	s_waitcnt lgkmcnt(1)
	v_mul_f64 v[24:25], v[14:15], v[126:127]
	v_fmac_f64_e32 v[24:25], v[16:17], v[128:129]
	v_add_f64 v[26:27], v[22:23], v[24:25]
	ds_read_b128 v[22:25], v194 offset:992
	s_waitcnt vmcnt(58) lgkmcnt(1)
	v_mul_f64 v[28:29], v[18:19], v[152:153]
	s_waitcnt vmcnt(56)
	v_fmac_f64_e32 v[28:29], v[20:21], v[156:157]
	v_add_f64 v[30:31], v[26:27], v[28:29]
	ds_read_b128 v[26:29], v194 offset:1008
	s_waitcnt lgkmcnt(1)
	v_mul_f64 v[32:33], v[22:23], v[130:131]
	v_fmac_f64_e32 v[32:33], v[24:25], v[132:133]
	v_add_f64 v[34:35], v[30:31], v[32:33]
	ds_read_b128 v[30:33], v194 offset:1024
	s_waitcnt vmcnt(50) lgkmcnt(1)
	v_mul_f64 v[36:37], v[26:27], v[160:161]
	s_waitcnt vmcnt(48)
	v_fmac_f64_e32 v[36:37], v[28:29], v[164:165]
	v_add_f64 v[38:39], v[34:35], v[36:37]
	ds_read_b128 v[34:37], v194 offset:1040
	;; [unrolled: 11-line block ×4, first 2 shown]
	buffer_load_dword v176, off, s[0:3], 0 offset:584
	buffer_load_dword v181, off, s[0:3], 0 offset:572
	buffer_load_dword v180, off, s[0:3], 0 offset:568
	buffer_load_dword v183, off, s[0:3], 0 offset:564
	buffer_load_dword v182, off, s[0:3], 0 offset:560
	buffer_load_dword v178, off, s[0:3], 0 offset:576
	buffer_load_dword v177, off, s[0:3], 0 offset:588
	buffer_load_dword v179, off, s[0:3], 0 offset:580
	buffer_load_dword v185, off, s[0:3], 0 offset:604
	buffer_load_dword v184, off, s[0:3], 0 offset:600
	buffer_load_dword v187, off, s[0:3], 0 offset:596
	buffer_load_dword v186, off, s[0:3], 0 offset:592
	buffer_load_dword v229, off, s[0:3], 0 offset:620
	buffer_load_dword v228, off, s[0:3], 0 offset:616
	buffer_load_dword v231, off, s[0:3], 0 offset:612
	buffer_load_dword v230, off, s[0:3], 0 offset:608
	buffer_load_dword v188, off, s[0:3], 0 offset:648
	buffer_load_dword v235, off, s[0:3], 0 offset:636
	buffer_load_dword v234, off, s[0:3], 0 offset:632
	buffer_load_dword v239, off, s[0:3], 0 offset:628
	buffer_load_dword v238, off, s[0:3], 0 offset:624
	buffer_load_dword v232, off, s[0:3], 0 offset:640
	buffer_load_dword v189, off, s[0:3], 0 offset:652
	buffer_load_dword v233, off, s[0:3], 0 offset:644
	buffer_load_dword v237, off, s[0:3], 0 offset:668
	buffer_load_dword v236, off, s[0:3], 0 offset:664
	buffer_load_dword v241, off, s[0:3], 0 offset:660
	buffer_load_dword v240, off, s[0:3], 0 offset:656
	s_waitcnt lgkmcnt(1)
	v_mul_f64 v[118:119], v[46:47], v[146:147]
	v_fmac_f64_e32 v[118:119], v[48:49], v[150:151]
	v_mul_f64 v[60:61], v[80:81], v[60:61]
	v_add_f64 v[104:105], v[104:105], v[118:119]
	s_waitcnt vmcnt(54) lgkmcnt(0)
	v_mul_f64 v[118:119], v[50:51], v[212:213]
	v_fma_f64 v[254:255], v[78:79], v[56:57], -v[60:61]
	v_mul_f64 v[56:57], v[92:93], v[62:63]
	v_fma_f64 v[2:3], v[90:91], v[54:55], -v[56:57]
	s_waitcnt vmcnt(52)
	v_fmac_f64_e32 v[118:119], v[52:53], v[214:215]
	ds_read_b128 v[54:57], v194 offset:1120
	v_add_f64 v[4:5], v[104:105], v[118:119]
	v_fma_f64 v[118:119], v[114:115], v[68:69], -v[58:59]
	ds_read_b128 v[58:61], v194 offset:1136
	v_mul_f64 v[62:63], v[192:193], v[64:65]
	v_fma_f64 v[90:91], v[190:191], v[66:67], -v[62:63]
	ds_read_b128 v[62:65], v194 offset:1152
	s_waitcnt lgkmcnt(2)
	v_mul_f64 v[68:69], v[54:55], v[154:155]
	v_fmac_f64_e32 v[68:69], v[56:57], v[158:159]
	s_waitcnt vmcnt(46) lgkmcnt(1)
	v_mul_f64 v[66:67], v[58:59], v[216:217]
	v_add_f64 v[4:5], v[4:5], v[68:69]
	s_waitcnt vmcnt(44)
	v_fmac_f64_e32 v[66:67], v[60:61], v[218:219]
	v_add_f64 v[4:5], v[4:5], v[66:67]
	v_fma_f64 v[92:93], v[242:243], v[72:73], -v[70:71]
	ds_read_b128 v[70:73], v194 offset:1184
	s_waitcnt lgkmcnt(1)
	v_mul_f64 v[66:67], v[62:63], v[162:163]
	v_fmac_f64_e32 v[66:67], v[64:65], v[166:167]
	v_add_f64 v[4:5], v[4:5], v[66:67]
	ds_read_b128 v[66:69], v194 offset:1168
	ds_read_b128 v[74:77], v194 offset:1200
	;; [unrolled: 1-line block ×3, first 2 shown]
	v_fma_f64 v[242:243], v[196:197], v[88:89], -v[86:87]
	ds_read_b128 v[86:89], v194 offset:1248
	ds_read_b128 v[196:199], v194 offset:1264
	s_waitcnt vmcnt(38) lgkmcnt(4)
	v_mul_f64 v[78:79], v[66:67], v[220:221]
	s_waitcnt vmcnt(36)
	v_fmac_f64_e32 v[78:79], v[68:69], v[222:223]
	v_add_f64 v[4:5], v[4:5], v[78:79]
	v_mul_f64 v[78:79], v[70:71], v[170:171]
	v_fmac_f64_e32 v[78:79], v[72:73], v[174:175]
	v_add_f64 v[4:5], v[4:5], v[78:79]
	s_waitcnt vmcnt(30) lgkmcnt(3)
	v_mul_f64 v[78:79], v[74:75], v[224:225]
	s_waitcnt vmcnt(28)
	v_fmac_f64_e32 v[78:79], v[76:77], v[226:227]
	v_add_f64 v[4:5], v[4:5], v[78:79]
	ds_read_b128 v[78:81], v194 offset:1216
	ds_read_b128 v[94:97], v194 offset:1280
	;; [unrolled: 1-line block ×3, first 2 shown]
	s_waitcnt lgkmcnt(2)
	v_mul_f64 v[104:105], v[78:79], v[206:207]
	v_fmac_f64_e32 v[104:105], v[80:81], v[210:211]
	v_add_f64 v[4:5], v[4:5], v[104:105]
	s_waitcnt vmcnt(25)
	v_mul_f64 v[104:105], v[82:83], v[180:181]
	s_waitcnt vmcnt(23)
	v_fmac_f64_e32 v[104:105], v[84:85], v[182:183]
	v_add_f64 v[4:5], v[4:5], v[104:105]
	s_waitcnt vmcnt(21)
	v_mul_f64 v[104:105], v[86:87], v[176:177]
	s_waitcnt vmcnt(20)
	v_fmac_f64_e32 v[104:105], v[88:89], v[178:179]
	v_add_f64 v[4:5], v[4:5], v[104:105]
	s_waitcnt vmcnt(18)
	v_mul_f64 v[104:105], v[196:197], v[184:185]
	s_waitcnt vmcnt(16)
	v_fmac_f64_e32 v[104:105], v[198:199], v[186:187]
	v_add_f64 v[0:1], v[4:5], v[104:105]
	s_waitcnt vmcnt(14) lgkmcnt(1)
	v_mul_f64 v[4:5], v[94:95], v[228:229]
	s_waitcnt vmcnt(12)
	v_fmac_f64_e32 v[4:5], v[96:97], v[230:231]
	ds_read_b128 v[102:105], v194 offset:1312
	v_add_f64 v[4:5], v[0:1], v[4:5]
	v_mul_f64 v[0:1], v[108:109], v[110:111]
	v_fma_f64 v[0:1], v[106:107], v[112:113], -v[0:1]
	ds_read_b128 v[106:109], v194 offset:1328
	buffer_load_dword v190, off, s[0:3], 0 offset:680
	buffer_load_dword v191, off, s[0:3], 0 offset:684
	;; [unrolled: 1-line block ×4, first 2 shown]
	s_waitcnt vmcnt(13) lgkmcnt(2)
	v_mul_f64 v[110:111], v[98:99], v[234:235]
	s_waitcnt vmcnt(11)
	v_fmac_f64_e32 v[110:111], v[100:101], v[238:239]
	v_add_f64 v[4:5], v[4:5], v[110:111]
	s_waitcnt vmcnt(9) lgkmcnt(1)
	v_mul_f64 v[110:111], v[102:103], v[188:189]
	s_waitcnt vmcnt(8)
	v_fmac_f64_e32 v[110:111], v[104:105], v[232:233]
	v_add_f64 v[4:5], v[4:5], v[110:111]
	s_waitcnt vmcnt(6) lgkmcnt(0)
	v_mul_f64 v[110:111], v[106:107], v[236:237]
	s_waitcnt vmcnt(4)
	v_fmac_f64_e32 v[110:111], v[108:109], v[240:241]
	v_add_f64 v[4:5], v[4:5], v[110:111]
	ds_read_b128 v[110:113], v194 offset:1344
	buffer_load_dword v245, off, s[0:3], 0 offset:700
	buffer_load_dword v244, off, s[0:3], 0 offset:696
	;; [unrolled: 1-line block ×4, first 2 shown]
	s_waitcnt vmcnt(6) lgkmcnt(0)
	v_mul_f64 v[114:115], v[110:111], v[190:191]
	s_waitcnt vmcnt(4)
	v_fmac_f64_e32 v[114:115], v[112:113], v[192:193]
	v_add_f64 v[4:5], v[4:5], v[114:115]
	ds_read_b128 v[114:117], v194 offset:1360
	s_waitcnt vmcnt(2) lgkmcnt(0)
	v_mul_f64 v[194:195], v[114:115], v[244:245]
	s_waitcnt vmcnt(0)
	v_fmac_f64_e32 v[194:195], v[116:117], v[246:247]
	v_add_f64 v[4:5], v[4:5], v[194:195]
	v_add_f64 v[194:195], v[254:255], 0
	;; [unrolled: 1-line block ×8, first 2 shown]
	buffer_load_dword v250, off, s[0:3], 0 offset:48
	buffer_load_dword v251, off, s[0:3], 0 offset:52
	;; [unrolled: 1-line block ×4, first 2 shown]
	v_add_f64 v[2:3], v[2:3], v[242:243]
	v_add_f64 v[194:195], v[2:3], v[200:201]
	;; [unrolled: 1-line block ×4, first 2 shown]
	v_mul_f64 v[2:3], v[122:123], v[124:125]
	v_fma_f64 v[2:3], v[120:121], v[140:141], -v[2:3]
	v_add_f64 v[0:1], v[0:1], v[2:3]
	v_accvgpr_read_b32 v2, a130
	v_accvgpr_read_b32 v3, a131
	v_mul_f64 v[2:3], v[8:9], v[2:3]
	v_accvgpr_read_b32 v8, a132
	v_accvgpr_read_b32 v9, a133
	v_fma_f64 v[2:3], v[6:7], v[8:9], -v[2:3]
	v_add_f64 v[0:1], v[0:1], v[2:3]
	v_mul_f64 v[2:3], v[12:13], v[144:145]
	v_fma_f64 v[2:3], v[10:11], v[148:149], -v[2:3]
	v_add_f64 v[0:1], v[0:1], v[2:3]
	v_mul_f64 v[2:3], v[16:17], v[126:127]
	;; [unrolled: 3-line block ×27, first 2 shown]
	v_fma_f64 v[2:3], v[114:115], v[246:247], -v[2:3]
	v_add_f64 v[0:1], v[0:1], v[2:3]
	s_waitcnt vmcnt(2)
	v_add_f64 v[0:1], v[250:251], -v[0:1]
	s_waitcnt vmcnt(0)
	v_add_f64 v[2:3], v[248:249], -v[4:5]
	buffer_store_dword v1, off, s[0:3], 0 offset:52
	buffer_store_dword v0, off, s[0:3], 0 offset:48
	;; [unrolled: 1-line block ×4, first 2 shown]
	v_accvgpr_read_b32 v0, a128
	v_cmp_lt_u32_e32 vcc, 1, v0
	s_and_saveexec_b64 s[4:5], vcc
	s_cbranch_execz .LBB42_269
; %bb.268:
	v_accvgpr_read_b32 v0, a127
	buffer_load_dword v2, v0, s[0:3], 0 offen
	buffer_load_dword v3, v0, s[0:3], 0 offen offset:4
	buffer_load_dword v4, v0, s[0:3], 0 offen offset:8
	;; [unrolled: 1-line block ×3, first 2 shown]
	v_mov_b32_e32 v0, 0
	v_accvgpr_read_b32 v1, a129
	buffer_store_dword v0, off, s[0:3], 0 offset:32
	buffer_store_dword v0, off, s[0:3], 0 offset:36
	;; [unrolled: 1-line block ×4, first 2 shown]
	s_waitcnt vmcnt(4)
	ds_write_b128 v1, v[2:5]
.LBB42_269:
	s_or_b64 exec, exec, s[4:5]
	s_waitcnt lgkmcnt(0)
	; wave barrier
	s_waitcnt lgkmcnt(0)
	buffer_load_dword v54, off, s[0:3], 0 offset:48
	buffer_load_dword v55, off, s[0:3], 0 offset:52
	;; [unrolled: 1-line block ×46, first 2 shown]
	v_mov_b32_e32 v194, 0
	s_waitcnt vmcnt(0)
	v_pk_mov_b32 v[20:21], v[0:1], v[0:1] op_sel:[0,1]
	buffer_load_dword v1, off, s[0:3], 0 offset:244
	buffer_load_dword v0, off, s[0:3], 0 offset:240
	;; [unrolled: 1-line block ×3, first 2 shown]
	ds_read_b128 v[94:97], v194 offset:720
	ds_read_b128 v[108:111], v194 offset:736
	;; [unrolled: 1-line block ×11, first 2 shown]
	s_waitcnt lgkmcnt(9)
	v_mul_f64 v[2:3], v[108:109], v[62:63]
	s_waitcnt lgkmcnt(8)
	v_mul_f64 v[4:5], v[112:113], v[60:61]
	v_fmac_f64_e32 v[2:3], v[110:111], v[58:59]
	s_waitcnt lgkmcnt(7)
	v_mul_f64 v[6:7], v[172:173], v[68:69]
	v_fmac_f64_e32 v[4:5], v[114:115], v[84:85]
	;; [unrolled: 3-line block ×3, first 2 shown]
	v_fmac_f64_e32 v[8:9], v[178:179], v[66:67]
	s_waitcnt lgkmcnt(5)
	v_mul_f64 v[10:11], v[180:181], v[70:71]
	s_waitcnt lgkmcnt(4)
	v_mul_f64 v[12:13], v[184:185], v[74:75]
	v_fmac_f64_e32 v[10:11], v[182:183], v[72:73]
	s_waitcnt lgkmcnt(3)
	v_mul_f64 v[14:15], v[188:189], v[78:79]
	v_fmac_f64_e32 v[12:13], v[186:187], v[76:77]
	s_waitcnt lgkmcnt(2)
	v_mul_f64 v[16:17], v[196:197], v[86:87]
	v_fmac_f64_e32 v[14:15], v[190:191], v[80:81]
	s_waitcnt lgkmcnt(1)
	v_mul_f64 v[18:19], v[200:201], v[90:91]
	v_fmac_f64_e32 v[16:17], v[198:199], v[88:89]
	v_fmac_f64_e32 v[18:19], v[202:203], v[92:93]
	v_accvgpr_write_b32 a131, v21
	v_accvgpr_write_b32 a130, v20
	v_mul_f64 v[62:63], v[110:111], v[62:63]
	v_mul_f64 v[74:75], v[186:187], v[74:75]
	v_fma_f64 v[186:187], v[184:185], v[76:77], -v[74:75]
	v_mul_f64 v[78:79], v[190:191], v[78:79]
	v_fma_f64 v[188:189], v[188:189], v[80:81], -v[78:79]
	;; [unrolled: 2-line block ×3, first 2 shown]
	v_mul_f64 v[90:91], v[202:203], v[90:91]
	s_waitcnt vmcnt(1)
	v_pk_mov_b32 v[22:23], v[0:1], v[0:1] op_sel:[0,1]
	v_mul_f64 v[0:1], v[94:95], v[56:57]
	v_fmac_f64_e32 v[0:1], v[96:97], v[54:55]
	v_add_f64 v[0:1], v[0:1], 0
	v_add_f64 v[0:1], v[0:1], v[2:3]
	;; [unrolled: 1-line block ×5, first 2 shown]
	buffer_load_dword v106, off, s[0:3], 0 offset:232
	buffer_load_dword v193, off, s[0:3], 0 offset:228
	buffer_load_dword v192, off, s[0:3], 0 offset:224
	buffer_load_dword v9, off, s[0:3], 0 offset:284
	buffer_load_dword v8, off, s[0:3], 0 offset:280
	buffer_load_dword v3, off, s[0:3], 0 offset:276
	buffer_load_dword v2, off, s[0:3], 0 offset:272
	buffer_load_dword v225, off, s[0:3], 0 offset:268
	buffer_load_dword v224, off, s[0:3], 0 offset:264
	buffer_load_dword v229, off, s[0:3], 0 offset:260
	buffer_load_dword v228, off, s[0:3], 0 offset:256
	buffer_load_dword v213, off, s[0:3], 0 offset:316
	buffer_load_dword v212, off, s[0:3], 0 offset:312
	buffer_load_dword v215, off, s[0:3], 0 offset:308
	buffer_load_dword v214, off, s[0:3], 0 offset:304
	buffer_load_dword v233, off, s[0:3], 0 offset:300
	buffer_load_dword v232, off, s[0:3], 0 offset:296
	buffer_load_dword v237, off, s[0:3], 0 offset:292
	buffer_load_dword v236, off, s[0:3], 0 offset:288
	buffer_load_dword v217, off, s[0:3], 0 offset:348
	buffer_load_dword v216, off, s[0:3], 0 offset:344
	buffer_load_dword v219, off, s[0:3], 0 offset:340
	buffer_load_dword v218, off, s[0:3], 0 offset:336
	buffer_load_dword v241, off, s[0:3], 0 offset:332
	buffer_load_dword v240, off, s[0:3], 0 offset:328
	buffer_load_dword v245, off, s[0:3], 0 offset:324
	buffer_load_dword v244, off, s[0:3], 0 offset:320
	buffer_load_dword v221, off, s[0:3], 0 offset:380
	buffer_load_dword v220, off, s[0:3], 0 offset:376
	buffer_load_dword v223, off, s[0:3], 0 offset:372
	buffer_load_dword v222, off, s[0:3], 0 offset:368
	buffer_load_dword v249, off, s[0:3], 0 offset:364
	buffer_load_dword v248, off, s[0:3], 0 offset:360
	buffer_load_dword v253, off, s[0:3], 0 offset:356
	buffer_load_dword v252, off, s[0:3], 0 offset:352
	buffer_load_dword v227, off, s[0:3], 0 offset:412
	buffer_load_dword v226, off, s[0:3], 0 offset:408
	buffer_load_dword v231, off, s[0:3], 0 offset:404
	buffer_load_dword v230, off, s[0:3], 0 offset:400
	buffer_load_dword v121, off, s[0:3], 0 offset:396
	buffer_load_dword v120, off, s[0:3], 0 offset:392
	buffer_load_dword v125, off, s[0:3], 0 offset:388
	buffer_load_dword v124, off, s[0:3], 0 offset:384
	buffer_load_dword v235, off, s[0:3], 0 offset:444
	buffer_load_dword v234, off, s[0:3], 0 offset:440
	buffer_load_dword v239, off, s[0:3], 0 offset:436
	buffer_load_dword v238, off, s[0:3], 0 offset:432
	buffer_load_dword v129, off, s[0:3], 0 offset:428
	buffer_load_dword v128, off, s[0:3], 0 offset:424
	buffer_load_dword v131, off, s[0:3], 0 offset:420
	buffer_load_dword v130, off, s[0:3], 0 offset:416
	buffer_load_dword v243, off, s[0:3], 0 offset:476
	buffer_load_dword v242, off, s[0:3], 0 offset:472
	buffer_load_dword v247, off, s[0:3], 0 offset:468
	buffer_load_dword v246, off, s[0:3], 0 offset:464
	buffer_load_dword v133, off, s[0:3], 0 offset:460
	buffer_load_dword v132, off, s[0:3], 0 offset:456
	buffer_load_dword v135, off, s[0:3], 0 offset:452
	buffer_load_dword v134, off, s[0:3], 0 offset:448
	buffer_load_dword v251, off, s[0:3], 0 offset:508
	buffer_load_dword v250, off, s[0:3], 0 offset:504
	buffer_load_dword v255, off, s[0:3], 0 offset:500
	buffer_load_dword v254, off, s[0:3], 0 offset:496
	buffer_load_dword v137, off, s[0:3], 0 offset:492
	buffer_load_dword v136, off, s[0:3], 0 offset:488
	buffer_load_dword v139, off, s[0:3], 0 offset:484
	buffer_load_dword v138, off, s[0:3], 0 offset:480
	buffer_load_dword v123, off, s[0:3], 0 offset:540
	buffer_load_dword v122, off, s[0:3], 0 offset:536
	buffer_load_dword v127, off, s[0:3], 0 offset:532
	buffer_load_dword v126, off, s[0:3], 0 offset:528
	buffer_load_dword v141, off, s[0:3], 0 offset:524
	buffer_load_dword v140, off, s[0:3], 0 offset:520
	buffer_load_dword v143, off, s[0:3], 0 offset:516
	buffer_load_dword v142, off, s[0:3], 0 offset:512
	ds_read_b128 v[116:119], v194 offset:896
	ds_read_b128 v[208:211], v194 offset:912
	v_add_f64 v[0:1], v[0:1], v[10:11]
	v_add_f64 v[0:1], v[0:1], v[12:13]
	;; [unrolled: 1-line block ×5, first 2 shown]
	s_waitcnt lgkmcnt(0)
	v_mul_f64 v[10:11], v[208:209], v[20:21]
	ds_read_b128 v[204:207], v194 offset:928
	v_fmac_f64_e32 v[10:11], v[210:211], v[22:23]
	v_accvgpr_write_b32 a133, v23
	v_accvgpr_write_b32 a132, v22
	v_mul_f64 v[56:57], v[96:97], v[56:57]
	v_fma_f64 v[96:97], v[108:109], v[58:59], -v[62:63]
	v_mul_f64 v[58:59], v[114:115], v[60:61]
	v_fma_f64 v[108:109], v[112:113], v[84:85], -v[58:59]
	v_mul_f64 v[58:59], v[174:175], v[68:69]
	v_mul_f64 v[62:63], v[178:179], v[64:65]
	v_fma_f64 v[176:177], v[176:177], v[66:67], -v[62:63]
	v_mul_f64 v[66:67], v[182:183], v[70:71]
	v_fma_f64 v[180:181], v[180:181], v[72:73], -v[66:67]
	s_waitcnt vmcnt(62)
	v_mul_f64 v[6:7], v[116:117], v[106:107]
	v_fmac_f64_e32 v[6:7], v[118:119], v[192:193]
	v_pk_mov_b32 v[4:5], v[2:3], v[2:3] op_sel:[0,1]
	v_mul_f64 v[2:3], v[98:99], v[102:103]
	v_fmac_f64_e32 v[2:3], v[100:101], v[104:105]
	v_add_f64 v[0:1], v[0:1], v[2:3]
	v_add_f64 v[0:1], v[0:1], v[6:7]
	;; [unrolled: 1-line block ×3, first 2 shown]
	ds_read_b128 v[10:13], v194 offset:944
	s_waitcnt lgkmcnt(1)
	v_mul_f64 v[14:15], v[204:205], v[224:225]
	v_fmac_f64_e32 v[14:15], v[206:207], v[228:229]
	v_add_f64 v[0:1], v[0:1], v[14:15]
	ds_read_b128 v[14:17], v194 offset:960
	s_waitcnt lgkmcnt(1)
	v_mul_f64 v[18:19], v[10:11], v[8:9]
	v_fmac_f64_e32 v[18:19], v[12:13], v[4:5]
	v_add_f64 v[0:1], v[0:1], v[18:19]
	ds_read_b128 v[18:21], v194 offset:976
	s_waitcnt vmcnt(58) lgkmcnt(1)
	v_mul_f64 v[22:23], v[14:15], v[232:233]
	s_waitcnt vmcnt(56)
	v_fmac_f64_e32 v[22:23], v[16:17], v[236:237]
	v_add_f64 v[0:1], v[0:1], v[22:23]
	ds_read_b128 v[22:25], v194 offset:992
	s_waitcnt lgkmcnt(1)
	v_mul_f64 v[26:27], v[18:19], v[212:213]
	v_fmac_f64_e32 v[26:27], v[20:21], v[214:215]
	v_add_f64 v[0:1], v[0:1], v[26:27]
	ds_read_b128 v[26:29], v194 offset:1008
	s_waitcnt vmcnt(50) lgkmcnt(1)
	v_mul_f64 v[30:31], v[22:23], v[240:241]
	s_waitcnt vmcnt(48)
	;; [unrolled: 11-line block ×4, first 2 shown]
	v_fmac_f64_e32 v[46:47], v[40:41], v[124:125]
	v_add_f64 v[0:1], v[0:1], v[46:47]
	ds_read_b128 v[46:49], v194 offset:1088
	s_waitcnt lgkmcnt(1)
	v_mul_f64 v[50:51], v[42:43], v[226:227]
	v_fmac_f64_e32 v[50:51], v[44:45], v[230:231]
	v_add_f64 v[0:1], v[0:1], v[50:51]
	ds_read_b128 v[50:53], v194 offset:1104
	buffer_load_dword v145, off, s[0:3], 0 offset:556
	buffer_load_dword v144, off, s[0:3], 0 offset:552
	;; [unrolled: 1-line block ×8, first 2 shown]
	s_waitcnt vmcnt(34) lgkmcnt(1)
	v_mul_f64 v[148:149], v[46:47], v[128:129]
	s_waitcnt vmcnt(32)
	v_fmac_f64_e32 v[148:149], v[48:49], v[130:131]
	v_add_f64 v[0:1], v[0:1], v[148:149]
	buffer_load_dword v149, off, s[0:3], 0 offset:604
	buffer_load_dword v155, off, s[0:3], 0 offset:588
	;; [unrolled: 1-line block ×8, first 2 shown]
	v_fma_f64 v[6:7], v[94:95], v[54:55], -v[56:57]
	ds_read_b128 v[54:57], v194 offset:1120
	buffer_load_dword v161, off, s[0:3], 0 offset:620
	buffer_load_dword v160, off, s[0:3], 0 offset:616
	;; [unrolled: 1-line block ×4, first 2 shown]
	s_waitcnt lgkmcnt(1)
	v_mul_f64 v[94:95], v[50:51], v[234:235]
	buffer_load_dword v164, off, s[0:3], 0 offset:632
	buffer_load_dword v166, off, s[0:3], 0 offset:624
	buffer_load_dword v165, off, s[0:3], 0 offset:636
	buffer_load_dword v167, off, s[0:3], 0 offset:628
	buffer_load_dword v169, off, s[0:3], 0 offset:652
	buffer_load_dword v168, off, s[0:3], 0 offset:648
	buffer_load_dword v171, off, s[0:3], 0 offset:644
	buffer_load_dword v170, off, s[0:3], 0 offset:640
	v_fmac_f64_e32 v[94:95], v[52:53], v[238:239]
	v_add_f64 v[0:1], v[0:1], v[94:95]
	v_fma_f64 v[94:95], v[172:173], v[82:83], -v[58:59]
	buffer_load_dword v172, off, s[0:3], 0 offset:664
	buffer_load_dword v174, off, s[0:3], 0 offset:656
	;; [unrolled: 1-line block ×4, first 2 shown]
	s_waitcnt vmcnt(50) lgkmcnt(0)
	v_mul_f64 v[58:59], v[54:55], v[132:133]
	s_waitcnt vmcnt(48)
	v_fmac_f64_e32 v[58:59], v[56:57], v[134:135]
	v_add_f64 v[0:1], v[0:1], v[58:59]
	ds_read_b128 v[58:61], v194 offset:1136
	ds_read_b128 v[62:65], v194 offset:1152
	ds_read_b128 v[66:69], v194 offset:1168
	ds_read_b128 v[74:77], v194 offset:1200
	ds_read_b128 v[78:81], v194 offset:1216
	s_waitcnt lgkmcnt(4)
	v_mul_f64 v[82:83], v[58:59], v[242:243]
	v_fmac_f64_e32 v[82:83], v[60:61], v[246:247]
	s_waitcnt vmcnt(42) lgkmcnt(3)
	v_mul_f64 v[70:71], v[62:63], v[136:137]
	v_add_f64 v[0:1], v[0:1], v[82:83]
	s_waitcnt vmcnt(40)
	v_fmac_f64_e32 v[70:71], v[64:65], v[138:139]
	v_add_f64 v[0:1], v[0:1], v[70:71]
	s_waitcnt lgkmcnt(2)
	v_mul_f64 v[70:71], v[66:67], v[250:251]
	v_fmac_f64_e32 v[70:71], v[68:69], v[254:255]
	v_add_f64 v[0:1], v[0:1], v[70:71]
	ds_read_b128 v[70:73], v194 offset:1184
	v_accvgpr_write_b32 a135, v5
	v_accvgpr_write_b32 a134, v4
	v_fma_f64 v[4:5], v[200:201], v[92:93], -v[90:91]
	ds_read_b128 v[90:93], v194 offset:1264
	ds_read_b128 v[196:199], v194 offset:1280
	s_waitcnt vmcnt(34) lgkmcnt(2)
	v_mul_f64 v[82:83], v[70:71], v[140:141]
	s_waitcnt vmcnt(32)
	v_fmac_f64_e32 v[82:83], v[72:73], v[142:143]
	v_add_f64 v[0:1], v[0:1], v[82:83]
	v_mul_f64 v[82:83], v[74:75], v[122:123]
	v_fmac_f64_e32 v[82:83], v[76:77], v[126:127]
	v_add_f64 v[0:1], v[0:1], v[82:83]
	v_mul_f64 v[100:101], v[100:101], v[102:103]
	v_fma_f64 v[2:3], v[98:99], v[104:105], -v[100:101]
	ds_read_b128 v[98:101], v194 offset:1296
	v_mul_f64 v[102:103], v[118:119], v[106:107]
	v_fma_f64 v[118:119], v[116:117], v[192:193], -v[102:103]
	ds_read_b128 v[102:105], v194 offset:1312
	ds_read_b128 v[200:203], v194 offset:1328
	v_add_f64 v[6:7], v[6:7], 0
	v_add_f64 v[6:7], v[6:7], v[96:97]
	;; [unrolled: 1-line block ×10, first 2 shown]
	v_accvgpr_read_b32 v6, a132
	v_accvgpr_read_b32 v7, a133
	ds_read_b128 v[86:89], v194 offset:1248
	s_waitcnt vmcnt(30)
	v_mul_f64 v[82:83], v[78:79], v[144:145]
	s_waitcnt vmcnt(28)
	v_fmac_f64_e32 v[82:83], v[80:81], v[146:147]
	v_add_f64 v[0:1], v[0:1], v[82:83]
	ds_read_b128 v[82:85], v194 offset:1232
	s_waitcnt vmcnt(9) lgkmcnt(4)
	v_mul_f64 v[106:107], v[98:99], v[164:165]
	s_waitcnt vmcnt(8)
	v_fmac_f64_e32 v[106:107], v[100:101], v[166:167]
	s_waitcnt lgkmcnt(0)
	v_mul_f64 v[110:111], v[82:83], v[150:151]
	v_fmac_f64_e32 v[110:111], v[84:85], v[152:153]
	v_add_f64 v[0:1], v[0:1], v[110:111]
	v_mul_f64 v[110:111], v[86:87], v[154:155]
	v_fmac_f64_e32 v[110:111], v[88:89], v[158:159]
	v_add_f64 v[0:1], v[0:1], v[110:111]
	;; [unrolled: 3-line block ×4, first 2 shown]
	v_add_f64 v[0:1], v[0:1], v[106:107]
	s_waitcnt vmcnt(6)
	v_mul_f64 v[106:107], v[102:103], v[168:169]
	s_waitcnt vmcnt(4)
	v_fmac_f64_e32 v[106:107], v[104:105], v[170:171]
	v_add_f64 v[0:1], v[0:1], v[106:107]
	s_waitcnt vmcnt(1)
	v_mul_f64 v[106:107], v[200:201], v[172:173]
	s_waitcnt vmcnt(0)
	v_fmac_f64_e32 v[106:107], v[202:203], v[174:175]
	v_add_f64 v[106:107], v[0:1], v[106:107]
	buffer_load_dword v1, off, s[0:3], 0 offset:684
	buffer_load_dword v0, off, s[0:3], 0 offset:680
	;; [unrolled: 1-line block ×4, first 2 shown]
	ds_read_b128 v[110:113], v194 offset:1344
	buffer_load_dword v182, off, s[0:3], 0 offset:696
	buffer_load_dword v183, off, s[0:3], 0 offset:700
	;; [unrolled: 1-line block ×4, first 2 shown]
	s_waitcnt vmcnt(6) lgkmcnt(0)
	v_mul_f64 v[114:115], v[110:111], v[0:1]
	v_mul_f64 v[0:1], v[112:113], v[0:1]
	s_waitcnt vmcnt(4)
	v_fmac_f64_e32 v[114:115], v[112:113], v[178:179]
	v_add_f64 v[106:107], v[106:107], v[114:115]
	ds_read_b128 v[114:117], v194 offset:1360
	buffer_load_dword v188, off, s[0:3], 0 offset:32
	buffer_load_dword v189, off, s[0:3], 0 offset:36
	;; [unrolled: 1-line block ×4, first 2 shown]
	v_fma_f64 v[0:1], v[110:111], v[178:179], -v[0:1]
	s_waitcnt vmcnt(6) lgkmcnt(0)
	v_mul_f64 v[192:193], v[114:115], v[182:183]
	s_waitcnt vmcnt(4)
	v_fmac_f64_e32 v[192:193], v[116:117], v[184:185]
	v_add_f64 v[106:107], v[106:107], v[192:193]
	v_add_f64 v[192:193], v[4:5], v[2:3]
	v_accvgpr_read_b32 v4, a130
	v_accvgpr_read_b32 v5, a131
	v_mul_f64 v[4:5], v[210:211], v[4:5]
	v_add_f64 v[2:3], v[192:193], v[118:119]
	v_fma_f64 v[4:5], v[208:209], v[6:7], -v[4:5]
	v_add_f64 v[2:3], v[2:3], v[4:5]
	v_mul_f64 v[4:5], v[206:207], v[224:225]
	v_fma_f64 v[4:5], v[204:205], v[228:229], -v[4:5]
	v_accvgpr_read_b32 v6, a134
	v_add_f64 v[2:3], v[2:3], v[4:5]
	v_mul_f64 v[4:5], v[12:13], v[8:9]
	v_accvgpr_read_b32 v7, a135
	v_fma_f64 v[4:5], v[10:11], v[6:7], -v[4:5]
	v_add_f64 v[2:3], v[2:3], v[4:5]
	v_mul_f64 v[4:5], v[16:17], v[232:233]
	v_fma_f64 v[4:5], v[14:15], v[236:237], -v[4:5]
	v_add_f64 v[2:3], v[2:3], v[4:5]
	v_mul_f64 v[4:5], v[20:21], v[212:213]
	;; [unrolled: 3-line block ×24, first 2 shown]
	v_fma_f64 v[4:5], v[200:201], v[174:175], -v[4:5]
	v_add_f64 v[2:3], v[2:3], v[4:5]
	v_add_f64 v[0:1], v[2:3], v[0:1]
	v_mul_f64 v[2:3], v[116:117], v[182:183]
	v_fma_f64 v[2:3], v[114:115], v[184:185], -v[2:3]
	v_add_f64 v[0:1], v[0:1], v[2:3]
	s_waitcnt vmcnt(2)
	v_add_f64 v[0:1], v[188:189], -v[0:1]
	s_waitcnt vmcnt(0)
	v_add_f64 v[2:3], v[186:187], -v[106:107]
	buffer_store_dword v1, off, s[0:3], 0 offset:36
	buffer_store_dword v0, off, s[0:3], 0 offset:32
	;; [unrolled: 1-line block ×4, first 2 shown]
	v_accvgpr_read_b32 v0, a128
	v_cmp_ne_u32_e32 vcc, 0, v0
	s_and_saveexec_b64 s[4:5], vcc
	s_cbranch_execz .LBB42_271
; %bb.270:
	buffer_load_dword v2, off, s[0:3], 0 offset:16
	buffer_load_dword v3, off, s[0:3], 0 offset:20
	;; [unrolled: 1-line block ×4, first 2 shown]
	v_accvgpr_read_b32 v0, a129
	buffer_store_dword v194, off, s[0:3], 0 offset:16
	buffer_store_dword v194, off, s[0:3], 0 offset:20
	;; [unrolled: 1-line block ×4, first 2 shown]
	s_waitcnt vmcnt(4)
	ds_write_b128 v0, v[2:5]
.LBB42_271:
	s_or_b64 exec, exec, s[4:5]
	s_waitcnt lgkmcnt(0)
	; wave barrier
	s_waitcnt lgkmcnt(0)
	buffer_load_dword v54, off, s[0:3], 0 offset:32
	buffer_load_dword v55, off, s[0:3], 0 offset:36
	;; [unrolled: 1-line block ×42, first 2 shown]
	ds_read_b128 v[110:113], v194 offset:704
	ds_read_b128 v[156:159], v194 offset:720
	ds_read_b128 v[164:167], v194 offset:736
	ds_read_b128 v[170:173], v194 offset:752
	ds_read_b128 v[176:179], v194 offset:768
	ds_read_b128 v[180:183], v194 offset:784
	ds_read_b128 v[184:187], v194 offset:800
	ds_read_b128 v[188:191], v194 offset:816
	ds_read_b128 v[196:199], v194 offset:832
	ds_read_b128 v[84:87], v194 offset:848
	buffer_load_dword v109, off, s[0:3], 0 offset:180
	buffer_load_dword v108, off, s[0:3], 0 offset:176
	ds_read_b128 v[88:91], v194 offset:864
	buffer_load_dword v103, off, s[0:3], 0 offset:236
	buffer_load_dword v102, off, s[0:3], 0 offset:232
	buffer_load_dword v105, off, s[0:3], 0 offset:228
	buffer_load_dword v104, off, s[0:3], 0 offset:224
	buffer_load_dword v107, off, s[0:3], 0 offset:220
	buffer_load_dword v106, off, s[0:3], 0 offset:216
	s_and_b64 vcc, exec, s[20:21]
	s_waitcnt vmcnt(46) lgkmcnt(10)
	v_mul_f64 v[0:1], v[110:111], v[60:61]
	v_fmac_f64_e32 v[0:1], v[112:113], v[54:55]
	v_add_f64 v[0:1], v[0:1], 0
	v_mul_f64 v[60:61], v[112:113], v[60:61]
	s_waitcnt vmcnt(42) lgkmcnt(9)
	v_mul_f64 v[2:3], v[156:157], v[58:59]
	v_fmac_f64_e32 v[2:3], v[158:159], v[52:53]
	v_add_f64 v[0:1], v[0:1], v[2:3]
	buffer_load_dword v193, off, s[0:3], 0 offset:212
	buffer_load_dword v192, off, s[0:3], 0 offset:208
	;; [unrolled: 1-line block ×4, first 2 shown]
	s_waitcnt vmcnt(44) lgkmcnt(8)
	v_mul_f64 v[4:5], v[164:165], v[56:57]
	s_waitcnt vmcnt(42) lgkmcnt(6)
	v_mul_f64 v[8:9], v[176:177], v[62:63]
	s_waitcnt vmcnt(40)
	v_fmac_f64_e32 v[8:9], v[178:179], v[64:65]
	v_mul_f64 v[56:57], v[166:167], v[56:57]
	s_waitcnt vmcnt(38)
	v_mul_f64 v[6:7], v[170:171], v[66:67]
	s_waitcnt vmcnt(36) lgkmcnt(4)
	v_mul_f64 v[12:13], v[184:185], v[68:69]
	s_waitcnt vmcnt(34)
	v_fmac_f64_e32 v[12:13], v[186:187], v[70:71]
	s_waitcnt vmcnt(32)
	v_mul_f64 v[10:11], v[180:181], v[72:73]
	s_waitcnt vmcnt(30) lgkmcnt(2)
	v_mul_f64 v[16:17], v[196:197], v[76:77]
	v_mul_f64 v[76:77], v[198:199], v[76:77]
	s_waitcnt vmcnt(27)
	v_mul_f64 v[14:15], v[188:189], v[74:75]
	s_waitcnt vmcnt(25) lgkmcnt(1)
	v_mul_f64 v[18:19], v[84:85], v[92:93]
	s_waitcnt vmcnt(23)
	v_fmac_f64_e32 v[4:5], v[166:167], v[98:99]
	v_add_f64 v[0:1], v[0:1], v[4:5]
	s_waitcnt vmcnt(21)
	v_fmac_f64_e32 v[6:7], v[172:173], v[94:95]
	v_add_f64 v[0:1], v[0:1], v[6:7]
	;; [unrolled: 3-line block ×3, first 2 shown]
	v_add_f64 v[0:1], v[0:1], v[10:11]
	s_waitcnt vmcnt(17)
	v_fmac_f64_e32 v[14:15], v[190:191], v[80:81]
	v_add_f64 v[0:1], v[0:1], v[12:13]
	s_waitcnt vmcnt(16)
	v_fmac_f64_e32 v[16:17], v[198:199], v[78:79]
	v_add_f64 v[0:1], v[0:1], v[14:15]
	v_add_f64 v[0:1], v[0:1], v[16:17]
	v_fma_f64 v[98:99], v[164:165], v[98:99], -v[56:57]
	s_waitcnt vmcnt(10)
	v_fmac_f64_e32 v[18:19], v[86:87], v[108:109]
	v_add_f64 v[0:1], v[0:1], v[18:19]
	v_mul_f64 v[56:57], v[172:173], v[66:67]
	v_mul_f64 v[86:87], v[86:87], v[92:93]
	v_fma_f64 v[108:109], v[84:85], v[108:109], -v[86:87]
	s_waitcnt vmcnt(0)
	v_pk_mov_b32 v[16:17], v[2:3], v[2:3] op_sel:[0,1]
	buffer_load_dword v3, off, s[0:3], 0 offset:260
	buffer_load_dword v2, off, s[0:3], 0 offset:256
	v_accvgpr_write_b32 a129, v17
	v_accvgpr_write_b32 a128, v16
	s_waitcnt vmcnt(0)
	v_pk_mov_b32 v[20:21], v[2:3], v[2:3] op_sel:[0,1]
	buffer_load_dword v219, off, s[0:3], 0 offset:252
	buffer_load_dword v218, off, s[0:3], 0 offset:248
	buffer_load_dword v221, off, s[0:3], 0 offset:244
	buffer_load_dword v220, off, s[0:3], 0 offset:240
	buffer_load_dword v3, off, s[0:3], 0 offset:300
	buffer_load_dword v2, off, s[0:3], 0 offset:296
	buffer_load_dword v209, off, s[0:3], 0 offset:292
	buffer_load_dword v208, off, s[0:3], 0 offset:288
	buffer_load_dword v125, off, s[0:3], 0 offset:284
	buffer_load_dword v124, off, s[0:3], 0 offset:280
	buffer_load_dword v129, off, s[0:3], 0 offset:276
	buffer_load_dword v128, off, s[0:3], 0 offset:272
	buffer_load_dword v211, off, s[0:3], 0 offset:332
	buffer_load_dword v210, off, s[0:3], 0 offset:328
	buffer_load_dword v213, off, s[0:3], 0 offset:324
	buffer_load_dword v212, off, s[0:3], 0 offset:320
	buffer_load_dword v223, off, s[0:3], 0 offset:316
	buffer_load_dword v222, off, s[0:3], 0 offset:312
	buffer_load_dword v225, off, s[0:3], 0 offset:308
	buffer_load_dword v224, off, s[0:3], 0 offset:304
	buffer_load_dword v215, off, s[0:3], 0 offset:364
	buffer_load_dword v214, off, s[0:3], 0 offset:360
	buffer_load_dword v217, off, s[0:3], 0 offset:356
	buffer_load_dword v216, off, s[0:3], 0 offset:352
	buffer_load_dword v227, off, s[0:3], 0 offset:348
	buffer_load_dword v226, off, s[0:3], 0 offset:344
	buffer_load_dword v229, off, s[0:3], 0 offset:340
	buffer_load_dword v228, off, s[0:3], 0 offset:336
	buffer_load_dword v207, off, s[0:3], 0 offset:396
	buffer_load_dword v206, off, s[0:3], 0 offset:392
	buffer_load_dword v205, off, s[0:3], 0 offset:388
	buffer_load_dword v204, off, s[0:3], 0 offset:384
	buffer_load_dword v231, off, s[0:3], 0 offset:380
	buffer_load_dword v230, off, s[0:3], 0 offset:376
	buffer_load_dword v233, off, s[0:3], 0 offset:372
	buffer_load_dword v232, off, s[0:3], 0 offset:368
	buffer_load_dword v127, off, s[0:3], 0 offset:428
	buffer_load_dword v126, off, s[0:3], 0 offset:424
	buffer_load_dword v131, off, s[0:3], 0 offset:420
	buffer_load_dword v130, off, s[0:3], 0 offset:416
	buffer_load_dword v235, off, s[0:3], 0 offset:412
	buffer_load_dword v234, off, s[0:3], 0 offset:408
	buffer_load_dword v237, off, s[0:3], 0 offset:404
	buffer_load_dword v236, off, s[0:3], 0 offset:400
	buffer_load_dword v133, off, s[0:3], 0 offset:460
	buffer_load_dword v132, off, s[0:3], 0 offset:456
	buffer_load_dword v135, off, s[0:3], 0 offset:452
	buffer_load_dword v134, off, s[0:3], 0 offset:448
	buffer_load_dword v239, off, s[0:3], 0 offset:444
	buffer_load_dword v238, off, s[0:3], 0 offset:440
	buffer_load_dword v241, off, s[0:3], 0 offset:436
	buffer_load_dword v240, off, s[0:3], 0 offset:432
	buffer_load_dword v137, off, s[0:3], 0 offset:492
	buffer_load_dword v136, off, s[0:3], 0 offset:488
	buffer_load_dword v139, off, s[0:3], 0 offset:484
	buffer_load_dword v138, off, s[0:3], 0 offset:480
	buffer_load_dword v243, off, s[0:3], 0 offset:476
	buffer_load_dword v242, off, s[0:3], 0 offset:472
	buffer_load_dword v245, off, s[0:3], 0 offset:468
	buffer_load_dword v244, off, s[0:3], 0 offset:464
	buffer_load_dword v141, off, s[0:3], 0 offset:524
	buffer_load_dword v140, off, s[0:3], 0 offset:520
	buffer_load_dword v143, off, s[0:3], 0 offset:516
	buffer_load_dword v142, off, s[0:3], 0 offset:512
	buffer_load_dword v247, off, s[0:3], 0 offset:508
	buffer_load_dword v246, off, s[0:3], 0 offset:504
	buffer_load_dword v249, off, s[0:3], 0 offset:500
	buffer_load_dword v248, off, s[0:3], 0 offset:496
	ds_read_b128 v[200:203], v194 offset:880
	ds_read_b128 v[114:117], v194 offset:896
	ds_read_b128 v[118:121], v194 offset:912
	ds_read_b128 v[144:147], v194 offset:928
	v_accvgpr_write_b32 a131, v21
	v_accvgpr_write_b32 a130, v20
	s_waitcnt lgkmcnt(2)
	v_mul_f64 v[6:7], v[114:115], v[102:103]
	v_fmac_f64_e32 v[6:7], v[116:117], v[104:105]
	s_waitcnt lgkmcnt(0)
	v_mul_f64 v[14:15], v[144:145], v[16:17]
	v_fmac_f64_e32 v[14:15], v[146:147], v[20:21]
	s_waitcnt vmcnt(62)
	v_mul_f64 v[10:11], v[118:119], v[218:219]
	v_fmac_f64_e32 v[10:11], v[120:121], v[220:221]
	v_pk_mov_b32 v[24:25], v[2:3], v[2:3] op_sel:[0,1]
	v_mul_f64 v[2:3], v[88:89], v[96:97]
	v_fmac_f64_e32 v[2:3], v[90:91], v[100:101]
	v_add_f64 v[0:1], v[0:1], v[2:3]
	v_mul_f64 v[2:3], v[200:201], v[106:107]
	v_fmac_f64_e32 v[2:3], v[202:203], v[192:193]
	v_add_f64 v[4:5], v[0:1], v[2:3]
	v_add_f64 v[8:9], v[4:5], v[6:7]
	;; [unrolled: 1-line block ×3, first 2 shown]
	ds_read_b128 v[8:11], v194 offset:944
	v_add_f64 v[16:17], v[12:13], v[14:15]
	ds_read_b128 v[12:15], v194 offset:960
	v_accvgpr_write_b32 a133, v25
	v_accvgpr_write_b32 a132, v24
	s_waitcnt vmcnt(58) lgkmcnt(1)
	v_mul_f64 v[18:19], v[8:9], v[124:125]
	s_waitcnt vmcnt(56)
	v_fmac_f64_e32 v[18:19], v[10:11], v[128:129]
	v_add_f64 v[20:21], v[16:17], v[18:19]
	ds_read_b128 v[16:19], v194 offset:976
	s_waitcnt lgkmcnt(1)
	v_mul_f64 v[22:23], v[12:13], v[24:25]
	v_fmac_f64_e32 v[22:23], v[14:15], v[208:209]
	v_add_f64 v[24:25], v[20:21], v[22:23]
	ds_read_b128 v[20:23], v194 offset:992
	s_waitcnt vmcnt(50) lgkmcnt(1)
	v_mul_f64 v[26:27], v[16:17], v[222:223]
	s_waitcnt vmcnt(48)
	v_fmac_f64_e32 v[26:27], v[18:19], v[224:225]
	v_add_f64 v[28:29], v[24:25], v[26:27]
	ds_read_b128 v[24:27], v194 offset:1008
	s_waitcnt lgkmcnt(1)
	v_mul_f64 v[30:31], v[20:21], v[210:211]
	v_fmac_f64_e32 v[30:31], v[22:23], v[212:213]
	v_add_f64 v[32:33], v[28:29], v[30:31]
	ds_read_b128 v[28:31], v194 offset:1024
	;; [unrolled: 11-line block ×4, first 2 shown]
	s_waitcnt vmcnt(26) lgkmcnt(1)
	v_mul_f64 v[50:51], v[40:41], v[234:235]
	s_waitcnt vmcnt(24)
	v_fmac_f64_e32 v[50:51], v[42:43], v[236:237]
	v_add_f64 v[152:153], v[48:49], v[50:51]
	ds_read_b128 v[48:51], v194 offset:1104
	buffer_load_dword v6, off, s[0:3], 0 offset:552
	buffer_load_dword v149, off, s[0:3], 0 offset:540
	;; [unrolled: 1-line block ×8, first 2 shown]
	s_waitcnt lgkmcnt(1)
	v_mul_f64 v[154:155], v[44:45], v[126:127]
	v_fmac_f64_e32 v[154:155], v[46:47], v[130:131]
	v_add_f64 v[254:255], v[152:153], v[154:155]
	buffer_load_dword v153, off, s[0:3], 0 offset:572
	buffer_load_dword v152, off, s[0:3], 0 offset:568
	;; [unrolled: 1-line block ×4, first 2 shown]
	v_mul_f64 v[2:3], v[158:159], v[58:59]
	v_fma_f64 v[2:3], v[156:157], v[52:53], -v[2:3]
	buffer_load_dword v157, off, s[0:3], 0 offset:588
	buffer_load_dword v156, off, s[0:3], 0 offset:584
	;; [unrolled: 1-line block ×8, first 2 shown]
	v_fma_f64 v[4:5], v[110:111], v[54:55], -v[60:61]
	ds_read_b128 v[52:55], v194 offset:1120
	buffer_load_dword v166, off, s[0:3], 0 offset:616
	buffer_load_dword v168, off, s[0:3], 0 offset:608
	;; [unrolled: 1-line block ×4, first 2 shown]
	v_fma_f64 v[110:111], v[170:171], v[94:95], -v[56:57]
	buffer_load_dword v164, off, s[0:3], 0 offset:648
	buffer_load_dword v173, off, s[0:3], 0 offset:636
	;; [unrolled: 1-line block ×12, first 2 shown]
	s_waitcnt vmcnt(54) lgkmcnt(1)
	v_mul_f64 v[56:57], v[48:49], v[238:239]
	v_mul_f64 v[58:59], v[178:179], v[62:63]
	s_waitcnt vmcnt(52)
	v_fmac_f64_e32 v[56:57], v[50:51], v[240:241]
	v_fma_f64 v[176:177], v[176:177], v[64:65], -v[58:59]
	s_waitcnt lgkmcnt(0)
	v_mul_f64 v[58:59], v[52:53], v[132:133]
	v_add_f64 v[56:57], v[254:255], v[56:57]
	v_fmac_f64_e32 v[58:59], v[54:55], v[134:135]
	v_add_f64 v[94:95], v[56:57], v[58:59]
	ds_read_b128 v[56:59], v194 offset:1136
	v_mul_f64 v[60:61], v[182:183], v[72:73]
	v_fma_f64 v[180:181], v[180:181], v[82:83], -v[60:61]
	ds_read_b128 v[60:63], v194 offset:1152
	v_mul_f64 v[64:65], v[186:187], v[68:69]
	v_fma_f64 v[186:187], v[184:185], v[70:71], -v[64:65]
	ds_read_b128 v[64:67], v194 offset:1168
	s_waitcnt vmcnt(46) lgkmcnt(2)
	v_mul_f64 v[72:73], v[56:57], v[242:243]
	s_waitcnt vmcnt(44)
	v_fmac_f64_e32 v[72:73], v[58:59], v[244:245]
	s_waitcnt lgkmcnt(1)
	v_mul_f64 v[70:71], v[60:61], v[136:137]
	v_add_f64 v[68:69], v[94:95], v[72:73]
	v_fmac_f64_e32 v[70:71], v[62:63], v[138:139]
	v_mul_f64 v[72:73], v[190:191], v[74:75]
	v_add_f64 v[68:69], v[68:69], v[70:71]
	v_fma_f64 v[188:189], v[188:189], v[80:81], -v[72:73]
	ds_read_b128 v[72:75], v194 offset:1200
	s_waitcnt vmcnt(38) lgkmcnt(1)
	v_mul_f64 v[70:71], v[64:65], v[246:247]
	s_waitcnt vmcnt(36)
	v_fmac_f64_e32 v[70:71], v[66:67], v[248:249]
	v_add_f64 v[82:83], v[68:69], v[70:71]
	ds_read_b128 v[68:71], v194 offset:1184
	v_fma_f64 v[254:255], v[196:197], v[78:79], -v[76:77]
	ds_read_b128 v[76:79], v194 offset:1216
	v_mul_f64 v[90:91], v[90:91], v[96:97]
	v_fma_f64 v[0:1], v[88:89], v[100:101], -v[90:91]
	s_waitcnt lgkmcnt(1)
	v_mul_f64 v[80:81], v[68:69], v[140:141]
	v_fmac_f64_e32 v[80:81], v[70:71], v[142:143]
	v_add_f64 v[80:81], v[82:83], v[80:81]
	ds_read_b128 v[88:91], v194 offset:1264
	ds_read_b128 v[196:199], v194 offset:1296
	v_mul_f64 v[100:101], v[202:203], v[106:107]
	v_fma_f64 v[190:191], v[200:201], v[192:193], -v[100:101]
	v_mul_f64 v[100:101], v[116:117], v[102:103]
	v_fma_f64 v[116:117], v[114:115], v[104:105], -v[100:101]
	v_add_f64 v[4:5], v[4:5], 0
	v_add_f64 v[2:3], v[4:5], v[2:3]
	;; [unrolled: 1-line block ×10, first 2 shown]
	v_accvgpr_read_b32 v4, a130
	v_accvgpr_read_b32 v5, a131
	ds_read_b128 v[84:87], v194 offset:1248
	ds_read_b128 v[100:103], v194 offset:1312
	s_waitcnt vmcnt(33)
	v_mul_f64 v[82:83], v[72:73], v[148:149]
	s_waitcnt vmcnt(31)
	v_fmac_f64_e32 v[82:83], v[74:75], v[150:151]
	v_add_f64 v[80:81], v[80:81], v[82:83]
	s_waitcnt vmcnt(29) lgkmcnt(4)
	v_mul_f64 v[82:83], v[76:77], v[6:7]
	s_waitcnt vmcnt(28)
	v_fmac_f64_e32 v[82:83], v[78:79], v[122:123]
	v_add_f64 v[94:95], v[80:81], v[82:83]
	ds_read_b128 v[80:83], v194 offset:1232
	s_waitcnt vmcnt(26) lgkmcnt(0)
	v_mul_f64 v[92:93], v[80:81], v[152:153]
	s_waitcnt vmcnt(24)
	v_fmac_f64_e32 v[92:93], v[82:83], v[154:155]
	v_add_f64 v[92:93], v[94:95], v[92:93]
	s_waitcnt vmcnt(22)
	v_mul_f64 v[94:95], v[84:85], v[156:157]
	s_waitcnt vmcnt(20)
	v_fmac_f64_e32 v[94:95], v[86:87], v[160:161]
	v_add_f64 v[92:93], v[92:93], v[94:95]
	s_waitcnt vmcnt(18)
	v_mul_f64 v[94:95], v[88:89], v[158:159]
	s_waitcnt vmcnt(16)
	v_fmac_f64_e32 v[94:95], v[90:91], v[162:163]
	v_add_f64 v[96:97], v[92:93], v[94:95]
	ds_read_b128 v[92:95], v194 offset:1280
	s_waitcnt vmcnt(9)
	v_mul_f64 v[104:105], v[196:197], v[172:173]
	s_waitcnt vmcnt(7)
	v_fmac_f64_e32 v[104:105], v[198:199], v[174:175]
	s_waitcnt lgkmcnt(0)
	v_mul_f64 v[106:107], v[92:93], v[166:167]
	v_fmac_f64_e32 v[106:107], v[94:95], v[168:169]
	v_add_f64 v[96:97], v[96:97], v[106:107]
	v_add_f64 v[96:97], v[96:97], v[104:105]
	s_waitcnt vmcnt(5)
	v_mul_f64 v[104:105], v[100:101], v[164:165]
	s_waitcnt vmcnt(4)
	v_fmac_f64_e32 v[104:105], v[102:103], v[170:171]
	v_add_f64 v[96:97], v[96:97], v[104:105]
	ds_read_b128 v[104:107], v194 offset:1328
	s_waitcnt vmcnt(2) lgkmcnt(0)
	v_mul_f64 v[112:113], v[104:105], v[250:251]
	s_waitcnt vmcnt(0)
	v_fmac_f64_e32 v[112:113], v[106:107], v[252:253]
	v_add_f64 v[112:113], v[96:97], v[112:113]
	buffer_load_dword v96, off, s[0:3], 0 offset:680
	buffer_load_dword v97, off, s[0:3], 0 offset:684
	;; [unrolled: 1-line block ×4, first 2 shown]
	ds_read_b128 v[200:203], v194 offset:1344
	buffer_load_dword v183, off, s[0:3], 0 offset:700
	buffer_load_dword v182, off, s[0:3], 0 offset:696
	;; [unrolled: 1-line block ×4, first 2 shown]
	s_waitcnt vmcnt(6) lgkmcnt(0)
	v_mul_f64 v[114:115], v[200:201], v[96:97]
	s_waitcnt vmcnt(4)
	v_fmac_f64_e32 v[114:115], v[202:203], v[178:179]
	v_add_f64 v[192:193], v[112:113], v[114:115]
	ds_read_b128 v[112:115], v194 offset:1360
	buffer_load_dword v188, off, s[0:3], 0 offset:16
	buffer_load_dword v189, off, s[0:3], 0 offset:20
	;; [unrolled: 1-line block ×4, first 2 shown]
	s_waitcnt vmcnt(6) lgkmcnt(0)
	v_mul_f64 v[194:195], v[112:113], v[182:183]
	s_waitcnt vmcnt(4)
	v_fmac_f64_e32 v[194:195], v[114:115], v[184:185]
	v_add_f64 v[194:195], v[192:193], v[194:195]
	v_add_f64 v[192:193], v[2:3], v[0:1]
	;; [unrolled: 1-line block ×3, first 2 shown]
	v_mul_f64 v[2:3], v[120:121], v[218:219]
	v_add_f64 v[0:1], v[0:1], v[116:117]
	v_fma_f64 v[2:3], v[118:119], v[220:221], -v[2:3]
	v_add_f64 v[0:1], v[0:1], v[2:3]
	v_accvgpr_read_b32 v2, a128
	v_accvgpr_read_b32 v3, a129
	v_mul_f64 v[2:3], v[146:147], v[2:3]
	v_fma_f64 v[2:3], v[144:145], v[4:5], -v[2:3]
	v_add_f64 v[0:1], v[0:1], v[2:3]
	v_mul_f64 v[2:3], v[10:11], v[124:125]
	v_fma_f64 v[2:3], v[8:9], v[128:129], -v[2:3]
	v_add_f64 v[0:1], v[0:1], v[2:3]
	v_accvgpr_read_b32 v2, a132
	v_accvgpr_read_b32 v3, a133
	v_mul_f64 v[2:3], v[14:15], v[2:3]
	v_fma_f64 v[2:3], v[12:13], v[208:209], -v[2:3]
	v_add_f64 v[0:1], v[0:1], v[2:3]
	v_mul_f64 v[2:3], v[18:19], v[222:223]
	v_fma_f64 v[2:3], v[16:17], v[224:225], -v[2:3]
	v_add_f64 v[0:1], v[0:1], v[2:3]
	;; [unrolled: 3-line block ×26, first 2 shown]
	s_waitcnt vmcnt(2)
	v_add_f64 v[0:1], v[188:189], -v[0:1]
	s_waitcnt vmcnt(0)
	v_add_f64 v[2:3], v[186:187], -v[194:195]
	buffer_store_dword v1, off, s[0:3], 0 offset:20
	buffer_store_dword v0, off, s[0:3], 0 offset:16
	buffer_store_dword v3, off, s[0:3], 0 offset:28
	buffer_store_dword v2, off, s[0:3], 0 offset:24
	s_cbranch_vccz .LBB42_357
; %bb.272:
	v_pk_mov_b32 v[0:1], s[10:11], s[10:11] op_sel:[0,1]
	flat_load_dword v0, v[0:1] offset:164
	s_waitcnt vmcnt(0) lgkmcnt(0)
	v_add_u32_e32 v0, -1, v0
	v_cmp_ne_u32_e32 vcc, 41, v0
	s_and_saveexec_b64 s[4:5], vcc
	s_cbranch_execz .LBB42_274
; %bb.273:
	v_mov_b32_e32 v1, 16
	v_accvgpr_read_b32 v9, a87
	v_lshl_add_u32 v0, v0, 4, v1
	buffer_load_dword v1, v9, s[0:3], 0 offen offset:4
	buffer_load_dword v2, v9, s[0:3], 0 offen offset:8
	buffer_load_dword v3, v9, s[0:3], 0 offen offset:12
	buffer_load_dword v4, v0, s[0:3], 0 offen
	buffer_load_dword v5, v0, s[0:3], 0 offen offset:4
	buffer_load_dword v6, v0, s[0:3], 0 offen offset:8
	buffer_load_dword v7, v0, s[0:3], 0 offen offset:12
	buffer_load_dword v8, v9, s[0:3], 0 offen
	s_waitcnt vmcnt(4)
	buffer_store_dword v4, v9, s[0:3], 0 offen
	s_waitcnt vmcnt(4)
	buffer_store_dword v5, v9, s[0:3], 0 offen offset:4
	s_waitcnt vmcnt(4)
	buffer_store_dword v6, v9, s[0:3], 0 offen offset:8
	s_waitcnt vmcnt(4)
	buffer_store_dword v7, v9, s[0:3], 0 offen offset:12
	buffer_store_dword v3, v0, s[0:3], 0 offen offset:12
	buffer_store_dword v2, v0, s[0:3], 0 offen offset:8
	buffer_store_dword v1, v0, s[0:3], 0 offen offset:4
	s_waitcnt vmcnt(7)
	buffer_store_dword v8, v0, s[0:3], 0 offen
.LBB42_274:
	s_or_b64 exec, exec, s[4:5]
	v_pk_mov_b32 v[0:1], s[10:11], s[10:11] op_sel:[0,1]
	flat_load_dword v0, v[0:1] offset:160
	s_waitcnt vmcnt(0) lgkmcnt(0)
	v_add_u32_e32 v0, -1, v0
	v_cmp_ne_u32_e32 vcc, 40, v0
	s_and_saveexec_b64 s[4:5], vcc
	s_cbranch_execz .LBB42_276
; %bb.275:
	v_mov_b32_e32 v1, 16
	v_accvgpr_read_b32 v9, a88
	v_lshl_add_u32 v0, v0, 4, v1
	buffer_load_dword v1, v9, s[0:3], 0 offen offset:4
	buffer_load_dword v2, v9, s[0:3], 0 offen offset:8
	buffer_load_dword v3, v9, s[0:3], 0 offen offset:12
	buffer_load_dword v4, v0, s[0:3], 0 offen
	buffer_load_dword v5, v0, s[0:3], 0 offen offset:4
	buffer_load_dword v6, v0, s[0:3], 0 offen offset:8
	buffer_load_dword v7, v0, s[0:3], 0 offen offset:12
	buffer_load_dword v8, v9, s[0:3], 0 offen
	s_waitcnt vmcnt(4)
	buffer_store_dword v4, v9, s[0:3], 0 offen
	s_waitcnt vmcnt(4)
	buffer_store_dword v5, v9, s[0:3], 0 offen offset:4
	s_waitcnt vmcnt(4)
	buffer_store_dword v6, v9, s[0:3], 0 offen offset:8
	s_waitcnt vmcnt(4)
	buffer_store_dword v7, v9, s[0:3], 0 offen offset:12
	buffer_store_dword v3, v0, s[0:3], 0 offen offset:12
	buffer_store_dword v2, v0, s[0:3], 0 offen offset:8
	buffer_store_dword v1, v0, s[0:3], 0 offen offset:4
	s_waitcnt vmcnt(7)
	buffer_store_dword v8, v0, s[0:3], 0 offen
.LBB42_276:
	s_or_b64 exec, exec, s[4:5]
	;; [unrolled: 34-line block ×41, first 2 shown]
	v_pk_mov_b32 v[0:1], s[10:11], s[10:11] op_sel:[0,1]
	flat_load_dword v0, v[0:1]
	s_waitcnt vmcnt(0) lgkmcnt(0)
	v_add_u32_e32 v0, -1, v0
	v_cmp_ne_u32_e32 vcc, 0, v0
	s_and_saveexec_b64 s[4:5], vcc
	s_cbranch_execz .LBB42_356
; %bb.355:
	v_mov_b32_e32 v1, 16
	v_lshl_add_u32 v0, v0, 4, v1
	buffer_load_dword v1, v0, s[0:3], 0 offen
	buffer_load_dword v2, v0, s[0:3], 0 offen offset:4
	buffer_load_dword v3, v0, s[0:3], 0 offen offset:8
	;; [unrolled: 1-line block ×3, first 2 shown]
	buffer_load_dword v5, off, s[0:3], 0 offset:28
	buffer_load_dword v6, off, s[0:3], 0 offset:24
	;; [unrolled: 1-line block ×4, first 2 shown]
	s_waitcnt vmcnt(7)
	buffer_store_dword v1, off, s[0:3], 0 offset:16
	s_waitcnt vmcnt(7)
	buffer_store_dword v2, off, s[0:3], 0 offset:20
	;; [unrolled: 2-line block ×4, first 2 shown]
	s_waitcnt vmcnt(7)
	buffer_store_dword v5, v0, s[0:3], 0 offen offset:12
	s_waitcnt vmcnt(7)
	buffer_store_dword v6, v0, s[0:3], 0 offen offset:8
	;; [unrolled: 2-line block ×3, first 2 shown]
	s_waitcnt vmcnt(7)
	buffer_store_dword v8, v0, s[0:3], 0 offen
.LBB42_356:
	s_or_b64 exec, exec, s[4:5]
.LBB42_357:
	buffer_load_dword v0, off, s[0:3], 0 offset:16
	buffer_load_dword v1, off, s[0:3], 0 offset:20
	;; [unrolled: 1-line block ×4, first 2 shown]
	v_accvgpr_read_b32 v5, a1
	v_accvgpr_read_b32 v4, a0
	s_waitcnt vmcnt(0)
	global_store_dwordx4 v[4:5], v[0:3], off
	s_nop 0
	v_accvgpr_read_b32 v3, a127
	buffer_load_dword v0, v3, s[0:3], 0 offen
	buffer_load_dword v1, v3, s[0:3], 0 offen offset:4
	buffer_load_dword v2, v3, s[0:3], 0 offen offset:8
	s_nop 0
	buffer_load_dword v3, v3, s[0:3], 0 offen offset:12
	v_accvgpr_read_b32 v5, a3
	v_accvgpr_read_b32 v4, a2
	s_waitcnt vmcnt(0)
	global_store_dwordx4 v[4:5], v[0:3], off
	v_accvgpr_read_b32 v4, a126
	buffer_load_dword v0, v4, s[0:3], 0 offen
	buffer_load_dword v1, v4, s[0:3], 0 offen offset:4
	buffer_load_dword v2, v4, s[0:3], 0 offen offset:8
	buffer_load_dword v3, v4, s[0:3], 0 offen offset:12
	v_accvgpr_read_b32 v4, a4
	v_accvgpr_read_b32 v5, a5
	s_waitcnt vmcnt(0)
	global_store_dwordx4 v[4:5], v[0:3], off
	v_accvgpr_read_b32 v4, a125
	buffer_load_dword v0, v4, s[0:3], 0 offen
	buffer_load_dword v1, v4, s[0:3], 0 offen offset:4
	buffer_load_dword v2, v4, s[0:3], 0 offen offset:8
	;; [unrolled: 9-line block ×41, first 2 shown]
	buffer_load_dword v3, v4, s[0:3], 0 offen offset:12
	v_accvgpr_read_b32 v4, a46
	v_accvgpr_read_b32 v5, a47
	s_waitcnt vmcnt(0)
	global_store_dwordx4 v[4:5], v[0:3], off
	s_endpgm
	.section	.rodata,"a",@progbits
	.p2align	6, 0x0
	.amdhsa_kernel _ZN9rocsolver6v33100L18getri_kernel_smallILi43E19rocblas_complex_numIdEPS3_EEvT1_iilPiilS6_bb
		.amdhsa_group_segment_fixed_size 1384
		.amdhsa_private_segment_fixed_size 720
		.amdhsa_kernarg_size 60
		.amdhsa_user_sgpr_count 8
		.amdhsa_user_sgpr_private_segment_buffer 1
		.amdhsa_user_sgpr_dispatch_ptr 0
		.amdhsa_user_sgpr_queue_ptr 0
		.amdhsa_user_sgpr_kernarg_segment_ptr 1
		.amdhsa_user_sgpr_dispatch_id 0
		.amdhsa_user_sgpr_flat_scratch_init 1
		.amdhsa_user_sgpr_kernarg_preload_length 0
		.amdhsa_user_sgpr_kernarg_preload_offset 0
		.amdhsa_user_sgpr_private_segment_size 0
		.amdhsa_uses_dynamic_stack 0
		.amdhsa_system_sgpr_private_segment_wavefront_offset 1
		.amdhsa_system_sgpr_workgroup_id_x 1
		.amdhsa_system_sgpr_workgroup_id_y 0
		.amdhsa_system_sgpr_workgroup_id_z 0
		.amdhsa_system_sgpr_workgroup_info 0
		.amdhsa_system_vgpr_workitem_id 0
		.amdhsa_next_free_vgpr 392
		.amdhsa_next_free_sgpr 23
		.amdhsa_accum_offset 256
		.amdhsa_reserve_vcc 1
		.amdhsa_reserve_flat_scratch 1
		.amdhsa_float_round_mode_32 0
		.amdhsa_float_round_mode_16_64 0
		.amdhsa_float_denorm_mode_32 3
		.amdhsa_float_denorm_mode_16_64 3
		.amdhsa_dx10_clamp 1
		.amdhsa_ieee_mode 1
		.amdhsa_fp16_overflow 0
		.amdhsa_tg_split 0
		.amdhsa_exception_fp_ieee_invalid_op 0
		.amdhsa_exception_fp_denorm_src 0
		.amdhsa_exception_fp_ieee_div_zero 0
		.amdhsa_exception_fp_ieee_overflow 0
		.amdhsa_exception_fp_ieee_underflow 0
		.amdhsa_exception_fp_ieee_inexact 0
		.amdhsa_exception_int_div_zero 0
	.end_amdhsa_kernel
	.section	.text._ZN9rocsolver6v33100L18getri_kernel_smallILi43E19rocblas_complex_numIdEPS3_EEvT1_iilPiilS6_bb,"axG",@progbits,_ZN9rocsolver6v33100L18getri_kernel_smallILi43E19rocblas_complex_numIdEPS3_EEvT1_iilPiilS6_bb,comdat
.Lfunc_end42:
	.size	_ZN9rocsolver6v33100L18getri_kernel_smallILi43E19rocblas_complex_numIdEPS3_EEvT1_iilPiilS6_bb, .Lfunc_end42-_ZN9rocsolver6v33100L18getri_kernel_smallILi43E19rocblas_complex_numIdEPS3_EEvT1_iilPiilS6_bb
                                        ; -- End function
	.section	.AMDGPU.csdata,"",@progbits
; Kernel info:
; codeLenInByte = 120540
; NumSgprs: 29
; NumVgprs: 256
; NumAgprs: 136
; TotalNumVgprs: 392
; ScratchSize: 720
; MemoryBound: 0
; FloatMode: 240
; IeeeMode: 1
; LDSByteSize: 1384 bytes/workgroup (compile time only)
; SGPRBlocks: 3
; VGPRBlocks: 48
; NumSGPRsForWavesPerEU: 29
; NumVGPRsForWavesPerEU: 392
; AccumOffset: 256
; Occupancy: 1
; WaveLimiterHint : 1
; COMPUTE_PGM_RSRC2:SCRATCH_EN: 1
; COMPUTE_PGM_RSRC2:USER_SGPR: 8
; COMPUTE_PGM_RSRC2:TRAP_HANDLER: 0
; COMPUTE_PGM_RSRC2:TGID_X_EN: 1
; COMPUTE_PGM_RSRC2:TGID_Y_EN: 0
; COMPUTE_PGM_RSRC2:TGID_Z_EN: 0
; COMPUTE_PGM_RSRC2:TIDIG_COMP_CNT: 0
; COMPUTE_PGM_RSRC3_GFX90A:ACCUM_OFFSET: 63
; COMPUTE_PGM_RSRC3_GFX90A:TG_SPLIT: 0
	.section	.text._ZN9rocsolver6v33100L18getri_kernel_smallILi44E19rocblas_complex_numIdEPS3_EEvT1_iilPiilS6_bb,"axG",@progbits,_ZN9rocsolver6v33100L18getri_kernel_smallILi44E19rocblas_complex_numIdEPS3_EEvT1_iilPiilS6_bb,comdat
	.globl	_ZN9rocsolver6v33100L18getri_kernel_smallILi44E19rocblas_complex_numIdEPS3_EEvT1_iilPiilS6_bb ; -- Begin function _ZN9rocsolver6v33100L18getri_kernel_smallILi44E19rocblas_complex_numIdEPS3_EEvT1_iilPiilS6_bb
	.p2align	8
	.type	_ZN9rocsolver6v33100L18getri_kernel_smallILi44E19rocblas_complex_numIdEPS3_EEvT1_iilPiilS6_bb,@function
_ZN9rocsolver6v33100L18getri_kernel_smallILi44E19rocblas_complex_numIdEPS3_EEvT1_iilPiilS6_bb: ; @_ZN9rocsolver6v33100L18getri_kernel_smallILi44E19rocblas_complex_numIdEPS3_EEvT1_iilPiilS6_bb
; %bb.0:
	s_add_u32 flat_scratch_lo, s6, s9
	s_addc_u32 flat_scratch_hi, s7, 0
	s_add_u32 s0, s0, s9
	v_mov_b32_e32 v255, v0
	s_addc_u32 s1, s1, 0
	v_cmp_gt_u32_e32 vcc, 44, v255
	s_and_saveexec_b64 s[6:7], vcc
	s_cbranch_execz .LBB43_190
; %bb.1:
	s_load_dword s22, s[4:5], 0x38
	s_load_dwordx4 s[16:19], s[4:5], 0x10
	s_load_dwordx4 s[12:15], s[4:5], 0x28
                                        ; implicit-def: $sgpr10_sgpr11
	s_waitcnt lgkmcnt(0)
	s_bitcmp1_b32 s22, 8
	s_cselect_b64 s[20:21], -1, 0
	s_ashr_i32 s9, s8, 31
	s_bfe_u32 s6, s22, 0x10008
	s_cmp_eq_u32 s6, 0
	s_cbranch_scc1 .LBB43_3
; %bb.2:
	s_load_dword s6, s[4:5], 0x20
	s_mul_i32 s7, s8, s13
	s_mul_hi_u32 s10, s8, s12
	s_mul_i32 s11, s9, s12
	s_add_i32 s10, s10, s7
	s_add_i32 s11, s10, s11
	s_mul_i32 s10, s8, s12
	s_waitcnt lgkmcnt(0)
	s_ashr_i32 s7, s6, 31
	s_lshl_b64 s[10:11], s[10:11], 2
	s_add_u32 s10, s18, s10
	s_addc_u32 s11, s19, s11
	s_lshl_b64 s[6:7], s[6:7], 2
	s_add_u32 s10, s10, s6
	s_addc_u32 s11, s11, s7
.LBB43_3:
	s_load_dwordx4 s[4:7], s[4:5], 0x0
	s_mul_i32 s12, s8, s17
	s_mul_hi_u32 s13, s8, s16
	s_add_i32 s17, s13, s12
	v_lshlrev_b32_e32 v1, 4, v255
	s_waitcnt lgkmcnt(0)
	s_ashr_i32 s13, s6, 31
	s_mov_b32 s12, s6
	s_mul_i32 s6, s9, s16
	s_add_i32 s17, s17, s6
	s_mul_i32 s16, s8, s16
	s_lshl_b64 s[16:17], s[16:17], 4
	s_add_u32 s6, s4, s16
	s_addc_u32 s16, s5, s17
	s_lshl_b64 s[4:5], s[12:13], 4
	s_add_u32 s4, s6, s4
	s_addc_u32 s5, s16, s5
	s_add_i32 s6, s7, s7
	v_add_u32_e32 v2, s6, v255
	v_ashrrev_i32_e32 v3, 31, v2
	global_load_dwordx4 v[6:9], v1, s[4:5]
	v_lshlrev_b64 v[4:5], 4, v[2:3]
	v_mov_b32_e32 v3, s5
	v_add_co_u32_e32 v12, vcc, s4, v1
	s_mov_b32 s12, s7
	s_ashr_i32 s13, s7, 31
	v_addc_co_u32_e32 v13, vcc, 0, v3, vcc
	s_lshl_b64 s[12:13], s[12:13], 4
	v_mov_b32_e32 v3, s13
	v_add_co_u32_e32 v10, vcc, s12, v12
	v_addc_co_u32_e32 v11, vcc, v13, v3, vcc
	global_load_dwordx4 v[54:57], v[10:11], off
	v_mov_b32_e32 v0, s5
	v_add_co_u32_e32 v4, vcc, s4, v4
	v_accvgpr_write_b32 a71, v13
	v_accvgpr_write_b32 a65, v11
	v_addc_co_u32_e32 v5, vcc, v0, v5, vcc
	v_accvgpr_write_b32 a70, v12
	v_accvgpr_write_b32 a64, v10
	global_load_dwordx4 v[10:13], v[4:5], off
	v_add_u32_e32 v58, s7, v2
	v_add_u32_e32 v60, s7, v58
	;; [unrolled: 1-line block ×41, first 2 shown]
	v_ashrrev_i32_e32 v3, 31, v2
	v_lshlrev_b64 v[2:3], 4, v[2:3]
	v_add_co_u32_e32 v2, vcc, s4, v2
	v_accvgpr_write_b32 a51, v5
	v_addc_co_u32_e32 v3, vcc, v0, v3, vcc
	v_accvgpr_write_b32 a0, v2
	v_ashrrev_i32_e32 v59, 31, v58
	v_accvgpr_write_b32 a50, v4
	v_accvgpr_write_b32 a1, v3
	global_load_dwordx4 v[2:5], v[2:3], off
	s_waitcnt vmcnt(3)
	buffer_store_dword v9, off, s[0:3], 0 offset:28
	buffer_store_dword v8, off, s[0:3], 0 offset:24
	;; [unrolled: 1-line block ×4, first 2 shown]
	s_waitcnt vmcnt(6)
	buffer_store_dword v57, off, s[0:3], 0 offset:44
	buffer_store_dword v56, off, s[0:3], 0 offset:40
	;; [unrolled: 1-line block ×4, first 2 shown]
	s_waitcnt vmcnt(9)
	buffer_store_dword v13, off, s[0:3], 0 offset:60
	v_lshlrev_b64 v[6:7], 4, v[58:59]
	v_add_co_u32_e32 v8, vcc, s4, v6
	v_addc_co_u32_e32 v9, vcc, v0, v7, vcc
	v_ashrrev_i32_e32 v61, 31, v60
	global_load_dwordx4 v[54:57], v[8:9], off
	v_lshlrev_b64 v[6:7], 4, v[60:61]
	v_add_co_u32_e32 v6, vcc, s4, v6
	v_addc_co_u32_e32 v7, vcc, v0, v7, vcc
	global_load_dwordx4 v[58:61], v[6:7], off
	v_accvgpr_write_b32 a83, v7
	v_ashrrev_i32_e32 v63, 31, v62
	v_accvgpr_write_b32 a87, v9
	v_accvgpr_write_b32 a82, v6
	v_lshlrev_b64 v[6:7], 4, v[62:63]
	v_accvgpr_write_b32 a86, v8
	v_add_co_u32_e32 v8, vcc, s4, v6
	v_addc_co_u32_e32 v9, vcc, v0, v7, vcc
	v_ashrrev_i32_e32 v65, 31, v64
	v_lshlrev_b64 v[6:7], 4, v[64:65]
	global_load_dwordx4 v[62:65], v[8:9], off
	v_add_co_u32_e32 v6, vcc, s4, v6
	v_addc_co_u32_e32 v7, vcc, v0, v7, vcc
	global_load_dwordx4 v[66:69], v[6:7], off
	v_accvgpr_write_b32 a79, v7
	v_ashrrev_i32_e32 v71, 31, v70
	v_accvgpr_write_b32 a85, v9
	v_accvgpr_write_b32 a78, v6
	v_lshlrev_b64 v[6:7], 4, v[70:71]
	v_accvgpr_write_b32 a84, v8
	v_add_co_u32_e32 v8, vcc, s4, v6
	v_addc_co_u32_e32 v9, vcc, v0, v7, vcc
	v_ashrrev_i32_e32 v73, 31, v72
	v_lshlrev_b64 v[6:7], 4, v[72:73]
	global_load_dwordx4 v[70:73], v[8:9], off
	;; [unrolled: 14-line block ×9, first 2 shown]
	v_add_co_u32_e32 v6, vcc, s4, v6
	v_addc_co_u32_e32 v7, vcc, v0, v7, vcc
	v_accvgpr_write_b32 a21, v9
	v_accvgpr_write_b32 a13, v7
	v_accvgpr_write_b32 a20, v8
	v_accvgpr_write_b32 a12, v6
	global_load_dwordx4 v[6:9], v[6:7], off
	v_ashrrev_i32_e32 v53, 31, v52
	buffer_store_dword v12, off, s[0:3], 0 offset:56
	buffer_store_dword v11, off, s[0:3], 0 offset:52
	buffer_store_dword v10, off, s[0:3], 0 offset:48
	s_waitcnt vmcnt(22)
	buffer_store_dword v57, off, s[0:3], 0 offset:76
	buffer_store_dword v56, off, s[0:3], 0 offset:72
	buffer_store_dword v55, off, s[0:3], 0 offset:68
	buffer_store_dword v54, off, s[0:3], 0 offset:64
	s_waitcnt vmcnt(25)
	buffer_store_dword v61, off, s[0:3], 0 offset:92
	;; [unrolled: 5-line block ×15, first 2 shown]
	buffer_store_dword v112, off, s[0:3], 0 offset:296
	buffer_store_dword v111, off, s[0:3], 0 offset:292
	buffer_store_dword v110, off, s[0:3], 0 offset:288
	buffer_store_dword v117, off, s[0:3], 0 offset:316
	buffer_store_dword v116, off, s[0:3], 0 offset:312
	buffer_store_dword v115, off, s[0:3], 0 offset:308
	buffer_store_dword v114, off, s[0:3], 0 offset:304
	buffer_store_dword v121, off, s[0:3], 0 offset:332
	buffer_store_dword v120, off, s[0:3], 0 offset:328
	buffer_store_dword v119, off, s[0:3], 0 offset:324
	buffer_store_dword v118, off, s[0:3], 0 offset:320
	s_waitcnt vmcnt(62)
	buffer_store_dword v125, off, s[0:3], 0 offset:348
	buffer_store_dword v124, off, s[0:3], 0 offset:344
	;; [unrolled: 1-line block ×9, first 2 shown]
	v_lshlrev_b64 v[10:11], 4, v[52:53]
	v_add_co_u32_e32 v12, vcc, s4, v10
	v_ashrrev_i32_e32 v51, 31, v50
	v_addc_co_u32_e32 v13, vcc, v0, v11, vcc
	v_lshlrev_b64 v[10:11], 4, v[50:51]
	v_add_co_u32_e32 v50, vcc, s4, v10
	v_accvgpr_write_b32 a77, v13
	v_addc_co_u32_e32 v51, vcc, v0, v11, vcc
	v_accvgpr_write_b32 a76, v12
	global_load_dwordx4 v[10:13], v[12:13], off
	v_accvgpr_write_b32 a67, v51
	v_ashrrev_i32_e32 v49, 31, v48
	v_accvgpr_write_b32 a66, v50
	global_load_dwordx4 v[50:53], v[50:51], off
	v_lshlrev_b64 v[48:49], 4, v[48:49]
	v_add_co_u32_e32 v48, vcc, s4, v48
	v_ashrrev_i32_e32 v47, 31, v46
	v_addc_co_u32_e32 v49, vcc, v0, v49, vcc
	v_lshlrev_b64 v[46:47], 4, v[46:47]
	v_add_co_u32_e32 v54, vcc, s4, v46
	v_accvgpr_write_b32 a69, v49
	v_addc_co_u32_e32 v55, vcc, v0, v47, vcc
	v_accvgpr_write_b32 a68, v48
	global_load_dwordx4 v[46:49], v[48:49], off
	v_accvgpr_write_b32 a57, v55
	v_ashrrev_i32_e32 v45, 31, v44
	v_accvgpr_write_b32 a56, v54
	global_load_dwordx4 v[54:57], v[54:55], off
	;; [unrolled: 14-line block ×8, first 2 shown]
	v_lshlrev_b64 v[20:21], 4, v[20:21]
	v_add_co_u32_e32 v20, vcc, s4, v20
	v_ashrrev_i32_e32 v19, 31, v18
	v_addc_co_u32_e32 v21, vcc, v0, v21, vcc
	v_lshlrev_b64 v[18:19], 4, v[18:19]
	v_add_co_u32_e32 v82, vcc, s4, v18
	v_accvgpr_write_b32 a10, v20
	v_addc_co_u32_e32 v83, vcc, v0, v19, vcc
	v_accvgpr_write_b32 a11, v21
	global_load_dwordx4 v[18:21], v[20:21], off
	v_accvgpr_write_b32 a4, v82
	v_accvgpr_write_b32 a5, v83
	global_load_dwordx4 v[82:85], v[82:83], off
	v_ashrrev_i32_e32 v17, 31, v16
	v_lshlrev_b64 v[16:17], 4, v[16:17]
	v_add_co_u32_e32 v16, vcc, s4, v16
	v_addc_co_u32_e32 v17, vcc, v0, v17, vcc
	v_ashrrev_i32_e32 v15, 31, v14
	v_accvgpr_write_b32 a6, v16
	v_lshlrev_b64 v[86:87], 4, v[14:15]
	v_accvgpr_write_b32 a7, v17
	global_load_dwordx4 v[14:17], v[16:17], off
	v_add_co_u32_e32 v86, vcc, s4, v86
	v_addc_co_u32_e32 v87, vcc, v0, v87, vcc
	v_accvgpr_write_b32 a2, v86
	v_accvgpr_write_b32 a3, v87
	global_load_dwordx4 v[86:89], v[86:87], off
	v_mov_b32_e32 v0, 16
	buffer_store_dword v8, off, s[0:3], 0 offset:376
	buffer_store_dword v7, off, s[0:3], 0 offset:372
	buffer_store_dword v6, off, s[0:3], 0 offset:368
	s_waitcnt vmcnt(22)
	buffer_store_dword v13, off, s[0:3], 0 offset:396
	buffer_store_dword v12, off, s[0:3], 0 offset:392
	buffer_store_dword v11, off, s[0:3], 0 offset:388
	buffer_store_dword v10, off, s[0:3], 0 offset:384
	s_waitcnt vmcnt(25)
	buffer_store_dword v53, off, s[0:3], 0 offset:412
	;; [unrolled: 5-line block ×15, first 2 shown]
	buffer_store_dword v24, off, s[0:3], 0 offset:616
	buffer_store_dword v23, off, s[0:3], 0 offset:612
	;; [unrolled: 1-line block ×11, first 2 shown]
	s_waitcnt vmcnt(62)
	buffer_store_dword v85, off, s[0:3], 0 offset:668
	buffer_store_dword v84, off, s[0:3], 0 offset:664
	;; [unrolled: 1-line block ×16, first 2 shown]
	v_add_u32_e32 v2, 16, v0
	v_accvgpr_write_b32 a130, v2
	v_add_u32_e32 v2, 32, v0
	v_accvgpr_write_b32 a129, v2
	;; [unrolled: 2-line block ×41, first 2 shown]
	v_add_u32_e32 v2, 0x2a0, v0
	v_add_u32_e32 v0, 0x2b0, v0
	v_accvgpr_write_b32 a89, v2
	v_accvgpr_write_b32 a88, v0
	s_bitcmp0_b32 s22, 0
	s_mov_b64 s[6:7], -1
	s_cbranch_scc1 .LBB43_188
; %bb.4:
	v_cmp_eq_u32_e64 s[4:5], 0, v255
	s_and_saveexec_b64 s[6:7], s[4:5]
	s_cbranch_execz .LBB43_6
; %bb.5:
	v_mov_b32_e32 v0, 0
	ds_write_b32 v0, v0 offset:1408
.LBB43_6:
	s_or_b64 exec, exec, s[6:7]
	v_mov_b32_e32 v0, 16
	v_lshl_add_u32 v12, v255, 4, v0
	s_waitcnt lgkmcnt(0)
	; wave barrier
	s_waitcnt lgkmcnt(0)
	buffer_load_dword v2, v12, s[0:3], 0 offen
	buffer_load_dword v3, v12, s[0:3], 0 offen offset:4
	buffer_load_dword v4, v12, s[0:3], 0 offen offset:8
	;; [unrolled: 1-line block ×3, first 2 shown]
	s_waitcnt vmcnt(2)
	v_cmp_eq_f64_e32 vcc, 0, v[2:3]
	s_waitcnt vmcnt(0)
	v_cmp_eq_f64_e64 s[6:7], 0, v[4:5]
	s_and_b64 s[6:7], vcc, s[6:7]
	s_and_saveexec_b64 s[12:13], s[6:7]
	s_cbranch_execz .LBB43_10
; %bb.7:
	v_mov_b32_e32 v2, 0
	ds_read_b32 v0, v2 offset:1408
	v_add_u32_e32 v3, 1, v255
	s_waitcnt lgkmcnt(0)
	v_readfirstlane_b32 s6, v0
	s_cmp_eq_u32 s6, 0
	s_cselect_b64 s[16:17], -1, 0
	v_cmp_gt_i32_e32 vcc, s6, v3
	s_or_b64 s[16:17], s[16:17], vcc
	s_and_b64 exec, exec, s[16:17]
	s_cbranch_execz .LBB43_10
; %bb.8:
	s_mov_b64 s[16:17], 0
	v_mov_b32_e32 v4, s6
.LBB43_9:                               ; =>This Inner Loop Header: Depth=1
	ds_cmpst_rtn_b32 v4, v2, v4, v3 offset:1408
	s_waitcnt lgkmcnt(0)
	v_cmp_ne_u32_e32 vcc, 0, v4
	v_cmp_le_i32_e64 s[6:7], v4, v3
	s_and_b64 s[6:7], vcc, s[6:7]
	s_and_b64 s[6:7], exec, s[6:7]
	s_or_b64 s[16:17], s[6:7], s[16:17]
	s_andn2_b64 exec, exec, s[16:17]
	s_cbranch_execnz .LBB43_9
.LBB43_10:
	s_or_b64 exec, exec, s[12:13]
	v_mov_b32_e32 v3, 0
	s_waitcnt lgkmcnt(0)
	; wave barrier
	ds_read_b32 v2, v3 offset:1408
	s_and_saveexec_b64 s[6:7], s[4:5]
	s_cbranch_execz .LBB43_12
; %bb.11:
	s_lshl_b64 s[12:13], s[8:9], 2
	s_add_u32 s12, s14, s12
	s_addc_u32 s13, s15, s13
	s_waitcnt lgkmcnt(0)
	global_store_dword v3, v2, s[12:13]
.LBB43_12:
	s_or_b64 exec, exec, s[6:7]
	s_waitcnt lgkmcnt(0)
	v_cmp_ne_u32_e32 vcc, 0, v2
	s_mov_b64 s[6:7], 0
	s_cbranch_vccnz .LBB43_188
; %bb.13:
	buffer_load_dword v7, v12, s[0:3], 0 offen offset:4
	buffer_load_dword v6, v12, s[0:3], 0 offen
	buffer_load_dword v9, v12, s[0:3], 0 offen offset:12
	buffer_load_dword v8, v12, s[0:3], 0 offen offset:8
                                        ; implicit-def: $vgpr10_vgpr11
	s_waitcnt vmcnt(3)
	v_xor_b32_e32 v0, 0x80000000, v7
	s_waitcnt vmcnt(2)
	v_cmp_gt_f64_e32 vcc, 0, v[6:7]
	s_waitcnt vmcnt(1)
	v_xor_b32_e32 v4, 0x80000000, v9
	v_cndmask_b32_e32 v3, v7, v0, vcc
	s_waitcnt vmcnt(0)
	v_cmp_gt_f64_e32 vcc, 0, v[8:9]
	v_mov_b32_e32 v2, v6
	v_cndmask_b32_e32 v5, v9, v4, vcc
	v_mov_b32_e32 v4, v8
	v_cmp_ngt_f64_e32 vcc, v[2:3], v[4:5]
                                        ; implicit-def: $vgpr4_vgpr5
	s_and_saveexec_b64 s[6:7], vcc
	s_xor_b64 s[6:7], exec, s[6:7]
	s_cbranch_execz .LBB43_15
; %bb.14:
	v_div_scale_f64 v[2:3], s[12:13], v[8:9], v[8:9], v[6:7]
	v_rcp_f64_e32 v[4:5], v[2:3]
	v_div_scale_f64 v[10:11], vcc, v[6:7], v[8:9], v[6:7]
	v_fma_f64 v[14:15], -v[2:3], v[4:5], 1.0
	v_fmac_f64_e32 v[4:5], v[4:5], v[14:15]
	v_fma_f64 v[14:15], -v[2:3], v[4:5], 1.0
	v_fmac_f64_e32 v[4:5], v[4:5], v[14:15]
	v_mul_f64 v[14:15], v[10:11], v[4:5]
	v_fma_f64 v[2:3], -v[2:3], v[14:15], v[10:11]
	v_div_fmas_f64 v[2:3], v[2:3], v[4:5], v[14:15]
	v_div_fixup_f64 v[2:3], v[2:3], v[8:9], v[6:7]
	v_fmac_f64_e32 v[8:9], v[6:7], v[2:3]
	v_div_scale_f64 v[4:5], s[12:13], v[8:9], v[8:9], 1.0
	v_rcp_f64_e32 v[6:7], v[4:5]
	v_fma_f64 v[10:11], -v[4:5], v[6:7], 1.0
	v_fmac_f64_e32 v[6:7], v[6:7], v[10:11]
	v_fma_f64 v[10:11], -v[4:5], v[6:7], 1.0
	v_fmac_f64_e32 v[6:7], v[6:7], v[10:11]
	v_div_scale_f64 v[10:11], vcc, 1.0, v[8:9], 1.0
	v_mul_f64 v[14:15], v[10:11], v[6:7]
	v_fma_f64 v[4:5], -v[4:5], v[14:15], v[10:11]
	s_nop 1
	v_div_fmas_f64 v[4:5], v[4:5], v[6:7], v[14:15]
	v_div_fixup_f64 v[4:5], v[4:5], v[8:9], 1.0
	v_mul_f64 v[10:11], v[2:3], v[4:5]
	v_xor_b32_e32 v5, 0x80000000, v5
	v_xor_b32_e32 v3, 0x80000000, v11
	v_mov_b32_e32 v2, v10
                                        ; implicit-def: $vgpr6_vgpr7
                                        ; implicit-def: $vgpr8_vgpr9
.LBB43_15:
	s_andn2_saveexec_b64 s[6:7], s[6:7]
	s_cbranch_execz .LBB43_17
; %bb.16:
	v_div_scale_f64 v[2:3], s[12:13], v[6:7], v[6:7], v[8:9]
	v_rcp_f64_e32 v[4:5], v[2:3]
	v_div_scale_f64 v[10:11], vcc, v[8:9], v[6:7], v[8:9]
	v_fma_f64 v[14:15], -v[2:3], v[4:5], 1.0
	v_fmac_f64_e32 v[4:5], v[4:5], v[14:15]
	v_fma_f64 v[14:15], -v[2:3], v[4:5], 1.0
	v_fmac_f64_e32 v[4:5], v[4:5], v[14:15]
	v_mul_f64 v[14:15], v[10:11], v[4:5]
	v_fma_f64 v[2:3], -v[2:3], v[14:15], v[10:11]
	v_div_fmas_f64 v[2:3], v[2:3], v[4:5], v[14:15]
	v_div_fixup_f64 v[4:5], v[2:3], v[6:7], v[8:9]
	v_fmac_f64_e32 v[6:7], v[8:9], v[4:5]
	v_div_scale_f64 v[2:3], s[12:13], v[6:7], v[6:7], 1.0
	v_rcp_f64_e32 v[8:9], v[2:3]
	v_fma_f64 v[10:11], -v[2:3], v[8:9], 1.0
	v_fmac_f64_e32 v[8:9], v[8:9], v[10:11]
	v_fma_f64 v[10:11], -v[2:3], v[8:9], 1.0
	v_fmac_f64_e32 v[8:9], v[8:9], v[10:11]
	v_div_scale_f64 v[10:11], vcc, 1.0, v[6:7], 1.0
	v_mul_f64 v[14:15], v[10:11], v[8:9]
	v_fma_f64 v[2:3], -v[2:3], v[14:15], v[10:11]
	s_nop 1
	v_div_fmas_f64 v[2:3], v[2:3], v[8:9], v[14:15]
	v_div_fixup_f64 v[10:11], v[2:3], v[6:7], 1.0
	v_xor_b32_e32 v3, 0x80000000, v11
	v_mov_b32_e32 v2, v10
	v_mul_f64 v[4:5], v[4:5], -v[10:11]
.LBB43_17:
	s_or_b64 exec, exec, s[6:7]
	buffer_store_dword v11, v12, s[0:3], 0 offen offset:4
	buffer_store_dword v10, v12, s[0:3], 0 offen
	buffer_store_dword v5, v12, s[0:3], 0 offen offset:12
	buffer_store_dword v4, v12, s[0:3], 0 offen offset:8
	v_accvgpr_read_b32 v0, a130
	buffer_load_dword v11, v0, s[0:3], 0 offen offset:12
	buffer_load_dword v10, v0, s[0:3], 0 offen offset:8
	;; [unrolled: 1-line block ×3, first 2 shown]
	buffer_load_dword v8, v0, s[0:3], 0 offen
	v_xor_b32_e32 v5, 0x80000000, v5
	v_add_u32_e32 v6, 0x2c0, v1
	ds_write_b128 v1, v[2:5]
	s_waitcnt vmcnt(0)
	ds_write_b128 v1, v[8:11] offset:704
	s_waitcnt lgkmcnt(0)
	; wave barrier
	s_waitcnt lgkmcnt(0)
	s_and_saveexec_b64 s[6:7], s[4:5]
	s_cbranch_execz .LBB43_19
; %bb.18:
	buffer_load_dword v14, v12, s[0:3], 0 offen offset:8
	buffer_load_dword v15, v12, s[0:3], 0 offen offset:12
	buffer_load_dword v16, v12, s[0:3], 0 offen
	buffer_load_dword v17, v12, s[0:3], 0 offen offset:4
	ds_read_b128 v[2:5], v6
	v_mov_b32_e32 v0, 0
	ds_read_b128 v[8:11], v0 offset:16
	s_waitcnt vmcnt(2) lgkmcnt(1)
	v_mul_f64 v[18:19], v[4:5], v[14:15]
	v_mul_f64 v[14:15], v[2:3], v[14:15]
	s_waitcnt vmcnt(0)
	v_fmac_f64_e32 v[14:15], v[4:5], v[16:17]
	v_fma_f64 v[2:3], v[2:3], v[16:17], -v[18:19]
	v_add_f64 v[4:5], v[14:15], 0
	v_add_f64 v[2:3], v[2:3], 0
	s_waitcnt lgkmcnt(0)
	v_mul_f64 v[14:15], v[4:5], v[10:11]
	v_mul_f64 v[10:11], v[2:3], v[10:11]
	v_fma_f64 v[2:3], v[2:3], v[8:9], -v[14:15]
	v_fmac_f64_e32 v[10:11], v[4:5], v[8:9]
	buffer_store_dword v2, off, s[0:3], 0 offset:32
	buffer_store_dword v3, off, s[0:3], 0 offset:36
	;; [unrolled: 1-line block ×4, first 2 shown]
.LBB43_19:
	s_or_b64 exec, exec, s[6:7]
	v_accvgpr_read_b32 v0, a129
	s_waitcnt lgkmcnt(0)
	; wave barrier
	buffer_load_dword v2, v0, s[0:3], 0 offen
	buffer_load_dword v3, v0, s[0:3], 0 offen offset:4
	buffer_load_dword v4, v0, s[0:3], 0 offen offset:8
	;; [unrolled: 1-line block ×3, first 2 shown]
	v_cmp_gt_u32_e32 vcc, 2, v255
	s_waitcnt vmcnt(0)
	ds_write_b128 v6, v[2:5]
	s_waitcnt lgkmcnt(0)
	; wave barrier
	s_waitcnt lgkmcnt(0)
	s_and_saveexec_b64 s[6:7], vcc
	s_cbranch_execz .LBB43_23
; %bb.20:
	buffer_load_dword v8, v12, s[0:3], 0 offen offset:8
	buffer_load_dword v9, v12, s[0:3], 0 offen offset:12
	buffer_load_dword v10, v12, s[0:3], 0 offen
	buffer_load_dword v11, v12, s[0:3], 0 offen offset:4
	ds_read_b128 v[2:5], v6
	s_waitcnt vmcnt(2) lgkmcnt(0)
	v_mul_f64 v[12:13], v[4:5], v[8:9]
	v_mul_f64 v[8:9], v[2:3], v[8:9]
	s_waitcnt vmcnt(0)
	v_fma_f64 v[2:3], v[2:3], v[10:11], -v[12:13]
	v_fmac_f64_e32 v[8:9], v[4:5], v[10:11]
	v_add_f64 v[4:5], v[2:3], 0
	v_add_f64 v[2:3], v[8:9], 0
	s_and_saveexec_b64 s[12:13], s[4:5]
	s_cbranch_execz .LBB43_22
; %bb.21:
	buffer_load_dword v12, off, s[0:3], 0 offset:40
	buffer_load_dword v13, off, s[0:3], 0 offset:44
	;; [unrolled: 1-line block ×4, first 2 shown]
	v_mov_b32_e32 v0, 0
	ds_read_b128 v[8:11], v0 offset:720
	s_waitcnt vmcnt(2) lgkmcnt(0)
	v_mul_f64 v[16:17], v[8:9], v[12:13]
	v_mul_f64 v[12:13], v[10:11], v[12:13]
	s_waitcnt vmcnt(0)
	v_fmac_f64_e32 v[16:17], v[10:11], v[14:15]
	v_fma_f64 v[8:9], v[8:9], v[14:15], -v[12:13]
	v_add_f64 v[2:3], v[2:3], v[16:17]
	v_add_f64 v[4:5], v[4:5], v[8:9]
.LBB43_22:
	s_or_b64 exec, exec, s[12:13]
	v_mov_b32_e32 v0, 0
	ds_read_b128 v[8:11], v0 offset:32
	s_waitcnt lgkmcnt(0)
	v_mul_f64 v[12:13], v[2:3], v[10:11]
	v_mul_f64 v[10:11], v[4:5], v[10:11]
	v_fma_f64 v[4:5], v[4:5], v[8:9], -v[12:13]
	v_fmac_f64_e32 v[10:11], v[2:3], v[8:9]
	buffer_store_dword v5, off, s[0:3], 0 offset:52
	buffer_store_dword v4, off, s[0:3], 0 offset:48
	;; [unrolled: 1-line block ×4, first 2 shown]
.LBB43_23:
	s_or_b64 exec, exec, s[6:7]
	v_accvgpr_read_b32 v0, a128
	s_waitcnt lgkmcnt(0)
	; wave barrier
	buffer_load_dword v2, v0, s[0:3], 0 offen
	buffer_load_dword v3, v0, s[0:3], 0 offen offset:4
	buffer_load_dword v4, v0, s[0:3], 0 offen offset:8
	;; [unrolled: 1-line block ×3, first 2 shown]
	v_cmp_gt_u32_e32 vcc, 3, v255
	v_add_u32_e32 v7, -1, v255
	s_waitcnt vmcnt(0)
	ds_write_b128 v6, v[2:5]
	s_waitcnt lgkmcnt(0)
	; wave barrier
	s_waitcnt lgkmcnt(0)
	s_and_saveexec_b64 s[4:5], vcc
	s_cbranch_execz .LBB43_27
; %bb.24:
	v_pk_mov_b32 v[2:3], 0, 0
	v_add_u32_e32 v8, -1, v255
	v_add_u32_e32 v9, 0x2c0, v1
	v_add_u32_e32 v10, 16, v1
	s_mov_b64 s[6:7], 0
	v_pk_mov_b32 v[4:5], v[2:3], v[2:3] op_sel:[0,1]
.LBB43_25:                              ; =>This Inner Loop Header: Depth=1
	buffer_load_dword v16, v10, s[0:3], 0 offen offset:8
	buffer_load_dword v17, v10, s[0:3], 0 offen offset:12
	buffer_load_dword v18, v10, s[0:3], 0 offen
	buffer_load_dword v19, v10, s[0:3], 0 offen offset:4
	ds_read_b128 v[12:15], v9
	v_add_u32_e32 v8, 1, v8
	v_cmp_lt_u32_e32 vcc, 1, v8
	v_add_u32_e32 v9, 16, v9
	v_add_u32_e32 v10, 16, v10
	s_or_b64 s[6:7], vcc, s[6:7]
	s_waitcnt vmcnt(2) lgkmcnt(0)
	v_mul_f64 v[20:21], v[14:15], v[16:17]
	v_mul_f64 v[16:17], v[12:13], v[16:17]
	s_waitcnt vmcnt(0)
	v_fma_f64 v[12:13], v[12:13], v[18:19], -v[20:21]
	v_fmac_f64_e32 v[16:17], v[14:15], v[18:19]
	v_add_f64 v[4:5], v[4:5], v[12:13]
	v_add_f64 v[2:3], v[2:3], v[16:17]
	s_andn2_b64 exec, exec, s[6:7]
	s_cbranch_execnz .LBB43_25
; %bb.26:
	s_or_b64 exec, exec, s[6:7]
	v_mov_b32_e32 v0, 0
	ds_read_b128 v[8:11], v0 offset:48
	s_waitcnt lgkmcnt(0)
	v_mul_f64 v[12:13], v[2:3], v[10:11]
	v_mul_f64 v[10:11], v[4:5], v[10:11]
	v_fma_f64 v[4:5], v[4:5], v[8:9], -v[12:13]
	v_fmac_f64_e32 v[10:11], v[2:3], v[8:9]
	buffer_store_dword v5, off, s[0:3], 0 offset:68
	buffer_store_dword v4, off, s[0:3], 0 offset:64
	buffer_store_dword v11, off, s[0:3], 0 offset:76
	buffer_store_dword v10, off, s[0:3], 0 offset:72
.LBB43_27:
	s_or_b64 exec, exec, s[4:5]
	v_accvgpr_read_b32 v0, a127
	s_waitcnt lgkmcnt(0)
	; wave barrier
	buffer_load_dword v2, v0, s[0:3], 0 offen
	buffer_load_dword v3, v0, s[0:3], 0 offen offset:4
	buffer_load_dword v4, v0, s[0:3], 0 offen offset:8
	buffer_load_dword v5, v0, s[0:3], 0 offen offset:12
	v_cmp_gt_u32_e32 vcc, 4, v255
	s_waitcnt vmcnt(0)
	ds_write_b128 v6, v[2:5]
	s_waitcnt lgkmcnt(0)
	; wave barrier
	s_waitcnt lgkmcnt(0)
	s_and_saveexec_b64 s[4:5], vcc
	s_cbranch_execz .LBB43_31
; %bb.28:
	v_pk_mov_b32 v[2:3], 0, 0
	v_add_u32_e32 v8, -1, v255
	v_add_u32_e32 v9, 0x2c0, v1
	v_add_u32_e32 v10, 16, v1
	s_mov_b64 s[6:7], 0
	v_pk_mov_b32 v[4:5], v[2:3], v[2:3] op_sel:[0,1]
.LBB43_29:                              ; =>This Inner Loop Header: Depth=1
	buffer_load_dword v16, v10, s[0:3], 0 offen offset:8
	buffer_load_dword v17, v10, s[0:3], 0 offen offset:12
	buffer_load_dword v18, v10, s[0:3], 0 offen
	buffer_load_dword v19, v10, s[0:3], 0 offen offset:4
	ds_read_b128 v[12:15], v9
	v_add_u32_e32 v8, 1, v8
	v_cmp_lt_u32_e32 vcc, 2, v8
	v_add_u32_e32 v9, 16, v9
	v_add_u32_e32 v10, 16, v10
	s_or_b64 s[6:7], vcc, s[6:7]
	s_waitcnt vmcnt(2) lgkmcnt(0)
	v_mul_f64 v[20:21], v[14:15], v[16:17]
	v_mul_f64 v[16:17], v[12:13], v[16:17]
	s_waitcnt vmcnt(0)
	v_fma_f64 v[12:13], v[12:13], v[18:19], -v[20:21]
	v_fmac_f64_e32 v[16:17], v[14:15], v[18:19]
	v_add_f64 v[4:5], v[4:5], v[12:13]
	v_add_f64 v[2:3], v[2:3], v[16:17]
	s_andn2_b64 exec, exec, s[6:7]
	s_cbranch_execnz .LBB43_29
; %bb.30:
	s_or_b64 exec, exec, s[6:7]
	v_mov_b32_e32 v0, 0
	ds_read_b128 v[8:11], v0 offset:64
	s_waitcnt lgkmcnt(0)
	v_mul_f64 v[12:13], v[2:3], v[10:11]
	v_mul_f64 v[10:11], v[4:5], v[10:11]
	v_fma_f64 v[4:5], v[4:5], v[8:9], -v[12:13]
	v_fmac_f64_e32 v[10:11], v[2:3], v[8:9]
	buffer_store_dword v5, off, s[0:3], 0 offset:84
	buffer_store_dword v4, off, s[0:3], 0 offset:80
	buffer_store_dword v11, off, s[0:3], 0 offset:92
	buffer_store_dword v10, off, s[0:3], 0 offset:88
.LBB43_31:
	s_or_b64 exec, exec, s[4:5]
	v_accvgpr_read_b32 v0, a126
	s_waitcnt lgkmcnt(0)
	; wave barrier
	buffer_load_dword v2, v0, s[0:3], 0 offen
	buffer_load_dword v3, v0, s[0:3], 0 offen offset:4
	buffer_load_dword v4, v0, s[0:3], 0 offen offset:8
	buffer_load_dword v5, v0, s[0:3], 0 offen offset:12
	v_cmp_gt_u32_e32 vcc, 5, v255
	;; [unrolled: 58-line block ×19, first 2 shown]
	s_waitcnt vmcnt(0)
	ds_write_b128 v6, v[2:5]
	s_waitcnt lgkmcnt(0)
	; wave barrier
	s_waitcnt lgkmcnt(0)
	s_and_saveexec_b64 s[4:5], vcc
	s_cbranch_execz .LBB43_103
; %bb.100:
	v_pk_mov_b32 v[2:3], 0, 0
	v_add_u32_e32 v8, -1, v255
	v_add_u32_e32 v9, 0x2c0, v1
	v_add_u32_e32 v10, 16, v1
	s_mov_b64 s[6:7], 0
	v_pk_mov_b32 v[4:5], v[2:3], v[2:3] op_sel:[0,1]
.LBB43_101:                             ; =>This Inner Loop Header: Depth=1
	buffer_load_dword v16, v10, s[0:3], 0 offen offset:8
	buffer_load_dword v17, v10, s[0:3], 0 offen offset:12
	buffer_load_dword v18, v10, s[0:3], 0 offen
	buffer_load_dword v19, v10, s[0:3], 0 offen offset:4
	ds_read_b128 v[12:15], v9
	v_add_u32_e32 v8, 1, v8
	v_cmp_lt_u32_e32 vcc, 20, v8
	v_add_u32_e32 v9, 16, v9
	v_add_u32_e32 v10, 16, v10
	s_or_b64 s[6:7], vcc, s[6:7]
	s_waitcnt vmcnt(2) lgkmcnt(0)
	v_mul_f64 v[20:21], v[14:15], v[16:17]
	v_mul_f64 v[16:17], v[12:13], v[16:17]
	s_waitcnt vmcnt(0)
	v_fma_f64 v[12:13], v[12:13], v[18:19], -v[20:21]
	v_fmac_f64_e32 v[16:17], v[14:15], v[18:19]
	v_add_f64 v[4:5], v[4:5], v[12:13]
	v_add_f64 v[2:3], v[2:3], v[16:17]
	s_andn2_b64 exec, exec, s[6:7]
	s_cbranch_execnz .LBB43_101
; %bb.102:
	s_or_b64 exec, exec, s[6:7]
	v_mov_b32_e32 v0, 0
	ds_read_b128 v[8:11], v0 offset:352
	s_waitcnt lgkmcnt(0)
	v_mul_f64 v[12:13], v[2:3], v[10:11]
	v_mul_f64 v[10:11], v[4:5], v[10:11]
	v_fma_f64 v[4:5], v[4:5], v[8:9], -v[12:13]
	v_fmac_f64_e32 v[10:11], v[2:3], v[8:9]
	buffer_store_dword v5, off, s[0:3], 0 offset:372
	buffer_store_dword v4, off, s[0:3], 0 offset:368
	buffer_store_dword v11, off, s[0:3], 0 offset:380
	buffer_store_dword v10, off, s[0:3], 0 offset:376
.LBB43_103:
	s_or_b64 exec, exec, s[4:5]
	v_accvgpr_read_b32 v0, a108
	s_waitcnt lgkmcnt(0)
	; wave barrier
	buffer_load_dword v2, v0, s[0:3], 0 offen
	buffer_load_dword v3, v0, s[0:3], 0 offen offset:4
	buffer_load_dword v4, v0, s[0:3], 0 offen offset:8
	buffer_load_dword v5, v0, s[0:3], 0 offen offset:12
	v_cmp_gt_u32_e32 vcc, 23, v255
	s_waitcnt vmcnt(0)
	ds_write_b128 v6, v[2:5]
	s_waitcnt lgkmcnt(0)
	; wave barrier
	s_waitcnt lgkmcnt(0)
	s_and_saveexec_b64 s[4:5], vcc
	s_cbranch_execz .LBB43_107
; %bb.104:
	v_pk_mov_b32 v[2:3], 0, 0
	v_add_u32_e32 v8, -1, v255
	v_add_u32_e32 v9, 0x2c0, v1
	v_add_u32_e32 v10, 16, v1
	s_mov_b64 s[6:7], 0
	v_pk_mov_b32 v[4:5], v[2:3], v[2:3] op_sel:[0,1]
.LBB43_105:                             ; =>This Inner Loop Header: Depth=1
	buffer_load_dword v16, v10, s[0:3], 0 offen offset:8
	buffer_load_dword v17, v10, s[0:3], 0 offen offset:12
	buffer_load_dword v18, v10, s[0:3], 0 offen
	buffer_load_dword v19, v10, s[0:3], 0 offen offset:4
	ds_read_b128 v[12:15], v9
	v_add_u32_e32 v8, 1, v8
	v_cmp_lt_u32_e32 vcc, 21, v8
	v_add_u32_e32 v9, 16, v9
	v_add_u32_e32 v10, 16, v10
	s_or_b64 s[6:7], vcc, s[6:7]
	s_waitcnt vmcnt(2) lgkmcnt(0)
	v_mul_f64 v[20:21], v[14:15], v[16:17]
	v_mul_f64 v[16:17], v[12:13], v[16:17]
	s_waitcnt vmcnt(0)
	v_fma_f64 v[12:13], v[12:13], v[18:19], -v[20:21]
	v_fmac_f64_e32 v[16:17], v[14:15], v[18:19]
	v_add_f64 v[4:5], v[4:5], v[12:13]
	v_add_f64 v[2:3], v[2:3], v[16:17]
	s_andn2_b64 exec, exec, s[6:7]
	s_cbranch_execnz .LBB43_105
; %bb.106:
	s_or_b64 exec, exec, s[6:7]
	v_mov_b32_e32 v0, 0
	ds_read_b128 v[8:11], v0 offset:368
	s_waitcnt lgkmcnt(0)
	v_mul_f64 v[12:13], v[2:3], v[10:11]
	v_mul_f64 v[10:11], v[4:5], v[10:11]
	v_fma_f64 v[4:5], v[4:5], v[8:9], -v[12:13]
	v_fmac_f64_e32 v[10:11], v[2:3], v[8:9]
	buffer_store_dword v5, off, s[0:3], 0 offset:388
	buffer_store_dword v4, off, s[0:3], 0 offset:384
	buffer_store_dword v11, off, s[0:3], 0 offset:396
	buffer_store_dword v10, off, s[0:3], 0 offset:392
.LBB43_107:
	s_or_b64 exec, exec, s[4:5]
	v_accvgpr_read_b32 v0, a107
	s_waitcnt lgkmcnt(0)
	; wave barrier
	buffer_load_dword v2, v0, s[0:3], 0 offen
	buffer_load_dword v3, v0, s[0:3], 0 offen offset:4
	buffer_load_dword v4, v0, s[0:3], 0 offen offset:8
	buffer_load_dword v5, v0, s[0:3], 0 offen offset:12
	v_cmp_gt_u32_e32 vcc, 24, v255
	;; [unrolled: 58-line block ×20, first 2 shown]
	s_waitcnt vmcnt(0)
	ds_write_b128 v6, v[2:5]
	s_waitcnt lgkmcnt(0)
	; wave barrier
	s_waitcnt lgkmcnt(0)
	s_and_saveexec_b64 s[4:5], vcc
	s_cbranch_execz .LBB43_183
; %bb.180:
	v_pk_mov_b32 v[2:3], 0, 0
	v_add_u32_e32 v8, -1, v255
	v_add_u32_e32 v9, 0x2c0, v1
	v_add_u32_e32 v10, 16, v1
	s_mov_b64 s[6:7], 0
	v_pk_mov_b32 v[4:5], v[2:3], v[2:3] op_sel:[0,1]
.LBB43_181:                             ; =>This Inner Loop Header: Depth=1
	buffer_load_dword v16, v10, s[0:3], 0 offen offset:8
	buffer_load_dword v17, v10, s[0:3], 0 offen offset:12
	buffer_load_dword v18, v10, s[0:3], 0 offen
	buffer_load_dword v19, v10, s[0:3], 0 offen offset:4
	ds_read_b128 v[12:15], v9
	v_add_u32_e32 v8, 1, v8
	v_cmp_lt_u32_e32 vcc, 40, v8
	v_add_u32_e32 v9, 16, v9
	v_add_u32_e32 v10, 16, v10
	s_or_b64 s[6:7], vcc, s[6:7]
	s_waitcnt vmcnt(2) lgkmcnt(0)
	v_mul_f64 v[20:21], v[14:15], v[16:17]
	v_mul_f64 v[16:17], v[12:13], v[16:17]
	s_waitcnt vmcnt(0)
	v_fma_f64 v[12:13], v[12:13], v[18:19], -v[20:21]
	v_fmac_f64_e32 v[16:17], v[14:15], v[18:19]
	v_add_f64 v[4:5], v[4:5], v[12:13]
	v_add_f64 v[2:3], v[2:3], v[16:17]
	s_andn2_b64 exec, exec, s[6:7]
	s_cbranch_execnz .LBB43_181
; %bb.182:
	s_or_b64 exec, exec, s[6:7]
	v_mov_b32_e32 v0, 0
	ds_read_b128 v[8:11], v0 offset:672
	s_waitcnt lgkmcnt(0)
	v_mul_f64 v[12:13], v[2:3], v[10:11]
	v_mul_f64 v[10:11], v[4:5], v[10:11]
	v_fma_f64 v[4:5], v[4:5], v[8:9], -v[12:13]
	v_fmac_f64_e32 v[10:11], v[2:3], v[8:9]
	buffer_store_dword v5, off, s[0:3], 0 offset:692
	buffer_store_dword v4, off, s[0:3], 0 offset:688
	;; [unrolled: 1-line block ×4, first 2 shown]
.LBB43_183:
	s_or_b64 exec, exec, s[4:5]
	v_accvgpr_read_b32 v0, a88
	s_waitcnt lgkmcnt(0)
	; wave barrier
	buffer_load_dword v2, v0, s[0:3], 0 offen
	buffer_load_dword v3, v0, s[0:3], 0 offen offset:4
	buffer_load_dword v4, v0, s[0:3], 0 offen offset:8
	;; [unrolled: 1-line block ×3, first 2 shown]
	v_cmp_ne_u32_e32 vcc, 43, v255
	s_waitcnt vmcnt(0)
	ds_write_b128 v6, v[2:5]
	s_waitcnt lgkmcnt(0)
	; wave barrier
	s_waitcnt lgkmcnt(0)
	s_and_saveexec_b64 s[4:5], vcc
	s_cbranch_execz .LBB43_187
; %bb.184:
	v_pk_mov_b32 v[2:3], 0, 0
	v_add_u32_e32 v6, 0x2c0, v1
	v_add_u32_e32 v1, 16, v1
	s_mov_b64 s[6:7], 0
	v_pk_mov_b32 v[4:5], v[2:3], v[2:3] op_sel:[0,1]
.LBB43_185:                             ; =>This Inner Loop Header: Depth=1
	buffer_load_dword v12, v1, s[0:3], 0 offen offset:8
	buffer_load_dword v13, v1, s[0:3], 0 offen offset:12
	buffer_load_dword v14, v1, s[0:3], 0 offen
	buffer_load_dword v15, v1, s[0:3], 0 offen offset:4
	ds_read_b128 v[8:11], v6
	v_add_u32_e32 v7, 1, v7
	v_cmp_lt_u32_e32 vcc, 41, v7
	v_add_u32_e32 v6, 16, v6
	v_add_u32_e32 v1, 16, v1
	s_or_b64 s[6:7], vcc, s[6:7]
	s_waitcnt vmcnt(2) lgkmcnt(0)
	v_mul_f64 v[16:17], v[10:11], v[12:13]
	v_mul_f64 v[12:13], v[8:9], v[12:13]
	s_waitcnt vmcnt(0)
	v_fma_f64 v[8:9], v[8:9], v[14:15], -v[16:17]
	v_fmac_f64_e32 v[12:13], v[10:11], v[14:15]
	v_add_f64 v[4:5], v[4:5], v[8:9]
	v_add_f64 v[2:3], v[2:3], v[12:13]
	s_andn2_b64 exec, exec, s[6:7]
	s_cbranch_execnz .LBB43_185
; %bb.186:
	s_or_b64 exec, exec, s[6:7]
	v_mov_b32_e32 v0, 0
	ds_read_b128 v[6:9], v0 offset:688
	s_waitcnt lgkmcnt(0)
	v_mul_f64 v[10:11], v[2:3], v[8:9]
	v_mul_f64 v[8:9], v[4:5], v[8:9]
	v_fma_f64 v[4:5], v[4:5], v[6:7], -v[10:11]
	v_fmac_f64_e32 v[8:9], v[2:3], v[6:7]
	buffer_store_dword v5, off, s[0:3], 0 offset:708
	buffer_store_dword v4, off, s[0:3], 0 offset:704
	;; [unrolled: 1-line block ×4, first 2 shown]
.LBB43_187:
	s_or_b64 exec, exec, s[4:5]
	s_mov_b64 s[6:7], -1
	s_waitcnt lgkmcnt(0)
	; wave barrier
.LBB43_188:
	s_and_b64 vcc, exec, s[6:7]
	s_cbranch_vccz .LBB43_190
; %bb.189:
	s_lshl_b64 s[4:5], s[8:9], 2
	s_add_u32 s4, s14, s4
	s_addc_u32 s5, s15, s5
	v_mov_b32_e32 v0, 0
	global_load_dword v0, v0, s[4:5]
	s_waitcnt vmcnt(0)
	v_cmp_ne_u32_e32 vcc, 0, v0
	s_cbranch_vccz .LBB43_191
.LBB43_190:
	s_endpgm
.LBB43_191:
	v_mov_b32_e32 v0, 0x2c0
	v_lshl_add_u32 v0, v255, 4, v0
	v_accvgpr_write_b32 a132, v0
	v_cmp_eq_u32_e32 vcc, 43, v255
	s_and_saveexec_b64 s[4:5], vcc
	s_cbranch_execz .LBB43_193
; %bb.192:
	v_accvgpr_read_b32 v0, a89
	buffer_load_dword v2, v0, s[0:3], 0 offen
	buffer_load_dword v3, v0, s[0:3], 0 offen offset:4
	buffer_load_dword v4, v0, s[0:3], 0 offen offset:8
	;; [unrolled: 1-line block ×3, first 2 shown]
	v_mov_b32_e32 v0, 0
	v_accvgpr_read_b32 v1, a132
	buffer_store_dword v0, off, s[0:3], 0 offset:688
	buffer_store_dword v0, off, s[0:3], 0 offset:692
	;; [unrolled: 1-line block ×4, first 2 shown]
	s_waitcnt vmcnt(4)
	ds_write_b128 v1, v[2:5]
.LBB43_193:
	s_or_b64 exec, exec, s[4:5]
	s_waitcnt lgkmcnt(0)
	; wave barrier
	s_waitcnt lgkmcnt(0)
	buffer_load_dword v8, off, s[0:3], 0 offset:712
	buffer_load_dword v9, off, s[0:3], 0 offset:716
	;; [unrolled: 1-line block ×8, first 2 shown]
	v_mov_b32_e32 v2, 0
	ds_read_b128 v[4:7], v2 offset:1392
	v_cmp_lt_u32_e32 vcc, 41, v255
	s_waitcnt vmcnt(6) lgkmcnt(0)
	v_mul_f64 v[16:17], v[4:5], v[8:9]
	v_mul_f64 v[8:9], v[6:7], v[8:9]
	s_waitcnt vmcnt(4)
	v_fma_f64 v[4:5], v[4:5], v[10:11], -v[8:9]
	v_fmac_f64_e32 v[16:17], v[6:7], v[10:11]
	v_add_f64 v[4:5], v[4:5], 0
	v_add_f64 v[6:7], v[16:17], 0
	s_waitcnt vmcnt(2)
	v_add_f64 v[4:5], v[12:13], -v[4:5]
	s_waitcnt vmcnt(0)
	v_add_f64 v[6:7], v[14:15], -v[6:7]
	buffer_store_dword v4, off, s[0:3], 0 offset:688
	buffer_store_dword v5, off, s[0:3], 0 offset:692
	;; [unrolled: 1-line block ×4, first 2 shown]
	s_and_saveexec_b64 s[4:5], vcc
	s_cbranch_execz .LBB43_195
; %bb.194:
	v_accvgpr_read_b32 v0, a90
	buffer_load_dword v4, v0, s[0:3], 0 offen
	buffer_load_dword v5, v0, s[0:3], 0 offen offset:4
	buffer_load_dword v6, v0, s[0:3], 0 offen offset:8
	;; [unrolled: 1-line block ×3, first 2 shown]
	v_accvgpr_read_b32 v0, a132
	buffer_store_dword v2, off, s[0:3], 0 offset:672
	buffer_store_dword v2, off, s[0:3], 0 offset:676
	;; [unrolled: 1-line block ×4, first 2 shown]
	s_waitcnt vmcnt(4)
	ds_write_b128 v0, v[4:7]
.LBB43_195:
	s_or_b64 exec, exec, s[4:5]
	s_waitcnt lgkmcnt(0)
	; wave barrier
	s_waitcnt lgkmcnt(0)
	buffer_load_dword v12, off, s[0:3], 0 offset:696
	buffer_load_dword v13, off, s[0:3], 0 offset:700
	;; [unrolled: 1-line block ×12, first 2 shown]
	ds_read_b128 v[4:7], v2 offset:1376
	ds_read_b128 v[8:11], v2 offset:1392
	v_cmp_lt_u32_e32 vcc, 40, v255
	s_waitcnt vmcnt(10) lgkmcnt(1)
	v_mul_f64 v[2:3], v[4:5], v[12:13]
	v_mul_f64 v[12:13], v[6:7], v[12:13]
	s_waitcnt vmcnt(8) lgkmcnt(0)
	v_mul_f64 v[24:25], v[8:9], v[14:15]
	v_mul_f64 v[14:15], v[10:11], v[14:15]
	s_waitcnt vmcnt(6)
	v_fma_f64 v[4:5], v[4:5], v[16:17], -v[12:13]
	v_fmac_f64_e32 v[2:3], v[6:7], v[16:17]
	s_waitcnt vmcnt(4)
	v_fma_f64 v[6:7], v[8:9], v[18:19], -v[14:15]
	v_add_f64 v[4:5], v[4:5], 0
	v_fmac_f64_e32 v[24:25], v[10:11], v[18:19]
	v_add_f64 v[2:3], v[2:3], 0
	v_add_f64 v[4:5], v[4:5], v[6:7]
	;; [unrolled: 1-line block ×3, first 2 shown]
	s_waitcnt vmcnt(2)
	v_add_f64 v[4:5], v[20:21], -v[4:5]
	s_waitcnt vmcnt(0)
	v_add_f64 v[2:3], v[22:23], -v[2:3]
	buffer_store_dword v4, off, s[0:3], 0 offset:672
	buffer_store_dword v5, off, s[0:3], 0 offset:676
	;; [unrolled: 1-line block ×4, first 2 shown]
	s_and_saveexec_b64 s[4:5], vcc
	s_cbranch_execz .LBB43_197
; %bb.196:
	v_accvgpr_read_b32 v0, a91
	buffer_load_dword v2, v0, s[0:3], 0 offen
	buffer_load_dword v3, v0, s[0:3], 0 offen offset:4
	buffer_load_dword v4, v0, s[0:3], 0 offen offset:8
	;; [unrolled: 1-line block ×3, first 2 shown]
	v_mov_b32_e32 v0, 0
	v_accvgpr_read_b32 v1, a132
	buffer_store_dword v0, off, s[0:3], 0 offset:656
	buffer_store_dword v0, off, s[0:3], 0 offset:660
	;; [unrolled: 1-line block ×4, first 2 shown]
	s_waitcnt vmcnt(4)
	ds_write_b128 v1, v[2:5]
.LBB43_197:
	s_or_b64 exec, exec, s[4:5]
	v_mov_b32_e32 v2, 0
	s_waitcnt lgkmcnt(0)
	; wave barrier
	s_waitcnt lgkmcnt(0)
	ds_read_b128 v[4:7], v2 offset:1360
	ds_read_b128 v[8:11], v2 offset:1376
	;; [unrolled: 1-line block ×3, first 2 shown]
	buffer_load_dword v16, off, s[0:3], 0 offset:656
	buffer_load_dword v17, off, s[0:3], 0 offset:660
	;; [unrolled: 1-line block ×16, first 2 shown]
	v_cmp_lt_u32_e32 vcc, 39, v255
	s_waitcnt vmcnt(8) lgkmcnt(2)
	v_mul_f64 v[32:33], v[4:5], v[22:23]
	v_fmac_f64_e32 v[32:33], v[6:7], v[20:21]
	v_mul_f64 v[6:7], v[6:7], v[22:23]
	v_fma_f64 v[4:5], v[4:5], v[20:21], -v[6:7]
	s_waitcnt vmcnt(4) lgkmcnt(1)
	v_mul_f64 v[6:7], v[10:11], v[26:27]
	v_mul_f64 v[34:35], v[8:9], v[26:27]
	v_add_f64 v[4:5], v[4:5], 0
	v_fma_f64 v[6:7], v[8:9], v[24:25], -v[6:7]
	v_add_f64 v[32:33], v[32:33], 0
	v_fmac_f64_e32 v[34:35], v[10:11], v[24:25]
	v_add_f64 v[4:5], v[4:5], v[6:7]
	s_waitcnt vmcnt(0) lgkmcnt(0)
	v_mul_f64 v[6:7], v[14:15], v[30:31]
	v_add_f64 v[32:33], v[32:33], v[34:35]
	v_mul_f64 v[34:35], v[12:13], v[30:31]
	v_fma_f64 v[6:7], v[12:13], v[28:29], -v[6:7]
	v_fmac_f64_e32 v[34:35], v[14:15], v[28:29]
	v_add_f64 v[4:5], v[4:5], v[6:7]
	v_add_f64 v[32:33], v[32:33], v[34:35]
	v_add_f64 v[4:5], v[16:17], -v[4:5]
	v_add_f64 v[6:7], v[18:19], -v[32:33]
	buffer_store_dword v4, off, s[0:3], 0 offset:656
	buffer_store_dword v5, off, s[0:3], 0 offset:660
	;; [unrolled: 1-line block ×4, first 2 shown]
	s_and_saveexec_b64 s[4:5], vcc
	s_cbranch_execz .LBB43_199
; %bb.198:
	v_accvgpr_read_b32 v0, a92
	buffer_load_dword v4, v0, s[0:3], 0 offen
	buffer_load_dword v5, v0, s[0:3], 0 offen offset:4
	buffer_load_dword v6, v0, s[0:3], 0 offen offset:8
	;; [unrolled: 1-line block ×3, first 2 shown]
	v_accvgpr_read_b32 v0, a132
	buffer_store_dword v2, off, s[0:3], 0 offset:640
	buffer_store_dword v2, off, s[0:3], 0 offset:644
	;; [unrolled: 1-line block ×4, first 2 shown]
	s_waitcnt vmcnt(4)
	ds_write_b128 v0, v[4:7]
.LBB43_199:
	s_or_b64 exec, exec, s[4:5]
	s_waitcnt lgkmcnt(0)
	; wave barrier
	s_waitcnt lgkmcnt(0)
	buffer_load_dword v20, off, s[0:3], 0 offset:664
	buffer_load_dword v21, off, s[0:3], 0 offset:668
	;; [unrolled: 1-line block ×20, first 2 shown]
	ds_read_b128 v[4:7], v2 offset:1344
	ds_read_b128 v[8:11], v2 offset:1360
	;; [unrolled: 1-line block ×4, first 2 shown]
	v_cmp_lt_u32_e32 vcc, 38, v255
	s_waitcnt vmcnt(18) lgkmcnt(3)
	v_mul_f64 v[2:3], v[4:5], v[20:21]
	v_mul_f64 v[20:21], v[6:7], v[20:21]
	s_waitcnt vmcnt(16) lgkmcnt(2)
	v_mul_f64 v[40:41], v[8:9], v[22:23]
	v_mul_f64 v[22:23], v[10:11], v[22:23]
	;; [unrolled: 3-line block ×4, first 2 shown]
	s_waitcnt vmcnt(10)
	v_fma_f64 v[4:5], v[4:5], v[28:29], -v[20:21]
	v_fmac_f64_e32 v[2:3], v[6:7], v[28:29]
	s_waitcnt vmcnt(8)
	v_fma_f64 v[6:7], v[8:9], v[30:31], -v[22:23]
	v_add_f64 v[4:5], v[4:5], 0
	v_fmac_f64_e32 v[40:41], v[10:11], v[30:31]
	s_waitcnt vmcnt(6)
	v_fma_f64 v[8:9], v[12:13], v[32:33], -v[24:25]
	v_add_f64 v[2:3], v[2:3], 0
	v_add_f64 v[4:5], v[4:5], v[6:7]
	v_fmac_f64_e32 v[42:43], v[14:15], v[32:33]
	s_waitcnt vmcnt(4)
	v_fma_f64 v[10:11], v[16:17], v[34:35], -v[26:27]
	v_add_f64 v[2:3], v[2:3], v[40:41]
	v_add_f64 v[4:5], v[4:5], v[8:9]
	v_fmac_f64_e32 v[44:45], v[18:19], v[34:35]
	v_add_f64 v[2:3], v[2:3], v[42:43]
	v_add_f64 v[4:5], v[4:5], v[10:11]
	;; [unrolled: 1-line block ×3, first 2 shown]
	s_waitcnt vmcnt(2)
	v_add_f64 v[4:5], v[36:37], -v[4:5]
	s_waitcnt vmcnt(0)
	v_add_f64 v[2:3], v[38:39], -v[2:3]
	buffer_store_dword v4, off, s[0:3], 0 offset:640
	buffer_store_dword v5, off, s[0:3], 0 offset:644
	;; [unrolled: 1-line block ×4, first 2 shown]
	s_and_saveexec_b64 s[4:5], vcc
	s_cbranch_execz .LBB43_201
; %bb.200:
	v_accvgpr_read_b32 v0, a93
	buffer_load_dword v2, v0, s[0:3], 0 offen
	buffer_load_dword v3, v0, s[0:3], 0 offen offset:4
	buffer_load_dword v4, v0, s[0:3], 0 offen offset:8
	;; [unrolled: 1-line block ×3, first 2 shown]
	v_mov_b32_e32 v0, 0
	v_accvgpr_read_b32 v1, a132
	buffer_store_dword v0, off, s[0:3], 0 offset:624
	buffer_store_dword v0, off, s[0:3], 0 offset:628
	;; [unrolled: 1-line block ×4, first 2 shown]
	s_waitcnt vmcnt(4)
	ds_write_b128 v1, v[2:5]
.LBB43_201:
	s_or_b64 exec, exec, s[4:5]
	s_waitcnt lgkmcnt(0)
	; wave barrier
	s_waitcnt lgkmcnt(0)
	buffer_load_dword v24, off, s[0:3], 0 offset:648
	buffer_load_dword v25, off, s[0:3], 0 offset:652
	;; [unrolled: 1-line block ×24, first 2 shown]
	v_mov_b32_e32 v2, 0
	ds_read_b128 v[4:7], v2 offset:1328
	ds_read_b128 v[8:11], v2 offset:1344
	;; [unrolled: 1-line block ×5, first 2 shown]
	v_cmp_lt_u32_e32 vcc, 37, v255
	s_waitcnt vmcnt(22) lgkmcnt(4)
	v_mul_f64 v[48:49], v[4:5], v[24:25]
	v_mul_f64 v[24:25], v[6:7], v[24:25]
	s_waitcnt vmcnt(20) lgkmcnt(3)
	v_mul_f64 v[50:51], v[8:9], v[26:27]
	v_mul_f64 v[26:27], v[10:11], v[26:27]
	;; [unrolled: 3-line block ×4, first 2 shown]
	s_waitcnt vmcnt(13) lgkmcnt(0)
	v_mul_f64 v[56:57], v[20:21], v[30:31]
	s_waitcnt vmcnt(11)
	v_fma_f64 v[4:5], v[4:5], v[36:37], -v[24:25]
	v_fmac_f64_e32 v[48:49], v[6:7], v[36:37]
	s_waitcnt vmcnt(9)
	v_fma_f64 v[6:7], v[8:9], v[38:39], -v[26:27]
	v_add_f64 v[4:5], v[4:5], 0
	v_fmac_f64_e32 v[50:51], v[10:11], v[38:39]
	s_waitcnt vmcnt(7)
	v_fmac_f64_e32 v[52:53], v[14:15], v[40:41]
	v_fma_f64 v[8:9], v[12:13], v[40:41], -v[28:29]
	v_add_f64 v[14:15], v[48:49], 0
	v_add_f64 v[4:5], v[4:5], v[6:7]
	v_mul_f64 v[30:31], v[22:23], v[30:31]
	s_waitcnt vmcnt(5)
	v_fma_f64 v[10:11], v[16:17], v[42:43], -v[34:35]
	v_add_f64 v[14:15], v[14:15], v[50:51]
	v_add_f64 v[4:5], v[4:5], v[8:9]
	v_fmac_f64_e32 v[54:55], v[18:19], v[42:43]
	s_waitcnt vmcnt(4)
	v_fma_f64 v[12:13], v[20:21], v[32:33], -v[30:31]
	v_add_f64 v[6:7], v[14:15], v[52:53]
	v_add_f64 v[4:5], v[4:5], v[10:11]
	v_fmac_f64_e32 v[56:57], v[22:23], v[32:33]
	v_add_f64 v[6:7], v[6:7], v[54:55]
	v_add_f64 v[4:5], v[4:5], v[12:13]
	;; [unrolled: 1-line block ×3, first 2 shown]
	s_waitcnt vmcnt(2)
	v_add_f64 v[4:5], v[44:45], -v[4:5]
	s_waitcnt vmcnt(0)
	v_add_f64 v[6:7], v[46:47], -v[6:7]
	buffer_store_dword v5, off, s[0:3], 0 offset:628
	buffer_store_dword v4, off, s[0:3], 0 offset:624
	buffer_store_dword v7, off, s[0:3], 0 offset:636
	buffer_store_dword v6, off, s[0:3], 0 offset:632
	s_and_saveexec_b64 s[4:5], vcc
	s_cbranch_execz .LBB43_203
; %bb.202:
	v_accvgpr_read_b32 v0, a94
	buffer_load_dword v4, v0, s[0:3], 0 offen
	buffer_load_dword v5, v0, s[0:3], 0 offen offset:4
	buffer_load_dword v6, v0, s[0:3], 0 offen offset:8
	;; [unrolled: 1-line block ×3, first 2 shown]
	v_accvgpr_read_b32 v0, a132
	buffer_store_dword v2, off, s[0:3], 0 offset:608
	buffer_store_dword v2, off, s[0:3], 0 offset:612
	;; [unrolled: 1-line block ×4, first 2 shown]
	s_waitcnt vmcnt(4)
	ds_write_b128 v0, v[4:7]
.LBB43_203:
	s_or_b64 exec, exec, s[4:5]
	s_waitcnt lgkmcnt(0)
	; wave barrier
	s_waitcnt lgkmcnt(0)
	buffer_load_dword v28, off, s[0:3], 0 offset:632
	buffer_load_dword v29, off, s[0:3], 0 offset:636
	;; [unrolled: 1-line block ×28, first 2 shown]
	ds_read_b128 v[4:7], v2 offset:1312
	ds_read_b128 v[8:11], v2 offset:1328
	;; [unrolled: 1-line block ×6, first 2 shown]
	v_cmp_lt_u32_e32 vcc, 36, v255
	s_waitcnt vmcnt(26) lgkmcnt(5)
	v_mul_f64 v[2:3], v[4:5], v[28:29]
	v_mul_f64 v[28:29], v[6:7], v[28:29]
	s_waitcnt vmcnt(24) lgkmcnt(4)
	v_mul_f64 v[56:57], v[8:9], v[30:31]
	v_mul_f64 v[30:31], v[10:11], v[30:31]
	;; [unrolled: 3-line block ×4, first 2 shown]
	s_waitcnt vmcnt(17)
	v_mul_f64 v[60:61], v[16:17], v[38:39]
	v_mul_f64 v[38:39], v[18:19], v[38:39]
	s_waitcnt vmcnt(15) lgkmcnt(0)
	v_mul_f64 v[64:65], v[24:25], v[40:41]
	v_mul_f64 v[40:41], v[26:27], v[40:41]
	s_waitcnt vmcnt(14)
	v_fmac_f64_e32 v[62:63], v[22:23], v[36:37]
	s_waitcnt vmcnt(12)
	v_fma_f64 v[4:5], v[4:5], v[42:43], -v[28:29]
	v_fmac_f64_e32 v[2:3], v[6:7], v[42:43]
	s_waitcnt vmcnt(10)
	v_fma_f64 v[6:7], v[8:9], v[44:45], -v[30:31]
	v_add_f64 v[4:5], v[4:5], 0
	v_fmac_f64_e32 v[56:57], v[10:11], v[44:45]
	s_waitcnt vmcnt(8)
	v_fma_f64 v[8:9], v[12:13], v[46:47], -v[32:33]
	v_add_f64 v[2:3], v[2:3], 0
	v_add_f64 v[4:5], v[4:5], v[6:7]
	v_fmac_f64_e32 v[58:59], v[14:15], v[46:47]
	s_waitcnt vmcnt(6)
	v_fma_f64 v[10:11], v[16:17], v[48:49], -v[38:39]
	v_add_f64 v[2:3], v[2:3], v[56:57]
	v_add_f64 v[4:5], v[4:5], v[8:9]
	v_fmac_f64_e32 v[60:61], v[18:19], v[48:49]
	v_fma_f64 v[12:13], v[20:21], v[36:37], -v[34:35]
	v_add_f64 v[2:3], v[2:3], v[58:59]
	v_add_f64 v[4:5], v[4:5], v[10:11]
	s_waitcnt vmcnt(4)
	v_fma_f64 v[14:15], v[24:25], v[50:51], -v[40:41]
	v_add_f64 v[2:3], v[2:3], v[60:61]
	v_add_f64 v[4:5], v[4:5], v[12:13]
	v_fmac_f64_e32 v[64:65], v[26:27], v[50:51]
	v_add_f64 v[2:3], v[2:3], v[62:63]
	v_add_f64 v[4:5], v[4:5], v[14:15]
	;; [unrolled: 1-line block ×3, first 2 shown]
	s_waitcnt vmcnt(2)
	v_add_f64 v[4:5], v[52:53], -v[4:5]
	s_waitcnt vmcnt(0)
	v_add_f64 v[2:3], v[54:55], -v[2:3]
	buffer_store_dword v5, off, s[0:3], 0 offset:612
	buffer_store_dword v4, off, s[0:3], 0 offset:608
	;; [unrolled: 1-line block ×4, first 2 shown]
	s_and_saveexec_b64 s[4:5], vcc
	s_cbranch_execz .LBB43_205
; %bb.204:
	v_accvgpr_read_b32 v0, a95
	buffer_load_dword v2, v0, s[0:3], 0 offen
	buffer_load_dword v3, v0, s[0:3], 0 offen offset:4
	buffer_load_dword v4, v0, s[0:3], 0 offen offset:8
	;; [unrolled: 1-line block ×3, first 2 shown]
	v_mov_b32_e32 v0, 0
	v_accvgpr_read_b32 v1, a132
	buffer_store_dword v0, off, s[0:3], 0 offset:592
	buffer_store_dword v0, off, s[0:3], 0 offset:596
	;; [unrolled: 1-line block ×4, first 2 shown]
	s_waitcnt vmcnt(4)
	ds_write_b128 v1, v[2:5]
.LBB43_205:
	s_or_b64 exec, exec, s[4:5]
	s_waitcnt lgkmcnt(0)
	; wave barrier
	s_waitcnt lgkmcnt(0)
	buffer_load_dword v32, off, s[0:3], 0 offset:616
	buffer_load_dword v33, off, s[0:3], 0 offset:620
	;; [unrolled: 1-line block ×32, first 2 shown]
	v_mov_b32_e32 v2, 0
	ds_read_b128 v[4:7], v2 offset:1296
	ds_read_b128 v[8:11], v2 offset:1312
	;; [unrolled: 1-line block ×7, first 2 shown]
	v_cmp_lt_u32_e32 vcc, 35, v255
	s_waitcnt vmcnt(30) lgkmcnt(6)
	v_mul_f64 v[64:65], v[4:5], v[32:33]
	v_mul_f64 v[32:33], v[6:7], v[32:33]
	s_waitcnt vmcnt(28) lgkmcnt(5)
	v_mul_f64 v[66:67], v[8:9], v[34:35]
	v_mul_f64 v[34:35], v[10:11], v[34:35]
	;; [unrolled: 3-line block ×4, first 2 shown]
	s_waitcnt vmcnt(21)
	v_mul_f64 v[70:71], v[16:17], v[42:43]
	v_mul_f64 v[42:43], v[18:19], v[42:43]
	s_waitcnt vmcnt(17) lgkmcnt(1)
	v_mul_f64 v[74:75], v[24:25], v[48:49]
	v_mul_f64 v[48:49], v[26:27], v[48:49]
	s_waitcnt vmcnt(16) lgkmcnt(0)
	v_mul_f64 v[76:77], v[28:29], v[44:45]
	v_mul_f64 v[44:45], v[30:31], v[44:45]
	s_waitcnt vmcnt(13)
	v_fma_f64 v[4:5], v[4:5], v[50:51], -v[32:33]
	v_fmac_f64_e32 v[64:65], v[6:7], v[50:51]
	s_waitcnt vmcnt(11)
	v_fma_f64 v[6:7], v[8:9], v[52:53], -v[34:35]
	v_add_f64 v[4:5], v[4:5], 0
	v_fmac_f64_e32 v[66:67], v[10:11], v[52:53]
	s_waitcnt vmcnt(9)
	v_fma_f64 v[8:9], v[12:13], v[54:55], -v[36:37]
	s_waitcnt vmcnt(7)
	v_fmac_f64_e32 v[70:71], v[18:19], v[56:57]
	v_add_f64 v[18:19], v[64:65], 0
	v_add_f64 v[4:5], v[4:5], v[6:7]
	v_fmac_f64_e32 v[68:69], v[14:15], v[54:55]
	v_fma_f64 v[10:11], v[16:17], v[56:57], -v[42:43]
	v_add_f64 v[18:19], v[18:19], v[66:67]
	v_add_f64 v[4:5], v[4:5], v[8:9]
	v_fma_f64 v[12:13], v[20:21], v[40:41], -v[38:39]
	v_add_f64 v[6:7], v[18:19], v[68:69]
	v_add_f64 v[4:5], v[4:5], v[10:11]
	v_fmac_f64_e32 v[72:73], v[22:23], v[40:41]
	s_waitcnt vmcnt(5)
	v_fma_f64 v[14:15], v[24:25], v[58:59], -v[48:49]
	v_add_f64 v[6:7], v[6:7], v[70:71]
	v_add_f64 v[4:5], v[4:5], v[12:13]
	v_fmac_f64_e32 v[74:75], v[26:27], v[58:59]
	s_waitcnt vmcnt(4)
	v_fma_f64 v[16:17], v[28:29], v[46:47], -v[44:45]
	v_add_f64 v[6:7], v[6:7], v[72:73]
	v_add_f64 v[4:5], v[4:5], v[14:15]
	v_fmac_f64_e32 v[76:77], v[30:31], v[46:47]
	v_add_f64 v[6:7], v[6:7], v[74:75]
	v_add_f64 v[4:5], v[4:5], v[16:17]
	;; [unrolled: 1-line block ×3, first 2 shown]
	s_waitcnt vmcnt(2)
	v_add_f64 v[4:5], v[60:61], -v[4:5]
	s_waitcnt vmcnt(0)
	v_add_f64 v[6:7], v[62:63], -v[6:7]
	buffer_store_dword v5, off, s[0:3], 0 offset:596
	buffer_store_dword v4, off, s[0:3], 0 offset:592
	;; [unrolled: 1-line block ×4, first 2 shown]
	s_and_saveexec_b64 s[4:5], vcc
	s_cbranch_execz .LBB43_207
; %bb.206:
	v_accvgpr_read_b32 v0, a96
	buffer_load_dword v4, v0, s[0:3], 0 offen
	buffer_load_dword v5, v0, s[0:3], 0 offen offset:4
	buffer_load_dword v6, v0, s[0:3], 0 offen offset:8
	;; [unrolled: 1-line block ×3, first 2 shown]
	v_accvgpr_read_b32 v0, a132
	buffer_store_dword v2, off, s[0:3], 0 offset:576
	buffer_store_dword v2, off, s[0:3], 0 offset:580
	;; [unrolled: 1-line block ×4, first 2 shown]
	s_waitcnt vmcnt(4)
	ds_write_b128 v0, v[4:7]
.LBB43_207:
	s_or_b64 exec, exec, s[4:5]
	s_waitcnt lgkmcnt(0)
	; wave barrier
	s_waitcnt lgkmcnt(0)
	buffer_load_dword v36, off, s[0:3], 0 offset:600
	buffer_load_dword v37, off, s[0:3], 0 offset:604
	;; [unrolled: 1-line block ×36, first 2 shown]
	ds_read_b128 v[4:7], v2 offset:1280
	ds_read_b128 v[8:11], v2 offset:1296
	;; [unrolled: 1-line block ×8, first 2 shown]
	v_cmp_lt_u32_e32 vcc, 34, v255
	s_waitcnt vmcnt(34) lgkmcnt(7)
	v_mul_f64 v[2:3], v[4:5], v[36:37]
	v_mul_f64 v[36:37], v[6:7], v[36:37]
	s_waitcnt vmcnt(32) lgkmcnt(6)
	v_mul_f64 v[72:73], v[8:9], v[38:39]
	v_mul_f64 v[38:39], v[10:11], v[38:39]
	;; [unrolled: 3-line block ×4, first 2 shown]
	s_waitcnt vmcnt(25)
	v_mul_f64 v[76:77], v[16:17], v[46:47]
	v_mul_f64 v[46:47], v[18:19], v[46:47]
	s_waitcnt vmcnt(23) lgkmcnt(1)
	v_mul_f64 v[82:83], v[28:29], v[48:49]
	v_mul_f64 v[48:49], v[30:31], v[48:49]
	s_waitcnt vmcnt(20)
	v_mul_f64 v[80:81], v[24:25], v[52:53]
	v_mul_f64 v[52:53], v[26:27], v[52:53]
	s_waitcnt vmcnt(18) lgkmcnt(0)
	v_mul_f64 v[84:85], v[32:33], v[54:55]
	s_waitcnt vmcnt(17)
	v_fmac_f64_e32 v[78:79], v[22:23], v[44:45]
	s_waitcnt vmcnt(16)
	v_fmac_f64_e32 v[82:83], v[30:31], v[50:51]
	s_waitcnt vmcnt(14)
	v_fma_f64 v[4:5], v[4:5], v[56:57], -v[36:37]
	v_fmac_f64_e32 v[2:3], v[6:7], v[56:57]
	s_waitcnt vmcnt(12)
	v_fma_f64 v[6:7], v[8:9], v[58:59], -v[38:39]
	v_add_f64 v[4:5], v[4:5], 0
	v_fmac_f64_e32 v[72:73], v[10:11], v[58:59]
	s_waitcnt vmcnt(10)
	v_fma_f64 v[8:9], v[12:13], v[60:61], -v[40:41]
	v_add_f64 v[2:3], v[2:3], 0
	v_add_f64 v[4:5], v[4:5], v[6:7]
	v_fmac_f64_e32 v[74:75], v[14:15], v[60:61]
	s_waitcnt vmcnt(8)
	v_fma_f64 v[10:11], v[16:17], v[62:63], -v[46:47]
	v_add_f64 v[2:3], v[2:3], v[72:73]
	v_add_f64 v[4:5], v[4:5], v[8:9]
	v_fmac_f64_e32 v[76:77], v[18:19], v[62:63]
	v_fma_f64 v[12:13], v[20:21], v[44:45], -v[42:43]
	v_add_f64 v[2:3], v[2:3], v[74:75]
	v_add_f64 v[4:5], v[4:5], v[10:11]
	s_waitcnt vmcnt(6)
	v_fma_f64 v[14:15], v[24:25], v[64:65], -v[52:53]
	v_add_f64 v[2:3], v[2:3], v[76:77]
	v_add_f64 v[4:5], v[4:5], v[12:13]
	v_fmac_f64_e32 v[80:81], v[26:27], v[64:65]
	v_fma_f64 v[16:17], v[28:29], v[50:51], -v[48:49]
	v_add_f64 v[2:3], v[2:3], v[78:79]
	v_add_f64 v[4:5], v[4:5], v[14:15]
	v_mul_f64 v[6:7], v[34:35], v[54:55]
	v_add_f64 v[2:3], v[2:3], v[80:81]
	v_add_f64 v[4:5], v[4:5], v[16:17]
	s_waitcnt vmcnt(4)
	v_fma_f64 v[6:7], v[32:33], v[66:67], -v[6:7]
	v_fmac_f64_e32 v[84:85], v[34:35], v[66:67]
	v_add_f64 v[2:3], v[2:3], v[82:83]
	v_add_f64 v[4:5], v[4:5], v[6:7]
	;; [unrolled: 1-line block ×3, first 2 shown]
	s_waitcnt vmcnt(2)
	v_add_f64 v[4:5], v[68:69], -v[4:5]
	s_waitcnt vmcnt(0)
	v_add_f64 v[2:3], v[70:71], -v[2:3]
	buffer_store_dword v5, off, s[0:3], 0 offset:580
	buffer_store_dword v4, off, s[0:3], 0 offset:576
	;; [unrolled: 1-line block ×4, first 2 shown]
	s_and_saveexec_b64 s[4:5], vcc
	s_cbranch_execz .LBB43_209
; %bb.208:
	v_accvgpr_read_b32 v0, a97
	buffer_load_dword v2, v0, s[0:3], 0 offen
	buffer_load_dword v3, v0, s[0:3], 0 offen offset:4
	buffer_load_dword v4, v0, s[0:3], 0 offen offset:8
	;; [unrolled: 1-line block ×3, first 2 shown]
	v_mov_b32_e32 v0, 0
	v_accvgpr_read_b32 v1, a132
	buffer_store_dword v0, off, s[0:3], 0 offset:560
	buffer_store_dword v0, off, s[0:3], 0 offset:564
	;; [unrolled: 1-line block ×4, first 2 shown]
	s_waitcnt vmcnt(4)
	ds_write_b128 v1, v[2:5]
.LBB43_209:
	s_or_b64 exec, exec, s[4:5]
	s_waitcnt lgkmcnt(0)
	; wave barrier
	s_waitcnt lgkmcnt(0)
	buffer_load_dword v40, off, s[0:3], 0 offset:584
	buffer_load_dword v41, off, s[0:3], 0 offset:588
	;; [unrolled: 1-line block ×40, first 2 shown]
	v_mov_b32_e32 v6, 0
	ds_read_b128 v[2:5], v6 offset:1264
	ds_read_b128 v[8:11], v6 offset:1280
	;; [unrolled: 1-line block ×9, first 2 shown]
	v_cmp_lt_u32_e32 vcc, 33, v255
	s_waitcnt vmcnt(38) lgkmcnt(8)
	v_mul_f64 v[80:81], v[2:3], v[40:41]
	v_mul_f64 v[40:41], v[4:5], v[40:41]
	s_waitcnt vmcnt(36) lgkmcnt(7)
	v_mul_f64 v[82:83], v[8:9], v[42:43]
	v_mul_f64 v[42:43], v[10:11], v[42:43]
	;; [unrolled: 3-line block ×3, first 2 shown]
	s_waitcnt vmcnt(32) lgkmcnt(4)
	v_mul_f64 v[88:89], v[20:21], v[46:47]
	s_waitcnt vmcnt(30)
	v_fmac_f64_e32 v[88:89], v[22:23], v[48:49]
	s_waitcnt vmcnt(28)
	v_mul_f64 v[86:87], v[16:17], v[50:51]
	v_mul_f64 v[50:51], v[18:19], v[50:51]
	s_waitcnt vmcnt(26) lgkmcnt(2)
	v_mul_f64 v[92:93], v[28:29], v[52:53]
	s_waitcnt vmcnt(24)
	v_fmac_f64_e32 v[92:93], v[30:31], v[54:55]
	s_waitcnt vmcnt(22)
	v_mul_f64 v[90:91], v[24:25], v[56:57]
	s_waitcnt vmcnt(18) lgkmcnt(1)
	v_mul_f64 v[94:95], v[32:33], v[62:63]
	s_waitcnt vmcnt(17) lgkmcnt(0)
	v_mul_f64 v[96:97], v[36:37], v[58:59]
	s_waitcnt vmcnt(15)
	v_fma_f64 v[2:3], v[2:3], v[64:65], -v[40:41]
	v_fmac_f64_e32 v[80:81], v[4:5], v[64:65]
	s_waitcnt vmcnt(13)
	v_fma_f64 v[4:5], v[8:9], v[66:67], -v[42:43]
	v_add_f64 v[2:3], v[2:3], 0
	s_waitcnt vmcnt(11)
	v_fma_f64 v[8:9], v[12:13], v[68:69], -v[44:45]
	v_add_f64 v[2:3], v[2:3], v[4:5]
	v_fmac_f64_e32 v[82:83], v[10:11], v[66:67]
	s_waitcnt vmcnt(9)
	v_fma_f64 v[10:11], v[16:17], v[70:71], -v[50:51]
	v_add_f64 v[2:3], v[2:3], v[8:9]
	v_mul_f64 v[8:9], v[22:23], v[46:47]
	v_add_f64 v[2:3], v[2:3], v[10:11]
	v_fma_f64 v[8:9], v[20:21], v[48:49], -v[8:9]
	v_add_f64 v[2:3], v[2:3], v[8:9]
	v_mul_f64 v[8:9], v[26:27], v[56:57]
	v_add_f64 v[12:13], v[80:81], 0
	s_waitcnt vmcnt(7)
	v_fma_f64 v[8:9], v[24:25], v[72:73], -v[8:9]
	v_fmac_f64_e32 v[84:85], v[14:15], v[68:69]
	v_add_f64 v[12:13], v[12:13], v[82:83]
	v_add_f64 v[2:3], v[2:3], v[8:9]
	v_mul_f64 v[8:9], v[30:31], v[52:53]
	v_fmac_f64_e32 v[86:87], v[18:19], v[70:71]
	v_add_f64 v[4:5], v[12:13], v[84:85]
	v_fma_f64 v[8:9], v[28:29], v[54:55], -v[8:9]
	v_add_f64 v[4:5], v[4:5], v[86:87]
	v_add_f64 v[2:3], v[2:3], v[8:9]
	v_mul_f64 v[8:9], v[34:35], v[62:63]
	v_fmac_f64_e32 v[90:91], v[26:27], v[72:73]
	v_add_f64 v[4:5], v[4:5], v[88:89]
	s_waitcnt vmcnt(5)
	v_fma_f64 v[8:9], v[32:33], v[74:75], -v[8:9]
	v_add_f64 v[4:5], v[4:5], v[90:91]
	v_add_f64 v[2:3], v[2:3], v[8:9]
	v_mul_f64 v[8:9], v[38:39], v[58:59]
	v_fmac_f64_e32 v[94:95], v[34:35], v[74:75]
	v_add_f64 v[4:5], v[4:5], v[92:93]
	s_waitcnt vmcnt(4)
	v_fma_f64 v[8:9], v[36:37], v[60:61], -v[8:9]
	v_fmac_f64_e32 v[96:97], v[38:39], v[60:61]
	v_add_f64 v[4:5], v[4:5], v[94:95]
	v_add_f64 v[2:3], v[2:3], v[8:9]
	;; [unrolled: 1-line block ×3, first 2 shown]
	s_waitcnt vmcnt(2)
	v_add_f64 v[2:3], v[76:77], -v[2:3]
	s_waitcnt vmcnt(0)
	v_add_f64 v[4:5], v[78:79], -v[4:5]
	buffer_store_dword v3, off, s[0:3], 0 offset:564
	buffer_store_dword v2, off, s[0:3], 0 offset:560
	;; [unrolled: 1-line block ×4, first 2 shown]
	s_and_saveexec_b64 s[4:5], vcc
	s_cbranch_execz .LBB43_211
; %bb.210:
	v_accvgpr_read_b32 v0, a98
	buffer_load_dword v2, v0, s[0:3], 0 offen
	buffer_load_dword v3, v0, s[0:3], 0 offen offset:4
	buffer_load_dword v4, v0, s[0:3], 0 offen offset:8
	;; [unrolled: 1-line block ×3, first 2 shown]
	v_accvgpr_read_b32 v0, a132
	buffer_store_dword v6, off, s[0:3], 0 offset:544
	buffer_store_dword v6, off, s[0:3], 0 offset:548
	;; [unrolled: 1-line block ×4, first 2 shown]
	s_waitcnt vmcnt(4)
	ds_write_b128 v0, v[2:5]
.LBB43_211:
	s_or_b64 exec, exec, s[4:5]
	s_waitcnt lgkmcnt(0)
	; wave barrier
	s_waitcnt lgkmcnt(0)
	buffer_load_dword v4, off, s[0:3], 0 offset:560
	buffer_load_dword v5, off, s[0:3], 0 offset:564
	;; [unrolled: 1-line block ×44, first 2 shown]
	ds_read_b128 v[8:11], v6 offset:1248
	ds_read_b128 v[12:15], v6 offset:1264
	;; [unrolled: 1-line block ×10, first 2 shown]
	v_cmp_lt_u32_e32 vcc, 32, v255
	s_waitcnt vmcnt(40) lgkmcnt(9)
	v_mul_f64 v[6:7], v[8:9], v[48:49]
	v_mul_f64 v[48:49], v[10:11], v[48:49]
	s_waitcnt vmcnt(38) lgkmcnt(8)
	v_mul_f64 v[88:89], v[12:13], v[50:51]
	v_mul_f64 v[50:51], v[14:15], v[50:51]
	v_fmac_f64_e32 v[6:7], v[10:11], v[4:5]
	v_fma_f64 v[4:5], v[8:9], v[4:5], -v[48:49]
	s_waitcnt vmcnt(36) lgkmcnt(7)
	v_mul_f64 v[90:91], v[16:17], v[2:3]
	v_add_f64 v[4:5], v[4:5], 0
	v_mul_f64 v[2:3], v[18:19], v[2:3]
	v_add_f64 v[6:7], v[6:7], 0
	s_waitcnt vmcnt(30) lgkmcnt(6)
	v_mul_f64 v[92:93], v[20:21], v[56:57]
	s_waitcnt lgkmcnt(5)
	v_mul_f64 v[94:95], v[24:25], v[52:53]
	v_fmac_f64_e32 v[94:95], v[26:27], v[54:55]
	s_waitcnt vmcnt(28) lgkmcnt(3)
	v_mul_f64 v[98:99], v[32:33], v[58:59]
	s_waitcnt vmcnt(26)
	v_fmac_f64_e32 v[98:99], v[34:35], v[60:61]
	s_waitcnt vmcnt(24)
	v_mul_f64 v[96:97], v[28:29], v[62:63]
	s_waitcnt vmcnt(22) lgkmcnt(1)
	v_mul_f64 v[102:103], v[40:41], v[64:65]
	s_waitcnt vmcnt(20)
	v_fmac_f64_e32 v[102:103], v[42:43], v[66:67]
	s_waitcnt vmcnt(18)
	v_mul_f64 v[100:101], v[36:37], v[68:69]
	s_waitcnt vmcnt(16) lgkmcnt(0)
	v_mul_f64 v[104:105], v[44:45], v[70:71]
	s_waitcnt vmcnt(14)
	v_fma_f64 v[8:9], v[12:13], v[72:73], -v[50:51]
	v_add_f64 v[4:5], v[4:5], v[8:9]
	s_waitcnt vmcnt(12)
	v_fma_f64 v[2:3], v[16:17], v[74:75], -v[2:3]
	v_add_f64 v[2:3], v[4:5], v[2:3]
	v_mul_f64 v[4:5], v[22:23], v[56:57]
	s_waitcnt vmcnt(10)
	v_fma_f64 v[4:5], v[20:21], v[76:77], -v[4:5]
	v_add_f64 v[2:3], v[2:3], v[4:5]
	v_mul_f64 v[4:5], v[26:27], v[52:53]
	v_fma_f64 v[4:5], v[24:25], v[54:55], -v[4:5]
	v_add_f64 v[2:3], v[2:3], v[4:5]
	v_mul_f64 v[4:5], v[30:31], v[62:63]
	s_waitcnt vmcnt(8)
	v_fma_f64 v[4:5], v[28:29], v[78:79], -v[4:5]
	v_fmac_f64_e32 v[88:89], v[14:15], v[72:73]
	v_add_f64 v[2:3], v[2:3], v[4:5]
	v_mul_f64 v[4:5], v[34:35], v[58:59]
	v_fmac_f64_e32 v[90:91], v[18:19], v[74:75]
	v_add_f64 v[6:7], v[6:7], v[88:89]
	v_fma_f64 v[4:5], v[32:33], v[60:61], -v[4:5]
	v_fmac_f64_e32 v[92:93], v[22:23], v[76:77]
	v_add_f64 v[6:7], v[6:7], v[90:91]
	v_add_f64 v[2:3], v[2:3], v[4:5]
	v_mul_f64 v[4:5], v[38:39], v[68:69]
	v_add_f64 v[6:7], v[6:7], v[92:93]
	s_waitcnt vmcnt(6)
	v_fma_f64 v[4:5], v[36:37], v[80:81], -v[4:5]
	v_fmac_f64_e32 v[96:97], v[30:31], v[78:79]
	v_add_f64 v[6:7], v[6:7], v[94:95]
	v_add_f64 v[2:3], v[2:3], v[4:5]
	v_mul_f64 v[4:5], v[42:43], v[64:65]
	v_add_f64 v[6:7], v[6:7], v[96:97]
	v_fma_f64 v[4:5], v[40:41], v[66:67], -v[4:5]
	v_fmac_f64_e32 v[100:101], v[38:39], v[80:81]
	v_add_f64 v[6:7], v[6:7], v[98:99]
	v_add_f64 v[2:3], v[2:3], v[4:5]
	v_mul_f64 v[4:5], v[46:47], v[70:71]
	v_add_f64 v[6:7], v[6:7], v[100:101]
	s_waitcnt vmcnt(4)
	v_fma_f64 v[4:5], v[44:45], v[82:83], -v[4:5]
	v_fmac_f64_e32 v[104:105], v[46:47], v[82:83]
	v_add_f64 v[6:7], v[6:7], v[102:103]
	v_add_f64 v[2:3], v[2:3], v[4:5]
	;; [unrolled: 1-line block ×3, first 2 shown]
	s_waitcnt vmcnt(2)
	v_add_f64 v[2:3], v[84:85], -v[2:3]
	s_waitcnt vmcnt(0)
	v_add_f64 v[4:5], v[86:87], -v[6:7]
	buffer_store_dword v3, off, s[0:3], 0 offset:548
	buffer_store_dword v2, off, s[0:3], 0 offset:544
	;; [unrolled: 1-line block ×4, first 2 shown]
	s_and_saveexec_b64 s[4:5], vcc
	s_cbranch_execz .LBB43_213
; %bb.212:
	v_accvgpr_read_b32 v0, a99
	buffer_load_dword v2, v0, s[0:3], 0 offen
	buffer_load_dword v3, v0, s[0:3], 0 offen offset:4
	buffer_load_dword v4, v0, s[0:3], 0 offen offset:8
	;; [unrolled: 1-line block ×3, first 2 shown]
	v_mov_b32_e32 v0, 0
	v_accvgpr_read_b32 v1, a132
	buffer_store_dword v0, off, s[0:3], 0 offset:528
	buffer_store_dword v0, off, s[0:3], 0 offset:532
	;; [unrolled: 1-line block ×4, first 2 shown]
	s_waitcnt vmcnt(4)
	ds_write_b128 v1, v[2:5]
.LBB43_213:
	s_or_b64 exec, exec, s[4:5]
	s_waitcnt lgkmcnt(0)
	; wave barrier
	s_waitcnt lgkmcnt(0)
	buffer_load_dword v2, off, s[0:3], 0 offset:544
	buffer_load_dword v3, off, s[0:3], 0 offset:548
	;; [unrolled: 1-line block ×48, first 2 shown]
	v_mov_b32_e32 v12, 0
	ds_read_b128 v[14:17], v12 offset:1232
	ds_read_b128 v[18:21], v12 offset:1248
	;; [unrolled: 1-line block ×11, first 2 shown]
	v_cmp_lt_u32_e32 vcc, 31, v255
	s_waitcnt vmcnt(44) lgkmcnt(10)
	v_mul_f64 v[96:97], v[14:15], v[6:7]
	v_mul_f64 v[6:7], v[16:17], v[6:7]
	v_fmac_f64_e32 v[96:97], v[16:17], v[2:3]
	v_fma_f64 v[2:3], v[14:15], v[2:3], -v[6:7]
	s_waitcnt vmcnt(40) lgkmcnt(9)
	v_mul_f64 v[98:99], v[18:19], v[8:9]
	v_mul_f64 v[6:7], v[20:21], v[8:9]
	v_fmac_f64_e32 v[98:99], v[20:21], v[4:5]
	v_add_f64 v[2:3], v[2:3], 0
	v_fma_f64 v[4:5], v[18:19], v[4:5], -v[6:7]
	v_add_f64 v[2:3], v[2:3], v[4:5]
	s_waitcnt vmcnt(38) lgkmcnt(8)
	v_mul_f64 v[4:5], v[24:25], v[10:11]
	v_mul_f64 v[100:101], v[22:23], v[10:11]
	v_add_f64 v[96:97], v[96:97], 0
	s_waitcnt vmcnt(32) lgkmcnt(7)
	v_mul_f64 v[102:103], v[26:27], v[62:63]
	v_add_f64 v[96:97], v[96:97], v[98:99]
	s_waitcnt lgkmcnt(6)
	v_mul_f64 v[104:105], v[30:31], v[58:59]
	v_fmac_f64_e32 v[104:105], v[32:33], v[60:61]
	s_waitcnt vmcnt(30) lgkmcnt(4)
	v_mul_f64 v[108:109], v[38:39], v[64:65]
	s_waitcnt vmcnt(26)
	v_mul_f64 v[106:107], v[34:35], v[68:69]
	v_fmac_f64_e32 v[108:109], v[40:41], v[66:67]
	s_waitcnt vmcnt(24) lgkmcnt(2)
	v_mul_f64 v[112:113], v[46:47], v[70:71]
	s_waitcnt vmcnt(22)
	v_fmac_f64_e32 v[112:113], v[48:49], v[72:73]
	s_waitcnt vmcnt(20)
	v_mul_f64 v[110:111], v[42:43], v[74:75]
	s_waitcnt vmcnt(16) lgkmcnt(1)
	v_mul_f64 v[114:115], v[50:51], v[80:81]
	s_waitcnt vmcnt(14)
	v_fma_f64 v[4:5], v[22:23], v[82:83], -v[4:5]
	v_add_f64 v[2:3], v[2:3], v[4:5]
	v_mul_f64 v[4:5], v[28:29], v[62:63]
	s_waitcnt vmcnt(12)
	v_fma_f64 v[4:5], v[26:27], v[84:85], -v[4:5]
	v_add_f64 v[2:3], v[2:3], v[4:5]
	v_mul_f64 v[4:5], v[32:33], v[58:59]
	v_fma_f64 v[4:5], v[30:31], v[60:61], -v[4:5]
	v_add_f64 v[2:3], v[2:3], v[4:5]
	v_mul_f64 v[4:5], v[36:37], v[68:69]
	s_waitcnt vmcnt(10)
	v_fma_f64 v[4:5], v[34:35], v[86:87], -v[4:5]
	v_add_f64 v[2:3], v[2:3], v[4:5]
	v_mul_f64 v[4:5], v[40:41], v[64:65]
	v_fma_f64 v[4:5], v[38:39], v[66:67], -v[4:5]
	v_fmac_f64_e32 v[100:101], v[24:25], v[82:83]
	v_add_f64 v[2:3], v[2:3], v[4:5]
	v_mul_f64 v[4:5], v[44:45], v[74:75]
	v_fmac_f64_e32 v[102:103], v[28:29], v[84:85]
	v_add_f64 v[96:97], v[96:97], v[100:101]
	s_waitcnt vmcnt(8)
	v_fma_f64 v[4:5], v[42:43], v[88:89], -v[4:5]
	v_add_f64 v[96:97], v[96:97], v[102:103]
	v_add_f64 v[2:3], v[2:3], v[4:5]
	v_mul_f64 v[4:5], v[48:49], v[70:71]
	v_fmac_f64_e32 v[106:107], v[36:37], v[86:87]
	v_add_f64 v[96:97], v[96:97], v[104:105]
	v_fma_f64 v[4:5], v[46:47], v[72:73], -v[4:5]
	v_add_f64 v[96:97], v[96:97], v[106:107]
	v_add_f64 v[2:3], v[2:3], v[4:5]
	v_mul_f64 v[4:5], v[52:53], v[80:81]
	v_fmac_f64_e32 v[110:111], v[44:45], v[88:89]
	v_add_f64 v[96:97], v[96:97], v[108:109]
	s_waitcnt vmcnt(6)
	v_fma_f64 v[4:5], v[50:51], v[90:91], -v[4:5]
	v_add_f64 v[96:97], v[96:97], v[110:111]
	v_add_f64 v[2:3], v[2:3], v[4:5]
	s_waitcnt vmcnt(5) lgkmcnt(0)
	v_mul_f64 v[4:5], v[56:57], v[76:77]
	v_fmac_f64_e32 v[114:115], v[52:53], v[90:91]
	v_add_f64 v[96:97], v[96:97], v[112:113]
	v_mul_f64 v[98:99], v[54:55], v[76:77]
	s_waitcnt vmcnt(4)
	v_fma_f64 v[4:5], v[54:55], v[78:79], -v[4:5]
	v_add_f64 v[96:97], v[96:97], v[114:115]
	v_fmac_f64_e32 v[98:99], v[56:57], v[78:79]
	v_add_f64 v[2:3], v[2:3], v[4:5]
	v_add_f64 v[96:97], v[96:97], v[98:99]
	s_waitcnt vmcnt(2)
	v_add_f64 v[2:3], v[92:93], -v[2:3]
	s_waitcnt vmcnt(0)
	v_add_f64 v[4:5], v[94:95], -v[96:97]
	buffer_store_dword v3, off, s[0:3], 0 offset:532
	buffer_store_dword v2, off, s[0:3], 0 offset:528
	;; [unrolled: 1-line block ×4, first 2 shown]
	s_and_saveexec_b64 s[4:5], vcc
	s_cbranch_execz .LBB43_215
; %bb.214:
	v_accvgpr_read_b32 v0, a100
	buffer_load_dword v2, v0, s[0:3], 0 offen
	buffer_load_dword v3, v0, s[0:3], 0 offen offset:4
	buffer_load_dword v4, v0, s[0:3], 0 offen offset:8
	;; [unrolled: 1-line block ×3, first 2 shown]
	v_accvgpr_read_b32 v0, a132
	buffer_store_dword v12, off, s[0:3], 0 offset:512
	buffer_store_dword v12, off, s[0:3], 0 offset:516
	;; [unrolled: 1-line block ×4, first 2 shown]
	s_waitcnt vmcnt(4)
	ds_write_b128 v0, v[2:5]
.LBB43_215:
	s_or_b64 exec, exec, s[4:5]
	s_waitcnt lgkmcnt(0)
	; wave barrier
	s_waitcnt lgkmcnt(0)
	buffer_load_dword v2, off, s[0:3], 0 offset:528
	buffer_load_dword v3, off, s[0:3], 0 offset:532
	;; [unrolled: 1-line block ×52, first 2 shown]
	ds_read_b128 v[14:17], v12 offset:1216
	ds_read_b128 v[18:21], v12 offset:1232
	;; [unrolled: 1-line block ×10, first 2 shown]
	v_cmp_lt_u32_e32 vcc, 30, v255
	s_waitcnt vmcnt(48) lgkmcnt(9)
	v_mul_f64 v[54:55], v[14:15], v[6:7]
	v_mul_f64 v[6:7], v[16:17], v[6:7]
	v_fmac_f64_e32 v[54:55], v[16:17], v[2:3]
	v_fma_f64 v[2:3], v[14:15], v[2:3], -v[6:7]
	s_waitcnt vmcnt(44) lgkmcnt(8)
	v_mul_f64 v[56:57], v[18:19], v[8:9]
	v_mul_f64 v[6:7], v[20:21], v[8:9]
	v_fmac_f64_e32 v[56:57], v[20:21], v[4:5]
	v_add_f64 v[2:3], v[2:3], 0
	v_fma_f64 v[4:5], v[18:19], v[4:5], -v[6:7]
	v_add_f64 v[2:3], v[2:3], v[4:5]
	s_waitcnt vmcnt(42) lgkmcnt(7)
	v_mul_f64 v[4:5], v[24:25], v[10:11]
	v_mul_f64 v[58:59], v[22:23], v[10:11]
	v_add_f64 v[54:55], v[54:55], 0
	s_waitcnt vmcnt(36) lgkmcnt(6)
	v_mul_f64 v[60:61], v[26:27], v[66:67]
	v_add_f64 v[54:55], v[54:55], v[56:57]
	s_waitcnt lgkmcnt(5)
	v_mul_f64 v[104:105], v[30:31], v[62:63]
	v_fmac_f64_e32 v[104:105], v[32:33], v[64:65]
	s_waitcnt vmcnt(34) lgkmcnt(3)
	v_mul_f64 v[108:109], v[38:39], v[68:69]
	s_waitcnt vmcnt(30)
	v_mul_f64 v[106:107], v[34:35], v[72:73]
	v_fmac_f64_e32 v[108:109], v[40:41], v[70:71]
	s_waitcnt vmcnt(26) lgkmcnt(2)
	v_mul_f64 v[110:111], v[42:43], v[78:79]
	s_waitcnt vmcnt(25) lgkmcnt(1)
	v_mul_f64 v[112:113], v[46:47], v[74:75]
	s_waitcnt vmcnt(23)
	v_fma_f64 v[4:5], v[22:23], v[80:81], -v[4:5]
	v_add_f64 v[2:3], v[2:3], v[4:5]
	v_mul_f64 v[4:5], v[28:29], v[66:67]
	s_waitcnt vmcnt(21)
	v_fma_f64 v[4:5], v[26:27], v[82:83], -v[4:5]
	v_fmac_f64_e32 v[58:59], v[24:25], v[80:81]
	v_add_f64 v[2:3], v[2:3], v[4:5]
	v_mul_f64 v[4:5], v[32:33], v[62:63]
	v_fmac_f64_e32 v[60:61], v[28:29], v[82:83]
	v_add_f64 v[54:55], v[54:55], v[58:59]
	v_fma_f64 v[4:5], v[30:31], v[64:65], -v[4:5]
	v_add_f64 v[54:55], v[54:55], v[60:61]
	v_add_f64 v[2:3], v[2:3], v[4:5]
	v_mul_f64 v[4:5], v[36:37], v[72:73]
	s_waitcnt vmcnt(19)
	v_fmac_f64_e32 v[106:107], v[36:37], v[84:85]
	v_add_f64 v[54:55], v[54:55], v[104:105]
	v_fma_f64 v[4:5], v[34:35], v[84:85], -v[4:5]
	v_add_f64 v[54:55], v[54:55], v[106:107]
	v_add_f64 v[2:3], v[2:3], v[4:5]
	v_mul_f64 v[4:5], v[40:41], v[68:69]
	s_waitcnt vmcnt(17)
	v_fmac_f64_e32 v[110:111], v[44:45], v[86:87]
	v_add_f64 v[54:55], v[54:55], v[108:109]
	v_fma_f64 v[4:5], v[38:39], v[70:71], -v[4:5]
	s_waitcnt vmcnt(16)
	v_fmac_f64_e32 v[112:113], v[48:49], v[76:77]
	v_add_f64 v[54:55], v[54:55], v[110:111]
	v_add_f64 v[2:3], v[2:3], v[4:5]
	v_mul_f64 v[4:5], v[44:45], v[78:79]
	v_add_f64 v[104:105], v[54:55], v[112:113]
	ds_read_b128 v[54:57], v12 offset:1376
	ds_read_b128 v[58:61], v12 offset:1392
	v_fma_f64 v[4:5], v[42:43], v[86:87], -v[4:5]
	v_add_f64 v[2:3], v[2:3], v[4:5]
	v_mul_f64 v[4:5], v[48:49], v[74:75]
	v_fma_f64 v[4:5], v[46:47], v[76:77], -v[4:5]
	v_add_f64 v[2:3], v[2:3], v[4:5]
	s_waitcnt vmcnt(12) lgkmcnt(2)
	v_mul_f64 v[4:5], v[52:53], v[92:93]
	v_mul_f64 v[106:107], v[50:51], v[92:93]
	s_waitcnt vmcnt(10)
	v_fma_f64 v[4:5], v[50:51], v[94:95], -v[4:5]
	v_fmac_f64_e32 v[106:107], v[52:53], v[94:95]
	v_add_f64 v[2:3], v[2:3], v[4:5]
	s_waitcnt vmcnt(8) lgkmcnt(1)
	v_mul_f64 v[4:5], v[56:57], v[88:89]
	v_add_f64 v[12:13], v[104:105], v[106:107]
	v_mul_f64 v[104:105], v[54:55], v[88:89]
	v_fma_f64 v[4:5], v[54:55], v[90:91], -v[4:5]
	v_fmac_f64_e32 v[104:105], v[56:57], v[90:91]
	v_add_f64 v[2:3], v[2:3], v[4:5]
	s_waitcnt vmcnt(6) lgkmcnt(0)
	v_mul_f64 v[4:5], v[60:61], v[96:97]
	v_add_f64 v[12:13], v[12:13], v[104:105]
	v_mul_f64 v[104:105], v[58:59], v[96:97]
	s_waitcnt vmcnt(4)
	v_fma_f64 v[4:5], v[58:59], v[98:99], -v[4:5]
	v_fmac_f64_e32 v[104:105], v[60:61], v[98:99]
	v_add_f64 v[2:3], v[2:3], v[4:5]
	v_add_f64 v[12:13], v[12:13], v[104:105]
	s_waitcnt vmcnt(2)
	v_add_f64 v[2:3], v[100:101], -v[2:3]
	s_waitcnt vmcnt(0)
	v_add_f64 v[4:5], v[102:103], -v[12:13]
	buffer_store_dword v3, off, s[0:3], 0 offset:516
	buffer_store_dword v2, off, s[0:3], 0 offset:512
	;; [unrolled: 1-line block ×4, first 2 shown]
	s_and_saveexec_b64 s[4:5], vcc
	s_cbranch_execz .LBB43_217
; %bb.216:
	v_accvgpr_read_b32 v0, a101
	buffer_load_dword v2, v0, s[0:3], 0 offen
	buffer_load_dword v3, v0, s[0:3], 0 offen offset:4
	buffer_load_dword v4, v0, s[0:3], 0 offen offset:8
	;; [unrolled: 1-line block ×3, first 2 shown]
	v_mov_b32_e32 v0, 0
	v_accvgpr_read_b32 v1, a132
	buffer_store_dword v0, off, s[0:3], 0 offset:496
	buffer_store_dword v0, off, s[0:3], 0 offset:500
	;; [unrolled: 1-line block ×4, first 2 shown]
	s_waitcnt vmcnt(4)
	ds_write_b128 v1, v[2:5]
.LBB43_217:
	s_or_b64 exec, exec, s[4:5]
	s_waitcnt lgkmcnt(0)
	; wave barrier
	s_waitcnt lgkmcnt(0)
	buffer_load_dword v2, off, s[0:3], 0 offset:512
	buffer_load_dword v3, off, s[0:3], 0 offset:516
	;; [unrolled: 1-line block ×56, first 2 shown]
	v_mov_b32_e32 v24, 0
	ds_read_b128 v[18:21], v24 offset:1200
	ds_read_b128 v[26:29], v24 offset:1216
	;; [unrolled: 1-line block ×9, first 2 shown]
	v_cmp_lt_u32_e32 vcc, 29, v255
	s_waitcnt vmcnt(52) lgkmcnt(8)
	v_mul_f64 v[54:55], v[18:19], v[6:7]
	v_fmac_f64_e32 v[54:55], v[20:21], v[2:3]
	v_mul_f64 v[6:7], v[20:21], v[6:7]
	v_add_f64 v[54:55], v[54:55], 0
	s_waitcnt vmcnt(48) lgkmcnt(7)
	v_mul_f64 v[56:57], v[26:27], v[8:9]
	v_fmac_f64_e32 v[56:57], v[28:29], v[4:5]
	s_waitcnt vmcnt(46) lgkmcnt(6)
	v_mul_f64 v[58:59], v[30:31], v[10:11]
	v_fma_f64 v[2:3], v[18:19], v[2:3], -v[6:7]
	v_mul_f64 v[6:7], v[28:29], v[8:9]
	v_add_f64 v[54:55], v[54:55], v[56:57]
	v_add_f64 v[2:3], v[2:3], 0
	v_fma_f64 v[4:5], v[26:27], v[4:5], -v[6:7]
	s_waitcnt vmcnt(40) lgkmcnt(5)
	v_mul_f64 v[60:61], v[34:35], v[16:17]
	s_waitcnt lgkmcnt(4)
	v_mul_f64 v[62:63], v[38:39], v[12:13]
	v_add_f64 v[2:3], v[2:3], v[4:5]
	v_mul_f64 v[4:5], v[32:33], v[10:11]
	s_waitcnt vmcnt(36) lgkmcnt(3)
	v_mul_f64 v[64:65], v[42:43], v[76:77]
	v_fmac_f64_e32 v[62:63], v[40:41], v[14:15]
	s_waitcnt vmcnt(35) lgkmcnt(2)
	v_mul_f64 v[66:67], v[46:47], v[22:23]
	s_waitcnt vmcnt(33)
	v_fmac_f64_e32 v[58:59], v[32:33], v[78:79]
	v_add_f64 v[54:55], v[54:55], v[58:59]
	s_waitcnt vmcnt(31)
	v_fmac_f64_e32 v[60:61], v[36:37], v[80:81]
	v_add_f64 v[54:55], v[54:55], v[60:61]
	v_fma_f64 v[4:5], v[30:31], v[78:79], -v[4:5]
	s_waitcnt vmcnt(29)
	v_fmac_f64_e32 v[64:65], v[44:45], v[82:83]
	v_add_f64 v[54:55], v[54:55], v[62:63]
	v_add_f64 v[2:3], v[2:3], v[4:5]
	v_mul_f64 v[4:5], v[36:37], v[16:17]
	s_waitcnt vmcnt(28)
	v_fmac_f64_e32 v[66:67], v[48:49], v[74:75]
	v_add_f64 v[54:55], v[54:55], v[64:65]
	v_fma_f64 v[4:5], v[34:35], v[80:81], -v[4:5]
	v_add_f64 v[58:59], v[54:55], v[66:67]
	ds_read_b128 v[54:57], v24 offset:1328
	s_waitcnt vmcnt(24) lgkmcnt(2)
	v_mul_f64 v[60:61], v[50:51], v[88:89]
	v_add_f64 v[2:3], v[2:3], v[4:5]
	v_mul_f64 v[4:5], v[40:41], v[12:13]
	s_waitcnt vmcnt(22)
	v_fmac_f64_e32 v[60:61], v[52:53], v[90:91]
	v_fma_f64 v[4:5], v[38:39], v[14:15], -v[4:5]
	v_add_f64 v[62:63], v[58:59], v[60:61]
	ds_read_b128 v[58:61], v24 offset:1344
	v_add_f64 v[2:3], v[2:3], v[4:5]
	v_mul_f64 v[4:5], v[44:45], v[76:77]
	v_fma_f64 v[4:5], v[42:43], v[82:83], -v[4:5]
	v_add_f64 v[2:3], v[2:3], v[4:5]
	v_mul_f64 v[4:5], v[48:49], v[22:23]
	s_waitcnt vmcnt(20) lgkmcnt(1)
	v_mul_f64 v[64:65], v[54:55], v[84:85]
	v_fma_f64 v[4:5], v[46:47], v[74:75], -v[4:5]
	v_fmac_f64_e32 v[64:65], v[56:57], v[86:87]
	v_add_f64 v[2:3], v[2:3], v[4:5]
	v_mul_f64 v[4:5], v[52:53], v[88:89]
	v_add_f64 v[66:67], v[62:63], v[64:65]
	ds_read_b128 v[62:65], v24 offset:1360
	s_waitcnt vmcnt(16) lgkmcnt(1)
	v_mul_f64 v[68:69], v[58:59], v[96:97]
	v_fma_f64 v[4:5], v[50:51], v[90:91], -v[4:5]
	s_waitcnt vmcnt(14)
	v_fmac_f64_e32 v[68:69], v[60:61], v[98:99]
	v_add_f64 v[2:3], v[2:3], v[4:5]
	v_mul_f64 v[4:5], v[56:57], v[84:85]
	v_add_f64 v[112:113], v[66:67], v[68:69]
	ds_read_b128 v[66:69], v24 offset:1376
	v_fma_f64 v[4:5], v[54:55], v[86:87], -v[4:5]
	v_add_f64 v[2:3], v[2:3], v[4:5]
	v_mul_f64 v[4:5], v[60:61], v[96:97]
	v_fma_f64 v[4:5], v[58:59], v[98:99], -v[4:5]
	v_add_f64 v[2:3], v[2:3], v[4:5]
	s_waitcnt vmcnt(12) lgkmcnt(1)
	v_mul_f64 v[4:5], v[64:65], v[92:93]
	v_mul_f64 v[114:115], v[62:63], v[92:93]
	v_fma_f64 v[4:5], v[62:63], v[94:95], -v[4:5]
	v_fmac_f64_e32 v[114:115], v[64:65], v[94:95]
	v_add_f64 v[2:3], v[2:3], v[4:5]
	s_waitcnt vmcnt(8) lgkmcnt(0)
	v_mul_f64 v[4:5], v[68:69], v[104:105]
	v_add_f64 v[112:113], v[112:113], v[114:115]
	v_mul_f64 v[114:115], v[66:67], v[104:105]
	s_waitcnt vmcnt(6)
	v_fma_f64 v[4:5], v[66:67], v[106:107], -v[4:5]
	v_fmac_f64_e32 v[114:115], v[68:69], v[106:107]
	v_add_f64 v[2:3], v[2:3], v[4:5]
	s_waitcnt vmcnt(5)
	v_mul_f64 v[4:5], v[72:73], v[100:101]
	v_add_f64 v[112:113], v[112:113], v[114:115]
	v_mul_f64 v[114:115], v[70:71], v[100:101]
	s_waitcnt vmcnt(4)
	v_fma_f64 v[4:5], v[70:71], v[102:103], -v[4:5]
	v_fmac_f64_e32 v[114:115], v[72:73], v[102:103]
	v_add_f64 v[2:3], v[2:3], v[4:5]
	v_add_f64 v[112:113], v[112:113], v[114:115]
	s_waitcnt vmcnt(2)
	v_add_f64 v[2:3], v[108:109], -v[2:3]
	s_waitcnt vmcnt(0)
	v_add_f64 v[4:5], v[110:111], -v[112:113]
	buffer_store_dword v3, off, s[0:3], 0 offset:500
	buffer_store_dword v2, off, s[0:3], 0 offset:496
	;; [unrolled: 1-line block ×4, first 2 shown]
	s_and_saveexec_b64 s[4:5], vcc
	s_cbranch_execz .LBB43_219
; %bb.218:
	v_accvgpr_read_b32 v0, a102
	buffer_load_dword v2, v0, s[0:3], 0 offen
	buffer_load_dword v3, v0, s[0:3], 0 offen offset:4
	buffer_load_dword v4, v0, s[0:3], 0 offen offset:8
	;; [unrolled: 1-line block ×3, first 2 shown]
	v_accvgpr_read_b32 v0, a132
	buffer_store_dword v24, off, s[0:3], 0 offset:480
	buffer_store_dword v24, off, s[0:3], 0 offset:484
	;; [unrolled: 1-line block ×4, first 2 shown]
	s_waitcnt vmcnt(4)
	ds_write_b128 v0, v[2:5]
.LBB43_219:
	s_or_b64 exec, exec, s[4:5]
	s_waitcnt lgkmcnt(0)
	; wave barrier
	s_waitcnt lgkmcnt(0)
	buffer_load_dword v2, off, s[0:3], 0 offset:496
	buffer_load_dword v3, off, s[0:3], 0 offset:500
	;; [unrolled: 1-line block ×60, first 2 shown]
	ds_read_b128 v[26:29], v24 offset:1184
	ds_read_b128 v[30:33], v24 offset:1200
	;; [unrolled: 1-line block ×8, first 2 shown]
	v_cmp_lt_u32_e32 vcc, 28, v255
	ds_read_b128 v[78:81], v24 offset:1392
	s_waitcnt vmcnt(56) lgkmcnt(8)
	v_mul_f64 v[58:59], v[26:27], v[6:7]
	v_fmac_f64_e32 v[58:59], v[28:29], v[2:3]
	v_add_f64 v[58:59], v[58:59], 0
	v_mul_f64 v[6:7], v[28:29], v[6:7]
	s_waitcnt vmcnt(52) lgkmcnt(7)
	v_mul_f64 v[60:61], v[30:31], v[8:9]
	v_fmac_f64_e32 v[60:61], v[32:33], v[4:5]
	s_waitcnt vmcnt(50) lgkmcnt(6)
	v_mul_f64 v[62:63], v[34:35], v[10:11]
	v_add_f64 v[58:59], v[58:59], v[60:61]
	s_waitcnt vmcnt(48) lgkmcnt(4)
	v_mul_f64 v[66:67], v[42:43], v[12:13]
	v_fma_f64 v[2:3], v[26:27], v[2:3], -v[6:7]
	s_waitcnt vmcnt(46)
	v_fmac_f64_e32 v[66:67], v[44:45], v[14:15]
	v_mul_f64 v[6:7], v[32:33], v[8:9]
	s_waitcnt vmcnt(44)
	v_mul_f64 v[64:65], v[38:39], v[16:17]
	v_add_f64 v[2:3], v[2:3], 0
	v_fma_f64 v[4:5], v[30:31], v[4:5], -v[6:7]
	v_add_f64 v[2:3], v[2:3], v[4:5]
	s_waitcnt vmcnt(40) lgkmcnt(3)
	v_mul_f64 v[68:69], v[46:47], v[22:23]
	v_mul_f64 v[4:5], v[36:37], v[10:11]
	s_waitcnt vmcnt(38)
	v_fmac_f64_e32 v[62:63], v[36:37], v[82:83]
	v_add_f64 v[58:59], v[58:59], v[62:63]
	s_waitcnt vmcnt(36)
	v_fmac_f64_e32 v[64:65], v[40:41], v[84:85]
	v_add_f64 v[58:59], v[58:59], v[64:65]
	;; [unrolled: 3-line block ×3, first 2 shown]
	s_waitcnt vmcnt(32) lgkmcnt(2)
	v_mul_f64 v[60:61], v[50:51], v[18:19]
	v_add_f64 v[58:59], v[58:59], v[68:69]
	v_fmac_f64_e32 v[60:61], v[52:53], v[20:21]
	v_add_f64 v[62:63], v[58:59], v[60:61]
	ds_read_b128 v[58:61], v24 offset:1312
	v_fma_f64 v[4:5], v[34:35], v[82:83], -v[4:5]
	v_add_f64 v[2:3], v[2:3], v[4:5]
	v_mul_f64 v[4:5], v[40:41], v[16:17]
	v_fma_f64 v[4:5], v[38:39], v[84:85], -v[4:5]
	s_waitcnt vmcnt(28) lgkmcnt(2)
	v_mul_f64 v[64:65], v[54:55], v[92:93]
	v_add_f64 v[2:3], v[2:3], v[4:5]
	v_mul_f64 v[4:5], v[44:45], v[12:13]
	s_waitcnt vmcnt(26)
	v_fmac_f64_e32 v[64:65], v[56:57], v[94:95]
	v_fma_f64 v[4:5], v[42:43], v[14:15], -v[4:5]
	v_add_f64 v[66:67], v[62:63], v[64:65]
	ds_read_b128 v[62:65], v24 offset:1328
	s_waitcnt vmcnt(24) lgkmcnt(1)
	v_mul_f64 v[68:69], v[58:59], v[88:89]
	v_add_f64 v[2:3], v[2:3], v[4:5]
	v_mul_f64 v[4:5], v[48:49], v[22:23]
	v_fmac_f64_e32 v[68:69], v[60:61], v[90:91]
	v_fma_f64 v[4:5], v[46:47], v[86:87], -v[4:5]
	v_add_f64 v[70:71], v[66:67], v[68:69]
	ds_read_b128 v[66:69], v24 offset:1344
	v_add_f64 v[2:3], v[2:3], v[4:5]
	v_mul_f64 v[4:5], v[52:53], v[18:19]
	v_fma_f64 v[4:5], v[50:51], v[20:21], -v[4:5]
	v_add_f64 v[2:3], v[2:3], v[4:5]
	v_mul_f64 v[4:5], v[56:57], v[92:93]
	s_waitcnt vmcnt(20) lgkmcnt(1)
	v_mul_f64 v[72:73], v[62:63], v[100:101]
	v_fma_f64 v[4:5], v[54:55], v[94:95], -v[4:5]
	s_waitcnt vmcnt(18)
	v_fmac_f64_e32 v[72:73], v[64:65], v[102:103]
	v_add_f64 v[2:3], v[2:3], v[4:5]
	v_mul_f64 v[4:5], v[60:61], v[88:89]
	v_add_f64 v[74:75], v[70:71], v[72:73]
	ds_read_b128 v[70:73], v24 offset:1360
	s_waitcnt vmcnt(16) lgkmcnt(1)
	v_mul_f64 v[76:77], v[66:67], v[96:97]
	v_fma_f64 v[4:5], v[58:59], v[90:91], -v[4:5]
	v_fmac_f64_e32 v[76:77], v[68:69], v[98:99]
	v_add_f64 v[2:3], v[2:3], v[4:5]
	v_mul_f64 v[4:5], v[64:65], v[100:101]
	v_add_f64 v[120:121], v[74:75], v[76:77]
	ds_read_b128 v[74:77], v24 offset:1376
	v_fma_f64 v[4:5], v[62:63], v[102:103], -v[4:5]
	v_add_f64 v[2:3], v[2:3], v[4:5]
	v_mul_f64 v[4:5], v[68:69], v[96:97]
	v_fma_f64 v[4:5], v[66:67], v[98:99], -v[4:5]
	v_add_f64 v[2:3], v[2:3], v[4:5]
	s_waitcnt vmcnt(12) lgkmcnt(1)
	v_mul_f64 v[4:5], v[72:73], v[108:109]
	v_mul_f64 v[122:123], v[70:71], v[108:109]
	s_waitcnt vmcnt(10)
	v_fma_f64 v[4:5], v[70:71], v[110:111], -v[4:5]
	v_fmac_f64_e32 v[122:123], v[72:73], v[110:111]
	v_add_f64 v[2:3], v[2:3], v[4:5]
	s_waitcnt vmcnt(8) lgkmcnt(0)
	v_mul_f64 v[4:5], v[76:77], v[104:105]
	v_add_f64 v[24:25], v[120:121], v[122:123]
	v_mul_f64 v[120:121], v[74:75], v[104:105]
	v_fma_f64 v[4:5], v[74:75], v[106:107], -v[4:5]
	v_fmac_f64_e32 v[120:121], v[76:77], v[106:107]
	v_add_f64 v[2:3], v[2:3], v[4:5]
	s_waitcnt vmcnt(6)
	v_mul_f64 v[4:5], v[80:81], v[112:113]
	v_add_f64 v[24:25], v[24:25], v[120:121]
	v_mul_f64 v[120:121], v[78:79], v[112:113]
	s_waitcnt vmcnt(4)
	v_fma_f64 v[4:5], v[78:79], v[114:115], -v[4:5]
	v_fmac_f64_e32 v[120:121], v[80:81], v[114:115]
	v_add_f64 v[2:3], v[2:3], v[4:5]
	v_add_f64 v[24:25], v[24:25], v[120:121]
	s_waitcnt vmcnt(2)
	v_add_f64 v[2:3], v[116:117], -v[2:3]
	s_waitcnt vmcnt(0)
	v_add_f64 v[4:5], v[118:119], -v[24:25]
	buffer_store_dword v3, off, s[0:3], 0 offset:484
	buffer_store_dword v2, off, s[0:3], 0 offset:480
	;; [unrolled: 1-line block ×4, first 2 shown]
	s_and_saveexec_b64 s[4:5], vcc
	s_cbranch_execz .LBB43_221
; %bb.220:
	v_accvgpr_read_b32 v0, a103
	buffer_load_dword v2, v0, s[0:3], 0 offen
	buffer_load_dword v3, v0, s[0:3], 0 offen offset:4
	buffer_load_dword v4, v0, s[0:3], 0 offen offset:8
	;; [unrolled: 1-line block ×3, first 2 shown]
	v_mov_b32_e32 v0, 0
	v_accvgpr_read_b32 v1, a132
	buffer_store_dword v0, off, s[0:3], 0 offset:464
	buffer_store_dword v0, off, s[0:3], 0 offset:468
	;; [unrolled: 1-line block ×4, first 2 shown]
	s_waitcnt vmcnt(4)
	ds_write_b128 v1, v[2:5]
.LBB43_221:
	s_or_b64 exec, exec, s[4:5]
	s_waitcnt lgkmcnt(0)
	; wave barrier
	s_waitcnt lgkmcnt(0)
	buffer_load_dword v2, off, s[0:3], 0 offset:480
	buffer_load_dword v3, off, s[0:3], 0 offset:484
	;; [unrolled: 1-line block ×64, first 2 shown]
	v_mov_b32_e32 v46, 0
	ds_read_b128 v[38:41], v46 offset:1168
	ds_read_b128 v[42:45], v46 offset:1184
	;; [unrolled: 1-line block ×7, first 2 shown]
	v_cmp_lt_u32_e32 vcc, 27, v255
	s_waitcnt vmcnt(60) lgkmcnt(6)
	v_mul_f64 v[64:65], v[38:39], v[4:5]
	v_fmac_f64_e32 v[64:65], v[40:41], v[2:3]
	s_waitcnt vmcnt(58) lgkmcnt(5)
	v_mul_f64 v[66:67], v[42:43], v[6:7]
	v_add_f64 v[64:65], v[64:65], 0
	s_waitcnt vmcnt(56) lgkmcnt(4)
	v_mul_f64 v[68:69], v[48:49], v[8:9]
	v_mul_f64 v[4:5], v[40:41], v[4:5]
	s_waitcnt vmcnt(54) lgkmcnt(2)
	v_mul_f64 v[72:73], v[56:57], v[10:11]
	v_fma_f64 v[2:3], v[38:39], v[2:3], -v[4:5]
	v_mul_f64 v[4:5], v[44:45], v[6:7]
	s_waitcnt vmcnt(51)
	v_mul_f64 v[70:71], v[52:53], v[14:15]
	v_add_f64 v[2:3], v[2:3], 0
	s_waitcnt vmcnt(49)
	v_fmac_f64_e32 v[66:67], v[44:45], v[20:21]
	v_add_f64 v[64:65], v[64:65], v[66:67]
	s_waitcnt vmcnt(47)
	v_fmac_f64_e32 v[68:69], v[50:51], v[18:19]
	;; [unrolled: 3-line block ×4, first 2 shown]
	v_add_f64 v[68:69], v[64:65], v[72:73]
	ds_read_b128 v[64:67], v46 offset:1264
	s_waitcnt vmcnt(40) lgkmcnt(2)
	v_mul_f64 v[70:71], v[60:61], v[26:27]
	v_fma_f64 v[4:5], v[42:43], v[20:21], -v[4:5]
	s_waitcnt vmcnt(38)
	v_fmac_f64_e32 v[70:71], v[62:63], v[28:29]
	v_add_f64 v[72:73], v[68:69], v[70:71]
	ds_read_b128 v[68:71], v46 offset:1280
	s_waitcnt vmcnt(37) lgkmcnt(1)
	v_mul_f64 v[74:75], v[64:65], v[22:23]
	s_waitcnt vmcnt(36)
	v_fmac_f64_e32 v[74:75], v[66:67], v[24:25]
	v_add_f64 v[2:3], v[2:3], v[4:5]
	v_mul_f64 v[4:5], v[50:51], v[8:9]
	v_add_f64 v[76:77], v[72:73], v[74:75]
	ds_read_b128 v[72:75], v46 offset:1296
	s_waitcnt vmcnt(32) lgkmcnt(1)
	v_mul_f64 v[78:79], v[68:69], v[34:35]
	v_fma_f64 v[4:5], v[48:49], v[18:19], -v[4:5]
	s_waitcnt vmcnt(30)
	v_fmac_f64_e32 v[78:79], v[70:71], v[36:37]
	v_add_f64 v[2:3], v[2:3], v[4:5]
	v_mul_f64 v[4:5], v[54:55], v[14:15]
	v_add_f64 v[80:81], v[76:77], v[78:79]
	ds_read_b128 v[76:79], v46 offset:1312
	v_fma_f64 v[4:5], v[52:53], v[16:17], -v[4:5]
	v_add_f64 v[2:3], v[2:3], v[4:5]
	v_mul_f64 v[4:5], v[58:59], v[10:11]
	v_fma_f64 v[4:5], v[56:57], v[12:13], -v[4:5]
	s_waitcnt vmcnt(29) lgkmcnt(1)
	v_mul_f64 v[82:83], v[72:73], v[30:31]
	v_add_f64 v[2:3], v[2:3], v[4:5]
	v_mul_f64 v[4:5], v[62:63], v[26:27]
	s_waitcnt vmcnt(28)
	v_fmac_f64_e32 v[82:83], v[74:75], v[32:33]
	v_fma_f64 v[4:5], v[60:61], v[28:29], -v[4:5]
	v_add_f64 v[84:85], v[80:81], v[82:83]
	ds_read_b128 v[80:83], v46 offset:1328
	s_waitcnt vmcnt(24) lgkmcnt(1)
	v_mul_f64 v[86:87], v[76:77], v[104:105]
	v_add_f64 v[2:3], v[2:3], v[4:5]
	v_mul_f64 v[4:5], v[66:67], v[22:23]
	s_waitcnt vmcnt(22)
	v_fmac_f64_e32 v[86:87], v[78:79], v[106:107]
	v_fma_f64 v[4:5], v[64:65], v[24:25], -v[4:5]
	v_add_f64 v[88:89], v[84:85], v[86:87]
	ds_read_b128 v[84:87], v46 offset:1344
	v_add_f64 v[2:3], v[2:3], v[4:5]
	v_mul_f64 v[4:5], v[70:71], v[34:35]
	v_fma_f64 v[4:5], v[68:69], v[36:37], -v[4:5]
	v_add_f64 v[2:3], v[2:3], v[4:5]
	v_mul_f64 v[4:5], v[74:75], v[30:31]
	s_waitcnt vmcnt(21) lgkmcnt(1)
	v_mul_f64 v[90:91], v[80:81], v[100:101]
	v_fma_f64 v[4:5], v[72:73], v[32:33], -v[4:5]
	s_waitcnt vmcnt(20)
	v_fmac_f64_e32 v[90:91], v[82:83], v[102:103]
	v_add_f64 v[2:3], v[2:3], v[4:5]
	v_mul_f64 v[4:5], v[78:79], v[104:105]
	v_add_f64 v[92:93], v[88:89], v[90:91]
	ds_read_b128 v[88:91], v46 offset:1360
	s_waitcnt vmcnt(16) lgkmcnt(1)
	v_mul_f64 v[94:95], v[84:85], v[112:113]
	v_fma_f64 v[4:5], v[76:77], v[106:107], -v[4:5]
	s_waitcnt vmcnt(14)
	v_fmac_f64_e32 v[94:95], v[86:87], v[114:115]
	v_add_f64 v[2:3], v[2:3], v[4:5]
	v_mul_f64 v[4:5], v[82:83], v[100:101]
	v_add_f64 v[128:129], v[92:93], v[94:95]
	ds_read_b128 v[92:95], v46 offset:1376
	v_fma_f64 v[4:5], v[80:81], v[102:103], -v[4:5]
	v_add_f64 v[2:3], v[2:3], v[4:5]
	v_mul_f64 v[4:5], v[86:87], v[112:113]
	v_fma_f64 v[4:5], v[84:85], v[114:115], -v[4:5]
	v_add_f64 v[2:3], v[2:3], v[4:5]
	s_waitcnt vmcnt(13) lgkmcnt(1)
	v_mul_f64 v[4:5], v[90:91], v[108:109]
	v_mul_f64 v[130:131], v[88:89], v[108:109]
	s_waitcnt vmcnt(12)
	v_fma_f64 v[4:5], v[88:89], v[110:111], -v[4:5]
	v_fmac_f64_e32 v[130:131], v[90:91], v[110:111]
	v_add_f64 v[2:3], v[2:3], v[4:5]
	s_waitcnt vmcnt(8) lgkmcnt(0)
	v_mul_f64 v[4:5], v[94:95], v[120:121]
	v_add_f64 v[128:129], v[128:129], v[130:131]
	v_mul_f64 v[130:131], v[92:93], v[120:121]
	s_waitcnt vmcnt(6)
	v_fma_f64 v[4:5], v[92:93], v[122:123], -v[4:5]
	v_fmac_f64_e32 v[130:131], v[94:95], v[122:123]
	v_add_f64 v[2:3], v[2:3], v[4:5]
	s_waitcnt vmcnt(5)
	v_mul_f64 v[4:5], v[98:99], v[116:117]
	v_add_f64 v[128:129], v[128:129], v[130:131]
	v_mul_f64 v[130:131], v[96:97], v[116:117]
	s_waitcnt vmcnt(4)
	v_fma_f64 v[4:5], v[96:97], v[118:119], -v[4:5]
	v_fmac_f64_e32 v[130:131], v[98:99], v[118:119]
	v_add_f64 v[2:3], v[2:3], v[4:5]
	v_add_f64 v[128:129], v[128:129], v[130:131]
	s_waitcnt vmcnt(2)
	v_add_f64 v[2:3], v[124:125], -v[2:3]
	s_waitcnt vmcnt(0)
	v_add_f64 v[4:5], v[126:127], -v[128:129]
	buffer_store_dword v3, off, s[0:3], 0 offset:468
	buffer_store_dword v2, off, s[0:3], 0 offset:464
	;; [unrolled: 1-line block ×4, first 2 shown]
	s_and_saveexec_b64 s[4:5], vcc
	s_cbranch_execz .LBB43_223
; %bb.222:
	v_accvgpr_read_b32 v0, a104
	buffer_load_dword v2, v0, s[0:3], 0 offen
	buffer_load_dword v3, v0, s[0:3], 0 offen offset:4
	buffer_load_dword v4, v0, s[0:3], 0 offen offset:8
	;; [unrolled: 1-line block ×3, first 2 shown]
	v_accvgpr_read_b32 v0, a132
	buffer_store_dword v46, off, s[0:3], 0 offset:448
	buffer_store_dword v46, off, s[0:3], 0 offset:452
	;; [unrolled: 1-line block ×4, first 2 shown]
	s_waitcnt vmcnt(4)
	ds_write_b128 v0, v[2:5]
.LBB43_223:
	s_or_b64 exec, exec, s[4:5]
	s_waitcnt lgkmcnt(0)
	; wave barrier
	s_waitcnt lgkmcnt(0)
	buffer_load_dword v2, off, s[0:3], 0 offset:464
	buffer_load_dword v3, off, s[0:3], 0 offset:468
	;; [unrolled: 1-line block ×64, first 2 shown]
	ds_read_b128 v[48:51], v46 offset:1152
	ds_read_b128 v[52:55], v46 offset:1168
	;; [unrolled: 1-line block ×4, first 2 shown]
	buffer_load_dword v132, off, s[0:3], 0 offset:448
	buffer_load_dword v133, off, s[0:3], 0 offset:452
	;; [unrolled: 1-line block ×4, first 2 shown]
	v_cmp_lt_u32_e32 vcc, 26, v255
	ds_read_b128 v[108:111], v46 offset:1392
	s_waitcnt vmcnt(62) lgkmcnt(4)
	v_mul_f64 v[64:65], v[48:49], v[4:5]
	v_fmac_f64_e32 v[64:65], v[50:51], v[2:3]
	v_add_f64 v[64:65], v[64:65], 0
	s_waitcnt lgkmcnt(2)
	v_mul_f64 v[68:69], v[56:57], v[6:7]
	v_mul_f64 v[4:5], v[50:51], v[4:5]
	v_fma_f64 v[2:3], v[48:49], v[2:3], -v[4:5]
	s_waitcnt vmcnt(58) lgkmcnt(1)
	v_mul_f64 v[70:71], v[60:61], v[12:13]
	v_add_f64 v[2:3], v[2:3], 0
	s_waitcnt vmcnt(56)
	v_mul_f64 v[66:67], v[52:53], v[18:19]
	v_mul_f64 v[4:5], v[54:55], v[18:19]
	s_waitcnt vmcnt(53)
	v_fmac_f64_e32 v[68:69], v[58:59], v[16:17]
	s_waitcnt vmcnt(52)
	v_fmac_f64_e32 v[66:67], v[54:55], v[20:21]
	v_add_f64 v[72:73], v[64:65], v[66:67]
	ds_read_b128 v[64:67], v46 offset:1216
	v_add_f64 v[68:69], v[72:73], v[68:69]
	s_waitcnt vmcnt(50)
	v_fmac_f64_e32 v[70:71], v[62:63], v[14:15]
	v_add_f64 v[72:73], v[68:69], v[70:71]
	ds_read_b128 v[68:71], v46 offset:1232
	s_waitcnt vmcnt(49) lgkmcnt(1)
	v_mul_f64 v[74:75], v[64:65], v[8:9]
	s_waitcnt vmcnt(48)
	v_fmac_f64_e32 v[74:75], v[66:67], v[10:11]
	v_add_f64 v[76:77], v[72:73], v[74:75]
	ds_read_b128 v[72:75], v46 offset:1248
	s_waitcnt vmcnt(44) lgkmcnt(1)
	v_mul_f64 v[78:79], v[68:69], v[26:27]
	;; [unrolled: 6-line block ×3, first 2 shown]
	s_waitcnt vmcnt(40)
	v_fmac_f64_e32 v[82:83], v[74:75], v[24:25]
	v_add_f64 v[84:85], v[80:81], v[82:83]
	ds_read_b128 v[80:83], v46 offset:1280
	v_fma_f64 v[4:5], v[52:53], v[20:21], -v[4:5]
	v_add_f64 v[2:3], v[2:3], v[4:5]
	v_mul_f64 v[4:5], v[58:59], v[6:7]
	s_waitcnt vmcnt(36) lgkmcnt(1)
	v_mul_f64 v[86:87], v[76:77], v[34:35]
	v_fma_f64 v[4:5], v[56:57], v[16:17], -v[4:5]
	s_waitcnt vmcnt(34)
	v_fmac_f64_e32 v[86:87], v[78:79], v[36:37]
	v_add_f64 v[2:3], v[2:3], v[4:5]
	v_mul_f64 v[4:5], v[62:63], v[12:13]
	v_add_f64 v[88:89], v[84:85], v[86:87]
	ds_read_b128 v[84:87], v46 offset:1296
	s_waitcnt vmcnt(33) lgkmcnt(1)
	v_mul_f64 v[90:91], v[80:81], v[30:31]
	v_fma_f64 v[4:5], v[60:61], v[14:15], -v[4:5]
	s_waitcnt vmcnt(32)
	v_fmac_f64_e32 v[90:91], v[82:83], v[32:33]
	v_add_f64 v[2:3], v[2:3], v[4:5]
	v_mul_f64 v[4:5], v[66:67], v[8:9]
	v_add_f64 v[92:93], v[88:89], v[90:91]
	ds_read_b128 v[88:91], v46 offset:1312
	v_fma_f64 v[4:5], v[64:65], v[10:11], -v[4:5]
	v_add_f64 v[2:3], v[2:3], v[4:5]
	v_mul_f64 v[4:5], v[70:71], v[26:27]
	v_fma_f64 v[4:5], v[68:69], v[28:29], -v[4:5]
	s_waitcnt vmcnt(28) lgkmcnt(1)
	v_mul_f64 v[94:95], v[84:85], v[42:43]
	v_add_f64 v[2:3], v[2:3], v[4:5]
	v_mul_f64 v[4:5], v[74:75], v[22:23]
	s_waitcnt vmcnt(26)
	v_fmac_f64_e32 v[94:95], v[86:87], v[44:45]
	v_fma_f64 v[4:5], v[72:73], v[24:25], -v[4:5]
	v_add_f64 v[96:97], v[92:93], v[94:95]
	ds_read_b128 v[92:95], v46 offset:1328
	s_waitcnt vmcnt(25) lgkmcnt(1)
	v_mul_f64 v[98:99], v[88:89], v[38:39]
	v_add_f64 v[2:3], v[2:3], v[4:5]
	v_mul_f64 v[4:5], v[78:79], v[34:35]
	s_waitcnt vmcnt(24)
	v_fmac_f64_e32 v[98:99], v[90:91], v[40:41]
	v_fma_f64 v[4:5], v[76:77], v[36:37], -v[4:5]
	v_add_f64 v[100:101], v[96:97], v[98:99]
	ds_read_b128 v[96:99], v46 offset:1344
	v_add_f64 v[2:3], v[2:3], v[4:5]
	v_mul_f64 v[4:5], v[82:83], v[30:31]
	v_fma_f64 v[4:5], v[80:81], v[32:33], -v[4:5]
	v_add_f64 v[2:3], v[2:3], v[4:5]
	v_mul_f64 v[4:5], v[86:87], v[42:43]
	s_waitcnt vmcnt(20) lgkmcnt(1)
	v_mul_f64 v[102:103], v[92:93], v[116:117]
	v_fma_f64 v[4:5], v[84:85], v[44:45], -v[4:5]
	s_waitcnt vmcnt(18)
	v_fmac_f64_e32 v[102:103], v[94:95], v[118:119]
	v_add_f64 v[2:3], v[2:3], v[4:5]
	v_mul_f64 v[4:5], v[90:91], v[38:39]
	v_add_f64 v[104:105], v[100:101], v[102:103]
	ds_read_b128 v[100:103], v46 offset:1360
	s_waitcnt vmcnt(17) lgkmcnt(1)
	v_mul_f64 v[106:107], v[96:97], v[112:113]
	v_fma_f64 v[4:5], v[88:89], v[40:41], -v[4:5]
	s_waitcnt vmcnt(16)
	v_fmac_f64_e32 v[106:107], v[98:99], v[114:115]
	v_add_f64 v[2:3], v[2:3], v[4:5]
	v_mul_f64 v[4:5], v[94:95], v[116:117]
	v_add_f64 v[136:137], v[104:105], v[106:107]
	ds_read_b128 v[104:107], v46 offset:1376
	v_fma_f64 v[4:5], v[92:93], v[118:119], -v[4:5]
	v_add_f64 v[2:3], v[2:3], v[4:5]
	v_mul_f64 v[4:5], v[98:99], v[112:113]
	v_fma_f64 v[4:5], v[96:97], v[114:115], -v[4:5]
	v_add_f64 v[2:3], v[2:3], v[4:5]
	s_waitcnt vmcnt(12) lgkmcnt(1)
	v_mul_f64 v[4:5], v[102:103], v[124:125]
	v_mul_f64 v[138:139], v[100:101], v[124:125]
	s_waitcnt vmcnt(10)
	v_fma_f64 v[4:5], v[100:101], v[126:127], -v[4:5]
	v_fmac_f64_e32 v[138:139], v[102:103], v[126:127]
	v_add_f64 v[2:3], v[2:3], v[4:5]
	s_waitcnt vmcnt(9) lgkmcnt(0)
	v_mul_f64 v[4:5], v[106:107], v[120:121]
	v_add_f64 v[46:47], v[136:137], v[138:139]
	v_mul_f64 v[136:137], v[104:105], v[120:121]
	s_waitcnt vmcnt(8)
	v_fma_f64 v[4:5], v[104:105], v[122:123], -v[4:5]
	v_fmac_f64_e32 v[136:137], v[106:107], v[122:123]
	v_add_f64 v[2:3], v[2:3], v[4:5]
	s_waitcnt vmcnt(6)
	v_mul_f64 v[4:5], v[110:111], v[128:129]
	v_add_f64 v[46:47], v[46:47], v[136:137]
	v_mul_f64 v[136:137], v[108:109], v[128:129]
	s_waitcnt vmcnt(4)
	v_fma_f64 v[4:5], v[108:109], v[130:131], -v[4:5]
	v_fmac_f64_e32 v[136:137], v[110:111], v[130:131]
	v_add_f64 v[2:3], v[2:3], v[4:5]
	v_add_f64 v[46:47], v[46:47], v[136:137]
	s_waitcnt vmcnt(2)
	v_add_f64 v[2:3], v[132:133], -v[2:3]
	s_waitcnt vmcnt(0)
	v_add_f64 v[4:5], v[134:135], -v[46:47]
	buffer_store_dword v3, off, s[0:3], 0 offset:452
	buffer_store_dword v2, off, s[0:3], 0 offset:448
	;; [unrolled: 1-line block ×4, first 2 shown]
	s_and_saveexec_b64 s[4:5], vcc
	s_cbranch_execz .LBB43_225
; %bb.224:
	v_accvgpr_read_b32 v0, a105
	buffer_load_dword v2, v0, s[0:3], 0 offen
	buffer_load_dword v3, v0, s[0:3], 0 offen offset:4
	buffer_load_dword v4, v0, s[0:3], 0 offen offset:8
	;; [unrolled: 1-line block ×3, first 2 shown]
	v_mov_b32_e32 v0, 0
	v_accvgpr_read_b32 v1, a132
	buffer_store_dword v0, off, s[0:3], 0 offset:432
	buffer_store_dword v0, off, s[0:3], 0 offset:436
	buffer_store_dword v0, off, s[0:3], 0 offset:440
	buffer_store_dword v0, off, s[0:3], 0 offset:444
	s_waitcnt vmcnt(4)
	ds_write_b128 v1, v[2:5]
.LBB43_225:
	s_or_b64 exec, exec, s[4:5]
	s_waitcnt lgkmcnt(0)
	; wave barrier
	s_waitcnt lgkmcnt(0)
	buffer_load_dword v2, off, s[0:3], 0 offset:448
	buffer_load_dword v3, off, s[0:3], 0 offset:452
	;; [unrolled: 1-line block ×68, first 2 shown]
	v_mov_b32_e32 v52, 0
	buffer_load_dword v140, off, s[0:3], 0 offset:432
	buffer_load_dword v141, off, s[0:3], 0 offset:436
	;; [unrolled: 1-line block ×3, first 2 shown]
	ds_read_b128 v[46:49], v52 offset:1136
	ds_read_b128 v[54:57], v52 offset:1152
	buffer_load_dword v143, off, s[0:3], 0 offset:444
	ds_read_b128 v[58:61], v52 offset:1168
	ds_read_b128 v[62:65], v52 offset:1184
	;; [unrolled: 1-line block ×3, first 2 shown]
	v_cmp_lt_u32_e32 vcc, 25, v255
	s_waitcnt vmcnt(62) lgkmcnt(4)
	v_mul_f64 v[66:67], v[46:47], v[6:7]
	v_fmac_f64_e32 v[66:67], v[48:49], v[2:3]
	v_add_f64 v[66:67], v[66:67], 0
	v_mul_f64 v[6:7], v[48:49], v[6:7]
	s_waitcnt lgkmcnt(3)
	v_mul_f64 v[68:69], v[54:55], v[10:11]
	v_fmac_f64_e32 v[68:69], v[56:57], v[4:5]
	v_add_f64 v[66:67], v[66:67], v[68:69]
	v_fma_f64 v[2:3], v[46:47], v[2:3], -v[6:7]
	s_waitcnt vmcnt(60) lgkmcnt(2)
	v_mul_f64 v[68:69], v[58:59], v[12:13]
	v_fmac_f64_e32 v[68:69], v[60:61], v[8:9]
	v_add_f64 v[70:71], v[66:67], v[68:69]
	ds_read_b128 v[66:69], v52 offset:1200
	s_waitcnt vmcnt(56) lgkmcnt(2)
	v_mul_f64 v[72:73], v[62:63], v[18:19]
	v_mul_f64 v[6:7], v[56:57], v[10:11]
	s_waitcnt vmcnt(54)
	v_fmac_f64_e32 v[72:73], v[64:65], v[20:21]
	v_add_f64 v[74:75], v[70:71], v[72:73]
	ds_read_b128 v[70:73], v52 offset:1216
	s_waitcnt vmcnt(53) lgkmcnt(1)
	v_mul_f64 v[76:77], v[66:67], v[14:15]
	s_waitcnt vmcnt(52)
	v_fmac_f64_e32 v[76:77], v[68:69], v[16:17]
	v_add_f64 v[78:79], v[74:75], v[76:77]
	ds_read_b128 v[74:77], v52 offset:1232
	s_waitcnt vmcnt(48) lgkmcnt(1)
	;; [unrolled: 6-line block ×4, first 2 shown]
	v_mul_f64 v[88:89], v[78:79], v[34:35]
	s_waitcnt vmcnt(38)
	v_fmac_f64_e32 v[88:89], v[80:81], v[36:37]
	v_add_f64 v[2:3], v[2:3], 0
	v_fma_f64 v[4:5], v[54:55], v[4:5], -v[6:7]
	v_add_f64 v[90:91], v[86:87], v[88:89]
	ds_read_b128 v[86:89], v52 offset:1280
	v_add_f64 v[2:3], v[2:3], v[4:5]
	v_mul_f64 v[4:5], v[60:61], v[12:13]
	v_fma_f64 v[4:5], v[58:59], v[8:9], -v[4:5]
	v_add_f64 v[2:3], v[2:3], v[4:5]
	v_mul_f64 v[4:5], v[64:65], v[18:19]
	s_waitcnt vmcnt(37) lgkmcnt(1)
	v_mul_f64 v[92:93], v[82:83], v[30:31]
	v_fma_f64 v[4:5], v[62:63], v[20:21], -v[4:5]
	s_waitcnt vmcnt(36)
	v_fmac_f64_e32 v[92:93], v[84:85], v[32:33]
	v_add_f64 v[2:3], v[2:3], v[4:5]
	v_mul_f64 v[4:5], v[68:69], v[14:15]
	v_add_f64 v[94:95], v[90:91], v[92:93]
	ds_read_b128 v[90:93], v52 offset:1296
	s_waitcnt vmcnt(32) lgkmcnt(1)
	v_mul_f64 v[96:97], v[86:87], v[42:43]
	v_fma_f64 v[4:5], v[66:67], v[16:17], -v[4:5]
	s_waitcnt vmcnt(30)
	v_fmac_f64_e32 v[96:97], v[88:89], v[44:45]
	v_add_f64 v[2:3], v[2:3], v[4:5]
	v_mul_f64 v[4:5], v[72:73], v[26:27]
	v_add_f64 v[98:99], v[94:95], v[96:97]
	ds_read_b128 v[94:97], v52 offset:1312
	v_fma_f64 v[4:5], v[70:71], v[28:29], -v[4:5]
	v_add_f64 v[2:3], v[2:3], v[4:5]
	v_mul_f64 v[4:5], v[76:77], v[22:23]
	v_fma_f64 v[4:5], v[74:75], v[24:25], -v[4:5]
	s_waitcnt vmcnt(29) lgkmcnt(1)
	v_mul_f64 v[100:101], v[90:91], v[38:39]
	v_add_f64 v[2:3], v[2:3], v[4:5]
	v_mul_f64 v[4:5], v[80:81], v[34:35]
	s_waitcnt vmcnt(28)
	v_fmac_f64_e32 v[100:101], v[92:93], v[40:41]
	v_fma_f64 v[4:5], v[78:79], v[36:37], -v[4:5]
	v_add_f64 v[102:103], v[98:99], v[100:101]
	ds_read_b128 v[98:101], v52 offset:1328
	s_waitcnt vmcnt(24) lgkmcnt(1)
	v_mul_f64 v[104:105], v[94:95], v[120:121]
	v_add_f64 v[2:3], v[2:3], v[4:5]
	v_mul_f64 v[4:5], v[84:85], v[30:31]
	s_waitcnt vmcnt(22)
	v_fmac_f64_e32 v[104:105], v[96:97], v[122:123]
	v_fma_f64 v[4:5], v[82:83], v[32:33], -v[4:5]
	v_add_f64 v[106:107], v[102:103], v[104:105]
	ds_read_b128 v[102:105], v52 offset:1344
	v_add_f64 v[2:3], v[2:3], v[4:5]
	v_mul_f64 v[4:5], v[88:89], v[42:43]
	v_fma_f64 v[4:5], v[86:87], v[44:45], -v[4:5]
	v_add_f64 v[2:3], v[2:3], v[4:5]
	v_mul_f64 v[4:5], v[92:93], v[38:39]
	s_waitcnt vmcnt(21) lgkmcnt(1)
	v_mul_f64 v[108:109], v[98:99], v[50:51]
	v_fma_f64 v[4:5], v[90:91], v[40:41], -v[4:5]
	s_waitcnt vmcnt(20)
	v_fmac_f64_e32 v[108:109], v[100:101], v[118:119]
	v_add_f64 v[2:3], v[2:3], v[4:5]
	v_mul_f64 v[4:5], v[96:97], v[120:121]
	v_add_f64 v[110:111], v[106:107], v[108:109]
	ds_read_b128 v[106:109], v52 offset:1360
	s_waitcnt vmcnt(16) lgkmcnt(1)
	v_mul_f64 v[112:113], v[102:103], v[128:129]
	v_fma_f64 v[4:5], v[94:95], v[122:123], -v[4:5]
	s_waitcnt vmcnt(14)
	v_fmac_f64_e32 v[112:113], v[104:105], v[130:131]
	v_add_f64 v[2:3], v[2:3], v[4:5]
	v_mul_f64 v[4:5], v[100:101], v[50:51]
	v_add_f64 v[144:145], v[110:111], v[112:113]
	ds_read_b128 v[110:113], v52 offset:1376
	v_fma_f64 v[4:5], v[98:99], v[118:119], -v[4:5]
	v_add_f64 v[2:3], v[2:3], v[4:5]
	v_mul_f64 v[4:5], v[104:105], v[128:129]
	v_fma_f64 v[4:5], v[102:103], v[130:131], -v[4:5]
	v_add_f64 v[2:3], v[2:3], v[4:5]
	s_waitcnt vmcnt(13) lgkmcnt(1)
	v_mul_f64 v[4:5], v[108:109], v[124:125]
	v_mul_f64 v[146:147], v[106:107], v[124:125]
	s_waitcnt vmcnt(12)
	v_fma_f64 v[4:5], v[106:107], v[126:127], -v[4:5]
	v_fmac_f64_e32 v[146:147], v[108:109], v[126:127]
	v_add_f64 v[2:3], v[2:3], v[4:5]
	s_waitcnt vmcnt(8) lgkmcnt(0)
	v_mul_f64 v[4:5], v[112:113], v[136:137]
	v_add_f64 v[144:145], v[144:145], v[146:147]
	v_mul_f64 v[146:147], v[110:111], v[136:137]
	s_waitcnt vmcnt(6)
	v_fma_f64 v[4:5], v[110:111], v[138:139], -v[4:5]
	v_fmac_f64_e32 v[146:147], v[112:113], v[138:139]
	v_add_f64 v[2:3], v[2:3], v[4:5]
	s_waitcnt vmcnt(5)
	v_mul_f64 v[4:5], v[116:117], v[132:133]
	v_add_f64 v[144:145], v[144:145], v[146:147]
	v_mul_f64 v[146:147], v[114:115], v[132:133]
	s_waitcnt vmcnt(4)
	v_fma_f64 v[4:5], v[114:115], v[134:135], -v[4:5]
	v_fmac_f64_e32 v[146:147], v[116:117], v[134:135]
	v_add_f64 v[2:3], v[2:3], v[4:5]
	v_add_f64 v[144:145], v[144:145], v[146:147]
	s_waitcnt vmcnt(2)
	v_add_f64 v[2:3], v[140:141], -v[2:3]
	s_waitcnt vmcnt(0)
	v_add_f64 v[4:5], v[142:143], -v[144:145]
	buffer_store_dword v3, off, s[0:3], 0 offset:436
	buffer_store_dword v2, off, s[0:3], 0 offset:432
	;; [unrolled: 1-line block ×4, first 2 shown]
	s_and_saveexec_b64 s[4:5], vcc
	s_cbranch_execz .LBB43_227
; %bb.226:
	v_accvgpr_read_b32 v0, a106
	buffer_load_dword v2, v0, s[0:3], 0 offen
	buffer_load_dword v3, v0, s[0:3], 0 offen offset:4
	buffer_load_dword v4, v0, s[0:3], 0 offen offset:8
	buffer_load_dword v5, v0, s[0:3], 0 offen offset:12
	v_accvgpr_read_b32 v0, a132
	buffer_store_dword v52, off, s[0:3], 0 offset:416
	buffer_store_dword v52, off, s[0:3], 0 offset:420
	;; [unrolled: 1-line block ×4, first 2 shown]
	s_waitcnt vmcnt(4)
	ds_write_b128 v0, v[2:5]
.LBB43_227:
	s_or_b64 exec, exec, s[4:5]
	s_waitcnt lgkmcnt(0)
	; wave barrier
	s_waitcnt lgkmcnt(0)
	buffer_load_dword v2, off, s[0:3], 0 offset:432
	buffer_load_dword v3, off, s[0:3], 0 offset:436
	buffer_load_dword v8, off, s[0:3], 0 offset:440
	buffer_load_dword v9, off, s[0:3], 0 offset:444
	buffer_load_dword v4, off, s[0:3], 0 offset:448
	buffer_load_dword v5, off, s[0:3], 0 offset:452
	buffer_load_dword v10, off, s[0:3], 0 offset:456
	buffer_load_dword v11, off, s[0:3], 0 offset:460
	buffer_load_dword v6, off, s[0:3], 0 offset:464
	buffer_load_dword v7, off, s[0:3], 0 offset:468
	buffer_load_dword v12, off, s[0:3], 0 offset:472
	buffer_load_dword v13, off, s[0:3], 0 offset:476
	buffer_load_dword v15, off, s[0:3], 0 offset:508
	buffer_load_dword v17, off, s[0:3], 0 offset:500
	buffer_load_dword v19, off, s[0:3], 0 offset:492
	buffer_load_dword v18, off, s[0:3], 0 offset:488
	buffer_load_dword v21, off, s[0:3], 0 offset:484
	buffer_load_dword v20, off, s[0:3], 0 offset:480
	buffer_load_dword v14, off, s[0:3], 0 offset:504
	buffer_load_dword v16, off, s[0:3], 0 offset:496
	buffer_load_dword v23, off, s[0:3], 0 offset:540
	buffer_load_dword v25, off, s[0:3], 0 offset:532
	buffer_load_dword v27, off, s[0:3], 0 offset:524
	buffer_load_dword v26, off, s[0:3], 0 offset:520
	buffer_load_dword v29, off, s[0:3], 0 offset:516
	buffer_load_dword v28, off, s[0:3], 0 offset:512
	buffer_load_dword v22, off, s[0:3], 0 offset:536
	buffer_load_dword v24, off, s[0:3], 0 offset:528
	buffer_load_dword v31, off, s[0:3], 0 offset:572
	buffer_load_dword v33, off, s[0:3], 0 offset:564
	buffer_load_dword v35, off, s[0:3], 0 offset:556
	buffer_load_dword v34, off, s[0:3], 0 offset:552
	buffer_load_dword v37, off, s[0:3], 0 offset:548
	buffer_load_dword v36, off, s[0:3], 0 offset:544
	buffer_load_dword v30, off, s[0:3], 0 offset:568
	buffer_load_dword v32, off, s[0:3], 0 offset:560
	buffer_load_dword v39, off, s[0:3], 0 offset:604
	buffer_load_dword v41, off, s[0:3], 0 offset:596
	buffer_load_dword v43, off, s[0:3], 0 offset:588
	buffer_load_dword v42, off, s[0:3], 0 offset:584
	buffer_load_dword v45, off, s[0:3], 0 offset:580
	buffer_load_dword v44, off, s[0:3], 0 offset:576
	buffer_load_dword v38, off, s[0:3], 0 offset:600
	buffer_load_dword v40, off, s[0:3], 0 offset:592
	buffer_load_dword v47, off, s[0:3], 0 offset:636
	buffer_load_dword v49, off, s[0:3], 0 offset:628
	buffer_load_dword v51, off, s[0:3], 0 offset:620
	buffer_load_dword v50, off, s[0:3], 0 offset:616
	buffer_load_dword v127, off, s[0:3], 0 offset:612
	buffer_load_dword v126, off, s[0:3], 0 offset:608
	buffer_load_dword v46, off, s[0:3], 0 offset:632
	buffer_load_dword v48, off, s[0:3], 0 offset:624
	buffer_load_dword v129, off, s[0:3], 0 offset:668
	buffer_load_dword v131, off, s[0:3], 0 offset:660
	buffer_load_dword v133, off, s[0:3], 0 offset:652
	buffer_load_dword v132, off, s[0:3], 0 offset:648
	buffer_load_dword v135, off, s[0:3], 0 offset:644
	buffer_load_dword v134, off, s[0:3], 0 offset:640
	buffer_load_dword v128, off, s[0:3], 0 offset:664
	buffer_load_dword v130, off, s[0:3], 0 offset:656
	buffer_load_dword v137, off, s[0:3], 0 offset:700
	buffer_load_dword v139, off, s[0:3], 0 offset:692
	buffer_load_dword v141, off, s[0:3], 0 offset:684
	buffer_load_dword v140, off, s[0:3], 0 offset:680
	buffer_load_dword v143, off, s[0:3], 0 offset:676
	buffer_load_dword v142, off, s[0:3], 0 offset:672
	buffer_load_dword v136, off, s[0:3], 0 offset:696
	buffer_load_dword v138, off, s[0:3], 0 offset:688
	buffer_load_dword v145, off, s[0:3], 0 offset:716
	buffer_load_dword v144, off, s[0:3], 0 offset:712
	buffer_load_dword v147, off, s[0:3], 0 offset:708
	buffer_load_dword v146, off, s[0:3], 0 offset:704
	ds_read_b128 v[54:57], v52 offset:1120
	buffer_load_dword v148, off, s[0:3], 0 offset:416
	buffer_load_dword v149, off, s[0:3], 0 offset:420
	;; [unrolled: 1-line block ×4, first 2 shown]
	ds_read_b128 v[58:61], v52 offset:1136
	ds_read_b128 v[62:65], v52 offset:1152
	;; [unrolled: 1-line block ×3, first 2 shown]
	v_cmp_lt_u32_e32 vcc, 24, v255
	ds_read_b128 v[122:125], v52 offset:1392
	s_waitcnt vmcnt(62) lgkmcnt(4)
	v_mul_f64 v[70:71], v[54:55], v[8:9]
	v_fmac_f64_e32 v[70:71], v[56:57], v[2:3]
	v_add_f64 v[70:71], v[70:71], 0
	v_mul_f64 v[8:9], v[56:57], v[8:9]
	s_waitcnt lgkmcnt(3)
	v_mul_f64 v[72:73], v[58:59], v[10:11]
	v_fmac_f64_e32 v[72:73], v[60:61], v[4:5]
	v_add_f64 v[70:71], v[70:71], v[72:73]
	v_fma_f64 v[2:3], v[54:55], v[2:3], -v[8:9]
	s_waitcnt lgkmcnt(2)
	v_mul_f64 v[72:73], v[62:63], v[12:13]
	v_fmac_f64_e32 v[72:73], v[64:65], v[6:7]
	v_add_f64 v[74:75], v[70:71], v[72:73]
	ds_read_b128 v[70:73], v52 offset:1184
	s_waitcnt vmcnt(60) lgkmcnt(2)
	v_mul_f64 v[76:77], v[66:67], v[18:19]
	v_mul_f64 v[8:9], v[60:61], v[10:11]
	s_waitcnt vmcnt(58)
	v_fmac_f64_e32 v[76:77], v[68:69], v[20:21]
	v_add_f64 v[78:79], v[74:75], v[76:77]
	ds_read_b128 v[74:77], v52 offset:1200
	s_waitcnt vmcnt(57) lgkmcnt(1)
	v_mul_f64 v[80:81], v[70:71], v[14:15]
	s_waitcnt vmcnt(56)
	v_fmac_f64_e32 v[80:81], v[72:73], v[16:17]
	v_add_f64 v[82:83], v[78:79], v[80:81]
	ds_read_b128 v[78:81], v52 offset:1216
	s_waitcnt vmcnt(52) lgkmcnt(1)
	;; [unrolled: 6-line block ×4, first 2 shown]
	v_mul_f64 v[92:93], v[82:83], v[34:35]
	s_waitcnt vmcnt(42)
	v_fmac_f64_e32 v[92:93], v[84:85], v[36:37]
	v_add_f64 v[2:3], v[2:3], 0
	v_fma_f64 v[4:5], v[58:59], v[4:5], -v[8:9]
	v_add_f64 v[94:95], v[90:91], v[92:93]
	ds_read_b128 v[90:93], v52 offset:1264
	s_waitcnt vmcnt(41) lgkmcnt(1)
	v_mul_f64 v[96:97], v[86:87], v[30:31]
	v_add_f64 v[2:3], v[2:3], v[4:5]
	v_mul_f64 v[4:5], v[64:65], v[12:13]
	s_waitcnt vmcnt(40)
	v_fmac_f64_e32 v[96:97], v[88:89], v[32:33]
	v_fma_f64 v[4:5], v[62:63], v[6:7], -v[4:5]
	v_add_f64 v[98:99], v[94:95], v[96:97]
	ds_read_b128 v[94:97], v52 offset:1280
	v_add_f64 v[2:3], v[2:3], v[4:5]
	v_mul_f64 v[4:5], v[68:69], v[18:19]
	v_fma_f64 v[4:5], v[66:67], v[20:21], -v[4:5]
	v_add_f64 v[2:3], v[2:3], v[4:5]
	v_mul_f64 v[4:5], v[72:73], v[14:15]
	s_waitcnt vmcnt(36) lgkmcnt(1)
	v_mul_f64 v[100:101], v[90:91], v[42:43]
	v_fma_f64 v[4:5], v[70:71], v[16:17], -v[4:5]
	s_waitcnt vmcnt(34)
	v_fmac_f64_e32 v[100:101], v[92:93], v[44:45]
	v_add_f64 v[2:3], v[2:3], v[4:5]
	v_mul_f64 v[4:5], v[76:77], v[26:27]
	v_add_f64 v[102:103], v[98:99], v[100:101]
	ds_read_b128 v[98:101], v52 offset:1296
	s_waitcnt vmcnt(33) lgkmcnt(1)
	v_mul_f64 v[104:105], v[94:95], v[38:39]
	v_fma_f64 v[4:5], v[74:75], v[28:29], -v[4:5]
	s_waitcnt vmcnt(32)
	v_fmac_f64_e32 v[104:105], v[96:97], v[40:41]
	v_add_f64 v[2:3], v[2:3], v[4:5]
	v_mul_f64 v[4:5], v[80:81], v[22:23]
	v_add_f64 v[106:107], v[102:103], v[104:105]
	ds_read_b128 v[102:105], v52 offset:1312
	v_fma_f64 v[4:5], v[78:79], v[24:25], -v[4:5]
	v_add_f64 v[2:3], v[2:3], v[4:5]
	v_mul_f64 v[4:5], v[84:85], v[34:35]
	v_fma_f64 v[4:5], v[82:83], v[36:37], -v[4:5]
	s_waitcnt vmcnt(28) lgkmcnt(1)
	v_mul_f64 v[108:109], v[98:99], v[50:51]
	v_add_f64 v[2:3], v[2:3], v[4:5]
	v_mul_f64 v[4:5], v[88:89], v[30:31]
	s_waitcnt vmcnt(26)
	v_fmac_f64_e32 v[108:109], v[100:101], v[126:127]
	v_fma_f64 v[4:5], v[86:87], v[32:33], -v[4:5]
	v_add_f64 v[110:111], v[106:107], v[108:109]
	ds_read_b128 v[106:109], v52 offset:1328
	s_waitcnt vmcnt(25) lgkmcnt(1)
	v_mul_f64 v[112:113], v[102:103], v[46:47]
	v_add_f64 v[2:3], v[2:3], v[4:5]
	v_mul_f64 v[4:5], v[92:93], v[42:43]
	s_waitcnt vmcnt(24)
	v_fmac_f64_e32 v[112:113], v[104:105], v[48:49]
	v_fma_f64 v[4:5], v[90:91], v[44:45], -v[4:5]
	v_add_f64 v[114:115], v[110:111], v[112:113]
	ds_read_b128 v[110:113], v52 offset:1344
	v_add_f64 v[2:3], v[2:3], v[4:5]
	v_mul_f64 v[4:5], v[96:97], v[38:39]
	v_fma_f64 v[4:5], v[94:95], v[40:41], -v[4:5]
	v_add_f64 v[2:3], v[2:3], v[4:5]
	v_mul_f64 v[4:5], v[100:101], v[50:51]
	s_waitcnt vmcnt(20) lgkmcnt(1)
	v_mul_f64 v[116:117], v[106:107], v[132:133]
	v_fma_f64 v[4:5], v[98:99], v[126:127], -v[4:5]
	s_waitcnt vmcnt(18)
	v_fmac_f64_e32 v[116:117], v[108:109], v[134:135]
	v_add_f64 v[2:3], v[2:3], v[4:5]
	v_mul_f64 v[4:5], v[104:105], v[46:47]
	v_add_f64 v[118:119], v[114:115], v[116:117]
	ds_read_b128 v[114:117], v52 offset:1360
	s_waitcnt vmcnt(17) lgkmcnt(1)
	v_mul_f64 v[120:121], v[110:111], v[128:129]
	v_fma_f64 v[4:5], v[102:103], v[48:49], -v[4:5]
	s_waitcnt vmcnt(16)
	v_fmac_f64_e32 v[120:121], v[112:113], v[130:131]
	v_add_f64 v[2:3], v[2:3], v[4:5]
	v_mul_f64 v[4:5], v[108:109], v[132:133]
	v_add_f64 v[152:153], v[118:119], v[120:121]
	ds_read_b128 v[118:121], v52 offset:1376
	v_fma_f64 v[4:5], v[106:107], v[134:135], -v[4:5]
	v_add_f64 v[2:3], v[2:3], v[4:5]
	v_mul_f64 v[4:5], v[112:113], v[128:129]
	v_fma_f64 v[4:5], v[110:111], v[130:131], -v[4:5]
	v_add_f64 v[2:3], v[2:3], v[4:5]
	s_waitcnt vmcnt(12) lgkmcnt(1)
	v_mul_f64 v[4:5], v[116:117], v[140:141]
	v_mul_f64 v[154:155], v[114:115], v[140:141]
	s_waitcnt vmcnt(10)
	v_fma_f64 v[4:5], v[114:115], v[142:143], -v[4:5]
	v_fmac_f64_e32 v[154:155], v[116:117], v[142:143]
	v_add_f64 v[2:3], v[2:3], v[4:5]
	s_waitcnt vmcnt(9) lgkmcnt(0)
	v_mul_f64 v[4:5], v[120:121], v[136:137]
	v_add_f64 v[52:53], v[152:153], v[154:155]
	v_mul_f64 v[152:153], v[118:119], v[136:137]
	s_waitcnt vmcnt(8)
	v_fma_f64 v[4:5], v[118:119], v[138:139], -v[4:5]
	v_fmac_f64_e32 v[152:153], v[120:121], v[138:139]
	v_add_f64 v[2:3], v[2:3], v[4:5]
	s_waitcnt vmcnt(6)
	v_mul_f64 v[4:5], v[124:125], v[144:145]
	v_add_f64 v[52:53], v[52:53], v[152:153]
	v_mul_f64 v[152:153], v[122:123], v[144:145]
	s_waitcnt vmcnt(4)
	v_fma_f64 v[4:5], v[122:123], v[146:147], -v[4:5]
	v_fmac_f64_e32 v[152:153], v[124:125], v[146:147]
	v_add_f64 v[2:3], v[2:3], v[4:5]
	v_add_f64 v[52:53], v[52:53], v[152:153]
	s_waitcnt vmcnt(2)
	v_add_f64 v[2:3], v[148:149], -v[2:3]
	s_waitcnt vmcnt(0)
	v_add_f64 v[4:5], v[150:151], -v[52:53]
	buffer_store_dword v3, off, s[0:3], 0 offset:420
	buffer_store_dword v2, off, s[0:3], 0 offset:416
	;; [unrolled: 1-line block ×4, first 2 shown]
	s_and_saveexec_b64 s[4:5], vcc
	s_cbranch_execz .LBB43_229
; %bb.228:
	v_accvgpr_read_b32 v0, a107
	buffer_load_dword v2, v0, s[0:3], 0 offen
	buffer_load_dword v3, v0, s[0:3], 0 offen offset:4
	buffer_load_dword v4, v0, s[0:3], 0 offen offset:8
	;; [unrolled: 1-line block ×3, first 2 shown]
	v_mov_b32_e32 v0, 0
	v_accvgpr_read_b32 v1, a132
	buffer_store_dword v0, off, s[0:3], 0 offset:400
	buffer_store_dword v0, off, s[0:3], 0 offset:404
	;; [unrolled: 1-line block ×4, first 2 shown]
	s_waitcnt vmcnt(4)
	ds_write_b128 v1, v[2:5]
.LBB43_229:
	s_or_b64 exec, exec, s[4:5]
	s_waitcnt lgkmcnt(0)
	; wave barrier
	s_waitcnt lgkmcnt(0)
	buffer_load_dword v2, off, s[0:3], 0 offset:416
	buffer_load_dword v3, off, s[0:3], 0 offset:420
	;; [unrolled: 1-line block ×76, first 2 shown]
	v_mov_b32_e32 v54, 0
	ds_read_b128 v[56:59], v54 offset:1104
	buffer_load_dword v156, off, s[0:3], 0 offset:400
	buffer_load_dword v157, off, s[0:3], 0 offset:404
	;; [unrolled: 1-line block ×4, first 2 shown]
	ds_read_b128 v[60:63], v54 offset:1120
	ds_read_b128 v[64:67], v54 offset:1136
	;; [unrolled: 1-line block ×4, first 2 shown]
	v_cmp_lt_u32_e32 vcc, 23, v255
	s_waitcnt vmcnt(62) lgkmcnt(4)
	v_mul_f64 v[72:73], v[56:57], v[8:9]
	v_fmac_f64_e32 v[72:73], v[58:59], v[2:3]
	v_add_f64 v[72:73], v[72:73], 0
	v_mul_f64 v[8:9], v[58:59], v[8:9]
	s_waitcnt lgkmcnt(3)
	v_mul_f64 v[74:75], v[60:61], v[10:11]
	v_fmac_f64_e32 v[74:75], v[62:63], v[4:5]
	v_add_f64 v[72:73], v[72:73], v[74:75]
	v_fma_f64 v[2:3], v[56:57], v[2:3], -v[8:9]
	s_waitcnt lgkmcnt(2)
	v_mul_f64 v[74:75], v[64:65], v[12:13]
	v_fmac_f64_e32 v[74:75], v[66:67], v[6:7]
	v_add_f64 v[76:77], v[72:73], v[74:75]
	ds_read_b128 v[72:75], v54 offset:1168
	s_waitcnt lgkmcnt(2)
	v_mul_f64 v[78:79], v[68:69], v[18:19]
	v_mul_f64 v[8:9], v[62:63], v[10:11]
	v_fmac_f64_e32 v[78:79], v[70:71], v[20:21]
	v_add_f64 v[80:81], v[76:77], v[78:79]
	ds_read_b128 v[76:79], v54 offset:1184
	s_waitcnt vmcnt(61) lgkmcnt(1)
	v_mul_f64 v[82:83], v[72:73], v[14:15]
	s_waitcnt vmcnt(60)
	v_fmac_f64_e32 v[82:83], v[74:75], v[16:17]
	v_add_f64 v[84:85], v[80:81], v[82:83]
	ds_read_b128 v[80:83], v54 offset:1200
	s_waitcnt vmcnt(56) lgkmcnt(1)
	v_mul_f64 v[86:87], v[76:77], v[26:27]
	s_waitcnt vmcnt(54)
	;; [unrolled: 6-line block ×4, first 2 shown]
	v_fmac_f64_e32 v[94:95], v[86:87], v[36:37]
	v_add_f64 v[96:97], v[92:93], v[94:95]
	ds_read_b128 v[92:95], v54 offset:1248
	v_add_f64 v[2:3], v[2:3], 0
	v_fma_f64 v[4:5], v[60:61], v[4:5], -v[8:9]
	s_waitcnt vmcnt(45) lgkmcnt(1)
	v_mul_f64 v[98:99], v[88:89], v[30:31]
	v_add_f64 v[2:3], v[2:3], v[4:5]
	v_mul_f64 v[4:5], v[66:67], v[12:13]
	s_waitcnt vmcnt(44)
	v_fmac_f64_e32 v[98:99], v[90:91], v[32:33]
	v_fma_f64 v[4:5], v[64:65], v[6:7], -v[4:5]
	v_add_f64 v[100:101], v[96:97], v[98:99]
	ds_read_b128 v[96:99], v54 offset:1264
	s_waitcnt vmcnt(40) lgkmcnt(1)
	v_mul_f64 v[102:103], v[92:93], v[42:43]
	v_add_f64 v[2:3], v[2:3], v[4:5]
	v_mul_f64 v[4:5], v[70:71], v[18:19]
	s_waitcnt vmcnt(38)
	v_fmac_f64_e32 v[102:103], v[94:95], v[44:45]
	v_fma_f64 v[4:5], v[68:69], v[20:21], -v[4:5]
	v_add_f64 v[104:105], v[100:101], v[102:103]
	ds_read_b128 v[100:103], v54 offset:1280
	v_add_f64 v[2:3], v[2:3], v[4:5]
	v_mul_f64 v[4:5], v[74:75], v[14:15]
	v_fma_f64 v[4:5], v[72:73], v[16:17], -v[4:5]
	v_add_f64 v[2:3], v[2:3], v[4:5]
	v_mul_f64 v[4:5], v[78:79], v[26:27]
	s_waitcnt vmcnt(37) lgkmcnt(1)
	v_mul_f64 v[106:107], v[96:97], v[38:39]
	v_fma_f64 v[4:5], v[76:77], v[28:29], -v[4:5]
	s_waitcnt vmcnt(36)
	v_fmac_f64_e32 v[106:107], v[98:99], v[40:41]
	v_add_f64 v[2:3], v[2:3], v[4:5]
	v_mul_f64 v[4:5], v[82:83], v[22:23]
	v_add_f64 v[108:109], v[104:105], v[106:107]
	ds_read_b128 v[104:107], v54 offset:1296
	s_waitcnt vmcnt(32) lgkmcnt(1)
	v_mul_f64 v[110:111], v[100:101], v[50:51]
	v_fma_f64 v[4:5], v[80:81], v[24:25], -v[4:5]
	s_waitcnt vmcnt(30)
	v_fmac_f64_e32 v[110:111], v[102:103], v[52:53]
	v_add_f64 v[2:3], v[2:3], v[4:5]
	v_mul_f64 v[4:5], v[86:87], v[34:35]
	v_add_f64 v[112:113], v[108:109], v[110:111]
	ds_read_b128 v[108:111], v54 offset:1312
	v_fma_f64 v[4:5], v[84:85], v[36:37], -v[4:5]
	v_add_f64 v[2:3], v[2:3], v[4:5]
	v_mul_f64 v[4:5], v[90:91], v[30:31]
	v_fma_f64 v[4:5], v[88:89], v[32:33], -v[4:5]
	s_waitcnt vmcnt(29) lgkmcnt(1)
	v_mul_f64 v[114:115], v[104:105], v[46:47]
	v_add_f64 v[2:3], v[2:3], v[4:5]
	v_mul_f64 v[4:5], v[94:95], v[42:43]
	s_waitcnt vmcnt(28)
	v_fmac_f64_e32 v[114:115], v[106:107], v[48:49]
	v_fma_f64 v[4:5], v[92:93], v[44:45], -v[4:5]
	v_add_f64 v[116:117], v[112:113], v[114:115]
	ds_read_b128 v[112:115], v54 offset:1328
	s_waitcnt vmcnt(24) lgkmcnt(1)
	v_mul_f64 v[118:119], v[108:109], v[136:137]
	v_add_f64 v[2:3], v[2:3], v[4:5]
	v_mul_f64 v[4:5], v[98:99], v[38:39]
	s_waitcnt vmcnt(22)
	v_fmac_f64_e32 v[118:119], v[110:111], v[138:139]
	v_fma_f64 v[4:5], v[96:97], v[40:41], -v[4:5]
	v_add_f64 v[120:121], v[116:117], v[118:119]
	ds_read_b128 v[116:119], v54 offset:1344
	v_add_f64 v[2:3], v[2:3], v[4:5]
	v_mul_f64 v[4:5], v[102:103], v[50:51]
	v_fma_f64 v[4:5], v[100:101], v[52:53], -v[4:5]
	v_add_f64 v[2:3], v[2:3], v[4:5]
	v_mul_f64 v[4:5], v[106:107], v[46:47]
	s_waitcnt vmcnt(21) lgkmcnt(1)
	v_mul_f64 v[122:123], v[112:113], v[132:133]
	v_fma_f64 v[4:5], v[104:105], v[48:49], -v[4:5]
	s_waitcnt vmcnt(20)
	v_fmac_f64_e32 v[122:123], v[114:115], v[134:135]
	v_add_f64 v[2:3], v[2:3], v[4:5]
	v_mul_f64 v[4:5], v[110:111], v[136:137]
	v_add_f64 v[124:125], v[120:121], v[122:123]
	ds_read_b128 v[120:123], v54 offset:1360
	s_waitcnt vmcnt(16) lgkmcnt(1)
	v_mul_f64 v[126:127], v[116:117], v[144:145]
	v_fma_f64 v[4:5], v[108:109], v[138:139], -v[4:5]
	s_waitcnt vmcnt(14)
	v_fmac_f64_e32 v[126:127], v[118:119], v[146:147]
	v_add_f64 v[2:3], v[2:3], v[4:5]
	v_mul_f64 v[4:5], v[114:115], v[132:133]
	v_add_f64 v[160:161], v[124:125], v[126:127]
	ds_read_b128 v[124:127], v54 offset:1376
	v_fma_f64 v[4:5], v[112:113], v[134:135], -v[4:5]
	v_add_f64 v[2:3], v[2:3], v[4:5]
	v_mul_f64 v[4:5], v[118:119], v[144:145]
	v_fma_f64 v[4:5], v[116:117], v[146:147], -v[4:5]
	v_add_f64 v[2:3], v[2:3], v[4:5]
	s_waitcnt vmcnt(13) lgkmcnt(1)
	v_mul_f64 v[4:5], v[122:123], v[140:141]
	v_mul_f64 v[162:163], v[120:121], v[140:141]
	s_waitcnt vmcnt(12)
	v_fma_f64 v[4:5], v[120:121], v[142:143], -v[4:5]
	v_fmac_f64_e32 v[162:163], v[122:123], v[142:143]
	v_add_f64 v[2:3], v[2:3], v[4:5]
	s_waitcnt vmcnt(8) lgkmcnt(0)
	v_mul_f64 v[4:5], v[126:127], v[152:153]
	v_add_f64 v[160:161], v[160:161], v[162:163]
	v_mul_f64 v[162:163], v[124:125], v[152:153]
	s_waitcnt vmcnt(6)
	v_fma_f64 v[4:5], v[124:125], v[154:155], -v[4:5]
	v_fmac_f64_e32 v[162:163], v[126:127], v[154:155]
	v_add_f64 v[2:3], v[2:3], v[4:5]
	s_waitcnt vmcnt(5)
	v_mul_f64 v[4:5], v[130:131], v[148:149]
	v_add_f64 v[160:161], v[160:161], v[162:163]
	v_mul_f64 v[162:163], v[128:129], v[148:149]
	s_waitcnt vmcnt(4)
	v_fma_f64 v[4:5], v[128:129], v[150:151], -v[4:5]
	v_fmac_f64_e32 v[162:163], v[130:131], v[150:151]
	v_add_f64 v[2:3], v[2:3], v[4:5]
	v_add_f64 v[160:161], v[160:161], v[162:163]
	s_waitcnt vmcnt(2)
	v_add_f64 v[2:3], v[156:157], -v[2:3]
	s_waitcnt vmcnt(0)
	v_add_f64 v[4:5], v[158:159], -v[160:161]
	buffer_store_dword v3, off, s[0:3], 0 offset:404
	buffer_store_dword v2, off, s[0:3], 0 offset:400
	buffer_store_dword v5, off, s[0:3], 0 offset:412
	buffer_store_dword v4, off, s[0:3], 0 offset:408
	s_and_saveexec_b64 s[4:5], vcc
	s_cbranch_execz .LBB43_231
; %bb.230:
	v_accvgpr_read_b32 v0, a108
	buffer_load_dword v2, v0, s[0:3], 0 offen
	buffer_load_dword v3, v0, s[0:3], 0 offen offset:4
	buffer_load_dword v4, v0, s[0:3], 0 offen offset:8
	buffer_load_dword v5, v0, s[0:3], 0 offen offset:12
	v_accvgpr_read_b32 v0, a132
	buffer_store_dword v54, off, s[0:3], 0 offset:384
	buffer_store_dword v54, off, s[0:3], 0 offset:388
	;; [unrolled: 1-line block ×4, first 2 shown]
	s_waitcnt vmcnt(4)
	ds_write_b128 v0, v[2:5]
.LBB43_231:
	s_or_b64 exec, exec, s[4:5]
	s_waitcnt lgkmcnt(0)
	; wave barrier
	s_waitcnt lgkmcnt(0)
	buffer_load_dword v2, off, s[0:3], 0 offset:400
	buffer_load_dword v3, off, s[0:3], 0 offset:404
	;; [unrolled: 1-line block ×76, first 2 shown]
	ds_read_b128 v[56:59], v54 offset:1088
	buffer_load_dword v161, off, s[0:3], 0 offset:716
	buffer_load_dword v160, off, s[0:3], 0 offset:712
	;; [unrolled: 1-line block ×8, first 2 shown]
	ds_read_b128 v[60:63], v54 offset:1104
	ds_read_b128 v[64:67], v54 offset:1120
	;; [unrolled: 1-line block ×3, first 2 shown]
	v_cmp_lt_u32_e32 vcc, 22, v255
	ds_read_b128 v[132:135], v54 offset:1392
	s_waitcnt vmcnt(62) lgkmcnt(4)
	v_mul_f64 v[72:73], v[56:57], v[8:9]
	v_fmac_f64_e32 v[72:73], v[58:59], v[2:3]
	v_add_f64 v[72:73], v[72:73], 0
	v_mul_f64 v[8:9], v[58:59], v[8:9]
	s_waitcnt lgkmcnt(3)
	v_mul_f64 v[74:75], v[60:61], v[10:11]
	v_fmac_f64_e32 v[74:75], v[62:63], v[4:5]
	v_add_f64 v[72:73], v[72:73], v[74:75]
	v_fma_f64 v[2:3], v[56:57], v[2:3], -v[8:9]
	s_waitcnt lgkmcnt(2)
	v_mul_f64 v[74:75], v[64:65], v[12:13]
	v_fmac_f64_e32 v[74:75], v[66:67], v[6:7]
	v_add_f64 v[76:77], v[72:73], v[74:75]
	ds_read_b128 v[72:75], v54 offset:1152
	v_mul_f64 v[8:9], v[62:63], v[10:11]
	v_add_f64 v[2:3], v[2:3], 0
	s_waitcnt lgkmcnt(2)
	v_mul_f64 v[78:79], v[68:69], v[18:19]
	v_fma_f64 v[4:5], v[60:61], v[4:5], -v[8:9]
	v_fmac_f64_e32 v[78:79], v[70:71], v[20:21]
	v_add_f64 v[80:81], v[76:77], v[78:79]
	ds_read_b128 v[76:79], v54 offset:1168
	s_waitcnt lgkmcnt(1)
	v_mul_f64 v[82:83], v[72:73], v[14:15]
	v_fmac_f64_e32 v[82:83], v[74:75], v[16:17]
	v_add_f64 v[84:85], v[80:81], v[82:83]
	ds_read_b128 v[80:83], v54 offset:1184
	s_waitcnt vmcnt(58) lgkmcnt(1)
	v_mul_f64 v[86:87], v[76:77], v[26:27]
	s_waitcnt vmcnt(56)
	v_fmac_f64_e32 v[86:87], v[78:79], v[28:29]
	v_add_f64 v[88:89], v[84:85], v[86:87]
	ds_read_b128 v[84:87], v54 offset:1200
	s_waitcnt lgkmcnt(1)
	v_mul_f64 v[90:91], v[80:81], v[22:23]
	v_fmac_f64_e32 v[90:91], v[82:83], v[24:25]
	v_add_f64 v[92:93], v[88:89], v[90:91]
	ds_read_b128 v[88:91], v54 offset:1216
	s_waitcnt vmcnt(50) lgkmcnt(1)
	v_mul_f64 v[94:95], v[84:85], v[34:35]
	s_waitcnt vmcnt(48)
	v_fmac_f64_e32 v[94:95], v[86:87], v[36:37]
	v_add_f64 v[96:97], v[92:93], v[94:95]
	ds_read_b128 v[92:95], v54 offset:1232
	s_waitcnt lgkmcnt(1)
	v_mul_f64 v[98:99], v[88:89], v[30:31]
	v_fmac_f64_e32 v[98:99], v[90:91], v[32:33]
	v_add_f64 v[100:101], v[96:97], v[98:99]
	ds_read_b128 v[96:99], v54 offset:1248
	v_add_f64 v[2:3], v[2:3], v[4:5]
	v_mul_f64 v[4:5], v[66:67], v[12:13]
	v_fma_f64 v[4:5], v[64:65], v[6:7], -v[4:5]
	s_waitcnt vmcnt(42) lgkmcnt(1)
	v_mul_f64 v[102:103], v[92:93], v[42:43]
	v_add_f64 v[2:3], v[2:3], v[4:5]
	v_mul_f64 v[4:5], v[70:71], v[18:19]
	s_waitcnt vmcnt(40)
	v_fmac_f64_e32 v[102:103], v[94:95], v[44:45]
	v_fma_f64 v[4:5], v[68:69], v[20:21], -v[4:5]
	v_add_f64 v[104:105], v[100:101], v[102:103]
	ds_read_b128 v[100:103], v54 offset:1264
	s_waitcnt lgkmcnt(1)
	v_mul_f64 v[106:107], v[96:97], v[38:39]
	v_add_f64 v[2:3], v[2:3], v[4:5]
	v_mul_f64 v[4:5], v[74:75], v[14:15]
	v_fmac_f64_e32 v[106:107], v[98:99], v[40:41]
	v_fma_f64 v[4:5], v[72:73], v[16:17], -v[4:5]
	v_add_f64 v[108:109], v[104:105], v[106:107]
	ds_read_b128 v[104:107], v54 offset:1280
	v_add_f64 v[2:3], v[2:3], v[4:5]
	v_mul_f64 v[4:5], v[78:79], v[26:27]
	v_fma_f64 v[4:5], v[76:77], v[28:29], -v[4:5]
	v_add_f64 v[2:3], v[2:3], v[4:5]
	v_mul_f64 v[4:5], v[82:83], v[22:23]
	s_waitcnt vmcnt(34) lgkmcnt(1)
	v_mul_f64 v[110:111], v[100:101], v[50:51]
	v_fma_f64 v[4:5], v[80:81], v[24:25], -v[4:5]
	s_waitcnt vmcnt(32)
	v_fmac_f64_e32 v[110:111], v[102:103], v[52:53]
	v_add_f64 v[2:3], v[2:3], v[4:5]
	v_mul_f64 v[4:5], v[86:87], v[34:35]
	v_add_f64 v[112:113], v[108:109], v[110:111]
	ds_read_b128 v[108:111], v54 offset:1296
	s_waitcnt lgkmcnt(1)
	v_mul_f64 v[114:115], v[104:105], v[46:47]
	v_fma_f64 v[4:5], v[84:85], v[36:37], -v[4:5]
	v_fmac_f64_e32 v[114:115], v[106:107], v[48:49]
	v_add_f64 v[2:3], v[2:3], v[4:5]
	v_mul_f64 v[4:5], v[90:91], v[30:31]
	v_add_f64 v[116:117], v[112:113], v[114:115]
	ds_read_b128 v[112:115], v54 offset:1312
	v_fma_f64 v[4:5], v[88:89], v[32:33], -v[4:5]
	v_add_f64 v[2:3], v[2:3], v[4:5]
	v_mul_f64 v[4:5], v[94:95], v[42:43]
	v_fma_f64 v[4:5], v[92:93], v[44:45], -v[4:5]
	s_waitcnt vmcnt(26) lgkmcnt(1)
	v_mul_f64 v[118:119], v[108:109], v[140:141]
	v_add_f64 v[2:3], v[2:3], v[4:5]
	v_mul_f64 v[4:5], v[98:99], v[38:39]
	s_waitcnt vmcnt(24)
	v_fmac_f64_e32 v[118:119], v[110:111], v[142:143]
	v_fma_f64 v[4:5], v[96:97], v[40:41], -v[4:5]
	v_add_f64 v[120:121], v[116:117], v[118:119]
	ds_read_b128 v[116:119], v54 offset:1328
	s_waitcnt lgkmcnt(1)
	v_mul_f64 v[122:123], v[112:113], v[136:137]
	v_add_f64 v[2:3], v[2:3], v[4:5]
	v_mul_f64 v[4:5], v[102:103], v[50:51]
	v_fmac_f64_e32 v[122:123], v[114:115], v[138:139]
	v_fma_f64 v[4:5], v[100:101], v[52:53], -v[4:5]
	v_add_f64 v[124:125], v[120:121], v[122:123]
	ds_read_b128 v[120:123], v54 offset:1344
	v_add_f64 v[2:3], v[2:3], v[4:5]
	v_mul_f64 v[4:5], v[106:107], v[46:47]
	v_fma_f64 v[4:5], v[104:105], v[48:49], -v[4:5]
	v_add_f64 v[2:3], v[2:3], v[4:5]
	v_mul_f64 v[4:5], v[110:111], v[140:141]
	s_waitcnt vmcnt(18) lgkmcnt(1)
	v_mul_f64 v[126:127], v[116:117], v[148:149]
	v_fma_f64 v[4:5], v[108:109], v[142:143], -v[4:5]
	s_waitcnt vmcnt(16)
	v_fmac_f64_e32 v[126:127], v[118:119], v[150:151]
	v_add_f64 v[2:3], v[2:3], v[4:5]
	v_mul_f64 v[4:5], v[114:115], v[136:137]
	v_add_f64 v[128:129], v[124:125], v[126:127]
	ds_read_b128 v[124:127], v54 offset:1360
	s_waitcnt lgkmcnt(1)
	v_mul_f64 v[130:131], v[120:121], v[144:145]
	v_fma_f64 v[4:5], v[112:113], v[138:139], -v[4:5]
	v_fmac_f64_e32 v[130:131], v[122:123], v[146:147]
	v_add_f64 v[2:3], v[2:3], v[4:5]
	v_mul_f64 v[4:5], v[118:119], v[148:149]
	v_add_f64 v[168:169], v[128:129], v[130:131]
	ds_read_b128 v[128:131], v54 offset:1376
	v_fma_f64 v[4:5], v[116:117], v[150:151], -v[4:5]
	v_add_f64 v[2:3], v[2:3], v[4:5]
	v_mul_f64 v[4:5], v[122:123], v[144:145]
	v_fma_f64 v[4:5], v[120:121], v[146:147], -v[4:5]
	v_add_f64 v[2:3], v[2:3], v[4:5]
	s_waitcnt vmcnt(10) lgkmcnt(1)
	v_mul_f64 v[4:5], v[126:127], v[156:157]
	v_mul_f64 v[170:171], v[124:125], v[156:157]
	s_waitcnt vmcnt(8)
	v_fma_f64 v[4:5], v[124:125], v[158:159], -v[4:5]
	v_fmac_f64_e32 v[170:171], v[126:127], v[158:159]
	v_add_f64 v[2:3], v[2:3], v[4:5]
	s_waitcnt lgkmcnt(0)
	v_mul_f64 v[4:5], v[130:131], v[152:153]
	v_add_f64 v[54:55], v[168:169], v[170:171]
	v_mul_f64 v[168:169], v[128:129], v[152:153]
	v_fma_f64 v[4:5], v[128:129], v[154:155], -v[4:5]
	v_fmac_f64_e32 v[168:169], v[130:131], v[154:155]
	v_add_f64 v[2:3], v[2:3], v[4:5]
	s_waitcnt vmcnt(6)
	v_mul_f64 v[4:5], v[134:135], v[160:161]
	v_add_f64 v[54:55], v[54:55], v[168:169]
	v_mul_f64 v[168:169], v[132:133], v[160:161]
	s_waitcnt vmcnt(4)
	v_fma_f64 v[4:5], v[132:133], v[162:163], -v[4:5]
	v_fmac_f64_e32 v[168:169], v[134:135], v[162:163]
	v_add_f64 v[2:3], v[2:3], v[4:5]
	v_add_f64 v[54:55], v[54:55], v[168:169]
	s_waitcnt vmcnt(2)
	v_add_f64 v[2:3], v[164:165], -v[2:3]
	s_waitcnt vmcnt(0)
	v_add_f64 v[4:5], v[166:167], -v[54:55]
	buffer_store_dword v3, off, s[0:3], 0 offset:388
	buffer_store_dword v2, off, s[0:3], 0 offset:384
	;; [unrolled: 1-line block ×4, first 2 shown]
	s_and_saveexec_b64 s[4:5], vcc
	s_cbranch_execz .LBB43_233
; %bb.232:
	v_accvgpr_read_b32 v0, a109
	buffer_load_dword v2, v0, s[0:3], 0 offen
	buffer_load_dword v3, v0, s[0:3], 0 offen offset:4
	buffer_load_dword v4, v0, s[0:3], 0 offen offset:8
	;; [unrolled: 1-line block ×3, first 2 shown]
	v_mov_b32_e32 v0, 0
	v_accvgpr_read_b32 v1, a132
	buffer_store_dword v0, off, s[0:3], 0 offset:368
	buffer_store_dword v0, off, s[0:3], 0 offset:372
	;; [unrolled: 1-line block ×4, first 2 shown]
	s_waitcnt vmcnt(4)
	ds_write_b128 v1, v[2:5]
.LBB43_233:
	s_or_b64 exec, exec, s[4:5]
	s_waitcnt lgkmcnt(0)
	; wave barrier
	s_waitcnt lgkmcnt(0)
	buffer_load_dword v4, off, s[0:3], 0 offset:368
	buffer_load_dword v5, off, s[0:3], 0 offset:372
	;; [unrolled: 1-line block ×84, first 2 shown]
	v_mov_b32_e32 v86, 0
	ds_read_b128 v[66:69], v86 offset:1072
	buffer_load_dword v173, off, s[0:3], 0 offset:716
	buffer_load_dword v172, off, s[0:3], 0 offset:712
	;; [unrolled: 1-line block ×4, first 2 shown]
	ds_read_b128 v[70:73], v86 offset:1088
	ds_read_b128 v[74:77], v86 offset:1104
	;; [unrolled: 1-line block ×4, first 2 shown]
	v_cmp_lt_u32_e32 vcc, 21, v255
	s_waitcnt vmcnt(62) lgkmcnt(4)
	v_mul_f64 v[82:83], v[66:67], v[12:13]
	v_fmac_f64_e32 v[82:83], v[68:69], v[6:7]
	s_waitcnt lgkmcnt(3)
	v_mul_f64 v[84:85], v[70:71], v[14:15]
	v_add_f64 v[82:83], v[82:83], 0
	v_fmac_f64_e32 v[84:85], v[72:73], v[8:9]
	v_add_f64 v[82:83], v[82:83], v[84:85]
	s_waitcnt lgkmcnt(2)
	v_mul_f64 v[84:85], v[74:75], v[16:17]
	v_fmac_f64_e32 v[84:85], v[76:77], v[10:11]
	v_add_f64 v[88:89], v[82:83], v[84:85]
	ds_read_b128 v[82:85], v86 offset:1136
	v_mul_f64 v[12:13], v[68:69], v[12:13]
	s_waitcnt lgkmcnt(2)
	v_mul_f64 v[90:91], v[78:79], v[22:23]
	v_fma_f64 v[6:7], v[66:67], v[6:7], -v[12:13]
	v_fmac_f64_e32 v[90:91], v[80:81], v[24:25]
	v_add_f64 v[92:93], v[88:89], v[90:91]
	ds_read_b128 v[88:91], v86 offset:1152
	s_waitcnt lgkmcnt(1)
	v_mul_f64 v[94:95], v[82:83], v[18:19]
	v_fmac_f64_e32 v[94:95], v[84:85], v[20:21]
	v_add_f64 v[96:97], v[92:93], v[94:95]
	ds_read_b128 v[92:95], v86 offset:1168
	s_waitcnt vmcnt(58) lgkmcnt(1)
	v_mul_f64 v[98:99], v[88:89], v[30:31]
	s_waitcnt vmcnt(56)
	v_fmac_f64_e32 v[98:99], v[90:91], v[32:33]
	v_add_f64 v[100:101], v[96:97], v[98:99]
	ds_read_b128 v[96:99], v86 offset:1184
	s_waitcnt lgkmcnt(1)
	v_mul_f64 v[102:103], v[92:93], v[26:27]
	v_fmac_f64_e32 v[102:103], v[94:95], v[28:29]
	v_add_f64 v[104:105], v[100:101], v[102:103]
	ds_read_b128 v[100:103], v86 offset:1200
	s_waitcnt vmcnt(50) lgkmcnt(1)
	v_mul_f64 v[106:107], v[96:97], v[38:39]
	s_waitcnt vmcnt(48)
	v_fmac_f64_e32 v[106:107], v[98:99], v[40:41]
	v_add_f64 v[108:109], v[104:105], v[106:107]
	ds_read_b128 v[104:107], v86 offset:1216
	s_waitcnt lgkmcnt(1)
	v_mul_f64 v[110:111], v[100:101], v[34:35]
	v_fmac_f64_e32 v[110:111], v[102:103], v[36:37]
	v_mul_f64 v[12:13], v[72:73], v[14:15]
	v_add_f64 v[112:113], v[108:109], v[110:111]
	ds_read_b128 v[108:111], v86 offset:1232
	s_waitcnt vmcnt(42) lgkmcnt(1)
	v_mul_f64 v[114:115], v[104:105], v[46:47]
	v_add_f64 v[6:7], v[6:7], 0
	v_fma_f64 v[8:9], v[70:71], v[8:9], -v[12:13]
	s_waitcnt vmcnt(40)
	v_fmac_f64_e32 v[114:115], v[106:107], v[48:49]
	v_add_f64 v[6:7], v[6:7], v[8:9]
	v_mul_f64 v[8:9], v[76:77], v[16:17]
	v_add_f64 v[116:117], v[112:113], v[114:115]
	ds_read_b128 v[112:115], v86 offset:1248
	v_fma_f64 v[8:9], v[74:75], v[10:11], -v[8:9]
	v_add_f64 v[6:7], v[6:7], v[8:9]
	v_mul_f64 v[8:9], v[80:81], v[22:23]
	v_fma_f64 v[8:9], v[78:79], v[24:25], -v[8:9]
	s_waitcnt lgkmcnt(1)
	v_mul_f64 v[118:119], v[108:109], v[42:43]
	v_add_f64 v[6:7], v[6:7], v[8:9]
	v_mul_f64 v[8:9], v[84:85], v[18:19]
	v_fmac_f64_e32 v[118:119], v[110:111], v[44:45]
	v_fma_f64 v[8:9], v[82:83], v[20:21], -v[8:9]
	v_add_f64 v[120:121], v[116:117], v[118:119]
	ds_read_b128 v[116:119], v86 offset:1264
	s_waitcnt vmcnt(34) lgkmcnt(1)
	v_mul_f64 v[122:123], v[112:113], v[54:55]
	v_add_f64 v[6:7], v[6:7], v[8:9]
	v_mul_f64 v[8:9], v[90:91], v[30:31]
	s_waitcnt vmcnt(32)
	v_fmac_f64_e32 v[122:123], v[114:115], v[56:57]
	v_fma_f64 v[8:9], v[88:89], v[32:33], -v[8:9]
	v_add_f64 v[124:125], v[120:121], v[122:123]
	ds_read_b128 v[120:123], v86 offset:1280
	v_add_f64 v[6:7], v[6:7], v[8:9]
	v_mul_f64 v[8:9], v[94:95], v[26:27]
	v_fma_f64 v[8:9], v[92:93], v[28:29], -v[8:9]
	v_add_f64 v[6:7], v[6:7], v[8:9]
	v_mul_f64 v[8:9], v[98:99], v[38:39]
	s_waitcnt lgkmcnt(1)
	v_mul_f64 v[126:127], v[116:117], v[50:51]
	v_fma_f64 v[8:9], v[96:97], v[40:41], -v[8:9]
	v_fmac_f64_e32 v[126:127], v[118:119], v[52:53]
	v_add_f64 v[6:7], v[6:7], v[8:9]
	v_mul_f64 v[8:9], v[102:103], v[34:35]
	v_add_f64 v[128:129], v[124:125], v[126:127]
	ds_read_b128 v[124:127], v86 offset:1296
	s_waitcnt vmcnt(26) lgkmcnt(1)
	v_mul_f64 v[130:131], v[120:121], v[62:63]
	v_fma_f64 v[8:9], v[100:101], v[36:37], -v[8:9]
	s_waitcnt vmcnt(24)
	v_fmac_f64_e32 v[130:131], v[122:123], v[64:65]
	v_add_f64 v[6:7], v[6:7], v[8:9]
	v_mul_f64 v[8:9], v[106:107], v[46:47]
	v_add_f64 v[132:133], v[128:129], v[130:131]
	ds_read_b128 v[128:131], v86 offset:1312
	v_fma_f64 v[8:9], v[104:105], v[48:49], -v[8:9]
	v_add_f64 v[6:7], v[6:7], v[8:9]
	v_mul_f64 v[8:9], v[110:111], v[42:43]
	v_fma_f64 v[8:9], v[108:109], v[44:45], -v[8:9]
	s_waitcnt lgkmcnt(1)
	v_mul_f64 v[134:135], v[124:125], v[58:59]
	v_add_f64 v[6:7], v[6:7], v[8:9]
	v_mul_f64 v[8:9], v[114:115], v[54:55]
	v_fmac_f64_e32 v[134:135], v[126:127], v[60:61]
	v_fma_f64 v[8:9], v[112:113], v[56:57], -v[8:9]
	v_add_f64 v[136:137], v[132:133], v[134:135]
	ds_read_b128 v[132:135], v86 offset:1328
	s_waitcnt vmcnt(18) lgkmcnt(1)
	v_mul_f64 v[138:139], v[128:129], v[156:157]
	v_add_f64 v[6:7], v[6:7], v[8:9]
	v_mul_f64 v[8:9], v[118:119], v[50:51]
	s_waitcnt vmcnt(16)
	v_fmac_f64_e32 v[138:139], v[130:131], v[158:159]
	v_fma_f64 v[8:9], v[116:117], v[52:53], -v[8:9]
	v_add_f64 v[140:141], v[136:137], v[138:139]
	ds_read_b128 v[136:139], v86 offset:1344
	v_add_f64 v[6:7], v[6:7], v[8:9]
	v_mul_f64 v[8:9], v[122:123], v[62:63]
	v_fma_f64 v[8:9], v[120:121], v[64:65], -v[8:9]
	v_add_f64 v[6:7], v[6:7], v[8:9]
	v_mul_f64 v[8:9], v[126:127], v[58:59]
	s_waitcnt lgkmcnt(1)
	v_mul_f64 v[142:143], v[132:133], v[152:153]
	v_fma_f64 v[8:9], v[124:125], v[60:61], -v[8:9]
	v_fmac_f64_e32 v[142:143], v[134:135], v[154:155]
	v_add_f64 v[6:7], v[6:7], v[8:9]
	v_mul_f64 v[8:9], v[130:131], v[156:157]
	v_add_f64 v[144:145], v[140:141], v[142:143]
	ds_read_b128 v[140:143], v86 offset:1360
	s_waitcnt vmcnt(10) lgkmcnt(1)
	v_mul_f64 v[146:147], v[136:137], v[164:165]
	v_fma_f64 v[8:9], v[128:129], v[158:159], -v[8:9]
	s_waitcnt vmcnt(8)
	v_fmac_f64_e32 v[146:147], v[138:139], v[166:167]
	v_add_f64 v[6:7], v[6:7], v[8:9]
	v_mul_f64 v[8:9], v[134:135], v[152:153]
	v_add_f64 v[176:177], v[144:145], v[146:147]
	ds_read_b128 v[144:147], v86 offset:1376
	v_fma_f64 v[8:9], v[132:133], v[154:155], -v[8:9]
	v_add_f64 v[6:7], v[6:7], v[8:9]
	v_mul_f64 v[8:9], v[138:139], v[164:165]
	v_fma_f64 v[8:9], v[136:137], v[166:167], -v[8:9]
	v_add_f64 v[6:7], v[6:7], v[8:9]
	s_waitcnt lgkmcnt(1)
	v_mul_f64 v[8:9], v[142:143], v[160:161]
	v_mul_f64 v[178:179], v[140:141], v[160:161]
	v_fma_f64 v[8:9], v[140:141], v[162:163], -v[8:9]
	v_fmac_f64_e32 v[178:179], v[142:143], v[162:163]
	v_add_f64 v[6:7], v[6:7], v[8:9]
	s_waitcnt vmcnt(6) lgkmcnt(0)
	v_mul_f64 v[8:9], v[146:147], v[168:169]
	v_add_f64 v[176:177], v[176:177], v[178:179]
	v_mul_f64 v[178:179], v[144:145], v[168:169]
	s_waitcnt vmcnt(4)
	v_fma_f64 v[8:9], v[144:145], v[170:171], -v[8:9]
	v_fmac_f64_e32 v[178:179], v[146:147], v[170:171]
	v_add_f64 v[6:7], v[6:7], v[8:9]
	s_waitcnt vmcnt(2)
	v_mul_f64 v[8:9], v[150:151], v[172:173]
	v_add_f64 v[176:177], v[176:177], v[178:179]
	v_mul_f64 v[178:179], v[148:149], v[172:173]
	s_waitcnt vmcnt(0)
	v_fma_f64 v[8:9], v[148:149], v[174:175], -v[8:9]
	v_fmac_f64_e32 v[178:179], v[150:151], v[174:175]
	v_add_f64 v[6:7], v[6:7], v[8:9]
	v_add_f64 v[176:177], v[176:177], v[178:179]
	v_add_f64 v[4:5], v[4:5], -v[6:7]
	v_add_f64 v[2:3], v[2:3], -v[176:177]
	buffer_store_dword v5, off, s[0:3], 0 offset:372
	buffer_store_dword v4, off, s[0:3], 0 offset:368
	;; [unrolled: 1-line block ×4, first 2 shown]
	s_and_saveexec_b64 s[4:5], vcc
	s_cbranch_execz .LBB43_235
; %bb.234:
	v_accvgpr_read_b32 v0, a110
	buffer_load_dword v2, v0, s[0:3], 0 offen
	buffer_load_dword v3, v0, s[0:3], 0 offen offset:4
	buffer_load_dword v4, v0, s[0:3], 0 offen offset:8
	buffer_load_dword v5, v0, s[0:3], 0 offen offset:12
	v_accvgpr_read_b32 v0, a132
	buffer_store_dword v86, off, s[0:3], 0 offset:352
	buffer_store_dword v86, off, s[0:3], 0 offset:356
	;; [unrolled: 1-line block ×4, first 2 shown]
	s_waitcnt vmcnt(4)
	ds_write_b128 v0, v[2:5]
.LBB43_235:
	s_or_b64 exec, exec, s[4:5]
	s_waitcnt lgkmcnt(0)
	; wave barrier
	s_waitcnt lgkmcnt(0)
	ds_read_b128 v[14:17], v86 offset:1056
	ds_read_b128 v[10:13], v86 offset:1072
	;; [unrolled: 1-line block ×4, first 2 shown]
	buffer_load_dword v20, off, s[0:3], 0 offset:352
	buffer_load_dword v21, off, s[0:3], 0 offset:356
	;; [unrolled: 1-line block ×92, first 2 shown]
	s_waitcnt vmcnt(62) lgkmcnt(3)
	v_mul_f64 v[88:89], v[14:15], v[28:29]
	v_fmac_f64_e32 v[88:89], v[16:17], v[22:23]
	s_waitcnt lgkmcnt(2)
	v_mul_f64 v[90:91], v[10:11], v[30:31]
	v_add_f64 v[88:89], v[88:89], 0
	v_fmac_f64_e32 v[90:91], v[12:13], v[24:25]
	v_add_f64 v[88:89], v[88:89], v[90:91]
	s_waitcnt lgkmcnt(1)
	v_mul_f64 v[90:91], v[6:7], v[32:33]
	v_fmac_f64_e32 v[90:91], v[8:9], v[26:27]
	v_add_f64 v[92:93], v[88:89], v[90:91]
	ds_read_b128 v[88:91], v86 offset:1120
	v_mul_f64 v[16:17], v[16:17], v[28:29]
	v_fma_f64 v[14:15], v[14:15], v[22:23], -v[16:17]
	s_waitcnt lgkmcnt(1)
	v_mul_f64 v[94:95], v[2:3], v[38:39]
	v_mul_f64 v[12:13], v[12:13], v[30:31]
	v_fmac_f64_e32 v[94:95], v[4:5], v[40:41]
	v_add_f64 v[96:97], v[92:93], v[94:95]
	ds_read_b128 v[92:95], v86 offset:1136
	s_waitcnt lgkmcnt(1)
	v_mul_f64 v[98:99], v[88:89], v[34:35]
	v_fmac_f64_e32 v[98:99], v[90:91], v[36:37]
	v_add_f64 v[100:101], v[96:97], v[98:99]
	ds_read_b128 v[96:99], v86 offset:1152
	s_waitcnt lgkmcnt(1)
	v_mul_f64 v[102:103], v[92:93], v[46:47]
	s_waitcnt vmcnt(60)
	v_fmac_f64_e32 v[102:103], v[94:95], v[48:49]
	v_add_f64 v[104:105], v[100:101], v[102:103]
	ds_read_b128 v[100:103], v86 offset:1168
	s_waitcnt lgkmcnt(1)
	v_mul_f64 v[106:107], v[96:97], v[42:43]
	v_fmac_f64_e32 v[106:107], v[98:99], v[44:45]
	v_add_f64 v[108:109], v[104:105], v[106:107]
	ds_read_b128 v[104:107], v86 offset:1184
	s_waitcnt vmcnt(54) lgkmcnt(1)
	v_mul_f64 v[110:111], v[100:101], v[54:55]
	s_waitcnt vmcnt(52)
	v_fmac_f64_e32 v[110:111], v[102:103], v[56:57]
	v_add_f64 v[112:113], v[108:109], v[110:111]
	ds_read_b128 v[108:111], v86 offset:1200
	s_waitcnt lgkmcnt(1)
	v_mul_f64 v[114:115], v[104:105], v[50:51]
	v_fmac_f64_e32 v[114:115], v[106:107], v[52:53]
	v_add_f64 v[116:117], v[112:113], v[114:115]
	ds_read_b128 v[112:115], v86 offset:1216
	s_waitcnt vmcnt(46) lgkmcnt(1)
	v_mul_f64 v[118:119], v[108:109], v[62:63]
	s_waitcnt vmcnt(44)
	v_fmac_f64_e32 v[118:119], v[110:111], v[64:65]
	v_add_f64 v[120:121], v[116:117], v[118:119]
	ds_read_b128 v[116:119], v86 offset:1232
	s_waitcnt lgkmcnt(1)
	v_mul_f64 v[122:123], v[112:113], v[58:59]
	v_fmac_f64_e32 v[122:123], v[114:115], v[60:61]
	v_add_f64 v[14:15], v[14:15], 0
	v_fma_f64 v[10:11], v[10:11], v[24:25], -v[12:13]
	v_mul_f64 v[8:9], v[8:9], v[32:33]
	v_add_f64 v[124:125], v[120:121], v[122:123]
	ds_read_b128 v[120:123], v86 offset:1248
	v_add_f64 v[10:11], v[14:15], v[10:11]
	v_fma_f64 v[6:7], v[6:7], v[26:27], -v[8:9]
	v_mul_f64 v[4:5], v[4:5], v[38:39]
	v_add_f64 v[6:7], v[10:11], v[6:7]
	v_fma_f64 v[2:3], v[2:3], v[40:41], -v[4:5]
	v_mul_f64 v[4:5], v[90:91], v[34:35]
	v_add_f64 v[2:3], v[6:7], v[2:3]
	v_fma_f64 v[4:5], v[88:89], v[36:37], -v[4:5]
	s_waitcnt vmcnt(38) lgkmcnt(1)
	v_mul_f64 v[126:127], v[116:117], v[70:71]
	v_add_f64 v[2:3], v[2:3], v[4:5]
	v_mul_f64 v[4:5], v[94:95], v[46:47]
	s_waitcnt vmcnt(36)
	v_fmac_f64_e32 v[126:127], v[118:119], v[72:73]
	v_fma_f64 v[4:5], v[92:93], v[48:49], -v[4:5]
	v_add_f64 v[128:129], v[124:125], v[126:127]
	ds_read_b128 v[124:127], v86 offset:1264
	s_waitcnt lgkmcnt(1)
	v_mul_f64 v[130:131], v[120:121], v[66:67]
	v_add_f64 v[2:3], v[2:3], v[4:5]
	v_mul_f64 v[4:5], v[98:99], v[42:43]
	v_fmac_f64_e32 v[130:131], v[122:123], v[68:69]
	v_fma_f64 v[4:5], v[96:97], v[44:45], -v[4:5]
	v_add_f64 v[132:133], v[128:129], v[130:131]
	ds_read_b128 v[128:131], v86 offset:1280
	v_add_f64 v[2:3], v[2:3], v[4:5]
	v_mul_f64 v[4:5], v[102:103], v[54:55]
	v_fma_f64 v[4:5], v[100:101], v[56:57], -v[4:5]
	v_add_f64 v[2:3], v[2:3], v[4:5]
	v_mul_f64 v[4:5], v[106:107], v[50:51]
	s_waitcnt vmcnt(30) lgkmcnt(1)
	v_mul_f64 v[134:135], v[124:125], v[78:79]
	v_fma_f64 v[4:5], v[104:105], v[52:53], -v[4:5]
	s_waitcnt vmcnt(28)
	v_fmac_f64_e32 v[134:135], v[126:127], v[80:81]
	v_add_f64 v[2:3], v[2:3], v[4:5]
	v_mul_f64 v[4:5], v[110:111], v[62:63]
	v_add_f64 v[136:137], v[132:133], v[134:135]
	ds_read_b128 v[132:135], v86 offset:1296
	s_waitcnt lgkmcnt(1)
	v_mul_f64 v[138:139], v[128:129], v[74:75]
	v_fma_f64 v[4:5], v[108:109], v[64:65], -v[4:5]
	v_fmac_f64_e32 v[138:139], v[130:131], v[76:77]
	v_add_f64 v[2:3], v[2:3], v[4:5]
	v_mul_f64 v[4:5], v[114:115], v[58:59]
	v_add_f64 v[140:141], v[136:137], v[138:139]
	ds_read_b128 v[136:139], v86 offset:1312
	v_fma_f64 v[4:5], v[112:113], v[60:61], -v[4:5]
	v_add_f64 v[2:3], v[2:3], v[4:5]
	v_mul_f64 v[4:5], v[118:119], v[70:71]
	v_fma_f64 v[4:5], v[116:117], v[72:73], -v[4:5]
	s_waitcnt vmcnt(22) lgkmcnt(1)
	v_mul_f64 v[142:143], v[132:133], v[160:161]
	v_add_f64 v[2:3], v[2:3], v[4:5]
	v_mul_f64 v[4:5], v[122:123], v[66:67]
	s_waitcnt vmcnt(20)
	v_fmac_f64_e32 v[142:143], v[134:135], v[162:163]
	v_fma_f64 v[4:5], v[120:121], v[68:69], -v[4:5]
	v_add_f64 v[144:145], v[140:141], v[142:143]
	ds_read_b128 v[140:143], v86 offset:1328
	s_waitcnt lgkmcnt(1)
	v_mul_f64 v[146:147], v[136:137], v[82:83]
	v_add_f64 v[2:3], v[2:3], v[4:5]
	v_mul_f64 v[4:5], v[126:127], v[78:79]
	v_fmac_f64_e32 v[146:147], v[138:139], v[84:85]
	v_fma_f64 v[4:5], v[124:125], v[80:81], -v[4:5]
	v_add_f64 v[148:149], v[144:145], v[146:147]
	ds_read_b128 v[144:147], v86 offset:1344
	v_add_f64 v[2:3], v[2:3], v[4:5]
	v_mul_f64 v[4:5], v[130:131], v[74:75]
	v_fma_f64 v[4:5], v[128:129], v[76:77], -v[4:5]
	v_add_f64 v[2:3], v[2:3], v[4:5]
	v_mul_f64 v[4:5], v[134:135], v[160:161]
	s_waitcnt vmcnt(14) lgkmcnt(1)
	v_mul_f64 v[150:151], v[140:141], v[168:169]
	v_fma_f64 v[4:5], v[132:133], v[162:163], -v[4:5]
	s_waitcnt vmcnt(12)
	v_fmac_f64_e32 v[150:151], v[142:143], v[170:171]
	v_add_f64 v[2:3], v[2:3], v[4:5]
	v_mul_f64 v[4:5], v[138:139], v[82:83]
	v_add_f64 v[152:153], v[148:149], v[150:151]
	ds_read_b128 v[148:151], v86 offset:1360
	s_waitcnt lgkmcnt(1)
	v_mul_f64 v[154:155], v[144:145], v[164:165]
	v_fma_f64 v[4:5], v[136:137], v[84:85], -v[4:5]
	v_fmac_f64_e32 v[154:155], v[146:147], v[166:167]
	v_add_f64 v[2:3], v[2:3], v[4:5]
	v_mul_f64 v[4:5], v[142:143], v[168:169]
	v_add_f64 v[184:185], v[152:153], v[154:155]
	ds_read_b128 v[152:155], v86 offset:1376
	ds_read_b128 v[156:159], v86 offset:1392
	v_fma_f64 v[4:5], v[140:141], v[170:171], -v[4:5]
	v_add_f64 v[2:3], v[2:3], v[4:5]
	v_mul_f64 v[4:5], v[146:147], v[164:165]
	v_fma_f64 v[4:5], v[144:145], v[166:167], -v[4:5]
	v_add_f64 v[2:3], v[2:3], v[4:5]
	s_waitcnt vmcnt(6) lgkmcnt(2)
	v_mul_f64 v[4:5], v[150:151], v[176:177]
	v_mul_f64 v[186:187], v[148:149], v[176:177]
	s_waitcnt vmcnt(4)
	v_fma_f64 v[4:5], v[148:149], v[178:179], -v[4:5]
	v_fmac_f64_e32 v[186:187], v[150:151], v[178:179]
	v_add_f64 v[2:3], v[2:3], v[4:5]
	s_waitcnt lgkmcnt(1)
	v_mul_f64 v[4:5], v[154:155], v[172:173]
	v_add_f64 v[86:87], v[184:185], v[186:187]
	v_mul_f64 v[184:185], v[152:153], v[172:173]
	v_fma_f64 v[4:5], v[152:153], v[174:175], -v[4:5]
	v_fmac_f64_e32 v[184:185], v[154:155], v[174:175]
	v_add_f64 v[2:3], v[2:3], v[4:5]
	s_waitcnt vmcnt(2) lgkmcnt(0)
	v_mul_f64 v[4:5], v[158:159], v[180:181]
	v_add_f64 v[86:87], v[86:87], v[184:185]
	v_mul_f64 v[184:185], v[156:157], v[180:181]
	s_waitcnt vmcnt(0)
	v_fma_f64 v[4:5], v[156:157], v[182:183], -v[4:5]
	v_fmac_f64_e32 v[184:185], v[158:159], v[182:183]
	v_add_f64 v[2:3], v[2:3], v[4:5]
	v_add_f64 v[86:87], v[86:87], v[184:185]
	v_add_f64 v[2:3], v[20:21], -v[2:3]
	v_cmp_lt_u32_e32 vcc, 20, v255
	v_add_f64 v[4:5], v[18:19], -v[86:87]
	buffer_store_dword v3, off, s[0:3], 0 offset:356
	buffer_store_dword v2, off, s[0:3], 0 offset:352
	;; [unrolled: 1-line block ×4, first 2 shown]
	s_and_saveexec_b64 s[4:5], vcc
	s_cbranch_execz .LBB43_237
; %bb.236:
	v_accvgpr_read_b32 v0, a111
	buffer_load_dword v2, v0, s[0:3], 0 offen
	buffer_load_dword v3, v0, s[0:3], 0 offen offset:4
	buffer_load_dword v4, v0, s[0:3], 0 offen offset:8
	;; [unrolled: 1-line block ×3, first 2 shown]
	v_mov_b32_e32 v0, 0
	v_accvgpr_read_b32 v1, a132
	buffer_store_dword v0, off, s[0:3], 0 offset:336
	buffer_store_dword v0, off, s[0:3], 0 offset:340
	;; [unrolled: 1-line block ×4, first 2 shown]
	s_waitcnt vmcnt(4)
	ds_write_b128 v1, v[2:5]
.LBB43_237:
	s_or_b64 exec, exec, s[4:5]
	s_waitcnt lgkmcnt(0)
	; wave barrier
	s_waitcnt lgkmcnt(0)
	buffer_load_dword v9, off, s[0:3], 0 offset:364
	buffer_load_dword v6, off, s[0:3], 0 offset:376
	;; [unrolled: 1-line block ×64, first 2 shown]
	v_mov_b32_e32 v98, 0
	ds_read_b128 v[74:77], v98 offset:1040
	ds_read_b128 v[78:81], v98 offset:1056
	buffer_load_dword v67, off, s[0:3], 0 offset:620
	buffer_load_dword v66, off, s[0:3], 0 offset:616
	;; [unrolled: 1-line block ×8, first 2 shown]
	ds_read_b128 v[82:85], v98 offset:1072
	ds_read_b128 v[86:89], v98 offset:1088
	buffer_load_dword v169, off, s[0:3], 0 offset:652
	buffer_load_dword v168, off, s[0:3], 0 offset:648
	;; [unrolled: 1-line block ×24, first 2 shown]
	ds_read_b128 v[164:167], v98 offset:1392
	v_cmp_lt_u32_e32 vcc, 19, v255
	s_waitcnt vmcnt(62) lgkmcnt(1)
	v_mul_f64 v[96:97], v[86:87], v[22:23]
	v_fmac_f64_e32 v[96:97], v[88:89], v[24:25]
	v_mul_f64 v[92:93], v[78:79], v[6:7]
	v_mul_f64 v[90:91], v[74:75], v[8:9]
	;; [unrolled: 1-line block ×3, first 2 shown]
	v_fmac_f64_e32 v[90:91], v[76:77], v[10:11]
	v_add_f64 v[90:91], v[90:91], 0
	v_fma_f64 v[8:9], v[74:75], v[10:11], -v[8:9]
	v_mul_f64 v[6:7], v[80:81], v[6:7]
	v_add_f64 v[8:9], v[8:9], 0
	v_fmac_f64_e32 v[92:93], v[80:81], v[14:15]
	v_add_f64 v[90:91], v[90:91], v[92:93]
	v_mul_f64 v[92:93], v[82:83], v[16:17]
	v_fmac_f64_e32 v[92:93], v[84:85], v[12:13]
	v_add_f64 v[94:95], v[90:91], v[92:93]
	ds_read_b128 v[90:93], v98 offset:1104
	v_add_f64 v[100:101], v[94:95], v[96:97]
	ds_read_b128 v[94:97], v98 offset:1120
	v_fma_f64 v[6:7], v[78:79], v[14:15], -v[6:7]
	v_add_f64 v[6:7], v[8:9], v[6:7]
	s_waitcnt lgkmcnt(1)
	v_mul_f64 v[102:103], v[90:91], v[18:19]
	v_fmac_f64_e32 v[102:103], v[92:93], v[20:21]
	v_add_f64 v[104:105], v[100:101], v[102:103]
	ds_read_b128 v[100:103], v98 offset:1136
	s_waitcnt lgkmcnt(1)
	v_mul_f64 v[106:107], v[94:95], v[30:31]
	v_fmac_f64_e32 v[106:107], v[96:97], v[32:33]
	v_add_f64 v[108:109], v[104:105], v[106:107]
	ds_read_b128 v[104:107], v98 offset:1152
	;; [unrolled: 5-line block ×3, first 2 shown]
	s_waitcnt vmcnt(58) lgkmcnt(1)
	v_mul_f64 v[114:115], v[104:105], v[38:39]
	s_waitcnt vmcnt(56)
	v_fmac_f64_e32 v[114:115], v[106:107], v[40:41]
	v_add_f64 v[116:117], v[112:113], v[114:115]
	ds_read_b128 v[112:115], v98 offset:1184
	s_waitcnt lgkmcnt(1)
	v_mul_f64 v[118:119], v[108:109], v[34:35]
	v_fmac_f64_e32 v[118:119], v[110:111], v[36:37]
	v_add_f64 v[120:121], v[116:117], v[118:119]
	ds_read_b128 v[116:119], v98 offset:1200
	s_waitcnt vmcnt(50) lgkmcnt(1)
	v_mul_f64 v[122:123], v[112:113], v[46:47]
	s_waitcnt vmcnt(48)
	v_fmac_f64_e32 v[122:123], v[114:115], v[48:49]
	v_add_f64 v[124:125], v[120:121], v[122:123]
	ds_read_b128 v[120:123], v98 offset:1216
	v_mul_f64 v[8:9], v[84:85], v[16:17]
	s_waitcnt lgkmcnt(1)
	v_mul_f64 v[126:127], v[116:117], v[42:43]
	v_fma_f64 v[8:9], v[82:83], v[12:13], -v[8:9]
	v_fmac_f64_e32 v[126:127], v[118:119], v[44:45]
	v_add_f64 v[6:7], v[6:7], v[8:9]
	v_mul_f64 v[8:9], v[88:89], v[22:23]
	v_add_f64 v[128:129], v[124:125], v[126:127]
	ds_read_b128 v[124:127], v98 offset:1232
	s_waitcnt vmcnt(42) lgkmcnt(1)
	v_mul_f64 v[130:131], v[120:121], v[54:55]
	v_fma_f64 v[8:9], v[86:87], v[24:25], -v[8:9]
	s_waitcnt vmcnt(40)
	v_fmac_f64_e32 v[130:131], v[122:123], v[56:57]
	v_add_f64 v[6:7], v[6:7], v[8:9]
	v_mul_f64 v[8:9], v[92:93], v[18:19]
	v_add_f64 v[132:133], v[128:129], v[130:131]
	ds_read_b128 v[128:131], v98 offset:1248
	v_fma_f64 v[8:9], v[90:91], v[20:21], -v[8:9]
	v_add_f64 v[6:7], v[6:7], v[8:9]
	v_mul_f64 v[8:9], v[96:97], v[30:31]
	v_fma_f64 v[8:9], v[94:95], v[32:33], -v[8:9]
	s_waitcnt lgkmcnt(1)
	v_mul_f64 v[134:135], v[124:125], v[50:51]
	v_add_f64 v[6:7], v[6:7], v[8:9]
	v_mul_f64 v[8:9], v[102:103], v[26:27]
	v_fmac_f64_e32 v[134:135], v[126:127], v[52:53]
	v_fma_f64 v[8:9], v[100:101], v[28:29], -v[8:9]
	v_add_f64 v[136:137], v[132:133], v[134:135]
	ds_read_b128 v[132:135], v98 offset:1264
	s_waitcnt vmcnt(34) lgkmcnt(1)
	v_mul_f64 v[138:139], v[128:129], v[62:63]
	v_add_f64 v[6:7], v[6:7], v[8:9]
	v_mul_f64 v[8:9], v[106:107], v[38:39]
	s_waitcnt vmcnt(32)
	v_fmac_f64_e32 v[138:139], v[130:131], v[64:65]
	v_fma_f64 v[8:9], v[104:105], v[40:41], -v[8:9]
	v_add_f64 v[140:141], v[136:137], v[138:139]
	ds_read_b128 v[136:139], v98 offset:1280
	v_add_f64 v[6:7], v[6:7], v[8:9]
	v_mul_f64 v[8:9], v[110:111], v[34:35]
	v_fma_f64 v[8:9], v[108:109], v[36:37], -v[8:9]
	v_add_f64 v[6:7], v[6:7], v[8:9]
	v_mul_f64 v[8:9], v[114:115], v[46:47]
	s_waitcnt lgkmcnt(1)
	v_mul_f64 v[142:143], v[132:133], v[58:59]
	v_fma_f64 v[8:9], v[112:113], v[48:49], -v[8:9]
	v_fmac_f64_e32 v[142:143], v[134:135], v[60:61]
	v_add_f64 v[6:7], v[6:7], v[8:9]
	v_mul_f64 v[8:9], v[118:119], v[42:43]
	v_add_f64 v[144:145], v[140:141], v[142:143]
	ds_read_b128 v[140:143], v98 offset:1296
	s_waitcnt vmcnt(26) lgkmcnt(1)
	v_mul_f64 v[146:147], v[136:137], v[70:71]
	v_fma_f64 v[8:9], v[116:117], v[44:45], -v[8:9]
	s_waitcnt vmcnt(24)
	v_fmac_f64_e32 v[146:147], v[138:139], v[72:73]
	v_add_f64 v[6:7], v[6:7], v[8:9]
	v_mul_f64 v[8:9], v[122:123], v[54:55]
	v_add_f64 v[148:149], v[144:145], v[146:147]
	ds_read_b128 v[144:147], v98 offset:1312
	v_fma_f64 v[8:9], v[120:121], v[56:57], -v[8:9]
	v_add_f64 v[6:7], v[6:7], v[8:9]
	v_mul_f64 v[8:9], v[126:127], v[50:51]
	v_fma_f64 v[8:9], v[124:125], v[52:53], -v[8:9]
	s_waitcnt lgkmcnt(1)
	v_mul_f64 v[150:151], v[140:141], v[66:67]
	v_add_f64 v[6:7], v[6:7], v[8:9]
	v_mul_f64 v[8:9], v[130:131], v[62:63]
	v_fmac_f64_e32 v[150:151], v[142:143], v[68:69]
	v_fma_f64 v[8:9], v[128:129], v[64:65], -v[8:9]
	v_add_f64 v[152:153], v[148:149], v[150:151]
	ds_read_b128 v[148:151], v98 offset:1328
	s_waitcnt vmcnt(18) lgkmcnt(1)
	v_mul_f64 v[154:155], v[144:145], v[172:173]
	v_add_f64 v[6:7], v[6:7], v[8:9]
	v_mul_f64 v[8:9], v[134:135], v[58:59]
	s_waitcnt vmcnt(16)
	v_fmac_f64_e32 v[154:155], v[146:147], v[174:175]
	v_fma_f64 v[8:9], v[132:133], v[60:61], -v[8:9]
	v_add_f64 v[156:157], v[152:153], v[154:155]
	ds_read_b128 v[152:155], v98 offset:1344
	v_add_f64 v[6:7], v[6:7], v[8:9]
	v_mul_f64 v[8:9], v[138:139], v[70:71]
	v_fma_f64 v[8:9], v[136:137], v[72:73], -v[8:9]
	v_add_f64 v[6:7], v[6:7], v[8:9]
	v_mul_f64 v[8:9], v[142:143], v[66:67]
	s_waitcnt lgkmcnt(1)
	v_mul_f64 v[158:159], v[148:149], v[168:169]
	v_fma_f64 v[8:9], v[140:141], v[68:69], -v[8:9]
	v_fmac_f64_e32 v[158:159], v[150:151], v[170:171]
	v_add_f64 v[6:7], v[6:7], v[8:9]
	v_mul_f64 v[8:9], v[146:147], v[172:173]
	v_add_f64 v[160:161], v[156:157], v[158:159]
	ds_read_b128 v[156:159], v98 offset:1360
	s_waitcnt vmcnt(10) lgkmcnt(1)
	v_mul_f64 v[162:163], v[152:153], v[180:181]
	v_fma_f64 v[8:9], v[144:145], v[174:175], -v[8:9]
	s_waitcnt vmcnt(8)
	v_fmac_f64_e32 v[162:163], v[154:155], v[182:183]
	v_add_f64 v[6:7], v[6:7], v[8:9]
	v_mul_f64 v[8:9], v[150:151], v[168:169]
	v_add_f64 v[192:193], v[160:161], v[162:163]
	ds_read_b128 v[160:163], v98 offset:1376
	v_fma_f64 v[8:9], v[148:149], v[170:171], -v[8:9]
	v_add_f64 v[6:7], v[6:7], v[8:9]
	v_mul_f64 v[8:9], v[154:155], v[180:181]
	v_fma_f64 v[8:9], v[152:153], v[182:183], -v[8:9]
	v_add_f64 v[6:7], v[6:7], v[8:9]
	s_waitcnt lgkmcnt(1)
	v_mul_f64 v[8:9], v[158:159], v[176:177]
	v_mul_f64 v[194:195], v[156:157], v[176:177]
	v_fma_f64 v[8:9], v[156:157], v[178:179], -v[8:9]
	v_fmac_f64_e32 v[194:195], v[158:159], v[178:179]
	v_add_f64 v[6:7], v[6:7], v[8:9]
	s_waitcnt vmcnt(2) lgkmcnt(0)
	v_mul_f64 v[8:9], v[162:163], v[188:189]
	v_add_f64 v[192:193], v[192:193], v[194:195]
	v_mul_f64 v[194:195], v[160:161], v[188:189]
	s_waitcnt vmcnt(0)
	v_fma_f64 v[8:9], v[160:161], v[190:191], -v[8:9]
	v_fmac_f64_e32 v[194:195], v[162:163], v[190:191]
	v_add_f64 v[6:7], v[6:7], v[8:9]
	v_mul_f64 v[8:9], v[166:167], v[184:185]
	v_add_f64 v[192:193], v[192:193], v[194:195]
	v_mul_f64 v[194:195], v[164:165], v[184:185]
	v_fma_f64 v[8:9], v[164:165], v[186:187], -v[8:9]
	v_fmac_f64_e32 v[194:195], v[166:167], v[186:187]
	v_add_f64 v[6:7], v[6:7], v[8:9]
	v_add_f64 v[192:193], v[192:193], v[194:195]
	v_add_f64 v[4:5], v[4:5], -v[6:7]
	v_add_f64 v[2:3], v[2:3], -v[192:193]
	buffer_store_dword v5, off, s[0:3], 0 offset:340
	buffer_store_dword v4, off, s[0:3], 0 offset:336
	;; [unrolled: 1-line block ×4, first 2 shown]
	s_and_saveexec_b64 s[4:5], vcc
	s_cbranch_execz .LBB43_239
; %bb.238:
	v_accvgpr_read_b32 v0, a112
	buffer_load_dword v2, v0, s[0:3], 0 offen
	buffer_load_dword v3, v0, s[0:3], 0 offen offset:4
	buffer_load_dword v4, v0, s[0:3], 0 offen offset:8
	buffer_load_dword v5, v0, s[0:3], 0 offen offset:12
	v_accvgpr_read_b32 v0, a132
	buffer_store_dword v98, off, s[0:3], 0 offset:320
	buffer_store_dword v98, off, s[0:3], 0 offset:324
	;; [unrolled: 1-line block ×4, first 2 shown]
	s_waitcnt vmcnt(4)
	ds_write_b128 v0, v[2:5]
.LBB43_239:
	s_or_b64 exec, exec, s[4:5]
	s_waitcnt lgkmcnt(0)
	; wave barrier
	s_waitcnt lgkmcnt(0)
	buffer_load_dword v22, off, s[0:3], 0 offset:336
	buffer_load_dword v23, off, s[0:3], 0 offset:340
	;; [unrolled: 1-line block ×16, first 2 shown]
	ds_read_b128 v[2:5], v98 offset:1024
	ds_read_b128 v[6:9], v98 offset:1040
	;; [unrolled: 1-line block ×4, first 2 shown]
	buffer_load_dword v35, off, s[0:3], 0 offset:412
	buffer_load_dword v34, off, s[0:3], 0 offset:408
	;; [unrolled: 1-line block ×48, first 2 shown]
	v_cmp_lt_u32_e32 vcc, 18, v255
	s_waitcnt vmcnt(42) lgkmcnt(0)
	v_mul_f64 v[106:107], v[14:15], v[38:39]
	s_waitcnt vmcnt(40)
	v_fmac_f64_e32 v[106:107], v[16:17], v[40:41]
	v_mul_f64 v[82:83], v[2:3], v[24:25]
	v_fmac_f64_e32 v[82:83], v[4:5], v[22:23]
	v_add_f64 v[82:83], v[82:83], 0
	v_mul_f64 v[4:5], v[4:5], v[24:25]
	v_mul_f64 v[84:85], v[6:7], v[32:33]
	v_fma_f64 v[2:3], v[2:3], v[22:23], -v[4:5]
	v_mul_f64 v[100:101], v[10:11], v[26:27]
	v_fmac_f64_e32 v[100:101], v[12:13], v[30:31]
	v_fmac_f64_e32 v[84:85], v[8:9], v[28:29]
	v_add_f64 v[102:103], v[82:83], v[84:85]
	buffer_load_dword v83, off, s[0:3], 0 offset:604
	buffer_load_dword v82, off, s[0:3], 0 offset:600
	;; [unrolled: 1-line block ×32, first 2 shown]
	v_add_f64 v[104:105], v[102:103], v[100:101]
	ds_read_b128 v[100:103], v98 offset:1088
	buffer_load_dword v197, off, s[0:3], 0 offset:716
	buffer_load_dword v196, off, s[0:3], 0 offset:712
	;; [unrolled: 1-line block ×4, first 2 shown]
	v_add_f64 v[108:109], v[104:105], v[106:107]
	ds_read_b128 v[104:107], v98 offset:1104
	v_mul_f64 v[4:5], v[8:9], v[32:33]
	s_waitcnt lgkmcnt(1)
	v_mul_f64 v[110:111], v[100:101], v[34:35]
	v_fmac_f64_e32 v[110:111], v[102:103], v[36:37]
	v_add_f64 v[112:113], v[108:109], v[110:111]
	ds_read_b128 v[108:111], v98 offset:1120
	s_waitcnt vmcnt(62) lgkmcnt(1)
	v_mul_f64 v[114:115], v[104:105], v[46:47]
	v_fmac_f64_e32 v[114:115], v[106:107], v[48:49]
	v_add_f64 v[116:117], v[112:113], v[114:115]
	ds_read_b128 v[112:115], v98 offset:1136
	s_waitcnt lgkmcnt(1)
	v_mul_f64 v[118:119], v[108:109], v[42:43]
	v_fmac_f64_e32 v[118:119], v[110:111], v[44:45]
	v_add_f64 v[120:121], v[116:117], v[118:119]
	ds_read_b128 v[116:119], v98 offset:1152
	s_waitcnt lgkmcnt(1)
	v_mul_f64 v[122:123], v[112:113], v[54:55]
	s_waitcnt vmcnt(60)
	v_fmac_f64_e32 v[122:123], v[114:115], v[56:57]
	v_add_f64 v[124:125], v[120:121], v[122:123]
	ds_read_b128 v[120:123], v98 offset:1168
	s_waitcnt lgkmcnt(1)
	v_mul_f64 v[126:127], v[116:117], v[50:51]
	v_fmac_f64_e32 v[126:127], v[118:119], v[52:53]
	v_add_f64 v[128:129], v[124:125], v[126:127]
	ds_read_b128 v[124:127], v98 offset:1184
	s_waitcnt vmcnt(54) lgkmcnt(1)
	v_mul_f64 v[130:131], v[120:121], v[62:63]
	s_waitcnt vmcnt(52)
	v_fmac_f64_e32 v[130:131], v[122:123], v[64:65]
	v_add_f64 v[132:133], v[128:129], v[130:131]
	ds_read_b128 v[128:131], v98 offset:1200
	s_waitcnt lgkmcnt(1)
	v_mul_f64 v[134:135], v[124:125], v[58:59]
	v_fmac_f64_e32 v[134:135], v[126:127], v[60:61]
	v_add_f64 v[2:3], v[2:3], 0
	v_fma_f64 v[4:5], v[6:7], v[28:29], -v[4:5]
	v_add_f64 v[136:137], v[132:133], v[134:135]
	ds_read_b128 v[132:135], v98 offset:1216
	v_add_f64 v[2:3], v[2:3], v[4:5]
	v_mul_f64 v[4:5], v[12:13], v[26:27]
	v_fma_f64 v[4:5], v[10:11], v[30:31], -v[4:5]
	v_add_f64 v[2:3], v[2:3], v[4:5]
	v_mul_f64 v[4:5], v[16:17], v[38:39]
	s_waitcnt vmcnt(46) lgkmcnt(1)
	v_mul_f64 v[138:139], v[128:129], v[70:71]
	v_fma_f64 v[4:5], v[14:15], v[40:41], -v[4:5]
	s_waitcnt vmcnt(44)
	v_fmac_f64_e32 v[138:139], v[130:131], v[72:73]
	v_add_f64 v[2:3], v[2:3], v[4:5]
	v_mul_f64 v[4:5], v[102:103], v[34:35]
	v_add_f64 v[140:141], v[136:137], v[138:139]
	ds_read_b128 v[136:139], v98 offset:1232
	s_waitcnt lgkmcnt(1)
	v_mul_f64 v[142:143], v[132:133], v[66:67]
	v_fma_f64 v[4:5], v[100:101], v[36:37], -v[4:5]
	v_fmac_f64_e32 v[142:143], v[134:135], v[68:69]
	v_add_f64 v[2:3], v[2:3], v[4:5]
	v_mul_f64 v[4:5], v[106:107], v[46:47]
	v_add_f64 v[144:145], v[140:141], v[142:143]
	ds_read_b128 v[140:143], v98 offset:1248
	v_fma_f64 v[4:5], v[104:105], v[48:49], -v[4:5]
	v_add_f64 v[2:3], v[2:3], v[4:5]
	v_mul_f64 v[4:5], v[110:111], v[42:43]
	v_fma_f64 v[4:5], v[108:109], v[44:45], -v[4:5]
	s_waitcnt vmcnt(38) lgkmcnt(1)
	v_mul_f64 v[146:147], v[136:137], v[78:79]
	v_add_f64 v[2:3], v[2:3], v[4:5]
	v_mul_f64 v[4:5], v[114:115], v[54:55]
	s_waitcnt vmcnt(36)
	v_fmac_f64_e32 v[146:147], v[138:139], v[80:81]
	v_fma_f64 v[4:5], v[112:113], v[56:57], -v[4:5]
	v_add_f64 v[148:149], v[144:145], v[146:147]
	ds_read_b128 v[144:147], v98 offset:1264
	s_waitcnt lgkmcnt(1)
	v_mul_f64 v[150:151], v[140:141], v[74:75]
	v_add_f64 v[2:3], v[2:3], v[4:5]
	v_mul_f64 v[4:5], v[118:119], v[50:51]
	v_fmac_f64_e32 v[150:151], v[142:143], v[76:77]
	v_fma_f64 v[4:5], v[116:117], v[52:53], -v[4:5]
	v_add_f64 v[152:153], v[148:149], v[150:151]
	ds_read_b128 v[148:151], v98 offset:1280
	v_add_f64 v[2:3], v[2:3], v[4:5]
	v_mul_f64 v[4:5], v[122:123], v[62:63]
	v_fma_f64 v[4:5], v[120:121], v[64:65], -v[4:5]
	v_add_f64 v[2:3], v[2:3], v[4:5]
	v_mul_f64 v[4:5], v[126:127], v[58:59]
	s_waitcnt vmcnt(30) lgkmcnt(1)
	v_mul_f64 v[154:155], v[144:145], v[86:87]
	v_fma_f64 v[4:5], v[124:125], v[60:61], -v[4:5]
	s_waitcnt vmcnt(28)
	v_fmac_f64_e32 v[154:155], v[146:147], v[88:89]
	v_add_f64 v[2:3], v[2:3], v[4:5]
	v_mul_f64 v[4:5], v[130:131], v[70:71]
	v_add_f64 v[156:157], v[152:153], v[154:155]
	ds_read_b128 v[152:155], v98 offset:1296
	s_waitcnt lgkmcnt(1)
	v_mul_f64 v[158:159], v[148:149], v[82:83]
	v_fma_f64 v[4:5], v[128:129], v[72:73], -v[4:5]
	v_fmac_f64_e32 v[158:159], v[150:151], v[84:85]
	v_add_f64 v[2:3], v[2:3], v[4:5]
	v_mul_f64 v[4:5], v[134:135], v[66:67]
	v_add_f64 v[160:161], v[156:157], v[158:159]
	ds_read_b128 v[156:159], v98 offset:1312
	v_fma_f64 v[4:5], v[132:133], v[68:69], -v[4:5]
	v_add_f64 v[2:3], v[2:3], v[4:5]
	v_mul_f64 v[4:5], v[138:139], v[78:79]
	v_fma_f64 v[4:5], v[136:137], v[80:81], -v[4:5]
	s_waitcnt vmcnt(22) lgkmcnt(1)
	v_mul_f64 v[162:163], v[152:153], v[94:95]
	v_add_f64 v[2:3], v[2:3], v[4:5]
	v_mul_f64 v[4:5], v[142:143], v[74:75]
	s_waitcnt vmcnt(20)
	v_fmac_f64_e32 v[162:163], v[154:155], v[96:97]
	v_fma_f64 v[4:5], v[140:141], v[76:77], -v[4:5]
	v_add_f64 v[164:165], v[160:161], v[162:163]
	ds_read_b128 v[160:163], v98 offset:1328
	s_waitcnt lgkmcnt(1)
	v_mul_f64 v[166:167], v[156:157], v[90:91]
	v_add_f64 v[2:3], v[2:3], v[4:5]
	v_mul_f64 v[4:5], v[146:147], v[86:87]
	v_fmac_f64_e32 v[166:167], v[158:159], v[92:93]
	v_fma_f64 v[4:5], v[144:145], v[88:89], -v[4:5]
	v_add_f64 v[168:169], v[164:165], v[166:167]
	ds_read_b128 v[164:167], v98 offset:1344
	v_add_f64 v[2:3], v[2:3], v[4:5]
	v_mul_f64 v[4:5], v[150:151], v[82:83]
	v_fma_f64 v[4:5], v[148:149], v[84:85], -v[4:5]
	v_add_f64 v[2:3], v[2:3], v[4:5]
	v_mul_f64 v[4:5], v[154:155], v[94:95]
	s_waitcnt vmcnt(14) lgkmcnt(1)
	v_mul_f64 v[170:171], v[160:161], v[184:185]
	v_fma_f64 v[4:5], v[152:153], v[96:97], -v[4:5]
	s_waitcnt vmcnt(12)
	v_fmac_f64_e32 v[170:171], v[162:163], v[186:187]
	v_add_f64 v[2:3], v[2:3], v[4:5]
	v_mul_f64 v[4:5], v[158:159], v[90:91]
	v_add_f64 v[172:173], v[168:169], v[170:171]
	ds_read_b128 v[168:171], v98 offset:1360
	s_waitcnt lgkmcnt(1)
	v_mul_f64 v[174:175], v[164:165], v[180:181]
	v_fma_f64 v[4:5], v[156:157], v[92:93], -v[4:5]
	v_fmac_f64_e32 v[174:175], v[166:167], v[182:183]
	v_add_f64 v[2:3], v[2:3], v[4:5]
	v_mul_f64 v[4:5], v[162:163], v[184:185]
	v_add_f64 v[200:201], v[172:173], v[174:175]
	ds_read_b128 v[172:175], v98 offset:1376
	v_fma_f64 v[4:5], v[160:161], v[186:187], -v[4:5]
	v_add_f64 v[2:3], v[2:3], v[4:5]
	v_mul_f64 v[4:5], v[166:167], v[180:181]
	ds_read_b128 v[176:179], v98 offset:1392
	v_fma_f64 v[4:5], v[164:165], v[182:183], -v[4:5]
	v_add_f64 v[2:3], v[2:3], v[4:5]
	s_waitcnt vmcnt(6) lgkmcnt(2)
	v_mul_f64 v[4:5], v[170:171], v[192:193]
	v_mul_f64 v[202:203], v[168:169], v[192:193]
	s_waitcnt vmcnt(4)
	v_fma_f64 v[4:5], v[168:169], v[194:195], -v[4:5]
	v_fmac_f64_e32 v[202:203], v[170:171], v[194:195]
	v_add_f64 v[2:3], v[2:3], v[4:5]
	s_waitcnt lgkmcnt(1)
	v_mul_f64 v[4:5], v[174:175], v[188:189]
	v_add_f64 v[98:99], v[200:201], v[202:203]
	v_mul_f64 v[200:201], v[172:173], v[188:189]
	v_fma_f64 v[4:5], v[172:173], v[190:191], -v[4:5]
	v_fmac_f64_e32 v[200:201], v[174:175], v[190:191]
	v_add_f64 v[2:3], v[2:3], v[4:5]
	s_waitcnt vmcnt(2) lgkmcnt(0)
	v_mul_f64 v[4:5], v[178:179], v[196:197]
	v_add_f64 v[98:99], v[98:99], v[200:201]
	v_mul_f64 v[200:201], v[176:177], v[196:197]
	s_waitcnt vmcnt(0)
	v_fma_f64 v[4:5], v[176:177], v[198:199], -v[4:5]
	v_fmac_f64_e32 v[200:201], v[178:179], v[198:199]
	v_add_f64 v[2:3], v[2:3], v[4:5]
	v_add_f64 v[98:99], v[98:99], v[200:201]
	v_add_f64 v[2:3], v[20:21], -v[2:3]
	v_add_f64 v[4:5], v[18:19], -v[98:99]
	buffer_store_dword v3, off, s[0:3], 0 offset:324
	buffer_store_dword v2, off, s[0:3], 0 offset:320
	buffer_store_dword v5, off, s[0:3], 0 offset:332
	buffer_store_dword v4, off, s[0:3], 0 offset:328
	s_and_saveexec_b64 s[4:5], vcc
	s_cbranch_execz .LBB43_241
; %bb.240:
	v_accvgpr_read_b32 v0, a113
	buffer_load_dword v2, v0, s[0:3], 0 offen
	buffer_load_dword v3, v0, s[0:3], 0 offen offset:4
	buffer_load_dword v4, v0, s[0:3], 0 offen offset:8
	;; [unrolled: 1-line block ×3, first 2 shown]
	v_mov_b32_e32 v0, 0
	v_accvgpr_read_b32 v1, a132
	buffer_store_dword v0, off, s[0:3], 0 offset:304
	buffer_store_dword v0, off, s[0:3], 0 offset:308
	;; [unrolled: 1-line block ×4, first 2 shown]
	s_waitcnt vmcnt(4)
	ds_write_b128 v1, v[2:5]
.LBB43_241:
	s_or_b64 exec, exec, s[4:5]
	s_waitcnt lgkmcnt(0)
	; wave barrier
	s_waitcnt lgkmcnt(0)
	buffer_load_dword v22, off, s[0:3], 0 offset:320
	buffer_load_dword v23, off, s[0:3], 0 offset:324
	buffer_load_dword v26, off, s[0:3], 0 offset:328
	buffer_load_dword v27, off, s[0:3], 0 offset:332
	buffer_load_dword v24, off, s[0:3], 0 offset:336
	buffer_load_dword v25, off, s[0:3], 0 offset:340
	buffer_load_dword v28, off, s[0:3], 0 offset:344
	buffer_load_dword v29, off, s[0:3], 0 offset:348
	buffer_load_dword v30, off, s[0:3], 0 offset:360
	buffer_load_dword v31, off, s[0:3], 0 offset:364
	buffer_load_dword v37, off, s[0:3], 0 offset:396
	buffer_load_dword v39, off, s[0:3], 0 offset:388
	buffer_load_dword v41, off, s[0:3], 0 offset:380
	buffer_load_dword v40, off, s[0:3], 0 offset:376
	buffer_load_dword v44, off, s[0:3], 0 offset:352
	buffer_load_dword v45, off, s[0:3], 0 offset:356
	buffer_load_dword v43, off, s[0:3], 0 offset:372
	buffer_load_dword v42, off, s[0:3], 0 offset:368
	buffer_load_dword v36, off, s[0:3], 0 offset:392
	buffer_load_dword v38, off, s[0:3], 0 offset:384
	buffer_load_dword v34, off, s[0:3], 0 offset:304
	buffer_load_dword v35, off, s[0:3], 0 offset:308
	buffer_load_dword v32, off, s[0:3], 0 offset:312
	buffer_load_dword v33, off, s[0:3], 0 offset:316
	buffer_load_dword v47, off, s[0:3], 0 offset:428
	buffer_load_dword v46, off, s[0:3], 0 offset:424
	buffer_load_dword v49, off, s[0:3], 0 offset:420
	buffer_load_dword v48, off, s[0:3], 0 offset:416
	buffer_load_dword v51, off, s[0:3], 0 offset:412
	buffer_load_dword v50, off, s[0:3], 0 offset:408
	buffer_load_dword v53, off, s[0:3], 0 offset:404
	buffer_load_dword v52, off, s[0:3], 0 offset:400
	buffer_load_dword v55, off, s[0:3], 0 offset:460
	buffer_load_dword v54, off, s[0:3], 0 offset:456
	buffer_load_dword v57, off, s[0:3], 0 offset:452
	buffer_load_dword v56, off, s[0:3], 0 offset:448
	buffer_load_dword v59, off, s[0:3], 0 offset:444
	buffer_load_dword v58, off, s[0:3], 0 offset:440
	buffer_load_dword v61, off, s[0:3], 0 offset:436
	buffer_load_dword v60, off, s[0:3], 0 offset:432
	buffer_load_dword v63, off, s[0:3], 0 offset:492
	buffer_load_dword v62, off, s[0:3], 0 offset:488
	buffer_load_dword v65, off, s[0:3], 0 offset:484
	buffer_load_dword v64, off, s[0:3], 0 offset:480
	buffer_load_dword v67, off, s[0:3], 0 offset:476
	buffer_load_dword v66, off, s[0:3], 0 offset:472
	buffer_load_dword v69, off, s[0:3], 0 offset:468
	buffer_load_dword v68, off, s[0:3], 0 offset:464
	buffer_load_dword v71, off, s[0:3], 0 offset:524
	buffer_load_dword v70, off, s[0:3], 0 offset:520
	buffer_load_dword v73, off, s[0:3], 0 offset:516
	buffer_load_dword v72, off, s[0:3], 0 offset:512
	buffer_load_dword v75, off, s[0:3], 0 offset:508
	buffer_load_dword v74, off, s[0:3], 0 offset:504
	buffer_load_dword v77, off, s[0:3], 0 offset:500
	buffer_load_dword v76, off, s[0:3], 0 offset:496
	buffer_load_dword v79, off, s[0:3], 0 offset:556
	buffer_load_dword v78, off, s[0:3], 0 offset:552
	buffer_load_dword v81, off, s[0:3], 0 offset:548
	buffer_load_dword v80, off, s[0:3], 0 offset:544
	buffer_load_dword v83, off, s[0:3], 0 offset:540
	buffer_load_dword v82, off, s[0:3], 0 offset:536
	buffer_load_dword v85, off, s[0:3], 0 offset:532
	buffer_load_dword v84, off, s[0:3], 0 offset:528
	v_mov_b32_e32 v114, 0
	ds_read_b128 v[18:21], v114 offset:1008
	ds_read_b128 v[14:17], v114 offset:1024
	;; [unrolled: 1-line block ×5, first 2 shown]
	v_cmp_lt_u32_e32 vcc, 17, v255
	s_waitcnt vmcnt(60) lgkmcnt(4)
	v_mul_f64 v[86:87], v[18:19], v[26:27]
	v_fmac_f64_e32 v[86:87], v[20:21], v[22:23]
	v_add_f64 v[86:87], v[86:87], 0
	v_mul_f64 v[20:21], v[20:21], v[26:27]
	s_waitcnt vmcnt(56) lgkmcnt(3)
	v_mul_f64 v[88:89], v[14:15], v[28:29]
	v_fmac_f64_e32 v[88:89], v[16:17], v[24:25]
	s_waitcnt vmcnt(54) lgkmcnt(2)
	v_mul_f64 v[90:91], v[10:11], v[30:31]
	v_add_f64 v[86:87], v[86:87], v[88:89]
	v_fma_f64 v[18:19], v[18:19], v[22:23], -v[20:21]
	v_mul_f64 v[16:17], v[16:17], v[28:29]
	s_waitcnt vmcnt(50) lgkmcnt(1)
	v_mul_f64 v[102:103], v[6:7], v[40:41]
	v_add_f64 v[18:19], v[18:19], 0
	s_waitcnt vmcnt(48)
	v_fmac_f64_e32 v[90:91], v[12:13], v[44:45]
	v_add_f64 v[104:105], v[86:87], v[90:91]
	buffer_load_dword v87, off, s[0:3], 0 offset:588
	buffer_load_dword v86, off, s[0:3], 0 offset:584
	;; [unrolled: 1-line block ×40, first 2 shown]
	s_waitcnt vmcnt(62)
	v_fmac_f64_e32 v[102:103], v[8:9], v[42:43]
	v_add_f64 v[106:107], v[104:105], v[102:103]
	ds_read_b128 v[102:105], v114 offset:1088
	s_waitcnt lgkmcnt(1)
	v_mul_f64 v[108:109], v[2:3], v[36:37]
	v_fmac_f64_e32 v[108:109], v[4:5], v[38:39]
	v_add_f64 v[110:111], v[106:107], v[108:109]
	ds_read_b128 v[106:109], v114 offset:1104
	s_waitcnt lgkmcnt(1)
	v_mul_f64 v[112:113], v[102:103], v[50:51]
	;; [unrolled: 5-line block ×5, first 2 shown]
	v_fmac_f64_e32 v[126:127], v[118:119], v[56:57]
	v_add_f64 v[128:129], v[124:125], v[126:127]
	ds_read_b128 v[124:127], v114 offset:1168
	s_waitcnt vmcnt(58) lgkmcnt(1)
	v_mul_f64 v[130:131], v[120:121], v[66:67]
	s_waitcnt vmcnt(56)
	v_fmac_f64_e32 v[130:131], v[122:123], v[68:69]
	v_add_f64 v[132:133], v[128:129], v[130:131]
	ds_read_b128 v[128:131], v114 offset:1184
	s_waitcnt lgkmcnt(1)
	v_mul_f64 v[134:135], v[124:125], v[62:63]
	v_fmac_f64_e32 v[134:135], v[126:127], v[64:65]
	v_add_f64 v[136:137], v[132:133], v[134:135]
	ds_read_b128 v[132:135], v114 offset:1200
	s_waitcnt vmcnt(50) lgkmcnt(1)
	v_mul_f64 v[138:139], v[128:129], v[74:75]
	s_waitcnt vmcnt(48)
	v_fmac_f64_e32 v[138:139], v[130:131], v[76:77]
	v_add_f64 v[140:141], v[136:137], v[138:139]
	ds_read_b128 v[136:139], v114 offset:1216
	v_fma_f64 v[14:15], v[14:15], v[24:25], -v[16:17]
	v_mul_f64 v[12:13], v[12:13], v[30:31]
	v_add_f64 v[14:15], v[18:19], v[14:15]
	v_fma_f64 v[10:11], v[10:11], v[44:45], -v[12:13]
	v_mul_f64 v[8:9], v[8:9], v[40:41]
	s_waitcnt lgkmcnt(1)
	v_mul_f64 v[142:143], v[132:133], v[70:71]
	v_add_f64 v[10:11], v[14:15], v[10:11]
	v_fma_f64 v[6:7], v[6:7], v[42:43], -v[8:9]
	v_mul_f64 v[4:5], v[4:5], v[36:37]
	v_fmac_f64_e32 v[142:143], v[134:135], v[72:73]
	v_add_f64 v[6:7], v[10:11], v[6:7]
	v_fma_f64 v[2:3], v[2:3], v[38:39], -v[4:5]
	v_mul_f64 v[4:5], v[104:105], v[50:51]
	v_add_f64 v[144:145], v[140:141], v[142:143]
	ds_read_b128 v[140:143], v114 offset:1232
	s_waitcnt vmcnt(42) lgkmcnt(1)
	v_mul_f64 v[146:147], v[136:137], v[82:83]
	v_add_f64 v[2:3], v[6:7], v[2:3]
	v_fma_f64 v[4:5], v[102:103], v[52:53], -v[4:5]
	s_waitcnt vmcnt(40)
	v_fmac_f64_e32 v[146:147], v[138:139], v[84:85]
	v_add_f64 v[2:3], v[2:3], v[4:5]
	v_mul_f64 v[4:5], v[108:109], v[46:47]
	v_add_f64 v[148:149], v[144:145], v[146:147]
	ds_read_b128 v[144:147], v114 offset:1248
	v_fma_f64 v[4:5], v[106:107], v[48:49], -v[4:5]
	v_add_f64 v[2:3], v[2:3], v[4:5]
	v_mul_f64 v[4:5], v[112:113], v[58:59]
	v_fma_f64 v[4:5], v[110:111], v[60:61], -v[4:5]
	s_waitcnt lgkmcnt(1)
	v_mul_f64 v[150:151], v[140:141], v[78:79]
	v_add_f64 v[2:3], v[2:3], v[4:5]
	v_mul_f64 v[4:5], v[118:119], v[54:55]
	v_fmac_f64_e32 v[150:151], v[142:143], v[80:81]
	v_fma_f64 v[4:5], v[116:117], v[56:57], -v[4:5]
	v_add_f64 v[152:153], v[148:149], v[150:151]
	ds_read_b128 v[148:151], v114 offset:1264
	s_waitcnt vmcnt(34) lgkmcnt(1)
	v_mul_f64 v[154:155], v[144:145], v[90:91]
	v_add_f64 v[2:3], v[2:3], v[4:5]
	v_mul_f64 v[4:5], v[122:123], v[66:67]
	s_waitcnt vmcnt(32)
	v_fmac_f64_e32 v[154:155], v[146:147], v[92:93]
	v_fma_f64 v[4:5], v[120:121], v[68:69], -v[4:5]
	v_add_f64 v[156:157], v[152:153], v[154:155]
	ds_read_b128 v[152:155], v114 offset:1280
	v_add_f64 v[2:3], v[2:3], v[4:5]
	v_mul_f64 v[4:5], v[126:127], v[62:63]
	v_fma_f64 v[4:5], v[124:125], v[64:65], -v[4:5]
	v_add_f64 v[2:3], v[2:3], v[4:5]
	v_mul_f64 v[4:5], v[130:131], v[74:75]
	s_waitcnt lgkmcnt(1)
	v_mul_f64 v[158:159], v[148:149], v[86:87]
	v_fma_f64 v[4:5], v[128:129], v[76:77], -v[4:5]
	v_fmac_f64_e32 v[158:159], v[150:151], v[88:89]
	v_add_f64 v[2:3], v[2:3], v[4:5]
	v_mul_f64 v[4:5], v[134:135], v[70:71]
	v_add_f64 v[160:161], v[156:157], v[158:159]
	ds_read_b128 v[156:159], v114 offset:1296
	s_waitcnt vmcnt(26) lgkmcnt(1)
	v_mul_f64 v[162:163], v[152:153], v[98:99]
	v_fma_f64 v[4:5], v[132:133], v[72:73], -v[4:5]
	s_waitcnt vmcnt(24)
	v_fmac_f64_e32 v[162:163], v[154:155], v[100:101]
	v_add_f64 v[2:3], v[2:3], v[4:5]
	v_mul_f64 v[4:5], v[138:139], v[82:83]
	v_add_f64 v[164:165], v[160:161], v[162:163]
	ds_read_b128 v[160:163], v114 offset:1312
	v_fma_f64 v[4:5], v[136:137], v[84:85], -v[4:5]
	v_add_f64 v[2:3], v[2:3], v[4:5]
	v_mul_f64 v[4:5], v[142:143], v[78:79]
	v_fma_f64 v[4:5], v[140:141], v[80:81], -v[4:5]
	s_waitcnt lgkmcnt(1)
	v_mul_f64 v[166:167], v[156:157], v[94:95]
	v_add_f64 v[2:3], v[2:3], v[4:5]
	v_mul_f64 v[4:5], v[146:147], v[90:91]
	v_fmac_f64_e32 v[166:167], v[158:159], v[96:97]
	v_fma_f64 v[4:5], v[144:145], v[92:93], -v[4:5]
	v_add_f64 v[168:169], v[164:165], v[166:167]
	ds_read_b128 v[164:167], v114 offset:1328
	s_waitcnt vmcnt(18) lgkmcnt(1)
	v_mul_f64 v[170:171], v[160:161], v[188:189]
	v_add_f64 v[2:3], v[2:3], v[4:5]
	v_mul_f64 v[4:5], v[150:151], v[86:87]
	s_waitcnt vmcnt(16)
	v_fmac_f64_e32 v[170:171], v[162:163], v[190:191]
	v_fma_f64 v[4:5], v[148:149], v[88:89], -v[4:5]
	v_add_f64 v[172:173], v[168:169], v[170:171]
	ds_read_b128 v[168:171], v114 offset:1344
	v_add_f64 v[2:3], v[2:3], v[4:5]
	v_mul_f64 v[4:5], v[154:155], v[98:99]
	v_fma_f64 v[4:5], v[152:153], v[100:101], -v[4:5]
	v_add_f64 v[2:3], v[2:3], v[4:5]
	v_mul_f64 v[4:5], v[158:159], v[94:95]
	s_waitcnt lgkmcnt(1)
	v_mul_f64 v[174:175], v[164:165], v[184:185]
	v_fma_f64 v[4:5], v[156:157], v[96:97], -v[4:5]
	v_fmac_f64_e32 v[174:175], v[166:167], v[186:187]
	v_add_f64 v[2:3], v[2:3], v[4:5]
	v_mul_f64 v[4:5], v[162:163], v[188:189]
	v_add_f64 v[176:177], v[172:173], v[174:175]
	ds_read_b128 v[172:175], v114 offset:1360
	s_waitcnt vmcnt(10) lgkmcnt(1)
	v_mul_f64 v[178:179], v[168:169], v[196:197]
	v_fma_f64 v[4:5], v[160:161], v[190:191], -v[4:5]
	s_waitcnt vmcnt(8)
	v_fmac_f64_e32 v[178:179], v[170:171], v[198:199]
	v_add_f64 v[2:3], v[2:3], v[4:5]
	v_mul_f64 v[4:5], v[166:167], v[184:185]
	v_add_f64 v[208:209], v[176:177], v[178:179]
	ds_read_b128 v[176:179], v114 offset:1376
	ds_read_b128 v[180:183], v114 offset:1392
	v_fma_f64 v[4:5], v[164:165], v[186:187], -v[4:5]
	v_add_f64 v[2:3], v[2:3], v[4:5]
	v_mul_f64 v[4:5], v[170:171], v[196:197]
	v_fma_f64 v[4:5], v[168:169], v[198:199], -v[4:5]
	v_add_f64 v[2:3], v[2:3], v[4:5]
	s_waitcnt lgkmcnt(2)
	v_mul_f64 v[4:5], v[174:175], v[192:193]
	v_mul_f64 v[210:211], v[172:173], v[192:193]
	v_fma_f64 v[4:5], v[172:173], v[194:195], -v[4:5]
	v_fmac_f64_e32 v[210:211], v[174:175], v[194:195]
	v_add_f64 v[2:3], v[2:3], v[4:5]
	s_waitcnt vmcnt(2) lgkmcnt(1)
	v_mul_f64 v[4:5], v[178:179], v[204:205]
	v_add_f64 v[208:209], v[208:209], v[210:211]
	v_mul_f64 v[210:211], v[176:177], v[204:205]
	s_waitcnt vmcnt(0)
	v_fma_f64 v[4:5], v[176:177], v[206:207], -v[4:5]
	v_fmac_f64_e32 v[210:211], v[178:179], v[206:207]
	v_add_f64 v[2:3], v[2:3], v[4:5]
	s_waitcnt lgkmcnt(0)
	v_mul_f64 v[4:5], v[182:183], v[200:201]
	v_add_f64 v[208:209], v[208:209], v[210:211]
	v_mul_f64 v[210:211], v[180:181], v[200:201]
	v_fma_f64 v[4:5], v[180:181], v[202:203], -v[4:5]
	v_fmac_f64_e32 v[210:211], v[182:183], v[202:203]
	v_add_f64 v[2:3], v[2:3], v[4:5]
	v_add_f64 v[208:209], v[208:209], v[210:211]
	v_add_f64 v[2:3], v[34:35], -v[2:3]
	v_add_f64 v[4:5], v[32:33], -v[208:209]
	buffer_store_dword v3, off, s[0:3], 0 offset:308
	buffer_store_dword v2, off, s[0:3], 0 offset:304
	;; [unrolled: 1-line block ×4, first 2 shown]
	s_and_saveexec_b64 s[4:5], vcc
	s_cbranch_execz .LBB43_243
; %bb.242:
	v_accvgpr_read_b32 v0, a114
	buffer_load_dword v2, v0, s[0:3], 0 offen
	buffer_load_dword v3, v0, s[0:3], 0 offen offset:4
	buffer_load_dword v4, v0, s[0:3], 0 offen offset:8
	;; [unrolled: 1-line block ×3, first 2 shown]
	v_accvgpr_read_b32 v0, a132
	buffer_store_dword v114, off, s[0:3], 0 offset:288
	buffer_store_dword v114, off, s[0:3], 0 offset:292
	;; [unrolled: 1-line block ×4, first 2 shown]
	s_waitcnt vmcnt(4)
	ds_write_b128 v0, v[2:5]
.LBB43_243:
	s_or_b64 exec, exec, s[4:5]
	s_waitcnt lgkmcnt(0)
	; wave barrier
	s_waitcnt lgkmcnt(0)
	buffer_load_dword v26, off, s[0:3], 0 offset:304
	buffer_load_dword v27, off, s[0:3], 0 offset:308
	;; [unrolled: 1-line block ×24, first 2 shown]
	ds_read_b128 v[22:25], v114 offset:992
	ds_read_b128 v[18:21], v114 offset:1008
	;; [unrolled: 1-line block ×6, first 2 shown]
	buffer_load_dword v51, off, s[0:3], 0 offset:412
	buffer_load_dword v50, off, s[0:3], 0 offset:408
	;; [unrolled: 1-line block ×40, first 2 shown]
	v_cmp_lt_u32_e32 vcc, 16, v255
	s_waitcnt vmcnt(34) lgkmcnt(0)
	v_mul_f64 v[122:123], v[14:15], v[54:55]
	s_waitcnt vmcnt(32)
	v_fmac_f64_e32 v[122:123], v[16:17], v[56:57]
	v_mul_f64 v[90:91], v[22:23], v[28:29]
	v_fmac_f64_e32 v[90:91], v[24:25], v[26:27]
	v_mul_f64 v[92:93], v[18:19], v[30:31]
	v_add_f64 v[90:91], v[90:91], 0
	v_mul_f64 v[94:95], v[10:11], v[32:33]
	v_mul_f64 v[24:25], v[24:25], v[28:29]
	;; [unrolled: 1-line block ×3, first 2 shown]
	v_fma_f64 v[22:23], v[22:23], v[26:27], -v[24:25]
	v_add_f64 v[22:23], v[22:23], 0
	v_mul_f64 v[96:97], v[6:7], v[42:43]
	v_fmac_f64_e32 v[92:93], v[20:21], v[48:49]
	v_add_f64 v[90:91], v[90:91], v[92:93]
	v_fmac_f64_e32 v[94:95], v[12:13], v[46:47]
	v_add_f64 v[90:91], v[90:91], v[94:95]
	;; [unrolled: 2-line block ×3, first 2 shown]
	buffer_load_dword v91, off, s[0:3], 0 offset:572
	buffer_load_dword v90, off, s[0:3], 0 offset:568
	;; [unrolled: 1-line block ×40, first 2 shown]
	v_fmac_f64_e32 v[116:117], v[4:5], v[40:41]
	v_add_f64 v[120:121], v[118:119], v[116:117]
	ds_read_b128 v[116:119], v114 offset:1088
	buffer_load_dword v213, off, s[0:3], 0 offset:716
	buffer_load_dword v212, off, s[0:3], 0 offset:712
	;; [unrolled: 1-line block ×4, first 2 shown]
	v_add_f64 v[124:125], v[120:121], v[122:123]
	ds_read_b128 v[120:123], v114 offset:1104
	v_mul_f64 v[20:21], v[20:21], v[30:31]
	s_waitcnt lgkmcnt(1)
	v_mul_f64 v[126:127], v[116:117], v[50:51]
	v_fmac_f64_e32 v[126:127], v[118:119], v[52:53]
	v_add_f64 v[128:129], v[124:125], v[126:127]
	ds_read_b128 v[124:127], v114 offset:1120
	s_waitcnt vmcnt(62) lgkmcnt(1)
	v_mul_f64 v[130:131], v[120:121], v[62:63]
	v_fmac_f64_e32 v[130:131], v[122:123], v[64:65]
	v_add_f64 v[132:133], v[128:129], v[130:131]
	ds_read_b128 v[128:131], v114 offset:1136
	s_waitcnt lgkmcnt(1)
	v_mul_f64 v[134:135], v[124:125], v[58:59]
	v_fmac_f64_e32 v[134:135], v[126:127], v[60:61]
	v_add_f64 v[136:137], v[132:133], v[134:135]
	ds_read_b128 v[132:135], v114 offset:1152
	s_waitcnt lgkmcnt(1)
	v_mul_f64 v[138:139], v[128:129], v[70:71]
	s_waitcnt vmcnt(60)
	v_fmac_f64_e32 v[138:139], v[130:131], v[72:73]
	v_add_f64 v[140:141], v[136:137], v[138:139]
	ds_read_b128 v[136:139], v114 offset:1168
	s_waitcnt lgkmcnt(1)
	v_mul_f64 v[142:143], v[132:133], v[66:67]
	v_fmac_f64_e32 v[142:143], v[134:135], v[68:69]
	v_add_f64 v[144:145], v[140:141], v[142:143]
	ds_read_b128 v[140:143], v114 offset:1184
	s_waitcnt vmcnt(54) lgkmcnt(1)
	v_mul_f64 v[146:147], v[136:137], v[78:79]
	s_waitcnt vmcnt(52)
	v_fmac_f64_e32 v[146:147], v[138:139], v[80:81]
	v_add_f64 v[148:149], v[144:145], v[146:147]
	ds_read_b128 v[144:147], v114 offset:1200
	s_waitcnt lgkmcnt(1)
	v_mul_f64 v[150:151], v[140:141], v[74:75]
	v_fmac_f64_e32 v[150:151], v[142:143], v[76:77]
	v_fma_f64 v[18:19], v[18:19], v[48:49], -v[20:21]
	v_mul_f64 v[12:13], v[12:13], v[32:33]
	v_add_f64 v[152:153], v[148:149], v[150:151]
	ds_read_b128 v[148:151], v114 offset:1216
	v_add_f64 v[18:19], v[22:23], v[18:19]
	v_fma_f64 v[10:11], v[10:11], v[46:47], -v[12:13]
	v_mul_f64 v[8:9], v[8:9], v[42:43]
	v_add_f64 v[10:11], v[18:19], v[10:11]
	v_fma_f64 v[6:7], v[6:7], v[44:45], -v[8:9]
	v_mul_f64 v[4:5], v[4:5], v[38:39]
	;; [unrolled: 3-line block ×3, first 2 shown]
	s_waitcnt vmcnt(46) lgkmcnt(1)
	v_mul_f64 v[154:155], v[144:145], v[86:87]
	v_add_f64 v[2:3], v[6:7], v[2:3]
	v_fma_f64 v[4:5], v[14:15], v[56:57], -v[4:5]
	s_waitcnt vmcnt(44)
	v_fmac_f64_e32 v[154:155], v[146:147], v[88:89]
	v_add_f64 v[2:3], v[2:3], v[4:5]
	v_mul_f64 v[4:5], v[118:119], v[50:51]
	v_add_f64 v[156:157], v[152:153], v[154:155]
	ds_read_b128 v[152:155], v114 offset:1232
	s_waitcnt lgkmcnt(1)
	v_mul_f64 v[158:159], v[148:149], v[82:83]
	v_fma_f64 v[4:5], v[116:117], v[52:53], -v[4:5]
	v_fmac_f64_e32 v[158:159], v[150:151], v[84:85]
	v_add_f64 v[2:3], v[2:3], v[4:5]
	v_mul_f64 v[4:5], v[122:123], v[62:63]
	v_add_f64 v[160:161], v[156:157], v[158:159]
	ds_read_b128 v[156:159], v114 offset:1248
	v_fma_f64 v[4:5], v[120:121], v[64:65], -v[4:5]
	v_add_f64 v[2:3], v[2:3], v[4:5]
	v_mul_f64 v[4:5], v[126:127], v[58:59]
	v_fma_f64 v[4:5], v[124:125], v[60:61], -v[4:5]
	s_waitcnt vmcnt(38) lgkmcnt(1)
	v_mul_f64 v[162:163], v[152:153], v[94:95]
	v_add_f64 v[2:3], v[2:3], v[4:5]
	v_mul_f64 v[4:5], v[130:131], v[70:71]
	s_waitcnt vmcnt(36)
	v_fmac_f64_e32 v[162:163], v[154:155], v[96:97]
	v_fma_f64 v[4:5], v[128:129], v[72:73], -v[4:5]
	v_add_f64 v[164:165], v[160:161], v[162:163]
	ds_read_b128 v[160:163], v114 offset:1264
	s_waitcnt lgkmcnt(1)
	v_mul_f64 v[166:167], v[156:157], v[90:91]
	v_add_f64 v[2:3], v[2:3], v[4:5]
	v_mul_f64 v[4:5], v[134:135], v[66:67]
	v_fmac_f64_e32 v[166:167], v[158:159], v[92:93]
	v_fma_f64 v[4:5], v[132:133], v[68:69], -v[4:5]
	v_add_f64 v[168:169], v[164:165], v[166:167]
	ds_read_b128 v[164:167], v114 offset:1280
	v_add_f64 v[2:3], v[2:3], v[4:5]
	v_mul_f64 v[4:5], v[138:139], v[78:79]
	v_fma_f64 v[4:5], v[136:137], v[80:81], -v[4:5]
	v_add_f64 v[2:3], v[2:3], v[4:5]
	v_mul_f64 v[4:5], v[142:143], v[74:75]
	s_waitcnt vmcnt(30) lgkmcnt(1)
	v_mul_f64 v[170:171], v[160:161], v[102:103]
	v_fma_f64 v[4:5], v[140:141], v[76:77], -v[4:5]
	s_waitcnt vmcnt(28)
	v_fmac_f64_e32 v[170:171], v[162:163], v[104:105]
	v_add_f64 v[2:3], v[2:3], v[4:5]
	v_mul_f64 v[4:5], v[146:147], v[86:87]
	v_add_f64 v[172:173], v[168:169], v[170:171]
	ds_read_b128 v[168:171], v114 offset:1296
	s_waitcnt lgkmcnt(1)
	v_mul_f64 v[174:175], v[164:165], v[98:99]
	v_fma_f64 v[4:5], v[144:145], v[88:89], -v[4:5]
	v_fmac_f64_e32 v[174:175], v[166:167], v[100:101]
	v_add_f64 v[2:3], v[2:3], v[4:5]
	v_mul_f64 v[4:5], v[150:151], v[82:83]
	v_add_f64 v[176:177], v[172:173], v[174:175]
	ds_read_b128 v[172:175], v114 offset:1312
	v_fma_f64 v[4:5], v[148:149], v[84:85], -v[4:5]
	v_add_f64 v[2:3], v[2:3], v[4:5]
	v_mul_f64 v[4:5], v[154:155], v[94:95]
	v_fma_f64 v[4:5], v[152:153], v[96:97], -v[4:5]
	s_waitcnt vmcnt(22) lgkmcnt(1)
	v_mul_f64 v[178:179], v[168:169], v[110:111]
	v_add_f64 v[2:3], v[2:3], v[4:5]
	v_mul_f64 v[4:5], v[158:159], v[90:91]
	s_waitcnt vmcnt(20)
	v_fmac_f64_e32 v[178:179], v[170:171], v[112:113]
	v_fma_f64 v[4:5], v[156:157], v[92:93], -v[4:5]
	v_add_f64 v[180:181], v[176:177], v[178:179]
	ds_read_b128 v[176:179], v114 offset:1328
	s_waitcnt lgkmcnt(1)
	v_mul_f64 v[182:183], v[172:173], v[106:107]
	v_add_f64 v[2:3], v[2:3], v[4:5]
	v_mul_f64 v[4:5], v[162:163], v[102:103]
	v_fmac_f64_e32 v[182:183], v[174:175], v[108:109]
	v_fma_f64 v[4:5], v[160:161], v[104:105], -v[4:5]
	v_add_f64 v[184:185], v[180:181], v[182:183]
	ds_read_b128 v[180:183], v114 offset:1344
	v_add_f64 v[2:3], v[2:3], v[4:5]
	v_mul_f64 v[4:5], v[166:167], v[98:99]
	v_fma_f64 v[4:5], v[164:165], v[100:101], -v[4:5]
	v_add_f64 v[2:3], v[2:3], v[4:5]
	v_mul_f64 v[4:5], v[170:171], v[110:111]
	s_waitcnt vmcnt(14) lgkmcnt(1)
	v_mul_f64 v[186:187], v[176:177], v[200:201]
	v_fma_f64 v[4:5], v[168:169], v[112:113], -v[4:5]
	s_waitcnt vmcnt(12)
	v_fmac_f64_e32 v[186:187], v[178:179], v[202:203]
	v_add_f64 v[2:3], v[2:3], v[4:5]
	v_mul_f64 v[4:5], v[174:175], v[106:107]
	v_add_f64 v[190:191], v[184:185], v[186:187]
	ds_read_b128 v[184:187], v114 offset:1360
	s_waitcnt lgkmcnt(1)
	v_mul_f64 v[192:193], v[180:181], v[188:189]
	v_fma_f64 v[4:5], v[172:173], v[108:109], -v[4:5]
	v_fmac_f64_e32 v[192:193], v[182:183], v[198:199]
	v_add_f64 v[2:3], v[2:3], v[4:5]
	v_mul_f64 v[4:5], v[178:179], v[200:201]
	v_add_f64 v[216:217], v[190:191], v[192:193]
	ds_read_b128 v[190:193], v114 offset:1376
	v_fma_f64 v[4:5], v[176:177], v[202:203], -v[4:5]
	v_add_f64 v[2:3], v[2:3], v[4:5]
	v_mul_f64 v[4:5], v[182:183], v[188:189]
	ds_read_b128 v[194:197], v114 offset:1392
	v_fma_f64 v[4:5], v[180:181], v[198:199], -v[4:5]
	v_add_f64 v[2:3], v[2:3], v[4:5]
	s_waitcnt vmcnt(6) lgkmcnt(2)
	v_mul_f64 v[4:5], v[186:187], v[208:209]
	v_mul_f64 v[218:219], v[184:185], v[208:209]
	s_waitcnt vmcnt(4)
	v_fma_f64 v[4:5], v[184:185], v[210:211], -v[4:5]
	v_fmac_f64_e32 v[218:219], v[186:187], v[210:211]
	v_add_f64 v[2:3], v[2:3], v[4:5]
	s_waitcnt lgkmcnt(1)
	v_mul_f64 v[4:5], v[192:193], v[204:205]
	v_add_f64 v[114:115], v[216:217], v[218:219]
	v_mul_f64 v[216:217], v[190:191], v[204:205]
	v_fma_f64 v[4:5], v[190:191], v[206:207], -v[4:5]
	v_fmac_f64_e32 v[216:217], v[192:193], v[206:207]
	v_add_f64 v[2:3], v[2:3], v[4:5]
	s_waitcnt vmcnt(2) lgkmcnt(0)
	v_mul_f64 v[4:5], v[196:197], v[212:213]
	v_add_f64 v[114:115], v[114:115], v[216:217]
	v_mul_f64 v[216:217], v[194:195], v[212:213]
	s_waitcnt vmcnt(0)
	v_fma_f64 v[4:5], v[194:195], v[214:215], -v[4:5]
	v_fmac_f64_e32 v[216:217], v[196:197], v[214:215]
	v_add_f64 v[2:3], v[2:3], v[4:5]
	v_add_f64 v[114:115], v[114:115], v[216:217]
	v_add_f64 v[2:3], v[36:37], -v[2:3]
	v_add_f64 v[4:5], v[34:35], -v[114:115]
	buffer_store_dword v3, off, s[0:3], 0 offset:292
	buffer_store_dword v2, off, s[0:3], 0 offset:288
	;; [unrolled: 1-line block ×4, first 2 shown]
	s_and_saveexec_b64 s[4:5], vcc
	s_cbranch_execz .LBB43_245
; %bb.244:
	v_accvgpr_read_b32 v0, a115
	buffer_load_dword v2, v0, s[0:3], 0 offen
	buffer_load_dword v3, v0, s[0:3], 0 offen offset:4
	buffer_load_dword v4, v0, s[0:3], 0 offen offset:8
	;; [unrolled: 1-line block ×3, first 2 shown]
	v_mov_b32_e32 v0, 0
	v_accvgpr_read_b32 v1, a132
	buffer_store_dword v0, off, s[0:3], 0 offset:272
	buffer_store_dword v0, off, s[0:3], 0 offset:276
	;; [unrolled: 1-line block ×4, first 2 shown]
	s_waitcnt vmcnt(4)
	ds_write_b128 v1, v[2:5]
.LBB43_245:
	s_or_b64 exec, exec, s[4:5]
	s_waitcnt lgkmcnt(0)
	; wave barrier
	s_waitcnt lgkmcnt(0)
	buffer_load_dword v30, off, s[0:3], 0 offset:288
	buffer_load_dword v31, off, s[0:3], 0 offset:292
	;; [unrolled: 1-line block ×56, first 2 shown]
	v_mov_b32_e32 v134, 0
	ds_read_b128 v[26:29], v134 offset:976
	ds_read_b128 v[22:25], v134 offset:992
	;; [unrolled: 1-line block ×7, first 2 shown]
	v_cmp_lt_u32_e32 vcc, 15, v255
	s_waitcnt vmcnt(52) lgkmcnt(6)
	v_mul_f64 v[86:87], v[26:27], v[34:35]
	v_fmac_f64_e32 v[86:87], v[28:29], v[30:31]
	v_add_f64 v[86:87], v[86:87], 0
	v_mul_f64 v[28:29], v[28:29], v[34:35]
	s_waitcnt vmcnt(48) lgkmcnt(5)
	v_mul_f64 v[88:89], v[22:23], v[36:37]
	v_fmac_f64_e32 v[88:89], v[24:25], v[32:33]
	s_waitcnt vmcnt(46) lgkmcnt(4)
	v_mul_f64 v[90:91], v[18:19], v[38:39]
	v_add_f64 v[86:87], v[86:87], v[88:89]
	s_waitcnt vmcnt(44) lgkmcnt(2)
	v_mul_f64 v[94:95], v[10:11], v[40:41]
	v_fma_f64 v[26:27], v[26:27], v[30:31], -v[28:29]
	s_waitcnt vmcnt(42)
	v_fmac_f64_e32 v[94:95], v[12:13], v[42:43]
	v_mul_f64 v[24:25], v[24:25], v[36:37]
	s_waitcnt vmcnt(40)
	v_mul_f64 v[92:93], v[14:15], v[48:49]
	v_add_f64 v[26:27], v[26:27], 0
	v_fma_f64 v[22:23], v[22:23], v[32:33], -v[24:25]
	v_add_f64 v[22:23], v[26:27], v[22:23]
	s_waitcnt vmcnt(36) lgkmcnt(1)
	v_mul_f64 v[110:111], v[6:7], v[54:55]
	v_mul_f64 v[12:13], v[12:13], v[40:41]
	s_waitcnt vmcnt(34)
	v_fmac_f64_e32 v[90:91], v[20:21], v[60:61]
	v_add_f64 v[86:87], v[86:87], v[90:91]
	s_waitcnt vmcnt(32)
	v_fmac_f64_e32 v[92:93], v[16:17], v[58:59]
	v_add_f64 v[86:87], v[86:87], v[92:93]
	v_add_f64 v[116:117], v[86:87], v[94:95]
	buffer_load_dword v87, off, s[0:3], 0 offset:524
	buffer_load_dword v86, off, s[0:3], 0 offset:520
	;; [unrolled: 1-line block ×56, first 2 shown]
	ds_read_b128 v[124:127], v134 offset:1088
	ds_read_b128 v[128:131], v134 offset:1104
	v_mul_f64 v[20:21], v[20:21], v[38:39]
	v_fma_f64 v[18:19], v[18:19], v[60:61], -v[20:21]
	v_mul_f64 v[16:17], v[16:17], v[48:49]
	s_waitcnt vmcnt(62)
	v_fmac_f64_e32 v[110:111], v[8:9], v[56:57]
	v_add_f64 v[18:19], v[22:23], v[18:19]
	v_fma_f64 v[14:15], v[14:15], v[58:59], -v[16:17]
	v_add_f64 v[110:111], v[116:117], v[110:111]
	s_waitcnt lgkmcnt(2)
	v_mul_f64 v[116:117], v[2:3], v[50:51]
	v_add_f64 v[14:15], v[18:19], v[14:15]
	v_fma_f64 v[10:11], v[10:11], v[42:43], -v[12:13]
	v_mul_f64 v[8:9], v[8:9], v[54:55]
	v_fmac_f64_e32 v[116:117], v[4:5], v[52:53]
	ds_read_b128 v[136:139], v134 offset:1120
	ds_read_b128 v[140:143], v134 offset:1136
	v_add_f64 v[10:11], v[14:15], v[10:11]
	v_fma_f64 v[6:7], v[6:7], v[56:57], -v[8:9]
	v_mul_f64 v[4:5], v[4:5], v[50:51]
	v_add_f64 v[6:7], v[10:11], v[6:7]
	v_fma_f64 v[2:3], v[2:3], v[52:53], -v[4:5]
	s_waitcnt lgkmcnt(3)
	v_mul_f64 v[4:5], v[126:127], v[66:67]
	v_add_f64 v[110:111], v[110:111], v[116:117]
	v_mul_f64 v[116:117], v[124:125], v[66:67]
	v_add_f64 v[2:3], v[6:7], v[2:3]
	v_fma_f64 v[4:5], v[124:125], v[68:69], -v[4:5]
	v_fmac_f64_e32 v[116:117], v[126:127], v[68:69]
	v_add_f64 v[2:3], v[2:3], v[4:5]
	s_waitcnt lgkmcnt(2)
	v_mul_f64 v[4:5], v[130:131], v[62:63]
	v_add_f64 v[110:111], v[110:111], v[116:117]
	v_mul_f64 v[116:117], v[128:129], v[62:63]
	ds_read_b128 v[144:147], v134 offset:1152
	ds_read_b128 v[148:151], v134 offset:1168
	v_fma_f64 v[4:5], v[128:129], v[64:65], -v[4:5]
	v_fmac_f64_e32 v[116:117], v[130:131], v[64:65]
	v_add_f64 v[2:3], v[2:3], v[4:5]
	s_waitcnt lgkmcnt(3)
	v_mul_f64 v[4:5], v[138:139], v[74:75]
	v_add_f64 v[110:111], v[110:111], v[116:117]
	v_mul_f64 v[116:117], v[136:137], v[74:75]
	v_fma_f64 v[4:5], v[136:137], v[76:77], -v[4:5]
	v_fmac_f64_e32 v[116:117], v[138:139], v[76:77]
	v_add_f64 v[2:3], v[2:3], v[4:5]
	s_waitcnt lgkmcnt(2)
	v_mul_f64 v[4:5], v[142:143], v[70:71]
	v_add_f64 v[110:111], v[110:111], v[116:117]
	v_mul_f64 v[116:117], v[140:141], v[70:71]
	ds_read_b128 v[152:155], v134 offset:1184
	ds_read_b128 v[156:159], v134 offset:1200
	v_fma_f64 v[4:5], v[140:141], v[72:73], -v[4:5]
	v_fmac_f64_e32 v[116:117], v[142:143], v[72:73]
	v_add_f64 v[2:3], v[2:3], v[4:5]
	s_waitcnt vmcnt(58) lgkmcnt(3)
	v_mul_f64 v[4:5], v[146:147], v[82:83]
	v_add_f64 v[110:111], v[110:111], v[116:117]
	v_mul_f64 v[116:117], v[144:145], v[82:83]
	s_waitcnt vmcnt(56)
	v_fma_f64 v[4:5], v[144:145], v[84:85], -v[4:5]
	v_fmac_f64_e32 v[116:117], v[146:147], v[84:85]
	v_add_f64 v[2:3], v[2:3], v[4:5]
	s_waitcnt lgkmcnt(2)
	v_mul_f64 v[4:5], v[150:151], v[78:79]
	v_add_f64 v[110:111], v[110:111], v[116:117]
	v_mul_f64 v[116:117], v[148:149], v[78:79]
	ds_read_b128 v[160:163], v134 offset:1216
	ds_read_b128 v[164:167], v134 offset:1232
	v_fma_f64 v[4:5], v[148:149], v[80:81], -v[4:5]
	v_fmac_f64_e32 v[116:117], v[150:151], v[80:81]
	v_add_f64 v[2:3], v[2:3], v[4:5]
	s_waitcnt vmcnt(50) lgkmcnt(3)
	v_mul_f64 v[4:5], v[154:155], v[90:91]
	v_add_f64 v[110:111], v[110:111], v[116:117]
	v_mul_f64 v[116:117], v[152:153], v[90:91]
	s_waitcnt vmcnt(48)
	;; [unrolled: 17-line block ×7, first 2 shown]
	v_fma_f64 v[4:5], v[194:195], v[218:219], -v[4:5]
	v_fmac_f64_e32 v[116:117], v[196:197], v[218:219]
	v_add_f64 v[2:3], v[2:3], v[4:5]
	s_waitcnt lgkmcnt(2)
	v_mul_f64 v[4:5], v[208:209], v[200:201]
	v_add_f64 v[110:111], v[110:111], v[116:117]
	v_mul_f64 v[116:117], v[206:207], v[200:201]
	v_fma_f64 v[4:5], v[206:207], v[202:203], -v[4:5]
	v_fmac_f64_e32 v[116:117], v[208:209], v[202:203]
	v_add_f64 v[2:3], v[2:3], v[4:5]
	s_waitcnt vmcnt(2) lgkmcnt(1)
	v_mul_f64 v[4:5], v[212:213], v[224:225]
	v_add_f64 v[110:111], v[110:111], v[116:117]
	v_mul_f64 v[116:117], v[210:211], v[224:225]
	s_waitcnt vmcnt(0)
	v_fma_f64 v[4:5], v[210:211], v[226:227], -v[4:5]
	v_fmac_f64_e32 v[116:117], v[212:213], v[226:227]
	v_add_f64 v[2:3], v[2:3], v[4:5]
	s_waitcnt lgkmcnt(0)
	v_mul_f64 v[4:5], v[216:217], v[220:221]
	v_add_f64 v[110:111], v[110:111], v[116:117]
	v_mul_f64 v[116:117], v[214:215], v[220:221]
	v_fma_f64 v[4:5], v[214:215], v[222:223], -v[4:5]
	v_fmac_f64_e32 v[116:117], v[216:217], v[222:223]
	v_add_f64 v[2:3], v[2:3], v[4:5]
	v_add_f64 v[110:111], v[110:111], v[116:117]
	v_add_f64 v[2:3], v[46:47], -v[2:3]
	v_add_f64 v[4:5], v[44:45], -v[110:111]
	buffer_store_dword v3, off, s[0:3], 0 offset:276
	buffer_store_dword v2, off, s[0:3], 0 offset:272
	;; [unrolled: 1-line block ×4, first 2 shown]
	s_and_saveexec_b64 s[4:5], vcc
	s_cbranch_execz .LBB43_247
; %bb.246:
	v_accvgpr_read_b32 v0, a116
	buffer_load_dword v2, v0, s[0:3], 0 offen
	buffer_load_dword v3, v0, s[0:3], 0 offen offset:4
	buffer_load_dword v4, v0, s[0:3], 0 offen offset:8
	;; [unrolled: 1-line block ×3, first 2 shown]
	v_accvgpr_read_b32 v0, a132
	buffer_store_dword v134, off, s[0:3], 0 offset:256
	buffer_store_dword v134, off, s[0:3], 0 offset:260
	;; [unrolled: 1-line block ×4, first 2 shown]
	s_waitcnt vmcnt(4)
	ds_write_b128 v0, v[2:5]
.LBB43_247:
	s_or_b64 exec, exec, s[4:5]
	s_waitcnt lgkmcnt(0)
	; wave barrier
	s_waitcnt lgkmcnt(0)
	buffer_load_dword v34, off, s[0:3], 0 offset:272
	buffer_load_dword v35, off, s[0:3], 0 offset:276
	;; [unrolled: 1-line block ×32, first 2 shown]
	ds_read_b128 v[30:33], v134 offset:960
	ds_read_b128 v[26:29], v134 offset:976
	;; [unrolled: 1-line block ×8, first 2 shown]
	buffer_load_dword v67, off, s[0:3], 0 offset:412
	buffer_load_dword v66, off, s[0:3], 0 offset:408
	;; [unrolled: 1-line block ×24, first 2 shown]
	v_cmp_lt_u32_e32 vcc, 14, v255
	s_waitcnt vmcnt(52) lgkmcnt(7)
	v_mul_f64 v[90:91], v[30:31], v[38:39]
	v_fmac_f64_e32 v[90:91], v[32:33], v[34:35]
	v_add_f64 v[90:91], v[90:91], 0
	v_mul_f64 v[32:33], v[32:33], v[38:39]
	s_waitcnt vmcnt(48) lgkmcnt(6)
	v_mul_f64 v[92:93], v[26:27], v[40:41]
	v_fmac_f64_e32 v[92:93], v[28:29], v[36:37]
	s_waitcnt vmcnt(46) lgkmcnt(5)
	v_mul_f64 v[94:95], v[22:23], v[42:43]
	v_add_f64 v[90:91], v[90:91], v[92:93]
	s_waitcnt vmcnt(44) lgkmcnt(4)
	v_mul_f64 v[96:97], v[18:19], v[48:49]
	v_fma_f64 v[30:31], v[30:31], v[34:35], -v[32:33]
	s_waitcnt vmcnt(42) lgkmcnt(1)
	v_mul_f64 v[122:123], v[2:3], v[50:51]
	v_mul_f64 v[28:29], v[28:29], v[40:41]
	s_waitcnt vmcnt(18) lgkmcnt(0)
	v_mul_f64 v[138:139], v[14:15], v[70:71]
	v_mul_f64 v[100:101], v[6:7], v[54:55]
	s_waitcnt vmcnt(16)
	v_fmac_f64_e32 v[138:139], v[16:17], v[72:73]
	v_mul_f64 v[98:99], v[10:11], v[56:57]
	v_add_f64 v[30:31], v[30:31], 0
	v_fmac_f64_e32 v[98:99], v[12:13], v[58:59]
	v_fma_f64 v[26:27], v[26:27], v[36:37], -v[28:29]
	v_fmac_f64_e32 v[94:95], v[24:25], v[64:65]
	v_add_f64 v[90:91], v[90:91], v[94:95]
	v_fmac_f64_e32 v[96:97], v[20:21], v[62:63]
	v_add_f64 v[90:91], v[90:91], v[96:97]
	v_fmac_f64_e32 v[100:101], v[8:9], v[60:61]
	v_add_f64 v[90:91], v[90:91], v[98:99]
	v_add_f64 v[124:125], v[90:91], v[100:101]
	buffer_load_dword v91, off, s[0:3], 0 offset:508
	buffer_load_dword v90, off, s[0:3], 0 offset:504
	;; [unrolled: 1-line block ×56, first 2 shown]
	v_fmac_f64_e32 v[122:123], v[4:5], v[52:53]
	v_add_f64 v[136:137], v[124:125], v[122:123]
	ds_read_b128 v[122:125], v134 offset:1088
	buffer_load_dword v229, off, s[0:3], 0 offset:716
	buffer_load_dword v228, off, s[0:3], 0 offset:712
	;; [unrolled: 1-line block ×4, first 2 shown]
	v_add_f64 v[140:141], v[136:137], v[138:139]
	ds_read_b128 v[136:139], v134 offset:1104
	v_mul_f64 v[24:25], v[24:25], v[42:43]
	s_waitcnt lgkmcnt(1)
	v_mul_f64 v[142:143], v[122:123], v[66:67]
	v_fmac_f64_e32 v[142:143], v[124:125], v[68:69]
	v_add_f64 v[144:145], v[140:141], v[142:143]
	ds_read_b128 v[140:143], v134 offset:1120
	s_waitcnt vmcnt(62) lgkmcnt(1)
	v_mul_f64 v[146:147], v[136:137], v[78:79]
	v_fmac_f64_e32 v[146:147], v[138:139], v[80:81]
	v_add_f64 v[148:149], v[144:145], v[146:147]
	ds_read_b128 v[144:147], v134 offset:1136
	s_waitcnt lgkmcnt(1)
	v_mul_f64 v[150:151], v[140:141], v[74:75]
	v_fmac_f64_e32 v[150:151], v[142:143], v[76:77]
	v_add_f64 v[152:153], v[148:149], v[150:151]
	ds_read_b128 v[148:151], v134 offset:1152
	s_waitcnt lgkmcnt(1)
	v_mul_f64 v[154:155], v[144:145], v[86:87]
	s_waitcnt vmcnt(60)
	v_fmac_f64_e32 v[154:155], v[146:147], v[88:89]
	v_add_f64 v[156:157], v[152:153], v[154:155]
	ds_read_b128 v[152:155], v134 offset:1168
	s_waitcnt lgkmcnt(1)
	v_mul_f64 v[158:159], v[148:149], v[82:83]
	v_fmac_f64_e32 v[158:159], v[150:151], v[84:85]
	v_add_f64 v[160:161], v[156:157], v[158:159]
	ds_read_b128 v[156:159], v134 offset:1184
	v_add_f64 v[26:27], v[30:31], v[26:27]
	v_fma_f64 v[22:23], v[22:23], v[64:65], -v[24:25]
	s_waitcnt vmcnt(54) lgkmcnt(1)
	v_mul_f64 v[162:163], v[152:153], v[94:95]
	v_mul_f64 v[20:21], v[20:21], v[48:49]
	s_waitcnt vmcnt(52)
	v_fmac_f64_e32 v[162:163], v[154:155], v[96:97]
	v_add_f64 v[164:165], v[160:161], v[162:163]
	ds_read_b128 v[160:163], v134 offset:1200
	s_waitcnt lgkmcnt(1)
	v_mul_f64 v[166:167], v[156:157], v[90:91]
	v_fmac_f64_e32 v[166:167], v[158:159], v[92:93]
	v_add_f64 v[22:23], v[26:27], v[22:23]
	v_fma_f64 v[18:19], v[18:19], v[62:63], -v[20:21]
	v_mul_f64 v[12:13], v[12:13], v[56:57]
	v_add_f64 v[168:169], v[164:165], v[166:167]
	ds_read_b128 v[164:167], v134 offset:1216
	v_add_f64 v[18:19], v[22:23], v[18:19]
	v_fma_f64 v[10:11], v[10:11], v[58:59], -v[12:13]
	v_mul_f64 v[8:9], v[8:9], v[54:55]
	v_add_f64 v[10:11], v[18:19], v[10:11]
	v_fma_f64 v[6:7], v[6:7], v[60:61], -v[8:9]
	v_mul_f64 v[4:5], v[4:5], v[50:51]
	v_add_f64 v[6:7], v[10:11], v[6:7]
	v_fma_f64 v[2:3], v[2:3], v[52:53], -v[4:5]
	v_mul_f64 v[4:5], v[16:17], v[70:71]
	s_waitcnt vmcnt(46) lgkmcnt(1)
	v_mul_f64 v[170:171], v[160:161], v[102:103]
	v_add_f64 v[2:3], v[6:7], v[2:3]
	v_fma_f64 v[4:5], v[14:15], v[72:73], -v[4:5]
	s_waitcnt vmcnt(44)
	v_fmac_f64_e32 v[170:171], v[162:163], v[104:105]
	v_add_f64 v[2:3], v[2:3], v[4:5]
	v_mul_f64 v[4:5], v[124:125], v[66:67]
	v_add_f64 v[172:173], v[168:169], v[170:171]
	ds_read_b128 v[168:171], v134 offset:1232
	s_waitcnt lgkmcnt(1)
	v_mul_f64 v[174:175], v[164:165], v[98:99]
	v_fma_f64 v[4:5], v[122:123], v[68:69], -v[4:5]
	v_fmac_f64_e32 v[174:175], v[166:167], v[100:101]
	v_add_f64 v[2:3], v[2:3], v[4:5]
	v_mul_f64 v[4:5], v[138:139], v[78:79]
	v_add_f64 v[176:177], v[172:173], v[174:175]
	ds_read_b128 v[172:175], v134 offset:1248
	v_fma_f64 v[4:5], v[136:137], v[80:81], -v[4:5]
	v_add_f64 v[2:3], v[2:3], v[4:5]
	v_mul_f64 v[4:5], v[142:143], v[74:75]
	v_fma_f64 v[4:5], v[140:141], v[76:77], -v[4:5]
	s_waitcnt vmcnt(38) lgkmcnt(1)
	v_mul_f64 v[178:179], v[168:169], v[110:111]
	v_add_f64 v[2:3], v[2:3], v[4:5]
	v_mul_f64 v[4:5], v[146:147], v[86:87]
	s_waitcnt vmcnt(36)
	v_fmac_f64_e32 v[178:179], v[170:171], v[112:113]
	v_fma_f64 v[4:5], v[144:145], v[88:89], -v[4:5]
	v_add_f64 v[180:181], v[176:177], v[178:179]
	ds_read_b128 v[176:179], v134 offset:1264
	s_waitcnt lgkmcnt(1)
	v_mul_f64 v[182:183], v[172:173], v[106:107]
	v_add_f64 v[2:3], v[2:3], v[4:5]
	v_mul_f64 v[4:5], v[150:151], v[82:83]
	v_fmac_f64_e32 v[182:183], v[174:175], v[108:109]
	v_fma_f64 v[4:5], v[148:149], v[84:85], -v[4:5]
	v_add_f64 v[184:185], v[180:181], v[182:183]
	ds_read_b128 v[180:183], v134 offset:1280
	v_add_f64 v[2:3], v[2:3], v[4:5]
	v_mul_f64 v[4:5], v[154:155], v[94:95]
	v_fma_f64 v[4:5], v[152:153], v[96:97], -v[4:5]
	v_add_f64 v[2:3], v[2:3], v[4:5]
	v_mul_f64 v[4:5], v[158:159], v[90:91]
	s_waitcnt vmcnt(30) lgkmcnt(1)
	v_mul_f64 v[186:187], v[176:177], v[118:119]
	v_fma_f64 v[4:5], v[156:157], v[92:93], -v[4:5]
	s_waitcnt vmcnt(28)
	v_fmac_f64_e32 v[186:187], v[178:179], v[120:121]
	v_add_f64 v[2:3], v[2:3], v[4:5]
	v_mul_f64 v[4:5], v[162:163], v[102:103]
	v_add_f64 v[190:191], v[184:185], v[186:187]
	ds_read_b128 v[184:187], v134 offset:1296
	s_waitcnt lgkmcnt(1)
	v_mul_f64 v[192:193], v[180:181], v[114:115]
	v_fma_f64 v[4:5], v[160:161], v[104:105], -v[4:5]
	v_fmac_f64_e32 v[192:193], v[182:183], v[116:117]
	v_add_f64 v[2:3], v[2:3], v[4:5]
	v_mul_f64 v[4:5], v[166:167], v[98:99]
	v_add_f64 v[194:195], v[190:191], v[192:193]
	ds_read_b128 v[190:193], v134 offset:1312
	v_fma_f64 v[4:5], v[164:165], v[100:101], -v[4:5]
	v_add_f64 v[2:3], v[2:3], v[4:5]
	v_mul_f64 v[4:5], v[170:171], v[110:111]
	v_fma_f64 v[4:5], v[168:169], v[112:113], -v[4:5]
	s_waitcnt vmcnt(22) lgkmcnt(1)
	v_mul_f64 v[196:197], v[184:185], v[130:131]
	v_add_f64 v[2:3], v[2:3], v[4:5]
	v_mul_f64 v[4:5], v[174:175], v[106:107]
	s_waitcnt vmcnt(20)
	v_fmac_f64_e32 v[196:197], v[186:187], v[132:133]
	v_fma_f64 v[4:5], v[172:173], v[108:109], -v[4:5]
	v_add_f64 v[206:207], v[194:195], v[196:197]
	ds_read_b128 v[194:197], v134 offset:1328
	s_waitcnt lgkmcnt(1)
	v_mul_f64 v[208:209], v[190:191], v[126:127]
	v_add_f64 v[2:3], v[2:3], v[4:5]
	v_mul_f64 v[4:5], v[178:179], v[118:119]
	v_fmac_f64_e32 v[208:209], v[192:193], v[128:129]
	v_fma_f64 v[4:5], v[176:177], v[120:121], -v[4:5]
	v_add_f64 v[210:211], v[206:207], v[208:209]
	ds_read_b128 v[206:209], v134 offset:1344
	v_add_f64 v[2:3], v[2:3], v[4:5]
	v_mul_f64 v[4:5], v[182:183], v[114:115]
	v_fma_f64 v[4:5], v[180:181], v[116:117], -v[4:5]
	v_add_f64 v[2:3], v[2:3], v[4:5]
	v_mul_f64 v[4:5], v[186:187], v[130:131]
	s_waitcnt vmcnt(14) lgkmcnt(1)
	v_mul_f64 v[212:213], v[194:195], v[200:201]
	v_fma_f64 v[4:5], v[184:185], v[132:133], -v[4:5]
	s_waitcnt vmcnt(12)
	v_fmac_f64_e32 v[212:213], v[196:197], v[202:203]
	v_add_f64 v[2:3], v[2:3], v[4:5]
	v_mul_f64 v[4:5], v[192:193], v[126:127]
	v_add_f64 v[214:215], v[210:211], v[212:213]
	ds_read_b128 v[210:213], v134 offset:1360
	s_waitcnt lgkmcnt(1)
	v_mul_f64 v[216:217], v[206:207], v[188:189]
	v_fma_f64 v[4:5], v[190:191], v[128:129], -v[4:5]
	v_fmac_f64_e32 v[216:217], v[208:209], v[198:199]
	v_add_f64 v[2:3], v[2:3], v[4:5]
	v_mul_f64 v[4:5], v[196:197], v[200:201]
	v_add_f64 v[232:233], v[214:215], v[216:217]
	ds_read_b128 v[214:217], v134 offset:1376
	v_fma_f64 v[4:5], v[194:195], v[202:203], -v[4:5]
	v_add_f64 v[2:3], v[2:3], v[4:5]
	v_mul_f64 v[4:5], v[208:209], v[188:189]
	ds_read_b128 v[218:221], v134 offset:1392
	v_fma_f64 v[4:5], v[206:207], v[198:199], -v[4:5]
	v_add_f64 v[2:3], v[2:3], v[4:5]
	s_waitcnt vmcnt(6) lgkmcnt(2)
	v_mul_f64 v[4:5], v[212:213], v[224:225]
	v_mul_f64 v[234:235], v[210:211], v[224:225]
	s_waitcnt vmcnt(4)
	v_fma_f64 v[4:5], v[210:211], v[226:227], -v[4:5]
	v_fmac_f64_e32 v[234:235], v[212:213], v[226:227]
	v_add_f64 v[2:3], v[2:3], v[4:5]
	s_waitcnt lgkmcnt(1)
	v_mul_f64 v[4:5], v[216:217], v[204:205]
	v_add_f64 v[134:135], v[232:233], v[234:235]
	v_mul_f64 v[232:233], v[214:215], v[204:205]
	v_fma_f64 v[4:5], v[214:215], v[222:223], -v[4:5]
	v_fmac_f64_e32 v[232:233], v[216:217], v[222:223]
	v_add_f64 v[2:3], v[2:3], v[4:5]
	s_waitcnt vmcnt(2) lgkmcnt(0)
	v_mul_f64 v[4:5], v[220:221], v[228:229]
	v_add_f64 v[134:135], v[134:135], v[232:233]
	v_mul_f64 v[232:233], v[218:219], v[228:229]
	s_waitcnt vmcnt(0)
	v_fma_f64 v[4:5], v[218:219], v[230:231], -v[4:5]
	v_fmac_f64_e32 v[232:233], v[220:221], v[230:231]
	v_add_f64 v[2:3], v[2:3], v[4:5]
	v_add_f64 v[134:135], v[134:135], v[232:233]
	v_add_f64 v[2:3], v[46:47], -v[2:3]
	v_add_f64 v[4:5], v[44:45], -v[134:135]
	buffer_store_dword v3, off, s[0:3], 0 offset:260
	buffer_store_dword v2, off, s[0:3], 0 offset:256
	;; [unrolled: 1-line block ×4, first 2 shown]
	s_and_saveexec_b64 s[4:5], vcc
	s_cbranch_execz .LBB43_249
; %bb.248:
	v_accvgpr_read_b32 v0, a117
	buffer_load_dword v2, v0, s[0:3], 0 offen
	buffer_load_dword v3, v0, s[0:3], 0 offen offset:4
	buffer_load_dword v4, v0, s[0:3], 0 offen offset:8
	;; [unrolled: 1-line block ×3, first 2 shown]
	v_mov_b32_e32 v0, 0
	v_accvgpr_read_b32 v1, a132
	buffer_store_dword v0, off, s[0:3], 0 offset:240
	buffer_store_dword v0, off, s[0:3], 0 offset:244
	;; [unrolled: 1-line block ×4, first 2 shown]
	s_waitcnt vmcnt(4)
	ds_write_b128 v1, v[2:5]
.LBB43_249:
	s_or_b64 exec, exec, s[4:5]
	s_waitcnt lgkmcnt(0)
	; wave barrier
	s_waitcnt lgkmcnt(0)
	buffer_load_dword v38, off, s[0:3], 0 offset:256
	buffer_load_dword v39, off, s[0:3], 0 offset:260
	;; [unrolled: 1-line block ×48, first 2 shown]
	v_mov_b32_e32 v150, 0
	ds_read_b128 v[34:37], v150 offset:944
	ds_read_b128 v[30:33], v150 offset:960
	;; [unrolled: 1-line block ×9, first 2 shown]
	v_cmp_lt_u32_e32 vcc, 13, v255
	s_waitcnt vmcnt(44) lgkmcnt(8)
	v_mul_f64 v[86:87], v[34:35], v[42:43]
	v_fmac_f64_e32 v[86:87], v[36:37], v[38:39]
	v_add_f64 v[86:87], v[86:87], 0
	v_mul_f64 v[36:37], v[36:37], v[42:43]
	s_waitcnt vmcnt(40) lgkmcnt(7)
	v_mul_f64 v[88:89], v[30:31], v[44:45]
	v_fmac_f64_e32 v[88:89], v[32:33], v[40:41]
	s_waitcnt vmcnt(38) lgkmcnt(6)
	v_mul_f64 v[90:91], v[26:27], v[46:47]
	v_add_f64 v[86:87], v[86:87], v[88:89]
	s_waitcnt vmcnt(36) lgkmcnt(4)
	v_mul_f64 v[94:95], v[18:19], v[48:49]
	v_fma_f64 v[34:35], v[34:35], v[38:39], -v[36:37]
	s_waitcnt vmcnt(34)
	v_fmac_f64_e32 v[94:95], v[20:21], v[50:51]
	v_mul_f64 v[32:33], v[32:33], v[44:45]
	s_waitcnt vmcnt(32)
	v_mul_f64 v[92:93], v[22:23], v[52:53]
	v_add_f64 v[34:35], v[34:35], 0
	s_waitcnt vmcnt(30) lgkmcnt(2)
	v_mul_f64 v[98:99], v[10:11], v[54:55]
	v_fma_f64 v[30:31], v[30:31], v[40:41], -v[32:33]
	s_waitcnt vmcnt(28)
	v_fmac_f64_e32 v[98:99], v[12:13], v[56:57]
	v_add_f64 v[30:31], v[34:35], v[30:31]
	s_waitcnt vmcnt(26)
	v_mul_f64 v[96:97], v[14:15], v[58:59]
	v_mul_f64 v[20:21], v[20:21], v[48:49]
	v_fma_f64 v[18:19], v[18:19], v[50:51], -v[20:21]
	v_mul_f64 v[12:13], v[12:13], v[54:55]
	s_waitcnt vmcnt(22) lgkmcnt(1)
	v_mul_f64 v[110:111], v[6:7], v[68:69]
	v_fma_f64 v[10:11], v[10:11], v[56:57], -v[12:13]
	s_waitcnt vmcnt(20)
	v_fmac_f64_e32 v[90:91], v[28:29], v[76:77]
	v_add_f64 v[86:87], v[86:87], v[90:91]
	s_waitcnt vmcnt(18)
	v_fmac_f64_e32 v[92:93], v[24:25], v[74:75]
	v_add_f64 v[86:87], v[86:87], v[92:93]
	;; [unrolled: 3-line block ×3, first 2 shown]
	v_add_f64 v[86:87], v[86:87], v[96:97]
	v_add_f64 v[112:113], v[86:87], v[98:99]
	buffer_load_dword v87, off, s[0:3], 0 offset:460
	buffer_load_dword v86, off, s[0:3], 0 offset:456
	;; [unrolled: 1-line block ×72, first 2 shown]
	s_waitcnt vmcnt(62)
	v_fmac_f64_e32 v[110:111], v[8:9], v[70:71]
	v_add_f64 v[142:143], v[112:113], v[110:111]
	ds_read_b128 v[110:113], v150 offset:1088
	s_waitcnt lgkmcnt(1)
	v_mul_f64 v[144:145], v[2:3], v[64:65]
	v_fmac_f64_e32 v[144:145], v[4:5], v[66:67]
	v_add_f64 v[146:147], v[142:143], v[144:145]
	ds_read_b128 v[142:145], v150 offset:1104
	s_waitcnt lgkmcnt(1)
	v_mul_f64 v[148:149], v[110:111], v[82:83]
	;; [unrolled: 5-line block ×5, first 2 shown]
	v_fmac_f64_e32 v[162:163], v[154:155], v[88:89]
	v_add_f64 v[164:165], v[160:161], v[162:163]
	ds_read_b128 v[160:163], v150 offset:1168
	s_waitcnt vmcnt(58) lgkmcnt(1)
	v_mul_f64 v[166:167], v[156:157], v[98:99]
	s_waitcnt vmcnt(56)
	v_fmac_f64_e32 v[166:167], v[158:159], v[100:101]
	v_add_f64 v[168:169], v[164:165], v[166:167]
	ds_read_b128 v[164:167], v150 offset:1184
	s_waitcnt lgkmcnt(1)
	v_mul_f64 v[170:171], v[160:161], v[94:95]
	v_fmac_f64_e32 v[170:171], v[162:163], v[96:97]
	v_mul_f64 v[28:29], v[28:29], v[46:47]
	v_add_f64 v[172:173], v[168:169], v[170:171]
	ds_read_b128 v[168:171], v150 offset:1200
	s_waitcnt vmcnt(50) lgkmcnt(1)
	v_mul_f64 v[174:175], v[164:165], v[106:107]
	v_fma_f64 v[26:27], v[26:27], v[76:77], -v[28:29]
	v_mul_f64 v[24:25], v[24:25], v[52:53]
	s_waitcnt vmcnt(48)
	v_fmac_f64_e32 v[174:175], v[166:167], v[108:109]
	v_add_f64 v[26:27], v[30:31], v[26:27]
	v_fma_f64 v[22:23], v[22:23], v[74:75], -v[24:25]
	v_add_f64 v[176:177], v[172:173], v[174:175]
	ds_read_b128 v[172:175], v150 offset:1216
	v_add_f64 v[22:23], v[26:27], v[22:23]
	v_mul_f64 v[16:17], v[16:17], v[58:59]
	v_add_f64 v[18:19], v[22:23], v[18:19]
	v_fma_f64 v[14:15], v[14:15], v[72:73], -v[16:17]
	v_add_f64 v[14:15], v[18:19], v[14:15]
	v_mul_f64 v[8:9], v[8:9], v[68:69]
	s_waitcnt lgkmcnt(1)
	v_mul_f64 v[178:179], v[168:169], v[102:103]
	v_add_f64 v[10:11], v[14:15], v[10:11]
	v_fma_f64 v[6:7], v[6:7], v[70:71], -v[8:9]
	v_mul_f64 v[4:5], v[4:5], v[64:65]
	v_fmac_f64_e32 v[178:179], v[170:171], v[104:105]
	v_add_f64 v[6:7], v[10:11], v[6:7]
	v_fma_f64 v[2:3], v[2:3], v[66:67], -v[4:5]
	v_mul_f64 v[4:5], v[112:113], v[82:83]
	v_add_f64 v[180:181], v[176:177], v[178:179]
	ds_read_b128 v[176:179], v150 offset:1232
	s_waitcnt vmcnt(42) lgkmcnt(1)
	v_mul_f64 v[182:183], v[172:173], v[118:119]
	v_add_f64 v[2:3], v[6:7], v[2:3]
	v_fma_f64 v[4:5], v[110:111], v[84:85], -v[4:5]
	s_waitcnt vmcnt(40)
	v_fmac_f64_e32 v[182:183], v[174:175], v[120:121]
	v_add_f64 v[2:3], v[2:3], v[4:5]
	v_mul_f64 v[4:5], v[144:145], v[78:79]
	v_add_f64 v[184:185], v[180:181], v[182:183]
	ds_read_b128 v[180:183], v150 offset:1248
	v_fma_f64 v[4:5], v[142:143], v[80:81], -v[4:5]
	v_add_f64 v[2:3], v[2:3], v[4:5]
	v_mul_f64 v[4:5], v[148:149], v[90:91]
	v_fma_f64 v[4:5], v[146:147], v[92:93], -v[4:5]
	s_waitcnt lgkmcnt(1)
	v_mul_f64 v[186:187], v[176:177], v[114:115]
	v_add_f64 v[2:3], v[2:3], v[4:5]
	v_mul_f64 v[4:5], v[154:155], v[86:87]
	v_fmac_f64_e32 v[186:187], v[178:179], v[116:117]
	v_fma_f64 v[4:5], v[152:153], v[88:89], -v[4:5]
	v_add_f64 v[190:191], v[184:185], v[186:187]
	ds_read_b128 v[184:187], v150 offset:1264
	s_waitcnt vmcnt(34) lgkmcnt(1)
	v_mul_f64 v[192:193], v[180:181], v[126:127]
	v_add_f64 v[2:3], v[2:3], v[4:5]
	v_mul_f64 v[4:5], v[158:159], v[98:99]
	s_waitcnt vmcnt(32)
	v_fmac_f64_e32 v[192:193], v[182:183], v[128:129]
	v_fma_f64 v[4:5], v[156:157], v[100:101], -v[4:5]
	v_add_f64 v[194:195], v[190:191], v[192:193]
	ds_read_b128 v[190:193], v150 offset:1280
	v_add_f64 v[2:3], v[2:3], v[4:5]
	v_mul_f64 v[4:5], v[162:163], v[94:95]
	v_fma_f64 v[4:5], v[160:161], v[96:97], -v[4:5]
	v_add_f64 v[2:3], v[2:3], v[4:5]
	v_mul_f64 v[4:5], v[166:167], v[106:107]
	s_waitcnt lgkmcnt(1)
	v_mul_f64 v[196:197], v[184:185], v[122:123]
	v_fma_f64 v[4:5], v[164:165], v[108:109], -v[4:5]
	v_fmac_f64_e32 v[196:197], v[186:187], v[124:125]
	v_add_f64 v[2:3], v[2:3], v[4:5]
	v_mul_f64 v[4:5], v[170:171], v[102:103]
	v_add_f64 v[206:207], v[194:195], v[196:197]
	ds_read_b128 v[194:197], v150 offset:1296
	s_waitcnt vmcnt(26) lgkmcnt(1)
	v_mul_f64 v[208:209], v[190:191], v[134:135]
	v_fma_f64 v[4:5], v[168:169], v[104:105], -v[4:5]
	s_waitcnt vmcnt(24)
	v_fmac_f64_e32 v[208:209], v[192:193], v[136:137]
	v_add_f64 v[2:3], v[2:3], v[4:5]
	v_mul_f64 v[4:5], v[174:175], v[118:119]
	v_add_f64 v[210:211], v[206:207], v[208:209]
	ds_read_b128 v[206:209], v150 offset:1312
	v_fma_f64 v[4:5], v[172:173], v[120:121], -v[4:5]
	v_add_f64 v[2:3], v[2:3], v[4:5]
	v_mul_f64 v[4:5], v[178:179], v[114:115]
	v_fma_f64 v[4:5], v[176:177], v[116:117], -v[4:5]
	s_waitcnt lgkmcnt(1)
	v_mul_f64 v[212:213], v[194:195], v[130:131]
	v_add_f64 v[2:3], v[2:3], v[4:5]
	v_mul_f64 v[4:5], v[182:183], v[126:127]
	v_fmac_f64_e32 v[212:213], v[196:197], v[132:133]
	v_fma_f64 v[4:5], v[180:181], v[128:129], -v[4:5]
	v_add_f64 v[214:215], v[210:211], v[212:213]
	ds_read_b128 v[210:213], v150 offset:1328
	s_waitcnt vmcnt(18) lgkmcnt(1)
	v_mul_f64 v[216:217], v[206:207], v[188:189]
	v_add_f64 v[2:3], v[2:3], v[4:5]
	v_mul_f64 v[4:5], v[186:187], v[122:123]
	s_waitcnt vmcnt(16)
	v_fmac_f64_e32 v[216:217], v[208:209], v[198:199]
	v_fma_f64 v[4:5], v[184:185], v[124:125], -v[4:5]
	v_add_f64 v[218:219], v[214:215], v[216:217]
	ds_read_b128 v[214:217], v150 offset:1344
	v_add_f64 v[2:3], v[2:3], v[4:5]
	v_mul_f64 v[4:5], v[192:193], v[134:135]
	v_fma_f64 v[4:5], v[190:191], v[136:137], -v[4:5]
	v_add_f64 v[2:3], v[2:3], v[4:5]
	v_mul_f64 v[4:5], v[196:197], v[130:131]
	s_waitcnt lgkmcnt(1)
	v_mul_f64 v[220:221], v[210:211], v[138:139]
	v_fma_f64 v[4:5], v[194:195], v[132:133], -v[4:5]
	v_fmac_f64_e32 v[220:221], v[212:213], v[140:141]
	v_add_f64 v[2:3], v[2:3], v[4:5]
	v_mul_f64 v[4:5], v[208:209], v[188:189]
	v_add_f64 v[222:223], v[218:219], v[220:221]
	ds_read_b128 v[218:221], v150 offset:1360
	s_waitcnt vmcnt(10) lgkmcnt(1)
	v_mul_f64 v[224:225], v[214:215], v[204:205]
	v_fma_f64 v[4:5], v[206:207], v[198:199], -v[4:5]
	s_waitcnt vmcnt(8)
	v_fmac_f64_e32 v[224:225], v[216:217], v[230:231]
	v_add_f64 v[2:3], v[2:3], v[4:5]
	v_mul_f64 v[4:5], v[212:213], v[138:139]
	v_add_f64 v[240:241], v[222:223], v[224:225]
	ds_read_b128 v[222:225], v150 offset:1376
	ds_read_b128 v[226:229], v150 offset:1392
	v_fma_f64 v[4:5], v[210:211], v[140:141], -v[4:5]
	v_add_f64 v[2:3], v[2:3], v[4:5]
	v_mul_f64 v[4:5], v[216:217], v[204:205]
	v_fma_f64 v[4:5], v[214:215], v[230:231], -v[4:5]
	v_add_f64 v[2:3], v[2:3], v[4:5]
	s_waitcnt lgkmcnt(2)
	v_mul_f64 v[4:5], v[220:221], v[200:201]
	v_mul_f64 v[242:243], v[218:219], v[200:201]
	v_fma_f64 v[4:5], v[218:219], v[202:203], -v[4:5]
	v_fmac_f64_e32 v[242:243], v[220:221], v[202:203]
	v_add_f64 v[2:3], v[2:3], v[4:5]
	s_waitcnt vmcnt(2) lgkmcnt(1)
	v_mul_f64 v[4:5], v[224:225], v[236:237]
	v_add_f64 v[240:241], v[240:241], v[242:243]
	v_mul_f64 v[242:243], v[222:223], v[236:237]
	s_waitcnt vmcnt(0)
	v_fma_f64 v[4:5], v[222:223], v[238:239], -v[4:5]
	v_fmac_f64_e32 v[242:243], v[224:225], v[238:239]
	v_add_f64 v[2:3], v[2:3], v[4:5]
	s_waitcnt lgkmcnt(0)
	v_mul_f64 v[4:5], v[228:229], v[232:233]
	v_add_f64 v[240:241], v[240:241], v[242:243]
	v_mul_f64 v[242:243], v[226:227], v[232:233]
	v_fma_f64 v[4:5], v[226:227], v[234:235], -v[4:5]
	v_fmac_f64_e32 v[242:243], v[228:229], v[234:235]
	v_add_f64 v[2:3], v[2:3], v[4:5]
	v_add_f64 v[240:241], v[240:241], v[242:243]
	v_add_f64 v[2:3], v[62:63], -v[2:3]
	v_add_f64 v[4:5], v[60:61], -v[240:241]
	buffer_store_dword v3, off, s[0:3], 0 offset:244
	buffer_store_dword v2, off, s[0:3], 0 offset:240
	;; [unrolled: 1-line block ×4, first 2 shown]
	s_and_saveexec_b64 s[4:5], vcc
	s_cbranch_execz .LBB43_251
; %bb.250:
	v_accvgpr_read_b32 v0, a118
	buffer_load_dword v2, v0, s[0:3], 0 offen
	buffer_load_dword v3, v0, s[0:3], 0 offen offset:4
	buffer_load_dword v4, v0, s[0:3], 0 offen offset:8
	buffer_load_dword v5, v0, s[0:3], 0 offen offset:12
	v_accvgpr_read_b32 v0, a132
	buffer_store_dword v150, off, s[0:3], 0 offset:224
	buffer_store_dword v150, off, s[0:3], 0 offset:228
	;; [unrolled: 1-line block ×4, first 2 shown]
	s_waitcnt vmcnt(4)
	ds_write_b128 v0, v[2:5]
.LBB43_251:
	s_or_b64 exec, exec, s[4:5]
	s_waitcnt lgkmcnt(0)
	; wave barrier
	s_waitcnt lgkmcnt(0)
	buffer_load_dword v48, off, s[0:3], 0 offset:240
	buffer_load_dword v49, off, s[0:3], 0 offset:244
	;; [unrolled: 1-line block ×40, first 2 shown]
	ds_read_b128 v[38:41], v150 offset:928
	ds_read_b128 v[34:37], v150 offset:944
	;; [unrolled: 1-line block ×10, first 2 shown]
	buffer_load_dword v83, off, s[0:3], 0 offset:412
	buffer_load_dword v82, off, s[0:3], 0 offset:408
	;; [unrolled: 1-line block ×8, first 2 shown]
	v_cmp_lt_u32_e32 vcc, 12, v255
	s_waitcnt vmcnt(44) lgkmcnt(9)
	v_mul_f64 v[90:91], v[38:39], v[50:51]
	v_fmac_f64_e32 v[90:91], v[40:41], v[48:49]
	v_add_f64 v[90:91], v[90:91], 0
	v_mul_f64 v[40:41], v[40:41], v[50:51]
	s_waitcnt vmcnt(40) lgkmcnt(8)
	v_mul_f64 v[92:93], v[34:35], v[44:45]
	v_fmac_f64_e32 v[92:93], v[36:37], v[42:43]
	s_waitcnt vmcnt(38) lgkmcnt(7)
	v_mul_f64 v[94:95], v[30:31], v[46:47]
	v_add_f64 v[90:91], v[90:91], v[92:93]
	s_waitcnt vmcnt(36) lgkmcnt(5)
	v_mul_f64 v[98:99], v[22:23], v[52:53]
	v_mul_f64 v[36:37], v[36:37], v[44:45]
	s_waitcnt vmcnt(34)
	v_fmac_f64_e32 v[98:99], v[24:25], v[54:55]
	v_fma_f64 v[34:35], v[34:35], v[42:43], -v[36:37]
	s_waitcnt vmcnt(32)
	v_mul_f64 v[96:97], v[26:27], v[56:57]
	v_mul_f64 v[24:25], v[24:25], v[52:53]
	s_waitcnt vmcnt(30) lgkmcnt(4)
	v_mul_f64 v[100:101], v[18:19], v[62:63]
	v_fma_f64 v[22:23], v[22:23], v[54:55], -v[24:25]
	s_waitcnt vmcnt(28) lgkmcnt(1)
	v_mul_f64 v[122:123], v[2:3], v[64:65]
	s_waitcnt vmcnt(25)
	v_mul_f64 v[104:105], v[6:7], v[68:69]
	s_waitcnt vmcnt(23)
	;; [unrolled: 2-line block ×3, first 2 shown]
	v_fmac_f64_e32 v[102:103], v[12:13], v[72:73]
	v_mul_f64 v[12:13], v[12:13], v[70:71]
	s_waitcnt vmcnt(19)
	v_fmac_f64_e32 v[94:95], v[32:33], v[80:81]
	v_add_f64 v[90:91], v[90:91], v[94:95]
	s_waitcnt vmcnt(17)
	v_fmac_f64_e32 v[96:97], v[28:29], v[78:79]
	v_add_f64 v[90:91], v[90:91], v[96:97]
	;; [unrolled: 3-line block ×3, first 2 shown]
	v_add_f64 v[90:91], v[90:91], v[100:101]
	s_waitcnt vmcnt(13)
	v_fmac_f64_e32 v[104:105], v[8:9], v[74:75]
	v_add_f64 v[90:91], v[90:91], v[102:103]
	v_add_f64 v[124:125], v[90:91], v[104:105]
	buffer_load_dword v91, off, s[0:3], 0 offset:444
	buffer_load_dword v90, off, s[0:3], 0 offset:440
	;; [unrolled: 1-line block ×72, first 2 shown]
	s_waitcnt vmcnt(62)
	v_fmac_f64_e32 v[122:123], v[4:5], v[66:67]
	v_add_f64 v[152:153], v[124:125], v[122:123]
	ds_read_b128 v[122:125], v150 offset:1088
	buffer_load_dword v237, off, s[0:3], 0 offset:716
	buffer_load_dword v236, off, s[0:3], 0 offset:712
	buffer_load_dword v239, off, s[0:3], 0 offset:708
	buffer_load_dword v238, off, s[0:3], 0 offset:704
	s_waitcnt lgkmcnt(1)
	v_mul_f64 v[154:155], v[14:15], v[86:87]
	v_fmac_f64_e32 v[154:155], v[16:17], v[88:89]
	v_add_f64 v[156:157], v[152:153], v[154:155]
	ds_read_b128 v[152:155], v150 offset:1104
	s_waitcnt lgkmcnt(1)
	v_mul_f64 v[158:159], v[122:123], v[82:83]
	v_fmac_f64_e32 v[158:159], v[124:125], v[84:85]
	v_add_f64 v[160:161], v[156:157], v[158:159]
	ds_read_b128 v[156:159], v150 offset:1120
	v_mul_f64 v[32:33], v[32:33], v[46:47]
	s_waitcnt lgkmcnt(1)
	v_mul_f64 v[162:163], v[152:153], v[94:95]
	v_fma_f64 v[30:31], v[30:31], v[80:81], -v[32:33]
	v_fmac_f64_e32 v[162:163], v[154:155], v[96:97]
	v_add_f64 v[164:165], v[160:161], v[162:163]
	ds_read_b128 v[160:163], v150 offset:1136
	s_waitcnt lgkmcnt(1)
	v_mul_f64 v[166:167], v[156:157], v[90:91]
	v_fmac_f64_e32 v[166:167], v[158:159], v[92:93]
	v_add_f64 v[168:169], v[164:165], v[166:167]
	ds_read_b128 v[164:167], v150 offset:1152
	s_waitcnt vmcnt(62) lgkmcnt(1)
	v_mul_f64 v[170:171], v[160:161], v[102:103]
	s_waitcnt vmcnt(60)
	v_fmac_f64_e32 v[170:171], v[162:163], v[104:105]
	v_add_f64 v[172:173], v[168:169], v[170:171]
	ds_read_b128 v[168:171], v150 offset:1168
	s_waitcnt lgkmcnt(1)
	v_mul_f64 v[174:175], v[164:165], v[98:99]
	v_fmac_f64_e32 v[174:175], v[166:167], v[100:101]
	v_add_f64 v[176:177], v[172:173], v[174:175]
	ds_read_b128 v[172:175], v150 offset:1184
	s_waitcnt vmcnt(54) lgkmcnt(1)
	v_mul_f64 v[178:179], v[168:169], v[110:111]
	s_waitcnt vmcnt(52)
	;; [unrolled: 11-line block ×7, first 2 shown]
	v_fmac_f64_e32 v[228:229], v[220:221], v[202:203]
	v_add_f64 v[240:241], v[226:227], v[228:229]
	ds_read_b128 v[226:229], v150 offset:1360
	s_waitcnt lgkmcnt(1)
	v_mul_f64 v[242:243], v[222:223], v[188:189]
	v_fmac_f64_e32 v[242:243], v[224:225], v[198:199]
	v_add_f64 v[240:241], v[240:241], v[242:243]
	v_fma_f64 v[242:243], v[38:39], v[48:49], -v[40:41]
	ds_read_b128 v[38:41], v150 offset:1376
	ds_read_b128 v[48:51], v150 offset:1392
	s_waitcnt vmcnt(6) lgkmcnt(2)
	v_mul_f64 v[244:245], v[226:227], v[232:233]
	s_waitcnt vmcnt(4)
	v_fmac_f64_e32 v[244:245], v[228:229], v[234:235]
	v_add_f64 v[150:151], v[240:241], v[244:245]
	s_waitcnt lgkmcnt(1)
	v_mul_f64 v[240:241], v[38:39], v[204:205]
	v_fmac_f64_e32 v[240:241], v[40:41], v[230:231]
	v_add_f64 v[150:151], v[150:151], v[240:241]
	s_waitcnt vmcnt(2) lgkmcnt(0)
	v_mul_f64 v[240:241], v[48:49], v[236:237]
	s_waitcnt vmcnt(0)
	v_fmac_f64_e32 v[240:241], v[50:51], v[238:239]
	v_add_f64 v[150:151], v[150:151], v[240:241]
	v_add_f64 v[240:241], v[242:243], 0
	;; [unrolled: 1-line block ×3, first 2 shown]
	v_mul_f64 v[28:29], v[28:29], v[56:57]
	v_add_f64 v[30:31], v[34:35], v[30:31]
	v_fma_f64 v[26:27], v[26:27], v[78:79], -v[28:29]
	v_add_f64 v[26:27], v[30:31], v[26:27]
	v_mul_f64 v[20:21], v[20:21], v[62:63]
	v_add_f64 v[22:23], v[26:27], v[22:23]
	v_fma_f64 v[18:19], v[18:19], v[76:77], -v[20:21]
	v_add_f64 v[18:19], v[22:23], v[18:19]
	v_fma_f64 v[10:11], v[10:11], v[72:73], -v[12:13]
	v_mul_f64 v[8:9], v[8:9], v[68:69]
	v_add_f64 v[10:11], v[18:19], v[10:11]
	v_fma_f64 v[6:7], v[6:7], v[74:75], -v[8:9]
	v_mul_f64 v[4:5], v[4:5], v[64:65]
	v_add_f64 v[6:7], v[10:11], v[6:7]
	v_fma_f64 v[2:3], v[2:3], v[66:67], -v[4:5]
	v_mul_f64 v[4:5], v[16:17], v[86:87]
	v_add_f64 v[2:3], v[6:7], v[2:3]
	v_fma_f64 v[4:5], v[14:15], v[88:89], -v[4:5]
	v_add_f64 v[2:3], v[2:3], v[4:5]
	v_mul_f64 v[4:5], v[124:125], v[82:83]
	v_fma_f64 v[4:5], v[122:123], v[84:85], -v[4:5]
	v_add_f64 v[2:3], v[2:3], v[4:5]
	v_mul_f64 v[4:5], v[154:155], v[94:95]
	;; [unrolled: 3-line block ×20, first 2 shown]
	v_fma_f64 v[4:5], v[48:49], v[238:239], -v[4:5]
	v_add_f64 v[2:3], v[2:3], v[4:5]
	v_add_f64 v[2:3], v[60:61], -v[2:3]
	v_add_f64 v[4:5], v[58:59], -v[150:151]
	buffer_store_dword v3, off, s[0:3], 0 offset:228
	buffer_store_dword v2, off, s[0:3], 0 offset:224
	;; [unrolled: 1-line block ×4, first 2 shown]
	s_and_saveexec_b64 s[4:5], vcc
	s_cbranch_execz .LBB43_253
; %bb.252:
	v_accvgpr_read_b32 v0, a119
	buffer_load_dword v2, v0, s[0:3], 0 offen
	buffer_load_dword v3, v0, s[0:3], 0 offen offset:4
	buffer_load_dword v4, v0, s[0:3], 0 offen offset:8
	;; [unrolled: 1-line block ×3, first 2 shown]
	v_mov_b32_e32 v0, 0
	v_accvgpr_read_b32 v1, a132
	buffer_store_dword v0, off, s[0:3], 0 offset:208
	buffer_store_dword v0, off, s[0:3], 0 offset:212
	;; [unrolled: 1-line block ×4, first 2 shown]
	s_waitcnt vmcnt(4)
	ds_write_b128 v1, v[2:5]
.LBB43_253:
	s_or_b64 exec, exec, s[4:5]
	s_waitcnt lgkmcnt(0)
	; wave barrier
	s_waitcnt lgkmcnt(0)
	buffer_load_dword v106, off, s[0:3], 0 offset:224
	buffer_load_dword v107, off, s[0:3], 0 offset:228
	buffer_load_dword v108, off, s[0:3], 0 offset:232
	buffer_load_dword v109, off, s[0:3], 0 offset:236
	buffer_load_dword v114, off, s[0:3], 0 offset:240
	buffer_load_dword v115, off, s[0:3], 0 offset:244
	buffer_load_dword v116, off, s[0:3], 0 offset:248
	buffer_load_dword v117, off, s[0:3], 0 offset:252
	buffer_load_dword v118, off, s[0:3], 0 offset:264
	buffer_load_dword v119, off, s[0:3], 0 offset:268
	buffer_load_dword v121, off, s[0:3], 0 offset:300
	buffer_load_dword v120, off, s[0:3], 0 offset:296
	buffer_load_dword v123, off, s[0:3], 0 offset:292
	buffer_load_dword v122, off, s[0:3], 0 offset:288
	buffer_load_dword v125, off, s[0:3], 0 offset:284
	buffer_load_dword v124, off, s[0:3], 0 offset:280
	buffer_load_dword v127, off, s[0:3], 0 offset:332
	buffer_load_dword v126, off, s[0:3], 0 offset:328
	buffer_load_dword v129, off, s[0:3], 0 offset:324
	buffer_load_dword v128, off, s[0:3], 0 offset:320
	buffer_load_dword v131, off, s[0:3], 0 offset:316
	buffer_load_dword v130, off, s[0:3], 0 offset:312
	buffer_load_dword v133, off, s[0:3], 0 offset:364
	buffer_load_dword v132, off, s[0:3], 0 offset:360
	buffer_load_dword v135, off, s[0:3], 0 offset:356
	buffer_load_dword v134, off, s[0:3], 0 offset:352
	buffer_load_dword v141, off, s[0:3], 0 offset:348
	buffer_load_dword v140, off, s[0:3], 0 offset:344
	buffer_load_dword v137, off, s[0:3], 0 offset:380
	buffer_load_dword v136, off, s[0:3], 0 offset:376
	buffer_load_dword v152, off, s[0:3], 0 offset:256
	buffer_load_dword v153, off, s[0:3], 0 offset:260
	buffer_load_dword v151, off, s[0:3], 0 offset:276
	buffer_load_dword v150, off, s[0:3], 0 offset:272
	buffer_load_dword v149, off, s[0:3], 0 offset:308
	buffer_load_dword v148, off, s[0:3], 0 offset:304
	buffer_load_dword v147, off, s[0:3], 0 offset:340
	buffer_load_dword v146, off, s[0:3], 0 offset:336
	buffer_load_dword v145, off, s[0:3], 0 offset:372
	buffer_load_dword v144, off, s[0:3], 0 offset:368
	buffer_load_dword v142, off, s[0:3], 0 offset:392
	buffer_load_dword v154, off, s[0:3], 0 offset:384
	buffer_load_dword v155, off, s[0:3], 0 offset:388
	buffer_load_dword v138, off, s[0:3], 0 offset:208
	buffer_load_dword v139, off, s[0:3], 0 offset:212
	buffer_load_dword v143, off, s[0:3], 0 offset:396
	buffer_load_dword v157, off, s[0:3], 0 offset:428
	buffer_load_dword v156, off, s[0:3], 0 offset:424
	buffer_load_dword v159, off, s[0:3], 0 offset:420
	v_mov_b32_e32 v254, 0
	ds_read_b128 v[110:113], v254 offset:912
	ds_read_b128 v[250:253], v254 offset:928
	;; [unrolled: 1-line block ×10, first 2 shown]
	buffer_load_dword v158, off, s[0:3], 0 offset:416
	buffer_load_dword v173, off, s[0:3], 0 offset:412
	buffer_load_dword v172, off, s[0:3], 0 offset:408
	buffer_load_dword v177, off, s[0:3], 0 offset:404
	buffer_load_dword v176, off, s[0:3], 0 offset:400
	buffer_load_dword v161, off, s[0:3], 0 offset:460
	buffer_load_dword v160, off, s[0:3], 0 offset:456
	buffer_load_dword v163, off, s[0:3], 0 offset:452
	buffer_load_dword v162, off, s[0:3], 0 offset:448
	buffer_load_dword v181, off, s[0:3], 0 offset:444
	buffer_load_dword v180, off, s[0:3], 0 offset:440
	buffer_load_dword v185, off, s[0:3], 0 offset:436
	buffer_load_dword v184, off, s[0:3], 0 offset:432
	buffer_load_dword v165, off, s[0:3], 0 offset:492
	buffer_load_dword v164, off, s[0:3], 0 offset:488
	buffer_load_dword v167, off, s[0:3], 0 offset:484
	buffer_load_dword v166, off, s[0:3], 0 offset:480
	buffer_load_dword v191, off, s[0:3], 0 offset:476
	buffer_load_dword v190, off, s[0:3], 0 offset:472
	buffer_load_dword v195, off, s[0:3], 0 offset:468
	buffer_load_dword v194, off, s[0:3], 0 offset:464
	buffer_load_dword v169, off, s[0:3], 0 offset:524
	buffer_load_dword v168, off, s[0:3], 0 offset:520
	buffer_load_dword v171, off, s[0:3], 0 offset:516
	buffer_load_dword v170, off, s[0:3], 0 offset:512
	buffer_load_dword v207, off, s[0:3], 0 offset:508
	buffer_load_dword v206, off, s[0:3], 0 offset:504
	buffer_load_dword v211, off, s[0:3], 0 offset:500
	buffer_load_dword v210, off, s[0:3], 0 offset:496
	buffer_load_dword v175, off, s[0:3], 0 offset:556
	buffer_load_dword v174, off, s[0:3], 0 offset:552
	buffer_load_dword v179, off, s[0:3], 0 offset:548
	buffer_load_dword v178, off, s[0:3], 0 offset:544
	buffer_load_dword v215, off, s[0:3], 0 offset:540
	buffer_load_dword v214, off, s[0:3], 0 offset:536
	buffer_load_dword v219, off, s[0:3], 0 offset:532
	buffer_load_dword v218, off, s[0:3], 0 offset:528
	buffer_load_dword v183, off, s[0:3], 0 offset:588
	buffer_load_dword v182, off, s[0:3], 0 offset:584
	buffer_load_dword v187, off, s[0:3], 0 offset:580
	buffer_load_dword v186, off, s[0:3], 0 offset:576
	buffer_load_dword v223, off, s[0:3], 0 offset:572
	buffer_load_dword v222, off, s[0:3], 0 offset:568
	buffer_load_dword v225, off, s[0:3], 0 offset:564
	buffer_load_dword v224, off, s[0:3], 0 offset:560
	buffer_load_dword v193, off, s[0:3], 0 offset:620
	buffer_load_dword v192, off, s[0:3], 0 offset:616
	buffer_load_dword v197, off, s[0:3], 0 offset:612
	buffer_load_dword v196, off, s[0:3], 0 offset:608
	buffer_load_dword v227, off, s[0:3], 0 offset:604
	buffer_load_dword v226, off, s[0:3], 0 offset:600
	buffer_load_dword v229, off, s[0:3], 0 offset:596
	buffer_load_dword v228, off, s[0:3], 0 offset:592
	buffer_load_dword v209, off, s[0:3], 0 offset:652
	buffer_load_dword v208, off, s[0:3], 0 offset:648
	buffer_load_dword v213, off, s[0:3], 0 offset:644
	buffer_load_dword v212, off, s[0:3], 0 offset:640
	buffer_load_dword v233, off, s[0:3], 0 offset:636
	buffer_load_dword v232, off, s[0:3], 0 offset:632
	buffer_load_dword v237, off, s[0:3], 0 offset:628
	buffer_load_dword v236, off, s[0:3], 0 offset:624
	buffer_load_dword v217, off, s[0:3], 0 offset:684
	buffer_load_dword v216, off, s[0:3], 0 offset:680
	buffer_load_dword v221, off, s[0:3], 0 offset:676
	buffer_load_dword v220, off, s[0:3], 0 offset:672
	buffer_load_dword v239, off, s[0:3], 0 offset:668
	buffer_load_dword v238, off, s[0:3], 0 offset:664
	buffer_load_dword v241, off, s[0:3], 0 offset:660
	buffer_load_dword v240, off, s[0:3], 0 offset:656
	v_accvgpr_write_b32 a131, v255
	v_cmp_lt_u32_e32 vcc, 11, v255
	s_waitcnt vmcnt(62) lgkmcnt(9)
	v_mul_f64 v[34:35], v[110:111], v[108:109]
	v_fmac_f64_e32 v[34:35], v[112:113], v[106:107]
	v_add_f64 v[34:35], v[34:35], 0
	v_mul_f64 v[108:109], v[112:113], v[108:109]
	s_waitcnt lgkmcnt(8)
	v_mul_f64 v[36:37], v[250:251], v[116:117]
	v_fmac_f64_e32 v[36:37], v[252:253], v[114:115]
	s_waitcnt lgkmcnt(7)
	v_mul_f64 v[38:39], v[30:31], v[118:119]
	v_add_f64 v[34:35], v[34:35], v[36:37]
	s_waitcnt lgkmcnt(5)
	v_mul_f64 v[42:43], v[22:23], v[120:121]
	v_mul_f64 v[116:117], v[252:253], v[116:117]
	v_fmac_f64_e32 v[42:43], v[24:25], v[122:123]
	v_fma_f64 v[248:249], v[110:111], v[106:107], -v[108:109]
	v_mul_f64 v[40:41], v[26:27], v[124:125]
	v_fma_f64 v[250:251], v[250:251], v[114:115], -v[116:117]
	s_waitcnt lgkmcnt(3)
	v_mul_f64 v[46:47], v[14:15], v[126:127]
	v_mul_f64 v[24:25], v[24:25], v[120:121]
	v_fmac_f64_e32 v[46:47], v[16:17], v[128:129]
	v_fma_f64 v[22:23], v[22:23], v[122:123], -v[24:25]
	v_mul_f64 v[44:45], v[18:19], v[130:131]
	v_mul_f64 v[16:17], v[16:17], v[126:127]
	s_waitcnt lgkmcnt(1)
	v_mul_f64 v[50:51], v[6:7], v[132:133]
	v_fma_f64 v[14:15], v[14:15], v[128:129], -v[16:17]
	v_fmac_f64_e32 v[50:51], v[8:9], v[134:135]
	v_mul_f64 v[8:9], v[8:9], v[132:133]
	v_mul_f64 v[48:49], v[10:11], v[140:141]
	v_fma_f64 v[6:7], v[6:7], v[134:135], -v[8:9]
	s_waitcnt lgkmcnt(0)
	v_mul_f64 v[52:53], v[2:3], v[136:137]
	v_fmac_f64_e32 v[38:39], v[32:33], v[152:153]
	v_add_f64 v[34:35], v[34:35], v[38:39]
	v_fmac_f64_e32 v[40:41], v[28:29], v[150:151]
	v_add_f64 v[34:35], v[34:35], v[40:41]
	;; [unrolled: 2-line block ×3, first 2 shown]
	v_add_f64 v[34:35], v[34:35], v[44:45]
	v_fmac_f64_e32 v[48:49], v[12:13], v[146:147]
	v_add_f64 v[34:35], v[34:35], v[46:47]
	v_add_f64 v[34:35], v[34:35], v[48:49]
	v_fmac_f64_e32 v[52:53], v[4:5], v[144:145]
	v_add_f64 v[34:35], v[34:35], v[50:51]
	v_add_f64 v[42:43], v[34:35], v[52:53]
	ds_read_b128 v[38:41], v254 offset:1072
	ds_read_b128 v[34:37], v254 offset:1088
	buffer_load_dword v231, off, s[0:3], 0 offset:716
	buffer_load_dword v230, off, s[0:3], 0 offset:712
	;; [unrolled: 1-line block ×8, first 2 shown]
	ds_read_b128 v[110:113], v254 offset:1360
	ds_read_b128 v[106:109], v254 offset:1376
	s_waitcnt lgkmcnt(3)
	v_mul_f64 v[44:45], v[38:39], v[142:143]
	v_fmac_f64_e32 v[44:45], v[40:41], v[154:155]
	v_add_f64 v[46:47], v[42:43], v[44:45]
	ds_read_b128 v[42:45], v254 offset:1104
	s_waitcnt lgkmcnt(3)
	v_mul_f64 v[48:49], v[34:35], v[172:173]
	v_fmac_f64_e32 v[48:49], v[36:37], v[176:177]
	v_add_f64 v[50:51], v[46:47], v[48:49]
	;; [unrolled: 5-line block ×3, first 2 shown]
	ds_read_b128 v[50:53], v254 offset:1136
	s_waitcnt vmcnt(62) lgkmcnt(1)
	v_mul_f64 v[56:57], v[46:47], v[180:181]
	v_fmac_f64_e32 v[56:57], v[48:49], v[184:185]
	v_add_f64 v[58:59], v[54:55], v[56:57]
	ds_read_b128 v[54:57], v254 offset:1152
	s_waitcnt lgkmcnt(1)
	v_mul_f64 v[60:61], v[50:51], v[160:161]
	v_fmac_f64_e32 v[60:61], v[52:53], v[162:163]
	v_add_f64 v[62:63], v[58:59], v[60:61]
	ds_read_b128 v[58:61], v254 offset:1168
	s_waitcnt vmcnt(58) lgkmcnt(1)
	v_mul_f64 v[64:65], v[54:55], v[190:191]
	s_waitcnt vmcnt(56)
	v_fmac_f64_e32 v[64:65], v[56:57], v[194:195]
	v_add_f64 v[66:67], v[62:63], v[64:65]
	ds_read_b128 v[62:65], v254 offset:1184
	s_waitcnt lgkmcnt(1)
	v_mul_f64 v[68:69], v[58:59], v[164:165]
	v_fmac_f64_e32 v[68:69], v[60:61], v[166:167]
	v_add_f64 v[70:71], v[66:67], v[68:69]
	ds_read_b128 v[66:69], v254 offset:1200
	s_waitcnt vmcnt(50) lgkmcnt(1)
	v_mul_f64 v[72:73], v[62:63], v[206:207]
	s_waitcnt vmcnt(48)
	;; [unrolled: 11-line block ×5, first 2 shown]
	v_fmac_f64_e32 v[96:97], v[88:89], v[228:229]
	v_add_f64 v[98:99], v[94:95], v[96:97]
	ds_read_b128 v[94:97], v254 offset:1312
	s_waitcnt lgkmcnt(1)
	v_mul_f64 v[100:101], v[90:91], v[192:193]
	v_fmac_f64_e32 v[100:101], v[92:93], v[196:197]
	v_add_f64 v[188:189], v[98:99], v[100:101]
	ds_read_b128 v[98:101], v254 offset:1328
	ds_read_b128 v[102:105], v254 offset:1344
	;; [unrolled: 1-line block ×3, first 2 shown]
	buffer_load_dword v252, off, s[0:3], 0 offset:216
	buffer_load_dword v253, off, s[0:3], 0 offset:220
	s_waitcnt vmcnt(20) lgkmcnt(3)
	v_mul_f64 v[198:199], v[94:95], v[232:233]
	s_waitcnt vmcnt(18)
	v_fmac_f64_e32 v[198:199], v[96:97], v[236:237]
	v_add_f64 v[188:189], v[188:189], v[198:199]
	s_waitcnt lgkmcnt(2)
	v_mul_f64 v[198:199], v[98:99], v[208:209]
	v_fmac_f64_e32 v[198:199], v[100:101], v[212:213]
	v_add_f64 v[188:189], v[188:189], v[198:199]
	s_waitcnt vmcnt(12) lgkmcnt(1)
	v_mul_f64 v[198:199], v[102:103], v[238:239]
	s_waitcnt vmcnt(10)
	v_fmac_f64_e32 v[198:199], v[104:105], v[240:241]
	v_add_f64 v[188:189], v[188:189], v[198:199]
	v_mul_f64 v[198:199], v[110:111], v[216:217]
	v_fmac_f64_e32 v[198:199], v[112:113], v[220:221]
	v_add_f64 v[188:189], v[188:189], v[198:199]
	s_waitcnt vmcnt(4)
	v_mul_f64 v[198:199], v[106:107], v[242:243]
	v_mul_f64 v[32:33], v[32:33], v[118:119]
	s_waitcnt vmcnt(2)
	v_fmac_f64_e32 v[198:199], v[108:109], v[244:245]
	v_add_f64 v[188:189], v[188:189], v[198:199]
	s_waitcnt lgkmcnt(0)
	v_mul_f64 v[198:199], v[114:115], v[230:231]
	v_fmac_f64_e32 v[198:199], v[116:117], v[234:235]
	v_add_f64 v[246:247], v[188:189], v[198:199]
	v_add_f64 v[188:189], v[248:249], 0
	;; [unrolled: 1-line block ×3, first 2 shown]
	v_fma_f64 v[30:31], v[30:31], v[152:153], -v[32:33]
	v_mul_f64 v[28:29], v[28:29], v[124:125]
	v_add_f64 v[30:31], v[188:189], v[30:31]
	v_fma_f64 v[26:27], v[26:27], v[150:151], -v[28:29]
	v_add_f64 v[26:27], v[30:31], v[26:27]
	v_mul_f64 v[20:21], v[20:21], v[130:131]
	v_add_f64 v[22:23], v[26:27], v[22:23]
	v_fma_f64 v[18:19], v[18:19], v[148:149], -v[20:21]
	v_add_f64 v[18:19], v[22:23], v[18:19]
	v_mul_f64 v[12:13], v[12:13], v[140:141]
	v_add_f64 v[14:15], v[18:19], v[14:15]
	v_fma_f64 v[10:11], v[10:11], v[146:147], -v[12:13]
	v_add_f64 v[10:11], v[14:15], v[10:11]
	v_mul_f64 v[4:5], v[4:5], v[136:137]
	v_add_f64 v[6:7], v[10:11], v[6:7]
	v_fma_f64 v[2:3], v[2:3], v[144:145], -v[4:5]
	v_mul_f64 v[4:5], v[40:41], v[142:143]
	v_add_f64 v[2:3], v[6:7], v[2:3]
	v_fma_f64 v[4:5], v[38:39], v[154:155], -v[4:5]
	v_add_f64 v[2:3], v[2:3], v[4:5]
	v_mul_f64 v[4:5], v[36:37], v[172:173]
	v_fma_f64 v[4:5], v[34:35], v[176:177], -v[4:5]
	v_add_f64 v[2:3], v[2:3], v[4:5]
	v_mul_f64 v[4:5], v[44:45], v[156:157]
	;; [unrolled: 3-line block ×20, first 2 shown]
	v_fma_f64 v[4:5], v[114:115], v[234:235], -v[4:5]
	v_add_f64 v[2:3], v[2:3], v[4:5]
	v_add_f64 v[2:3], v[138:139], -v[2:3]
	s_waitcnt vmcnt(0)
	v_add_f64 v[4:5], v[252:253], -v[246:247]
	buffer_store_dword v3, off, s[0:3], 0 offset:212
	buffer_store_dword v2, off, s[0:3], 0 offset:208
	;; [unrolled: 1-line block ×4, first 2 shown]
	s_and_saveexec_b64 s[4:5], vcc
	s_cbranch_execz .LBB43_255
; %bb.254:
	v_accvgpr_read_b32 v0, a120
	buffer_load_dword v2, v0, s[0:3], 0 offen
	buffer_load_dword v3, v0, s[0:3], 0 offen offset:4
	buffer_load_dword v4, v0, s[0:3], 0 offen offset:8
	;; [unrolled: 1-line block ×3, first 2 shown]
	v_accvgpr_read_b32 v0, a132
	buffer_store_dword v254, off, s[0:3], 0 offset:192
	buffer_store_dword v254, off, s[0:3], 0 offset:196
	;; [unrolled: 1-line block ×4, first 2 shown]
	s_waitcnt vmcnt(4)
	ds_write_b128 v0, v[2:5]
.LBB43_255:
	s_or_b64 exec, exec, s[4:5]
	s_waitcnt lgkmcnt(0)
	; wave barrier
	s_waitcnt lgkmcnt(0)
	buffer_load_dword v112, off, s[0:3], 0 offset:208
	buffer_load_dword v113, off, s[0:3], 0 offset:212
	;; [unrolled: 1-line block ×36, first 2 shown]
	ds_read_b128 v[102:105], v254 offset:896
	ds_read_b128 v[106:109], v254 offset:912
	;; [unrolled: 1-line block ×9, first 2 shown]
	buffer_load_dword v143, off, s[0:3], 0 offset:380
	buffer_load_dword v142, off, s[0:3], 0 offset:376
	;; [unrolled: 1-line block ×78, first 2 shown]
	v_accvgpr_read_b32 v1, a131
	v_cmp_lt_u32_e32 vcc, 10, v1
	s_waitcnt vmcnt(62) lgkmcnt(8)
	v_mul_f64 v[26:27], v[102:103], v[246:247]
	v_fmac_f64_e32 v[26:27], v[104:105], v[112:113]
	v_add_f64 v[26:27], v[26:27], 0
	v_mul_f64 v[104:105], v[104:105], v[246:247]
	s_waitcnt lgkmcnt(7)
	v_mul_f64 v[28:29], v[106:107], v[248:249]
	v_fmac_f64_e32 v[28:29], v[108:109], v[110:111]
	s_waitcnt lgkmcnt(6)
	v_mul_f64 v[30:31], v[114:115], v[244:245]
	v_add_f64 v[26:27], v[26:27], v[28:29]
	s_waitcnt lgkmcnt(4)
	v_mul_f64 v[34:35], v[18:19], v[118:119]
	v_fma_f64 v[246:247], v[102:103], v[112:113], -v[104:105]
	v_fmac_f64_e32 v[34:35], v[20:21], v[120:121]
	v_mul_f64 v[108:109], v[108:109], v[248:249]
	v_mul_f64 v[32:33], v[22:23], v[122:123]
	v_fma_f64 v[248:249], v[106:107], v[110:111], -v[108:109]
	s_waitcnt lgkmcnt(2)
	v_mul_f64 v[38:39], v[10:11], v[124:125]
	v_mul_f64 v[20:21], v[20:21], v[118:119]
	v_fmac_f64_e32 v[38:39], v[12:13], v[126:127]
	v_fma_f64 v[18:19], v[18:19], v[120:121], -v[20:21]
	v_mul_f64 v[36:37], v[14:15], v[130:131]
	v_mul_f64 v[12:13], v[12:13], v[124:125]
	s_waitcnt lgkmcnt(1)
	v_mul_f64 v[40:41], v[6:7], v[128:129]
	v_fma_f64 v[10:11], v[10:11], v[126:127], -v[12:13]
	v_fmac_f64_e32 v[30:31], v[116:117], v[250:251]
	v_add_f64 v[26:27], v[26:27], v[30:31]
	v_fmac_f64_e32 v[32:33], v[24:25], v[138:139]
	v_add_f64 v[26:27], v[26:27], v[32:33]
	;; [unrolled: 2-line block ×3, first 2 shown]
	v_add_f64 v[26:27], v[26:27], v[36:37]
	v_fmac_f64_e32 v[40:41], v[8:9], v[134:135]
	v_add_f64 v[30:31], v[26:27], v[38:39]
	v_add_f64 v[30:31], v[30:31], v[40:41]
	s_waitcnt lgkmcnt(0)
	v_mul_f64 v[32:33], v[2:3], v[132:133]
	v_fmac_f64_e32 v[32:33], v[4:5], v[140:141]
	ds_read_b128 v[26:29], v254 offset:1040
	v_add_f64 v[34:35], v[30:31], v[32:33]
	ds_read_b128 v[30:33], v254 offset:1056
	buffer_load_dword v231, off, s[0:3], 0 offset:644
	buffer_load_dword v230, off, s[0:3], 0 offset:640
	v_mul_f64 v[116:117], v[116:117], v[244:245]
	s_waitcnt lgkmcnt(1)
	v_mul_f64 v[36:37], v[26:27], v[146:147]
	v_fmac_f64_e32 v[36:37], v[28:29], v[148:149]
	v_add_f64 v[38:39], v[34:35], v[36:37]
	ds_read_b128 v[34:37], v254 offset:1072
	s_waitcnt lgkmcnt(1)
	v_mul_f64 v[40:41], v[30:31], v[142:143]
	v_fmac_f64_e32 v[40:41], v[32:33], v[144:145]
	v_add_f64 v[42:43], v[38:39], v[40:41]
	ds_read_b128 v[38:41], v254 offset:1088
	;; [unrolled: 5-line block ×4, first 2 shown]
	buffer_load_dword v233, off, s[0:3], 0 offset:700
	buffer_load_dword v235, off, s[0:3], 0 offset:684
	buffer_load_dword v234, off, s[0:3], 0 offset:680
	buffer_load_dword v241, off, s[0:3], 0 offset:676
	buffer_load_dword v240, off, s[0:3], 0 offset:672
	buffer_load_dword v232, off, s[0:3], 0 offset:696
	buffer_load_dword v239, off, s[0:3], 0 offset:692
	buffer_load_dword v238, off, s[0:3], 0 offset:688
	buffer_load_dword v237, off, s[0:3], 0 offset:716
	buffer_load_dword v236, off, s[0:3], 0 offset:712
	buffer_load_dword v243, off, s[0:3], 0 offset:708
	buffer_load_dword v242, off, s[0:3], 0 offset:704
	s_waitcnt vmcnt(62) lgkmcnt(1)
	v_mul_f64 v[52:53], v[42:43], v[174:175]
	v_fmac_f64_e32 v[52:53], v[44:45], v[178:179]
	v_add_f64 v[54:55], v[50:51], v[52:53]
	ds_read_b128 v[50:53], v254 offset:1136
	s_waitcnt lgkmcnt(1)
	v_mul_f64 v[56:57], v[46:47], v[154:155]
	v_fmac_f64_e32 v[56:57], v[48:49], v[156:157]
	v_add_f64 v[58:59], v[54:55], v[56:57]
	ds_read_b128 v[54:57], v254 offset:1152
	s_waitcnt lgkmcnt(1)
	v_mul_f64 v[60:61], v[50:51], v[182:183]
	s_waitcnt vmcnt(60)
	v_fmac_f64_e32 v[60:61], v[52:53], v[186:187]
	v_add_f64 v[62:63], v[58:59], v[60:61]
	ds_read_b128 v[58:61], v254 offset:1168
	s_waitcnt lgkmcnt(1)
	v_mul_f64 v[64:65], v[54:55], v[162:163]
	v_fmac_f64_e32 v[64:65], v[56:57], v[164:165]
	v_add_f64 v[66:67], v[62:63], v[64:65]
	ds_read_b128 v[62:65], v254 offset:1184
	s_waitcnt vmcnt(54) lgkmcnt(1)
	v_mul_f64 v[68:69], v[58:59], v[192:193]
	s_waitcnt vmcnt(52)
	v_fmac_f64_e32 v[68:69], v[60:61], v[196:197]
	v_add_f64 v[70:71], v[66:67], v[68:69]
	ds_read_b128 v[66:69], v254 offset:1200
	s_waitcnt lgkmcnt(1)
	v_mul_f64 v[72:73], v[62:63], v[166:167]
	v_fmac_f64_e32 v[72:73], v[64:65], v[168:169]
	v_add_f64 v[74:75], v[70:71], v[72:73]
	ds_read_b128 v[70:73], v254 offset:1216
	s_waitcnt vmcnt(46) lgkmcnt(1)
	;; [unrolled: 11-line block ×4, first 2 shown]
	v_mul_f64 v[92:93], v[82:83], v[220:221]
	s_waitcnt vmcnt(28)
	v_fmac_f64_e32 v[92:93], v[84:85], v[222:223]
	v_add_f64 v[98:99], v[90:91], v[92:93]
	ds_read_b128 v[90:93], v254 offset:1296
	ds_read_b128 v[94:97], v254 offset:1312
	s_waitcnt lgkmcnt(2)
	v_mul_f64 v[100:101], v[86:87], v[184:185]
	v_fmac_f64_e32 v[100:101], v[88:89], v[190:191]
	v_add_f64 v[98:99], v[98:99], v[100:101]
	s_waitcnt vmcnt(22) lgkmcnt(1)
	v_mul_f64 v[100:101], v[90:91], v[224:225]
	s_waitcnt vmcnt(20)
	v_fmac_f64_e32 v[100:101], v[92:93], v[226:227]
	v_add_f64 v[98:99], v[98:99], v[100:101]
	s_waitcnt lgkmcnt(0)
	v_mul_f64 v[100:101], v[94:95], v[194:195]
	v_fmac_f64_e32 v[100:101], v[96:97], v[206:207]
	v_add_f64 v[188:189], v[98:99], v[100:101]
	ds_read_b128 v[98:101], v254 offset:1328
	ds_read_b128 v[102:105], v254 offset:1344
	;; [unrolled: 1-line block ×3, first 2 shown]
	v_fma_f64 v[250:251], v[114:115], v[250:251], -v[116:117]
	ds_read_b128 v[114:117], v254 offset:1392
	s_waitcnt vmcnt(14) lgkmcnt(3)
	v_mul_f64 v[112:113], v[98:99], v[228:229]
	s_waitcnt lgkmcnt(2)
	v_mul_f64 v[110:111], v[102:103], v[210:211]
	s_waitcnt vmcnt(12)
	v_fmac_f64_e32 v[112:113], v[100:101], v[230:231]
	v_add_f64 v[112:113], v[188:189], v[112:113]
	v_fmac_f64_e32 v[110:111], v[104:105], v[214:215]
	v_add_f64 v[188:189], v[112:113], v[110:111]
	ds_read_b128 v[110:113], v254 offset:1376
	buffer_load_dword v254, off, s[0:3], 0 offset:192
	buffer_load_dword v255, off, s[0:3], 0 offset:196
	;; [unrolled: 1-line block ×4, first 2 shown]
	v_mul_f64 v[24:25], v[24:25], v[122:123]
	v_fma_f64 v[22:23], v[22:23], v[138:139], -v[24:25]
	v_mul_f64 v[16:17], v[16:17], v[130:131]
	s_waitcnt vmcnt(13) lgkmcnt(2)
	v_mul_f64 v[198:199], v[106:107], v[234:235]
	v_fma_f64 v[14:15], v[14:15], v[136:137], -v[16:17]
	s_waitcnt vmcnt(11)
	v_fmac_f64_e32 v[198:199], v[108:109], v[240:241]
	v_add_f64 v[188:189], v[188:189], v[198:199]
	s_waitcnt vmcnt(10) lgkmcnt(0)
	v_mul_f64 v[198:199], v[110:111], v[232:233]
	s_waitcnt vmcnt(8)
	v_fmac_f64_e32 v[198:199], v[112:113], v[238:239]
	v_add_f64 v[188:189], v[188:189], v[198:199]
	s_waitcnt vmcnt(6)
	v_mul_f64 v[198:199], v[114:115], v[236:237]
	v_mul_f64 v[8:9], v[8:9], v[128:129]
	s_waitcnt vmcnt(4)
	v_fmac_f64_e32 v[198:199], v[116:117], v[242:243]
	v_add_f64 v[244:245], v[188:189], v[198:199]
	v_add_f64 v[188:189], v[246:247], 0
	v_add_f64 v[188:189], v[188:189], v[248:249]
	v_add_f64 v[188:189], v[188:189], v[250:251]
	v_add_f64 v[22:23], v[188:189], v[22:23]
	v_add_f64 v[18:19], v[22:23], v[18:19]
	v_add_f64 v[14:15], v[18:19], v[14:15]
	v_add_f64 v[10:11], v[14:15], v[10:11]
	v_fma_f64 v[6:7], v[6:7], v[134:135], -v[8:9]
	v_mul_f64 v[4:5], v[4:5], v[132:133]
	v_add_f64 v[6:7], v[10:11], v[6:7]
	v_fma_f64 v[2:3], v[2:3], v[140:141], -v[4:5]
	v_mul_f64 v[4:5], v[28:29], v[146:147]
	v_add_f64 v[2:3], v[6:7], v[2:3]
	v_fma_f64 v[4:5], v[26:27], v[148:149], -v[4:5]
	v_add_f64 v[2:3], v[2:3], v[4:5]
	v_mul_f64 v[4:5], v[32:33], v[142:143]
	v_fma_f64 v[4:5], v[30:31], v[144:145], -v[4:5]
	v_add_f64 v[2:3], v[2:3], v[4:5]
	v_mul_f64 v[4:5], v[36:37], v[158:159]
	;; [unrolled: 3-line block ×22, first 2 shown]
	v_fma_f64 v[4:5], v[114:115], v[242:243], -v[4:5]
	v_add_f64 v[2:3], v[2:3], v[4:5]
	s_waitcnt vmcnt(2)
	v_add_f64 v[2:3], v[254:255], -v[2:3]
	s_waitcnt vmcnt(0)
	v_add_f64 v[4:5], v[252:253], -v[244:245]
	buffer_store_dword v3, off, s[0:3], 0 offset:196
	buffer_store_dword v2, off, s[0:3], 0 offset:192
	;; [unrolled: 1-line block ×4, first 2 shown]
	s_and_saveexec_b64 s[4:5], vcc
	s_cbranch_execz .LBB43_257
; %bb.256:
	v_accvgpr_read_b32 v0, a121
	buffer_load_dword v2, v0, s[0:3], 0 offen
	buffer_load_dword v3, v0, s[0:3], 0 offen offset:4
	buffer_load_dword v4, v0, s[0:3], 0 offen offset:8
	;; [unrolled: 1-line block ×3, first 2 shown]
	v_mov_b32_e32 v0, 0
	v_accvgpr_read_b32 v6, a132
	buffer_store_dword v0, off, s[0:3], 0 offset:176
	buffer_store_dword v0, off, s[0:3], 0 offset:180
	;; [unrolled: 1-line block ×4, first 2 shown]
	s_waitcnt vmcnt(4)
	ds_write_b128 v6, v[2:5]
.LBB43_257:
	s_or_b64 exec, exec, s[4:5]
	s_waitcnt lgkmcnt(0)
	; wave barrier
	s_waitcnt lgkmcnt(0)
	buffer_load_dword v94, off, s[0:3], 0 offset:192
	buffer_load_dword v95, off, s[0:3], 0 offset:196
	;; [unrolled: 1-line block ×52, first 2 shown]
	v_mov_b32_e32 v254, 0
	ds_read_b128 v[102:105], v254 offset:880
	ds_read_b128 v[114:117], v254 offset:896
	;; [unrolled: 1-line block ×10, first 2 shown]
	v_cmp_lt_u32_e32 vcc, 9, v1
	s_waitcnt vmcnt(48) lgkmcnt(9)
	v_mul_f64 v[26:27], v[102:103], v[96:97]
	v_fmac_f64_e32 v[26:27], v[104:105], v[94:95]
	v_add_f64 v[26:27], v[26:27], 0
	v_mul_f64 v[96:97], v[104:105], v[96:97]
	s_waitcnt vmcnt(44) lgkmcnt(8)
	v_mul_f64 v[28:29], v[114:115], v[100:101]
	v_fmac_f64_e32 v[28:29], v[116:117], v[98:99]
	s_waitcnt vmcnt(42) lgkmcnt(7)
	v_mul_f64 v[30:31], v[244:245], v[106:107]
	v_add_f64 v[26:27], v[26:27], v[28:29]
	s_waitcnt vmcnt(40) lgkmcnt(5)
	v_mul_f64 v[34:35], v[22:23], v[120:121]
	v_fma_f64 v[198:199], v[102:103], v[94:95], -v[96:97]
	s_waitcnt vmcnt(38)
	v_fmac_f64_e32 v[34:35], v[24:25], v[124:125]
	v_mul_f64 v[100:101], v[116:117], v[100:101]
	s_waitcnt vmcnt(36)
	v_mul_f64 v[32:33], v[250:251], v[110:111]
	v_fma_f64 v[200:201], v[114:115], v[98:99], -v[100:101]
	s_waitcnt vmcnt(34) lgkmcnt(3)
	v_mul_f64 v[38:39], v[14:15], v[118:119]
	v_mul_f64 v[106:107], v[246:247], v[106:107]
	s_waitcnt vmcnt(32)
	v_fmac_f64_e32 v[38:39], v[16:17], v[122:123]
	v_mul_f64 v[110:111], v[252:253], v[110:111]
	s_waitcnt vmcnt(30)
	v_mul_f64 v[36:37], v[18:19], v[130:131]
	v_mul_f64 v[24:25], v[24:25], v[120:121]
	v_fma_f64 v[22:23], v[22:23], v[124:125], -v[24:25]
	s_waitcnt vmcnt(27) lgkmcnt(2)
	v_mul_f64 v[40:41], v[10:11], v[128:129]
	s_waitcnt vmcnt(26) lgkmcnt(1)
	v_mul_f64 v[42:43], v[6:7], v[126:127]
	v_mul_f64 v[16:17], v[16:17], v[118:119]
	s_waitcnt vmcnt(24)
	v_fmac_f64_e32 v[30:31], v[246:247], v[108:109]
	v_add_f64 v[26:27], v[26:27], v[30:31]
	s_waitcnt vmcnt(22)
	v_fmac_f64_e32 v[32:33], v[252:253], v[112:113]
	v_add_f64 v[26:27], v[26:27], v[32:33]
	;; [unrolled: 3-line block ×3, first 2 shown]
	v_add_f64 v[26:27], v[26:27], v[36:37]
	s_waitcnt vmcnt(18)
	v_fmac_f64_e32 v[40:41], v[12:13], v[132:133]
	v_add_f64 v[26:27], v[26:27], v[38:39]
	v_add_f64 v[26:27], v[26:27], v[40:41]
	s_waitcnt vmcnt(16)
	v_fmac_f64_e32 v[42:43], v[8:9], v[138:139]
	v_add_f64 v[34:35], v[26:27], v[42:43]
	ds_read_b128 v[26:29], v254 offset:1040
	ds_read_b128 v[30:33], v254 offset:1056
	buffer_load_dword v155, off, s[0:3], 0 offset:428
	buffer_load_dword v154, off, s[0:3], 0 offset:424
	;; [unrolled: 1-line block ×56, first 2 shown]
	s_waitcnt vmcnt(62) lgkmcnt(2)
	v_mul_f64 v[36:37], v[2:3], v[142:143]
	v_fmac_f64_e32 v[36:37], v[4:5], v[144:145]
	v_add_f64 v[34:35], v[34:35], v[36:37]
	s_waitcnt lgkmcnt(1)
	v_mul_f64 v[36:37], v[26:27], v[136:137]
	v_fmac_f64_e32 v[36:37], v[28:29], v[140:141]
	v_add_f64 v[34:35], v[34:35], v[36:37]
	s_waitcnt lgkmcnt(0)
	v_mul_f64 v[36:37], v[30:31], v[146:147]
	s_waitcnt vmcnt(60)
	v_fmac_f64_e32 v[36:37], v[32:33], v[150:151]
	v_add_f64 v[42:43], v[34:35], v[36:37]
	ds_read_b128 v[34:37], v254 offset:1072
	buffer_load_dword v209, off, s[0:3], 0 offset:652
	buffer_load_dword v208, off, s[0:3], 0 offset:648
	;; [unrolled: 1-line block ×16, first 2 shown]
	ds_read_b128 v[38:41], v254 offset:1088
	buffer_load_dword v231, off, s[0:3], 0 offset:716
	buffer_load_dword v230, off, s[0:3], 0 offset:712
	;; [unrolled: 1-line block ×8, first 2 shown]
	ds_read_b128 v[98:101], v254 offset:1328
	s_waitcnt vmcnt(62) lgkmcnt(2)
	v_mul_f64 v[44:45], v[34:35], v[148:149]
	v_fmac_f64_e32 v[44:45], v[36:37], v[152:153]
	v_add_f64 v[46:47], v[42:43], v[44:45]
	ds_read_b128 v[42:45], v254 offset:1104
	v_fma_f64 v[248:249], v[244:245], v[108:109], -v[106:107]
	ds_read_b128 v[106:109], v254 offset:1360
	v_fma_f64 v[246:247], v[250:251], v[112:113], -v[110:111]
	v_mul_f64 v[20:21], v[20:21], v[130:131]
	v_fma_f64 v[18:19], v[18:19], v[134:135], -v[20:21]
	v_fma_f64 v[14:15], v[14:15], v[122:123], -v[16:17]
	v_mul_f64 v[12:13], v[12:13], v[128:129]
	v_fma_f64 v[10:11], v[10:11], v[132:133], -v[12:13]
	v_mul_f64 v[8:9], v[8:9], v[126:127]
	;; [unrolled: 2-line block ×3, first 2 shown]
	s_waitcnt lgkmcnt(3)
	v_mul_f64 v[48:49], v[38:39], v[170:171]
	v_fma_f64 v[2:3], v[2:3], v[144:145], -v[4:5]
	v_fmac_f64_e32 v[48:49], v[40:41], v[174:175]
	v_add_f64 v[50:51], v[46:47], v[48:49]
	ds_read_b128 v[46:49], v254 offset:1120
	s_waitcnt lgkmcnt(2)
	v_mul_f64 v[52:53], v[42:43], v[154:155]
	v_fmac_f64_e32 v[52:53], v[44:45], v[156:157]
	v_add_f64 v[54:55], v[50:51], v[52:53]
	ds_read_b128 v[50:53], v254 offset:1136
	s_waitcnt lgkmcnt(1)
	v_mul_f64 v[56:57], v[46:47], v[178:179]
	;; [unrolled: 5-line block ×3, first 2 shown]
	v_fmac_f64_e32 v[60:61], v[52:53], v[160:161]
	v_add_f64 v[62:63], v[58:59], v[60:61]
	ds_read_b128 v[58:61], v254 offset:1168
	s_waitcnt vmcnt(58) lgkmcnt(1)
	v_mul_f64 v[64:65], v[54:55], v[186:187]
	s_waitcnt vmcnt(56)
	v_fmac_f64_e32 v[64:65], v[56:57], v[192:193]
	v_add_f64 v[66:67], v[62:63], v[64:65]
	ds_read_b128 v[62:65], v254 offset:1184
	s_waitcnt lgkmcnt(1)
	v_mul_f64 v[68:69], v[58:59], v[162:163]
	v_fmac_f64_e32 v[68:69], v[60:61], v[164:165]
	v_add_f64 v[70:71], v[66:67], v[68:69]
	ds_read_b128 v[66:69], v254 offset:1200
	s_waitcnt vmcnt(50) lgkmcnt(1)
	v_mul_f64 v[72:73], v[62:63], v[196:197]
	s_waitcnt vmcnt(48)
	v_fmac_f64_e32 v[72:73], v[64:65], v[206:207]
	v_add_f64 v[74:75], v[70:71], v[72:73]
	ds_read_b128 v[70:73], v254 offset:1216
	s_waitcnt lgkmcnt(1)
	v_mul_f64 v[76:77], v[66:67], v[166:167]
	v_fmac_f64_e32 v[76:77], v[68:69], v[168:169]
	v_add_f64 v[78:79], v[74:75], v[76:77]
	ds_read_b128 v[74:77], v254 offset:1232
	s_waitcnt vmcnt(42) lgkmcnt(1)
	v_mul_f64 v[80:81], v[70:71], v[210:211]
	s_waitcnt vmcnt(40)
	v_fmac_f64_e32 v[80:81], v[72:73], v[214:215]
	v_add_f64 v[82:83], v[78:79], v[80:81]
	ds_read_b128 v[78:81], v254 offset:1248
	s_waitcnt lgkmcnt(1)
	v_mul_f64 v[84:85], v[74:75], v[172:173]
	v_fmac_f64_e32 v[84:85], v[76:77], v[176:177]
	v_add_f64 v[90:91], v[82:83], v[84:85]
	ds_read_b128 v[82:85], v254 offset:1264
	ds_read_b128 v[86:89], v254 offset:1280
	s_waitcnt vmcnt(34) lgkmcnt(2)
	v_mul_f64 v[92:93], v[78:79], v[218:219]
	s_waitcnt vmcnt(32)
	v_fmac_f64_e32 v[92:93], v[80:81], v[224:225]
	v_add_f64 v[90:91], v[90:91], v[92:93]
	s_waitcnt lgkmcnt(1)
	v_mul_f64 v[92:93], v[82:83], v[180:181]
	v_fmac_f64_e32 v[92:93], v[84:85], v[184:185]
	v_add_f64 v[90:91], v[90:91], v[92:93]
	s_waitcnt vmcnt(27) lgkmcnt(0)
	v_mul_f64 v[92:93], v[86:87], v[222:223]
	s_waitcnt vmcnt(25)
	v_fmac_f64_e32 v[92:93], v[88:89], v[226:227]
	v_add_f64 v[188:189], v[90:91], v[92:93]
	ds_read_b128 v[90:93], v254 offset:1296
	ds_read_b128 v[94:97], v254 offset:1312
	;; [unrolled: 1-line block ×3, first 2 shown]
	v_mul_f64 v[4:5], v[28:29], v[136:137]
	v_fma_f64 v[4:5], v[26:27], v[140:141], -v[4:5]
	s_waitcnt lgkmcnt(2)
	v_mul_f64 v[102:103], v[90:91], v[190:191]
	s_waitcnt vmcnt(24)
	v_fmac_f64_e32 v[102:103], v[92:93], v[194:195]
	s_waitcnt vmcnt(18) lgkmcnt(1)
	v_mul_f64 v[104:105], v[94:95], v[228:229]
	v_add_f64 v[102:103], v[188:189], v[102:103]
	s_waitcnt vmcnt(16)
	v_fmac_f64_e32 v[104:105], v[96:97], v[232:233]
	v_add_f64 v[102:103], v[102:103], v[104:105]
	v_mul_f64 v[104:105], v[98:99], v[208:209]
	v_fmac_f64_e32 v[104:105], v[100:101], v[212:213]
	v_add_f64 v[114:115], v[102:103], v[104:105]
	ds_read_b128 v[102:105], v254 offset:1344
	s_waitcnt vmcnt(10) lgkmcnt(0)
	v_mul_f64 v[116:117], v[102:103], v[236:237]
	s_waitcnt vmcnt(8)
	v_fmac_f64_e32 v[116:117], v[104:105], v[238:239]
	v_add_f64 v[114:115], v[114:115], v[116:117]
	v_mul_f64 v[116:117], v[106:107], v[216:217]
	v_fmac_f64_e32 v[116:117], v[108:109], v[220:221]
	v_add_f64 v[114:115], v[114:115], v[116:117]
	s_waitcnt vmcnt(2)
	v_mul_f64 v[116:117], v[110:111], v[240:241]
	s_waitcnt vmcnt(0)
	v_fmac_f64_e32 v[116:117], v[112:113], v[242:243]
	v_add_f64 v[188:189], v[114:115], v[116:117]
	ds_read_b128 v[114:117], v254 offset:1392
	buffer_load_dword v252, off, s[0:3], 0 offset:176
	buffer_load_dword v253, off, s[0:3], 0 offset:180
	s_waitcnt lgkmcnt(0)
	v_mul_f64 v[202:203], v[114:115], v[230:231]
	v_fmac_f64_e32 v[202:203], v[116:117], v[234:235]
	v_add_f64 v[244:245], v[188:189], v[202:203]
	v_add_f64 v[188:189], v[198:199], 0
	;; [unrolled: 1-line block ×4, first 2 shown]
	buffer_load_dword v248, off, s[0:3], 0 offset:184
	buffer_load_dword v249, off, s[0:3], 0 offset:188
	v_add_f64 v[188:189], v[188:189], v[246:247]
	v_add_f64 v[22:23], v[188:189], v[22:23]
	v_add_f64 v[18:19], v[22:23], v[18:19]
	v_add_f64 v[14:15], v[18:19], v[14:15]
	v_add_f64 v[10:11], v[14:15], v[10:11]
	v_add_f64 v[6:7], v[10:11], v[6:7]
	v_add_f64 v[2:3], v[6:7], v[2:3]
	v_add_f64 v[2:3], v[2:3], v[4:5]
	v_mul_f64 v[4:5], v[32:33], v[146:147]
	v_fma_f64 v[4:5], v[30:31], v[150:151], -v[4:5]
	v_add_f64 v[2:3], v[2:3], v[4:5]
	v_mul_f64 v[4:5], v[36:37], v[148:149]
	v_fma_f64 v[4:5], v[34:35], v[152:153], -v[4:5]
	v_add_f64 v[2:3], v[2:3], v[4:5]
	;; [unrolled: 3-line block ×22, first 2 shown]
	s_waitcnt vmcnt(2)
	v_add_f64 v[2:3], v[252:253], -v[2:3]
	s_waitcnt vmcnt(0)
	v_add_f64 v[4:5], v[248:249], -v[244:245]
	buffer_store_dword v3, off, s[0:3], 0 offset:180
	buffer_store_dword v2, off, s[0:3], 0 offset:176
	;; [unrolled: 1-line block ×4, first 2 shown]
	s_and_saveexec_b64 s[4:5], vcc
	s_cbranch_execz .LBB43_259
; %bb.258:
	v_accvgpr_read_b32 v0, a122
	buffer_load_dword v2, v0, s[0:3], 0 offen
	buffer_load_dword v3, v0, s[0:3], 0 offen offset:4
	buffer_load_dword v4, v0, s[0:3], 0 offen offset:8
	buffer_load_dword v5, v0, s[0:3], 0 offen offset:12
	v_accvgpr_read_b32 v0, a132
	buffer_store_dword v254, off, s[0:3], 0 offset:160
	buffer_store_dword v254, off, s[0:3], 0 offset:164
	;; [unrolled: 1-line block ×4, first 2 shown]
	s_waitcnt vmcnt(4)
	ds_write_b128 v0, v[2:5]
.LBB43_259:
	s_or_b64 exec, exec, s[4:5]
	s_waitcnt lgkmcnt(0)
	; wave barrier
	s_waitcnt lgkmcnt(0)
	buffer_load_dword v86, off, s[0:3], 0 offset:176
	buffer_load_dword v87, off, s[0:3], 0 offset:180
	;; [unrolled: 1-line block ×42, first 2 shown]
	ds_read_b128 v[94:97], v254 offset:864
	ds_read_b128 v[106:109], v254 offset:880
	;; [unrolled: 1-line block ×10, first 2 shown]
	buffer_load_dword v145, off, s[0:3], 0 offset:324
	buffer_load_dword v144, off, s[0:3], 0 offset:320
	ds_read_b128 v[6:9], v254 offset:1024
	buffer_load_dword v141, off, s[0:3], 0 offset:380
	buffer_load_dword v140, off, s[0:3], 0 offset:376
	;; [unrolled: 1-line block ×80, first 2 shown]
	v_accvgpr_read_b32 v1, a131
	v_cmp_lt_u32_e32 vcc, 8, v1
	s_waitcnt vmcnt(62) lgkmcnt(10)
	v_mul_f64 v[26:27], v[94:95], v[88:89]
	v_fmac_f64_e32 v[26:27], v[96:97], v[86:87]
	v_add_f64 v[26:27], v[26:27], 0
	v_mul_f64 v[88:89], v[96:97], v[88:89]
	s_waitcnt lgkmcnt(9)
	v_mul_f64 v[28:29], v[106:107], v[92:93]
	v_fmac_f64_e32 v[28:29], v[108:109], v[90:91]
	s_waitcnt lgkmcnt(8)
	v_mul_f64 v[30:31], v[114:115], v[98:99]
	v_add_f64 v[26:27], v[26:27], v[28:29]
	s_waitcnt lgkmcnt(6)
	v_mul_f64 v[34:35], v[248:249], v[110:111]
	v_fma_f64 v[198:199], v[94:95], v[86:87], -v[88:89]
	v_fmac_f64_e32 v[34:35], v[250:251], v[112:113]
	v_mul_f64 v[92:93], v[108:109], v[92:93]
	v_mul_f64 v[32:33], v[244:245], v[102:103]
	;; [unrolled: 1-line block ×3, first 2 shown]
	s_waitcnt lgkmcnt(4)
	v_mul_f64 v[38:39], v[18:19], v[118:119]
	v_mul_f64 v[102:103], v[246:247], v[102:103]
	v_fmac_f64_e32 v[38:39], v[20:21], v[120:121]
	v_mul_f64 v[110:111], v[250:251], v[110:111]
	v_mul_f64 v[36:37], v[22:23], v[122:123]
	v_fma_f64 v[248:249], v[248:249], v[112:113], -v[110:111]
	s_waitcnt lgkmcnt(2)
	v_mul_f64 v[42:43], v[10:11], v[124:125]
	v_add_f64 v[198:199], v[198:199], 0
	v_mul_f64 v[20:21], v[20:21], v[118:119]
	v_mul_f64 v[40:41], v[14:15], v[130:131]
	v_fma_f64 v[18:19], v[18:19], v[120:121], -v[20:21]
	s_waitcnt lgkmcnt(1)
	v_mul_f64 v[44:45], v[2:3], v[128:129]
	v_fmac_f64_e32 v[30:31], v[116:117], v[100:101]
	v_add_f64 v[26:27], v[26:27], v[30:31]
	v_fmac_f64_e32 v[32:33], v[246:247], v[104:105]
	v_add_f64 v[26:27], v[26:27], v[32:33]
	;; [unrolled: 2-line block ×3, first 2 shown]
	v_add_f64 v[26:27], v[26:27], v[36:37]
	v_fmac_f64_e32 v[40:41], v[16:17], v[132:133]
	v_add_f64 v[26:27], v[26:27], v[38:39]
	v_fmac_f64_e32 v[42:43], v[12:13], v[126:127]
	v_add_f64 v[26:27], v[26:27], v[40:41]
	v_add_f64 v[26:27], v[26:27], v[42:43]
	s_waitcnt lgkmcnt(0)
	v_mul_f64 v[32:33], v[6:7], v[136:137]
	v_fmac_f64_e32 v[44:45], v[4:5], v[144:145]
	v_add_f64 v[30:31], v[26:27], v[44:45]
	ds_read_b128 v[26:29], v254 offset:1040
	v_fmac_f64_e32 v[32:33], v[8:9], v[138:139]
	v_add_f64 v[34:35], v[30:31], v[32:33]
	ds_read_b128 v[30:33], v254 offset:1056
	v_fma_f64 v[200:201], v[114:115], v[100:101], -v[98:99]
	s_waitcnt lgkmcnt(1)
	v_mul_f64 v[36:37], v[26:27], v[146:147]
	v_fmac_f64_e32 v[36:37], v[28:29], v[162:163]
	v_add_f64 v[38:39], v[34:35], v[36:37]
	ds_read_b128 v[34:37], v254 offset:1072
	s_waitcnt lgkmcnt(1)
	v_mul_f64 v[40:41], v[30:31], v[140:141]
	v_fmac_f64_e32 v[40:41], v[32:33], v[142:143]
	v_add_f64 v[42:43], v[38:39], v[40:41]
	ds_read_b128 v[38:41], v254 offset:1088
	;; [unrolled: 5-line block ×4, first 2 shown]
	s_waitcnt vmcnt(58) lgkmcnt(1)
	v_mul_f64 v[52:53], v[42:43], v[174:175]
	s_waitcnt vmcnt(56)
	v_fmac_f64_e32 v[52:53], v[44:45], v[178:179]
	v_add_f64 v[54:55], v[50:51], v[52:53]
	ds_read_b128 v[50:53], v254 offset:1136
	buffer_load_dword v232, off, s[0:3], 0 offset:696
	buffer_load_dword v237, off, s[0:3], 0 offset:684
	;; [unrolled: 1-line block ×8, first 2 shown]
	s_waitcnt lgkmcnt(1)
	v_mul_f64 v[56:57], v[46:47], v[152:153]
	v_fmac_f64_e32 v[56:57], v[48:49], v[154:155]
	v_add_f64 v[58:59], v[54:55], v[56:57]
	ds_read_b128 v[54:57], v254 offset:1152
	s_waitcnt vmcnt(58) lgkmcnt(1)
	v_mul_f64 v[60:61], v[50:51], v[182:183]
	s_waitcnt vmcnt(56)
	v_fmac_f64_e32 v[60:61], v[52:53], v[186:187]
	buffer_load_dword v241, off, s[0:3], 0 offset:716
	buffer_load_dword v240, off, s[0:3], 0 offset:712
	;; [unrolled: 1-line block ×4, first 2 shown]
	v_add_f64 v[62:63], v[58:59], v[60:61]
	ds_read_b128 v[58:61], v254 offset:1168
	s_waitcnt lgkmcnt(1)
	v_mul_f64 v[64:65], v[54:55], v[156:157]
	v_fmac_f64_e32 v[64:65], v[56:57], v[158:159]
	v_add_f64 v[66:67], v[62:63], v[64:65]
	ds_read_b128 v[62:65], v254 offset:1184
	s_waitcnt vmcnt(54) lgkmcnt(1)
	v_mul_f64 v[68:69], v[58:59], v[192:193]
	s_waitcnt vmcnt(52)
	v_fmac_f64_e32 v[68:69], v[60:61], v[196:197]
	v_add_f64 v[70:71], v[66:67], v[68:69]
	ds_read_b128 v[66:69], v254 offset:1200
	s_waitcnt lgkmcnt(1)
	v_mul_f64 v[72:73], v[62:63], v[160:161]
	v_fmac_f64_e32 v[72:73], v[64:65], v[164:165]
	v_add_f64 v[74:75], v[70:71], v[72:73]
	ds_read_b128 v[70:73], v254 offset:1216
	s_waitcnt vmcnt(46) lgkmcnt(1)
	v_mul_f64 v[76:77], v[66:67], v[208:209]
	s_waitcnt vmcnt(44)
	v_fmac_f64_e32 v[76:77], v[68:69], v[212:213]
	v_add_f64 v[82:83], v[74:75], v[76:77]
	ds_read_b128 v[74:77], v254 offset:1232
	ds_read_b128 v[78:81], v254 offset:1248
	s_waitcnt lgkmcnt(2)
	v_mul_f64 v[84:85], v[70:71], v[168:169]
	v_fmac_f64_e32 v[84:85], v[72:73], v[172:173]
	v_add_f64 v[82:83], v[82:83], v[84:85]
	s_waitcnt vmcnt(38) lgkmcnt(1)
	v_mul_f64 v[84:85], v[74:75], v[216:217]
	s_waitcnt vmcnt(36)
	v_fmac_f64_e32 v[84:85], v[76:77], v[218:219]
	v_add_f64 v[82:83], v[82:83], v[84:85]
	s_waitcnt lgkmcnt(0)
	v_mul_f64 v[84:85], v[78:79], v[176:177]
	v_fmac_f64_e32 v[84:85], v[80:81], v[180:181]
	v_add_f64 v[188:189], v[82:83], v[84:85]
	ds_read_b128 v[82:85], v254 offset:1264
	ds_read_b128 v[86:89], v254 offset:1280
	;; [unrolled: 1-line block ×3, first 2 shown]
	v_fma_f64 v[246:247], v[244:245], v[104:105], -v[102:103]
	ds_read_b128 v[102:105], v254 offset:1360
	ds_read_b128 v[110:113], v254 offset:1376
	s_waitcnt vmcnt(30) lgkmcnt(4)
	v_mul_f64 v[94:95], v[82:83], v[220:221]
	s_waitcnt vmcnt(28)
	v_fmac_f64_e32 v[94:95], v[84:85], v[222:223]
	v_add_f64 v[94:95], v[188:189], v[94:95]
	v_fma_f64 v[188:189], v[106:107], v[90:91], -v[92:93]
	ds_read_b128 v[90:93], v254 offset:1296
	s_waitcnt lgkmcnt(4)
	v_mul_f64 v[96:97], v[86:87], v[184:185]
	v_fmac_f64_e32 v[96:97], v[88:89], v[190:191]
	v_add_f64 v[106:107], v[94:95], v[96:97]
	ds_read_b128 v[94:97], v254 offset:1312
	s_waitcnt vmcnt(22) lgkmcnt(1)
	v_mul_f64 v[108:109], v[90:91], v[224:225]
	s_waitcnt vmcnt(20)
	v_fmac_f64_e32 v[108:109], v[92:93], v[226:227]
	v_add_f64 v[106:107], v[106:107], v[108:109]
	v_add_f64 v[188:189], v[198:199], v[188:189]
	s_waitcnt lgkmcnt(0)
	v_mul_f64 v[108:109], v[94:95], v[194:195]
	v_fmac_f64_e32 v[108:109], v[96:97], v[206:207]
	v_add_f64 v[114:115], v[106:107], v[108:109]
	ds_read_b128 v[106:109], v254 offset:1344
	s_waitcnt vmcnt(14)
	v_mul_f64 v[116:117], v[98:99], v[228:229]
	s_waitcnt vmcnt(12)
	v_fmac_f64_e32 v[116:117], v[100:101], v[230:231]
	v_add_f64 v[114:115], v[114:115], v[116:117]
	v_add_f64 v[250:251], v[188:189], v[200:201]
	s_waitcnt lgkmcnt(0)
	v_mul_f64 v[116:117], v[106:107], v[210:211]
	v_fmac_f64_e32 v[116:117], v[108:109], v[214:215]
	v_add_f64 v[114:115], v[114:115], v[116:117]
	v_add_f64 v[188:189], v[250:251], v[246:247]
	v_mul_f64 v[24:25], v[24:25], v[122:123]
	v_add_f64 v[188:189], v[188:189], v[248:249]
	v_fma_f64 v[22:23], v[22:23], v[134:135], -v[24:25]
	v_add_f64 v[22:23], v[188:189], v[22:23]
	v_mul_f64 v[16:17], v[16:17], v[130:131]
	v_add_f64 v[18:19], v[22:23], v[18:19]
	v_fma_f64 v[14:15], v[14:15], v[132:133], -v[16:17]
	v_mul_f64 v[12:13], v[12:13], v[124:125]
	s_waitcnt vmcnt(9)
	v_mul_f64 v[116:117], v[102:103], v[236:237]
	v_add_f64 v[14:15], v[18:19], v[14:15]
	s_waitcnt vmcnt(7)
	v_fmac_f64_e32 v[116:117], v[104:105], v[238:239]
	v_add_f64 v[114:115], v[114:115], v[116:117]
	s_waitcnt vmcnt(5)
	v_mul_f64 v[116:117], v[110:111], v[232:233]
	s_waitcnt vmcnt(4)
	v_fmac_f64_e32 v[116:117], v[112:113], v[234:235]
	v_add_f64 v[202:203], v[114:115], v[116:117]
	ds_read_b128 v[114:117], v254 offset:1392
	buffer_load_dword v254, off, s[0:3], 0 offset:160
	buffer_load_dword v255, off, s[0:3], 0 offset:164
	;; [unrolled: 1-line block ×4, first 2 shown]
	v_fma_f64 v[10:11], v[10:11], v[126:127], -v[12:13]
	v_mul_f64 v[4:5], v[4:5], v[128:129]
	v_add_f64 v[10:11], v[14:15], v[10:11]
	v_fma_f64 v[2:3], v[2:3], v[144:145], -v[4:5]
	v_mul_f64 v[4:5], v[8:9], v[136:137]
	v_add_f64 v[2:3], v[10:11], v[2:3]
	v_fma_f64 v[4:5], v[6:7], v[138:139], -v[4:5]
	v_add_f64 v[2:3], v[2:3], v[4:5]
	v_mul_f64 v[4:5], v[28:29], v[146:147]
	v_fma_f64 v[4:5], v[26:27], v[162:163], -v[4:5]
	v_add_f64 v[2:3], v[2:3], v[4:5]
	v_mul_f64 v[4:5], v[32:33], v[140:141]
	;; [unrolled: 3-line block ×22, first 2 shown]
	v_fma_f64 v[4:5], v[110:111], v[234:235], -v[4:5]
	v_add_f64 v[2:3], v[2:3], v[4:5]
	s_waitcnt vmcnt(6) lgkmcnt(0)
	v_mul_f64 v[4:5], v[116:117], v[240:241]
	v_mul_f64 v[204:205], v[114:115], v[240:241]
	s_waitcnt vmcnt(4)
	v_fma_f64 v[4:5], v[114:115], v[242:243], -v[4:5]
	v_fmac_f64_e32 v[204:205], v[116:117], v[242:243]
	v_add_f64 v[2:3], v[2:3], v[4:5]
	v_add_f64 v[244:245], v[202:203], v[204:205]
	s_waitcnt vmcnt(2)
	v_add_f64 v[2:3], v[254:255], -v[2:3]
	s_waitcnt vmcnt(0)
	v_add_f64 v[4:5], v[252:253], -v[244:245]
	buffer_store_dword v3, off, s[0:3], 0 offset:164
	buffer_store_dword v2, off, s[0:3], 0 offset:160
	;; [unrolled: 1-line block ×4, first 2 shown]
	s_and_saveexec_b64 s[4:5], vcc
	s_cbranch_execz .LBB43_261
; %bb.260:
	v_accvgpr_read_b32 v0, a123
	buffer_load_dword v2, v0, s[0:3], 0 offen
	buffer_load_dword v3, v0, s[0:3], 0 offen offset:4
	buffer_load_dword v4, v0, s[0:3], 0 offen offset:8
	buffer_load_dword v5, v0, s[0:3], 0 offen offset:12
	v_mov_b32_e32 v0, 0
	v_accvgpr_read_b32 v6, a132
	buffer_store_dword v0, off, s[0:3], 0 offset:144
	buffer_store_dword v0, off, s[0:3], 0 offset:148
	;; [unrolled: 1-line block ×4, first 2 shown]
	s_waitcnt vmcnt(4)
	ds_write_b128 v6, v[2:5]
.LBB43_261:
	s_or_b64 exec, exec, s[4:5]
	s_waitcnt lgkmcnt(0)
	; wave barrier
	s_waitcnt lgkmcnt(0)
	buffer_load_dword v82, off, s[0:3], 0 offset:160
	buffer_load_dword v83, off, s[0:3], 0 offset:164
	;; [unrolled: 1-line block ×54, first 2 shown]
	v_mov_b32_e32 v254, 0
	ds_read_b128 v[90:93], v254 offset:848
	ds_read_b128 v[106:109], v254 offset:864
	;; [unrolled: 1-line block ×9, first 2 shown]
	buffer_load_dword v149, off, s[0:3], 0 offset:388
	buffer_load_dword v148, off, s[0:3], 0 offset:384
	;; [unrolled: 1-line block ×62, first 2 shown]
	v_cmp_lt_u32_e32 vcc, 7, v1
	s_waitcnt vmcnt(62) lgkmcnt(8)
	v_mul_f64 v[14:15], v[90:91], v[84:85]
	v_fmac_f64_e32 v[14:15], v[92:93], v[82:83]
	v_add_f64 v[14:15], v[14:15], 0
	v_mul_f64 v[84:85], v[92:93], v[84:85]
	s_waitcnt lgkmcnt(7)
	v_mul_f64 v[16:17], v[106:107], v[88:89]
	v_fmac_f64_e32 v[16:17], v[108:109], v[86:87]
	s_waitcnt lgkmcnt(6)
	v_mul_f64 v[18:19], v[114:115], v[94:95]
	v_add_f64 v[14:15], v[14:15], v[16:17]
	s_waitcnt lgkmcnt(4)
	v_mul_f64 v[22:23], v[246:247], v[102:103]
	v_fma_f64 v[198:199], v[90:91], v[82:83], -v[84:85]
	v_fmac_f64_e32 v[22:23], v[248:249], v[104:105]
	v_mul_f64 v[88:89], v[108:109], v[88:89]
	v_mul_f64 v[20:21], v[242:243], v[98:99]
	v_fma_f64 v[200:201], v[106:107], v[86:87], -v[88:89]
	s_waitcnt lgkmcnt(2)
	v_mul_f64 v[26:27], v[10:11], v[118:119]
	v_mul_f64 v[94:95], v[116:117], v[94:95]
	v_fmac_f64_e32 v[26:27], v[12:13], v[120:121]
	v_mul_f64 v[98:99], v[244:245], v[98:99]
	v_mul_f64 v[24:25], v[250:251], v[110:111]
	;; [unrolled: 1-line block ×3, first 2 shown]
	s_waitcnt lgkmcnt(1)
	v_mul_f64 v[28:29], v[6:7], v[122:123]
	v_mul_f64 v[110:111], v[252:253], v[110:111]
	v_fmac_f64_e32 v[18:19], v[116:117], v[96:97]
	v_add_f64 v[14:15], v[14:15], v[18:19]
	v_fmac_f64_e32 v[20:21], v[244:245], v[100:101]
	v_add_f64 v[14:15], v[14:15], v[20:21]
	;; [unrolled: 2-line block ×3, first 2 shown]
	v_add_f64 v[14:15], v[14:15], v[24:25]
	v_fmac_f64_e32 v[28:29], v[8:9], v[126:127]
	v_add_f64 v[14:15], v[14:15], v[26:27]
	v_add_f64 v[18:19], v[14:15], v[28:29]
	ds_read_b128 v[14:17], v254 offset:992
	s_waitcnt lgkmcnt(1)
	v_mul_f64 v[20:21], v[2:3], v[124:125]
	v_fmac_f64_e32 v[20:21], v[4:5], v[128:129]
	v_add_f64 v[22:23], v[18:19], v[20:21]
	ds_read_b128 v[18:21], v254 offset:1008
	s_waitcnt lgkmcnt(1)
	v_mul_f64 v[24:25], v[14:15], v[134:135]
	v_fmac_f64_e32 v[24:25], v[16:17], v[136:137]
	;; [unrolled: 5-line block ×5, first 2 shown]
	v_add_f64 v[38:39], v[34:35], v[36:37]
	ds_read_b128 v[34:37], v254 offset:1072
	s_waitcnt vmcnt(58) lgkmcnt(1)
	v_mul_f64 v[40:41], v[30:31], v[162:163]
	s_waitcnt vmcnt(56)
	v_fmac_f64_e32 v[40:41], v[32:33], v[166:167]
	v_add_f64 v[42:43], v[38:39], v[40:41]
	ds_read_b128 v[38:41], v254 offset:1088
	s_waitcnt lgkmcnt(1)
	v_mul_f64 v[44:45], v[34:35], v[142:143]
	v_fmac_f64_e32 v[44:45], v[36:37], v[148:149]
	v_add_f64 v[46:47], v[42:43], v[44:45]
	ds_read_b128 v[42:45], v254 offset:1104
	s_waitcnt vmcnt(50) lgkmcnt(1)
	v_mul_f64 v[48:49], v[38:39], v[170:171]
	s_waitcnt vmcnt(48)
	v_fmac_f64_e32 v[48:49], v[40:41], v[174:175]
	v_add_f64 v[50:51], v[46:47], v[48:49]
	ds_read_b128 v[46:49], v254 offset:1120
	buffer_load_dword v221, off, s[0:3], 0 offset:636
	buffer_load_dword v220, off, s[0:3], 0 offset:632
	;; [unrolled: 1-line block ×8, first 2 shown]
	s_waitcnt lgkmcnt(1)
	v_mul_f64 v[52:53], v[42:43], v[150:151]
	v_fmac_f64_e32 v[52:53], v[44:45], v[152:153]
	v_add_f64 v[54:55], v[50:51], v[52:53]
	ds_read_b128 v[50:53], v254 offset:1136
	s_waitcnt vmcnt(50) lgkmcnt(1)
	v_mul_f64 v[56:57], v[46:47], v[178:179]
	s_waitcnt vmcnt(48)
	v_fmac_f64_e32 v[56:57], v[48:49], v[182:183]
	buffer_load_dword v225, off, s[0:3], 0 offset:684
	buffer_load_dword v231, off, s[0:3], 0 offset:668
	;; [unrolled: 1-line block ×12, first 2 shown]
	v_add_f64 v[58:59], v[54:55], v[56:57]
	ds_read_b128 v[54:57], v254 offset:1152
	s_waitcnt lgkmcnt(1)
	v_mul_f64 v[60:61], v[50:51], v[154:155]
	v_fmac_f64_e32 v[60:61], v[52:53], v[156:157]
	v_add_f64 v[62:63], v[58:59], v[60:61]
	ds_read_b128 v[58:61], v254 offset:1168
	s_waitcnt vmcnt(54) lgkmcnt(1)
	v_mul_f64 v[64:65], v[54:55], v[186:187]
	s_waitcnt vmcnt(52)
	v_fmac_f64_e32 v[64:65], v[56:57], v[192:193]
	v_add_f64 v[66:67], v[62:63], v[64:65]
	ds_read_b128 v[62:65], v254 offset:1184
	s_waitcnt lgkmcnt(1)
	v_mul_f64 v[68:69], v[58:59], v[158:159]
	v_fmac_f64_e32 v[68:69], v[60:61], v[160:161]
	v_add_f64 v[70:71], v[66:67], v[68:69]
	ds_read_b128 v[66:69], v254 offset:1200
	s_waitcnt vmcnt(46) lgkmcnt(1)
	v_mul_f64 v[72:73], v[62:63], v[196:197]
	s_waitcnt vmcnt(44)
	v_fmac_f64_e32 v[72:73], v[64:65], v[206:207]
	v_add_f64 v[78:79], v[70:71], v[72:73]
	ds_read_b128 v[70:73], v254 offset:1216
	ds_read_b128 v[74:77], v254 offset:1232
	s_waitcnt lgkmcnt(2)
	v_mul_f64 v[80:81], v[66:67], v[164:165]
	v_fmac_f64_e32 v[80:81], v[68:69], v[168:169]
	v_add_f64 v[78:79], v[78:79], v[80:81]
	s_waitcnt vmcnt(38) lgkmcnt(1)
	v_mul_f64 v[80:81], v[70:71], v[208:209]
	s_waitcnt vmcnt(36)
	v_fmac_f64_e32 v[80:81], v[72:73], v[210:211]
	v_add_f64 v[78:79], v[78:79], v[80:81]
	s_waitcnt lgkmcnt(0)
	v_mul_f64 v[80:81], v[74:75], v[172:173]
	v_fmac_f64_e32 v[80:81], v[76:77], v[176:177]
	v_add_f64 v[188:189], v[78:79], v[80:81]
	ds_read_b128 v[78:81], v254 offset:1248
	ds_read_b128 v[82:85], v254 offset:1264
	;; [unrolled: 1-line block ×3, first 2 shown]
	v_fma_f64 v[202:203], v[242:243], v[100:101], -v[98:99]
	ds_read_b128 v[98:101], v254 offset:1328
	s_waitcnt vmcnt(30) lgkmcnt(3)
	v_mul_f64 v[90:91], v[78:79], v[212:213]
	s_waitcnt vmcnt(28)
	v_fmac_f64_e32 v[90:91], v[80:81], v[214:215]
	s_waitcnt lgkmcnt(2)
	v_mul_f64 v[92:93], v[82:83], v[180:181]
	v_add_f64 v[90:91], v[188:189], v[90:91]
	v_fmac_f64_e32 v[92:93], v[84:85], v[184:185]
	v_add_f64 v[90:91], v[90:91], v[92:93]
	v_fma_f64 v[188:189], v[114:115], v[96:97], -v[94:95]
	ds_read_b128 v[94:97], v254 offset:1312
	s_waitcnt vmcnt(22) lgkmcnt(2)
	v_mul_f64 v[92:93], v[86:87], v[216:217]
	s_waitcnt vmcnt(20)
	v_fmac_f64_e32 v[92:93], v[88:89], v[218:219]
	v_add_f64 v[106:107], v[90:91], v[92:93]
	ds_read_b128 v[90:93], v254 offset:1296
	buffer_load_dword v240, off, s[0:3], 0 offset:712
	v_fma_f64 v[204:205], v[246:247], v[104:105], -v[102:103]
	ds_read_b128 v[102:105], v254 offset:1344
	v_fma_f64 v[250:251], v[250:251], v[112:113], -v[110:111]
	s_waitcnt lgkmcnt(1)
	v_mul_f64 v[108:109], v[90:91], v[190:191]
	v_fmac_f64_e32 v[108:109], v[92:93], v[194:195]
	v_add_f64 v[106:107], v[106:107], v[108:109]
	ds_read_b128 v[110:113], v254 offset:1376
	v_add_f64 v[198:199], v[198:199], 0
	v_add_f64 v[198:199], v[198:199], v[200:201]
	v_add_f64 v[188:189], v[198:199], v[188:189]
	v_add_f64 v[188:189], v[188:189], v[202:203]
	v_add_f64 v[252:253], v[188:189], v[204:205]
	v_mul_f64 v[12:13], v[12:13], v[118:119]
	v_add_f64 v[188:189], v[252:253], v[250:251]
	v_fma_f64 v[10:11], v[10:11], v[120:121], -v[12:13]
	v_mul_f64 v[8:9], v[8:9], v[122:123]
	v_add_f64 v[10:11], v[188:189], v[10:11]
	v_fma_f64 v[6:7], v[6:7], v[126:127], -v[8:9]
	;; [unrolled: 3-line block ×3, first 2 shown]
	v_mul_f64 v[4:5], v[16:17], v[134:135]
	v_add_f64 v[2:3], v[6:7], v[2:3]
	s_waitcnt vmcnt(19)
	v_mul_f64 v[108:109], v[94:95], v[220:221]
	v_fma_f64 v[4:5], v[14:15], v[136:137], -v[4:5]
	s_waitcnt vmcnt(17)
	v_fmac_f64_e32 v[108:109], v[96:97], v[222:223]
	v_add_f64 v[106:107], v[106:107], v[108:109]
	s_waitcnt vmcnt(15)
	v_mul_f64 v[108:109], v[98:99], v[226:227]
	s_waitcnt vmcnt(13)
	v_fmac_f64_e32 v[108:109], v[100:101], v[228:229]
	v_add_f64 v[114:115], v[106:107], v[108:109]
	ds_read_b128 v[106:109], v254 offset:1360
	buffer_load_dword v244, off, s[0:3], 0 offset:704
	buffer_load_dword v241, off, s[0:3], 0 offset:716
	;; [unrolled: 1-line block ×3, first 2 shown]
	s_waitcnt vmcnt(13) lgkmcnt(2)
	v_mul_f64 v[116:117], v[102:103], v[230:231]
	s_waitcnt vmcnt(11)
	v_fmac_f64_e32 v[116:117], v[104:105], v[236:237]
	v_add_f64 v[114:115], v[114:115], v[116:117]
	s_waitcnt vmcnt(10) lgkmcnt(0)
	v_mul_f64 v[116:117], v[106:107], v[224:225]
	s_waitcnt vmcnt(8)
	v_fmac_f64_e32 v[116:117], v[108:109], v[234:235]
	v_add_f64 v[114:115], v[114:115], v[116:117]
	s_waitcnt vmcnt(6)
	v_mul_f64 v[116:117], v[110:111], v[232:233]
	s_waitcnt vmcnt(4)
	v_fmac_f64_e32 v[116:117], v[112:113], v[238:239]
	v_add_f64 v[242:243], v[114:115], v[116:117]
	ds_read_b128 v[114:117], v254 offset:1392
	buffer_load_dword v248, off, s[0:3], 0 offset:144
	buffer_load_dword v249, off, s[0:3], 0 offset:148
	v_add_f64 v[2:3], v[2:3], v[4:5]
	v_mul_f64 v[4:5], v[20:21], v[130:131]
	v_fma_f64 v[4:5], v[18:19], v[132:133], -v[4:5]
	v_add_f64 v[2:3], v[2:3], v[4:5]
	v_mul_f64 v[4:5], v[24:25], v[144:145]
	v_fma_f64 v[4:5], v[22:23], v[146:147], -v[4:5]
	;; [unrolled: 3-line block ×22, first 2 shown]
	v_add_f64 v[2:3], v[2:3], v[4:5]
	s_waitcnt vmcnt(3) lgkmcnt(0)
	v_mul_f64 v[246:247], v[114:115], v[240:241]
	s_waitcnt vmcnt(2)
	v_fmac_f64_e32 v[246:247], v[116:117], v[244:245]
	v_add_f64 v[242:243], v[242:243], v[246:247]
	buffer_load_dword v246, off, s[0:3], 0 offset:152
	buffer_load_dword v247, off, s[0:3], 0 offset:156
	v_mul_f64 v[4:5], v[108:109], v[224:225]
	v_fma_f64 v[4:5], v[106:107], v[234:235], -v[4:5]
	v_add_f64 v[2:3], v[2:3], v[4:5]
	v_mul_f64 v[4:5], v[112:113], v[232:233]
	v_fma_f64 v[4:5], v[110:111], v[238:239], -v[4:5]
	v_add_f64 v[2:3], v[2:3], v[4:5]
	;; [unrolled: 3-line block ×3, first 2 shown]
	s_waitcnt vmcnt(2)
	v_add_f64 v[2:3], v[248:249], -v[2:3]
	s_waitcnt vmcnt(0)
	v_add_f64 v[4:5], v[246:247], -v[242:243]
	buffer_store_dword v3, off, s[0:3], 0 offset:148
	buffer_store_dword v2, off, s[0:3], 0 offset:144
	;; [unrolled: 1-line block ×4, first 2 shown]
	s_and_saveexec_b64 s[4:5], vcc
	s_cbranch_execz .LBB43_263
; %bb.262:
	v_accvgpr_read_b32 v0, a124
	buffer_load_dword v2, v0, s[0:3], 0 offen
	buffer_load_dword v3, v0, s[0:3], 0 offen offset:4
	buffer_load_dword v4, v0, s[0:3], 0 offen offset:8
	;; [unrolled: 1-line block ×3, first 2 shown]
	v_accvgpr_read_b32 v0, a132
	buffer_store_dword v254, off, s[0:3], 0 offset:128
	buffer_store_dword v254, off, s[0:3], 0 offset:132
	;; [unrolled: 1-line block ×4, first 2 shown]
	s_waitcnt vmcnt(4)
	ds_write_b128 v0, v[2:5]
.LBB43_263:
	s_or_b64 exec, exec, s[4:5]
	s_waitcnt lgkmcnt(0)
	; wave barrier
	s_waitcnt lgkmcnt(0)
	buffer_load_dword v84, off, s[0:3], 0 offset:144
	buffer_load_dword v85, off, s[0:3], 0 offset:148
	buffer_load_dword v106, off, s[0:3], 0 offset:152
	buffer_load_dword v107, off, s[0:3], 0 offset:156
	buffer_load_dword v82, off, s[0:3], 0 offset:160
	buffer_load_dword v83, off, s[0:3], 0 offset:164
	buffer_load_dword v96, off, s[0:3], 0 offset:168
	buffer_load_dword v97, off, s[0:3], 0 offset:172
	buffer_load_dword v94, off, s[0:3], 0 offset:184
	buffer_load_dword v95, off, s[0:3], 0 offset:188
	buffer_load_dword v109, off, s[0:3], 0 offset:220
	buffer_load_dword v108, off, s[0:3], 0 offset:216
	buffer_load_dword v115, off, s[0:3], 0 offset:212
	buffer_load_dword v114, off, s[0:3], 0 offset:208
	buffer_load_dword v117, off, s[0:3], 0 offset:204
	buffer_load_dword v116, off, s[0:3], 0 offset:200
	buffer_load_dword v241, off, s[0:3], 0 offset:252
	buffer_load_dword v240, off, s[0:3], 0 offset:248
	buffer_load_dword v242, off, s[0:3], 0 offset:240
	buffer_load_dword v245, off, s[0:3], 0 offset:236
	buffer_load_dword v244, off, s[0:3], 0 offset:232
	buffer_load_dword v119, off, s[0:3], 0 offset:268
	buffer_load_dword v118, off, s[0:3], 0 offset:264
	buffer_load_dword v250, off, s[0:3], 0 offset:176
	buffer_load_dword v251, off, s[0:3], 0 offset:180
	buffer_load_dword v249, off, s[0:3], 0 offset:196
	buffer_load_dword v248, off, s[0:3], 0 offset:192
	buffer_load_dword v247, off, s[0:3], 0 offset:228
	buffer_load_dword v246, off, s[0:3], 0 offset:224
	buffer_load_dword v243, off, s[0:3], 0 offset:244
	buffer_load_dword v120, off, s[0:3], 0 offset:280
	buffer_load_dword v122, off, s[0:3], 0 offset:272
	buffer_load_dword v123, off, s[0:3], 0 offset:276
	buffer_load_dword v121, off, s[0:3], 0 offset:284
	ds_read_b128 v[74:77], v254 offset:832
	ds_read_b128 v[78:81], v254 offset:848
	;; [unrolled: 1-line block ×8, first 2 shown]
	buffer_load_dword v125, off, s[0:3], 0 offset:260
	buffer_load_dword v124, off, s[0:3], 0 offset:256
	ds_read_b128 v[6:9], v254 offset:960
	buffer_load_dword v127, off, s[0:3], 0 offset:316
	buffer_load_dword v126, off, s[0:3], 0 offset:312
	;; [unrolled: 1-line block ×80, first 2 shown]
	v_accvgpr_read_b32 v1, a131
	v_cmp_lt_u32_e32 vcc, 6, v1
	s_waitcnt vmcnt(62) lgkmcnt(8)
	v_mul_f64 v[10:11], v[74:75], v[106:107]
	v_fmac_f64_e32 v[10:11], v[76:77], v[84:85]
	v_add_f64 v[10:11], v[10:11], 0
	v_mul_f64 v[76:77], v[76:77], v[106:107]
	s_waitcnt lgkmcnt(7)
	v_mul_f64 v[12:13], v[78:79], v[96:97]
	v_fmac_f64_e32 v[12:13], v[80:81], v[82:83]
	s_waitcnt lgkmcnt(6)
	v_mul_f64 v[14:15], v[86:87], v[94:95]
	v_add_f64 v[10:11], v[10:11], v[12:13]
	s_waitcnt lgkmcnt(4)
	v_mul_f64 v[18:19], v[98:99], v[108:109]
	v_fma_f64 v[198:199], v[74:75], v[84:85], -v[76:77]
	v_fmac_f64_e32 v[18:19], v[100:101], v[114:115]
	v_mul_f64 v[80:81], v[80:81], v[96:97]
	v_mul_f64 v[16:17], v[90:91], v[116:117]
	v_fma_f64 v[200:201], v[78:79], v[82:83], -v[80:81]
	s_waitcnt lgkmcnt(2)
	v_mul_f64 v[22:23], v[110:111], v[240:241]
	v_mul_f64 v[100:101], v[100:101], v[108:109]
	v_fma_f64 v[204:205], v[98:99], v[114:115], -v[100:101]
	v_mul_f64 v[20:21], v[102:103], v[244:245]
	v_add_f64 v[198:199], v[198:199], 0
	s_waitcnt lgkmcnt(1)
	v_mul_f64 v[24:25], v[2:3], v[118:119]
	v_add_f64 v[198:199], v[198:199], v[200:201]
	v_fmac_f64_e32 v[14:15], v[88:89], v[250:251]
	v_add_f64 v[10:11], v[10:11], v[14:15]
	v_fmac_f64_e32 v[16:17], v[92:93], v[248:249]
	;; [unrolled: 2-line block ×4, first 2 shown]
	v_add_f64 v[10:11], v[10:11], v[20:21]
	v_add_f64 v[10:11], v[10:11], v[22:23]
	s_waitcnt lgkmcnt(0)
	v_mul_f64 v[16:17], v[6:7], v[120:121]
	v_fmac_f64_e32 v[16:17], v[8:9], v[122:123]
	v_fmac_f64_e32 v[24:25], v[4:5], v[124:125]
	v_add_f64 v[14:15], v[10:11], v[24:25]
	ds_read_b128 v[10:13], v254 offset:976
	v_add_f64 v[18:19], v[14:15], v[16:17]
	ds_read_b128 v[14:17], v254 offset:992
	v_mul_f64 v[88:89], v[88:89], v[94:95]
	v_mul_f64 v[92:93], v[92:93], v[116:117]
	s_waitcnt lgkmcnt(1)
	v_mul_f64 v[20:21], v[10:11], v[130:131]
	v_fmac_f64_e32 v[20:21], v[12:13], v[132:133]
	s_waitcnt lgkmcnt(0)
	v_mul_f64 v[24:25], v[14:15], v[126:127]
	v_add_f64 v[22:23], v[18:19], v[20:21]
	ds_read_b128 v[18:21], v254 offset:1008
	v_fmac_f64_e32 v[24:25], v[16:17], v[128:129]
	v_add_f64 v[26:27], v[22:23], v[24:25]
	ds_read_b128 v[22:25], v254 offset:1024
	v_fma_f64 v[202:203], v[90:91], v[248:249], -v[92:93]
	s_waitcnt lgkmcnt(1)
	v_mul_f64 v[28:29], v[18:19], v[142:143]
	v_fmac_f64_e32 v[28:29], v[20:21], v[144:145]
	v_add_f64 v[30:31], v[26:27], v[28:29]
	s_waitcnt lgkmcnt(0)
	v_mul_f64 v[32:33], v[22:23], v[134:135]
	ds_read_b128 v[26:29], v254 offset:1040
	v_fmac_f64_e32 v[32:33], v[24:25], v[136:137]
	v_add_f64 v[34:35], v[30:31], v[32:33]
	ds_read_b128 v[30:33], v254 offset:1056
	v_mul_f64 v[104:105], v[104:105], v[244:245]
	s_waitcnt vmcnt(58) lgkmcnt(1)
	v_mul_f64 v[36:37], v[26:27], v[158:159]
	s_waitcnt vmcnt(56)
	v_fmac_f64_e32 v[36:37], v[28:29], v[162:163]
	v_add_f64 v[38:39], v[34:35], v[36:37]
	s_waitcnt lgkmcnt(0)
	v_mul_f64 v[40:41], v[30:31], v[138:139]
	ds_read_b128 v[34:37], v254 offset:1072
	v_fmac_f64_e32 v[40:41], v[32:33], v[140:141]
	v_add_f64 v[42:43], v[38:39], v[40:41]
	ds_read_b128 v[38:41], v254 offset:1088
	v_mul_f64 v[112:113], v[112:113], v[240:241]
	s_waitcnt vmcnt(50) lgkmcnt(1)
	v_mul_f64 v[44:45], v[34:35], v[166:167]
	s_waitcnt vmcnt(48)
	v_fmac_f64_e32 v[44:45], v[36:37], v[170:171]
	v_add_f64 v[46:47], v[42:43], v[44:45]
	s_waitcnt lgkmcnt(0)
	v_mul_f64 v[48:49], v[38:39], v[146:147]
	v_fmac_f64_e32 v[48:49], v[40:41], v[148:149]
	ds_read_b128 v[42:45], v254 offset:1104
	v_add_f64 v[50:51], v[46:47], v[48:49]
	ds_read_b128 v[46:49], v254 offset:1120
	buffer_load_dword v217, off, s[0:3], 0 offset:636
	buffer_load_dword v219, off, s[0:3], 0 offset:620
	buffer_load_dword v218, off, s[0:3], 0 offset:616
	buffer_load_dword v225, off, s[0:3], 0 offset:612
	buffer_load_dword v224, off, s[0:3], 0 offset:608
	buffer_load_dword v216, off, s[0:3], 0 offset:632
	buffer_load_dword v223, off, s[0:3], 0 offset:628
	buffer_load_dword v222, off, s[0:3], 0 offset:624
	buffer_load_dword v221, off, s[0:3], 0 offset:652
	buffer_load_dword v220, off, s[0:3], 0 offset:648
	buffer_load_dword v227, off, s[0:3], 0 offset:644
	buffer_load_dword v226, off, s[0:3], 0 offset:640
	v_fma_f64 v[252:253], v[110:111], v[242:243], -v[112:113]
	s_waitcnt vmcnt(54) lgkmcnt(1)
	v_mul_f64 v[52:53], v[42:43], v[174:175]
	s_waitcnt vmcnt(52)
	v_fmac_f64_e32 v[52:53], v[44:45], v[178:179]
	v_add_f64 v[54:55], v[50:51], v[52:53]
	ds_read_b128 v[50:53], v254 offset:1136
	s_waitcnt lgkmcnt(1)
	v_mul_f64 v[56:57], v[46:47], v[150:151]
	v_fmac_f64_e32 v[56:57], v[48:49], v[152:153]
	buffer_load_dword v231, off, s[0:3], 0 offset:668
	buffer_load_dword v230, off, s[0:3], 0 offset:664
	;; [unrolled: 1-line block ×12, first 2 shown]
	v_add_f64 v[58:59], v[54:55], v[56:57]
	ds_read_b128 v[54:57], v254 offset:1152
	s_waitcnt vmcnt(58) lgkmcnt(1)
	v_mul_f64 v[60:61], v[50:51], v[182:183]
	s_waitcnt vmcnt(56)
	v_fmac_f64_e32 v[60:61], v[52:53], v[186:187]
	v_add_f64 v[62:63], v[58:59], v[60:61]
	ds_read_b128 v[58:61], v254 offset:1168
	s_waitcnt lgkmcnt(1)
	v_mul_f64 v[64:65], v[54:55], v[154:155]
	v_fmac_f64_e32 v[64:65], v[56:57], v[156:157]
	v_add_f64 v[70:71], v[62:63], v[64:65]
	ds_read_b128 v[62:65], v254 offset:1184
	ds_read_b128 v[66:69], v254 offset:1200
	s_waitcnt vmcnt(50) lgkmcnt(2)
	v_mul_f64 v[72:73], v[58:59], v[192:193]
	s_waitcnt vmcnt(48)
	v_fmac_f64_e32 v[72:73], v[60:61], v[194:195]
	v_add_f64 v[70:71], v[70:71], v[72:73]
	s_waitcnt lgkmcnt(1)
	v_mul_f64 v[72:73], v[62:63], v[160:161]
	v_fmac_f64_e32 v[72:73], v[64:65], v[164:165]
	v_add_f64 v[70:71], v[70:71], v[72:73]
	s_waitcnt vmcnt(42) lgkmcnt(0)
	v_mul_f64 v[72:73], v[66:67], v[196:197]
	s_waitcnt vmcnt(40)
	v_fmac_f64_e32 v[72:73], v[68:69], v[206:207]
	v_add_f64 v[188:189], v[70:71], v[72:73]
	ds_read_b128 v[70:73], v254 offset:1216
	ds_read_b128 v[74:77], v254 offset:1232
	;; [unrolled: 1-line block ×5, first 2 shown]
	s_waitcnt lgkmcnt(4)
	v_mul_f64 v[84:85], v[70:71], v[168:169]
	v_fmac_f64_e32 v[84:85], v[72:73], v[172:173]
	v_add_f64 v[82:83], v[188:189], v[84:85]
	s_waitcnt vmcnt(34) lgkmcnt(3)
	v_mul_f64 v[84:85], v[74:75], v[208:209]
	s_waitcnt vmcnt(32)
	v_fmac_f64_e32 v[84:85], v[76:77], v[210:211]
	v_add_f64 v[82:83], v[82:83], v[84:85]
	v_fma_f64 v[188:189], v[86:87], v[250:251], -v[88:89]
	ds_read_b128 v[86:89], v254 offset:1280
	s_waitcnt lgkmcnt(3)
	v_mul_f64 v[84:85], v[78:79], v[176:177]
	v_fmac_f64_e32 v[84:85], v[80:81], v[180:181]
	v_add_f64 v[96:97], v[82:83], v[84:85]
	ds_read_b128 v[82:85], v254 offset:1264
	v_fma_f64 v[250:251], v[102:103], v[246:247], -v[104:105]
	ds_read_b128 v[110:113], v254 offset:1376
	v_add_f64 v[188:189], v[198:199], v[188:189]
	v_add_f64 v[188:189], v[188:189], v[202:203]
	s_waitcnt vmcnt(26) lgkmcnt(1)
	v_mul_f64 v[94:95], v[82:83], v[212:213]
	s_waitcnt vmcnt(24)
	v_fmac_f64_e32 v[94:95], v[84:85], v[214:215]
	v_add_f64 v[94:95], v[96:97], v[94:95]
	v_mul_f64 v[96:97], v[86:87], v[184:185]
	v_fmac_f64_e32 v[96:97], v[88:89], v[190:191]
	v_add_f64 v[106:107], v[94:95], v[96:97]
	ds_read_b128 v[94:97], v254 offset:1312
	v_mul_f64 v[4:5], v[4:5], v[118:119]
	v_fma_f64 v[2:3], v[2:3], v[124:125], -v[4:5]
	v_mul_f64 v[4:5], v[8:9], v[120:121]
	v_fma_f64 v[4:5], v[6:7], v[122:123], -v[4:5]
	ds_read_b128 v[102:105], v254 offset:1360
	s_waitcnt vmcnt(21)
	v_mul_f64 v[108:109], v[90:91], v[218:219]
	s_waitcnt vmcnt(19)
	v_fmac_f64_e32 v[108:109], v[92:93], v[224:225]
	v_add_f64 v[106:107], v[106:107], v[108:109]
	s_waitcnt vmcnt(18) lgkmcnt(1)
	v_mul_f64 v[108:109], v[94:95], v[216:217]
	s_waitcnt vmcnt(16)
	v_fmac_f64_e32 v[108:109], v[96:97], v[222:223]
	v_add_f64 v[114:115], v[106:107], v[108:109]
	ds_read_b128 v[106:109], v254 offset:1344
	buffer_load_dword v243, off, s[0:3], 0 offset:716
	buffer_load_dword v242, off, s[0:3], 0 offset:712
	;; [unrolled: 1-line block ×4, first 2 shown]
	s_waitcnt vmcnt(18)
	v_mul_f64 v[116:117], v[98:99], v[220:221]
	s_waitcnt vmcnt(16)
	v_fmac_f64_e32 v[116:117], v[100:101], v[226:227]
	v_add_f64 v[114:115], v[114:115], v[116:117]
	s_waitcnt vmcnt(14) lgkmcnt(0)
	v_mul_f64 v[116:117], v[106:107], v[230:231]
	s_waitcnt vmcnt(12)
	v_fmac_f64_e32 v[116:117], v[108:109], v[232:233]
	v_add_f64 v[114:115], v[114:115], v[116:117]
	s_waitcnt vmcnt(9)
	v_mul_f64 v[116:117], v[102:103], v[236:237]
	s_waitcnt vmcnt(7)
	v_fmac_f64_e32 v[116:117], v[104:105], v[238:239]
	v_add_f64 v[114:115], v[114:115], v[116:117]
	s_waitcnt vmcnt(5)
	v_mul_f64 v[116:117], v[110:111], v[228:229]
	s_waitcnt vmcnt(4)
	v_fmac_f64_e32 v[116:117], v[112:113], v[234:235]
	v_add_f64 v[240:241], v[114:115], v[116:117]
	ds_read_b128 v[114:117], v254 offset:1392
	v_add_f64 v[254:255], v[188:189], v[204:205]
	v_add_f64 v[188:189], v[254:255], v[250:251]
	;; [unrolled: 1-line block ×5, first 2 shown]
	v_mul_f64 v[4:5], v[12:13], v[130:131]
	v_fma_f64 v[4:5], v[10:11], v[132:133], -v[4:5]
	v_add_f64 v[2:3], v[2:3], v[4:5]
	v_mul_f64 v[4:5], v[16:17], v[126:127]
	v_fma_f64 v[4:5], v[14:15], v[128:129], -v[4:5]
	v_add_f64 v[2:3], v[2:3], v[4:5]
	;; [unrolled: 3-line block ×19, first 2 shown]
	v_mul_f64 v[4:5], v[88:89], v[184:185]
	v_fma_f64 v[4:5], v[86:87], v[190:191], -v[4:5]
	s_waitcnt vmcnt(2) lgkmcnt(0)
	v_mul_f64 v[246:247], v[114:115], v[242:243]
	v_add_f64 v[2:3], v[2:3], v[4:5]
	s_waitcnt vmcnt(0)
	v_fmac_f64_e32 v[246:247], v[116:117], v[244:245]
	v_add_f64 v[240:241], v[240:241], v[246:247]
	buffer_load_dword v248, off, s[0:3], 0 offset:128
	buffer_load_dword v249, off, s[0:3], 0 offset:132
	;; [unrolled: 1-line block ×4, first 2 shown]
	v_mul_f64 v[4:5], v[92:93], v[218:219]
	v_fma_f64 v[4:5], v[90:91], v[224:225], -v[4:5]
	v_add_f64 v[2:3], v[2:3], v[4:5]
	v_mul_f64 v[4:5], v[96:97], v[216:217]
	v_fma_f64 v[4:5], v[94:95], v[222:223], -v[4:5]
	v_add_f64 v[2:3], v[2:3], v[4:5]
	;; [unrolled: 3-line block ×7, first 2 shown]
	s_waitcnt vmcnt(2)
	v_add_f64 v[2:3], v[248:249], -v[2:3]
	s_waitcnt vmcnt(0)
	v_add_f64 v[4:5], v[246:247], -v[240:241]
	buffer_store_dword v3, off, s[0:3], 0 offset:132
	buffer_store_dword v2, off, s[0:3], 0 offset:128
	;; [unrolled: 1-line block ×4, first 2 shown]
	s_and_saveexec_b64 s[4:5], vcc
	s_cbranch_execz .LBB43_265
; %bb.264:
	v_accvgpr_read_b32 v0, a125
	buffer_load_dword v2, v0, s[0:3], 0 offen
	buffer_load_dword v3, v0, s[0:3], 0 offen offset:4
	buffer_load_dword v4, v0, s[0:3], 0 offen offset:8
	;; [unrolled: 1-line block ×3, first 2 shown]
	v_mov_b32_e32 v0, 0
	v_accvgpr_read_b32 v6, a132
	buffer_store_dword v0, off, s[0:3], 0 offset:112
	buffer_store_dword v0, off, s[0:3], 0 offset:116
	;; [unrolled: 1-line block ×4, first 2 shown]
	s_waitcnt vmcnt(4)
	ds_write_b128 v6, v[2:5]
.LBB43_265:
	s_or_b64 exec, exec, s[4:5]
	s_waitcnt lgkmcnt(0)
	; wave barrier
	s_waitcnt lgkmcnt(0)
	buffer_load_dword v66, off, s[0:3], 0 offset:128
	buffer_load_dword v67, off, s[0:3], 0 offset:132
	;; [unrolled: 1-line block ×55, first 2 shown]
	v_mov_b32_e32 v254, 0
	ds_read_b128 v[74:77], v254 offset:816
	ds_read_b128 v[86:89], v254 offset:832
	;; [unrolled: 1-line block ×9, first 2 shown]
	buffer_load_dword v136, off, s[0:3], 0 offset:352
	buffer_load_dword v155, off, s[0:3], 0 offset:348
	;; [unrolled: 1-line block ×61, first 2 shown]
	v_cmp_lt_u32_e32 vcc, 5, v1
	s_waitcnt vmcnt(62) lgkmcnt(8)
	v_mul_f64 v[6:7], v[74:75], v[68:69]
	v_fmac_f64_e32 v[6:7], v[76:77], v[66:67]
	v_add_f64 v[6:7], v[6:7], 0
	v_mul_f64 v[68:69], v[76:77], v[68:69]
	s_waitcnt lgkmcnt(7)
	v_mul_f64 v[8:9], v[86:87], v[72:73]
	v_fmac_f64_e32 v[8:9], v[88:89], v[70:71]
	s_waitcnt lgkmcnt(6)
	v_mul_f64 v[10:11], v[98:99], v[78:79]
	v_add_f64 v[6:7], v[6:7], v[8:9]
	s_waitcnt lgkmcnt(4)
	v_mul_f64 v[14:15], v[114:115], v[90:91]
	v_fma_f64 v[198:199], v[74:75], v[66:67], -v[68:69]
	v_fmac_f64_e32 v[14:15], v[116:117], v[92:93]
	v_mul_f64 v[72:73], v[88:89], v[72:73]
	v_mul_f64 v[12:13], v[110:111], v[82:83]
	;; [unrolled: 1-line block ×3, first 2 shown]
	s_waitcnt lgkmcnt(2)
	v_mul_f64 v[18:19], v[244:245], v[102:103]
	v_mul_f64 v[82:83], v[112:113], v[82:83]
	;; [unrolled: 1-line block ×4, first 2 shown]
	v_fma_f64 v[204:205], v[114:115], v[92:93], -v[90:91]
	s_waitcnt lgkmcnt(1)
	v_mul_f64 v[20:21], v[248:249], v[106:107]
	v_fmac_f64_e32 v[20:21], v[250:251], v[108:109]
	v_fmac_f64_e32 v[10:11], v[100:101], v[80:81]
	v_add_f64 v[6:7], v[6:7], v[10:11]
	v_fmac_f64_e32 v[12:13], v[112:113], v[84:85]
	v_add_f64 v[6:7], v[6:7], v[12:13]
	;; [unrolled: 2-line block ×4, first 2 shown]
	v_add_f64 v[6:7], v[6:7], v[18:19]
	v_add_f64 v[10:11], v[6:7], v[20:21]
	ds_read_b128 v[6:9], v254 offset:960
	s_waitcnt lgkmcnt(1)
	v_mul_f64 v[12:13], v[2:3], v[118:119]
	v_fmac_f64_e32 v[12:13], v[4:5], v[120:121]
	v_add_f64 v[14:15], v[10:11], v[12:13]
	ds_read_b128 v[10:13], v254 offset:976
	s_waitcnt lgkmcnt(1)
	v_mul_f64 v[16:17], v[6:7], v[126:127]
	v_fmac_f64_e32 v[16:17], v[8:9], v[128:129]
	;; [unrolled: 5-line block ×5, first 2 shown]
	v_add_f64 v[30:31], v[26:27], v[28:29]
	ds_read_b128 v[26:29], v254 offset:1040
	s_waitcnt vmcnt(58) lgkmcnt(1)
	v_mul_f64 v[32:33], v[22:23], v[154:155]
	s_waitcnt vmcnt(56)
	v_fmac_f64_e32 v[32:33], v[24:25], v[158:159]
	v_add_f64 v[34:35], v[30:31], v[32:33]
	ds_read_b128 v[30:33], v254 offset:1056
	s_waitcnt lgkmcnt(1)
	v_mul_f64 v[36:37], v[26:27], v[134:135]
	v_fmac_f64_e32 v[36:37], v[28:29], v[136:137]
	v_add_f64 v[38:39], v[34:35], v[36:37]
	ds_read_b128 v[34:37], v254 offset:1072
	s_waitcnt vmcnt(50) lgkmcnt(1)
	v_mul_f64 v[40:41], v[30:31], v[162:163]
	s_waitcnt vmcnt(48)
	v_fmac_f64_e32 v[40:41], v[32:33], v[166:167]
	v_add_f64 v[42:43], v[38:39], v[40:41]
	ds_read_b128 v[38:41], v254 offset:1088
	s_waitcnt lgkmcnt(1)
	v_mul_f64 v[44:45], v[34:35], v[142:143]
	v_fmac_f64_e32 v[44:45], v[36:37], v[144:145]
	v_add_f64 v[46:47], v[42:43], v[44:45]
	ds_read_b128 v[42:45], v254 offset:1104
	s_waitcnt vmcnt(42) lgkmcnt(1)
	v_mul_f64 v[48:49], v[38:39], v[170:171]
	s_waitcnt vmcnt(40)
	v_fmac_f64_e32 v[48:49], v[40:41], v[174:175]
	v_add_f64 v[50:51], v[46:47], v[48:49]
	ds_read_b128 v[46:49], v254 offset:1120
	buffer_load_dword v213, off, s[0:3], 0 offset:604
	buffer_load_dword v212, off, s[0:3], 0 offset:600
	;; [unrolled: 1-line block ×4, first 2 shown]
	s_waitcnt lgkmcnt(1)
	v_mul_f64 v[52:53], v[42:43], v[146:147]
	v_fmac_f64_e32 v[52:53], v[44:45], v[148:149]
	v_add_f64 v[54:55], v[50:51], v[52:53]
	ds_read_b128 v[50:53], v254 offset:1136
	buffer_load_dword v217, off, s[0:3], 0 offset:620
	buffer_load_dword v216, off, s[0:3], 0 offset:616
	;; [unrolled: 1-line block ×8, first 2 shown]
	s_waitcnt vmcnt(46) lgkmcnt(1)
	v_mul_f64 v[56:57], v[46:47], v[178:179]
	s_waitcnt vmcnt(44)
	v_fmac_f64_e32 v[56:57], v[48:49], v[182:183]
	v_add_f64 v[58:59], v[54:55], v[56:57]
	ds_read_b128 v[54:57], v254 offset:1152
	buffer_load_dword v227, off, s[0:3], 0 offset:652
	buffer_load_dword v226, off, s[0:3], 0 offset:648
	;; [unrolled: 1-line block ×12, first 2 shown]
	s_waitcnt lgkmcnt(1)
	v_mul_f64 v[60:61], v[50:51], v[150:151]
	v_fmac_f64_e32 v[60:61], v[52:53], v[152:153]
	v_add_f64 v[62:63], v[58:59], v[60:61]
	ds_read_b128 v[58:61], v254 offset:1168
	s_waitcnt vmcnt(50) lgkmcnt(1)
	v_mul_f64 v[64:65], v[54:55], v[186:187]
	s_waitcnt vmcnt(48)
	v_fmac_f64_e32 v[64:65], v[56:57], v[190:191]
	v_add_f64 v[62:63], v[62:63], v[64:65]
	buffer_load_dword v237, off, s[0:3], 0 offset:700
	buffer_load_dword v236, off, s[0:3], 0 offset:696
	;; [unrolled: 1-line block ×4, first 2 shown]
	s_waitcnt lgkmcnt(0)
	v_mul_f64 v[64:65], v[58:59], v[156:157]
	v_fmac_f64_e32 v[64:65], v[60:61], v[160:161]
	v_add_f64 v[188:189], v[62:63], v[64:65]
	ds_read_b128 v[62:65], v254 offset:1184
	ds_read_b128 v[66:69], v254 offset:1200
	v_fma_f64 v[200:201], v[98:99], v[80:81], -v[78:79]
	ds_read_b128 v[78:81], v254 offset:1248
	v_fma_f64 v[202:203], v[110:111], v[84:85], -v[82:83]
	ds_read_b128 v[82:85], v254 offset:1264
	s_waitcnt vmcnt(46) lgkmcnt(3)
	v_mul_f64 v[74:75], v[62:63], v[192:193]
	s_waitcnt vmcnt(44)
	v_fmac_f64_e32 v[74:75], v[64:65], v[194:195]
	v_add_f64 v[74:75], v[188:189], v[74:75]
	v_fma_f64 v[188:189], v[86:87], v[70:71], -v[72:73]
	ds_read_b128 v[70:73], v254 offset:1216
	s_waitcnt lgkmcnt(3)
	v_mul_f64 v[76:77], v[66:67], v[164:165]
	v_fmac_f64_e32 v[76:77], v[68:69], v[168:169]
	v_add_f64 v[86:87], v[74:75], v[76:77]
	ds_read_b128 v[74:77], v254 offset:1232
	s_waitcnt vmcnt(38) lgkmcnt(1)
	v_mul_f64 v[88:89], v[70:71], v[196:197]
	s_waitcnt vmcnt(36)
	v_fmac_f64_e32 v[88:89], v[72:73], v[206:207]
	v_add_f64 v[86:87], v[86:87], v[88:89]
	ds_read_b128 v[90:93], v254 offset:1296
	s_waitcnt lgkmcnt(1)
	v_mul_f64 v[88:89], v[74:75], v[172:173]
	v_fmac_f64_e32 v[88:89], v[76:77], v[176:177]
	v_add_f64 v[86:87], v[86:87], v[88:89]
	s_waitcnt vmcnt(30)
	v_mul_f64 v[88:89], v[78:79], v[208:209]
	s_waitcnt vmcnt(28)
	v_fmac_f64_e32 v[88:89], v[80:81], v[210:211]
	v_add_f64 v[86:87], v[86:87], v[88:89]
	v_mul_f64 v[88:89], v[82:83], v[180:181]
	v_fmac_f64_e32 v[88:89], v[84:85], v[184:185]
	v_add_f64 v[98:99], v[86:87], v[88:89]
	ds_read_b128 v[86:89], v254 offset:1280
	v_mul_f64 v[94:95], v[242:243], v[94:95]
	v_fma_f64 v[252:253], v[240:241], v[96:97], -v[94:95]
	ds_read_b128 v[94:97], v254 offset:1312
	v_mul_f64 v[102:103], v[246:247], v[102:103]
	v_fma_f64 v[246:247], v[244:245], v[104:105], -v[102:103]
	;; [unrolled: 3-line block ×3, first 2 shown]
	v_add_f64 v[198:199], v[198:199], 0
	v_add_f64 v[188:189], v[198:199], v[188:189]
	;; [unrolled: 1-line block ×7, first 2 shown]
	v_mul_f64 v[4:5], v[4:5], v[118:119]
	v_add_f64 v[188:189], v[252:253], v[250:251]
	v_fma_f64 v[2:3], v[2:3], v[120:121], -v[4:5]
	v_mul_f64 v[4:5], v[8:9], v[126:127]
	v_add_f64 v[2:3], v[188:189], v[2:3]
	v_fma_f64 v[4:5], v[6:7], v[128:129], -v[4:5]
	v_add_f64 v[2:3], v[2:3], v[4:5]
	ds_read_b128 v[106:109], v254 offset:1360
	v_mul_f64 v[4:5], v[12:13], v[122:123]
	v_fma_f64 v[4:5], v[10:11], v[124:125], -v[4:5]
	v_add_f64 v[2:3], v[2:3], v[4:5]
	s_waitcnt vmcnt(26) lgkmcnt(3)
	v_mul_f64 v[100:101], v[86:87], v[212:213]
	v_mul_f64 v[4:5], v[16:17], v[138:139]
	s_waitcnt vmcnt(24)
	v_fmac_f64_e32 v[100:101], v[88:89], v[214:215]
	v_add_f64 v[98:99], v[98:99], v[100:101]
	s_waitcnt vmcnt(22)
	v_mul_f64 v[100:101], v[90:91], v[216:217]
	s_waitcnt vmcnt(20)
	v_fmac_f64_e32 v[100:101], v[92:93], v[220:221]
	v_add_f64 v[98:99], v[98:99], v[100:101]
	s_waitcnt vmcnt(18) lgkmcnt(2)
	v_mul_f64 v[100:101], v[94:95], v[218:219]
	s_waitcnt vmcnt(16)
	v_fmac_f64_e32 v[100:101], v[96:97], v[222:223]
	v_add_f64 v[110:111], v[98:99], v[100:101]
	ds_read_b128 v[98:101], v254 offset:1328
	v_fma_f64 v[4:5], v[14:15], v[140:141], -v[4:5]
	v_add_f64 v[2:3], v[2:3], v[4:5]
	v_mul_f64 v[4:5], v[20:21], v[130:131]
	v_fma_f64 v[4:5], v[18:19], v[132:133], -v[4:5]
	s_waitcnt vmcnt(14) lgkmcnt(0)
	v_mul_f64 v[112:113], v[98:99], v[226:227]
	s_waitcnt vmcnt(12)
	v_fmac_f64_e32 v[112:113], v[100:101], v[228:229]
	v_add_f64 v[110:111], v[110:111], v[112:113]
	s_waitcnt vmcnt(9)
	v_mul_f64 v[112:113], v[102:103], v[232:233]
	s_waitcnt vmcnt(7)
	v_fmac_f64_e32 v[112:113], v[104:105], v[234:235]
	v_add_f64 v[110:111], v[110:111], v[112:113]
	s_waitcnt vmcnt(5)
	v_mul_f64 v[112:113], v[106:107], v[224:225]
	s_waitcnt vmcnt(4)
	v_fmac_f64_e32 v[112:113], v[108:109], v[230:231]
	v_add_f64 v[114:115], v[110:111], v[112:113]
	ds_read_b128 v[110:113], v254 offset:1376
	buffer_load_dword v242, off, s[0:3], 0 offset:712
	buffer_load_dword v243, off, s[0:3], 0 offset:716
	;; [unrolled: 1-line block ×4, first 2 shown]
	v_add_f64 v[2:3], v[2:3], v[4:5]
	v_mul_f64 v[4:5], v[24:25], v[154:155]
	v_fma_f64 v[4:5], v[22:23], v[158:159], -v[4:5]
	s_waitcnt vmcnt(6) lgkmcnt(0)
	v_mul_f64 v[116:117], v[110:111], v[236:237]
	s_waitcnt vmcnt(4)
	v_fmac_f64_e32 v[116:117], v[112:113], v[238:239]
	v_add_f64 v[240:241], v[114:115], v[116:117]
	ds_read_b128 v[114:117], v254 offset:1392
	v_add_f64 v[2:3], v[2:3], v[4:5]
	v_mul_f64 v[4:5], v[28:29], v[134:135]
	v_fma_f64 v[4:5], v[26:27], v[136:137], -v[4:5]
	v_add_f64 v[2:3], v[2:3], v[4:5]
	v_mul_f64 v[4:5], v[32:33], v[162:163]
	v_fma_f64 v[4:5], v[30:31], v[166:167], -v[4:5]
	;; [unrolled: 3-line block ×22, first 2 shown]
	v_add_f64 v[2:3], v[2:3], v[4:5]
	s_waitcnt vmcnt(2) lgkmcnt(0)
	v_mul_f64 v[248:249], v[114:115], v[242:243]
	v_mul_f64 v[4:5], v[116:117], v[242:243]
	s_waitcnt vmcnt(0)
	v_fmac_f64_e32 v[248:249], v[116:117], v[244:245]
	v_add_f64 v[240:241], v[240:241], v[248:249]
	buffer_load_dword v248, off, s[0:3], 0 offset:112
	buffer_load_dword v249, off, s[0:3], 0 offset:116
	;; [unrolled: 1-line block ×4, first 2 shown]
	v_fma_f64 v[4:5], v[114:115], v[244:245], -v[4:5]
	v_add_f64 v[2:3], v[2:3], v[4:5]
	s_waitcnt vmcnt(2)
	v_add_f64 v[2:3], v[248:249], -v[2:3]
	s_waitcnt vmcnt(0)
	v_add_f64 v[4:5], v[246:247], -v[240:241]
	buffer_store_dword v3, off, s[0:3], 0 offset:116
	buffer_store_dword v2, off, s[0:3], 0 offset:112
	;; [unrolled: 1-line block ×4, first 2 shown]
	s_and_saveexec_b64 s[4:5], vcc
	s_cbranch_execz .LBB43_267
; %bb.266:
	v_accvgpr_read_b32 v0, a126
	buffer_load_dword v2, v0, s[0:3], 0 offen
	buffer_load_dword v3, v0, s[0:3], 0 offen offset:4
	buffer_load_dword v4, v0, s[0:3], 0 offen offset:8
	;; [unrolled: 1-line block ×3, first 2 shown]
	v_accvgpr_read_b32 v0, a132
	buffer_store_dword v254, off, s[0:3], 0 offset:96
	buffer_store_dword v254, off, s[0:3], 0 offset:100
	;; [unrolled: 1-line block ×4, first 2 shown]
	s_waitcnt vmcnt(4)
	ds_write_b128 v0, v[2:5]
.LBB43_267:
	s_or_b64 exec, exec, s[4:5]
	s_waitcnt lgkmcnt(0)
	; wave barrier
	s_waitcnt lgkmcnt(0)
	buffer_load_dword v66, off, s[0:3], 0 offset:112
	buffer_load_dword v67, off, s[0:3], 0 offset:116
	;; [unrolled: 1-line block ×42, first 2 shown]
	ds_read_b128 v[78:81], v254 offset:800
	ds_read_b128 v[90:93], v254 offset:816
	;; [unrolled: 1-line block ×10, first 2 shown]
	buffer_load_dword v129, off, s[0:3], 0 offset:260
	buffer_load_dword v128, off, s[0:3], 0 offset:256
	ds_read_b128 v[6:9], v254 offset:960
	buffer_load_dword v125, off, s[0:3], 0 offset:316
	buffer_load_dword v124, off, s[0:3], 0 offset:312
	;; [unrolled: 1-line block ×80, first 2 shown]
	s_waitcnt vmcnt(62) lgkmcnt(10)
	v_mul_f64 v[10:11], v[78:79], v[68:69]
	v_fmac_f64_e32 v[10:11], v[80:81], v[66:67]
	v_add_f64 v[10:11], v[10:11], 0
	v_mul_f64 v[68:69], v[80:81], v[68:69]
	s_waitcnt lgkmcnt(9)
	v_mul_f64 v[12:13], v[90:91], v[64:65]
	v_fmac_f64_e32 v[12:13], v[92:93], v[62:63]
	s_waitcnt lgkmcnt(8)
	v_mul_f64 v[14:15], v[102:103], v[70:71]
	v_add_f64 v[10:11], v[10:11], v[12:13]
	s_waitcnt lgkmcnt(6)
	v_mul_f64 v[18:19], v[114:115], v[82:83]
	v_mul_f64 v[64:65], v[92:93], v[64:65]
	v_fmac_f64_e32 v[18:19], v[116:117], v[84:85]
	v_fma_f64 v[204:205], v[90:91], v[62:63], -v[64:65]
	v_mul_f64 v[16:17], v[110:111], v[74:75]
	v_fma_f64 v[202:203], v[78:79], v[66:67], -v[68:69]
	s_waitcnt lgkmcnt(4)
	v_mul_f64 v[22:23], v[244:245], v[94:95]
	v_mul_f64 v[70:71], v[104:105], v[70:71]
	v_fmac_f64_e32 v[22:23], v[246:247], v[96:97]
	v_mul_f64 v[74:75], v[112:113], v[74:75]
	v_mul_f64 v[20:21], v[240:241], v[86:87]
	;; [unrolled: 1-line block ×3, first 2 shown]
	s_waitcnt lgkmcnt(2)
	v_mul_f64 v[26:27], v[198:199], v[106:107]
	v_fma_f64 v[0:1], v[114:115], v[84:85], -v[82:83]
	v_mul_f64 v[86:87], v[242:243], v[86:87]
	v_mul_f64 v[24:25], v[248:249], v[98:99]
	;; [unrolled: 1-line block ×3, first 2 shown]
	s_waitcnt lgkmcnt(1)
	v_mul_f64 v[28:29], v[2:3], v[118:119]
	v_fma_f64 v[246:247], v[244:245], v[96:97], -v[94:95]
	v_fmac_f64_e32 v[14:15], v[104:105], v[72:73]
	v_add_f64 v[10:11], v[10:11], v[14:15]
	v_fmac_f64_e32 v[16:17], v[112:113], v[76:77]
	v_add_f64 v[10:11], v[10:11], v[16:17]
	;; [unrolled: 2-line block ×3, first 2 shown]
	v_add_f64 v[10:11], v[10:11], v[20:21]
	v_fmac_f64_e32 v[24:25], v[250:251], v[100:101]
	v_add_f64 v[10:11], v[10:11], v[22:23]
	v_fmac_f64_e32 v[26:27], v[200:201], v[108:109]
	v_add_f64 v[10:11], v[10:11], v[24:25]
	v_add_f64 v[10:11], v[10:11], v[26:27]
	s_waitcnt lgkmcnt(0)
	v_mul_f64 v[16:17], v[6:7], v[120:121]
	v_fmac_f64_e32 v[28:29], v[4:5], v[128:129]
	v_add_f64 v[14:15], v[10:11], v[28:29]
	ds_read_b128 v[10:13], v254 offset:976
	v_fmac_f64_e32 v[16:17], v[8:9], v[122:123]
	v_add_f64 v[18:19], v[14:15], v[16:17]
	ds_read_b128 v[14:17], v254 offset:992
	v_fma_f64 v[252:253], v[110:111], v[76:77], -v[74:75]
	s_waitcnt lgkmcnt(1)
	v_mul_f64 v[20:21], v[10:11], v[130:131]
	v_fmac_f64_e32 v[20:21], v[12:13], v[146:147]
	v_add_f64 v[22:23], v[18:19], v[20:21]
	ds_read_b128 v[18:21], v254 offset:1008
	s_waitcnt lgkmcnt(1)
	v_mul_f64 v[24:25], v[14:15], v[124:125]
	v_fmac_f64_e32 v[24:25], v[16:17], v[126:127]
	v_add_f64 v[26:27], v[22:23], v[24:25]
	ds_read_b128 v[22:25], v254 offset:1024
	;; [unrolled: 5-line block ×4, first 2 shown]
	s_waitcnt vmcnt(58) lgkmcnt(1)
	v_mul_f64 v[36:37], v[26:27], v[158:159]
	s_waitcnt vmcnt(56)
	v_fmac_f64_e32 v[36:37], v[28:29], v[162:163]
	v_add_f64 v[38:39], v[34:35], v[36:37]
	ds_read_b128 v[34:37], v254 offset:1072
	s_waitcnt lgkmcnt(1)
	v_mul_f64 v[40:41], v[30:31], v[136:137]
	v_fmac_f64_e32 v[40:41], v[32:33], v[138:139]
	v_add_f64 v[42:43], v[38:39], v[40:41]
	ds_read_b128 v[38:41], v254 offset:1088
	s_waitcnt vmcnt(50) lgkmcnt(1)
	v_mul_f64 v[44:45], v[34:35], v[166:167]
	s_waitcnt vmcnt(48)
	v_fmac_f64_e32 v[44:45], v[36:37], v[170:171]
	v_add_f64 v[46:47], v[42:43], v[44:45]
	ds_read_b128 v[42:45], v254 offset:1104
	s_waitcnt lgkmcnt(1)
	v_mul_f64 v[48:49], v[38:39], v[140:141]
	v_fmac_f64_e32 v[48:49], v[40:41], v[142:143]
	v_add_f64 v[50:51], v[46:47], v[48:49]
	ds_read_b128 v[46:49], v254 offset:1120
	s_waitcnt vmcnt(42) lgkmcnt(1)
	v_mul_f64 v[52:53], v[42:43], v[174:175]
	s_waitcnt vmcnt(40)
	v_fmac_f64_e32 v[52:53], v[44:45], v[178:179]
	v_add_f64 v[54:55], v[50:51], v[52:53]
	ds_read_b128 v[50:53], v254 offset:1136
	s_waitcnt lgkmcnt(1)
	v_mul_f64 v[56:57], v[46:47], v[144:145]
	buffer_load_dword v197, off, s[0:3], 0 offset:620
	buffer_load_dword v196, off, s[0:3], 0 offset:616
	;; [unrolled: 1-line block ×4, first 2 shown]
	v_fmac_f64_e32 v[56:57], v[48:49], v[148:149]
	v_add_f64 v[58:59], v[54:55], v[56:57]
	ds_read_b128 v[54:57], v254 offset:1152
	buffer_load_dword v222, off, s[0:3], 0 offset:632
	buffer_load_dword v224, off, s[0:3], 0 offset:624
	;; [unrolled: 1-line block ×16, first 2 shown]
	s_waitcnt vmcnt(54) lgkmcnt(1)
	v_mul_f64 v[60:61], v[50:51], v[182:183]
	s_waitcnt vmcnt(52)
	v_fmac_f64_e32 v[60:61], v[52:53], v[186:187]
	v_add_f64 v[188:189], v[58:59], v[60:61]
	ds_read_b128 v[58:61], v254 offset:1168
	buffer_load_dword v236, off, s[0:3], 0 offset:696
	buffer_load_dword v238, off, s[0:3], 0 offset:688
	;; [unrolled: 1-line block ×4, first 2 shown]
	ds_read_b128 v[62:65], v254 offset:1184
	s_waitcnt lgkmcnt(2)
	v_mul_f64 v[66:67], v[54:55], v[152:153]
	v_fmac_f64_e32 v[66:67], v[56:57], v[156:157]
	s_waitcnt vmcnt(50) lgkmcnt(1)
	v_mul_f64 v[68:69], v[58:59], v[192:193]
	v_add_f64 v[66:67], v[188:189], v[66:67]
	s_waitcnt vmcnt(48)
	v_fmac_f64_e32 v[68:69], v[60:61], v[194:195]
	v_add_f64 v[66:67], v[66:67], v[68:69]
	v_fma_f64 v[188:189], v[102:103], v[72:73], -v[70:71]
	ds_read_b128 v[70:73], v254 offset:1216
	s_waitcnt lgkmcnt(1)
	v_mul_f64 v[68:69], v[62:63], v[160:161]
	v_fmac_f64_e32 v[68:69], v[64:65], v[164:165]
	v_add_f64 v[78:79], v[66:67], v[68:69]
	ds_read_b128 v[66:69], v254 offset:1200
	ds_read_b128 v[74:77], v254 offset:1232
	;; [unrolled: 1-line block ×3, first 2 shown]
	v_fma_f64 v[240:241], v[240:241], v[88:89], -v[86:87]
	ds_read_b128 v[86:89], v254 offset:1280
	ds_read_b128 v[94:97], v254 offset:1312
	s_waitcnt vmcnt(42) lgkmcnt(4)
	v_mul_f64 v[80:81], v[66:67], v[206:207]
	s_waitcnt vmcnt(40)
	v_fmac_f64_e32 v[80:81], v[68:69], v[208:209]
	v_add_f64 v[78:79], v[78:79], v[80:81]
	v_mul_f64 v[80:81], v[70:71], v[168:169]
	v_fmac_f64_e32 v[80:81], v[72:73], v[172:173]
	v_add_f64 v[90:91], v[78:79], v[80:81]
	ds_read_b128 v[78:81], v254 offset:1248
	s_waitcnt vmcnt(34) lgkmcnt(4)
	v_mul_f64 v[92:93], v[74:75], v[210:211]
	s_waitcnt vmcnt(32)
	v_fmac_f64_e32 v[92:93], v[76:77], v[212:213]
	v_add_f64 v[90:91], v[90:91], v[92:93]
	v_mul_f64 v[98:99], v[250:251], v[98:99]
	s_waitcnt lgkmcnt(0)
	v_mul_f64 v[92:93], v[78:79], v[176:177]
	v_fmac_f64_e32 v[92:93], v[80:81], v[180:181]
	v_add_f64 v[90:91], v[90:91], v[92:93]
	s_waitcnt vmcnt(26)
	v_mul_f64 v[92:93], v[82:83], v[214:215]
	s_waitcnt vmcnt(24)
	v_fmac_f64_e32 v[92:93], v[84:85], v[216:217]
	v_add_f64 v[90:91], v[90:91], v[92:93]
	v_mul_f64 v[92:93], v[86:87], v[184:185]
	v_fmac_f64_e32 v[92:93], v[88:89], v[190:191]
	v_add_f64 v[102:103], v[90:91], v[92:93]
	ds_read_b128 v[90:93], v254 offset:1296
	v_fma_f64 v[250:251], v[248:249], v[100:101], -v[98:99]
	ds_read_b128 v[98:101], v254 offset:1328
	v_mul_f64 v[106:107], v[200:201], v[106:107]
	v_fma_f64 v[198:199], v[198:199], v[108:109], -v[106:107]
	v_add_f64 v[202:203], v[202:203], 0
	v_add_f64 v[202:203], v[202:203], v[204:205]
	;; [unrolled: 1-line block ×6, first 2 shown]
	v_mul_f64 v[4:5], v[4:5], v[118:119]
	v_fma_f64 v[2:3], v[2:3], v[128:129], -v[4:5]
	ds_read_b128 v[106:109], v254 offset:1360
	s_waitcnt vmcnt(13) lgkmcnt(1)
	v_mul_f64 v[112:113], v[98:99], v[226:227]
	v_mul_f64 v[104:105], v[90:91], v[196:197]
	s_waitcnt vmcnt(11)
	v_fmac_f64_e32 v[112:113], v[100:101], v[232:233]
	v_fmac_f64_e32 v[104:105], v[92:93], v[218:219]
	v_add_f64 v[102:103], v[102:103], v[104:105]
	v_mul_f64 v[104:105], v[94:95], v[222:223]
	v_fmac_f64_e32 v[104:105], v[96:97], v[224:225]
	v_add_f64 v[110:111], v[102:103], v[104:105]
	ds_read_b128 v[102:105], v254 offset:1344
	v_add_f64 v[110:111], v[110:111], v[112:113]
	s_waitcnt vmcnt(10) lgkmcnt(0)
	v_mul_f64 v[112:113], v[102:103], v[220:221]
	s_waitcnt vmcnt(8)
	v_fmac_f64_e32 v[112:113], v[104:105], v[230:231]
	v_add_f64 v[110:111], v[110:111], v[112:113]
	s_waitcnt vmcnt(6)
	v_mul_f64 v[112:113], v[106:107], v[228:229]
	s_waitcnt vmcnt(4)
	v_fmac_f64_e32 v[112:113], v[108:109], v[234:235]
	v_add_f64 v[114:115], v[110:111], v[112:113]
	ds_read_b128 v[110:113], v254 offset:1376
	buffer_load_dword v243, off, s[0:3], 0 offset:716
	buffer_load_dword v242, off, s[0:3], 0 offset:712
	;; [unrolled: 1-line block ×4, first 2 shown]
	s_waitcnt vmcnt(5) lgkmcnt(0)
	v_mul_f64 v[116:117], v[110:111], v[236:237]
	s_waitcnt vmcnt(4)
	v_fmac_f64_e32 v[116:117], v[112:113], v[238:239]
	v_add_f64 v[200:201], v[114:115], v[116:117]
	ds_read_b128 v[114:117], v254 offset:1392
	v_add_f64 v[254:255], v[0:1], v[246:247]
	v_add_f64 v[0:1], v[254:255], v[250:251]
	;; [unrolled: 1-line block ×4, first 2 shown]
	v_mul_f64 v[2:3], v[8:9], v[120:121]
	v_fma_f64 v[2:3], v[6:7], v[122:123], -v[2:3]
	v_add_f64 v[0:1], v[0:1], v[2:3]
	v_mul_f64 v[2:3], v[12:13], v[130:131]
	v_fma_f64 v[2:3], v[10:11], v[146:147], -v[2:3]
	v_add_f64 v[0:1], v[0:1], v[2:3]
	;; [unrolled: 3-line block ×22, first 2 shown]
	s_waitcnt vmcnt(2) lgkmcnt(0)
	v_mul_f64 v[248:249], v[114:115], v[242:243]
	v_mul_f64 v[2:3], v[96:97], v[222:223]
	s_waitcnt vmcnt(0)
	v_fmac_f64_e32 v[248:249], v[116:117], v[244:245]
	v_add_f64 v[200:201], v[200:201], v[248:249]
	buffer_load_dword v248, off, s[0:3], 0 offset:96
	buffer_load_dword v249, off, s[0:3], 0 offset:100
	;; [unrolled: 1-line block ×4, first 2 shown]
	v_fma_f64 v[2:3], v[94:95], v[224:225], -v[2:3]
	v_add_f64 v[0:1], v[0:1], v[2:3]
	v_mul_f64 v[2:3], v[100:101], v[226:227]
	v_fma_f64 v[2:3], v[98:99], v[232:233], -v[2:3]
	v_add_f64 v[0:1], v[0:1], v[2:3]
	v_mul_f64 v[2:3], v[104:105], v[220:221]
	;; [unrolled: 3-line block ×5, first 2 shown]
	v_fma_f64 v[2:3], v[114:115], v[244:245], -v[2:3]
	v_add_f64 v[0:1], v[0:1], v[2:3]
	v_accvgpr_read_b32 v255, a131
	v_cmp_lt_u32_e32 vcc, 4, v255
	s_waitcnt vmcnt(2)
	v_add_f64 v[0:1], v[248:249], -v[0:1]
	s_waitcnt vmcnt(0)
	v_add_f64 v[2:3], v[246:247], -v[200:201]
	buffer_store_dword v1, off, s[0:3], 0 offset:100
	buffer_store_dword v0, off, s[0:3], 0 offset:96
	buffer_store_dword v3, off, s[0:3], 0 offset:108
	buffer_store_dword v2, off, s[0:3], 0 offset:104
	s_and_saveexec_b64 s[4:5], vcc
	s_cbranch_execz .LBB43_269
; %bb.268:
	v_accvgpr_read_b32 v0, a127
	buffer_load_dword v2, v0, s[0:3], 0 offen
	buffer_load_dword v3, v0, s[0:3], 0 offen offset:4
	buffer_load_dword v4, v0, s[0:3], 0 offen offset:8
	;; [unrolled: 1-line block ×3, first 2 shown]
	v_mov_b32_e32 v0, 0
	v_accvgpr_read_b32 v1, a132
	buffer_store_dword v0, off, s[0:3], 0 offset:80
	buffer_store_dword v0, off, s[0:3], 0 offset:84
	;; [unrolled: 1-line block ×4, first 2 shown]
	s_waitcnt vmcnt(4)
	ds_write_b128 v1, v[2:5]
.LBB43_269:
	s_or_b64 exec, exec, s[4:5]
	s_waitcnt lgkmcnt(0)
	; wave barrier
	s_waitcnt lgkmcnt(0)
	buffer_load_dword v54, off, s[0:3], 0 offset:96
	buffer_load_dword v55, off, s[0:3], 0 offset:100
	buffer_load_dword v56, off, s[0:3], 0 offset:104
	buffer_load_dword v57, off, s[0:3], 0 offset:108
	buffer_load_dword v58, off, s[0:3], 0 offset:112
	buffer_load_dword v59, off, s[0:3], 0 offset:116
	buffer_load_dword v60, off, s[0:3], 0 offset:120
	buffer_load_dword v61, off, s[0:3], 0 offset:124
	buffer_load_dword v66, off, s[0:3], 0 offset:136
	buffer_load_dword v67, off, s[0:3], 0 offset:140
	buffer_load_dword v79, off, s[0:3], 0 offset:172
	buffer_load_dword v78, off, s[0:3], 0 offset:168
	buffer_load_dword v81, off, s[0:3], 0 offset:164
	buffer_load_dword v80, off, s[0:3], 0 offset:160
	buffer_load_dword v71, off, s[0:3], 0 offset:156
	buffer_load_dword v70, off, s[0:3], 0 offset:152
	buffer_load_dword v91, off, s[0:3], 0 offset:204
	buffer_load_dword v90, off, s[0:3], 0 offset:200
	buffer_load_dword v93, off, s[0:3], 0 offset:196
	buffer_load_dword v92, off, s[0:3], 0 offset:192
	buffer_load_dword v83, off, s[0:3], 0 offset:188
	buffer_load_dword v82, off, s[0:3], 0 offset:184
	buffer_load_dword v103, off, s[0:3], 0 offset:236
	buffer_load_dword v102, off, s[0:3], 0 offset:232
	buffer_load_dword v104, off, s[0:3], 0 offset:224
	buffer_load_dword v95, off, s[0:3], 0 offset:220
	buffer_load_dword v94, off, s[0:3], 0 offset:216
	buffer_load_dword v107, off, s[0:3], 0 offset:252
	buffer_load_dword v106, off, s[0:3], 0 offset:248
	buffer_load_dword v68, off, s[0:3], 0 offset:128
	buffer_load_dword v69, off, s[0:3], 0 offset:132
	buffer_load_dword v73, off, s[0:3], 0 offset:148
	buffer_load_dword v72, off, s[0:3], 0 offset:144
	buffer_load_dword v85, off, s[0:3], 0 offset:180
	buffer_load_dword v84, off, s[0:3], 0 offset:176
	buffer_load_dword v97, off, s[0:3], 0 offset:212
	buffer_load_dword v96, off, s[0:3], 0 offset:208
	buffer_load_dword v105, off, s[0:3], 0 offset:228
	buffer_load_dword v4, off, s[0:3], 0 offset:264
	buffer_load_dword v0, off, s[0:3], 0 offset:256
	buffer_load_dword v1, off, s[0:3], 0 offset:260
	buffer_load_dword v5, off, s[0:3], 0 offset:268
	buffer_load_dword v109, off, s[0:3], 0 offset:244
	buffer_load_dword v108, off, s[0:3], 0 offset:240
	buffer_load_dword v123, off, s[0:3], 0 offset:300
	buffer_load_dword v122, off, s[0:3], 0 offset:296
	buffer_load_dword v125, off, s[0:3], 0 offset:292
	buffer_load_dword v124, off, s[0:3], 0 offset:288
	buffer_load_dword v127, off, s[0:3], 0 offset:284
	v_mov_b32_e32 v254, 0
	ds_read_b128 v[62:65], v254 offset:784
	ds_read_b128 v[74:77], v254 offset:800
	;; [unrolled: 1-line block ×11, first 2 shown]
	buffer_load_dword v126, off, s[0:3], 0 offset:280
	buffer_load_dword v143, off, s[0:3], 0 offset:276
	;; [unrolled: 1-line block ×75, first 2 shown]
	v_cmp_lt_u32_e32 vcc, 3, v255
	s_waitcnt vmcnt(62) lgkmcnt(9)
	v_mul_f64 v[6:7], v[74:75], v[60:61]
	v_fmac_f64_e32 v[6:7], v[76:77], v[58:59]
	s_waitcnt lgkmcnt(8)
	v_mul_f64 v[8:9], v[86:87], v[66:67]
	v_mul_f64 v[60:61], v[76:77], v[60:61]
	s_waitcnt lgkmcnt(6)
	v_mul_f64 v[12:13], v[110:111], v[78:79]
	v_fma_f64 v[200:201], v[74:75], v[58:59], -v[60:61]
	v_fmac_f64_e32 v[12:13], v[112:113], v[80:81]
	v_mul_f64 v[66:67], v[88:89], v[66:67]
	v_mul_f64 v[10:11], v[98:99], v[70:71]
	;; [unrolled: 1-line block ×3, first 2 shown]
	s_waitcnt lgkmcnt(4)
	v_mul_f64 v[16:17], v[192:193], v[90:91]
	v_mul_f64 v[78:79], v[112:113], v[78:79]
	v_fmac_f64_e32 v[16:17], v[194:195], v[92:93]
	v_fma_f64 v[250:251], v[110:111], v[80:81], -v[78:79]
	v_mul_f64 v[14:15], v[114:115], v[82:83]
	v_mul_f64 v[82:83], v[116:117], v[82:83]
	s_waitcnt lgkmcnt(2)
	v_mul_f64 v[20:21], v[242:243], v[102:103]
	v_mul_f64 v[90:91], v[194:195], v[90:91]
	;; [unrolled: 1-line block ×5, first 2 shown]
	s_waitcnt lgkmcnt(1)
	v_mul_f64 v[22:23], v[246:247], v[106:107]
	v_mul_f64 v[106:107], v[248:249], v[106:107]
	v_fmac_f64_e32 v[8:9], v[88:89], v[68:69]
	v_fma_f64 v[202:203], v[86:87], v[68:69], -v[66:67]
	v_fmac_f64_e32 v[10:11], v[100:101], v[72:73]
	v_fma_f64 v[204:205], v[98:99], v[72:73], -v[70:71]
	;; [unrolled: 2-line block ×3, first 2 shown]
	v_fmac_f64_e32 v[18:19], v[198:199], v[96:97]
	v_fmac_f64_e32 v[20:21], v[244:245], v[104:105]
	v_fmac_f64_e32 v[22:23], v[248:249], v[108:109]
	v_fma_f64 v[198:199], v[196:197], v[96:97], -v[94:95]
	v_pk_mov_b32 v[2:3], v[0:1], v[0:1] op_sel:[0,1]
	v_mul_f64 v[0:1], v[62:63], v[56:57]
	v_fmac_f64_e32 v[0:1], v[64:65], v[54:55]
	v_add_f64 v[0:1], v[0:1], 0
	v_add_f64 v[0:1], v[0:1], v[6:7]
	v_add_f64 v[0:1], v[0:1], v[8:9]
	v_add_f64 v[0:1], v[0:1], v[10:11]
	v_add_f64 v[0:1], v[0:1], v[12:13]
	v_add_f64 v[0:1], v[0:1], v[14:15]
	v_add_f64 v[0:1], v[0:1], v[16:17]
	v_add_f64 v[0:1], v[0:1], v[18:19]
	v_add_f64 v[0:1], v[0:1], v[20:21]
	ds_read_b128 v[6:9], v254 offset:960
	s_waitcnt lgkmcnt(1)
	v_mul_f64 v[10:11], v[118:119], v[4:5]
	v_add_f64 v[0:1], v[0:1], v[22:23]
	v_fmac_f64_e32 v[10:11], v[120:121], v[2:3]
	v_add_f64 v[0:1], v[0:1], v[10:11]
	ds_read_b128 v[10:13], v254 offset:976
	s_waitcnt lgkmcnt(1)
	v_mul_f64 v[14:15], v[6:7], v[126:127]
	v_fmac_f64_e32 v[14:15], v[8:9], v[142:143]
	v_add_f64 v[0:1], v[0:1], v[14:15]
	ds_read_b128 v[14:17], v254 offset:992
	s_waitcnt lgkmcnt(1)
	v_mul_f64 v[18:19], v[10:11], v[122:123]
	;; [unrolled: 5-line block ×4, first 2 shown]
	v_fmac_f64_e32 v[26:27], v[20:21], v[130:131]
	v_add_f64 v[0:1], v[0:1], v[26:27]
	ds_read_b128 v[26:29], v254 offset:1040
	s_waitcnt vmcnt(58) lgkmcnt(1)
	v_mul_f64 v[30:31], v[22:23], v[154:155]
	s_waitcnt vmcnt(56)
	v_fmac_f64_e32 v[30:31], v[24:25], v[158:159]
	v_add_f64 v[0:1], v[0:1], v[30:31]
	ds_read_b128 v[30:33], v254 offset:1056
	s_waitcnt lgkmcnt(1)
	v_mul_f64 v[34:35], v[26:27], v[132:133]
	v_fmac_f64_e32 v[34:35], v[28:29], v[134:135]
	v_add_f64 v[0:1], v[0:1], v[34:35]
	ds_read_b128 v[34:37], v254 offset:1072
	s_waitcnt vmcnt(50) lgkmcnt(1)
	v_mul_f64 v[38:39], v[30:31], v[162:163]
	s_waitcnt vmcnt(48)
	v_fmac_f64_e32 v[38:39], v[32:33], v[166:167]
	v_add_f64 v[0:1], v[0:1], v[38:39]
	ds_read_b128 v[38:41], v254 offset:1088
	s_waitcnt lgkmcnt(1)
	v_mul_f64 v[42:43], v[34:35], v[136:137]
	;; [unrolled: 11-line block ×3, first 2 shown]
	buffer_load_dword v177, off, s[0:3], 0 offset:604
	buffer_load_dword v176, off, s[0:3], 0 offset:600
	;; [unrolled: 1-line block ×4, first 2 shown]
	v_fmac_f64_e32 v[50:51], v[44:45], v[144:145]
	v_add_f64 v[0:1], v[0:1], v[50:51]
	ds_read_b128 v[50:53], v254 offset:1136
	buffer_load_dword v180, off, s[0:3], 0 offset:616
	buffer_load_dword v182, off, s[0:3], 0 offset:608
	;; [unrolled: 1-line block ×12, first 2 shown]
	s_waitcnt vmcnt(50) lgkmcnt(1)
	v_mul_f64 v[184:185], v[46:47], v[208:209]
	s_waitcnt vmcnt(48)
	v_fmac_f64_e32 v[184:185], v[48:49], v[212:213]
	v_add_f64 v[0:1], v[0:1], v[184:185]
	buffer_load_dword v184, off, s[0:3], 0 offset:680
	buffer_load_dword v239, off, s[0:3], 0 offset:668
	;; [unrolled: 1-line block ×8, first 2 shown]
	v_mul_f64 v[56:57], v[64:65], v[56:57]
	v_fma_f64 v[188:189], v[62:63], v[54:55], -v[56:57]
	ds_read_b128 v[54:57], v254 offset:1152
	ds_read_b128 v[58:61], v254 offset:1168
	s_waitcnt lgkmcnt(2)
	v_mul_f64 v[62:63], v[50:51], v[148:149]
	v_fmac_f64_e32 v[62:63], v[52:53], v[152:153]
	v_add_f64 v[0:1], v[0:1], v[62:63]
	s_waitcnt vmcnt(50) lgkmcnt(1)
	v_mul_f64 v[62:63], v[54:55], v[216:217]
	s_waitcnt vmcnt(48)
	v_fmac_f64_e32 v[62:63], v[56:57], v[218:219]
	v_add_f64 v[0:1], v[0:1], v[62:63]
	s_waitcnt lgkmcnt(0)
	v_mul_f64 v[62:63], v[58:59], v[156:157]
	v_fmac_f64_e32 v[62:63], v[60:61], v[160:161]
	v_add_f64 v[0:1], v[0:1], v[62:63]
	ds_read_b128 v[62:65], v254 offset:1184
	ds_read_b128 v[66:69], v254 offset:1200
	;; [unrolled: 1-line block ×5, first 2 shown]
	s_waitcnt vmcnt(42) lgkmcnt(4)
	v_mul_f64 v[74:75], v[62:63], v[220:221]
	s_waitcnt vmcnt(40)
	v_fmac_f64_e32 v[74:75], v[64:65], v[222:223]
	v_add_f64 v[0:1], v[0:1], v[74:75]
	s_waitcnt lgkmcnt(3)
	v_mul_f64 v[74:75], v[66:67], v[164:165]
	v_fmac_f64_e32 v[74:75], v[68:69], v[168:169]
	v_add_f64 v[0:1], v[0:1], v[74:75]
	ds_read_b128 v[74:77], v254 offset:1232
	s_waitcnt vmcnt(34) lgkmcnt(3)
	v_mul_f64 v[86:87], v[70:71], v[224:225]
	s_waitcnt vmcnt(32)
	v_fmac_f64_e32 v[86:87], v[72:73], v[226:227]
	v_add_f64 v[0:1], v[0:1], v[86:87]
	v_accvgpr_write_b32 a135, v3
	s_waitcnt lgkmcnt(0)
	v_mul_f64 v[86:87], v[74:75], v[172:173]
	v_fmac_f64_e32 v[86:87], v[76:77], v[206:207]
	v_add_f64 v[0:1], v[0:1], v[86:87]
	s_waitcnt vmcnt(26)
	v_mul_f64 v[86:87], v[78:79], v[228:229]
	s_waitcnt vmcnt(24)
	v_fmac_f64_e32 v[86:87], v[80:81], v[230:231]
	v_add_f64 v[0:1], v[0:1], v[86:87]
	v_mul_f64 v[86:87], v[82:83], v[210:211]
	v_fmac_f64_e32 v[86:87], v[84:85], v[214:215]
	v_add_f64 v[0:1], v[0:1], v[86:87]
	ds_read_b128 v[86:89], v254 offset:1280
	v_accvgpr_write_b32 a134, v2
	v_fma_f64 v[2:3], v[192:193], v[92:93], -v[90:91]
	ds_read_b128 v[90:93], v254 offset:1296
	ds_read_b128 v[94:97], v254 offset:1312
	v_fma_f64 v[242:243], v[242:243], v[104:105], -v[102:103]
	ds_read_b128 v[102:105], v254 offset:1344
	v_fma_f64 v[196:197], v[246:247], v[108:109], -v[106:107]
	ds_read_b128 v[106:109], v254 offset:1360
	v_add_f64 v[188:189], v[188:189], 0
	v_add_f64 v[188:189], v[188:189], v[200:201]
	;; [unrolled: 1-line block ×8, first 2 shown]
	v_mul_f64 v[4:5], v[120:121], v[4:5]
	v_accvgpr_read_b32 v120, a134
	v_add_f64 v[252:253], v[2:3], v[242:243]
	v_accvgpr_read_b32 v121, a135
	v_add_f64 v[2:3], v[252:253], v[196:197]
	v_fma_f64 v[4:5], v[118:119], v[120:121], -v[4:5]
	v_add_f64 v[2:3], v[2:3], v[4:5]
	v_mul_f64 v[4:5], v[8:9], v[126:127]
	v_fma_f64 v[4:5], v[6:7], v[142:143], -v[4:5]
	v_add_f64 v[2:3], v[2:3], v[4:5]
	v_mul_f64 v[4:5], v[12:13], v[122:123]
	v_fma_f64 v[4:5], v[10:11], v[124:125], -v[4:5]
	v_add_f64 v[2:3], v[2:3], v[4:5]
	s_waitcnt vmcnt(22) lgkmcnt(4)
	v_mul_f64 v[98:99], v[86:87], v[176:177]
	v_mul_f64 v[4:5], v[16:17], v[146:147]
	s_waitcnt vmcnt(20)
	v_fmac_f64_e32 v[98:99], v[88:89], v[178:179]
	v_add_f64 v[0:1], v[0:1], v[98:99]
	v_fma_f64 v[4:5], v[14:15], v[150:151], -v[4:5]
	s_waitcnt vmcnt(17) lgkmcnt(3)
	v_mul_f64 v[98:99], v[90:91], v[180:181]
	s_waitcnt vmcnt(16)
	v_fmac_f64_e32 v[98:99], v[92:93], v[182:183]
	v_add_f64 v[0:1], v[0:1], v[98:99]
	ds_read_b128 v[98:101], v254 offset:1328
	s_waitcnt vmcnt(14) lgkmcnt(3)
	v_mul_f64 v[110:111], v[94:95], v[232:233]
	s_waitcnt vmcnt(12)
	v_fmac_f64_e32 v[110:111], v[96:97], v[190:191]
	buffer_load_dword v193, off, s[0:3], 0 offset:700
	buffer_load_dword v192, off, s[0:3], 0 offset:696
	;; [unrolled: 1-line block ×4, first 2 shown]
	v_add_f64 v[0:1], v[0:1], v[110:111]
	s_waitcnt vmcnt(14) lgkmcnt(0)
	v_mul_f64 v[110:111], v[98:99], v[186:187]
	s_waitcnt vmcnt(12)
	v_fmac_f64_e32 v[110:111], v[100:101], v[234:235]
	v_add_f64 v[0:1], v[0:1], v[110:111]
	s_waitcnt vmcnt(9)
	v_mul_f64 v[110:111], v[102:103], v[238:239]
	s_waitcnt vmcnt(7)
	v_fmac_f64_e32 v[110:111], v[104:105], v[240:241]
	v_add_f64 v[0:1], v[0:1], v[110:111]
	s_waitcnt vmcnt(5)
	v_mul_f64 v[110:111], v[106:107], v[184:185]
	s_waitcnt vmcnt(4)
	v_fmac_f64_e32 v[110:111], v[108:109], v[236:237]
	v_add_f64 v[0:1], v[0:1], v[110:111]
	ds_read_b128 v[110:113], v254 offset:1376
	buffer_load_dword v244, off, s[0:3], 0 offset:712
	buffer_load_dword v245, off, s[0:3], 0 offset:716
	;; [unrolled: 1-line block ×4, first 2 shown]
	v_add_f64 v[2:3], v[2:3], v[4:5]
	v_mul_f64 v[4:5], v[20:21], v[128:129]
	v_fma_f64 v[4:5], v[18:19], v[130:131], -v[4:5]
	v_add_f64 v[2:3], v[2:3], v[4:5]
	v_mul_f64 v[4:5], v[24:25], v[154:155]
	v_fma_f64 v[4:5], v[22:23], v[158:159], -v[4:5]
	;; [unrolled: 3-line block ×21, first 2 shown]
	v_add_f64 v[2:3], v[2:3], v[4:5]
	v_mul_f64 v[4:5], v[104:105], v[238:239]
	s_waitcnt vmcnt(6) lgkmcnt(0)
	v_mul_f64 v[114:115], v[110:111], v[192:193]
	v_fma_f64 v[4:5], v[102:103], v[240:241], -v[4:5]
	s_waitcnt vmcnt(4)
	v_fmac_f64_e32 v[114:115], v[112:113], v[194:195]
	v_add_f64 v[0:1], v[0:1], v[114:115]
	ds_read_b128 v[114:117], v254 offset:1392
	buffer_load_dword v250, off, s[0:3], 0 offset:80
	buffer_load_dword v251, off, s[0:3], 0 offset:84
	v_add_f64 v[2:3], v[2:3], v[4:5]
	v_mul_f64 v[4:5], v[108:109], v[184:185]
	v_fma_f64 v[4:5], v[106:107], v[236:237], -v[4:5]
	v_add_f64 v[2:3], v[2:3], v[4:5]
	v_mul_f64 v[4:5], v[112:113], v[192:193]
	v_fma_f64 v[4:5], v[110:111], v[194:195], -v[4:5]
	s_waitcnt vmcnt(4) lgkmcnt(0)
	v_mul_f64 v[248:249], v[114:115], v[244:245]
	v_add_f64 v[2:3], v[2:3], v[4:5]
	s_waitcnt vmcnt(2)
	v_fmac_f64_e32 v[248:249], v[116:117], v[246:247]
	v_add_f64 v[0:1], v[0:1], v[248:249]
	buffer_load_dword v248, off, s[0:3], 0 offset:88
	buffer_load_dword v249, off, s[0:3], 0 offset:92
	v_mul_f64 v[4:5], v[116:117], v[244:245]
	v_fma_f64 v[4:5], v[114:115], v[246:247], -v[4:5]
	v_add_f64 v[2:3], v[2:3], v[4:5]
	s_waitcnt vmcnt(2)
	v_add_f64 v[2:3], v[250:251], -v[2:3]
	s_waitcnt vmcnt(0)
	v_add_f64 v[0:1], v[248:249], -v[0:1]
	buffer_store_dword v3, off, s[0:3], 0 offset:84
	buffer_store_dword v2, off, s[0:3], 0 offset:80
	;; [unrolled: 1-line block ×4, first 2 shown]
	s_and_saveexec_b64 s[4:5], vcc
	s_cbranch_execz .LBB43_271
; %bb.270:
	v_accvgpr_read_b32 v0, a128
	buffer_load_dword v2, v0, s[0:3], 0 offen
	buffer_load_dword v3, v0, s[0:3], 0 offen offset:4
	buffer_load_dword v4, v0, s[0:3], 0 offen offset:8
	;; [unrolled: 1-line block ×3, first 2 shown]
	v_accvgpr_read_b32 v0, a132
	buffer_store_dword v254, off, s[0:3], 0 offset:64
	buffer_store_dword v254, off, s[0:3], 0 offset:68
	;; [unrolled: 1-line block ×4, first 2 shown]
	s_waitcnt vmcnt(4)
	ds_write_b128 v0, v[2:5]
.LBB43_271:
	s_or_b64 exec, exec, s[4:5]
	s_waitcnt lgkmcnt(0)
	; wave barrier
	s_waitcnt lgkmcnt(0)
	buffer_load_dword v56, off, s[0:3], 0 offset:80
	buffer_load_dword v57, off, s[0:3], 0 offset:84
	;; [unrolled: 1-line block ×42, first 2 shown]
	ds_read_b128 v[78:81], v254 offset:768
	ds_read_b128 v[90:93], v254 offset:784
	;; [unrolled: 1-line block ×10, first 2 shown]
	buffer_load_dword v1, off, s[0:3], 0 offset:228
	buffer_load_dword v0, off, s[0:3], 0 offset:224
	ds_read_b128 v[106:109], v254 offset:928
	buffer_load_dword v3, off, s[0:3], 0 offset:284
	buffer_load_dword v2, off, s[0:3], 0 offset:280
	s_waitcnt vmcnt(38) lgkmcnt(9)
	v_mul_f64 v[4:5], v[90:91], v[62:63]
	v_fmac_f64_e32 v[4:5], v[92:93], v[54:55]
	s_waitcnt vmcnt(36) lgkmcnt(8)
	v_mul_f64 v[6:7], v[114:115], v[58:59]
	v_mul_f64 v[58:59], v[116:117], v[58:59]
	s_waitcnt vmcnt(34) lgkmcnt(6)
	v_mul_f64 v[10:11], v[196:197], v[70:71]
	v_mul_f64 v[70:71], v[198:199], v[70:71]
	s_waitcnt vmcnt(32)
	v_fmac_f64_e32 v[10:11], v[198:199], v[72:73]
	v_fma_f64 v[196:197], v[196:197], v[72:73], -v[70:71]
	s_waitcnt vmcnt(30)
	v_mul_f64 v[8:9], v[192:193], v[64:65]
	s_waitcnt vmcnt(28) lgkmcnt(4)
	v_mul_f64 v[14:15], v[246:247], v[82:83]
	v_mul_f64 v[82:83], v[248:249], v[82:83]
	s_waitcnt vmcnt(26)
	v_fmac_f64_e32 v[14:15], v[248:249], v[84:85]
	v_fma_f64 v[248:249], v[246:247], v[84:85], -v[82:83]
	s_waitcnt vmcnt(24)
	v_mul_f64 v[12:13], v[242:243], v[74:75]
	v_mul_f64 v[74:75], v[244:245], v[74:75]
	s_waitcnt vmcnt(22) lgkmcnt(2)
	v_mul_f64 v[18:19], v[200:201], v[94:95]
	s_waitcnt vmcnt(19)
	v_mul_f64 v[16:17], v[250:251], v[86:87]
	v_mul_f64 v[86:87], v[252:253], v[86:87]
	s_waitcnt vmcnt(17) lgkmcnt(1)
	v_mul_f64 v[20:21], v[98:99], v[102:103]
	s_waitcnt vmcnt(15)
	v_fmac_f64_e32 v[6:7], v[116:117], v[68:69]
	s_waitcnt vmcnt(13)
	v_fmac_f64_e32 v[8:9], v[194:195], v[66:67]
	;; [unrolled: 2-line block ×3, first 2 shown]
	v_fma_f64 v[242:243], v[242:243], v[76:77], -v[74:75]
	s_waitcnt vmcnt(9)
	v_fmac_f64_e32 v[16:17], v[252:253], v[88:89]
	s_waitcnt vmcnt(8)
	v_fmac_f64_e32 v[18:19], v[202:203], v[96:97]
	v_fma_f64 v[250:251], v[250:251], v[88:89], -v[86:87]
	s_waitcnt vmcnt(2)
	v_fmac_f64_e32 v[20:21], v[100:101], v[0:1]
	s_waitcnt vmcnt(0)
	v_pk_mov_b32 v[22:23], v[2:3], v[2:3] op_sel:[0,1]
	buffer_load_dword v3, off, s[0:3], 0 offset:276
	buffer_load_dword v2, off, s[0:3], 0 offset:272
	;; [unrolled: 1-line block ×78, first 2 shown]
	ds_read_b128 v[118:121], v254 offset:944
	v_accvgpr_write_b32 a135, v23
	v_accvgpr_write_b32 a134, v22
	s_waitcnt vmcnt(62)
	v_pk_mov_b32 v[24:25], v[2:3], v[2:3] op_sel:[0,1]
	v_mul_f64 v[2:3], v[78:79], v[60:61]
	v_fmac_f64_e32 v[2:3], v[80:81], v[56:57]
	v_add_f64 v[2:3], v[2:3], 0
	v_add_f64 v[2:3], v[2:3], v[4:5]
	;; [unrolled: 1-line block ×9, first 2 shown]
	s_waitcnt lgkmcnt(1)
	v_mul_f64 v[8:9], v[106:107], v[110:111]
	v_add_f64 v[6:7], v[2:3], v[20:21]
	v_fmac_f64_e32 v[8:9], v[108:109], v[112:113]
	v_add_f64 v[10:11], v[6:7], v[8:9]
	ds_read_b128 v[6:9], v254 offset:960
	s_waitcnt lgkmcnt(1)
	v_mul_f64 v[12:13], v[118:119], v[122:123]
	v_fmac_f64_e32 v[12:13], v[120:121], v[138:139]
	v_add_f64 v[14:15], v[10:11], v[12:13]
	ds_read_b128 v[10:13], v254 offset:976
	s_waitcnt lgkmcnt(1)
	v_mul_f64 v[16:17], v[6:7], v[22:23]
	;; [unrolled: 5-line block ×3, first 2 shown]
	v_fmac_f64_e32 v[20:21], v[12:13], v[146:147]
	v_add_f64 v[22:23], v[18:19], v[20:21]
	ds_read_b128 v[18:21], v254 offset:1008
	v_accvgpr_write_b32 a137, v25
	v_accvgpr_write_b32 a136, v24
	s_waitcnt lgkmcnt(1)
	v_mul_f64 v[24:25], v[14:15], v[124:125]
	v_fmac_f64_e32 v[24:25], v[16:17], v[126:127]
	v_add_f64 v[26:27], v[22:23], v[24:25]
	ds_read_b128 v[22:25], v254 offset:1024
	s_waitcnt vmcnt(58) lgkmcnt(1)
	v_mul_f64 v[28:29], v[18:19], v[150:151]
	s_waitcnt vmcnt(56)
	v_fmac_f64_e32 v[28:29], v[20:21], v[154:155]
	v_add_f64 v[30:31], v[26:27], v[28:29]
	ds_read_b128 v[26:29], v254 offset:1040
	s_waitcnt lgkmcnt(1)
	v_mul_f64 v[32:33], v[22:23], v[128:129]
	v_fmac_f64_e32 v[32:33], v[24:25], v[130:131]
	v_add_f64 v[34:35], v[30:31], v[32:33]
	ds_read_b128 v[30:33], v254 offset:1056
	s_waitcnt vmcnt(50) lgkmcnt(1)
	v_mul_f64 v[36:37], v[26:27], v[158:159]
	s_waitcnt vmcnt(48)
	v_fmac_f64_e32 v[36:37], v[28:29], v[162:163]
	v_add_f64 v[38:39], v[34:35], v[36:37]
	ds_read_b128 v[34:37], v254 offset:1072
	;; [unrolled: 11-line block ×4, first 2 shown]
	buffer_load_dword v176, off, s[0:3], 0 offset:600
	buffer_load_dword v181, off, s[0:3], 0 offset:588
	;; [unrolled: 1-line block ×8, first 2 shown]
	s_waitcnt lgkmcnt(1)
	v_mul_f64 v[184:185], v[46:47], v[144:145]
	v_fmac_f64_e32 v[184:185], v[48:49], v[148:149]
	v_add_f64 v[104:105], v[104:105], v[184:185]
	buffer_load_dword v185, off, s[0:3], 0 offset:620
	buffer_load_dword v184, off, s[0:3], 0 offset:616
	;; [unrolled: 1-line block ×8, first 2 shown]
	v_mul_f64 v[60:61], v[80:81], v[60:61]
	s_waitcnt vmcnt(42) lgkmcnt(0)
	v_mul_f64 v[188:189], v[50:51], v[212:213]
	v_fma_f64 v[204:205], v[78:79], v[56:57], -v[60:61]
	v_mul_f64 v[56:57], v[92:93], v[62:63]
	v_fma_f64 v[2:3], v[90:91], v[54:55], -v[56:57]
	buffer_load_dword v190, off, s[0:3], 0 offset:664
	buffer_load_dword v235, off, s[0:3], 0 offset:652
	;; [unrolled: 1-line block ×12, first 2 shown]
	s_waitcnt vmcnt(52)
	v_fmac_f64_e32 v[188:189], v[52:53], v[214:215]
	ds_read_b128 v[54:57], v254 offset:1152
	v_add_f64 v[4:5], v[104:105], v[188:189]
	v_fma_f64 v[188:189], v[114:115], v[68:69], -v[58:59]
	ds_read_b128 v[58:61], v254 offset:1168
	v_mul_f64 v[62:63], v[194:195], v[64:65]
	v_fma_f64 v[104:105], v[192:193], v[66:67], -v[62:63]
	ds_read_b128 v[62:65], v254 offset:1184
	ds_read_b128 v[70:73], v254 offset:1216
	s_waitcnt lgkmcnt(3)
	v_mul_f64 v[68:69], v[54:55], v[152:153]
	v_fmac_f64_e32 v[68:69], v[56:57], v[156:157]
	s_waitcnt vmcnt(46) lgkmcnt(2)
	v_mul_f64 v[66:67], v[58:59], v[216:217]
	v_add_f64 v[4:5], v[4:5], v[68:69]
	s_waitcnt vmcnt(44)
	v_fmac_f64_e32 v[66:67], v[60:61], v[218:219]
	v_add_f64 v[4:5], v[4:5], v[66:67]
	s_waitcnt lgkmcnt(1)
	v_mul_f64 v[66:67], v[62:63], v[160:161]
	v_fmac_f64_e32 v[66:67], v[64:65], v[164:165]
	v_add_f64 v[4:5], v[4:5], v[66:67]
	ds_read_b128 v[66:69], v254 offset:1200
	ds_read_b128 v[74:77], v254 offset:1232
	ds_read_b128 v[82:85], v254 offset:1264
	ds_read_b128 v[86:89], v254 offset:1280
	s_waitcnt vmcnt(38) lgkmcnt(3)
	v_mul_f64 v[78:79], v[66:67], v[220:221]
	s_waitcnt vmcnt(36)
	v_fmac_f64_e32 v[78:79], v[68:69], v[222:223]
	v_add_f64 v[4:5], v[4:5], v[78:79]
	v_mul_f64 v[78:79], v[70:71], v[168:169]
	v_fmac_f64_e32 v[78:79], v[72:73], v[172:173]
	v_add_f64 v[4:5], v[4:5], v[78:79]
	s_waitcnt vmcnt(30) lgkmcnt(2)
	v_mul_f64 v[78:79], v[74:75], v[224:225]
	s_waitcnt vmcnt(28)
	v_fmac_f64_e32 v[78:79], v[76:77], v[226:227]
	v_add_f64 v[4:5], v[4:5], v[78:79]
	ds_read_b128 v[78:81], v254 offset:1248
	s_waitcnt lgkmcnt(0)
	v_mul_f64 v[90:91], v[78:79], v[206:207]
	v_fmac_f64_e32 v[90:91], v[80:81], v[210:211]
	v_add_f64 v[4:5], v[4:5], v[90:91]
	s_waitcnt vmcnt(25)
	v_mul_f64 v[90:91], v[82:83], v[180:181]
	s_waitcnt vmcnt(23)
	v_fmac_f64_e32 v[90:91], v[84:85], v[182:183]
	v_add_f64 v[4:5], v[4:5], v[90:91]
	s_waitcnt vmcnt(21)
	v_mul_f64 v[90:91], v[86:87], v[176:177]
	s_waitcnt vmcnt(20)
	v_fmac_f64_e32 v[90:91], v[88:89], v[178:179]
	v_add_f64 v[114:115], v[4:5], v[90:91]
	ds_read_b128 v[90:93], v254 offset:1296
	v_mul_f64 v[4:5], v[202:203], v[94:95]
	v_fma_f64 v[202:203], v[200:201], v[96:97], -v[4:5]
	ds_read_b128 v[94:97], v254 offset:1312
	v_mul_f64 v[4:5], v[100:101], v[102:103]
	s_waitcnt vmcnt(18) lgkmcnt(1)
	v_mul_f64 v[116:117], v[90:91], v[184:185]
	s_waitcnt vmcnt(16)
	v_fmac_f64_e32 v[116:117], v[92:93], v[186:187]
	v_fma_f64 v[4:5], v[98:99], v[0:1], -v[4:5]
	s_waitcnt vmcnt(14) lgkmcnt(0)
	v_mul_f64 v[102:103], v[94:95], v[228:229]
	v_add_f64 v[0:1], v[114:115], v[116:117]
	s_waitcnt vmcnt(12)
	v_fmac_f64_e32 v[102:103], v[96:97], v[230:231]
	v_add_f64 v[0:1], v[0:1], v[102:103]
	v_mul_f64 v[102:103], v[108:109], v[110:111]
	ds_read_b128 v[98:101], v254 offset:1328
	ds_read_b128 v[198:201], v254 offset:1344
	v_fma_f64 v[252:253], v[106:107], v[112:113], -v[102:103]
	ds_read_b128 v[106:109], v254 offset:1360
	buffer_load_dword v192, off, s[0:3], 0 offset:696
	buffer_load_dword v193, off, s[0:3], 0 offset:700
	;; [unrolled: 1-line block ×4, first 2 shown]
	ds_read_b128 v[110:113], v254 offset:1376
	buffer_load_dword v245, off, s[0:3], 0 offset:716
	buffer_load_dword v244, off, s[0:3], 0 offset:712
	;; [unrolled: 1-line block ×4, first 2 shown]
	s_waitcnt vmcnt(17) lgkmcnt(3)
	v_mul_f64 v[102:103], v[98:99], v[234:235]
	s_waitcnt vmcnt(15)
	v_fmac_f64_e32 v[102:103], v[100:101], v[238:239]
	v_add_f64 v[0:1], v[0:1], v[102:103]
	s_waitcnt vmcnt(13) lgkmcnt(2)
	v_mul_f64 v[102:103], v[198:199], v[190:191]
	s_waitcnt vmcnt(12)
	v_fmac_f64_e32 v[102:103], v[200:201], v[232:233]
	ds_read_b128 v[114:117], v254 offset:1392
	v_add_f64 v[0:1], v[0:1], v[102:103]
	s_waitcnt vmcnt(10) lgkmcnt(2)
	v_mul_f64 v[102:103], v[106:107], v[236:237]
	s_waitcnt vmcnt(8)
	v_fmac_f64_e32 v[102:103], v[108:109], v[240:241]
	v_add_f64 v[0:1], v[0:1], v[102:103]
	s_waitcnt vmcnt(6) lgkmcnt(1)
	v_mul_f64 v[102:103], v[110:111], v[192:193]
	s_waitcnt vmcnt(4)
	v_fmac_f64_e32 v[102:103], v[112:113], v[194:195]
	;; [unrolled: 5-line block ×3, first 2 shown]
	v_add_f64 v[0:1], v[0:1], v[102:103]
	v_add_f64 v[102:103], v[204:205], 0
	;; [unrolled: 1-line block ×8, first 2 shown]
	buffer_load_dword v248, off, s[0:3], 0 offset:64
	buffer_load_dword v249, off, s[0:3], 0 offset:68
	;; [unrolled: 1-line block ×4, first 2 shown]
	v_add_f64 v[2:3], v[2:3], v[250:251]
	v_add_f64 v[254:255], v[2:3], v[202:203]
	v_add_f64 v[2:3], v[254:255], v[4:5]
	v_mul_f64 v[4:5], v[120:121], v[122:123]
	v_add_f64 v[2:3], v[2:3], v[252:253]
	v_fma_f64 v[4:5], v[118:119], v[138:139], -v[4:5]
	v_add_f64 v[2:3], v[2:3], v[4:5]
	v_accvgpr_read_b32 v4, a134
	v_accvgpr_read_b32 v5, a135
	v_mul_f64 v[4:5], v[8:9], v[4:5]
	v_accvgpr_read_b32 v8, a136
	v_accvgpr_read_b32 v9, a137
	v_fma_f64 v[4:5], v[6:7], v[8:9], -v[4:5]
	v_add_f64 v[2:3], v[2:3], v[4:5]
	v_mul_f64 v[4:5], v[12:13], v[142:143]
	v_fma_f64 v[4:5], v[10:11], v[146:147], -v[4:5]
	v_add_f64 v[2:3], v[2:3], v[4:5]
	v_mul_f64 v[4:5], v[16:17], v[124:125]
	;; [unrolled: 3-line block ×27, first 2 shown]
	v_fma_f64 v[4:5], v[114:115], v[246:247], -v[4:5]
	v_add_f64 v[2:3], v[2:3], v[4:5]
	s_waitcnt vmcnt(2)
	v_add_f64 v[2:3], v[248:249], -v[2:3]
	s_waitcnt vmcnt(0)
	v_add_f64 v[0:1], v[196:197], -v[0:1]
	buffer_store_dword v3, off, s[0:3], 0 offset:68
	buffer_store_dword v2, off, s[0:3], 0 offset:64
	;; [unrolled: 1-line block ×4, first 2 shown]
	v_accvgpr_read_b32 v0, a131
	v_cmp_lt_u32_e32 vcc, 2, v0
	s_and_saveexec_b64 s[4:5], vcc
	s_cbranch_execz .LBB43_273
; %bb.272:
	v_accvgpr_read_b32 v0, a129
	buffer_load_dword v2, v0, s[0:3], 0 offen
	buffer_load_dword v3, v0, s[0:3], 0 offen offset:4
	buffer_load_dword v4, v0, s[0:3], 0 offen offset:8
	;; [unrolled: 1-line block ×3, first 2 shown]
	v_mov_b32_e32 v0, 0
	v_accvgpr_read_b32 v1, a132
	buffer_store_dword v0, off, s[0:3], 0 offset:48
	buffer_store_dword v0, off, s[0:3], 0 offset:52
	;; [unrolled: 1-line block ×4, first 2 shown]
	s_waitcnt vmcnt(4)
	ds_write_b128 v1, v[2:5]
.LBB43_273:
	s_or_b64 exec, exec, s[4:5]
	s_waitcnt lgkmcnt(0)
	; wave barrier
	s_waitcnt lgkmcnt(0)
	buffer_load_dword v54, off, s[0:3], 0 offset:64
	buffer_load_dword v55, off, s[0:3], 0 offset:68
	;; [unrolled: 1-line block ×46, first 2 shown]
	v_mov_b32_e32 v196, 0
	s_waitcnt vmcnt(0)
	v_pk_mov_b32 v[20:21], v[0:1], v[0:1] op_sel:[0,1]
	buffer_load_dword v1, off, s[0:3], 0 offset:260
	buffer_load_dword v0, off, s[0:3], 0 offset:256
	;; [unrolled: 1-line block ×3, first 2 shown]
	ds_read_b128 v[94:97], v196 offset:752
	ds_read_b128 v[108:111], v196 offset:768
	ds_read_b128 v[112:115], v196 offset:784
	ds_read_b128 v[172:175], v196 offset:800
	ds_read_b128 v[176:179], v196 offset:816
	ds_read_b128 v[180:183], v196 offset:832
	ds_read_b128 v[184:187], v196 offset:848
	ds_read_b128 v[190:193], v196 offset:864
	ds_read_b128 v[198:201], v196 offset:880
	ds_read_b128 v[202:205], v196 offset:896
	ds_read_b128 v[98:101], v196 offset:912
	buffer_load_dword v106, off, s[0:3], 0 offset:248
	buffer_load_dword v189, off, s[0:3], 0 offset:244
	;; [unrolled: 1-line block ×75, first 2 shown]
	s_waitcnt lgkmcnt(9)
	v_mul_f64 v[2:3], v[108:109], v[62:63]
	s_waitcnt lgkmcnt(8)
	v_mul_f64 v[4:5], v[112:113], v[60:61]
	v_fmac_f64_e32 v[2:3], v[110:111], v[58:59]
	s_waitcnt lgkmcnt(7)
	v_mul_f64 v[6:7], v[172:173], v[68:69]
	v_fmac_f64_e32 v[4:5], v[114:115], v[84:85]
	;; [unrolled: 3-line block ×5, first 2 shown]
	ds_read_b128 v[86:89], v196 offset:928
	ds_read_b128 v[118:121], v196 offset:944
	s_waitcnt lgkmcnt(5)
	v_mul_f64 v[14:15], v[190:191], v[78:79]
	v_fmac_f64_e32 v[12:13], v[186:187], v[76:77]
	s_waitcnt lgkmcnt(4)
	v_mul_f64 v[16:17], v[198:199], v[116:117]
	v_fmac_f64_e32 v[14:15], v[192:193], v[80:81]
	;; [unrolled: 3-line block ×3, first 2 shown]
	v_fmac_f64_e32 v[18:19], v[204:205], v[92:93]
	v_accvgpr_write_b32 a135, v21
	v_accvgpr_write_b32 a134, v20
	v_mul_f64 v[62:63], v[110:111], v[62:63]
	v_mul_f64 v[74:75], v[186:187], v[74:75]
	v_fma_f64 v[186:187], v[184:185], v[76:77], -v[74:75]
	v_mul_f64 v[78:79], v[192:193], v[78:79]
	v_fma_f64 v[190:191], v[190:191], v[80:81], -v[78:79]
	;; [unrolled: 2-line block ×4, first 2 shown]
	s_waitcnt vmcnt(62)
	v_pk_mov_b32 v[22:23], v[0:1], v[0:1] op_sel:[0,1]
	v_mul_f64 v[0:1], v[94:95], v[56:57]
	v_fmac_f64_e32 v[0:1], v[96:97], v[54:55]
	v_add_f64 v[0:1], v[0:1], 0
	v_add_f64 v[0:1], v[0:1], v[2:3]
	;; [unrolled: 1-line block ×9, first 2 shown]
	s_waitcnt lgkmcnt(2)
	v_mul_f64 v[2:3], v[98:99], v[102:103]
	v_add_f64 v[0:1], v[0:1], v[18:19]
	v_fmac_f64_e32 v[2:3], v[100:101], v[104:105]
	s_waitcnt lgkmcnt(1)
	v_mul_f64 v[6:7], v[86:87], v[106:107]
	v_add_f64 v[0:1], v[0:1], v[2:3]
	v_fmac_f64_e32 v[6:7], v[88:89], v[188:189]
	s_waitcnt lgkmcnt(0)
	v_mul_f64 v[10:11], v[118:119], v[20:21]
	v_add_f64 v[0:1], v[0:1], v[6:7]
	ds_read_b128 v[6:9], v196 offset:960
	v_fmac_f64_e32 v[10:11], v[120:121], v[22:23]
	v_add_f64 v[0:1], v[0:1], v[10:11]
	ds_read_b128 v[10:13], v196 offset:976
	v_accvgpr_write_b32 a137, v23
	s_waitcnt lgkmcnt(1)
	v_mul_f64 v[14:15], v[6:7], v[218:219]
	v_fmac_f64_e32 v[14:15], v[8:9], v[222:223]
	v_add_f64 v[0:1], v[0:1], v[14:15]
	s_waitcnt lgkmcnt(0)
	v_mul_f64 v[18:19], v[10:11], v[208:209]
	ds_read_b128 v[14:17], v196 offset:992
	v_fmac_f64_e32 v[18:19], v[12:13], v[206:207]
	v_add_f64 v[0:1], v[0:1], v[18:19]
	ds_read_b128 v[18:21], v196 offset:1008
	v_accvgpr_write_b32 a136, v22
	s_waitcnt vmcnt(58) lgkmcnt(1)
	v_mul_f64 v[22:23], v[14:15], v[226:227]
	s_waitcnt vmcnt(56)
	v_fmac_f64_e32 v[22:23], v[16:17], v[230:231]
	v_add_f64 v[0:1], v[0:1], v[22:23]
	s_waitcnt lgkmcnt(0)
	v_mul_f64 v[26:27], v[18:19], v[122:123]
	ds_read_b128 v[22:25], v196 offset:1024
	v_fmac_f64_e32 v[26:27], v[20:21], v[124:125]
	v_add_f64 v[0:1], v[0:1], v[26:27]
	ds_read_b128 v[26:29], v196 offset:1040
	v_mul_f64 v[56:57], v[96:97], v[56:57]
	s_waitcnt vmcnt(50) lgkmcnt(1)
	v_mul_f64 v[30:31], v[22:23], v[234:235]
	s_waitcnt vmcnt(48)
	v_fmac_f64_e32 v[30:31], v[24:25], v[238:239]
	v_add_f64 v[0:1], v[0:1], v[30:31]
	s_waitcnt lgkmcnt(0)
	v_mul_f64 v[34:35], v[26:27], v[210:211]
	ds_read_b128 v[30:33], v196 offset:1056
	v_fmac_f64_e32 v[34:35], v[28:29], v[212:213]
	v_add_f64 v[0:1], v[0:1], v[34:35]
	ds_read_b128 v[34:37], v196 offset:1072
	v_fma_f64 v[4:5], v[94:95], v[54:55], -v[56:57]
	s_waitcnt vmcnt(42) lgkmcnt(1)
	v_mul_f64 v[38:39], v[30:31], v[242:243]
	s_waitcnt vmcnt(40)
	v_fmac_f64_e32 v[38:39], v[32:33], v[246:247]
	v_add_f64 v[0:1], v[0:1], v[38:39]
	s_waitcnt lgkmcnt(0)
	v_mul_f64 v[42:43], v[34:35], v[214:215]
	ds_read_b128 v[38:41], v196 offset:1088
	v_fmac_f64_e32 v[42:43], v[36:37], v[216:217]
	v_add_f64 v[0:1], v[0:1], v[42:43]
	ds_read_b128 v[42:45], v196 offset:1104
	v_fma_f64 v[96:97], v[108:109], v[58:59], -v[62:63]
	s_waitcnt vmcnt(34) lgkmcnt(1)
	v_mul_f64 v[46:47], v[38:39], v[250:251]
	s_waitcnt vmcnt(32)
	v_fmac_f64_e32 v[46:47], v[40:41], v[254:255]
	v_add_f64 v[0:1], v[0:1], v[46:47]
	s_waitcnt lgkmcnt(0)
	v_mul_f64 v[50:51], v[42:43], v[220:221]
	v_fmac_f64_e32 v[50:51], v[44:45], v[224:225]
	ds_read_b128 v[46:49], v196 offset:1120
	v_add_f64 v[0:1], v[0:1], v[50:51]
	ds_read_b128 v[50:53], v196 offset:1136
	buffer_load_dword v145, off, s[0:3], 0 offset:572
	buffer_load_dword v144, off, s[0:3], 0 offset:568
	;; [unrolled: 1-line block ×8, first 2 shown]
	s_waitcnt vmcnt(34) lgkmcnt(1)
	v_mul_f64 v[148:149], v[46:47], v[128:129]
	s_waitcnt vmcnt(32)
	v_fmac_f64_e32 v[148:149], v[48:49], v[130:131]
	v_add_f64 v[0:1], v[0:1], v[148:149]
	buffer_load_dword v149, off, s[0:3], 0 offset:620
	buffer_load_dword v155, off, s[0:3], 0 offset:604
	;; [unrolled: 1-line block ×8, first 2 shown]
	ds_read_b128 v[54:57], v196 offset:1152
	buffer_load_dword v161, off, s[0:3], 0 offset:636
	buffer_load_dword v160, off, s[0:3], 0 offset:632
	;; [unrolled: 1-line block ×12, first 2 shown]
	s_waitcnt lgkmcnt(1)
	v_mul_f64 v[94:95], v[50:51], v[228:229]
	v_mul_f64 v[58:59], v[114:115], v[60:61]
	v_fma_f64 v[108:109], v[112:113], v[84:85], -v[58:59]
	v_fmac_f64_e32 v[94:95], v[52:53], v[232:233]
	v_mul_f64 v[58:59], v[174:175], v[68:69]
	v_add_f64 v[0:1], v[0:1], v[94:95]
	v_fma_f64 v[94:95], v[172:173], v[82:83], -v[58:59]
	buffer_load_dword v172, off, s[0:3], 0 offset:680
	buffer_load_dword v174, off, s[0:3], 0 offset:672
	;; [unrolled: 1-line block ×4, first 2 shown]
	s_waitcnt vmcnt(50) lgkmcnt(0)
	v_mul_f64 v[58:59], v[54:55], v[132:133]
	s_waitcnt vmcnt(48)
	v_fmac_f64_e32 v[58:59], v[56:57], v[134:135]
	v_add_f64 v[0:1], v[0:1], v[58:59]
	ds_read_b128 v[58:61], v196 offset:1168
	v_mul_f64 v[62:63], v[178:179], v[64:65]
	v_fma_f64 v[176:177], v[176:177], v[66:67], -v[62:63]
	ds_read_b128 v[62:65], v196 offset:1184
	v_mul_f64 v[66:67], v[182:183], v[70:71]
	v_fma_f64 v[180:181], v[180:181], v[72:73], -v[66:67]
	ds_read_b128 v[66:69], v196 offset:1200
	ds_read_b128 v[74:77], v196 offset:1232
	s_waitcnt lgkmcnt(3)
	v_mul_f64 v[82:83], v[58:59], v[236:237]
	v_fmac_f64_e32 v[82:83], v[60:61], v[240:241]
	s_waitcnt vmcnt(42) lgkmcnt(2)
	v_mul_f64 v[70:71], v[62:63], v[136:137]
	v_add_f64 v[0:1], v[0:1], v[82:83]
	s_waitcnt vmcnt(40)
	v_fmac_f64_e32 v[70:71], v[64:65], v[138:139]
	v_add_f64 v[0:1], v[0:1], v[70:71]
	s_waitcnt lgkmcnt(1)
	v_mul_f64 v[70:71], v[66:67], v[244:245]
	v_fmac_f64_e32 v[70:71], v[68:69], v[248:249]
	v_add_f64 v[0:1], v[0:1], v[70:71]
	ds_read_b128 v[70:73], v196 offset:1216
	ds_read_b128 v[78:81], v196 offset:1248
	;; [unrolled: 1-line block ×4, first 2 shown]
	v_mul_f64 v[100:101], v[100:101], v[102:103]
	s_waitcnt vmcnt(34) lgkmcnt(3)
	v_mul_f64 v[82:83], v[70:71], v[140:141]
	s_waitcnt vmcnt(32)
	v_fmac_f64_e32 v[82:83], v[72:73], v[142:143]
	v_add_f64 v[0:1], v[0:1], v[82:83]
	v_mul_f64 v[82:83], v[74:75], v[252:253]
	v_fmac_f64_e32 v[82:83], v[76:77], v[126:127]
	v_add_f64 v[0:1], v[0:1], v[82:83]
	v_fma_f64 v[2:3], v[98:99], v[104:105], -v[100:101]
	ds_read_b128 v[98:101], v196 offset:1328
	ds_read_b128 v[102:105], v196 offset:1344
	v_mul_f64 v[88:89], v[88:89], v[106:107]
	v_fma_f64 v[86:87], v[86:87], v[188:189], -v[88:89]
	v_accvgpr_write_b32 a139, v87
	v_accvgpr_write_b32 a138, v86
	v_add_f64 v[4:5], v[4:5], 0
	v_add_f64 v[4:5], v[4:5], v[96:97]
	ds_read_b128 v[198:201], v196 offset:1280
	v_add_f64 v[4:5], v[4:5], v[108:109]
	v_add_f64 v[4:5], v[4:5], v[94:95]
	;; [unrolled: 1-line block ×9, first 2 shown]
	v_accvgpr_read_b32 v4, a134
	v_accvgpr_read_b32 v2, a138
	;; [unrolled: 1-line block ×5, first 2 shown]
	v_mul_f64 v[4:5], v[120:121], v[4:5]
	v_accvgpr_read_b32 v95, a137
	v_add_f64 v[2:3], v[194:195], v[2:3]
	v_fma_f64 v[4:5], v[118:119], v[94:95], -v[4:5]
	v_add_f64 v[2:3], v[2:3], v[4:5]
	v_mul_f64 v[4:5], v[8:9], v[218:219]
	s_waitcnt vmcnt(30) lgkmcnt(5)
	v_mul_f64 v[82:83], v[78:79], v[144:145]
	v_fma_f64 v[4:5], v[6:7], v[222:223], -v[4:5]
	s_waitcnt vmcnt(28)
	v_fmac_f64_e32 v[82:83], v[80:81], v[146:147]
	v_add_f64 v[0:1], v[0:1], v[82:83]
	ds_read_b128 v[82:85], v196 offset:1264
	s_waitcnt vmcnt(9) lgkmcnt(3)
	v_mul_f64 v[86:87], v[98:99], v[164:165]
	s_waitcnt vmcnt(8)
	v_fmac_f64_e32 v[86:87], v[100:101], v[166:167]
	v_add_f64 v[2:3], v[2:3], v[4:5]
	v_mul_f64 v[4:5], v[12:13], v[208:209]
	s_waitcnt lgkmcnt(0)
	v_mul_f64 v[110:111], v[82:83], v[150:151]
	v_fmac_f64_e32 v[110:111], v[84:85], v[152:153]
	v_add_f64 v[0:1], v[0:1], v[110:111]
	v_mul_f64 v[110:111], v[198:199], v[154:155]
	v_fmac_f64_e32 v[110:111], v[200:201], v[158:159]
	v_add_f64 v[0:1], v[0:1], v[110:111]
	;; [unrolled: 3-line block ×4, first 2 shown]
	v_add_f64 v[0:1], v[0:1], v[86:87]
	s_waitcnt vmcnt(6)
	v_mul_f64 v[86:87], v[102:103], v[168:169]
	s_waitcnt vmcnt(4)
	v_fmac_f64_e32 v[86:87], v[104:105], v[170:171]
	v_add_f64 v[0:1], v[0:1], v[86:87]
	ds_read_b128 v[86:89], v196 offset:1360
	v_fma_f64 v[4:5], v[10:11], v[206:207], -v[4:5]
	v_add_f64 v[2:3], v[2:3], v[4:5]
	v_mul_f64 v[4:5], v[16:17], v[226:227]
	v_fma_f64 v[4:5], v[14:15], v[230:231], -v[4:5]
	s_waitcnt vmcnt(1) lgkmcnt(0)
	v_mul_f64 v[106:107], v[86:87], v[172:173]
	s_waitcnt vmcnt(0)
	v_fmac_f64_e32 v[106:107], v[88:89], v[174:175]
	v_add_f64 v[106:107], v[0:1], v[106:107]
	buffer_load_dword v1, off, s[0:3], 0 offset:700
	buffer_load_dword v0, off, s[0:3], 0 offset:696
	;; [unrolled: 1-line block ×4, first 2 shown]
	ds_read_b128 v[110:113], v196 offset:1376
	buffer_load_dword v182, off, s[0:3], 0 offset:712
	buffer_load_dword v183, off, s[0:3], 0 offset:716
	;; [unrolled: 1-line block ×4, first 2 shown]
	v_add_f64 v[2:3], v[2:3], v[4:5]
	v_mul_f64 v[4:5], v[20:21], v[122:123]
	v_fma_f64 v[4:5], v[18:19], v[124:125], -v[4:5]
	v_add_f64 v[2:3], v[2:3], v[4:5]
	v_mul_f64 v[4:5], v[24:25], v[234:235]
	v_fma_f64 v[4:5], v[22:23], v[238:239], -v[4:5]
	;; [unrolled: 3-line block ×23, first 2 shown]
	v_add_f64 v[2:3], v[2:3], v[4:5]
	s_waitcnt vmcnt(6) lgkmcnt(0)
	v_mul_f64 v[114:115], v[110:111], v[0:1]
	v_mul_f64 v[0:1], v[112:113], v[0:1]
	s_waitcnt vmcnt(4)
	v_fmac_f64_e32 v[114:115], v[112:113], v[178:179]
	v_add_f64 v[106:107], v[106:107], v[114:115]
	ds_read_b128 v[114:117], v196 offset:1392
	buffer_load_dword v190, off, s[0:3], 0 offset:48
	buffer_load_dword v191, off, s[0:3], 0 offset:52
	;; [unrolled: 1-line block ×4, first 2 shown]
	v_fma_f64 v[0:1], v[110:111], v[178:179], -v[0:1]
	v_add_f64 v[0:1], v[2:3], v[0:1]
	s_waitcnt vmcnt(6) lgkmcnt(0)
	v_mul_f64 v[2:3], v[116:117], v[182:183]
	v_mul_f64 v[188:189], v[114:115], v[182:183]
	s_waitcnt vmcnt(4)
	v_fma_f64 v[2:3], v[114:115], v[184:185], -v[2:3]
	v_fmac_f64_e32 v[188:189], v[116:117], v[184:185]
	v_add_f64 v[0:1], v[0:1], v[2:3]
	v_add_f64 v[106:107], v[106:107], v[188:189]
	s_waitcnt vmcnt(2)
	v_add_f64 v[0:1], v[190:191], -v[0:1]
	s_waitcnt vmcnt(0)
	v_add_f64 v[2:3], v[186:187], -v[106:107]
	buffer_store_dword v1, off, s[0:3], 0 offset:52
	buffer_store_dword v0, off, s[0:3], 0 offset:48
	;; [unrolled: 1-line block ×4, first 2 shown]
	v_accvgpr_read_b32 v0, a131
	v_cmp_lt_u32_e32 vcc, 1, v0
	s_and_saveexec_b64 s[4:5], vcc
	s_cbranch_execz .LBB43_275
; %bb.274:
	v_accvgpr_read_b32 v0, a130
	buffer_load_dword v2, v0, s[0:3], 0 offen
	buffer_load_dword v3, v0, s[0:3], 0 offen offset:4
	buffer_load_dword v4, v0, s[0:3], 0 offen offset:8
	;; [unrolled: 1-line block ×3, first 2 shown]
	v_accvgpr_read_b32 v0, a132
	buffer_store_dword v196, off, s[0:3], 0 offset:32
	buffer_store_dword v196, off, s[0:3], 0 offset:36
	;; [unrolled: 1-line block ×4, first 2 shown]
	s_waitcnt vmcnt(4)
	ds_write_b128 v0, v[2:5]
.LBB43_275:
	s_or_b64 exec, exec, s[4:5]
	s_waitcnt lgkmcnt(0)
	; wave barrier
	s_waitcnt lgkmcnt(0)
	buffer_load_dword v58, off, s[0:3], 0 offset:48
	buffer_load_dword v59, off, s[0:3], 0 offset:52
	;; [unrolled: 1-line block ×42, first 2 shown]
	ds_read_b128 v[110:113], v196 offset:736
	ds_read_b128 v[114:117], v196 offset:752
	;; [unrolled: 1-line block ×10, first 2 shown]
	buffer_load_dword v1, off, s[0:3], 0 offset:196
	buffer_load_dword v0, off, s[0:3], 0 offset:192
	ds_read_b128 v[90:93], v196 offset:896
	buffer_load_dword v105, off, s[0:3], 0 offset:252
	buffer_load_dword v104, off, s[0:3], 0 offset:248
	;; [unrolled: 1-line block ×6, first 2 shown]
	s_waitcnt vmcnt(46) lgkmcnt(10)
	v_mul_f64 v[2:3], v[110:111], v[60:61]
	v_fmac_f64_e32 v[2:3], v[112:113], v[58:59]
	v_add_f64 v[2:3], v[2:3], 0
	v_mul_f64 v[60:61], v[112:113], v[60:61]
	s_waitcnt vmcnt(42) lgkmcnt(9)
	v_mul_f64 v[4:5], v[114:115], v[62:63]
	v_fmac_f64_e32 v[4:5], v[116:117], v[56:57]
	v_add_f64 v[2:3], v[2:3], v[4:5]
	buffer_load_dword v99, off, s[0:3], 0 offset:228
	buffer_load_dword v98, off, s[0:3], 0 offset:224
	;; [unrolled: 1-line block ×4, first 2 shown]
	s_waitcnt vmcnt(44) lgkmcnt(8)
	v_mul_f64 v[6:7], v[164:165], v[54:55]
	s_waitcnt vmcnt(42) lgkmcnt(6)
	v_mul_f64 v[10:11], v[176:177], v[64:65]
	s_waitcnt vmcnt(40)
	v_fmac_f64_e32 v[10:11], v[178:179], v[66:67]
	v_mul_f64 v[54:55], v[166:167], v[54:55]
	s_waitcnt vmcnt(38)
	v_mul_f64 v[8:9], v[168:169], v[68:69]
	s_waitcnt vmcnt(36) lgkmcnt(4)
	v_mul_f64 v[14:15], v[184:185], v[70:71]
	s_waitcnt vmcnt(34)
	v_fmac_f64_e32 v[14:15], v[186:187], v[72:73]
	s_waitcnt vmcnt(32)
	v_mul_f64 v[12:13], v[180:181], v[74:75]
	s_waitcnt vmcnt(30) lgkmcnt(2)
	v_mul_f64 v[18:19], v[198:199], v[194:195]
	s_waitcnt vmcnt(27)
	v_mul_f64 v[16:17], v[190:191], v[76:77]
	s_waitcnt vmcnt(25) lgkmcnt(1)
	v_mul_f64 v[20:21], v[82:83], v[86:87]
	s_waitcnt vmcnt(23)
	v_fmac_f64_e32 v[6:7], v[166:167], v[100:101]
	v_add_f64 v[2:3], v[2:3], v[6:7]
	s_waitcnt vmcnt(21)
	v_fmac_f64_e32 v[8:9], v[170:171], v[172:173]
	v_add_f64 v[2:3], v[2:3], v[8:9]
	;; [unrolled: 3-line block ×3, first 2 shown]
	v_add_f64 v[2:3], v[2:3], v[12:13]
	s_waitcnt vmcnt(17)
	v_fmac_f64_e32 v[16:17], v[192:193], v[88:89]
	v_add_f64 v[2:3], v[2:3], v[14:15]
	s_waitcnt vmcnt(16)
	v_fmac_f64_e32 v[18:19], v[200:201], v[188:189]
	v_add_f64 v[2:3], v[2:3], v[16:17]
	v_add_f64 v[2:3], v[2:3], v[18:19]
	v_fma_f64 v[100:101], v[164:165], v[100:101], -v[54:55]
	s_waitcnt vmcnt(10)
	v_fmac_f64_e32 v[20:21], v[84:85], v[0:1]
	v_add_f64 v[2:3], v[2:3], v[20:21]
	v_mul_f64 v[54:55], v[170:171], v[68:69]
	v_mul_f64 v[84:85], v[84:85], v[86:87]
	s_waitcnt vmcnt(0)
	v_pk_mov_b32 v[18:19], v[4:5], v[4:5] op_sel:[0,1]
	buffer_load_dword v5, off, s[0:3], 0 offset:276
	buffer_load_dword v4, off, s[0:3], 0 offset:272
	v_accvgpr_write_b32 a135, v19
	v_accvgpr_write_b32 a134, v18
	s_waitcnt vmcnt(0)
	v_pk_mov_b32 v[22:23], v[4:5], v[4:5] op_sel:[0,1]
	buffer_load_dword v215, off, s[0:3], 0 offset:268
	buffer_load_dword v214, off, s[0:3], 0 offset:264
	;; [unrolled: 1-line block ×68, first 2 shown]
	ds_read_b128 v[202:205], v196 offset:912
	ds_read_b128 v[78:81], v196 offset:928
	;; [unrolled: 1-line block ×4, first 2 shown]
	v_accvgpr_write_b32 a137, v23
	v_accvgpr_write_b32 a136, v22
	s_waitcnt lgkmcnt(2)
	v_mul_f64 v[8:9], v[78:79], v[104:105]
	v_fmac_f64_e32 v[8:9], v[80:81], v[106:107]
	s_waitcnt lgkmcnt(0)
	v_mul_f64 v[16:17], v[144:145], v[18:19]
	v_fmac_f64_e32 v[16:17], v[146:147], v[22:23]
	v_mul_f64 v[80:81], v[80:81], v[104:105]
	s_waitcnt vmcnt(62)
	v_mul_f64 v[12:13], v[118:119], v[214:215]
	v_fmac_f64_e32 v[12:13], v[120:121], v[218:219]
	v_pk_mov_b32 v[26:27], v[4:5], v[4:5] op_sel:[0,1]
	v_mul_f64 v[4:5], v[90:91], v[96:97]
	v_fmac_f64_e32 v[4:5], v[92:93], v[102:103]
	v_add_f64 v[2:3], v[2:3], v[4:5]
	v_mul_f64 v[4:5], v[202:203], v[108:109]
	v_fmac_f64_e32 v[4:5], v[204:205], v[98:99]
	v_add_f64 v[6:7], v[2:3], v[4:5]
	v_add_f64 v[10:11], v[6:7], v[8:9]
	v_add_f64 v[14:15], v[10:11], v[12:13]
	ds_read_b128 v[10:13], v196 offset:976
	v_add_f64 v[18:19], v[14:15], v[16:17]
	ds_read_b128 v[14:17], v196 offset:992
	v_accvgpr_write_b32 a139, v27
	v_accvgpr_write_b32 a138, v26
	s_waitcnt vmcnt(58) lgkmcnt(1)
	v_mul_f64 v[20:21], v[10:11], v[222:223]
	s_waitcnt vmcnt(56)
	v_fmac_f64_e32 v[20:21], v[12:13], v[128:129]
	v_add_f64 v[22:23], v[18:19], v[20:21]
	ds_read_b128 v[18:21], v196 offset:1008
	s_waitcnt lgkmcnt(1)
	v_mul_f64 v[24:25], v[14:15], v[26:27]
	v_fmac_f64_e32 v[24:25], v[16:17], v[124:125]
	v_add_f64 v[26:27], v[22:23], v[24:25]
	ds_read_b128 v[22:25], v196 offset:1024
	s_waitcnt vmcnt(50) lgkmcnt(1)
	v_mul_f64 v[28:29], v[18:19], v[224:225]
	s_waitcnt vmcnt(48)
	v_fmac_f64_e32 v[28:29], v[20:21], v[226:227]
	v_add_f64 v[30:31], v[26:27], v[28:29]
	ds_read_b128 v[26:29], v196 offset:1040
	s_waitcnt lgkmcnt(1)
	v_mul_f64 v[32:33], v[22:23], v[206:207]
	v_fmac_f64_e32 v[32:33], v[24:25], v[208:209]
	v_add_f64 v[34:35], v[30:31], v[32:33]
	ds_read_b128 v[30:33], v196 offset:1056
	;; [unrolled: 11-line block ×4, first 2 shown]
	s_waitcnt vmcnt(26) lgkmcnt(1)
	v_mul_f64 v[52:53], v[42:43], v[236:237]
	s_waitcnt vmcnt(24)
	v_fmac_f64_e32 v[52:53], v[44:45], v[238:239]
	v_add_f64 v[252:253], v[50:51], v[52:53]
	ds_read_b128 v[50:53], v196 offset:1136
	buffer_load_dword v9, off, s[0:3], 0 offset:556
	buffer_load_dword v8, off, s[0:3], 0 offset:552
	;; [unrolled: 1-line block ×20, first 2 shown]
	s_waitcnt lgkmcnt(1)
	v_mul_f64 v[254:255], v[46:47], v[126:127]
	v_fma_f64 v[6:7], v[110:111], v[58:59], -v[60:61]
	v_fma_f64 v[110:111], v[168:169], v[172:173], -v[54:55]
	buffer_load_dword v166, off, s[0:3], 0 offset:632
	buffer_load_dword v168, off, s[0:3], 0 offset:624
	;; [unrolled: 1-line block ×12, first 2 shown]
	v_fmac_f64_e32 v[254:255], v[48:49], v[130:131]
	v_add_f64 v[58:59], v[252:253], v[254:255]
	buffer_load_dword v253, off, s[0:3], 0 offset:684
	buffer_load_dword v252, off, s[0:3], 0 offset:680
	;; [unrolled: 1-line block ×4, first 2 shown]
	v_mul_f64 v[4:5], v[116:117], v[62:63]
	v_mul_f64 v[54:55], v[178:179], v[64:65]
	s_waitcnt vmcnt(54) lgkmcnt(0)
	v_mul_f64 v[60:61], v[50:51], v[240:241]
	v_fma_f64 v[4:5], v[114:115], v[56:57], -v[4:5]
	v_fma_f64 v[112:113], v[176:177], v[66:67], -v[54:55]
	ds_read_b128 v[54:57], v196 offset:1152
	s_waitcnt vmcnt(52)
	v_fmac_f64_e32 v[60:61], v[52:53], v[242:243]
	v_add_f64 v[62:63], v[58:59], v[60:61]
	v_mul_f64 v[58:59], v[182:183], v[74:75]
	v_fma_f64 v[180:181], v[180:181], v[94:95], -v[58:59]
	ds_read_b128 v[58:61], v196 offset:1168
	s_waitcnt lgkmcnt(1)
	v_mul_f64 v[64:65], v[54:55], v[132:133]
	v_fmac_f64_e32 v[64:65], v[56:57], v[134:135]
	v_add_f64 v[74:75], v[62:63], v[64:65]
	ds_read_b128 v[62:65], v196 offset:1184
	v_mul_f64 v[66:67], v[186:187], v[70:71]
	s_waitcnt vmcnt(46) lgkmcnt(1)
	v_mul_f64 v[70:71], v[58:59], v[244:245]
	v_fma_f64 v[186:187], v[184:185], v[72:73], -v[66:67]
	ds_read_b128 v[66:69], v196 offset:1200
	s_waitcnt vmcnt(44)
	v_fmac_f64_e32 v[70:71], v[60:61], v[246:247]
	v_add_f64 v[74:75], v[74:75], v[70:71]
	v_mul_f64 v[70:71], v[192:193], v[76:77]
	v_fma_f64 v[190:191], v[190:191], v[88:89], -v[70:71]
	ds_read_b128 v[70:73], v196 offset:1216
	s_waitcnt lgkmcnt(2)
	v_mul_f64 v[94:95], v[62:63], v[136:137]
	v_fmac_f64_e32 v[94:95], v[64:65], v[138:139]
	s_waitcnt vmcnt(38) lgkmcnt(1)
	v_mul_f64 v[76:77], v[66:67], v[248:249]
	v_add_f64 v[74:75], v[74:75], v[94:95]
	s_waitcnt vmcnt(36)
	v_fmac_f64_e32 v[76:77], v[68:69], v[250:251]
	v_mul_f64 v[94:95], v[200:201], v[194:195]
	v_add_f64 v[74:75], v[74:75], v[76:77]
	v_fma_f64 v[188:189], v[198:199], v[188:189], -v[94:95]
	ds_read_b128 v[198:201], v196 offset:1248
	s_waitcnt lgkmcnt(1)
	v_mul_f64 v[76:77], v[70:71], v[140:141]
	v_fmac_f64_e32 v[76:77], v[72:73], v[142:143]
	v_add_f64 v[88:89], v[74:75], v[76:77]
	ds_read_b128 v[74:77], v196 offset:1232
	v_fma_f64 v[2:3], v[82:83], v[0:1], -v[84:85]
	ds_read_b128 v[82:85], v196 offset:1264
	v_mul_f64 v[92:93], v[92:93], v[96:97]
	v_fma_f64 v[0:1], v[90:91], v[102:103], -v[92:93]
	v_mul_f64 v[102:103], v[204:205], v[108:109]
	v_fma_f64 v[192:193], v[202:203], v[98:99], -v[102:103]
	ds_read_b128 v[202:205], v196 offset:1312
	v_fma_f64 v[194:195], v[78:79], v[106:107], -v[80:81]
	ds_read_b128 v[102:105], v196 offset:1344
	ds_read_b128 v[106:109], v196 offset:1360
	v_add_f64 v[6:7], v[6:7], 0
	v_add_f64 v[4:5], v[6:7], v[4:5]
	;; [unrolled: 1-line block ×10, first 2 shown]
	ds_read_b128 v[90:93], v196 offset:1296
	v_accvgpr_read_b32 v4, a136
	v_accvgpr_read_b32 v5, a137
	s_waitcnt vmcnt(25) lgkmcnt(4)
	v_mul_f64 v[96:97], v[82:83], v[154:155]
	s_waitcnt vmcnt(23)
	v_fmac_f64_e32 v[96:97], v[84:85], v[160:161]
	v_mul_f64 v[94:95], v[74:75], v[8:9]
	v_fmac_f64_e32 v[94:95], v[76:77], v[122:123]
	v_mul_f64 v[86:87], v[198:199], v[150:151]
	v_add_f64 v[88:89], v[88:89], v[94:95]
	v_fmac_f64_e32 v[86:87], v[200:201], v[152:153]
	v_add_f64 v[94:95], v[88:89], v[86:87]
	ds_read_b128 v[86:89], v196 offset:1280
	v_add_f64 v[94:95], v[94:95], v[96:97]
	s_waitcnt vmcnt(22) lgkmcnt(0)
	v_mul_f64 v[96:97], v[86:87], v[148:149]
	s_waitcnt vmcnt(20)
	v_fmac_f64_e32 v[96:97], v[88:89], v[158:159]
	v_add_f64 v[94:95], v[94:95], v[96:97]
	s_waitcnt vmcnt(18)
	v_mul_f64 v[96:97], v[90:91], v[156:157]
	s_waitcnt vmcnt(16)
	v_fmac_f64_e32 v[96:97], v[92:93], v[162:163]
	v_add_f64 v[98:99], v[94:95], v[96:97]
	ds_read_b128 v[94:97], v196 offset:1328
	buffer_load_dword v176, off, s[0:3], 0 offset:696
	buffer_load_dword v177, off, s[0:3], 0 offset:700
	buffer_load_dword v178, off, s[0:3], 0 offset:688
	buffer_load_dword v179, off, s[0:3], 0 offset:692
	s_waitcnt vmcnt(17)
	v_mul_f64 v[78:79], v[202:203], v[166:167]
	s_waitcnt vmcnt(16)
	v_fmac_f64_e32 v[78:79], v[204:205], v[168:169]
	v_add_f64 v[78:79], v[98:99], v[78:79]
	s_waitcnt vmcnt(13) lgkmcnt(0)
	v_mul_f64 v[80:81], v[94:95], v[172:173]
	s_waitcnt vmcnt(11)
	v_fmac_f64_e32 v[80:81], v[96:97], v[174:175]
	v_add_f64 v[78:79], v[78:79], v[80:81]
	s_waitcnt vmcnt(9)
	v_mul_f64 v[80:81], v[102:103], v[164:165]
	s_waitcnt vmcnt(8)
	v_fmac_f64_e32 v[80:81], v[104:105], v[170:171]
	v_add_f64 v[78:79], v[78:79], v[80:81]
	s_waitcnt vmcnt(6)
	v_mul_f64 v[80:81], v[106:107], v[252:253]
	s_waitcnt vmcnt(4)
	v_fmac_f64_e32 v[80:81], v[108:109], v[254:255]
	v_add_f64 v[98:99], v[78:79], v[80:81]
	ds_read_b128 v[78:81], v196 offset:1376
	buffer_load_dword v183, off, s[0:3], 0 offset:716
	buffer_load_dword v182, off, s[0:3], 0 offset:712
	;; [unrolled: 1-line block ×4, first 2 shown]
	s_waitcnt vmcnt(6) lgkmcnt(0)
	v_mul_f64 v[114:115], v[78:79], v[176:177]
	s_waitcnt vmcnt(4)
	v_fmac_f64_e32 v[114:115], v[80:81], v[178:179]
	v_add_f64 v[98:99], v[98:99], v[114:115]
	ds_read_b128 v[114:117], v196 offset:1392
	buffer_load_dword v190, off, s[0:3], 0 offset:32
	buffer_load_dword v191, off, s[0:3], 0 offset:36
	;; [unrolled: 1-line block ×4, first 2 shown]
	s_waitcnt vmcnt(6) lgkmcnt(0)
	v_mul_f64 v[196:197], v[114:115], v[182:183]
	s_waitcnt vmcnt(4)
	v_fmac_f64_e32 v[196:197], v[116:117], v[184:185]
	v_add_f64 v[98:99], v[98:99], v[196:197]
	v_add_f64 v[196:197], v[2:3], v[0:1]
	;; [unrolled: 1-line block ×3, first 2 shown]
	v_mul_f64 v[2:3], v[120:121], v[214:215]
	v_add_f64 v[0:1], v[0:1], v[194:195]
	v_fma_f64 v[2:3], v[118:119], v[218:219], -v[2:3]
	v_add_f64 v[0:1], v[0:1], v[2:3]
	v_accvgpr_read_b32 v2, a134
	v_accvgpr_read_b32 v3, a135
	v_mul_f64 v[2:3], v[146:147], v[2:3]
	v_fma_f64 v[2:3], v[144:145], v[4:5], -v[2:3]
	v_add_f64 v[0:1], v[0:1], v[2:3]
	v_mul_f64 v[2:3], v[12:13], v[222:223]
	v_fma_f64 v[2:3], v[10:11], v[128:129], -v[2:3]
	v_add_f64 v[0:1], v[0:1], v[2:3]
	v_accvgpr_read_b32 v2, a138
	v_accvgpr_read_b32 v3, a139
	v_mul_f64 v[2:3], v[16:17], v[2:3]
	v_fma_f64 v[2:3], v[14:15], v[124:125], -v[2:3]
	v_add_f64 v[0:1], v[0:1], v[2:3]
	v_mul_f64 v[2:3], v[20:21], v[224:225]
	v_fma_f64 v[2:3], v[18:19], v[226:227], -v[2:3]
	v_add_f64 v[0:1], v[0:1], v[2:3]
	;; [unrolled: 3-line block ×26, first 2 shown]
	s_waitcnt vmcnt(2)
	v_add_f64 v[0:1], v[190:191], -v[0:1]
	s_waitcnt vmcnt(0)
	v_add_f64 v[2:3], v[186:187], -v[98:99]
	buffer_store_dword v1, off, s[0:3], 0 offset:36
	buffer_store_dword v0, off, s[0:3], 0 offset:32
	;; [unrolled: 1-line block ×4, first 2 shown]
	v_accvgpr_read_b32 v0, a131
	v_cmp_ne_u32_e32 vcc, 0, v0
	s_and_saveexec_b64 s[4:5], vcc
	s_cbranch_execz .LBB43_277
; %bb.276:
	buffer_load_dword v2, off, s[0:3], 0 offset:16
	buffer_load_dword v3, off, s[0:3], 0 offset:20
	buffer_load_dword v4, off, s[0:3], 0 offset:24
	buffer_load_dword v5, off, s[0:3], 0 offset:28
	v_mov_b32_e32 v0, 0
	v_accvgpr_read_b32 v1, a132
	buffer_store_dword v0, off, s[0:3], 0 offset:16
	buffer_store_dword v0, off, s[0:3], 0 offset:20
	;; [unrolled: 1-line block ×4, first 2 shown]
	s_waitcnt vmcnt(4)
	ds_write_b128 v1, v[2:5]
.LBB43_277:
	s_or_b64 exec, exec, s[4:5]
	s_waitcnt lgkmcnt(0)
	; wave barrier
	s_waitcnt lgkmcnt(0)
	buffer_load_dword v58, off, s[0:3], 0 offset:32
	buffer_load_dword v59, off, s[0:3], 0 offset:36
	buffer_load_dword v60, off, s[0:3], 0 offset:40
	buffer_load_dword v61, off, s[0:3], 0 offset:44
	buffer_load_dword v52, off, s[0:3], 0 offset:48
	buffer_load_dword v53, off, s[0:3], 0 offset:52
	buffer_load_dword v54, off, s[0:3], 0 offset:56
	buffer_load_dword v55, off, s[0:3], 0 offset:60
	buffer_load_dword v56, off, s[0:3], 0 offset:72
	buffer_load_dword v57, off, s[0:3], 0 offset:76
	buffer_load_dword v65, off, s[0:3], 0 offset:108
	buffer_load_dword v64, off, s[0:3], 0 offset:104
	buffer_load_dword v63, off, s[0:3], 0 offset:100
	buffer_load_dword v62, off, s[0:3], 0 offset:96
	buffer_load_dword v67, off, s[0:3], 0 offset:92
	buffer_load_dword v66, off, s[0:3], 0 offset:88
	buffer_load_dword v73, off, s[0:3], 0 offset:140
	buffer_load_dword v72, off, s[0:3], 0 offset:136
	buffer_load_dword v75, off, s[0:3], 0 offset:132
	buffer_load_dword v74, off, s[0:3], 0 offset:128
	buffer_load_dword v79, off, s[0:3], 0 offset:124
	buffer_load_dword v78, off, s[0:3], 0 offset:120
	buffer_load_dword v69, off, s[0:3], 0 offset:156
	buffer_load_dword v68, off, s[0:3], 0 offset:152
	buffer_load_dword v84, off, s[0:3], 0 offset:64
	buffer_load_dword v85, off, s[0:3], 0 offset:68
	buffer_load_dword v83, off, s[0:3], 0 offset:84
	buffer_load_dword v82, off, s[0:3], 0 offset:80
	buffer_load_dword v81, off, s[0:3], 0 offset:116
	buffer_load_dword v80, off, s[0:3], 0 offset:112
	buffer_load_dword v77, off, s[0:3], 0 offset:148
	buffer_load_dword v76, off, s[0:3], 0 offset:144
	buffer_load_dword v70, off, s[0:3], 0 offset:168
	buffer_load_dword v86, off, s[0:3], 0 offset:160
	buffer_load_dword v87, off, s[0:3], 0 offset:164
	buffer_load_dword v71, off, s[0:3], 0 offset:172
	buffer_load_dword v89, off, s[0:3], 0 offset:204
	buffer_load_dword v88, off, s[0:3], 0 offset:200
	buffer_load_dword v91, off, s[0:3], 0 offset:196
	buffer_load_dword v90, off, s[0:3], 0 offset:192
	buffer_load_dword v93, off, s[0:3], 0 offset:188
	buffer_load_dword v92, off, s[0:3], 0 offset:184
	buffer_load_dword v95, off, s[0:3], 0 offset:180
	buffer_load_dword v94, off, s[0:3], 0 offset:176
	buffer_load_dword v97, off, s[0:3], 0 offset:236
	buffer_load_dword v96, off, s[0:3], 0 offset:232
	buffer_load_dword v99, off, s[0:3], 0 offset:228
	buffer_load_dword v98, off, s[0:3], 0 offset:224
	buffer_load_dword v101, off, s[0:3], 0 offset:220
	buffer_load_dword v100, off, s[0:3], 0 offset:216
	buffer_load_dword v103, off, s[0:3], 0 offset:212
	buffer_load_dword v102, off, s[0:3], 0 offset:208
	buffer_load_dword v1, off, s[0:3], 0 offset:268
	buffer_load_dword v0, off, s[0:3], 0 offset:264
	v_mov_b32_e32 v16, 0
	ds_read_b128 v[104:107], v16 offset:720
	ds_read_b128 v[108:111], v16 offset:736
	;; [unrolled: 1-line block ×9, first 2 shown]
	s_and_b64 vcc, exec, s[20:21]
	s_waitcnt vmcnt(46) lgkmcnt(7)
	v_mul_f64 v[2:3], v[108:109], v[54:55]
	v_fmac_f64_e32 v[2:3], v[110:111], v[52:53]
	s_waitcnt vmcnt(44) lgkmcnt(6)
	v_mul_f64 v[4:5], v[112:113], v[56:57]
	v_mul_f64 v[54:55], v[110:111], v[54:55]
	s_waitcnt vmcnt(42) lgkmcnt(4)
	v_mul_f64 v[8:9], v[160:161], v[64:65]
	s_waitcnt vmcnt(40)
	v_fmac_f64_e32 v[8:9], v[162:163], v[62:63]
	s_waitcnt vmcnt(38)
	v_mul_f64 v[6:7], v[154:155], v[66:67]
	s_waitcnt vmcnt(36) lgkmcnt(2)
	v_mul_f64 v[12:13], v[174:175], v[72:73]
	s_waitcnt vmcnt(34)
	v_fmac_f64_e32 v[12:13], v[176:177], v[74:75]
	s_waitcnt vmcnt(32)
	;; [unrolled: 6-line block ×3, first 2 shown]
	v_fmac_f64_e32 v[6:7], v[156:157], v[82:83]
	s_waitcnt vmcnt(24)
	v_fmac_f64_e32 v[10:11], v[172:173], v[80:81]
	s_waitcnt vmcnt(22)
	;; [unrolled: 2-line block ×3, first 2 shown]
	v_pk_mov_b32 v[18:19], v[0:1], v[0:1] op_sel:[0,1]
	v_mul_f64 v[0:1], v[104:105], v[60:61]
	v_fmac_f64_e32 v[0:1], v[106:107], v[58:59]
	v_add_f64 v[0:1], v[0:1], 0
	v_add_f64 v[0:1], v[0:1], v[2:3]
	;; [unrolled: 1-line block ×7, first 2 shown]
	buffer_load_dword v1, off, s[0:3], 0 offset:260
	buffer_load_dword v0, off, s[0:3], 0 offset:256
	v_add_f64 v[4:5], v[4:5], v[14:15]
	v_accvgpr_write_b32 a133, v19
	v_accvgpr_write_b32 a132, v18
	s_waitcnt vmcnt(0)
	v_pk_mov_b32 v[12:13], v[0:1], v[0:1] op_sel:[0,1]
	buffer_load_dword v3, off, s[0:3], 0 offset:252
	buffer_load_dword v2, off, s[0:3], 0 offset:248
	;; [unrolled: 1-line block ×6, first 2 shown]
	v_accvgpr_write_b32 a135, v13
	v_accvgpr_write_b32 a134, v12
	s_waitcnt vmcnt(0)
	v_pk_mov_b32 v[20:21], v[6:7], v[6:7] op_sel:[0,1]
	buffer_load_dword v7, off, s[0:3], 0 offset:292
	buffer_load_dword v6, off, s[0:3], 0 offset:288
	v_accvgpr_write_b32 a137, v21
	v_accvgpr_write_b32 a136, v20
	s_waitcnt vmcnt(0)
	v_pk_mov_b32 v[22:23], v[6:7], v[6:7] op_sel:[0,1]
	buffer_load_dword v225, off, s[0:3], 0 offset:284
	buffer_load_dword v224, off, s[0:3], 0 offset:280
	;; [unrolled: 1-line block ×6, first 2 shown]
	v_accvgpr_write_b32 a139, v23
	v_accvgpr_write_b32 a138, v22
	s_waitcnt vmcnt(0)
	v_pk_mov_b32 v[28:29], v[6:7], v[6:7] op_sel:[0,1]
	buffer_load_dword v7, off, s[0:3], 0 offset:324
	buffer_load_dword v6, off, s[0:3], 0 offset:320
	;; [unrolled: 1-line block ×46, first 2 shown]
	ds_read_b128 v[186:189], v16 offset:864
	ds_read_b128 v[190:193], v16 offset:880
	;; [unrolled: 1-line block ×8, first 2 shown]
	s_waitcnt lgkmcnt(2)
	v_mul_f64 v[10:11], v[206:207], v[18:19]
	v_fmac_f64_e32 v[10:11], v[208:209], v[12:13]
	s_waitcnt vmcnt(44)
	v_pk_mov_b32 v[30:31], v[6:7], v[6:7] op_sel:[0,1]
	v_mul_f64 v[6:7], v[182:183], v[70:71]
	v_fmac_f64_e32 v[6:7], v[184:185], v[86:87]
	v_add_f64 v[4:5], v[4:5], v[6:7]
	v_mul_f64 v[6:7], v[186:187], v[92:93]
	v_fmac_f64_e32 v[6:7], v[188:189], v[94:95]
	v_add_f64 v[4:5], v[4:5], v[6:7]
	;; [unrolled: 3-line block ×6, first 2 shown]
	v_add_f64 v[12:13], v[8:9], v[10:11]
	ds_read_b128 v[8:11], v16 offset:976
	s_waitcnt lgkmcnt(2)
	v_mul_f64 v[14:15], v[120:121], v[224:225]
	v_fmac_f64_e32 v[14:15], v[122:123], v[228:229]
	v_add_f64 v[4:5], v[12:13], v[14:15]
	ds_read_b128 v[12:15], v16 offset:1008
	s_waitcnt lgkmcnt(1)
	v_mul_f64 v[18:19], v[8:9], v[20:21]
	v_fmac_f64_e32 v[18:19], v[10:11], v[22:23]
	s_waitcnt vmcnt(42)
	v_mul_f64 v[22:23], v[116:117], v[232:233]
	v_add_f64 v[20:21], v[4:5], v[18:19]
	s_waitcnt vmcnt(40)
	v_fmac_f64_e32 v[22:23], v[118:119], v[236:237]
	v_add_f64 v[24:25], v[20:21], v[22:23]
	ds_read_b128 v[20:23], v16 offset:1024
	s_waitcnt lgkmcnt(1)
	v_mul_f64 v[26:27], v[12:13], v[28:29]
	v_fmac_f64_e32 v[26:27], v[14:15], v[30:31]
	v_accvgpr_write_b32 a141, v31
	v_pk_mov_b32 v[18:19], v[28:29], v[28:29] op_sel:[0,1]
	v_accvgpr_write_b32 a140, v30
	v_add_f64 v[28:29], v[24:25], v[26:27]
	ds_read_b128 v[24:27], v16 offset:1040
	s_waitcnt vmcnt(34) lgkmcnt(1)
	v_mul_f64 v[30:31], v[20:21], v[240:241]
	s_waitcnt vmcnt(32)
	v_fmac_f64_e32 v[30:31], v[22:23], v[244:245]
	v_add_f64 v[32:33], v[28:29], v[30:31]
	ds_read_b128 v[28:31], v16 offset:1056
	s_waitcnt lgkmcnt(1)
	v_mul_f64 v[34:35], v[24:25], v[216:217]
	v_fmac_f64_e32 v[34:35], v[26:27], v[218:219]
	v_add_f64 v[36:37], v[32:33], v[34:35]
	ds_read_b128 v[32:35], v16 offset:1072
	s_waitcnt vmcnt(26) lgkmcnt(1)
	v_mul_f64 v[38:39], v[28:29], v[248:249]
	s_waitcnt vmcnt(24)
	v_fmac_f64_e32 v[38:39], v[30:31], v[250:251]
	v_add_f64 v[40:41], v[36:37], v[38:39]
	ds_read_b128 v[36:39], v16 offset:1088
	s_waitcnt lgkmcnt(1)
	v_mul_f64 v[42:43], v[32:33], v[220:221]
	v_fmac_f64_e32 v[42:43], v[34:35], v[222:223]
	v_add_f64 v[44:45], v[40:41], v[42:43]
	ds_read_b128 v[40:43], v16 offset:1104
	s_waitcnt vmcnt(18) lgkmcnt(1)
	v_mul_f64 v[46:47], v[36:37], v[252:253]
	s_waitcnt vmcnt(16)
	v_fmac_f64_e32 v[46:47], v[38:39], v[254:255]
	v_add_f64 v[48:49], v[44:45], v[46:47]
	ds_read_b128 v[44:47], v16 offset:1120
	buffer_load_dword v127, off, s[0:3], 0 offset:508
	buffer_load_dword v126, off, s[0:3], 0 offset:504
	;; [unrolled: 1-line block ×4, first 2 shown]
	s_waitcnt lgkmcnt(1)
	v_mul_f64 v[50:51], v[40:41], v[226:227]
	v_fmac_f64_e32 v[50:51], v[42:43], v[230:231]
	v_add_f64 v[130:131], v[48:49], v[50:51]
	ds_read_b128 v[48:51], v16 offset:1136
	buffer_load_dword v133, off, s[0:3], 0 offset:524
	buffer_load_dword v132, off, s[0:3], 0 offset:520
	;; [unrolled: 1-line block ×4, first 2 shown]
	s_waitcnt vmcnt(18) lgkmcnt(1)
	v_mul_f64 v[136:137], v[44:45], v[212:213]
	s_waitcnt vmcnt(16)
	v_fmac_f64_e32 v[136:137], v[46:47], v[210:211]
	v_add_f64 v[4:5], v[130:131], v[136:137]
	buffer_load_dword v131, off, s[0:3], 0 offset:556
	buffer_load_dword v139, off, s[0:3], 0 offset:540
	;; [unrolled: 1-line block ×16, first 2 shown]
	v_mul_f64 v[6:7], v[106:107], v[60:61]
	buffer_load_dword v151, off, s[0:3], 0 offset:604
	buffer_load_dword v150, off, s[0:3], 0 offset:600
	;; [unrolled: 1-line block ×4, first 2 shown]
	v_fma_f64 v[6:7], v[104:105], v[58:59], -v[6:7]
	v_fma_f64 v[104:105], v[108:109], v[52:53], -v[54:55]
	v_mul_f64 v[52:53], v[114:115], v[56:57]
	v_fma_f64 v[106:107], v[112:113], v[84:85], -v[52:53]
	v_mul_f64 v[52:53], v[156:157], v[66:67]
	buffer_load_dword v157, off, s[0:3], 0 offset:620
	buffer_load_dword v156, off, s[0:3], 0 offset:616
	;; [unrolled: 1-line block ×4, first 2 shown]
	v_fma_f64 v[108:109], v[154:155], v[82:83], -v[52:53]
	v_mul_f64 v[52:53], v[162:163], v[64:65]
	v_fma_f64 v[110:111], v[160:161], v[62:63], -v[52:53]
	buffer_load_dword v155, off, s[0:3], 0 offset:652
	buffer_load_dword v161, off, s[0:3], 0 offset:636
	;; [unrolled: 1-line block ×12, first 2 shown]
	v_mul_f64 v[56:57], v[172:173], v[78:79]
	ds_read_b128 v[52:55], v16 offset:1152
	v_fma_f64 v[112:113], v[170:171], v[80:81], -v[56:57]
	buffer_load_dword v170, off, s[0:3], 0 offset:680
	buffer_load_dword v172, off, s[0:3], 0 offset:672
	;; [unrolled: 1-line block ×4, first 2 shown]
	v_mul_f64 v[56:57], v[176:177], v[72:73]
	v_fma_f64 v[114:115], v[174:175], v[74:75], -v[56:57]
	ds_read_b128 v[56:59], v16 offset:1168
	s_waitcnt lgkmcnt(2)
	v_mul_f64 v[60:61], v[48:49], v[234:235]
	v_fmac_f64_e32 v[60:61], v[50:51], v[238:239]
	v_add_f64 v[4:5], v[4:5], v[60:61]
	s_waitcnt vmcnt(50) lgkmcnt(1)
	v_mul_f64 v[60:61], v[52:53], v[214:215]
	s_waitcnt vmcnt(48)
	v_fmac_f64_e32 v[60:61], v[54:55], v[124:125]
	v_mul_f64 v[64:65], v[180:181], v[68:69]
	v_add_f64 v[4:5], v[4:5], v[60:61]
	v_fma_f64 v[178:179], v[178:179], v[76:77], -v[64:65]
	ds_read_b128 v[64:67], v16 offset:1200
	s_waitcnt lgkmcnt(1)
	v_mul_f64 v[60:61], v[56:57], v[242:243]
	v_fmac_f64_e32 v[60:61], v[58:59], v[246:247]
	v_add_f64 v[4:5], v[4:5], v[60:61]
	ds_read_b128 v[60:63], v16 offset:1184
	v_mul_f64 v[76:77], v[188:189], v[92:93]
	v_fma_f64 v[186:187], v[186:187], v[94:95], -v[76:77]
	ds_read_b128 v[76:79], v16 offset:1248
	v_mul_f64 v[2:3], v[204:205], v[2:3]
	v_add_f64 v[6:7], v[6:7], 0
	v_add_f64 v[6:7], v[6:7], v[104:105]
	;; [unrolled: 1-line block ×8, first 2 shown]
	s_waitcnt vmcnt(46) lgkmcnt(1)
	v_mul_f64 v[68:69], v[60:61], v[126:127]
	s_waitcnt vmcnt(44)
	v_fmac_f64_e32 v[68:69], v[62:63], v[128:129]
	v_add_f64 v[4:5], v[4:5], v[68:69]
	v_mul_f64 v[68:69], v[184:185], v[70:71]
	v_fma_f64 v[184:185], v[182:183], v[86:87], -v[68:69]
	ds_read_b128 v[68:71], v16 offset:1216
	s_waitcnt vmcnt(42)
	v_mul_f64 v[72:73], v[64:65], v[132:133]
	s_waitcnt vmcnt(40)
	v_fmac_f64_e32 v[72:73], v[66:67], v[134:135]
	v_add_f64 v[4:5], v[4:5], v[72:73]
	ds_read_b128 v[72:75], v16 offset:1232
	s_waitcnt vmcnt(37) lgkmcnt(1)
	v_mul_f64 v[80:81], v[68:69], v[138:139]
	s_waitcnt vmcnt(35)
	v_fmac_f64_e32 v[80:81], v[70:71], v[142:143]
	v_add_f64 v[4:5], v[4:5], v[80:81]
	v_mul_f64 v[80:81], v[192:193], v[88:89]
	v_fma_f64 v[188:189], v[190:191], v[90:91], -v[80:81]
	ds_read_b128 v[80:83], v16 offset:1264
	s_waitcnt vmcnt(34) lgkmcnt(1)
	v_mul_f64 v[84:85], v[72:73], v[130:131]
	s_waitcnt vmcnt(32)
	v_fmac_f64_e32 v[84:85], v[74:75], v[140:141]
	v_add_f64 v[4:5], v[4:5], v[84:85]
	s_waitcnt vmcnt(29)
	v_mul_f64 v[84:85], v[76:77], v[146:147]
	s_waitcnt vmcnt(27)
	v_fmac_f64_e32 v[84:85], v[78:79], v[148:149]
	v_mul_f64 v[88:89], v[196:197], v[100:101]
	v_add_f64 v[4:5], v[4:5], v[84:85]
	v_fma_f64 v[194:195], v[194:195], v[102:103], -v[88:89]
	ds_read_b128 v[88:91], v16 offset:1296
	s_waitcnt vmcnt(25) lgkmcnt(1)
	v_mul_f64 v[84:85], v[80:81], v[136:137]
	s_waitcnt vmcnt(24)
	v_fmac_f64_e32 v[84:85], v[82:83], v[144:145]
	v_add_f64 v[4:5], v[4:5], v[84:85]
	ds_read_b128 v[84:87], v16 offset:1280
	ds_read_b128 v[100:103], v16 offset:1344
	v_fma_f64 v[192:193], v[202:203], v[0:1], -v[2:3]
	v_add_f64 v[6:7], v[6:7], v[184:185]
	v_add_f64 v[6:7], v[6:7], v[186:187]
	s_waitcnt vmcnt(22) lgkmcnt(1)
	v_mul_f64 v[92:93], v[84:85], v[150:151]
	s_waitcnt vmcnt(20)
	v_fmac_f64_e32 v[92:93], v[86:87], v[152:153]
	v_add_f64 v[4:5], v[4:5], v[92:93]
	v_mul_f64 v[92:93], v[200:201], v[96:97]
	s_waitcnt vmcnt(18)
	v_mul_f64 v[96:97], v[88:89], v[156:157]
	v_fma_f64 v[190:191], v[198:199], v[98:99], -v[92:93]
	ds_read_b128 v[92:95], v16 offset:1312
	s_waitcnt vmcnt(16)
	v_fmac_f64_e32 v[96:97], v[90:91], v[158:159]
	v_add_f64 v[4:5], v[4:5], v[96:97]
	ds_read_b128 v[96:99], v16 offset:1328
	v_add_f64 v[6:7], v[6:7], v[188:189]
	s_waitcnt vmcnt(13) lgkmcnt(1)
	v_mul_f64 v[0:1], v[92:93], v[160:161]
	s_waitcnt vmcnt(11)
	v_fmac_f64_e32 v[0:1], v[94:95], v[166:167]
	v_add_f64 v[0:1], v[4:5], v[0:1]
	s_waitcnt vmcnt(10) lgkmcnt(0)
	v_mul_f64 v[2:3], v[96:97], v[154:155]
	s_waitcnt vmcnt(8)
	v_fmac_f64_e32 v[2:3], v[98:99], v[164:165]
	v_add_f64 v[0:1], v[0:1], v[2:3]
	s_waitcnt vmcnt(6)
	v_mul_f64 v[2:3], v[100:101], v[162:163]
	s_waitcnt vmcnt(4)
	v_fmac_f64_e32 v[2:3], v[102:103], v[168:169]
	v_add_f64 v[4:5], v[0:1], v[2:3]
	ds_read_b128 v[0:3], v16 offset:1360
	v_add_f64 v[194:195], v[6:7], v[194:195]
	v_add_f64 v[6:7], v[194:195], v[190:191]
	;; [unrolled: 1-line block ×3, first 2 shown]
	s_waitcnt vmcnt(1) lgkmcnt(0)
	v_mul_f64 v[174:175], v[0:1], v[170:171]
	s_waitcnt vmcnt(0)
	v_fmac_f64_e32 v[174:175], v[2:3], v[172:173]
	v_add_f64 v[4:5], v[4:5], v[174:175]
	buffer_load_dword v175, off, s[0:3], 0 offset:700
	buffer_load_dword v174, off, s[0:3], 0 offset:696
	;; [unrolled: 1-line block ×4, first 2 shown]
	ds_read_b128 v[196:199], v16 offset:1376
	v_mul_f64 v[2:3], v[2:3], v[170:171]
	v_fma_f64 v[0:1], v[0:1], v[172:173], -v[2:3]
	s_waitcnt vmcnt(2) lgkmcnt(0)
	v_mul_f64 v[180:181], v[196:197], v[174:175]
	v_mul_f64 v[2:3], v[198:199], v[174:175]
	s_waitcnt vmcnt(0)
	v_fmac_f64_e32 v[180:181], v[198:199], v[176:177]
	v_add_f64 v[4:5], v[4:5], v[180:181]
	buffer_load_dword v180, off, s[0:3], 0 offset:712
	buffer_load_dword v181, off, s[0:3], 0 offset:716
	;; [unrolled: 1-line block ×4, first 2 shown]
	ds_read_b128 v[200:203], v16 offset:1392
	buffer_load_dword v186, off, s[0:3], 0 offset:16
	buffer_load_dword v187, off, s[0:3], 0 offset:20
	;; [unrolled: 1-line block ×4, first 2 shown]
	v_accvgpr_read_b32 v16, a132
	v_accvgpr_read_b32 v17, a133
	v_mul_f64 v[104:105], v[208:209], v[16:17]
	v_accvgpr_read_b32 v16, a134
	v_accvgpr_read_b32 v17, a135
	v_fma_f64 v[104:105], v[206:207], v[16:17], -v[104:105]
	v_accvgpr_read_b32 v16, a136
	v_accvgpr_read_b32 v17, a137
	v_add_f64 v[6:7], v[6:7], v[104:105]
	v_mul_f64 v[104:105], v[122:123], v[224:225]
	v_mul_f64 v[10:11], v[10:11], v[16:17]
	v_accvgpr_read_b32 v16, a138
	v_fma_f64 v[104:105], v[120:121], v[228:229], -v[104:105]
	v_accvgpr_read_b32 v17, a139
	v_add_f64 v[6:7], v[6:7], v[104:105]
	v_fma_f64 v[8:9], v[8:9], v[16:17], -v[10:11]
	v_add_f64 v[6:7], v[6:7], v[8:9]
	v_mul_f64 v[8:9], v[118:119], v[232:233]
	v_fma_f64 v[8:9], v[116:117], v[236:237], -v[8:9]
	v_accvgpr_read_b32 v10, a140
	v_add_f64 v[6:7], v[6:7], v[8:9]
	v_mul_f64 v[8:9], v[14:15], v[18:19]
	v_accvgpr_read_b32 v11, a141
	v_fma_f64 v[8:9], v[12:13], v[10:11], -v[8:9]
	v_add_f64 v[6:7], v[6:7], v[8:9]
	v_mul_f64 v[8:9], v[22:23], v[240:241]
	v_fma_f64 v[8:9], v[20:21], v[244:245], -v[8:9]
	v_add_f64 v[6:7], v[6:7], v[8:9]
	v_mul_f64 v[8:9], v[26:27], v[216:217]
	;; [unrolled: 3-line block ×21, first 2 shown]
	v_fma_f64 v[8:9], v[100:101], v[168:169], -v[8:9]
	v_add_f64 v[6:7], v[6:7], v[8:9]
	v_add_f64 v[0:1], v[6:7], v[0:1]
	v_fma_f64 v[2:3], v[196:197], v[176:177], -v[2:3]
	v_add_f64 v[0:1], v[0:1], v[2:3]
	s_waitcnt vmcnt(6) lgkmcnt(0)
	v_mul_f64 v[2:3], v[202:203], v[180:181]
	v_mul_f64 v[204:205], v[200:201], v[180:181]
	s_waitcnt vmcnt(4)
	v_fma_f64 v[2:3], v[200:201], v[182:183], -v[2:3]
	v_fmac_f64_e32 v[204:205], v[202:203], v[182:183]
	v_add_f64 v[0:1], v[0:1], v[2:3]
	v_add_f64 v[4:5], v[4:5], v[204:205]
	s_waitcnt vmcnt(2)
	v_add_f64 v[0:1], v[186:187], -v[0:1]
	s_waitcnt vmcnt(0)
	v_add_f64 v[2:3], v[184:185], -v[4:5]
	buffer_store_dword v1, off, s[0:3], 0 offset:20
	buffer_store_dword v0, off, s[0:3], 0 offset:16
	;; [unrolled: 1-line block ×4, first 2 shown]
	s_cbranch_vccz .LBB43_365
; %bb.278:
	v_pk_mov_b32 v[0:1], s[10:11], s[10:11] op_sel:[0,1]
	flat_load_dword v0, v[0:1] offset:168
	s_waitcnt vmcnt(0) lgkmcnt(0)
	v_add_u32_e32 v0, -1, v0
	v_cmp_ne_u32_e32 vcc, 42, v0
	s_and_saveexec_b64 s[4:5], vcc
	s_cbranch_execz .LBB43_280
; %bb.279:
	v_mov_b32_e32 v1, 16
	v_accvgpr_read_b32 v9, a89
	v_lshl_add_u32 v0, v0, 4, v1
	buffer_load_dword v1, v9, s[0:3], 0 offen offset:4
	buffer_load_dword v2, v9, s[0:3], 0 offen offset:8
	buffer_load_dword v3, v9, s[0:3], 0 offen offset:12
	buffer_load_dword v4, v0, s[0:3], 0 offen
	buffer_load_dword v5, v0, s[0:3], 0 offen offset:4
	buffer_load_dword v6, v0, s[0:3], 0 offen offset:8
	buffer_load_dword v7, v0, s[0:3], 0 offen offset:12
	buffer_load_dword v8, v9, s[0:3], 0 offen
	s_waitcnt vmcnt(4)
	buffer_store_dword v4, v9, s[0:3], 0 offen
	s_waitcnt vmcnt(4)
	buffer_store_dword v5, v9, s[0:3], 0 offen offset:4
	s_waitcnt vmcnt(4)
	buffer_store_dword v6, v9, s[0:3], 0 offen offset:8
	s_waitcnt vmcnt(4)
	buffer_store_dword v7, v9, s[0:3], 0 offen offset:12
	buffer_store_dword v3, v0, s[0:3], 0 offen offset:12
	buffer_store_dword v2, v0, s[0:3], 0 offen offset:8
	buffer_store_dword v1, v0, s[0:3], 0 offen offset:4
	s_waitcnt vmcnt(7)
	buffer_store_dword v8, v0, s[0:3], 0 offen
.LBB43_280:
	s_or_b64 exec, exec, s[4:5]
	v_pk_mov_b32 v[0:1], s[10:11], s[10:11] op_sel:[0,1]
	flat_load_dword v0, v[0:1] offset:164
	s_waitcnt vmcnt(0) lgkmcnt(0)
	v_add_u32_e32 v0, -1, v0
	v_cmp_ne_u32_e32 vcc, 41, v0
	s_and_saveexec_b64 s[4:5], vcc
	s_cbranch_execz .LBB43_282
; %bb.281:
	v_mov_b32_e32 v1, 16
	v_accvgpr_read_b32 v9, a90
	v_lshl_add_u32 v0, v0, 4, v1
	buffer_load_dword v1, v9, s[0:3], 0 offen offset:4
	buffer_load_dword v2, v9, s[0:3], 0 offen offset:8
	buffer_load_dword v3, v9, s[0:3], 0 offen offset:12
	buffer_load_dword v4, v0, s[0:3], 0 offen
	buffer_load_dword v5, v0, s[0:3], 0 offen offset:4
	buffer_load_dword v6, v0, s[0:3], 0 offen offset:8
	buffer_load_dword v7, v0, s[0:3], 0 offen offset:12
	buffer_load_dword v8, v9, s[0:3], 0 offen
	s_waitcnt vmcnt(4)
	buffer_store_dword v4, v9, s[0:3], 0 offen
	s_waitcnt vmcnt(4)
	buffer_store_dword v5, v9, s[0:3], 0 offen offset:4
	s_waitcnt vmcnt(4)
	buffer_store_dword v6, v9, s[0:3], 0 offen offset:8
	s_waitcnt vmcnt(4)
	buffer_store_dword v7, v9, s[0:3], 0 offen offset:12
	buffer_store_dword v3, v0, s[0:3], 0 offen offset:12
	buffer_store_dword v2, v0, s[0:3], 0 offen offset:8
	buffer_store_dword v1, v0, s[0:3], 0 offen offset:4
	s_waitcnt vmcnt(7)
	buffer_store_dword v8, v0, s[0:3], 0 offen
.LBB43_282:
	s_or_b64 exec, exec, s[4:5]
	;; [unrolled: 34-line block ×42, first 2 shown]
	v_pk_mov_b32 v[0:1], s[10:11], s[10:11] op_sel:[0,1]
	flat_load_dword v0, v[0:1]
	s_waitcnt vmcnt(0) lgkmcnt(0)
	v_add_u32_e32 v0, -1, v0
	v_cmp_ne_u32_e32 vcc, 0, v0
	s_and_saveexec_b64 s[4:5], vcc
	s_cbranch_execz .LBB43_364
; %bb.363:
	v_mov_b32_e32 v1, 16
	v_lshl_add_u32 v0, v0, 4, v1
	buffer_load_dword v1, v0, s[0:3], 0 offen
	buffer_load_dword v2, v0, s[0:3], 0 offen offset:4
	buffer_load_dword v3, v0, s[0:3], 0 offen offset:8
	;; [unrolled: 1-line block ×3, first 2 shown]
	buffer_load_dword v5, off, s[0:3], 0 offset:28
	buffer_load_dword v6, off, s[0:3], 0 offset:24
	buffer_load_dword v7, off, s[0:3], 0 offset:20
	buffer_load_dword v8, off, s[0:3], 0 offset:16
	s_waitcnt vmcnt(7)
	buffer_store_dword v1, off, s[0:3], 0 offset:16
	s_waitcnt vmcnt(7)
	buffer_store_dword v2, off, s[0:3], 0 offset:20
	;; [unrolled: 2-line block ×4, first 2 shown]
	s_waitcnt vmcnt(7)
	buffer_store_dword v5, v0, s[0:3], 0 offen offset:12
	s_waitcnt vmcnt(7)
	buffer_store_dword v6, v0, s[0:3], 0 offen offset:8
	;; [unrolled: 2-line block ×3, first 2 shown]
	s_waitcnt vmcnt(7)
	buffer_store_dword v8, v0, s[0:3], 0 offen
.LBB43_364:
	s_or_b64 exec, exec, s[4:5]
.LBB43_365:
	buffer_load_dword v0, off, s[0:3], 0 offset:16
	buffer_load_dword v1, off, s[0:3], 0 offset:20
	;; [unrolled: 1-line block ×4, first 2 shown]
	v_accvgpr_read_b32 v4, a70
	v_accvgpr_read_b32 v5, a71
	s_waitcnt vmcnt(0)
	global_store_dwordx4 v[4:5], v[0:3], off
	s_nop 0
	v_accvgpr_read_b32 v3, a130
	buffer_load_dword v0, v3, s[0:3], 0 offen
	buffer_load_dword v1, v3, s[0:3], 0 offen offset:4
	buffer_load_dword v2, v3, s[0:3], 0 offen offset:8
	s_nop 0
	buffer_load_dword v3, v3, s[0:3], 0 offen offset:12
	v_accvgpr_read_b32 v4, a64
	v_accvgpr_read_b32 v5, a65
	s_waitcnt vmcnt(0)
	global_store_dwordx4 v[4:5], v[0:3], off
	s_nop 0
	v_accvgpr_read_b32 v3, a129
	buffer_load_dword v0, v3, s[0:3], 0 offen
	buffer_load_dword v1, v3, s[0:3], 0 offen offset:4
	buffer_load_dword v2, v3, s[0:3], 0 offen offset:8
	s_nop 0
	buffer_load_dword v3, v3, s[0:3], 0 offen offset:12
	v_accvgpr_read_b32 v4, a50
	v_accvgpr_read_b32 v5, a51
	s_waitcnt vmcnt(0)
	global_store_dwordx4 v[4:5], v[0:3], off
	v_accvgpr_read_b32 v4, a128
	buffer_load_dword v0, v4, s[0:3], 0 offen
	buffer_load_dword v1, v4, s[0:3], 0 offen offset:4
	buffer_load_dword v2, v4, s[0:3], 0 offen offset:8
	buffer_load_dword v3, v4, s[0:3], 0 offen offset:12
	v_accvgpr_read_b32 v4, a86
	v_accvgpr_read_b32 v5, a87
	s_waitcnt vmcnt(0)
	global_store_dwordx4 v[4:5], v[0:3], off
	v_accvgpr_read_b32 v4, a127
	buffer_load_dword v0, v4, s[0:3], 0 offen
	buffer_load_dword v1, v4, s[0:3], 0 offen offset:4
	buffer_load_dword v2, v4, s[0:3], 0 offen offset:8
	;; [unrolled: 9-line block ×41, first 2 shown]
	buffer_load_dword v3, v4, s[0:3], 0 offen offset:12
	v_accvgpr_read_b32 v5, a1
	v_accvgpr_read_b32 v4, a0
	s_waitcnt vmcnt(0)
	global_store_dwordx4 v[4:5], v[0:3], off
	s_endpgm
	.section	.rodata,"a",@progbits
	.p2align	6, 0x0
	.amdhsa_kernel _ZN9rocsolver6v33100L18getri_kernel_smallILi44E19rocblas_complex_numIdEPS3_EEvT1_iilPiilS6_bb
		.amdhsa_group_segment_fixed_size 1416
		.amdhsa_private_segment_fixed_size 736
		.amdhsa_kernarg_size 60
		.amdhsa_user_sgpr_count 8
		.amdhsa_user_sgpr_private_segment_buffer 1
		.amdhsa_user_sgpr_dispatch_ptr 0
		.amdhsa_user_sgpr_queue_ptr 0
		.amdhsa_user_sgpr_kernarg_segment_ptr 1
		.amdhsa_user_sgpr_dispatch_id 0
		.amdhsa_user_sgpr_flat_scratch_init 1
		.amdhsa_user_sgpr_kernarg_preload_length 0
		.amdhsa_user_sgpr_kernarg_preload_offset 0
		.amdhsa_user_sgpr_private_segment_size 0
		.amdhsa_uses_dynamic_stack 0
		.amdhsa_system_sgpr_private_segment_wavefront_offset 1
		.amdhsa_system_sgpr_workgroup_id_x 1
		.amdhsa_system_sgpr_workgroup_id_y 0
		.amdhsa_system_sgpr_workgroup_id_z 0
		.amdhsa_system_sgpr_workgroup_info 0
		.amdhsa_system_vgpr_workitem_id 0
		.amdhsa_next_free_vgpr 398
		.amdhsa_next_free_sgpr 23
		.amdhsa_accum_offset 256
		.amdhsa_reserve_vcc 1
		.amdhsa_reserve_flat_scratch 1
		.amdhsa_float_round_mode_32 0
		.amdhsa_float_round_mode_16_64 0
		.amdhsa_float_denorm_mode_32 3
		.amdhsa_float_denorm_mode_16_64 3
		.amdhsa_dx10_clamp 1
		.amdhsa_ieee_mode 1
		.amdhsa_fp16_overflow 0
		.amdhsa_tg_split 0
		.amdhsa_exception_fp_ieee_invalid_op 0
		.amdhsa_exception_fp_denorm_src 0
		.amdhsa_exception_fp_ieee_div_zero 0
		.amdhsa_exception_fp_ieee_overflow 0
		.amdhsa_exception_fp_ieee_underflow 0
		.amdhsa_exception_fp_ieee_inexact 0
		.amdhsa_exception_int_div_zero 0
	.end_amdhsa_kernel
	.section	.text._ZN9rocsolver6v33100L18getri_kernel_smallILi44E19rocblas_complex_numIdEPS3_EEvT1_iilPiilS6_bb,"axG",@progbits,_ZN9rocsolver6v33100L18getri_kernel_smallILi44E19rocblas_complex_numIdEPS3_EEvT1_iilPiilS6_bb,comdat
.Lfunc_end43:
	.size	_ZN9rocsolver6v33100L18getri_kernel_smallILi44E19rocblas_complex_numIdEPS3_EEvT1_iilPiilS6_bb, .Lfunc_end43-_ZN9rocsolver6v33100L18getri_kernel_smallILi44E19rocblas_complex_numIdEPS3_EEvT1_iilPiilS6_bb
                                        ; -- End function
	.section	.AMDGPU.csdata,"",@progbits
; Kernel info:
; codeLenInByte = 125424
; NumSgprs: 29
; NumVgprs: 256
; NumAgprs: 142
; TotalNumVgprs: 398
; ScratchSize: 736
; MemoryBound: 0
; FloatMode: 240
; IeeeMode: 1
; LDSByteSize: 1416 bytes/workgroup (compile time only)
; SGPRBlocks: 3
; VGPRBlocks: 49
; NumSGPRsForWavesPerEU: 29
; NumVGPRsForWavesPerEU: 398
; AccumOffset: 256
; Occupancy: 1
; WaveLimiterHint : 1
; COMPUTE_PGM_RSRC2:SCRATCH_EN: 1
; COMPUTE_PGM_RSRC2:USER_SGPR: 8
; COMPUTE_PGM_RSRC2:TRAP_HANDLER: 0
; COMPUTE_PGM_RSRC2:TGID_X_EN: 1
; COMPUTE_PGM_RSRC2:TGID_Y_EN: 0
; COMPUTE_PGM_RSRC2:TGID_Z_EN: 0
; COMPUTE_PGM_RSRC2:TIDIG_COMP_CNT: 0
; COMPUTE_PGM_RSRC3_GFX90A:ACCUM_OFFSET: 63
; COMPUTE_PGM_RSRC3_GFX90A:TG_SPLIT: 0
	.section	.text._ZN9rocsolver6v33100L18getri_kernel_smallILi45E19rocblas_complex_numIdEPS3_EEvT1_iilPiilS6_bb,"axG",@progbits,_ZN9rocsolver6v33100L18getri_kernel_smallILi45E19rocblas_complex_numIdEPS3_EEvT1_iilPiilS6_bb,comdat
	.globl	_ZN9rocsolver6v33100L18getri_kernel_smallILi45E19rocblas_complex_numIdEPS3_EEvT1_iilPiilS6_bb ; -- Begin function _ZN9rocsolver6v33100L18getri_kernel_smallILi45E19rocblas_complex_numIdEPS3_EEvT1_iilPiilS6_bb
	.p2align	8
	.type	_ZN9rocsolver6v33100L18getri_kernel_smallILi45E19rocblas_complex_numIdEPS3_EEvT1_iilPiilS6_bb,@function
_ZN9rocsolver6v33100L18getri_kernel_smallILi45E19rocblas_complex_numIdEPS3_EEvT1_iilPiilS6_bb: ; @_ZN9rocsolver6v33100L18getri_kernel_smallILi45E19rocblas_complex_numIdEPS3_EEvT1_iilPiilS6_bb
; %bb.0:
	s_add_u32 flat_scratch_lo, s6, s9
	s_addc_u32 flat_scratch_hi, s7, 0
	s_add_u32 s0, s0, s9
	v_mov_b32_e32 v255, v0
	s_addc_u32 s1, s1, 0
	v_cmp_gt_u32_e32 vcc, 45, v255
	s_and_saveexec_b64 s[6:7], vcc
	s_cbranch_execz .LBB44_194
; %bb.1:
	s_load_dword s22, s[4:5], 0x38
	s_load_dwordx4 s[16:19], s[4:5], 0x10
	s_load_dwordx4 s[12:15], s[4:5], 0x28
                                        ; implicit-def: $sgpr10_sgpr11
	s_waitcnt lgkmcnt(0)
	s_bitcmp1_b32 s22, 8
	s_cselect_b64 s[20:21], -1, 0
	s_ashr_i32 s9, s8, 31
	s_bfe_u32 s6, s22, 0x10008
	s_cmp_eq_u32 s6, 0
	s_cbranch_scc1 .LBB44_3
; %bb.2:
	s_load_dword s6, s[4:5], 0x20
	s_mul_i32 s7, s8, s13
	s_mul_hi_u32 s10, s8, s12
	s_mul_i32 s11, s9, s12
	s_add_i32 s10, s10, s7
	s_add_i32 s11, s10, s11
	s_mul_i32 s10, s8, s12
	s_waitcnt lgkmcnt(0)
	s_ashr_i32 s7, s6, 31
	s_lshl_b64 s[10:11], s[10:11], 2
	s_add_u32 s10, s18, s10
	s_addc_u32 s11, s19, s11
	s_lshl_b64 s[6:7], s[6:7], 2
	s_add_u32 s10, s10, s6
	s_addc_u32 s11, s11, s7
.LBB44_3:
	s_load_dwordx4 s[4:7], s[4:5], 0x0
	s_mul_i32 s12, s8, s17
	s_mul_hi_u32 s13, s8, s16
	s_add_i32 s17, s13, s12
	v_lshlrev_b32_e32 v1, 4, v255
	s_waitcnt lgkmcnt(0)
	s_ashr_i32 s13, s6, 31
	s_mov_b32 s12, s6
	s_mul_i32 s6, s9, s16
	s_add_i32 s17, s17, s6
	s_mul_i32 s16, s8, s16
	s_lshl_b64 s[16:17], s[16:17], 4
	s_add_u32 s6, s4, s16
	s_addc_u32 s16, s5, s17
	s_lshl_b64 s[4:5], s[12:13], 4
	s_add_u32 s4, s6, s4
	s_addc_u32 s5, s16, s5
	v_mov_b32_e32 v0, s5
	v_add_co_u32_e32 v6, vcc, s4, v1
	global_load_dwordx4 v[2:5], v1, s[4:5]
	s_ashr_i32 s13, s7, 31
	s_mov_b32 s12, s7
	v_addc_co_u32_e32 v7, vcc, 0, v0, vcc
	s_lshl_b64 s[12:13], s[12:13], 4
	v_mov_b32_e32 v0, s13
	v_add_co_u32_e32 v10, vcc, s12, v6
	v_accvgpr_write_b32 a0, v6
	s_add_i32 s6, s7, s7
	v_accvgpr_write_b32 a1, v7
	v_addc_co_u32_e32 v11, vcc, v7, v0, vcc
	v_add_u32_e32 v6, s6, v255
	v_ashrrev_i32_e32 v7, 31, v6
	global_load_dwordx4 v[18:21], v[10:11], off
	v_lshlrev_b64 v[8:9], 4, v[6:7]
	v_mov_b32_e32 v0, s5
	v_add_co_u32_e32 v8, vcc, s4, v8
	v_addc_co_u32_e32 v9, vcc, v0, v9, vcc
	global_load_dwordx4 v[22:25], v[8:9], off
	v_add_u32_e32 v6, s7, v6
	v_accvgpr_write_b32 a4, v8
	v_ashrrev_i32_e32 v7, 31, v6
	v_accvgpr_write_b32 a5, v9
	v_lshlrev_b64 v[8:9], 4, v[6:7]
	v_add_co_u32_e32 v8, vcc, s4, v8
	v_addc_co_u32_e32 v9, vcc, v0, v9, vcc
	global_load_dwordx4 v[26:29], v[8:9], off
	v_accvgpr_write_b32 a2, v10
	v_accvgpr_write_b32 a3, v11
	v_add_u32_e32 v10, s7, v6
	v_ashrrev_i32_e32 v11, 31, v10
	v_lshlrev_b64 v[6:7], 4, v[10:11]
	v_add_u32_e32 v10, s7, v10
	v_add_co_u32_e32 v6, vcc, s4, v6
	v_ashrrev_i32_e32 v11, 31, v10
	v_addc_co_u32_e32 v7, vcc, v0, v7, vcc
	v_add_u32_e32 v12, s7, v10
	v_lshlrev_b64 v[10:11], 4, v[10:11]
	v_ashrrev_i32_e32 v13, 31, v12
	v_add_co_u32_e32 v16, vcc, s4, v10
	v_addc_co_u32_e32 v17, vcc, v0, v11, vcc
	v_lshlrev_b64 v[10:11], 4, v[12:13]
	v_mov_b32_e32 v14, s5
	v_add_co_u32_e32 v10, vcc, s4, v10
	v_accvgpr_write_b32 a6, v8
	v_accvgpr_write_b32 a11, v7
	v_addc_co_u32_e32 v11, vcc, v14, v11, vcc
	v_accvgpr_write_b32 a8, v10
	v_accvgpr_write_b32 a7, v9
	;; [unrolled: 1-line block ×3, first 2 shown]
	v_add_u32_e32 v30, s7, v12
	v_accvgpr_write_b32 a9, v11
	global_load_dwordx4 v[10:13], v[10:11], off
	v_accvgpr_write_b32 a14, v16
	global_load_dwordx4 v[6:9], v[6:7], off
	;; [unrolled: 2-line block ×3, first 2 shown]
	v_ashrrev_i32_e32 v31, 31, v30
	v_lshlrev_b64 v[32:33], 4, v[30:31]
	s_bitcmp0_b32 s22, 0
	s_waitcnt vmcnt(6)
	buffer_store_dword v5, off, s[0:3], 0 offset:28
	buffer_store_dword v4, off, s[0:3], 0 offset:24
	buffer_store_dword v3, off, s[0:3], 0 offset:20
	buffer_store_dword v2, off, s[0:3], 0 offset:16
	s_waitcnt vmcnt(9)
	buffer_store_dword v21, off, s[0:3], 0 offset:44
	buffer_store_dword v20, off, s[0:3], 0 offset:40
	buffer_store_dword v19, off, s[0:3], 0 offset:36
	buffer_store_dword v18, off, s[0:3], 0 offset:32
	s_waitcnt vmcnt(12)
	buffer_store_dword v25, off, s[0:3], 0 offset:60
	buffer_store_dword v24, off, s[0:3], 0 offset:56
	buffer_store_dword v23, off, s[0:3], 0 offset:52
	buffer_store_dword v22, off, s[0:3], 0 offset:48
	s_waitcnt vmcnt(15)
	buffer_store_dword v29, off, s[0:3], 0 offset:76
	buffer_store_dword v28, off, s[0:3], 0 offset:72
	buffer_store_dword v27, off, s[0:3], 0 offset:68
	buffer_store_dword v26, off, s[0:3], 0 offset:64
	v_add_co_u32_e32 v18, vcc, s4, v32
	v_addc_co_u32_e32 v19, vcc, v0, v33, vcc
	v_add_u32_e32 v2, s7, v30
	v_accvgpr_write_b32 a12, v18
	v_ashrrev_i32_e32 v3, 31, v2
	v_accvgpr_write_b32 a13, v19
	global_load_dwordx4 v[18:21], v[18:19], off
	v_lshlrev_b64 v[4:5], 4, v[2:3]
	v_add_co_u32_e32 v4, vcc, s4, v4
	v_addc_co_u32_e32 v5, vcc, v0, v5, vcc
	v_add_u32_e32 v2, s7, v2
	v_accvgpr_write_b32 a17, v5
	global_load_dwordx4 v[22:25], v[4:5], off
	v_ashrrev_i32_e32 v3, 31, v2
	v_accvgpr_write_b32 a16, v4
	v_lshlrev_b64 v[4:5], 4, v[2:3]
	v_add_co_u32_e32 v26, vcc, s4, v4
	v_addc_co_u32_e32 v27, vcc, v0, v5, vcc
	v_add_u32_e32 v2, s7, v2
	v_accvgpr_write_b32 a18, v26
	v_ashrrev_i32_e32 v3, 31, v2
	v_accvgpr_write_b32 a19, v27
	global_load_dwordx4 v[26:29], v[26:27], off
	v_lshlrev_b64 v[4:5], 4, v[2:3]
	v_add_co_u32_e32 v4, vcc, s4, v4
	v_addc_co_u32_e32 v5, vcc, v0, v5, vcc
	global_load_dwordx4 v[30:33], v[4:5], off
	v_add_u32_e32 v2, s7, v2
	v_accvgpr_write_b32 a21, v5
	v_ashrrev_i32_e32 v3, 31, v2
	v_accvgpr_write_b32 a20, v4
	v_lshlrev_b64 v[4:5], 4, v[2:3]
	v_add_co_u32_e32 v34, vcc, s4, v4
	v_addc_co_u32_e32 v35, vcc, v0, v5, vcc
	v_add_u32_e32 v2, s7, v2
	v_accvgpr_write_b32 a22, v34
	v_ashrrev_i32_e32 v3, 31, v2
	v_accvgpr_write_b32 a23, v35
	global_load_dwordx4 v[34:37], v[34:35], off
	v_lshlrev_b64 v[4:5], 4, v[2:3]
	v_add_co_u32_e32 v4, vcc, s4, v4
	v_addc_co_u32_e32 v5, vcc, v0, v5, vcc
	global_load_dwordx4 v[38:41], v[4:5], off
	v_add_u32_e32 v2, s7, v2
	v_accvgpr_write_b32 a25, v5
	;; [unrolled: 16-line block ×7, first 2 shown]
	v_ashrrev_i32_e32 v3, 31, v2
	v_accvgpr_write_b32 a44, v4
	v_lshlrev_b64 v[4:5], 4, v[2:3]
	v_add_co_u32_e32 v4, vcc, s4, v4
	v_add_u32_e32 v86, s7, v2
	v_addc_co_u32_e32 v5, vcc, v0, v5, vcc
	v_ashrrev_i32_e32 v87, 31, v86
	v_lshlrev_b64 v[2:3], 4, v[86:87]
	global_load_dwordx4 v[82:85], v[4:5], off
	v_add_co_u32_e32 v2, vcc, s4, v2
	v_addc_co_u32_e32 v3, vcc, v0, v3, vcc
	v_accvgpr_write_b32 a47, v5
	v_accvgpr_write_b32 a49, v3
	;; [unrolled: 1-line block ×4, first 2 shown]
	global_load_dwordx4 v[2:5], v[2:3], off
	s_waitcnt vmcnt(35)
	buffer_store_dword v9, off, s[0:3], 0 offset:92
	buffer_store_dword v8, off, s[0:3], 0 offset:88
	;; [unrolled: 1-line block ×4, first 2 shown]
	s_waitcnt vmcnt(38)
	buffer_store_dword v17, off, s[0:3], 0 offset:108
	buffer_store_dword v16, off, s[0:3], 0 offset:104
	;; [unrolled: 1-line block ×8, first 2 shown]
	s_waitcnt vmcnt(29)
	buffer_store_dword v21, off, s[0:3], 0 offset:140
	buffer_store_dword v20, off, s[0:3], 0 offset:136
	buffer_store_dword v19, off, s[0:3], 0 offset:132
	buffer_store_dword v18, off, s[0:3], 0 offset:128
	s_waitcnt vmcnt(32)
	buffer_store_dword v25, off, s[0:3], 0 offset:156
	buffer_store_dword v24, off, s[0:3], 0 offset:152
	buffer_store_dword v23, off, s[0:3], 0 offset:148
	buffer_store_dword v22, off, s[0:3], 0 offset:144
	;; [unrolled: 5-line block ×13, first 2 shown]
	buffer_store_dword v73, off, s[0:3], 0 offset:348
	buffer_store_dword v72, off, s[0:3], 0 offset:344
	;; [unrolled: 1-line block ×12, first 2 shown]
	s_waitcnt vmcnt(62)
	buffer_store_dword v85, off, s[0:3], 0 offset:396
	buffer_store_dword v84, off, s[0:3], 0 offset:392
	;; [unrolled: 1-line block ×5, first 2 shown]
	v_add_u32_e32 v6, s7, v86
	v_ashrrev_i32_e32 v7, 31, v6
	v_lshlrev_b64 v[8:9], 4, v[6:7]
	v_add_u32_e32 v14, s7, v6
	v_add_co_u32_e32 v8, vcc, s4, v8
	v_ashrrev_i32_e32 v15, 31, v14
	v_addc_co_u32_e32 v9, vcc, v0, v9, vcc
	v_lshlrev_b64 v[6:7], 4, v[14:15]
	v_add_co_u32_e32 v10, vcc, s4, v6
	v_accvgpr_write_b32 a53, v9
	v_addc_co_u32_e32 v11, vcc, v0, v7, vcc
	v_accvgpr_write_b32 a52, v8
	global_load_dwordx4 v[6:9], v[8:9], off
	v_add_u32_e32 v14, s7, v14
	v_accvgpr_write_b32 a55, v11
	v_ashrrev_i32_e32 v15, 31, v14
	v_accvgpr_write_b32 a54, v10
	global_load_dwordx4 v[10:13], v[10:11], off
	v_lshlrev_b64 v[16:17], 4, v[14:15]
	v_add_u32_e32 v22, s7, v14
	v_add_co_u32_e32 v16, vcc, s4, v16
	v_ashrrev_i32_e32 v23, 31, v22
	v_addc_co_u32_e32 v17, vcc, v0, v17, vcc
	v_lshlrev_b64 v[14:15], 4, v[22:23]
	v_add_co_u32_e32 v18, vcc, s4, v14
	v_accvgpr_write_b32 a57, v17
	v_addc_co_u32_e32 v19, vcc, v0, v15, vcc
	v_accvgpr_write_b32 a56, v16
	global_load_dwordx4 v[14:17], v[16:17], off
	v_add_u32_e32 v22, s7, v22
	v_accvgpr_write_b32 a59, v19
	v_ashrrev_i32_e32 v23, 31, v22
	v_accvgpr_write_b32 a58, v18
	global_load_dwordx4 v[18:21], v[18:19], off
	;; [unrolled: 16-line block ×9, first 2 shown]
	v_lshlrev_b64 v[80:81], 4, v[78:79]
	v_add_co_u32_e32 v80, vcc, s4, v80
	v_addc_co_u32_e32 v81, vcc, v0, v81, vcc
	v_add_u32_e32 v78, s7, v78
	v_ashrrev_i32_e32 v79, 31, v78
	v_accvgpr_write_b32 a89, v81
	v_lshlrev_b64 v[82:83], 4, v[78:79]
	v_accvgpr_write_b32 a88, v80
	global_load_dwordx4 v[78:81], v[80:81], off
	v_add_co_u32_e32 v82, vcc, s4, v82
	v_addc_co_u32_e32 v83, vcc, v0, v83, vcc
	v_accvgpr_write_b32 a50, v82
	v_accvgpr_write_b32 a51, v83
	global_load_dwordx4 v[82:85], v[82:83], off
	v_mov_b32_e32 v0, 16
	buffer_store_dword v4, off, s[0:3], 0 offset:408
	buffer_store_dword v3, off, s[0:3], 0 offset:404
	buffer_store_dword v2, off, s[0:3], 0 offset:400
	s_waitcnt vmcnt(22)
	buffer_store_dword v9, off, s[0:3], 0 offset:428
	buffer_store_dword v8, off, s[0:3], 0 offset:424
	buffer_store_dword v7, off, s[0:3], 0 offset:420
	buffer_store_dword v6, off, s[0:3], 0 offset:416
	s_waitcnt vmcnt(25)
	buffer_store_dword v13, off, s[0:3], 0 offset:444
	;; [unrolled: 5-line block ×15, first 2 shown]
	buffer_store_dword v64, off, s[0:3], 0 offset:648
	buffer_store_dword v63, off, s[0:3], 0 offset:644
	;; [unrolled: 1-line block ×11, first 2 shown]
	s_waitcnt vmcnt(62)
	buffer_store_dword v77, off, s[0:3], 0 offset:700
	buffer_store_dword v76, off, s[0:3], 0 offset:696
	buffer_store_dword v75, off, s[0:3], 0 offset:692
	buffer_store_dword v74, off, s[0:3], 0 offset:688
	buffer_store_dword v81, off, s[0:3], 0 offset:716
	buffer_store_dword v80, off, s[0:3], 0 offset:712
	buffer_store_dword v79, off, s[0:3], 0 offset:708
	buffer_store_dword v78, off, s[0:3], 0 offset:704
	buffer_store_dword v85, off, s[0:3], 0 offset:732
	buffer_store_dword v84, off, s[0:3], 0 offset:728
	buffer_store_dword v83, off, s[0:3], 0 offset:724
	buffer_store_dword v82, off, s[0:3], 0 offset:720
	v_add_u32_e32 v2, 16, v0
	v_accvgpr_write_b32 a133, v2
	v_add_u32_e32 v2, 32, v0
	v_accvgpr_write_b32 a132, v2
	;; [unrolled: 2-line block ×42, first 2 shown]
	v_add_u32_e32 v2, 0x2b0, v0
	v_add_u32_e32 v0, 0x2c0, v0
	v_accvgpr_write_b32 a91, v2
	v_accvgpr_write_b32 a90, v0
	s_mov_b64 s[6:7], -1
	s_cbranch_scc1 .LBB44_192
; %bb.4:
	v_cmp_eq_u32_e64 s[4:5], 0, v255
	s_and_saveexec_b64 s[6:7], s[4:5]
	s_cbranch_execz .LBB44_6
; %bb.5:
	v_mov_b32_e32 v0, 0
	ds_write_b32 v0, v0 offset:1440
.LBB44_6:
	s_or_b64 exec, exec, s[6:7]
	v_mov_b32_e32 v0, 16
	v_lshl_add_u32 v12, v255, 4, v0
	s_waitcnt lgkmcnt(0)
	; wave barrier
	s_waitcnt lgkmcnt(0)
	buffer_load_dword v2, v12, s[0:3], 0 offen
	buffer_load_dword v3, v12, s[0:3], 0 offen offset:4
	buffer_load_dword v4, v12, s[0:3], 0 offen offset:8
	;; [unrolled: 1-line block ×3, first 2 shown]
	s_waitcnt vmcnt(2)
	v_cmp_eq_f64_e32 vcc, 0, v[2:3]
	s_waitcnt vmcnt(0)
	v_cmp_eq_f64_e64 s[6:7], 0, v[4:5]
	s_and_b64 s[6:7], vcc, s[6:7]
	s_and_saveexec_b64 s[12:13], s[6:7]
	s_cbranch_execz .LBB44_10
; %bb.7:
	v_mov_b32_e32 v2, 0
	ds_read_b32 v0, v2 offset:1440
	v_add_u32_e32 v3, 1, v255
	s_waitcnt lgkmcnt(0)
	v_readfirstlane_b32 s6, v0
	s_cmp_eq_u32 s6, 0
	s_cselect_b64 s[16:17], -1, 0
	v_cmp_gt_i32_e32 vcc, s6, v3
	s_or_b64 s[16:17], s[16:17], vcc
	s_and_b64 exec, exec, s[16:17]
	s_cbranch_execz .LBB44_10
; %bb.8:
	s_mov_b64 s[16:17], 0
	v_mov_b32_e32 v4, s6
.LBB44_9:                               ; =>This Inner Loop Header: Depth=1
	ds_cmpst_rtn_b32 v4, v2, v4, v3 offset:1440
	s_waitcnt lgkmcnt(0)
	v_cmp_ne_u32_e32 vcc, 0, v4
	v_cmp_le_i32_e64 s[6:7], v4, v3
	s_and_b64 s[6:7], vcc, s[6:7]
	s_and_b64 s[6:7], exec, s[6:7]
	s_or_b64 s[16:17], s[6:7], s[16:17]
	s_andn2_b64 exec, exec, s[16:17]
	s_cbranch_execnz .LBB44_9
.LBB44_10:
	s_or_b64 exec, exec, s[12:13]
	v_mov_b32_e32 v3, 0
	s_waitcnt lgkmcnt(0)
	; wave barrier
	ds_read_b32 v2, v3 offset:1440
	s_and_saveexec_b64 s[6:7], s[4:5]
	s_cbranch_execz .LBB44_12
; %bb.11:
	s_lshl_b64 s[12:13], s[8:9], 2
	s_add_u32 s12, s14, s12
	s_addc_u32 s13, s15, s13
	s_waitcnt lgkmcnt(0)
	global_store_dword v3, v2, s[12:13]
.LBB44_12:
	s_or_b64 exec, exec, s[6:7]
	s_waitcnt lgkmcnt(0)
	v_cmp_ne_u32_e32 vcc, 0, v2
	s_mov_b64 s[6:7], 0
	s_cbranch_vccnz .LBB44_192
; %bb.13:
	buffer_load_dword v7, v12, s[0:3], 0 offen offset:4
	buffer_load_dword v6, v12, s[0:3], 0 offen
	buffer_load_dword v9, v12, s[0:3], 0 offen offset:12
	buffer_load_dword v8, v12, s[0:3], 0 offen offset:8
                                        ; implicit-def: $vgpr10_vgpr11
	s_waitcnt vmcnt(3)
	v_xor_b32_e32 v0, 0x80000000, v7
	s_waitcnt vmcnt(2)
	v_cmp_gt_f64_e32 vcc, 0, v[6:7]
	s_waitcnt vmcnt(1)
	v_xor_b32_e32 v4, 0x80000000, v9
	v_cndmask_b32_e32 v3, v7, v0, vcc
	s_waitcnt vmcnt(0)
	v_cmp_gt_f64_e32 vcc, 0, v[8:9]
	v_mov_b32_e32 v2, v6
	v_cndmask_b32_e32 v5, v9, v4, vcc
	v_mov_b32_e32 v4, v8
	v_cmp_ngt_f64_e32 vcc, v[2:3], v[4:5]
                                        ; implicit-def: $vgpr4_vgpr5
	s_and_saveexec_b64 s[6:7], vcc
	s_xor_b64 s[6:7], exec, s[6:7]
	s_cbranch_execz .LBB44_15
; %bb.14:
	v_div_scale_f64 v[2:3], s[12:13], v[8:9], v[8:9], v[6:7]
	v_rcp_f64_e32 v[4:5], v[2:3]
	v_div_scale_f64 v[10:11], vcc, v[6:7], v[8:9], v[6:7]
	v_fma_f64 v[14:15], -v[2:3], v[4:5], 1.0
	v_fmac_f64_e32 v[4:5], v[4:5], v[14:15]
	v_fma_f64 v[14:15], -v[2:3], v[4:5], 1.0
	v_fmac_f64_e32 v[4:5], v[4:5], v[14:15]
	v_mul_f64 v[14:15], v[10:11], v[4:5]
	v_fma_f64 v[2:3], -v[2:3], v[14:15], v[10:11]
	v_div_fmas_f64 v[2:3], v[2:3], v[4:5], v[14:15]
	v_div_fixup_f64 v[2:3], v[2:3], v[8:9], v[6:7]
	v_fmac_f64_e32 v[8:9], v[6:7], v[2:3]
	v_div_scale_f64 v[4:5], s[12:13], v[8:9], v[8:9], 1.0
	v_rcp_f64_e32 v[6:7], v[4:5]
	v_fma_f64 v[10:11], -v[4:5], v[6:7], 1.0
	v_fmac_f64_e32 v[6:7], v[6:7], v[10:11]
	v_fma_f64 v[10:11], -v[4:5], v[6:7], 1.0
	v_fmac_f64_e32 v[6:7], v[6:7], v[10:11]
	v_div_scale_f64 v[10:11], vcc, 1.0, v[8:9], 1.0
	v_mul_f64 v[14:15], v[10:11], v[6:7]
	v_fma_f64 v[4:5], -v[4:5], v[14:15], v[10:11]
	s_nop 1
	v_div_fmas_f64 v[4:5], v[4:5], v[6:7], v[14:15]
	v_div_fixup_f64 v[4:5], v[4:5], v[8:9], 1.0
	v_mul_f64 v[10:11], v[2:3], v[4:5]
	v_xor_b32_e32 v5, 0x80000000, v5
	v_xor_b32_e32 v3, 0x80000000, v11
	v_mov_b32_e32 v2, v10
                                        ; implicit-def: $vgpr6_vgpr7
                                        ; implicit-def: $vgpr8_vgpr9
.LBB44_15:
	s_andn2_saveexec_b64 s[6:7], s[6:7]
	s_cbranch_execz .LBB44_17
; %bb.16:
	v_div_scale_f64 v[2:3], s[12:13], v[6:7], v[6:7], v[8:9]
	v_rcp_f64_e32 v[4:5], v[2:3]
	v_div_scale_f64 v[10:11], vcc, v[8:9], v[6:7], v[8:9]
	v_fma_f64 v[14:15], -v[2:3], v[4:5], 1.0
	v_fmac_f64_e32 v[4:5], v[4:5], v[14:15]
	v_fma_f64 v[14:15], -v[2:3], v[4:5], 1.0
	v_fmac_f64_e32 v[4:5], v[4:5], v[14:15]
	v_mul_f64 v[14:15], v[10:11], v[4:5]
	v_fma_f64 v[2:3], -v[2:3], v[14:15], v[10:11]
	v_div_fmas_f64 v[2:3], v[2:3], v[4:5], v[14:15]
	v_div_fixup_f64 v[4:5], v[2:3], v[6:7], v[8:9]
	v_fmac_f64_e32 v[6:7], v[8:9], v[4:5]
	v_div_scale_f64 v[2:3], s[12:13], v[6:7], v[6:7], 1.0
	v_rcp_f64_e32 v[8:9], v[2:3]
	v_fma_f64 v[10:11], -v[2:3], v[8:9], 1.0
	v_fmac_f64_e32 v[8:9], v[8:9], v[10:11]
	v_fma_f64 v[10:11], -v[2:3], v[8:9], 1.0
	v_fmac_f64_e32 v[8:9], v[8:9], v[10:11]
	v_div_scale_f64 v[10:11], vcc, 1.0, v[6:7], 1.0
	v_mul_f64 v[14:15], v[10:11], v[8:9]
	v_fma_f64 v[2:3], -v[2:3], v[14:15], v[10:11]
	s_nop 1
	v_div_fmas_f64 v[2:3], v[2:3], v[8:9], v[14:15]
	v_div_fixup_f64 v[10:11], v[2:3], v[6:7], 1.0
	v_xor_b32_e32 v3, 0x80000000, v11
	v_mov_b32_e32 v2, v10
	v_mul_f64 v[4:5], v[4:5], -v[10:11]
.LBB44_17:
	s_or_b64 exec, exec, s[6:7]
	buffer_store_dword v11, v12, s[0:3], 0 offen offset:4
	buffer_store_dword v10, v12, s[0:3], 0 offen
	buffer_store_dword v5, v12, s[0:3], 0 offen offset:12
	buffer_store_dword v4, v12, s[0:3], 0 offen offset:8
	v_accvgpr_read_b32 v0, a133
	buffer_load_dword v11, v0, s[0:3], 0 offen offset:12
	buffer_load_dword v10, v0, s[0:3], 0 offen offset:8
	;; [unrolled: 1-line block ×3, first 2 shown]
	buffer_load_dword v8, v0, s[0:3], 0 offen
	v_xor_b32_e32 v5, 0x80000000, v5
	v_add_u32_e32 v6, 0x2d0, v1
	ds_write_b128 v1, v[2:5]
	s_waitcnt vmcnt(0)
	ds_write_b128 v1, v[8:11] offset:720
	s_waitcnt lgkmcnt(0)
	; wave barrier
	s_waitcnt lgkmcnt(0)
	s_and_saveexec_b64 s[6:7], s[4:5]
	s_cbranch_execz .LBB44_19
; %bb.18:
	buffer_load_dword v14, v12, s[0:3], 0 offen offset:8
	buffer_load_dword v15, v12, s[0:3], 0 offen offset:12
	buffer_load_dword v16, v12, s[0:3], 0 offen
	buffer_load_dword v17, v12, s[0:3], 0 offen offset:4
	ds_read_b128 v[2:5], v6
	v_mov_b32_e32 v0, 0
	ds_read_b128 v[8:11], v0 offset:16
	s_waitcnt vmcnt(2) lgkmcnt(1)
	v_mul_f64 v[18:19], v[4:5], v[14:15]
	v_mul_f64 v[14:15], v[2:3], v[14:15]
	s_waitcnt vmcnt(0)
	v_fmac_f64_e32 v[14:15], v[4:5], v[16:17]
	v_fma_f64 v[2:3], v[2:3], v[16:17], -v[18:19]
	v_add_f64 v[4:5], v[14:15], 0
	v_add_f64 v[2:3], v[2:3], 0
	s_waitcnt lgkmcnt(0)
	v_mul_f64 v[14:15], v[4:5], v[10:11]
	v_mul_f64 v[10:11], v[2:3], v[10:11]
	v_fma_f64 v[2:3], v[2:3], v[8:9], -v[14:15]
	v_fmac_f64_e32 v[10:11], v[4:5], v[8:9]
	buffer_store_dword v2, off, s[0:3], 0 offset:32
	buffer_store_dword v3, off, s[0:3], 0 offset:36
	;; [unrolled: 1-line block ×4, first 2 shown]
.LBB44_19:
	s_or_b64 exec, exec, s[6:7]
	v_accvgpr_read_b32 v0, a132
	s_waitcnt lgkmcnt(0)
	; wave barrier
	buffer_load_dword v2, v0, s[0:3], 0 offen
	buffer_load_dword v3, v0, s[0:3], 0 offen offset:4
	buffer_load_dword v4, v0, s[0:3], 0 offen offset:8
	buffer_load_dword v5, v0, s[0:3], 0 offen offset:12
	v_cmp_gt_u32_e32 vcc, 2, v255
	s_waitcnt vmcnt(0)
	ds_write_b128 v6, v[2:5]
	s_waitcnt lgkmcnt(0)
	; wave barrier
	s_waitcnt lgkmcnt(0)
	s_and_saveexec_b64 s[6:7], vcc
	s_cbranch_execz .LBB44_23
; %bb.20:
	buffer_load_dword v8, v12, s[0:3], 0 offen offset:8
	buffer_load_dword v9, v12, s[0:3], 0 offen offset:12
	buffer_load_dword v10, v12, s[0:3], 0 offen
	buffer_load_dword v11, v12, s[0:3], 0 offen offset:4
	ds_read_b128 v[2:5], v6
	s_waitcnt vmcnt(2) lgkmcnt(0)
	v_mul_f64 v[12:13], v[4:5], v[8:9]
	v_mul_f64 v[8:9], v[2:3], v[8:9]
	s_waitcnt vmcnt(0)
	v_fma_f64 v[2:3], v[2:3], v[10:11], -v[12:13]
	v_fmac_f64_e32 v[8:9], v[4:5], v[10:11]
	v_add_f64 v[4:5], v[2:3], 0
	v_add_f64 v[2:3], v[8:9], 0
	s_and_saveexec_b64 s[12:13], s[4:5]
	s_cbranch_execz .LBB44_22
; %bb.21:
	buffer_load_dword v12, off, s[0:3], 0 offset:40
	buffer_load_dword v13, off, s[0:3], 0 offset:44
	buffer_load_dword v14, off, s[0:3], 0 offset:32
	buffer_load_dword v15, off, s[0:3], 0 offset:36
	v_mov_b32_e32 v0, 0
	ds_read_b128 v[8:11], v0 offset:736
	s_waitcnt vmcnt(2) lgkmcnt(0)
	v_mul_f64 v[16:17], v[8:9], v[12:13]
	v_mul_f64 v[12:13], v[10:11], v[12:13]
	s_waitcnt vmcnt(0)
	v_fmac_f64_e32 v[16:17], v[10:11], v[14:15]
	v_fma_f64 v[8:9], v[8:9], v[14:15], -v[12:13]
	v_add_f64 v[2:3], v[2:3], v[16:17]
	v_add_f64 v[4:5], v[4:5], v[8:9]
.LBB44_22:
	s_or_b64 exec, exec, s[12:13]
	v_mov_b32_e32 v0, 0
	ds_read_b128 v[8:11], v0 offset:32
	s_waitcnt lgkmcnt(0)
	v_mul_f64 v[12:13], v[2:3], v[10:11]
	v_mul_f64 v[10:11], v[4:5], v[10:11]
	v_fma_f64 v[4:5], v[4:5], v[8:9], -v[12:13]
	v_fmac_f64_e32 v[10:11], v[2:3], v[8:9]
	buffer_store_dword v5, off, s[0:3], 0 offset:52
	buffer_store_dword v4, off, s[0:3], 0 offset:48
	;; [unrolled: 1-line block ×4, first 2 shown]
.LBB44_23:
	s_or_b64 exec, exec, s[6:7]
	v_accvgpr_read_b32 v0, a131
	s_waitcnt lgkmcnt(0)
	; wave barrier
	buffer_load_dword v2, v0, s[0:3], 0 offen
	buffer_load_dword v3, v0, s[0:3], 0 offen offset:4
	buffer_load_dword v4, v0, s[0:3], 0 offen offset:8
	;; [unrolled: 1-line block ×3, first 2 shown]
	v_cmp_gt_u32_e32 vcc, 3, v255
	v_add_u32_e32 v7, -1, v255
	s_waitcnt vmcnt(0)
	ds_write_b128 v6, v[2:5]
	s_waitcnt lgkmcnt(0)
	; wave barrier
	s_waitcnt lgkmcnt(0)
	s_and_saveexec_b64 s[4:5], vcc
	s_cbranch_execz .LBB44_27
; %bb.24:
	v_pk_mov_b32 v[2:3], 0, 0
	v_add_u32_e32 v8, -1, v255
	v_add_u32_e32 v9, 0x2d0, v1
	v_add_u32_e32 v10, 16, v1
	s_mov_b64 s[6:7], 0
	v_pk_mov_b32 v[4:5], v[2:3], v[2:3] op_sel:[0,1]
.LBB44_25:                              ; =>This Inner Loop Header: Depth=1
	buffer_load_dword v16, v10, s[0:3], 0 offen offset:8
	buffer_load_dword v17, v10, s[0:3], 0 offen offset:12
	buffer_load_dword v18, v10, s[0:3], 0 offen
	buffer_load_dword v19, v10, s[0:3], 0 offen offset:4
	ds_read_b128 v[12:15], v9
	v_add_u32_e32 v8, 1, v8
	v_cmp_lt_u32_e32 vcc, 1, v8
	v_add_u32_e32 v9, 16, v9
	v_add_u32_e32 v10, 16, v10
	s_or_b64 s[6:7], vcc, s[6:7]
	s_waitcnt vmcnt(2) lgkmcnt(0)
	v_mul_f64 v[20:21], v[14:15], v[16:17]
	v_mul_f64 v[16:17], v[12:13], v[16:17]
	s_waitcnt vmcnt(0)
	v_fma_f64 v[12:13], v[12:13], v[18:19], -v[20:21]
	v_fmac_f64_e32 v[16:17], v[14:15], v[18:19]
	v_add_f64 v[4:5], v[4:5], v[12:13]
	v_add_f64 v[2:3], v[2:3], v[16:17]
	s_andn2_b64 exec, exec, s[6:7]
	s_cbranch_execnz .LBB44_25
; %bb.26:
	s_or_b64 exec, exec, s[6:7]
	v_mov_b32_e32 v0, 0
	ds_read_b128 v[8:11], v0 offset:48
	s_waitcnt lgkmcnt(0)
	v_mul_f64 v[12:13], v[2:3], v[10:11]
	v_mul_f64 v[10:11], v[4:5], v[10:11]
	v_fma_f64 v[4:5], v[4:5], v[8:9], -v[12:13]
	v_fmac_f64_e32 v[10:11], v[2:3], v[8:9]
	buffer_store_dword v5, off, s[0:3], 0 offset:68
	buffer_store_dword v4, off, s[0:3], 0 offset:64
	buffer_store_dword v11, off, s[0:3], 0 offset:76
	buffer_store_dword v10, off, s[0:3], 0 offset:72
.LBB44_27:
	s_or_b64 exec, exec, s[4:5]
	v_accvgpr_read_b32 v0, a130
	s_waitcnt lgkmcnt(0)
	; wave barrier
	buffer_load_dword v2, v0, s[0:3], 0 offen
	buffer_load_dword v3, v0, s[0:3], 0 offen offset:4
	buffer_load_dword v4, v0, s[0:3], 0 offen offset:8
	buffer_load_dword v5, v0, s[0:3], 0 offen offset:12
	v_cmp_gt_u32_e32 vcc, 4, v255
	s_waitcnt vmcnt(0)
	ds_write_b128 v6, v[2:5]
	s_waitcnt lgkmcnt(0)
	; wave barrier
	s_waitcnt lgkmcnt(0)
	s_and_saveexec_b64 s[4:5], vcc
	s_cbranch_execz .LBB44_31
; %bb.28:
	v_pk_mov_b32 v[2:3], 0, 0
	v_add_u32_e32 v8, -1, v255
	v_add_u32_e32 v9, 0x2d0, v1
	v_add_u32_e32 v10, 16, v1
	s_mov_b64 s[6:7], 0
	v_pk_mov_b32 v[4:5], v[2:3], v[2:3] op_sel:[0,1]
.LBB44_29:                              ; =>This Inner Loop Header: Depth=1
	buffer_load_dword v16, v10, s[0:3], 0 offen offset:8
	buffer_load_dword v17, v10, s[0:3], 0 offen offset:12
	buffer_load_dword v18, v10, s[0:3], 0 offen
	buffer_load_dword v19, v10, s[0:3], 0 offen offset:4
	ds_read_b128 v[12:15], v9
	v_add_u32_e32 v8, 1, v8
	v_cmp_lt_u32_e32 vcc, 2, v8
	v_add_u32_e32 v9, 16, v9
	v_add_u32_e32 v10, 16, v10
	s_or_b64 s[6:7], vcc, s[6:7]
	s_waitcnt vmcnt(2) lgkmcnt(0)
	v_mul_f64 v[20:21], v[14:15], v[16:17]
	v_mul_f64 v[16:17], v[12:13], v[16:17]
	s_waitcnt vmcnt(0)
	v_fma_f64 v[12:13], v[12:13], v[18:19], -v[20:21]
	v_fmac_f64_e32 v[16:17], v[14:15], v[18:19]
	v_add_f64 v[4:5], v[4:5], v[12:13]
	v_add_f64 v[2:3], v[2:3], v[16:17]
	s_andn2_b64 exec, exec, s[6:7]
	s_cbranch_execnz .LBB44_29
; %bb.30:
	s_or_b64 exec, exec, s[6:7]
	v_mov_b32_e32 v0, 0
	ds_read_b128 v[8:11], v0 offset:64
	s_waitcnt lgkmcnt(0)
	v_mul_f64 v[12:13], v[2:3], v[10:11]
	v_mul_f64 v[10:11], v[4:5], v[10:11]
	v_fma_f64 v[4:5], v[4:5], v[8:9], -v[12:13]
	v_fmac_f64_e32 v[10:11], v[2:3], v[8:9]
	buffer_store_dword v5, off, s[0:3], 0 offset:84
	buffer_store_dword v4, off, s[0:3], 0 offset:80
	buffer_store_dword v11, off, s[0:3], 0 offset:92
	buffer_store_dword v10, off, s[0:3], 0 offset:88
.LBB44_31:
	s_or_b64 exec, exec, s[4:5]
	v_accvgpr_read_b32 v0, a129
	s_waitcnt lgkmcnt(0)
	; wave barrier
	buffer_load_dword v2, v0, s[0:3], 0 offen
	buffer_load_dword v3, v0, s[0:3], 0 offen offset:4
	buffer_load_dword v4, v0, s[0:3], 0 offen offset:8
	buffer_load_dword v5, v0, s[0:3], 0 offen offset:12
	v_cmp_gt_u32_e32 vcc, 5, v255
	;; [unrolled: 58-line block ×19, first 2 shown]
	s_waitcnt vmcnt(0)
	ds_write_b128 v6, v[2:5]
	s_waitcnt lgkmcnt(0)
	; wave barrier
	s_waitcnt lgkmcnt(0)
	s_and_saveexec_b64 s[4:5], vcc
	s_cbranch_execz .LBB44_103
; %bb.100:
	v_pk_mov_b32 v[2:3], 0, 0
	v_add_u32_e32 v8, -1, v255
	v_add_u32_e32 v9, 0x2d0, v1
	v_add_u32_e32 v10, 16, v1
	s_mov_b64 s[6:7], 0
	v_pk_mov_b32 v[4:5], v[2:3], v[2:3] op_sel:[0,1]
.LBB44_101:                             ; =>This Inner Loop Header: Depth=1
	buffer_load_dword v16, v10, s[0:3], 0 offen offset:8
	buffer_load_dword v17, v10, s[0:3], 0 offen offset:12
	buffer_load_dword v18, v10, s[0:3], 0 offen
	buffer_load_dword v19, v10, s[0:3], 0 offen offset:4
	ds_read_b128 v[12:15], v9
	v_add_u32_e32 v8, 1, v8
	v_cmp_lt_u32_e32 vcc, 20, v8
	v_add_u32_e32 v9, 16, v9
	v_add_u32_e32 v10, 16, v10
	s_or_b64 s[6:7], vcc, s[6:7]
	s_waitcnt vmcnt(2) lgkmcnt(0)
	v_mul_f64 v[20:21], v[14:15], v[16:17]
	v_mul_f64 v[16:17], v[12:13], v[16:17]
	s_waitcnt vmcnt(0)
	v_fma_f64 v[12:13], v[12:13], v[18:19], -v[20:21]
	v_fmac_f64_e32 v[16:17], v[14:15], v[18:19]
	v_add_f64 v[4:5], v[4:5], v[12:13]
	v_add_f64 v[2:3], v[2:3], v[16:17]
	s_andn2_b64 exec, exec, s[6:7]
	s_cbranch_execnz .LBB44_101
; %bb.102:
	s_or_b64 exec, exec, s[6:7]
	v_mov_b32_e32 v0, 0
	ds_read_b128 v[8:11], v0 offset:352
	s_waitcnt lgkmcnt(0)
	v_mul_f64 v[12:13], v[2:3], v[10:11]
	v_mul_f64 v[10:11], v[4:5], v[10:11]
	v_fma_f64 v[4:5], v[4:5], v[8:9], -v[12:13]
	v_fmac_f64_e32 v[10:11], v[2:3], v[8:9]
	buffer_store_dword v5, off, s[0:3], 0 offset:372
	buffer_store_dword v4, off, s[0:3], 0 offset:368
	buffer_store_dword v11, off, s[0:3], 0 offset:380
	buffer_store_dword v10, off, s[0:3], 0 offset:376
.LBB44_103:
	s_or_b64 exec, exec, s[4:5]
	v_accvgpr_read_b32 v0, a111
	s_waitcnt lgkmcnt(0)
	; wave barrier
	buffer_load_dword v2, v0, s[0:3], 0 offen
	buffer_load_dword v3, v0, s[0:3], 0 offen offset:4
	buffer_load_dword v4, v0, s[0:3], 0 offen offset:8
	buffer_load_dword v5, v0, s[0:3], 0 offen offset:12
	v_cmp_gt_u32_e32 vcc, 23, v255
	s_waitcnt vmcnt(0)
	ds_write_b128 v6, v[2:5]
	s_waitcnt lgkmcnt(0)
	; wave barrier
	s_waitcnt lgkmcnt(0)
	s_and_saveexec_b64 s[4:5], vcc
	s_cbranch_execz .LBB44_107
; %bb.104:
	v_pk_mov_b32 v[2:3], 0, 0
	v_add_u32_e32 v8, -1, v255
	v_add_u32_e32 v9, 0x2d0, v1
	v_add_u32_e32 v10, 16, v1
	s_mov_b64 s[6:7], 0
	v_pk_mov_b32 v[4:5], v[2:3], v[2:3] op_sel:[0,1]
.LBB44_105:                             ; =>This Inner Loop Header: Depth=1
	buffer_load_dword v16, v10, s[0:3], 0 offen offset:8
	buffer_load_dword v17, v10, s[0:3], 0 offen offset:12
	buffer_load_dword v18, v10, s[0:3], 0 offen
	buffer_load_dword v19, v10, s[0:3], 0 offen offset:4
	ds_read_b128 v[12:15], v9
	v_add_u32_e32 v8, 1, v8
	v_cmp_lt_u32_e32 vcc, 21, v8
	v_add_u32_e32 v9, 16, v9
	v_add_u32_e32 v10, 16, v10
	s_or_b64 s[6:7], vcc, s[6:7]
	s_waitcnt vmcnt(2) lgkmcnt(0)
	v_mul_f64 v[20:21], v[14:15], v[16:17]
	v_mul_f64 v[16:17], v[12:13], v[16:17]
	s_waitcnt vmcnt(0)
	v_fma_f64 v[12:13], v[12:13], v[18:19], -v[20:21]
	v_fmac_f64_e32 v[16:17], v[14:15], v[18:19]
	v_add_f64 v[4:5], v[4:5], v[12:13]
	v_add_f64 v[2:3], v[2:3], v[16:17]
	s_andn2_b64 exec, exec, s[6:7]
	s_cbranch_execnz .LBB44_105
; %bb.106:
	s_or_b64 exec, exec, s[6:7]
	v_mov_b32_e32 v0, 0
	ds_read_b128 v[8:11], v0 offset:368
	s_waitcnt lgkmcnt(0)
	v_mul_f64 v[12:13], v[2:3], v[10:11]
	v_mul_f64 v[10:11], v[4:5], v[10:11]
	v_fma_f64 v[4:5], v[4:5], v[8:9], -v[12:13]
	v_fmac_f64_e32 v[10:11], v[2:3], v[8:9]
	buffer_store_dword v5, off, s[0:3], 0 offset:388
	buffer_store_dword v4, off, s[0:3], 0 offset:384
	buffer_store_dword v11, off, s[0:3], 0 offset:396
	buffer_store_dword v10, off, s[0:3], 0 offset:392
.LBB44_107:
	s_or_b64 exec, exec, s[4:5]
	v_accvgpr_read_b32 v0, a110
	s_waitcnt lgkmcnt(0)
	; wave barrier
	buffer_load_dword v2, v0, s[0:3], 0 offen
	buffer_load_dword v3, v0, s[0:3], 0 offen offset:4
	buffer_load_dword v4, v0, s[0:3], 0 offen offset:8
	buffer_load_dword v5, v0, s[0:3], 0 offen offset:12
	v_cmp_gt_u32_e32 vcc, 24, v255
	;; [unrolled: 58-line block ×21, first 2 shown]
	s_waitcnt vmcnt(0)
	ds_write_b128 v6, v[2:5]
	s_waitcnt lgkmcnt(0)
	; wave barrier
	s_waitcnt lgkmcnt(0)
	s_and_saveexec_b64 s[4:5], vcc
	s_cbranch_execz .LBB44_187
; %bb.184:
	v_pk_mov_b32 v[2:3], 0, 0
	v_add_u32_e32 v8, -1, v255
	v_add_u32_e32 v9, 0x2d0, v1
	v_add_u32_e32 v10, 16, v1
	s_mov_b64 s[6:7], 0
	v_pk_mov_b32 v[4:5], v[2:3], v[2:3] op_sel:[0,1]
.LBB44_185:                             ; =>This Inner Loop Header: Depth=1
	buffer_load_dword v16, v10, s[0:3], 0 offen offset:8
	buffer_load_dword v17, v10, s[0:3], 0 offen offset:12
	buffer_load_dword v18, v10, s[0:3], 0 offen
	buffer_load_dword v19, v10, s[0:3], 0 offen offset:4
	ds_read_b128 v[12:15], v9
	v_add_u32_e32 v8, 1, v8
	v_cmp_lt_u32_e32 vcc, 41, v8
	v_add_u32_e32 v9, 16, v9
	v_add_u32_e32 v10, 16, v10
	s_or_b64 s[6:7], vcc, s[6:7]
	s_waitcnt vmcnt(2) lgkmcnt(0)
	v_mul_f64 v[20:21], v[14:15], v[16:17]
	v_mul_f64 v[16:17], v[12:13], v[16:17]
	s_waitcnt vmcnt(0)
	v_fma_f64 v[12:13], v[12:13], v[18:19], -v[20:21]
	v_fmac_f64_e32 v[16:17], v[14:15], v[18:19]
	v_add_f64 v[4:5], v[4:5], v[12:13]
	v_add_f64 v[2:3], v[2:3], v[16:17]
	s_andn2_b64 exec, exec, s[6:7]
	s_cbranch_execnz .LBB44_185
; %bb.186:
	s_or_b64 exec, exec, s[6:7]
	v_mov_b32_e32 v0, 0
	ds_read_b128 v[8:11], v0 offset:688
	s_waitcnt lgkmcnt(0)
	v_mul_f64 v[12:13], v[2:3], v[10:11]
	v_mul_f64 v[10:11], v[4:5], v[10:11]
	v_fma_f64 v[4:5], v[4:5], v[8:9], -v[12:13]
	v_fmac_f64_e32 v[10:11], v[2:3], v[8:9]
	buffer_store_dword v5, off, s[0:3], 0 offset:708
	buffer_store_dword v4, off, s[0:3], 0 offset:704
	;; [unrolled: 1-line block ×4, first 2 shown]
.LBB44_187:
	s_or_b64 exec, exec, s[4:5]
	v_accvgpr_read_b32 v0, a90
	s_waitcnt lgkmcnt(0)
	; wave barrier
	buffer_load_dword v2, v0, s[0:3], 0 offen
	buffer_load_dword v3, v0, s[0:3], 0 offen offset:4
	buffer_load_dword v4, v0, s[0:3], 0 offen offset:8
	;; [unrolled: 1-line block ×3, first 2 shown]
	v_cmp_ne_u32_e32 vcc, 44, v255
	s_waitcnt vmcnt(0)
	ds_write_b128 v6, v[2:5]
	s_waitcnt lgkmcnt(0)
	; wave barrier
	s_waitcnt lgkmcnt(0)
	s_and_saveexec_b64 s[4:5], vcc
	s_cbranch_execz .LBB44_191
; %bb.188:
	v_pk_mov_b32 v[2:3], 0, 0
	v_add_u32_e32 v6, 0x2d0, v1
	v_add_u32_e32 v1, 16, v1
	s_mov_b64 s[6:7], 0
	v_pk_mov_b32 v[4:5], v[2:3], v[2:3] op_sel:[0,1]
.LBB44_189:                             ; =>This Inner Loop Header: Depth=1
	buffer_load_dword v12, v1, s[0:3], 0 offen offset:8
	buffer_load_dword v13, v1, s[0:3], 0 offen offset:12
	buffer_load_dword v14, v1, s[0:3], 0 offen
	buffer_load_dword v15, v1, s[0:3], 0 offen offset:4
	ds_read_b128 v[8:11], v6
	v_add_u32_e32 v7, 1, v7
	v_cmp_lt_u32_e32 vcc, 42, v7
	v_add_u32_e32 v6, 16, v6
	v_add_u32_e32 v1, 16, v1
	s_or_b64 s[6:7], vcc, s[6:7]
	s_waitcnt vmcnt(2) lgkmcnt(0)
	v_mul_f64 v[16:17], v[10:11], v[12:13]
	v_mul_f64 v[12:13], v[8:9], v[12:13]
	s_waitcnt vmcnt(0)
	v_fma_f64 v[8:9], v[8:9], v[14:15], -v[16:17]
	v_fmac_f64_e32 v[12:13], v[10:11], v[14:15]
	v_add_f64 v[4:5], v[4:5], v[8:9]
	v_add_f64 v[2:3], v[2:3], v[12:13]
	s_andn2_b64 exec, exec, s[6:7]
	s_cbranch_execnz .LBB44_189
; %bb.190:
	s_or_b64 exec, exec, s[6:7]
	v_mov_b32_e32 v0, 0
	ds_read_b128 v[6:9], v0 offset:704
	s_waitcnt lgkmcnt(0)
	v_mul_f64 v[10:11], v[2:3], v[8:9]
	v_mul_f64 v[8:9], v[4:5], v[8:9]
	v_fma_f64 v[4:5], v[4:5], v[6:7], -v[10:11]
	v_fmac_f64_e32 v[8:9], v[2:3], v[6:7]
	buffer_store_dword v5, off, s[0:3], 0 offset:724
	buffer_store_dword v4, off, s[0:3], 0 offset:720
	buffer_store_dword v9, off, s[0:3], 0 offset:732
	buffer_store_dword v8, off, s[0:3], 0 offset:728
.LBB44_191:
	s_or_b64 exec, exec, s[4:5]
	s_mov_b64 s[6:7], -1
	s_waitcnt lgkmcnt(0)
	; wave barrier
.LBB44_192:
	s_and_b64 vcc, exec, s[6:7]
	s_cbranch_vccz .LBB44_194
; %bb.193:
	s_lshl_b64 s[4:5], s[8:9], 2
	s_add_u32 s4, s14, s4
	s_addc_u32 s5, s15, s5
	v_mov_b32_e32 v0, 0
	global_load_dword v0, v0, s[4:5]
	s_waitcnt vmcnt(0)
	v_cmp_ne_u32_e32 vcc, 0, v0
	s_cbranch_vccz .LBB44_195
.LBB44_194:
	s_endpgm
.LBB44_195:
	v_mov_b32_e32 v0, 0x2d0
	v_lshl_add_u32 v0, v255, 4, v0
	v_accvgpr_write_b32 a135, v0
	v_cmp_eq_u32_e32 vcc, 44, v255
	s_and_saveexec_b64 s[4:5], vcc
	s_cbranch_execz .LBB44_197
; %bb.196:
	v_accvgpr_read_b32 v0, a91
	buffer_load_dword v2, v0, s[0:3], 0 offen
	buffer_load_dword v3, v0, s[0:3], 0 offen offset:4
	buffer_load_dword v4, v0, s[0:3], 0 offen offset:8
	buffer_load_dword v5, v0, s[0:3], 0 offen offset:12
	v_mov_b32_e32 v0, 0
	v_accvgpr_read_b32 v1, a135
	buffer_store_dword v0, off, s[0:3], 0 offset:704
	buffer_store_dword v0, off, s[0:3], 0 offset:708
	;; [unrolled: 1-line block ×4, first 2 shown]
	s_waitcnt vmcnt(4)
	ds_write_b128 v1, v[2:5]
.LBB44_197:
	s_or_b64 exec, exec, s[4:5]
	s_waitcnt lgkmcnt(0)
	; wave barrier
	s_waitcnt lgkmcnt(0)
	buffer_load_dword v8, off, s[0:3], 0 offset:728
	buffer_load_dword v9, off, s[0:3], 0 offset:732
	buffer_load_dword v10, off, s[0:3], 0 offset:720
	buffer_load_dword v11, off, s[0:3], 0 offset:724
	buffer_load_dword v12, off, s[0:3], 0 offset:704
	buffer_load_dword v13, off, s[0:3], 0 offset:708
	buffer_load_dword v14, off, s[0:3], 0 offset:712
	buffer_load_dword v15, off, s[0:3], 0 offset:716
	v_mov_b32_e32 v2, 0
	ds_read_b128 v[4:7], v2 offset:1424
	v_cmp_lt_u32_e32 vcc, 42, v255
	s_waitcnt vmcnt(6) lgkmcnt(0)
	v_mul_f64 v[16:17], v[4:5], v[8:9]
	v_mul_f64 v[8:9], v[6:7], v[8:9]
	s_waitcnt vmcnt(4)
	v_fma_f64 v[4:5], v[4:5], v[10:11], -v[8:9]
	v_fmac_f64_e32 v[16:17], v[6:7], v[10:11]
	v_add_f64 v[4:5], v[4:5], 0
	v_add_f64 v[6:7], v[16:17], 0
	s_waitcnt vmcnt(2)
	v_add_f64 v[4:5], v[12:13], -v[4:5]
	s_waitcnt vmcnt(0)
	v_add_f64 v[6:7], v[14:15], -v[6:7]
	buffer_store_dword v4, off, s[0:3], 0 offset:704
	buffer_store_dword v5, off, s[0:3], 0 offset:708
	;; [unrolled: 1-line block ×4, first 2 shown]
	s_and_saveexec_b64 s[4:5], vcc
	s_cbranch_execz .LBB44_199
; %bb.198:
	v_accvgpr_read_b32 v0, a92
	buffer_load_dword v4, v0, s[0:3], 0 offen
	buffer_load_dword v5, v0, s[0:3], 0 offen offset:4
	buffer_load_dword v6, v0, s[0:3], 0 offen offset:8
	;; [unrolled: 1-line block ×3, first 2 shown]
	v_accvgpr_read_b32 v0, a135
	buffer_store_dword v2, off, s[0:3], 0 offset:688
	buffer_store_dword v2, off, s[0:3], 0 offset:692
	;; [unrolled: 1-line block ×4, first 2 shown]
	s_waitcnt vmcnt(4)
	ds_write_b128 v0, v[4:7]
.LBB44_199:
	s_or_b64 exec, exec, s[4:5]
	s_waitcnt lgkmcnt(0)
	; wave barrier
	s_waitcnt lgkmcnt(0)
	buffer_load_dword v12, off, s[0:3], 0 offset:712
	buffer_load_dword v13, off, s[0:3], 0 offset:716
	buffer_load_dword v14, off, s[0:3], 0 offset:728
	buffer_load_dword v15, off, s[0:3], 0 offset:732
	buffer_load_dword v16, off, s[0:3], 0 offset:704
	buffer_load_dword v17, off, s[0:3], 0 offset:708
	buffer_load_dword v18, off, s[0:3], 0 offset:720
	buffer_load_dword v19, off, s[0:3], 0 offset:724
	buffer_load_dword v20, off, s[0:3], 0 offset:688
	buffer_load_dword v21, off, s[0:3], 0 offset:692
	buffer_load_dword v22, off, s[0:3], 0 offset:696
	buffer_load_dword v23, off, s[0:3], 0 offset:700
	ds_read_b128 v[4:7], v2 offset:1408
	ds_read_b128 v[8:11], v2 offset:1424
	v_cmp_lt_u32_e32 vcc, 41, v255
	s_waitcnt vmcnt(10) lgkmcnt(1)
	v_mul_f64 v[2:3], v[4:5], v[12:13]
	v_mul_f64 v[12:13], v[6:7], v[12:13]
	s_waitcnt vmcnt(8) lgkmcnt(0)
	v_mul_f64 v[24:25], v[8:9], v[14:15]
	v_mul_f64 v[14:15], v[10:11], v[14:15]
	s_waitcnt vmcnt(6)
	v_fma_f64 v[4:5], v[4:5], v[16:17], -v[12:13]
	v_fmac_f64_e32 v[2:3], v[6:7], v[16:17]
	s_waitcnt vmcnt(4)
	v_fma_f64 v[6:7], v[8:9], v[18:19], -v[14:15]
	v_add_f64 v[4:5], v[4:5], 0
	v_fmac_f64_e32 v[24:25], v[10:11], v[18:19]
	v_add_f64 v[2:3], v[2:3], 0
	v_add_f64 v[4:5], v[4:5], v[6:7]
	v_add_f64 v[2:3], v[2:3], v[24:25]
	s_waitcnt vmcnt(2)
	v_add_f64 v[4:5], v[20:21], -v[4:5]
	s_waitcnt vmcnt(0)
	v_add_f64 v[2:3], v[22:23], -v[2:3]
	buffer_store_dword v4, off, s[0:3], 0 offset:688
	buffer_store_dword v5, off, s[0:3], 0 offset:692
	;; [unrolled: 1-line block ×4, first 2 shown]
	s_and_saveexec_b64 s[4:5], vcc
	s_cbranch_execz .LBB44_201
; %bb.200:
	v_accvgpr_read_b32 v0, a93
	buffer_load_dword v2, v0, s[0:3], 0 offen
	buffer_load_dword v3, v0, s[0:3], 0 offen offset:4
	buffer_load_dword v4, v0, s[0:3], 0 offen offset:8
	;; [unrolled: 1-line block ×3, first 2 shown]
	v_mov_b32_e32 v0, 0
	v_accvgpr_read_b32 v1, a135
	buffer_store_dword v0, off, s[0:3], 0 offset:672
	buffer_store_dword v0, off, s[0:3], 0 offset:676
	;; [unrolled: 1-line block ×4, first 2 shown]
	s_waitcnt vmcnt(4)
	ds_write_b128 v1, v[2:5]
.LBB44_201:
	s_or_b64 exec, exec, s[4:5]
	s_waitcnt lgkmcnt(0)
	; wave barrier
	s_waitcnt lgkmcnt(0)
	buffer_load_dword v16, off, s[0:3], 0 offset:696
	buffer_load_dword v17, off, s[0:3], 0 offset:700
	;; [unrolled: 1-line block ×16, first 2 shown]
	v_mov_b32_e32 v2, 0
	ds_read_b128 v[4:7], v2 offset:1392
	ds_read_b128 v[8:11], v2 offset:1408
	;; [unrolled: 1-line block ×3, first 2 shown]
	v_cmp_lt_u32_e32 vcc, 40, v255
	s_waitcnt vmcnt(14) lgkmcnt(2)
	v_mul_f64 v[32:33], v[4:5], v[16:17]
	v_mul_f64 v[16:17], v[6:7], v[16:17]
	s_waitcnt vmcnt(12) lgkmcnt(1)
	v_mul_f64 v[34:35], v[8:9], v[18:19]
	v_mul_f64 v[18:19], v[10:11], v[18:19]
	;; [unrolled: 3-line block ×3, first 2 shown]
	s_waitcnt vmcnt(8)
	v_fma_f64 v[4:5], v[4:5], v[22:23], -v[16:17]
	v_fmac_f64_e32 v[32:33], v[6:7], v[22:23]
	s_waitcnt vmcnt(6)
	v_fma_f64 v[6:7], v[8:9], v[24:25], -v[18:19]
	v_add_f64 v[4:5], v[4:5], 0
	v_fmac_f64_e32 v[34:35], v[10:11], v[24:25]
	s_waitcnt vmcnt(4)
	v_fma_f64 v[8:9], v[12:13], v[26:27], -v[20:21]
	v_add_f64 v[10:11], v[32:33], 0
	v_add_f64 v[4:5], v[4:5], v[6:7]
	v_fmac_f64_e32 v[36:37], v[14:15], v[26:27]
	v_add_f64 v[10:11], v[10:11], v[34:35]
	v_add_f64 v[4:5], v[4:5], v[8:9]
	;; [unrolled: 1-line block ×3, first 2 shown]
	s_waitcnt vmcnt(2)
	v_add_f64 v[4:5], v[28:29], -v[4:5]
	s_waitcnt vmcnt(0)
	v_add_f64 v[6:7], v[30:31], -v[6:7]
	buffer_store_dword v4, off, s[0:3], 0 offset:672
	buffer_store_dword v5, off, s[0:3], 0 offset:676
	buffer_store_dword v6, off, s[0:3], 0 offset:680
	buffer_store_dword v7, off, s[0:3], 0 offset:684
	s_and_saveexec_b64 s[4:5], vcc
	s_cbranch_execz .LBB44_203
; %bb.202:
	v_accvgpr_read_b32 v0, a94
	buffer_load_dword v4, v0, s[0:3], 0 offen
	buffer_load_dword v5, v0, s[0:3], 0 offen offset:4
	buffer_load_dword v6, v0, s[0:3], 0 offen offset:8
	;; [unrolled: 1-line block ×3, first 2 shown]
	v_accvgpr_read_b32 v0, a135
	buffer_store_dword v2, off, s[0:3], 0 offset:656
	buffer_store_dword v2, off, s[0:3], 0 offset:660
	;; [unrolled: 1-line block ×4, first 2 shown]
	s_waitcnt vmcnt(4)
	ds_write_b128 v0, v[4:7]
.LBB44_203:
	s_or_b64 exec, exec, s[4:5]
	s_waitcnt lgkmcnt(0)
	; wave barrier
	s_waitcnt lgkmcnt(0)
	buffer_load_dword v20, off, s[0:3], 0 offset:680
	buffer_load_dword v21, off, s[0:3], 0 offset:684
	;; [unrolled: 1-line block ×20, first 2 shown]
	ds_read_b128 v[4:7], v2 offset:1376
	ds_read_b128 v[8:11], v2 offset:1392
	;; [unrolled: 1-line block ×4, first 2 shown]
	v_cmp_lt_u32_e32 vcc, 39, v255
	s_waitcnt vmcnt(18) lgkmcnt(3)
	v_mul_f64 v[2:3], v[4:5], v[20:21]
	v_mul_f64 v[20:21], v[6:7], v[20:21]
	s_waitcnt vmcnt(16) lgkmcnt(2)
	v_mul_f64 v[40:41], v[8:9], v[22:23]
	v_mul_f64 v[22:23], v[10:11], v[22:23]
	s_waitcnt vmcnt(14) lgkmcnt(1)
	v_mul_f64 v[42:43], v[12:13], v[24:25]
	v_mul_f64 v[24:25], v[14:15], v[24:25]
	s_waitcnt vmcnt(12) lgkmcnt(0)
	v_mul_f64 v[44:45], v[16:17], v[26:27]
	v_mul_f64 v[26:27], v[18:19], v[26:27]
	s_waitcnt vmcnt(10)
	v_fma_f64 v[4:5], v[4:5], v[28:29], -v[20:21]
	v_fmac_f64_e32 v[2:3], v[6:7], v[28:29]
	s_waitcnt vmcnt(8)
	v_fma_f64 v[6:7], v[8:9], v[30:31], -v[22:23]
	v_add_f64 v[4:5], v[4:5], 0
	v_fmac_f64_e32 v[40:41], v[10:11], v[30:31]
	s_waitcnt vmcnt(6)
	v_fma_f64 v[8:9], v[12:13], v[32:33], -v[24:25]
	v_add_f64 v[2:3], v[2:3], 0
	v_add_f64 v[4:5], v[4:5], v[6:7]
	v_fmac_f64_e32 v[42:43], v[14:15], v[32:33]
	s_waitcnt vmcnt(4)
	v_fma_f64 v[10:11], v[16:17], v[34:35], -v[26:27]
	v_add_f64 v[2:3], v[2:3], v[40:41]
	v_add_f64 v[4:5], v[4:5], v[8:9]
	v_fmac_f64_e32 v[44:45], v[18:19], v[34:35]
	v_add_f64 v[2:3], v[2:3], v[42:43]
	v_add_f64 v[4:5], v[4:5], v[10:11]
	;; [unrolled: 1-line block ×3, first 2 shown]
	s_waitcnt vmcnt(2)
	v_add_f64 v[4:5], v[36:37], -v[4:5]
	s_waitcnt vmcnt(0)
	v_add_f64 v[2:3], v[38:39], -v[2:3]
	buffer_store_dword v4, off, s[0:3], 0 offset:656
	buffer_store_dword v5, off, s[0:3], 0 offset:660
	;; [unrolled: 1-line block ×4, first 2 shown]
	s_and_saveexec_b64 s[4:5], vcc
	s_cbranch_execz .LBB44_205
; %bb.204:
	v_accvgpr_read_b32 v0, a95
	buffer_load_dword v2, v0, s[0:3], 0 offen
	buffer_load_dword v3, v0, s[0:3], 0 offen offset:4
	buffer_load_dword v4, v0, s[0:3], 0 offen offset:8
	;; [unrolled: 1-line block ×3, first 2 shown]
	v_mov_b32_e32 v0, 0
	v_accvgpr_read_b32 v1, a135
	buffer_store_dword v0, off, s[0:3], 0 offset:640
	buffer_store_dword v0, off, s[0:3], 0 offset:644
	;; [unrolled: 1-line block ×4, first 2 shown]
	s_waitcnt vmcnt(4)
	ds_write_b128 v1, v[2:5]
.LBB44_205:
	s_or_b64 exec, exec, s[4:5]
	s_waitcnt lgkmcnt(0)
	; wave barrier
	s_waitcnt lgkmcnt(0)
	buffer_load_dword v24, off, s[0:3], 0 offset:664
	buffer_load_dword v25, off, s[0:3], 0 offset:668
	;; [unrolled: 1-line block ×24, first 2 shown]
	v_mov_b32_e32 v2, 0
	ds_read_b128 v[4:7], v2 offset:1360
	ds_read_b128 v[8:11], v2 offset:1376
	;; [unrolled: 1-line block ×5, first 2 shown]
	v_cmp_lt_u32_e32 vcc, 38, v255
	s_waitcnt vmcnt(22) lgkmcnt(4)
	v_mul_f64 v[48:49], v[4:5], v[24:25]
	v_mul_f64 v[24:25], v[6:7], v[24:25]
	s_waitcnt vmcnt(20) lgkmcnt(3)
	v_mul_f64 v[50:51], v[8:9], v[26:27]
	v_mul_f64 v[26:27], v[10:11], v[26:27]
	;; [unrolled: 3-line block ×4, first 2 shown]
	s_waitcnt vmcnt(13) lgkmcnt(0)
	v_mul_f64 v[56:57], v[20:21], v[30:31]
	s_waitcnt vmcnt(11)
	v_fma_f64 v[4:5], v[4:5], v[36:37], -v[24:25]
	v_fmac_f64_e32 v[48:49], v[6:7], v[36:37]
	s_waitcnt vmcnt(9)
	v_fma_f64 v[6:7], v[8:9], v[38:39], -v[26:27]
	v_add_f64 v[4:5], v[4:5], 0
	v_fmac_f64_e32 v[50:51], v[10:11], v[38:39]
	s_waitcnt vmcnt(7)
	v_fmac_f64_e32 v[52:53], v[14:15], v[40:41]
	v_fma_f64 v[8:9], v[12:13], v[40:41], -v[28:29]
	v_add_f64 v[14:15], v[48:49], 0
	v_add_f64 v[4:5], v[4:5], v[6:7]
	v_mul_f64 v[30:31], v[22:23], v[30:31]
	s_waitcnt vmcnt(5)
	v_fma_f64 v[10:11], v[16:17], v[42:43], -v[34:35]
	v_add_f64 v[14:15], v[14:15], v[50:51]
	v_add_f64 v[4:5], v[4:5], v[8:9]
	v_fmac_f64_e32 v[54:55], v[18:19], v[42:43]
	s_waitcnt vmcnt(4)
	v_fma_f64 v[12:13], v[20:21], v[32:33], -v[30:31]
	v_add_f64 v[6:7], v[14:15], v[52:53]
	v_add_f64 v[4:5], v[4:5], v[10:11]
	v_fmac_f64_e32 v[56:57], v[22:23], v[32:33]
	v_add_f64 v[6:7], v[6:7], v[54:55]
	v_add_f64 v[4:5], v[4:5], v[12:13]
	;; [unrolled: 1-line block ×3, first 2 shown]
	s_waitcnt vmcnt(2)
	v_add_f64 v[4:5], v[44:45], -v[4:5]
	s_waitcnt vmcnt(0)
	v_add_f64 v[6:7], v[46:47], -v[6:7]
	buffer_store_dword v5, off, s[0:3], 0 offset:644
	buffer_store_dword v4, off, s[0:3], 0 offset:640
	;; [unrolled: 1-line block ×4, first 2 shown]
	s_and_saveexec_b64 s[4:5], vcc
	s_cbranch_execz .LBB44_207
; %bb.206:
	v_accvgpr_read_b32 v0, a96
	buffer_load_dword v4, v0, s[0:3], 0 offen
	buffer_load_dword v5, v0, s[0:3], 0 offen offset:4
	buffer_load_dword v6, v0, s[0:3], 0 offen offset:8
	;; [unrolled: 1-line block ×3, first 2 shown]
	v_accvgpr_read_b32 v0, a135
	buffer_store_dword v2, off, s[0:3], 0 offset:624
	buffer_store_dword v2, off, s[0:3], 0 offset:628
	;; [unrolled: 1-line block ×4, first 2 shown]
	s_waitcnt vmcnt(4)
	ds_write_b128 v0, v[4:7]
.LBB44_207:
	s_or_b64 exec, exec, s[4:5]
	s_waitcnt lgkmcnt(0)
	; wave barrier
	s_waitcnt lgkmcnt(0)
	buffer_load_dword v28, off, s[0:3], 0 offset:648
	buffer_load_dword v29, off, s[0:3], 0 offset:652
	buffer_load_dword v30, off, s[0:3], 0 offset:664
	buffer_load_dword v31, off, s[0:3], 0 offset:668
	buffer_load_dword v32, off, s[0:3], 0 offset:680
	buffer_load_dword v33, off, s[0:3], 0 offset:684
	buffer_load_dword v35, off, s[0:3], 0 offset:716
	buffer_load_dword v34, off, s[0:3], 0 offset:712
	buffer_load_dword v36, off, s[0:3], 0 offset:704
	buffer_load_dword v39, off, s[0:3], 0 offset:700
	buffer_load_dword v38, off, s[0:3], 0 offset:696
	buffer_load_dword v41, off, s[0:3], 0 offset:732
	buffer_load_dword v40, off, s[0:3], 0 offset:728
	buffer_load_dword v37, off, s[0:3], 0 offset:708
	buffer_load_dword v42, off, s[0:3], 0 offset:640
	buffer_load_dword v43, off, s[0:3], 0 offset:644
	buffer_load_dword v44, off, s[0:3], 0 offset:656
	buffer_load_dword v45, off, s[0:3], 0 offset:660
	buffer_load_dword v46, off, s[0:3], 0 offset:672
	buffer_load_dword v47, off, s[0:3], 0 offset:676
	buffer_load_dword v49, off, s[0:3], 0 offset:692
	buffer_load_dword v48, off, s[0:3], 0 offset:688
	buffer_load_dword v51, off, s[0:3], 0 offset:724
	buffer_load_dword v50, off, s[0:3], 0 offset:720
	buffer_load_dword v52, off, s[0:3], 0 offset:624
	buffer_load_dword v53, off, s[0:3], 0 offset:628
	buffer_load_dword v54, off, s[0:3], 0 offset:632
	buffer_load_dword v55, off, s[0:3], 0 offset:636
	ds_read_b128 v[4:7], v2 offset:1344
	ds_read_b128 v[8:11], v2 offset:1360
	;; [unrolled: 1-line block ×6, first 2 shown]
	v_cmp_lt_u32_e32 vcc, 37, v255
	s_waitcnt vmcnt(26) lgkmcnt(5)
	v_mul_f64 v[2:3], v[4:5], v[28:29]
	v_mul_f64 v[28:29], v[6:7], v[28:29]
	s_waitcnt vmcnt(24) lgkmcnt(4)
	v_mul_f64 v[56:57], v[8:9], v[30:31]
	v_mul_f64 v[30:31], v[10:11], v[30:31]
	;; [unrolled: 3-line block ×4, first 2 shown]
	s_waitcnt vmcnt(17)
	v_mul_f64 v[60:61], v[16:17], v[38:39]
	v_mul_f64 v[38:39], v[18:19], v[38:39]
	s_waitcnt vmcnt(15) lgkmcnt(0)
	v_mul_f64 v[64:65], v[24:25], v[40:41]
	v_mul_f64 v[40:41], v[26:27], v[40:41]
	s_waitcnt vmcnt(14)
	v_fmac_f64_e32 v[62:63], v[22:23], v[36:37]
	s_waitcnt vmcnt(12)
	v_fma_f64 v[4:5], v[4:5], v[42:43], -v[28:29]
	v_fmac_f64_e32 v[2:3], v[6:7], v[42:43]
	s_waitcnt vmcnt(10)
	v_fma_f64 v[6:7], v[8:9], v[44:45], -v[30:31]
	v_add_f64 v[4:5], v[4:5], 0
	v_fmac_f64_e32 v[56:57], v[10:11], v[44:45]
	s_waitcnt vmcnt(8)
	v_fma_f64 v[8:9], v[12:13], v[46:47], -v[32:33]
	v_add_f64 v[2:3], v[2:3], 0
	v_add_f64 v[4:5], v[4:5], v[6:7]
	v_fmac_f64_e32 v[58:59], v[14:15], v[46:47]
	s_waitcnt vmcnt(6)
	v_fma_f64 v[10:11], v[16:17], v[48:49], -v[38:39]
	v_add_f64 v[2:3], v[2:3], v[56:57]
	v_add_f64 v[4:5], v[4:5], v[8:9]
	v_fmac_f64_e32 v[60:61], v[18:19], v[48:49]
	v_fma_f64 v[12:13], v[20:21], v[36:37], -v[34:35]
	v_add_f64 v[2:3], v[2:3], v[58:59]
	v_add_f64 v[4:5], v[4:5], v[10:11]
	s_waitcnt vmcnt(4)
	v_fma_f64 v[14:15], v[24:25], v[50:51], -v[40:41]
	v_add_f64 v[2:3], v[2:3], v[60:61]
	v_add_f64 v[4:5], v[4:5], v[12:13]
	v_fmac_f64_e32 v[64:65], v[26:27], v[50:51]
	v_add_f64 v[2:3], v[2:3], v[62:63]
	v_add_f64 v[4:5], v[4:5], v[14:15]
	;; [unrolled: 1-line block ×3, first 2 shown]
	s_waitcnt vmcnt(2)
	v_add_f64 v[4:5], v[52:53], -v[4:5]
	s_waitcnt vmcnt(0)
	v_add_f64 v[2:3], v[54:55], -v[2:3]
	buffer_store_dword v5, off, s[0:3], 0 offset:628
	buffer_store_dword v4, off, s[0:3], 0 offset:624
	;; [unrolled: 1-line block ×4, first 2 shown]
	s_and_saveexec_b64 s[4:5], vcc
	s_cbranch_execz .LBB44_209
; %bb.208:
	v_accvgpr_read_b32 v0, a97
	buffer_load_dword v2, v0, s[0:3], 0 offen
	buffer_load_dword v3, v0, s[0:3], 0 offen offset:4
	buffer_load_dword v4, v0, s[0:3], 0 offen offset:8
	;; [unrolled: 1-line block ×3, first 2 shown]
	v_mov_b32_e32 v0, 0
	v_accvgpr_read_b32 v1, a135
	buffer_store_dword v0, off, s[0:3], 0 offset:608
	buffer_store_dword v0, off, s[0:3], 0 offset:612
	;; [unrolled: 1-line block ×4, first 2 shown]
	s_waitcnt vmcnt(4)
	ds_write_b128 v1, v[2:5]
.LBB44_209:
	s_or_b64 exec, exec, s[4:5]
	s_waitcnt lgkmcnt(0)
	; wave barrier
	s_waitcnt lgkmcnt(0)
	buffer_load_dword v32, off, s[0:3], 0 offset:632
	buffer_load_dword v33, off, s[0:3], 0 offset:636
	;; [unrolled: 1-line block ×32, first 2 shown]
	v_mov_b32_e32 v2, 0
	ds_read_b128 v[4:7], v2 offset:1328
	ds_read_b128 v[8:11], v2 offset:1344
	;; [unrolled: 1-line block ×7, first 2 shown]
	v_cmp_lt_u32_e32 vcc, 36, v255
	s_waitcnt vmcnt(30) lgkmcnt(6)
	v_mul_f64 v[64:65], v[4:5], v[32:33]
	v_mul_f64 v[32:33], v[6:7], v[32:33]
	s_waitcnt vmcnt(28) lgkmcnt(5)
	v_mul_f64 v[66:67], v[8:9], v[34:35]
	v_mul_f64 v[34:35], v[10:11], v[34:35]
	;; [unrolled: 3-line block ×4, first 2 shown]
	s_waitcnt vmcnt(21)
	v_mul_f64 v[70:71], v[16:17], v[42:43]
	v_mul_f64 v[42:43], v[18:19], v[42:43]
	s_waitcnt vmcnt(17) lgkmcnt(1)
	v_mul_f64 v[74:75], v[24:25], v[48:49]
	v_mul_f64 v[48:49], v[26:27], v[48:49]
	s_waitcnt vmcnt(16) lgkmcnt(0)
	v_mul_f64 v[76:77], v[28:29], v[44:45]
	v_mul_f64 v[44:45], v[30:31], v[44:45]
	s_waitcnt vmcnt(13)
	v_fma_f64 v[4:5], v[4:5], v[50:51], -v[32:33]
	v_fmac_f64_e32 v[64:65], v[6:7], v[50:51]
	s_waitcnt vmcnt(11)
	v_fma_f64 v[6:7], v[8:9], v[52:53], -v[34:35]
	v_add_f64 v[4:5], v[4:5], 0
	v_fmac_f64_e32 v[66:67], v[10:11], v[52:53]
	s_waitcnt vmcnt(9)
	v_fma_f64 v[8:9], v[12:13], v[54:55], -v[36:37]
	s_waitcnt vmcnt(7)
	v_fmac_f64_e32 v[70:71], v[18:19], v[56:57]
	v_add_f64 v[18:19], v[64:65], 0
	v_add_f64 v[4:5], v[4:5], v[6:7]
	v_fmac_f64_e32 v[68:69], v[14:15], v[54:55]
	v_fma_f64 v[10:11], v[16:17], v[56:57], -v[42:43]
	v_add_f64 v[18:19], v[18:19], v[66:67]
	v_add_f64 v[4:5], v[4:5], v[8:9]
	v_fma_f64 v[12:13], v[20:21], v[40:41], -v[38:39]
	v_add_f64 v[6:7], v[18:19], v[68:69]
	v_add_f64 v[4:5], v[4:5], v[10:11]
	v_fmac_f64_e32 v[72:73], v[22:23], v[40:41]
	s_waitcnt vmcnt(5)
	v_fma_f64 v[14:15], v[24:25], v[58:59], -v[48:49]
	v_add_f64 v[6:7], v[6:7], v[70:71]
	v_add_f64 v[4:5], v[4:5], v[12:13]
	v_fmac_f64_e32 v[74:75], v[26:27], v[58:59]
	s_waitcnt vmcnt(4)
	v_fma_f64 v[16:17], v[28:29], v[46:47], -v[44:45]
	v_add_f64 v[6:7], v[6:7], v[72:73]
	v_add_f64 v[4:5], v[4:5], v[14:15]
	v_fmac_f64_e32 v[76:77], v[30:31], v[46:47]
	v_add_f64 v[6:7], v[6:7], v[74:75]
	v_add_f64 v[4:5], v[4:5], v[16:17]
	;; [unrolled: 1-line block ×3, first 2 shown]
	s_waitcnt vmcnt(2)
	v_add_f64 v[4:5], v[60:61], -v[4:5]
	s_waitcnt vmcnt(0)
	v_add_f64 v[6:7], v[62:63], -v[6:7]
	buffer_store_dword v5, off, s[0:3], 0 offset:612
	buffer_store_dword v4, off, s[0:3], 0 offset:608
	;; [unrolled: 1-line block ×4, first 2 shown]
	s_and_saveexec_b64 s[4:5], vcc
	s_cbranch_execz .LBB44_211
; %bb.210:
	v_accvgpr_read_b32 v0, a98
	buffer_load_dword v4, v0, s[0:3], 0 offen
	buffer_load_dword v5, v0, s[0:3], 0 offen offset:4
	buffer_load_dword v6, v0, s[0:3], 0 offen offset:8
	;; [unrolled: 1-line block ×3, first 2 shown]
	v_accvgpr_read_b32 v0, a135
	buffer_store_dword v2, off, s[0:3], 0 offset:592
	buffer_store_dword v2, off, s[0:3], 0 offset:596
	;; [unrolled: 1-line block ×4, first 2 shown]
	s_waitcnt vmcnt(4)
	ds_write_b128 v0, v[4:7]
.LBB44_211:
	s_or_b64 exec, exec, s[4:5]
	s_waitcnt lgkmcnt(0)
	; wave barrier
	s_waitcnt lgkmcnt(0)
	buffer_load_dword v36, off, s[0:3], 0 offset:616
	buffer_load_dword v37, off, s[0:3], 0 offset:620
	;; [unrolled: 1-line block ×36, first 2 shown]
	ds_read_b128 v[4:7], v2 offset:1312
	ds_read_b128 v[8:11], v2 offset:1328
	;; [unrolled: 1-line block ×8, first 2 shown]
	v_cmp_lt_u32_e32 vcc, 35, v255
	s_waitcnt vmcnt(34) lgkmcnt(7)
	v_mul_f64 v[2:3], v[4:5], v[36:37]
	v_mul_f64 v[36:37], v[6:7], v[36:37]
	s_waitcnt vmcnt(32) lgkmcnt(6)
	v_mul_f64 v[72:73], v[8:9], v[38:39]
	v_mul_f64 v[38:39], v[10:11], v[38:39]
	s_waitcnt vmcnt(30) lgkmcnt(5)
	v_mul_f64 v[74:75], v[12:13], v[40:41]
	v_mul_f64 v[40:41], v[14:15], v[40:41]
	s_waitcnt vmcnt(28) lgkmcnt(3)
	v_mul_f64 v[78:79], v[20:21], v[42:43]
	v_mul_f64 v[42:43], v[22:23], v[42:43]
	s_waitcnt vmcnt(25)
	v_mul_f64 v[76:77], v[16:17], v[46:47]
	v_mul_f64 v[46:47], v[18:19], v[46:47]
	s_waitcnt vmcnt(23) lgkmcnt(1)
	v_mul_f64 v[82:83], v[28:29], v[48:49]
	v_mul_f64 v[48:49], v[30:31], v[48:49]
	s_waitcnt vmcnt(20)
	v_mul_f64 v[80:81], v[24:25], v[52:53]
	v_mul_f64 v[52:53], v[26:27], v[52:53]
	s_waitcnt vmcnt(18) lgkmcnt(0)
	v_mul_f64 v[84:85], v[32:33], v[54:55]
	s_waitcnt vmcnt(17)
	v_fmac_f64_e32 v[78:79], v[22:23], v[44:45]
	s_waitcnt vmcnt(16)
	v_fmac_f64_e32 v[82:83], v[30:31], v[50:51]
	s_waitcnt vmcnt(14)
	v_fma_f64 v[4:5], v[4:5], v[56:57], -v[36:37]
	v_fmac_f64_e32 v[2:3], v[6:7], v[56:57]
	s_waitcnt vmcnt(12)
	v_fma_f64 v[6:7], v[8:9], v[58:59], -v[38:39]
	v_add_f64 v[4:5], v[4:5], 0
	v_fmac_f64_e32 v[72:73], v[10:11], v[58:59]
	s_waitcnt vmcnt(10)
	v_fma_f64 v[8:9], v[12:13], v[60:61], -v[40:41]
	v_add_f64 v[2:3], v[2:3], 0
	v_add_f64 v[4:5], v[4:5], v[6:7]
	v_fmac_f64_e32 v[74:75], v[14:15], v[60:61]
	s_waitcnt vmcnt(8)
	v_fma_f64 v[10:11], v[16:17], v[62:63], -v[46:47]
	v_add_f64 v[2:3], v[2:3], v[72:73]
	v_add_f64 v[4:5], v[4:5], v[8:9]
	v_fmac_f64_e32 v[76:77], v[18:19], v[62:63]
	v_fma_f64 v[12:13], v[20:21], v[44:45], -v[42:43]
	v_add_f64 v[2:3], v[2:3], v[74:75]
	v_add_f64 v[4:5], v[4:5], v[10:11]
	s_waitcnt vmcnt(6)
	v_fma_f64 v[14:15], v[24:25], v[64:65], -v[52:53]
	v_add_f64 v[2:3], v[2:3], v[76:77]
	v_add_f64 v[4:5], v[4:5], v[12:13]
	v_fmac_f64_e32 v[80:81], v[26:27], v[64:65]
	v_fma_f64 v[16:17], v[28:29], v[50:51], -v[48:49]
	v_add_f64 v[2:3], v[2:3], v[78:79]
	v_add_f64 v[4:5], v[4:5], v[14:15]
	v_mul_f64 v[6:7], v[34:35], v[54:55]
	v_add_f64 v[2:3], v[2:3], v[80:81]
	v_add_f64 v[4:5], v[4:5], v[16:17]
	s_waitcnt vmcnt(4)
	v_fma_f64 v[6:7], v[32:33], v[66:67], -v[6:7]
	v_fmac_f64_e32 v[84:85], v[34:35], v[66:67]
	v_add_f64 v[2:3], v[2:3], v[82:83]
	v_add_f64 v[4:5], v[4:5], v[6:7]
	;; [unrolled: 1-line block ×3, first 2 shown]
	s_waitcnt vmcnt(2)
	v_add_f64 v[4:5], v[68:69], -v[4:5]
	s_waitcnt vmcnt(0)
	v_add_f64 v[2:3], v[70:71], -v[2:3]
	buffer_store_dword v5, off, s[0:3], 0 offset:596
	buffer_store_dword v4, off, s[0:3], 0 offset:592
	;; [unrolled: 1-line block ×4, first 2 shown]
	s_and_saveexec_b64 s[4:5], vcc
	s_cbranch_execz .LBB44_213
; %bb.212:
	v_accvgpr_read_b32 v0, a99
	buffer_load_dword v2, v0, s[0:3], 0 offen
	buffer_load_dword v3, v0, s[0:3], 0 offen offset:4
	buffer_load_dword v4, v0, s[0:3], 0 offen offset:8
	;; [unrolled: 1-line block ×3, first 2 shown]
	v_mov_b32_e32 v0, 0
	v_accvgpr_read_b32 v1, a135
	buffer_store_dword v0, off, s[0:3], 0 offset:576
	buffer_store_dword v0, off, s[0:3], 0 offset:580
	;; [unrolled: 1-line block ×4, first 2 shown]
	s_waitcnt vmcnt(4)
	ds_write_b128 v1, v[2:5]
.LBB44_213:
	s_or_b64 exec, exec, s[4:5]
	s_waitcnt lgkmcnt(0)
	; wave barrier
	s_waitcnt lgkmcnt(0)
	buffer_load_dword v40, off, s[0:3], 0 offset:600
	buffer_load_dword v41, off, s[0:3], 0 offset:604
	buffer_load_dword v42, off, s[0:3], 0 offset:616
	buffer_load_dword v43, off, s[0:3], 0 offset:620
	buffer_load_dword v44, off, s[0:3], 0 offset:632
	buffer_load_dword v45, off, s[0:3], 0 offset:636
	buffer_load_dword v47, off, s[0:3], 0 offset:668
	buffer_load_dword v46, off, s[0:3], 0 offset:664
	buffer_load_dword v49, off, s[0:3], 0 offset:660
	buffer_load_dword v48, off, s[0:3], 0 offset:656
	buffer_load_dword v51, off, s[0:3], 0 offset:652
	buffer_load_dword v50, off, s[0:3], 0 offset:648
	buffer_load_dword v53, off, s[0:3], 0 offset:700
	buffer_load_dword v52, off, s[0:3], 0 offset:696
	buffer_load_dword v55, off, s[0:3], 0 offset:692
	buffer_load_dword v54, off, s[0:3], 0 offset:688
	buffer_load_dword v57, off, s[0:3], 0 offset:684
	buffer_load_dword v56, off, s[0:3], 0 offset:680
	buffer_load_dword v58, off, s[0:3], 0 offset:728
	buffer_load_dword v60, off, s[0:3], 0 offset:720
	buffer_load_dword v63, off, s[0:3], 0 offset:716
	buffer_load_dword v62, off, s[0:3], 0 offset:712
	buffer_load_dword v59, off, s[0:3], 0 offset:732
	buffer_load_dword v64, off, s[0:3], 0 offset:592
	buffer_load_dword v65, off, s[0:3], 0 offset:596
	buffer_load_dword v66, off, s[0:3], 0 offset:608
	buffer_load_dword v67, off, s[0:3], 0 offset:612
	buffer_load_dword v68, off, s[0:3], 0 offset:624
	buffer_load_dword v69, off, s[0:3], 0 offset:628
	buffer_load_dword v71, off, s[0:3], 0 offset:644
	buffer_load_dword v70, off, s[0:3], 0 offset:640
	buffer_load_dword v73, off, s[0:3], 0 offset:676
	buffer_load_dword v72, off, s[0:3], 0 offset:672
	buffer_load_dword v75, off, s[0:3], 0 offset:708
	buffer_load_dword v74, off, s[0:3], 0 offset:704
	buffer_load_dword v61, off, s[0:3], 0 offset:724
	buffer_load_dword v76, off, s[0:3], 0 offset:576
	buffer_load_dword v77, off, s[0:3], 0 offset:580
	buffer_load_dword v78, off, s[0:3], 0 offset:584
	buffer_load_dword v79, off, s[0:3], 0 offset:588
	v_mov_b32_e32 v6, 0
	ds_read_b128 v[2:5], v6 offset:1296
	ds_read_b128 v[8:11], v6 offset:1312
	;; [unrolled: 1-line block ×9, first 2 shown]
	v_cmp_lt_u32_e32 vcc, 34, v255
	s_waitcnt vmcnt(38) lgkmcnt(8)
	v_mul_f64 v[80:81], v[2:3], v[40:41]
	v_mul_f64 v[40:41], v[4:5], v[40:41]
	s_waitcnt vmcnt(36) lgkmcnt(7)
	v_mul_f64 v[82:83], v[8:9], v[42:43]
	v_mul_f64 v[42:43], v[10:11], v[42:43]
	;; [unrolled: 3-line block ×3, first 2 shown]
	s_waitcnt vmcnt(32) lgkmcnt(4)
	v_mul_f64 v[88:89], v[20:21], v[46:47]
	s_waitcnt vmcnt(30)
	v_fmac_f64_e32 v[88:89], v[22:23], v[48:49]
	s_waitcnt vmcnt(28)
	v_mul_f64 v[86:87], v[16:17], v[50:51]
	v_mul_f64 v[50:51], v[18:19], v[50:51]
	s_waitcnt vmcnt(26) lgkmcnt(2)
	v_mul_f64 v[92:93], v[28:29], v[52:53]
	s_waitcnt vmcnt(24)
	v_fmac_f64_e32 v[92:93], v[30:31], v[54:55]
	s_waitcnt vmcnt(22)
	v_mul_f64 v[90:91], v[24:25], v[56:57]
	s_waitcnt vmcnt(18) lgkmcnt(1)
	v_mul_f64 v[94:95], v[32:33], v[62:63]
	s_waitcnt vmcnt(17) lgkmcnt(0)
	v_mul_f64 v[96:97], v[36:37], v[58:59]
	s_waitcnt vmcnt(15)
	v_fma_f64 v[2:3], v[2:3], v[64:65], -v[40:41]
	v_fmac_f64_e32 v[80:81], v[4:5], v[64:65]
	s_waitcnt vmcnt(13)
	v_fma_f64 v[4:5], v[8:9], v[66:67], -v[42:43]
	v_add_f64 v[2:3], v[2:3], 0
	s_waitcnt vmcnt(11)
	v_fma_f64 v[8:9], v[12:13], v[68:69], -v[44:45]
	v_add_f64 v[2:3], v[2:3], v[4:5]
	v_fmac_f64_e32 v[82:83], v[10:11], v[66:67]
	s_waitcnt vmcnt(9)
	v_fma_f64 v[10:11], v[16:17], v[70:71], -v[50:51]
	v_add_f64 v[2:3], v[2:3], v[8:9]
	v_mul_f64 v[8:9], v[22:23], v[46:47]
	v_add_f64 v[2:3], v[2:3], v[10:11]
	v_fma_f64 v[8:9], v[20:21], v[48:49], -v[8:9]
	v_add_f64 v[2:3], v[2:3], v[8:9]
	v_mul_f64 v[8:9], v[26:27], v[56:57]
	v_add_f64 v[12:13], v[80:81], 0
	s_waitcnt vmcnt(7)
	v_fma_f64 v[8:9], v[24:25], v[72:73], -v[8:9]
	v_fmac_f64_e32 v[84:85], v[14:15], v[68:69]
	v_add_f64 v[12:13], v[12:13], v[82:83]
	v_add_f64 v[2:3], v[2:3], v[8:9]
	v_mul_f64 v[8:9], v[30:31], v[52:53]
	v_fmac_f64_e32 v[86:87], v[18:19], v[70:71]
	v_add_f64 v[4:5], v[12:13], v[84:85]
	v_fma_f64 v[8:9], v[28:29], v[54:55], -v[8:9]
	v_add_f64 v[4:5], v[4:5], v[86:87]
	v_add_f64 v[2:3], v[2:3], v[8:9]
	v_mul_f64 v[8:9], v[34:35], v[62:63]
	v_fmac_f64_e32 v[90:91], v[26:27], v[72:73]
	v_add_f64 v[4:5], v[4:5], v[88:89]
	s_waitcnt vmcnt(5)
	v_fma_f64 v[8:9], v[32:33], v[74:75], -v[8:9]
	v_add_f64 v[4:5], v[4:5], v[90:91]
	v_add_f64 v[2:3], v[2:3], v[8:9]
	v_mul_f64 v[8:9], v[38:39], v[58:59]
	v_fmac_f64_e32 v[94:95], v[34:35], v[74:75]
	v_add_f64 v[4:5], v[4:5], v[92:93]
	s_waitcnt vmcnt(4)
	v_fma_f64 v[8:9], v[36:37], v[60:61], -v[8:9]
	v_fmac_f64_e32 v[96:97], v[38:39], v[60:61]
	v_add_f64 v[4:5], v[4:5], v[94:95]
	v_add_f64 v[2:3], v[2:3], v[8:9]
	;; [unrolled: 1-line block ×3, first 2 shown]
	s_waitcnt vmcnt(2)
	v_add_f64 v[2:3], v[76:77], -v[2:3]
	s_waitcnt vmcnt(0)
	v_add_f64 v[4:5], v[78:79], -v[4:5]
	buffer_store_dword v3, off, s[0:3], 0 offset:580
	buffer_store_dword v2, off, s[0:3], 0 offset:576
	;; [unrolled: 1-line block ×4, first 2 shown]
	s_and_saveexec_b64 s[4:5], vcc
	s_cbranch_execz .LBB44_215
; %bb.214:
	v_accvgpr_read_b32 v0, a100
	buffer_load_dword v2, v0, s[0:3], 0 offen
	buffer_load_dword v3, v0, s[0:3], 0 offen offset:4
	buffer_load_dword v4, v0, s[0:3], 0 offen offset:8
	;; [unrolled: 1-line block ×3, first 2 shown]
	v_accvgpr_read_b32 v0, a135
	buffer_store_dword v6, off, s[0:3], 0 offset:560
	buffer_store_dword v6, off, s[0:3], 0 offset:564
	;; [unrolled: 1-line block ×4, first 2 shown]
	s_waitcnt vmcnt(4)
	ds_write_b128 v0, v[2:5]
.LBB44_215:
	s_or_b64 exec, exec, s[4:5]
	s_waitcnt lgkmcnt(0)
	; wave barrier
	s_waitcnt lgkmcnt(0)
	buffer_load_dword v4, off, s[0:3], 0 offset:576
	buffer_load_dword v5, off, s[0:3], 0 offset:580
	;; [unrolled: 1-line block ×44, first 2 shown]
	ds_read_b128 v[8:11], v6 offset:1280
	ds_read_b128 v[12:15], v6 offset:1296
	;; [unrolled: 1-line block ×10, first 2 shown]
	v_cmp_lt_u32_e32 vcc, 33, v255
	s_waitcnt vmcnt(40) lgkmcnt(9)
	v_mul_f64 v[6:7], v[8:9], v[48:49]
	v_mul_f64 v[48:49], v[10:11], v[48:49]
	s_waitcnt vmcnt(38) lgkmcnt(8)
	v_mul_f64 v[88:89], v[12:13], v[50:51]
	v_mul_f64 v[50:51], v[14:15], v[50:51]
	v_fmac_f64_e32 v[6:7], v[10:11], v[4:5]
	v_fma_f64 v[4:5], v[8:9], v[4:5], -v[48:49]
	s_waitcnt vmcnt(36) lgkmcnt(7)
	v_mul_f64 v[90:91], v[16:17], v[2:3]
	v_add_f64 v[4:5], v[4:5], 0
	v_mul_f64 v[2:3], v[18:19], v[2:3]
	v_add_f64 v[6:7], v[6:7], 0
	s_waitcnt vmcnt(30) lgkmcnt(6)
	v_mul_f64 v[92:93], v[20:21], v[56:57]
	s_waitcnt lgkmcnt(5)
	v_mul_f64 v[94:95], v[24:25], v[52:53]
	v_fmac_f64_e32 v[94:95], v[26:27], v[54:55]
	s_waitcnt vmcnt(28) lgkmcnt(3)
	v_mul_f64 v[98:99], v[32:33], v[58:59]
	s_waitcnt vmcnt(26)
	v_fmac_f64_e32 v[98:99], v[34:35], v[60:61]
	s_waitcnt vmcnt(24)
	v_mul_f64 v[96:97], v[28:29], v[62:63]
	s_waitcnt vmcnt(22) lgkmcnt(1)
	v_mul_f64 v[102:103], v[40:41], v[64:65]
	s_waitcnt vmcnt(20)
	v_fmac_f64_e32 v[102:103], v[42:43], v[66:67]
	s_waitcnt vmcnt(18)
	v_mul_f64 v[100:101], v[36:37], v[68:69]
	s_waitcnt vmcnt(16) lgkmcnt(0)
	v_mul_f64 v[104:105], v[44:45], v[70:71]
	s_waitcnt vmcnt(14)
	v_fma_f64 v[8:9], v[12:13], v[72:73], -v[50:51]
	v_add_f64 v[4:5], v[4:5], v[8:9]
	s_waitcnt vmcnt(12)
	v_fma_f64 v[2:3], v[16:17], v[74:75], -v[2:3]
	v_add_f64 v[2:3], v[4:5], v[2:3]
	v_mul_f64 v[4:5], v[22:23], v[56:57]
	s_waitcnt vmcnt(10)
	v_fma_f64 v[4:5], v[20:21], v[76:77], -v[4:5]
	v_add_f64 v[2:3], v[2:3], v[4:5]
	v_mul_f64 v[4:5], v[26:27], v[52:53]
	v_fma_f64 v[4:5], v[24:25], v[54:55], -v[4:5]
	v_add_f64 v[2:3], v[2:3], v[4:5]
	v_mul_f64 v[4:5], v[30:31], v[62:63]
	s_waitcnt vmcnt(8)
	v_fma_f64 v[4:5], v[28:29], v[78:79], -v[4:5]
	v_fmac_f64_e32 v[88:89], v[14:15], v[72:73]
	v_add_f64 v[2:3], v[2:3], v[4:5]
	v_mul_f64 v[4:5], v[34:35], v[58:59]
	v_fmac_f64_e32 v[90:91], v[18:19], v[74:75]
	v_add_f64 v[6:7], v[6:7], v[88:89]
	v_fma_f64 v[4:5], v[32:33], v[60:61], -v[4:5]
	v_fmac_f64_e32 v[92:93], v[22:23], v[76:77]
	v_add_f64 v[6:7], v[6:7], v[90:91]
	v_add_f64 v[2:3], v[2:3], v[4:5]
	v_mul_f64 v[4:5], v[38:39], v[68:69]
	v_add_f64 v[6:7], v[6:7], v[92:93]
	s_waitcnt vmcnt(6)
	v_fma_f64 v[4:5], v[36:37], v[80:81], -v[4:5]
	v_fmac_f64_e32 v[96:97], v[30:31], v[78:79]
	v_add_f64 v[6:7], v[6:7], v[94:95]
	v_add_f64 v[2:3], v[2:3], v[4:5]
	v_mul_f64 v[4:5], v[42:43], v[64:65]
	v_add_f64 v[6:7], v[6:7], v[96:97]
	v_fma_f64 v[4:5], v[40:41], v[66:67], -v[4:5]
	v_fmac_f64_e32 v[100:101], v[38:39], v[80:81]
	v_add_f64 v[6:7], v[6:7], v[98:99]
	v_add_f64 v[2:3], v[2:3], v[4:5]
	v_mul_f64 v[4:5], v[46:47], v[70:71]
	v_add_f64 v[6:7], v[6:7], v[100:101]
	s_waitcnt vmcnt(4)
	v_fma_f64 v[4:5], v[44:45], v[82:83], -v[4:5]
	v_fmac_f64_e32 v[104:105], v[46:47], v[82:83]
	v_add_f64 v[6:7], v[6:7], v[102:103]
	v_add_f64 v[2:3], v[2:3], v[4:5]
	;; [unrolled: 1-line block ×3, first 2 shown]
	s_waitcnt vmcnt(2)
	v_add_f64 v[2:3], v[84:85], -v[2:3]
	s_waitcnt vmcnt(0)
	v_add_f64 v[4:5], v[86:87], -v[6:7]
	buffer_store_dword v3, off, s[0:3], 0 offset:564
	buffer_store_dword v2, off, s[0:3], 0 offset:560
	;; [unrolled: 1-line block ×4, first 2 shown]
	s_and_saveexec_b64 s[4:5], vcc
	s_cbranch_execz .LBB44_217
; %bb.216:
	v_accvgpr_read_b32 v0, a101
	buffer_load_dword v2, v0, s[0:3], 0 offen
	buffer_load_dword v3, v0, s[0:3], 0 offen offset:4
	buffer_load_dword v4, v0, s[0:3], 0 offen offset:8
	;; [unrolled: 1-line block ×3, first 2 shown]
	v_mov_b32_e32 v0, 0
	v_accvgpr_read_b32 v1, a135
	buffer_store_dword v0, off, s[0:3], 0 offset:544
	buffer_store_dword v0, off, s[0:3], 0 offset:548
	;; [unrolled: 1-line block ×4, first 2 shown]
	s_waitcnt vmcnt(4)
	ds_write_b128 v1, v[2:5]
.LBB44_217:
	s_or_b64 exec, exec, s[4:5]
	s_waitcnt lgkmcnt(0)
	; wave barrier
	s_waitcnt lgkmcnt(0)
	buffer_load_dword v2, off, s[0:3], 0 offset:560
	buffer_load_dword v3, off, s[0:3], 0 offset:564
	;; [unrolled: 1-line block ×48, first 2 shown]
	v_mov_b32_e32 v12, 0
	ds_read_b128 v[14:17], v12 offset:1264
	ds_read_b128 v[18:21], v12 offset:1280
	;; [unrolled: 1-line block ×11, first 2 shown]
	v_cmp_lt_u32_e32 vcc, 32, v255
	s_waitcnt vmcnt(44) lgkmcnt(10)
	v_mul_f64 v[96:97], v[14:15], v[6:7]
	v_mul_f64 v[6:7], v[16:17], v[6:7]
	v_fmac_f64_e32 v[96:97], v[16:17], v[2:3]
	v_fma_f64 v[2:3], v[14:15], v[2:3], -v[6:7]
	s_waitcnt vmcnt(40) lgkmcnt(9)
	v_mul_f64 v[98:99], v[18:19], v[8:9]
	v_mul_f64 v[6:7], v[20:21], v[8:9]
	v_fmac_f64_e32 v[98:99], v[20:21], v[4:5]
	v_add_f64 v[2:3], v[2:3], 0
	v_fma_f64 v[4:5], v[18:19], v[4:5], -v[6:7]
	v_add_f64 v[2:3], v[2:3], v[4:5]
	s_waitcnt vmcnt(38) lgkmcnt(8)
	v_mul_f64 v[4:5], v[24:25], v[10:11]
	v_mul_f64 v[100:101], v[22:23], v[10:11]
	v_add_f64 v[96:97], v[96:97], 0
	s_waitcnt vmcnt(32) lgkmcnt(7)
	v_mul_f64 v[102:103], v[26:27], v[62:63]
	v_add_f64 v[96:97], v[96:97], v[98:99]
	s_waitcnt lgkmcnt(6)
	v_mul_f64 v[104:105], v[30:31], v[58:59]
	v_fmac_f64_e32 v[104:105], v[32:33], v[60:61]
	s_waitcnt vmcnt(30) lgkmcnt(4)
	v_mul_f64 v[108:109], v[38:39], v[64:65]
	s_waitcnt vmcnt(26)
	v_mul_f64 v[106:107], v[34:35], v[68:69]
	v_fmac_f64_e32 v[108:109], v[40:41], v[66:67]
	s_waitcnt vmcnt(24) lgkmcnt(2)
	v_mul_f64 v[112:113], v[46:47], v[70:71]
	s_waitcnt vmcnt(22)
	v_fmac_f64_e32 v[112:113], v[48:49], v[72:73]
	s_waitcnt vmcnt(20)
	v_mul_f64 v[110:111], v[42:43], v[74:75]
	s_waitcnt vmcnt(16) lgkmcnt(1)
	v_mul_f64 v[114:115], v[50:51], v[80:81]
	s_waitcnt vmcnt(14)
	v_fma_f64 v[4:5], v[22:23], v[82:83], -v[4:5]
	v_add_f64 v[2:3], v[2:3], v[4:5]
	v_mul_f64 v[4:5], v[28:29], v[62:63]
	s_waitcnt vmcnt(12)
	v_fma_f64 v[4:5], v[26:27], v[84:85], -v[4:5]
	v_add_f64 v[2:3], v[2:3], v[4:5]
	v_mul_f64 v[4:5], v[32:33], v[58:59]
	v_fma_f64 v[4:5], v[30:31], v[60:61], -v[4:5]
	v_add_f64 v[2:3], v[2:3], v[4:5]
	v_mul_f64 v[4:5], v[36:37], v[68:69]
	s_waitcnt vmcnt(10)
	v_fma_f64 v[4:5], v[34:35], v[86:87], -v[4:5]
	v_add_f64 v[2:3], v[2:3], v[4:5]
	v_mul_f64 v[4:5], v[40:41], v[64:65]
	v_fma_f64 v[4:5], v[38:39], v[66:67], -v[4:5]
	v_fmac_f64_e32 v[100:101], v[24:25], v[82:83]
	v_add_f64 v[2:3], v[2:3], v[4:5]
	v_mul_f64 v[4:5], v[44:45], v[74:75]
	v_fmac_f64_e32 v[102:103], v[28:29], v[84:85]
	v_add_f64 v[96:97], v[96:97], v[100:101]
	s_waitcnt vmcnt(8)
	v_fma_f64 v[4:5], v[42:43], v[88:89], -v[4:5]
	v_add_f64 v[96:97], v[96:97], v[102:103]
	v_add_f64 v[2:3], v[2:3], v[4:5]
	v_mul_f64 v[4:5], v[48:49], v[70:71]
	v_fmac_f64_e32 v[106:107], v[36:37], v[86:87]
	v_add_f64 v[96:97], v[96:97], v[104:105]
	v_fma_f64 v[4:5], v[46:47], v[72:73], -v[4:5]
	v_add_f64 v[96:97], v[96:97], v[106:107]
	v_add_f64 v[2:3], v[2:3], v[4:5]
	v_mul_f64 v[4:5], v[52:53], v[80:81]
	v_fmac_f64_e32 v[110:111], v[44:45], v[88:89]
	v_add_f64 v[96:97], v[96:97], v[108:109]
	s_waitcnt vmcnt(6)
	v_fma_f64 v[4:5], v[50:51], v[90:91], -v[4:5]
	v_add_f64 v[96:97], v[96:97], v[110:111]
	v_add_f64 v[2:3], v[2:3], v[4:5]
	s_waitcnt vmcnt(5) lgkmcnt(0)
	v_mul_f64 v[4:5], v[56:57], v[76:77]
	v_fmac_f64_e32 v[114:115], v[52:53], v[90:91]
	v_add_f64 v[96:97], v[96:97], v[112:113]
	v_mul_f64 v[98:99], v[54:55], v[76:77]
	s_waitcnt vmcnt(4)
	v_fma_f64 v[4:5], v[54:55], v[78:79], -v[4:5]
	v_add_f64 v[96:97], v[96:97], v[114:115]
	v_fmac_f64_e32 v[98:99], v[56:57], v[78:79]
	v_add_f64 v[2:3], v[2:3], v[4:5]
	v_add_f64 v[96:97], v[96:97], v[98:99]
	s_waitcnt vmcnt(2)
	v_add_f64 v[2:3], v[92:93], -v[2:3]
	s_waitcnt vmcnt(0)
	v_add_f64 v[4:5], v[94:95], -v[96:97]
	buffer_store_dword v3, off, s[0:3], 0 offset:548
	buffer_store_dword v2, off, s[0:3], 0 offset:544
	;; [unrolled: 1-line block ×4, first 2 shown]
	s_and_saveexec_b64 s[4:5], vcc
	s_cbranch_execz .LBB44_219
; %bb.218:
	v_accvgpr_read_b32 v0, a102
	buffer_load_dword v2, v0, s[0:3], 0 offen
	buffer_load_dword v3, v0, s[0:3], 0 offen offset:4
	buffer_load_dword v4, v0, s[0:3], 0 offen offset:8
	;; [unrolled: 1-line block ×3, first 2 shown]
	v_accvgpr_read_b32 v0, a135
	buffer_store_dword v12, off, s[0:3], 0 offset:528
	buffer_store_dword v12, off, s[0:3], 0 offset:532
	;; [unrolled: 1-line block ×4, first 2 shown]
	s_waitcnt vmcnt(4)
	ds_write_b128 v0, v[2:5]
.LBB44_219:
	s_or_b64 exec, exec, s[4:5]
	s_waitcnt lgkmcnt(0)
	; wave barrier
	s_waitcnt lgkmcnt(0)
	buffer_load_dword v2, off, s[0:3], 0 offset:544
	buffer_load_dword v3, off, s[0:3], 0 offset:548
	buffer_load_dword v6, off, s[0:3], 0 offset:552
	buffer_load_dword v7, off, s[0:3], 0 offset:556
	buffer_load_dword v4, off, s[0:3], 0 offset:560
	buffer_load_dword v5, off, s[0:3], 0 offset:564
	buffer_load_dword v8, off, s[0:3], 0 offset:568
	buffer_load_dword v9, off, s[0:3], 0 offset:572
	buffer_load_dword v10, off, s[0:3], 0 offset:584
	buffer_load_dword v11, off, s[0:3], 0 offset:588
	buffer_load_dword v63, off, s[0:3], 0 offset:620
	buffer_load_dword v62, off, s[0:3], 0 offset:616
	buffer_load_dword v65, off, s[0:3], 0 offset:612
	buffer_load_dword v64, off, s[0:3], 0 offset:608
	buffer_load_dword v67, off, s[0:3], 0 offset:604
	buffer_load_dword v66, off, s[0:3], 0 offset:600
	buffer_load_dword v69, off, s[0:3], 0 offset:652
	buffer_load_dword v68, off, s[0:3], 0 offset:648
	buffer_load_dword v71, off, s[0:3], 0 offset:644
	buffer_load_dword v70, off, s[0:3], 0 offset:640
	buffer_load_dword v73, off, s[0:3], 0 offset:636
	buffer_load_dword v72, off, s[0:3], 0 offset:632
	buffer_load_dword v74, off, s[0:3], 0 offset:680
	buffer_load_dword v76, off, s[0:3], 0 offset:672
	buffer_load_dword v79, off, s[0:3], 0 offset:668
	buffer_load_dword v78, off, s[0:3], 0 offset:664
	buffer_load_dword v75, off, s[0:3], 0 offset:684
	buffer_load_dword v80, off, s[0:3], 0 offset:576
	buffer_load_dword v81, off, s[0:3], 0 offset:580
	buffer_load_dword v83, off, s[0:3], 0 offset:596
	buffer_load_dword v82, off, s[0:3], 0 offset:592
	buffer_load_dword v85, off, s[0:3], 0 offset:628
	buffer_load_dword v84, off, s[0:3], 0 offset:624
	buffer_load_dword v87, off, s[0:3], 0 offset:660
	buffer_load_dword v86, off, s[0:3], 0 offset:656
	buffer_load_dword v77, off, s[0:3], 0 offset:676
	buffer_load_dword v88, off, s[0:3], 0 offset:712
	buffer_load_dword v90, off, s[0:3], 0 offset:704
	buffer_load_dword v93, off, s[0:3], 0 offset:700
	buffer_load_dword v92, off, s[0:3], 0 offset:696
	buffer_load_dword v95, off, s[0:3], 0 offset:692
	buffer_load_dword v94, off, s[0:3], 0 offset:688
	buffer_load_dword v91, off, s[0:3], 0 offset:708
	buffer_load_dword v89, off, s[0:3], 0 offset:716
	buffer_load_dword v97, off, s[0:3], 0 offset:732
	buffer_load_dword v96, off, s[0:3], 0 offset:728
	buffer_load_dword v99, off, s[0:3], 0 offset:724
	buffer_load_dword v98, off, s[0:3], 0 offset:720
	buffer_load_dword v100, off, s[0:3], 0 offset:528
	buffer_load_dword v101, off, s[0:3], 0 offset:532
	buffer_load_dword v102, off, s[0:3], 0 offset:536
	buffer_load_dword v103, off, s[0:3], 0 offset:540
	ds_read_b128 v[14:17], v12 offset:1248
	ds_read_b128 v[18:21], v12 offset:1264
	;; [unrolled: 1-line block ×10, first 2 shown]
	v_cmp_lt_u32_e32 vcc, 31, v255
	s_waitcnt vmcnt(48) lgkmcnt(9)
	v_mul_f64 v[54:55], v[14:15], v[6:7]
	v_mul_f64 v[6:7], v[16:17], v[6:7]
	v_fmac_f64_e32 v[54:55], v[16:17], v[2:3]
	v_fma_f64 v[2:3], v[14:15], v[2:3], -v[6:7]
	s_waitcnt vmcnt(44) lgkmcnt(8)
	v_mul_f64 v[56:57], v[18:19], v[8:9]
	v_mul_f64 v[6:7], v[20:21], v[8:9]
	v_fmac_f64_e32 v[56:57], v[20:21], v[4:5]
	v_add_f64 v[2:3], v[2:3], 0
	v_fma_f64 v[4:5], v[18:19], v[4:5], -v[6:7]
	v_add_f64 v[2:3], v[2:3], v[4:5]
	s_waitcnt vmcnt(42) lgkmcnt(7)
	v_mul_f64 v[4:5], v[24:25], v[10:11]
	v_mul_f64 v[58:59], v[22:23], v[10:11]
	v_add_f64 v[54:55], v[54:55], 0
	s_waitcnt vmcnt(36) lgkmcnt(6)
	v_mul_f64 v[60:61], v[26:27], v[66:67]
	v_add_f64 v[54:55], v[54:55], v[56:57]
	s_waitcnt lgkmcnt(5)
	v_mul_f64 v[104:105], v[30:31], v[62:63]
	v_fmac_f64_e32 v[104:105], v[32:33], v[64:65]
	s_waitcnt vmcnt(34) lgkmcnt(3)
	v_mul_f64 v[108:109], v[38:39], v[68:69]
	s_waitcnt vmcnt(30)
	v_mul_f64 v[106:107], v[34:35], v[72:73]
	v_fmac_f64_e32 v[108:109], v[40:41], v[70:71]
	s_waitcnt vmcnt(26) lgkmcnt(2)
	v_mul_f64 v[110:111], v[42:43], v[78:79]
	s_waitcnt vmcnt(25) lgkmcnt(1)
	v_mul_f64 v[112:113], v[46:47], v[74:75]
	s_waitcnt vmcnt(23)
	v_fma_f64 v[4:5], v[22:23], v[80:81], -v[4:5]
	v_add_f64 v[2:3], v[2:3], v[4:5]
	v_mul_f64 v[4:5], v[28:29], v[66:67]
	s_waitcnt vmcnt(21)
	v_fma_f64 v[4:5], v[26:27], v[82:83], -v[4:5]
	v_fmac_f64_e32 v[58:59], v[24:25], v[80:81]
	v_add_f64 v[2:3], v[2:3], v[4:5]
	v_mul_f64 v[4:5], v[32:33], v[62:63]
	v_fmac_f64_e32 v[60:61], v[28:29], v[82:83]
	v_add_f64 v[54:55], v[54:55], v[58:59]
	v_fma_f64 v[4:5], v[30:31], v[64:65], -v[4:5]
	v_add_f64 v[54:55], v[54:55], v[60:61]
	v_add_f64 v[2:3], v[2:3], v[4:5]
	v_mul_f64 v[4:5], v[36:37], v[72:73]
	s_waitcnt vmcnt(19)
	v_fmac_f64_e32 v[106:107], v[36:37], v[84:85]
	v_add_f64 v[54:55], v[54:55], v[104:105]
	v_fma_f64 v[4:5], v[34:35], v[84:85], -v[4:5]
	v_add_f64 v[54:55], v[54:55], v[106:107]
	v_add_f64 v[2:3], v[2:3], v[4:5]
	v_mul_f64 v[4:5], v[40:41], v[68:69]
	s_waitcnt vmcnt(17)
	v_fmac_f64_e32 v[110:111], v[44:45], v[86:87]
	v_add_f64 v[54:55], v[54:55], v[108:109]
	v_fma_f64 v[4:5], v[38:39], v[70:71], -v[4:5]
	s_waitcnt vmcnt(16)
	v_fmac_f64_e32 v[112:113], v[48:49], v[76:77]
	v_add_f64 v[54:55], v[54:55], v[110:111]
	v_add_f64 v[2:3], v[2:3], v[4:5]
	v_mul_f64 v[4:5], v[44:45], v[78:79]
	v_add_f64 v[104:105], v[54:55], v[112:113]
	ds_read_b128 v[54:57], v12 offset:1408
	ds_read_b128 v[58:61], v12 offset:1424
	v_fma_f64 v[4:5], v[42:43], v[86:87], -v[4:5]
	v_add_f64 v[2:3], v[2:3], v[4:5]
	v_mul_f64 v[4:5], v[48:49], v[74:75]
	v_fma_f64 v[4:5], v[46:47], v[76:77], -v[4:5]
	v_add_f64 v[2:3], v[2:3], v[4:5]
	s_waitcnt vmcnt(12) lgkmcnt(2)
	v_mul_f64 v[4:5], v[52:53], v[92:93]
	v_mul_f64 v[106:107], v[50:51], v[92:93]
	s_waitcnt vmcnt(10)
	v_fma_f64 v[4:5], v[50:51], v[94:95], -v[4:5]
	v_fmac_f64_e32 v[106:107], v[52:53], v[94:95]
	v_add_f64 v[2:3], v[2:3], v[4:5]
	s_waitcnt vmcnt(8) lgkmcnt(1)
	v_mul_f64 v[4:5], v[56:57], v[88:89]
	v_add_f64 v[12:13], v[104:105], v[106:107]
	v_mul_f64 v[104:105], v[54:55], v[88:89]
	v_fma_f64 v[4:5], v[54:55], v[90:91], -v[4:5]
	v_fmac_f64_e32 v[104:105], v[56:57], v[90:91]
	v_add_f64 v[2:3], v[2:3], v[4:5]
	s_waitcnt vmcnt(6) lgkmcnt(0)
	v_mul_f64 v[4:5], v[60:61], v[96:97]
	v_add_f64 v[12:13], v[12:13], v[104:105]
	v_mul_f64 v[104:105], v[58:59], v[96:97]
	s_waitcnt vmcnt(4)
	v_fma_f64 v[4:5], v[58:59], v[98:99], -v[4:5]
	v_fmac_f64_e32 v[104:105], v[60:61], v[98:99]
	v_add_f64 v[2:3], v[2:3], v[4:5]
	v_add_f64 v[12:13], v[12:13], v[104:105]
	s_waitcnt vmcnt(2)
	v_add_f64 v[2:3], v[100:101], -v[2:3]
	s_waitcnt vmcnt(0)
	v_add_f64 v[4:5], v[102:103], -v[12:13]
	buffer_store_dword v3, off, s[0:3], 0 offset:532
	buffer_store_dword v2, off, s[0:3], 0 offset:528
	;; [unrolled: 1-line block ×4, first 2 shown]
	s_and_saveexec_b64 s[4:5], vcc
	s_cbranch_execz .LBB44_221
; %bb.220:
	v_accvgpr_read_b32 v0, a103
	buffer_load_dword v2, v0, s[0:3], 0 offen
	buffer_load_dword v3, v0, s[0:3], 0 offen offset:4
	buffer_load_dword v4, v0, s[0:3], 0 offen offset:8
	;; [unrolled: 1-line block ×3, first 2 shown]
	v_mov_b32_e32 v0, 0
	v_accvgpr_read_b32 v1, a135
	buffer_store_dword v0, off, s[0:3], 0 offset:512
	buffer_store_dword v0, off, s[0:3], 0 offset:516
	;; [unrolled: 1-line block ×4, first 2 shown]
	s_waitcnt vmcnt(4)
	ds_write_b128 v1, v[2:5]
.LBB44_221:
	s_or_b64 exec, exec, s[4:5]
	s_waitcnt lgkmcnt(0)
	; wave barrier
	s_waitcnt lgkmcnt(0)
	buffer_load_dword v2, off, s[0:3], 0 offset:528
	buffer_load_dword v3, off, s[0:3], 0 offset:532
	;; [unrolled: 1-line block ×56, first 2 shown]
	v_mov_b32_e32 v30, 0
	ds_read_b128 v[18:21], v30 offset:1232
	ds_read_b128 v[22:25], v30 offset:1248
	ds_read_b128 v[26:29], v30 offset:1264
	ds_read_b128 v[32:35], v30 offset:1280
	ds_read_b128 v[36:39], v30 offset:1296
	ds_read_b128 v[40:43], v30 offset:1312
	ds_read_b128 v[44:47], v30 offset:1328
	ds_read_b128 v[48:51], v30 offset:1344
	ds_read_b128 v[68:71], v30 offset:1424
	v_cmp_lt_u32_e32 vcc, 30, v255
	s_waitcnt vmcnt(52) lgkmcnt(8)
	v_mul_f64 v[52:53], v[18:19], v[6:7]
	v_fmac_f64_e32 v[52:53], v[20:21], v[2:3]
	v_mul_f64 v[6:7], v[20:21], v[6:7]
	v_add_f64 v[52:53], v[52:53], 0
	s_waitcnt vmcnt(48) lgkmcnt(7)
	v_mul_f64 v[54:55], v[22:23], v[8:9]
	v_fmac_f64_e32 v[54:55], v[24:25], v[4:5]
	s_waitcnt vmcnt(46) lgkmcnt(6)
	v_mul_f64 v[56:57], v[26:27], v[10:11]
	v_fma_f64 v[2:3], v[18:19], v[2:3], -v[6:7]
	v_mul_f64 v[6:7], v[24:25], v[8:9]
	v_add_f64 v[52:53], v[52:53], v[54:55]
	v_add_f64 v[2:3], v[2:3], 0
	v_fma_f64 v[4:5], v[22:23], v[4:5], -v[6:7]
	s_waitcnt vmcnt(40) lgkmcnt(5)
	v_mul_f64 v[58:59], v[32:33], v[16:17]
	s_waitcnt lgkmcnt(4)
	v_mul_f64 v[60:61], v[36:37], v[12:13]
	v_add_f64 v[2:3], v[2:3], v[4:5]
	v_mul_f64 v[4:5], v[28:29], v[10:11]
	s_waitcnt vmcnt(36) lgkmcnt(3)
	v_mul_f64 v[62:63], v[40:41], v[76:77]
	v_fmac_f64_e32 v[60:61], v[38:39], v[14:15]
	s_waitcnt vmcnt(35) lgkmcnt(2)
	v_mul_f64 v[64:65], v[44:45], v[72:73]
	s_waitcnt vmcnt(33)
	v_fmac_f64_e32 v[56:57], v[28:29], v[78:79]
	v_add_f64 v[52:53], v[52:53], v[56:57]
	s_waitcnt vmcnt(31)
	v_fmac_f64_e32 v[58:59], v[34:35], v[80:81]
	v_add_f64 v[52:53], v[52:53], v[58:59]
	v_fma_f64 v[4:5], v[26:27], v[78:79], -v[4:5]
	s_waitcnt vmcnt(29)
	v_fmac_f64_e32 v[62:63], v[42:43], v[82:83]
	v_add_f64 v[52:53], v[52:53], v[60:61]
	v_add_f64 v[2:3], v[2:3], v[4:5]
	v_mul_f64 v[4:5], v[34:35], v[16:17]
	s_waitcnt vmcnt(28)
	v_fmac_f64_e32 v[64:65], v[46:47], v[74:75]
	v_add_f64 v[52:53], v[52:53], v[62:63]
	v_fma_f64 v[4:5], v[32:33], v[80:81], -v[4:5]
	v_add_f64 v[56:57], v[52:53], v[64:65]
	ds_read_b128 v[52:55], v30 offset:1360
	s_waitcnt vmcnt(24) lgkmcnt(2)
	v_mul_f64 v[58:59], v[48:49], v[88:89]
	v_add_f64 v[2:3], v[2:3], v[4:5]
	v_mul_f64 v[4:5], v[38:39], v[12:13]
	s_waitcnt vmcnt(22)
	v_fmac_f64_e32 v[58:59], v[50:51], v[90:91]
	v_fma_f64 v[4:5], v[36:37], v[14:15], -v[4:5]
	v_add_f64 v[60:61], v[56:57], v[58:59]
	ds_read_b128 v[56:59], v30 offset:1376
	v_add_f64 v[2:3], v[2:3], v[4:5]
	v_mul_f64 v[4:5], v[42:43], v[76:77]
	v_fma_f64 v[4:5], v[40:41], v[82:83], -v[4:5]
	v_add_f64 v[2:3], v[2:3], v[4:5]
	v_mul_f64 v[4:5], v[46:47], v[72:73]
	s_waitcnt vmcnt(20) lgkmcnt(1)
	v_mul_f64 v[62:63], v[52:53], v[84:85]
	v_fma_f64 v[4:5], v[44:45], v[74:75], -v[4:5]
	v_fmac_f64_e32 v[62:63], v[54:55], v[86:87]
	v_add_f64 v[2:3], v[2:3], v[4:5]
	v_mul_f64 v[4:5], v[50:51], v[88:89]
	v_add_f64 v[64:65], v[60:61], v[62:63]
	ds_read_b128 v[60:63], v30 offset:1392
	s_waitcnt vmcnt(16) lgkmcnt(1)
	v_mul_f64 v[66:67], v[56:57], v[96:97]
	v_fma_f64 v[4:5], v[48:49], v[90:91], -v[4:5]
	s_waitcnt vmcnt(14)
	v_fmac_f64_e32 v[66:67], v[58:59], v[98:99]
	v_add_f64 v[2:3], v[2:3], v[4:5]
	v_mul_f64 v[4:5], v[54:55], v[84:85]
	v_add_f64 v[112:113], v[64:65], v[66:67]
	ds_read_b128 v[64:67], v30 offset:1408
	v_fma_f64 v[4:5], v[52:53], v[86:87], -v[4:5]
	v_add_f64 v[2:3], v[2:3], v[4:5]
	v_mul_f64 v[4:5], v[58:59], v[96:97]
	v_fma_f64 v[4:5], v[56:57], v[98:99], -v[4:5]
	v_add_f64 v[2:3], v[2:3], v[4:5]
	s_waitcnt vmcnt(12) lgkmcnt(1)
	v_mul_f64 v[4:5], v[62:63], v[92:93]
	v_mul_f64 v[114:115], v[60:61], v[92:93]
	v_fma_f64 v[4:5], v[60:61], v[94:95], -v[4:5]
	v_fmac_f64_e32 v[114:115], v[62:63], v[94:95]
	v_add_f64 v[2:3], v[2:3], v[4:5]
	s_waitcnt vmcnt(8) lgkmcnt(0)
	v_mul_f64 v[4:5], v[66:67], v[104:105]
	v_add_f64 v[112:113], v[112:113], v[114:115]
	v_mul_f64 v[114:115], v[64:65], v[104:105]
	s_waitcnt vmcnt(6)
	v_fma_f64 v[4:5], v[64:65], v[106:107], -v[4:5]
	v_fmac_f64_e32 v[114:115], v[66:67], v[106:107]
	v_add_f64 v[2:3], v[2:3], v[4:5]
	s_waitcnt vmcnt(5)
	v_mul_f64 v[4:5], v[70:71], v[100:101]
	v_add_f64 v[112:113], v[112:113], v[114:115]
	v_mul_f64 v[114:115], v[68:69], v[100:101]
	s_waitcnt vmcnt(4)
	v_fma_f64 v[4:5], v[68:69], v[102:103], -v[4:5]
	v_fmac_f64_e32 v[114:115], v[70:71], v[102:103]
	v_add_f64 v[2:3], v[2:3], v[4:5]
	v_add_f64 v[112:113], v[112:113], v[114:115]
	s_waitcnt vmcnt(2)
	v_add_f64 v[2:3], v[108:109], -v[2:3]
	s_waitcnt vmcnt(0)
	v_add_f64 v[4:5], v[110:111], -v[112:113]
	buffer_store_dword v3, off, s[0:3], 0 offset:516
	buffer_store_dword v2, off, s[0:3], 0 offset:512
	;; [unrolled: 1-line block ×4, first 2 shown]
	s_and_saveexec_b64 s[4:5], vcc
	s_cbranch_execz .LBB44_223
; %bb.222:
	v_accvgpr_read_b32 v0, a104
	buffer_load_dword v2, v0, s[0:3], 0 offen
	buffer_load_dword v3, v0, s[0:3], 0 offen offset:4
	buffer_load_dword v4, v0, s[0:3], 0 offen offset:8
	;; [unrolled: 1-line block ×3, first 2 shown]
	v_accvgpr_read_b32 v0, a135
	buffer_store_dword v30, off, s[0:3], 0 offset:496
	buffer_store_dword v30, off, s[0:3], 0 offset:500
	;; [unrolled: 1-line block ×4, first 2 shown]
	s_waitcnt vmcnt(4)
	ds_write_b128 v0, v[2:5]
.LBB44_223:
	s_or_b64 exec, exec, s[4:5]
	s_waitcnt lgkmcnt(0)
	; wave barrier
	s_waitcnt lgkmcnt(0)
	buffer_load_dword v2, off, s[0:3], 0 offset:512
	buffer_load_dword v3, off, s[0:3], 0 offset:516
	;; [unrolled: 1-line block ×60, first 2 shown]
	ds_read_b128 v[32:35], v30 offset:1216
	ds_read_b128 v[36:39], v30 offset:1232
	;; [unrolled: 1-line block ×8, first 2 shown]
	v_cmp_lt_u32_e32 vcc, 29, v255
	ds_read_b128 v[84:87], v30 offset:1424
	s_waitcnt vmcnt(56) lgkmcnt(8)
	v_mul_f64 v[64:65], v[32:33], v[6:7]
	v_fmac_f64_e32 v[64:65], v[34:35], v[2:3]
	v_add_f64 v[64:65], v[64:65], 0
	v_mul_f64 v[6:7], v[34:35], v[6:7]
	s_waitcnt vmcnt(52) lgkmcnt(7)
	v_mul_f64 v[66:67], v[36:37], v[8:9]
	v_fmac_f64_e32 v[66:67], v[38:39], v[4:5]
	s_waitcnt vmcnt(50) lgkmcnt(6)
	v_mul_f64 v[68:69], v[40:41], v[10:11]
	v_add_f64 v[64:65], v[64:65], v[66:67]
	s_waitcnt vmcnt(48) lgkmcnt(4)
	v_mul_f64 v[72:73], v[48:49], v[12:13]
	v_fma_f64 v[2:3], v[32:33], v[2:3], -v[6:7]
	s_waitcnt vmcnt(46)
	v_fmac_f64_e32 v[72:73], v[50:51], v[14:15]
	v_mul_f64 v[6:7], v[38:39], v[8:9]
	s_waitcnt vmcnt(44)
	v_mul_f64 v[70:71], v[44:45], v[16:17]
	v_add_f64 v[2:3], v[2:3], 0
	v_fma_f64 v[4:5], v[36:37], v[4:5], -v[6:7]
	v_add_f64 v[2:3], v[2:3], v[4:5]
	s_waitcnt vmcnt(40) lgkmcnt(3)
	v_mul_f64 v[74:75], v[52:53], v[22:23]
	v_mul_f64 v[4:5], v[42:43], v[10:11]
	s_waitcnt vmcnt(38)
	v_fmac_f64_e32 v[68:69], v[42:43], v[28:29]
	v_add_f64 v[64:65], v[64:65], v[68:69]
	s_waitcnt vmcnt(36)
	v_fmac_f64_e32 v[70:71], v[46:47], v[26:27]
	v_add_f64 v[64:65], v[64:65], v[70:71]
	;; [unrolled: 3-line block ×3, first 2 shown]
	s_waitcnt vmcnt(33) lgkmcnt(2)
	v_mul_f64 v[66:67], v[56:57], v[18:19]
	v_add_f64 v[64:65], v[64:65], v[74:75]
	s_waitcnt vmcnt(32)
	v_fmac_f64_e32 v[66:67], v[58:59], v[20:21]
	v_add_f64 v[68:69], v[64:65], v[66:67]
	ds_read_b128 v[64:67], v30 offset:1344
	v_fma_f64 v[4:5], v[40:41], v[28:29], -v[4:5]
	v_add_f64 v[2:3], v[2:3], v[4:5]
	v_mul_f64 v[4:5], v[46:47], v[16:17]
	v_fma_f64 v[4:5], v[44:45], v[26:27], -v[4:5]
	s_waitcnt vmcnt(28) lgkmcnt(2)
	v_mul_f64 v[70:71], v[60:61], v[92:93]
	v_add_f64 v[2:3], v[2:3], v[4:5]
	v_mul_f64 v[4:5], v[50:51], v[12:13]
	s_waitcnt vmcnt(26)
	v_fmac_f64_e32 v[70:71], v[62:63], v[94:95]
	v_fma_f64 v[4:5], v[48:49], v[14:15], -v[4:5]
	v_add_f64 v[72:73], v[68:69], v[70:71]
	ds_read_b128 v[68:71], v30 offset:1360
	s_waitcnt vmcnt(25) lgkmcnt(1)
	v_mul_f64 v[74:75], v[64:65], v[88:89]
	v_add_f64 v[2:3], v[2:3], v[4:5]
	v_mul_f64 v[4:5], v[54:55], v[22:23]
	s_waitcnt vmcnt(24)
	v_fmac_f64_e32 v[74:75], v[66:67], v[90:91]
	v_fma_f64 v[4:5], v[52:53], v[24:25], -v[4:5]
	v_add_f64 v[76:77], v[72:73], v[74:75]
	ds_read_b128 v[72:75], v30 offset:1376
	v_add_f64 v[2:3], v[2:3], v[4:5]
	v_mul_f64 v[4:5], v[58:59], v[18:19]
	v_fma_f64 v[4:5], v[56:57], v[20:21], -v[4:5]
	v_add_f64 v[2:3], v[2:3], v[4:5]
	v_mul_f64 v[4:5], v[62:63], v[92:93]
	s_waitcnt vmcnt(20) lgkmcnt(1)
	v_mul_f64 v[78:79], v[68:69], v[100:101]
	v_fma_f64 v[4:5], v[60:61], v[94:95], -v[4:5]
	s_waitcnt vmcnt(18)
	v_fmac_f64_e32 v[78:79], v[70:71], v[102:103]
	v_add_f64 v[2:3], v[2:3], v[4:5]
	v_mul_f64 v[4:5], v[66:67], v[88:89]
	v_add_f64 v[80:81], v[76:77], v[78:79]
	ds_read_b128 v[76:79], v30 offset:1392
	s_waitcnt vmcnt(17) lgkmcnt(1)
	v_mul_f64 v[82:83], v[72:73], v[96:97]
	v_fma_f64 v[4:5], v[64:65], v[90:91], -v[4:5]
	s_waitcnt vmcnt(16)
	v_fmac_f64_e32 v[82:83], v[74:75], v[98:99]
	v_add_f64 v[2:3], v[2:3], v[4:5]
	v_mul_f64 v[4:5], v[70:71], v[100:101]
	v_add_f64 v[120:121], v[80:81], v[82:83]
	ds_read_b128 v[80:83], v30 offset:1408
	v_fma_f64 v[4:5], v[68:69], v[102:103], -v[4:5]
	v_add_f64 v[2:3], v[2:3], v[4:5]
	v_mul_f64 v[4:5], v[74:75], v[96:97]
	v_fma_f64 v[4:5], v[72:73], v[98:99], -v[4:5]
	v_add_f64 v[2:3], v[2:3], v[4:5]
	s_waitcnt vmcnt(12) lgkmcnt(1)
	v_mul_f64 v[4:5], v[78:79], v[108:109]
	v_mul_f64 v[122:123], v[76:77], v[108:109]
	s_waitcnt vmcnt(10)
	v_fma_f64 v[4:5], v[76:77], v[110:111], -v[4:5]
	v_fmac_f64_e32 v[122:123], v[78:79], v[110:111]
	v_add_f64 v[2:3], v[2:3], v[4:5]
	s_waitcnt vmcnt(9) lgkmcnt(0)
	v_mul_f64 v[4:5], v[82:83], v[104:105]
	v_add_f64 v[30:31], v[120:121], v[122:123]
	v_mul_f64 v[120:121], v[80:81], v[104:105]
	s_waitcnt vmcnt(8)
	v_fma_f64 v[4:5], v[80:81], v[106:107], -v[4:5]
	v_fmac_f64_e32 v[120:121], v[82:83], v[106:107]
	v_add_f64 v[2:3], v[2:3], v[4:5]
	s_waitcnt vmcnt(6)
	v_mul_f64 v[4:5], v[86:87], v[112:113]
	v_add_f64 v[30:31], v[30:31], v[120:121]
	v_mul_f64 v[120:121], v[84:85], v[112:113]
	s_waitcnt vmcnt(4)
	v_fma_f64 v[4:5], v[84:85], v[114:115], -v[4:5]
	v_fmac_f64_e32 v[120:121], v[86:87], v[114:115]
	v_add_f64 v[2:3], v[2:3], v[4:5]
	v_add_f64 v[30:31], v[30:31], v[120:121]
	s_waitcnt vmcnt(2)
	v_add_f64 v[2:3], v[116:117], -v[2:3]
	s_waitcnt vmcnt(0)
	v_add_f64 v[4:5], v[118:119], -v[30:31]
	buffer_store_dword v3, off, s[0:3], 0 offset:500
	buffer_store_dword v2, off, s[0:3], 0 offset:496
	;; [unrolled: 1-line block ×4, first 2 shown]
	s_and_saveexec_b64 s[4:5], vcc
	s_cbranch_execz .LBB44_225
; %bb.224:
	v_accvgpr_read_b32 v0, a105
	buffer_load_dword v2, v0, s[0:3], 0 offen
	buffer_load_dword v3, v0, s[0:3], 0 offen offset:4
	buffer_load_dword v4, v0, s[0:3], 0 offen offset:8
	;; [unrolled: 1-line block ×3, first 2 shown]
	v_mov_b32_e32 v0, 0
	v_accvgpr_read_b32 v1, a135
	buffer_store_dword v0, off, s[0:3], 0 offset:480
	buffer_store_dword v0, off, s[0:3], 0 offset:484
	;; [unrolled: 1-line block ×4, first 2 shown]
	s_waitcnt vmcnt(4)
	ds_write_b128 v1, v[2:5]
.LBB44_225:
	s_or_b64 exec, exec, s[4:5]
	s_waitcnt lgkmcnt(0)
	; wave barrier
	s_waitcnt lgkmcnt(0)
	buffer_load_dword v2, off, s[0:3], 0 offset:496
	buffer_load_dword v3, off, s[0:3], 0 offset:500
	;; [unrolled: 1-line block ×64, first 2 shown]
	v_mov_b32_e32 v46, 0
	ds_read_b128 v[38:41], v46 offset:1200
	ds_read_b128 v[42:45], v46 offset:1216
	;; [unrolled: 1-line block ×7, first 2 shown]
	v_cmp_lt_u32_e32 vcc, 28, v255
	s_waitcnt vmcnt(60) lgkmcnt(6)
	v_mul_f64 v[64:65], v[38:39], v[4:5]
	v_fmac_f64_e32 v[64:65], v[40:41], v[2:3]
	s_waitcnt vmcnt(58) lgkmcnt(5)
	v_mul_f64 v[66:67], v[42:43], v[6:7]
	v_add_f64 v[64:65], v[64:65], 0
	s_waitcnt vmcnt(56) lgkmcnt(4)
	v_mul_f64 v[68:69], v[48:49], v[8:9]
	v_mul_f64 v[4:5], v[40:41], v[4:5]
	s_waitcnt vmcnt(54) lgkmcnt(2)
	v_mul_f64 v[72:73], v[56:57], v[10:11]
	v_fma_f64 v[2:3], v[38:39], v[2:3], -v[4:5]
	v_mul_f64 v[4:5], v[44:45], v[6:7]
	s_waitcnt vmcnt(51)
	v_mul_f64 v[70:71], v[52:53], v[14:15]
	v_add_f64 v[2:3], v[2:3], 0
	s_waitcnt vmcnt(49)
	v_fmac_f64_e32 v[66:67], v[44:45], v[20:21]
	v_add_f64 v[64:65], v[64:65], v[66:67]
	s_waitcnt vmcnt(47)
	v_fmac_f64_e32 v[68:69], v[50:51], v[18:19]
	;; [unrolled: 3-line block ×4, first 2 shown]
	v_add_f64 v[68:69], v[64:65], v[72:73]
	ds_read_b128 v[64:67], v46 offset:1296
	s_waitcnt vmcnt(40) lgkmcnt(2)
	v_mul_f64 v[70:71], v[60:61], v[26:27]
	v_fma_f64 v[4:5], v[42:43], v[20:21], -v[4:5]
	s_waitcnt vmcnt(38)
	v_fmac_f64_e32 v[70:71], v[62:63], v[28:29]
	v_add_f64 v[72:73], v[68:69], v[70:71]
	ds_read_b128 v[68:71], v46 offset:1312
	s_waitcnt vmcnt(37) lgkmcnt(1)
	v_mul_f64 v[74:75], v[64:65], v[22:23]
	s_waitcnt vmcnt(36)
	v_fmac_f64_e32 v[74:75], v[66:67], v[24:25]
	v_add_f64 v[2:3], v[2:3], v[4:5]
	v_mul_f64 v[4:5], v[50:51], v[8:9]
	v_add_f64 v[76:77], v[72:73], v[74:75]
	ds_read_b128 v[72:75], v46 offset:1328
	s_waitcnt vmcnt(32) lgkmcnt(1)
	v_mul_f64 v[78:79], v[68:69], v[34:35]
	v_fma_f64 v[4:5], v[48:49], v[18:19], -v[4:5]
	s_waitcnt vmcnt(30)
	v_fmac_f64_e32 v[78:79], v[70:71], v[36:37]
	v_add_f64 v[2:3], v[2:3], v[4:5]
	v_mul_f64 v[4:5], v[54:55], v[14:15]
	v_add_f64 v[80:81], v[76:77], v[78:79]
	ds_read_b128 v[76:79], v46 offset:1344
	v_fma_f64 v[4:5], v[52:53], v[16:17], -v[4:5]
	v_add_f64 v[2:3], v[2:3], v[4:5]
	v_mul_f64 v[4:5], v[58:59], v[10:11]
	v_fma_f64 v[4:5], v[56:57], v[12:13], -v[4:5]
	s_waitcnt vmcnt(29) lgkmcnt(1)
	v_mul_f64 v[82:83], v[72:73], v[30:31]
	v_add_f64 v[2:3], v[2:3], v[4:5]
	v_mul_f64 v[4:5], v[62:63], v[26:27]
	s_waitcnt vmcnt(28)
	v_fmac_f64_e32 v[82:83], v[74:75], v[32:33]
	v_fma_f64 v[4:5], v[60:61], v[28:29], -v[4:5]
	v_add_f64 v[84:85], v[80:81], v[82:83]
	ds_read_b128 v[80:83], v46 offset:1360
	s_waitcnt vmcnt(24) lgkmcnt(1)
	v_mul_f64 v[86:87], v[76:77], v[104:105]
	v_add_f64 v[2:3], v[2:3], v[4:5]
	v_mul_f64 v[4:5], v[66:67], v[22:23]
	s_waitcnt vmcnt(22)
	v_fmac_f64_e32 v[86:87], v[78:79], v[106:107]
	v_fma_f64 v[4:5], v[64:65], v[24:25], -v[4:5]
	v_add_f64 v[88:89], v[84:85], v[86:87]
	ds_read_b128 v[84:87], v46 offset:1376
	v_add_f64 v[2:3], v[2:3], v[4:5]
	v_mul_f64 v[4:5], v[70:71], v[34:35]
	v_fma_f64 v[4:5], v[68:69], v[36:37], -v[4:5]
	v_add_f64 v[2:3], v[2:3], v[4:5]
	v_mul_f64 v[4:5], v[74:75], v[30:31]
	s_waitcnt vmcnt(21) lgkmcnt(1)
	v_mul_f64 v[90:91], v[80:81], v[100:101]
	v_fma_f64 v[4:5], v[72:73], v[32:33], -v[4:5]
	s_waitcnt vmcnt(20)
	v_fmac_f64_e32 v[90:91], v[82:83], v[102:103]
	v_add_f64 v[2:3], v[2:3], v[4:5]
	v_mul_f64 v[4:5], v[78:79], v[104:105]
	v_add_f64 v[92:93], v[88:89], v[90:91]
	ds_read_b128 v[88:91], v46 offset:1392
	s_waitcnt vmcnt(16) lgkmcnt(1)
	v_mul_f64 v[94:95], v[84:85], v[112:113]
	v_fma_f64 v[4:5], v[76:77], v[106:107], -v[4:5]
	s_waitcnt vmcnt(14)
	v_fmac_f64_e32 v[94:95], v[86:87], v[114:115]
	v_add_f64 v[2:3], v[2:3], v[4:5]
	v_mul_f64 v[4:5], v[82:83], v[100:101]
	v_add_f64 v[128:129], v[92:93], v[94:95]
	ds_read_b128 v[92:95], v46 offset:1408
	v_fma_f64 v[4:5], v[80:81], v[102:103], -v[4:5]
	v_add_f64 v[2:3], v[2:3], v[4:5]
	v_mul_f64 v[4:5], v[86:87], v[112:113]
	v_fma_f64 v[4:5], v[84:85], v[114:115], -v[4:5]
	v_add_f64 v[2:3], v[2:3], v[4:5]
	s_waitcnt vmcnt(13) lgkmcnt(1)
	v_mul_f64 v[4:5], v[90:91], v[108:109]
	v_mul_f64 v[130:131], v[88:89], v[108:109]
	s_waitcnt vmcnt(12)
	v_fma_f64 v[4:5], v[88:89], v[110:111], -v[4:5]
	v_fmac_f64_e32 v[130:131], v[90:91], v[110:111]
	v_add_f64 v[2:3], v[2:3], v[4:5]
	s_waitcnt vmcnt(8) lgkmcnt(0)
	v_mul_f64 v[4:5], v[94:95], v[120:121]
	v_add_f64 v[128:129], v[128:129], v[130:131]
	v_mul_f64 v[130:131], v[92:93], v[120:121]
	s_waitcnt vmcnt(6)
	v_fma_f64 v[4:5], v[92:93], v[122:123], -v[4:5]
	v_fmac_f64_e32 v[130:131], v[94:95], v[122:123]
	v_add_f64 v[2:3], v[2:3], v[4:5]
	s_waitcnt vmcnt(5)
	v_mul_f64 v[4:5], v[98:99], v[116:117]
	v_add_f64 v[128:129], v[128:129], v[130:131]
	v_mul_f64 v[130:131], v[96:97], v[116:117]
	s_waitcnt vmcnt(4)
	v_fma_f64 v[4:5], v[96:97], v[118:119], -v[4:5]
	v_fmac_f64_e32 v[130:131], v[98:99], v[118:119]
	v_add_f64 v[2:3], v[2:3], v[4:5]
	v_add_f64 v[128:129], v[128:129], v[130:131]
	s_waitcnt vmcnt(2)
	v_add_f64 v[2:3], v[124:125], -v[2:3]
	s_waitcnt vmcnt(0)
	v_add_f64 v[4:5], v[126:127], -v[128:129]
	buffer_store_dword v3, off, s[0:3], 0 offset:484
	buffer_store_dword v2, off, s[0:3], 0 offset:480
	;; [unrolled: 1-line block ×4, first 2 shown]
	s_and_saveexec_b64 s[4:5], vcc
	s_cbranch_execz .LBB44_227
; %bb.226:
	v_accvgpr_read_b32 v0, a106
	buffer_load_dword v2, v0, s[0:3], 0 offen
	buffer_load_dword v3, v0, s[0:3], 0 offen offset:4
	buffer_load_dword v4, v0, s[0:3], 0 offen offset:8
	;; [unrolled: 1-line block ×3, first 2 shown]
	v_accvgpr_read_b32 v0, a135
	buffer_store_dword v46, off, s[0:3], 0 offset:464
	buffer_store_dword v46, off, s[0:3], 0 offset:468
	;; [unrolled: 1-line block ×4, first 2 shown]
	s_waitcnt vmcnt(4)
	ds_write_b128 v0, v[2:5]
.LBB44_227:
	s_or_b64 exec, exec, s[4:5]
	s_waitcnt lgkmcnt(0)
	; wave barrier
	s_waitcnt lgkmcnt(0)
	buffer_load_dword v2, off, s[0:3], 0 offset:480
	buffer_load_dword v3, off, s[0:3], 0 offset:484
	buffer_load_dword v4, off, s[0:3], 0 offset:488
	buffer_load_dword v5, off, s[0:3], 0 offset:492
	buffer_load_dword v6, off, s[0:3], 0 offset:520
	buffer_load_dword v7, off, s[0:3], 0 offset:524
	buffer_load_dword v9, off, s[0:3], 0 offset:556
	buffer_load_dword v11, off, s[0:3], 0 offset:548
	buffer_load_dword v13, off, s[0:3], 0 offset:540
	buffer_load_dword v12, off, s[0:3], 0 offset:536
	buffer_load_dword v18, off, s[0:3], 0 offset:504
	buffer_load_dword v19, off, s[0:3], 0 offset:508
	buffer_load_dword v20, off, s[0:3], 0 offset:496
	buffer_load_dword v16, off, s[0:3], 0 offset:512
	buffer_load_dword v17, off, s[0:3], 0 offset:516
	buffer_load_dword v21, off, s[0:3], 0 offset:500
	buffer_load_dword v15, off, s[0:3], 0 offset:532
	buffer_load_dword v14, off, s[0:3], 0 offset:528
	buffer_load_dword v8, off, s[0:3], 0 offset:552
	buffer_load_dword v10, off, s[0:3], 0 offset:544
	buffer_load_dword v23, off, s[0:3], 0 offset:588
	buffer_load_dword v25, off, s[0:3], 0 offset:580
	buffer_load_dword v27, off, s[0:3], 0 offset:572
	buffer_load_dword v26, off, s[0:3], 0 offset:568
	buffer_load_dword v29, off, s[0:3], 0 offset:564
	buffer_load_dword v28, off, s[0:3], 0 offset:560
	buffer_load_dword v22, off, s[0:3], 0 offset:584
	buffer_load_dword v24, off, s[0:3], 0 offset:576
	buffer_load_dword v31, off, s[0:3], 0 offset:620
	buffer_load_dword v33, off, s[0:3], 0 offset:612
	buffer_load_dword v35, off, s[0:3], 0 offset:604
	buffer_load_dword v34, off, s[0:3], 0 offset:600
	buffer_load_dword v37, off, s[0:3], 0 offset:596
	buffer_load_dword v36, off, s[0:3], 0 offset:592
	buffer_load_dword v30, off, s[0:3], 0 offset:616
	buffer_load_dword v32, off, s[0:3], 0 offset:608
	buffer_load_dword v39, off, s[0:3], 0 offset:652
	buffer_load_dword v41, off, s[0:3], 0 offset:644
	buffer_load_dword v43, off, s[0:3], 0 offset:636
	buffer_load_dword v42, off, s[0:3], 0 offset:632
	buffer_load_dword v45, off, s[0:3], 0 offset:628
	buffer_load_dword v44, off, s[0:3], 0 offset:624
	buffer_load_dword v38, off, s[0:3], 0 offset:648
	buffer_load_dword v40, off, s[0:3], 0 offset:640
	buffer_load_dword v113, off, s[0:3], 0 offset:684
	buffer_load_dword v115, off, s[0:3], 0 offset:676
	buffer_load_dword v117, off, s[0:3], 0 offset:668
	buffer_load_dword v116, off, s[0:3], 0 offset:664
	buffer_load_dword v119, off, s[0:3], 0 offset:660
	buffer_load_dword v118, off, s[0:3], 0 offset:656
	buffer_load_dword v112, off, s[0:3], 0 offset:680
	buffer_load_dword v114, off, s[0:3], 0 offset:672
	buffer_load_dword v121, off, s[0:3], 0 offset:716
	buffer_load_dword v123, off, s[0:3], 0 offset:708
	buffer_load_dword v125, off, s[0:3], 0 offset:700
	buffer_load_dword v124, off, s[0:3], 0 offset:696
	buffer_load_dword v127, off, s[0:3], 0 offset:692
	buffer_load_dword v126, off, s[0:3], 0 offset:688
	buffer_load_dword v120, off, s[0:3], 0 offset:712
	buffer_load_dword v122, off, s[0:3], 0 offset:704
	buffer_load_dword v129, off, s[0:3], 0 offset:732
	buffer_load_dword v128, off, s[0:3], 0 offset:728
	buffer_load_dword v131, off, s[0:3], 0 offset:724
	buffer_load_dword v130, off, s[0:3], 0 offset:720
	ds_read_b128 v[48:51], v46 offset:1184
	ds_read_b128 v[52:55], v46 offset:1200
	;; [unrolled: 1-line block ×4, first 2 shown]
	buffer_load_dword v132, off, s[0:3], 0 offset:464
	buffer_load_dword v133, off, s[0:3], 0 offset:468
	;; [unrolled: 1-line block ×4, first 2 shown]
	v_cmp_lt_u32_e32 vcc, 27, v255
	ds_read_b128 v[108:111], v46 offset:1424
	s_waitcnt vmcnt(62) lgkmcnt(4)
	v_mul_f64 v[64:65], v[48:49], v[4:5]
	v_fmac_f64_e32 v[64:65], v[50:51], v[2:3]
	v_add_f64 v[64:65], v[64:65], 0
	s_waitcnt lgkmcnt(2)
	v_mul_f64 v[68:69], v[56:57], v[6:7]
	v_mul_f64 v[4:5], v[50:51], v[4:5]
	v_fma_f64 v[2:3], v[48:49], v[2:3], -v[4:5]
	s_waitcnt vmcnt(58) lgkmcnt(1)
	v_mul_f64 v[70:71], v[60:61], v[12:13]
	v_add_f64 v[2:3], v[2:3], 0
	s_waitcnt vmcnt(56)
	v_mul_f64 v[66:67], v[52:53], v[18:19]
	v_mul_f64 v[4:5], v[54:55], v[18:19]
	s_waitcnt vmcnt(53)
	v_fmac_f64_e32 v[68:69], v[58:59], v[16:17]
	s_waitcnt vmcnt(52)
	v_fmac_f64_e32 v[66:67], v[54:55], v[20:21]
	v_add_f64 v[72:73], v[64:65], v[66:67]
	ds_read_b128 v[64:67], v46 offset:1248
	v_add_f64 v[68:69], v[72:73], v[68:69]
	s_waitcnt vmcnt(50)
	v_fmac_f64_e32 v[70:71], v[62:63], v[14:15]
	v_add_f64 v[72:73], v[68:69], v[70:71]
	ds_read_b128 v[68:71], v46 offset:1264
	s_waitcnt vmcnt(49) lgkmcnt(1)
	v_mul_f64 v[74:75], v[64:65], v[8:9]
	s_waitcnt vmcnt(48)
	v_fmac_f64_e32 v[74:75], v[66:67], v[10:11]
	v_add_f64 v[76:77], v[72:73], v[74:75]
	ds_read_b128 v[72:75], v46 offset:1280
	s_waitcnt vmcnt(44) lgkmcnt(1)
	v_mul_f64 v[78:79], v[68:69], v[26:27]
	;; [unrolled: 6-line block ×3, first 2 shown]
	s_waitcnt vmcnt(40)
	v_fmac_f64_e32 v[82:83], v[74:75], v[24:25]
	v_add_f64 v[84:85], v[80:81], v[82:83]
	ds_read_b128 v[80:83], v46 offset:1312
	v_fma_f64 v[4:5], v[52:53], v[20:21], -v[4:5]
	v_add_f64 v[2:3], v[2:3], v[4:5]
	v_mul_f64 v[4:5], v[58:59], v[6:7]
	s_waitcnt vmcnt(36) lgkmcnt(1)
	v_mul_f64 v[86:87], v[76:77], v[34:35]
	v_fma_f64 v[4:5], v[56:57], v[16:17], -v[4:5]
	s_waitcnt vmcnt(34)
	v_fmac_f64_e32 v[86:87], v[78:79], v[36:37]
	v_add_f64 v[2:3], v[2:3], v[4:5]
	v_mul_f64 v[4:5], v[62:63], v[12:13]
	v_add_f64 v[88:89], v[84:85], v[86:87]
	ds_read_b128 v[84:87], v46 offset:1328
	s_waitcnt vmcnt(33) lgkmcnt(1)
	v_mul_f64 v[90:91], v[80:81], v[30:31]
	v_fma_f64 v[4:5], v[60:61], v[14:15], -v[4:5]
	s_waitcnt vmcnt(32)
	v_fmac_f64_e32 v[90:91], v[82:83], v[32:33]
	v_add_f64 v[2:3], v[2:3], v[4:5]
	v_mul_f64 v[4:5], v[66:67], v[8:9]
	v_add_f64 v[92:93], v[88:89], v[90:91]
	ds_read_b128 v[88:91], v46 offset:1344
	v_fma_f64 v[4:5], v[64:65], v[10:11], -v[4:5]
	v_add_f64 v[2:3], v[2:3], v[4:5]
	v_mul_f64 v[4:5], v[70:71], v[26:27]
	v_fma_f64 v[4:5], v[68:69], v[28:29], -v[4:5]
	s_waitcnt vmcnt(28) lgkmcnt(1)
	v_mul_f64 v[94:95], v[84:85], v[42:43]
	v_add_f64 v[2:3], v[2:3], v[4:5]
	v_mul_f64 v[4:5], v[74:75], v[22:23]
	s_waitcnt vmcnt(26)
	v_fmac_f64_e32 v[94:95], v[86:87], v[44:45]
	v_fma_f64 v[4:5], v[72:73], v[24:25], -v[4:5]
	v_add_f64 v[96:97], v[92:93], v[94:95]
	ds_read_b128 v[92:95], v46 offset:1360
	s_waitcnt vmcnt(25) lgkmcnt(1)
	v_mul_f64 v[98:99], v[88:89], v[38:39]
	v_add_f64 v[2:3], v[2:3], v[4:5]
	v_mul_f64 v[4:5], v[78:79], v[34:35]
	s_waitcnt vmcnt(24)
	v_fmac_f64_e32 v[98:99], v[90:91], v[40:41]
	v_fma_f64 v[4:5], v[76:77], v[36:37], -v[4:5]
	v_add_f64 v[100:101], v[96:97], v[98:99]
	ds_read_b128 v[96:99], v46 offset:1376
	v_add_f64 v[2:3], v[2:3], v[4:5]
	v_mul_f64 v[4:5], v[82:83], v[30:31]
	v_fma_f64 v[4:5], v[80:81], v[32:33], -v[4:5]
	v_add_f64 v[2:3], v[2:3], v[4:5]
	v_mul_f64 v[4:5], v[86:87], v[42:43]
	s_waitcnt vmcnt(20) lgkmcnt(1)
	v_mul_f64 v[102:103], v[92:93], v[116:117]
	v_fma_f64 v[4:5], v[84:85], v[44:45], -v[4:5]
	s_waitcnt vmcnt(18)
	v_fmac_f64_e32 v[102:103], v[94:95], v[118:119]
	v_add_f64 v[2:3], v[2:3], v[4:5]
	v_mul_f64 v[4:5], v[90:91], v[38:39]
	v_add_f64 v[104:105], v[100:101], v[102:103]
	ds_read_b128 v[100:103], v46 offset:1392
	s_waitcnt vmcnt(17) lgkmcnt(1)
	v_mul_f64 v[106:107], v[96:97], v[112:113]
	v_fma_f64 v[4:5], v[88:89], v[40:41], -v[4:5]
	s_waitcnt vmcnt(16)
	v_fmac_f64_e32 v[106:107], v[98:99], v[114:115]
	v_add_f64 v[2:3], v[2:3], v[4:5]
	v_mul_f64 v[4:5], v[94:95], v[116:117]
	v_add_f64 v[136:137], v[104:105], v[106:107]
	ds_read_b128 v[104:107], v46 offset:1408
	v_fma_f64 v[4:5], v[92:93], v[118:119], -v[4:5]
	v_add_f64 v[2:3], v[2:3], v[4:5]
	v_mul_f64 v[4:5], v[98:99], v[112:113]
	v_fma_f64 v[4:5], v[96:97], v[114:115], -v[4:5]
	v_add_f64 v[2:3], v[2:3], v[4:5]
	s_waitcnt vmcnt(12) lgkmcnt(1)
	v_mul_f64 v[4:5], v[102:103], v[124:125]
	v_mul_f64 v[138:139], v[100:101], v[124:125]
	s_waitcnt vmcnt(10)
	v_fma_f64 v[4:5], v[100:101], v[126:127], -v[4:5]
	v_fmac_f64_e32 v[138:139], v[102:103], v[126:127]
	v_add_f64 v[2:3], v[2:3], v[4:5]
	s_waitcnt vmcnt(9) lgkmcnt(0)
	v_mul_f64 v[4:5], v[106:107], v[120:121]
	v_add_f64 v[46:47], v[136:137], v[138:139]
	v_mul_f64 v[136:137], v[104:105], v[120:121]
	s_waitcnt vmcnt(8)
	v_fma_f64 v[4:5], v[104:105], v[122:123], -v[4:5]
	v_fmac_f64_e32 v[136:137], v[106:107], v[122:123]
	v_add_f64 v[2:3], v[2:3], v[4:5]
	s_waitcnt vmcnt(6)
	v_mul_f64 v[4:5], v[110:111], v[128:129]
	v_add_f64 v[46:47], v[46:47], v[136:137]
	v_mul_f64 v[136:137], v[108:109], v[128:129]
	s_waitcnt vmcnt(4)
	v_fma_f64 v[4:5], v[108:109], v[130:131], -v[4:5]
	v_fmac_f64_e32 v[136:137], v[110:111], v[130:131]
	v_add_f64 v[2:3], v[2:3], v[4:5]
	v_add_f64 v[46:47], v[46:47], v[136:137]
	s_waitcnt vmcnt(2)
	v_add_f64 v[2:3], v[132:133], -v[2:3]
	s_waitcnt vmcnt(0)
	v_add_f64 v[4:5], v[134:135], -v[46:47]
	buffer_store_dword v3, off, s[0:3], 0 offset:468
	buffer_store_dword v2, off, s[0:3], 0 offset:464
	buffer_store_dword v5, off, s[0:3], 0 offset:476
	buffer_store_dword v4, off, s[0:3], 0 offset:472
	s_and_saveexec_b64 s[4:5], vcc
	s_cbranch_execz .LBB44_229
; %bb.228:
	v_accvgpr_read_b32 v0, a107
	buffer_load_dword v2, v0, s[0:3], 0 offen
	buffer_load_dword v3, v0, s[0:3], 0 offen offset:4
	buffer_load_dword v4, v0, s[0:3], 0 offen offset:8
	;; [unrolled: 1-line block ×3, first 2 shown]
	v_mov_b32_e32 v0, 0
	v_accvgpr_read_b32 v1, a135
	buffer_store_dword v0, off, s[0:3], 0 offset:448
	buffer_store_dword v0, off, s[0:3], 0 offset:452
	;; [unrolled: 1-line block ×4, first 2 shown]
	s_waitcnt vmcnt(4)
	ds_write_b128 v1, v[2:5]
.LBB44_229:
	s_or_b64 exec, exec, s[4:5]
	s_waitcnt lgkmcnt(0)
	; wave barrier
	s_waitcnt lgkmcnt(0)
	buffer_load_dword v2, off, s[0:3], 0 offset:464
	buffer_load_dword v3, off, s[0:3], 0 offset:468
	;; [unrolled: 1-line block ×68, first 2 shown]
	v_mov_b32_e32 v52, 0
	buffer_load_dword v140, off, s[0:3], 0 offset:448
	buffer_load_dword v141, off, s[0:3], 0 offset:452
	;; [unrolled: 1-line block ×3, first 2 shown]
	ds_read_b128 v[46:49], v52 offset:1168
	ds_read_b128 v[54:57], v52 offset:1184
	buffer_load_dword v143, off, s[0:3], 0 offset:460
	ds_read_b128 v[58:61], v52 offset:1200
	ds_read_b128 v[62:65], v52 offset:1216
	;; [unrolled: 1-line block ×3, first 2 shown]
	v_cmp_lt_u32_e32 vcc, 26, v255
	s_waitcnt vmcnt(62) lgkmcnt(4)
	v_mul_f64 v[66:67], v[46:47], v[6:7]
	v_fmac_f64_e32 v[66:67], v[48:49], v[2:3]
	v_add_f64 v[66:67], v[66:67], 0
	v_mul_f64 v[6:7], v[48:49], v[6:7]
	s_waitcnt lgkmcnt(3)
	v_mul_f64 v[68:69], v[54:55], v[10:11]
	v_fmac_f64_e32 v[68:69], v[56:57], v[4:5]
	v_add_f64 v[66:67], v[66:67], v[68:69]
	v_fma_f64 v[2:3], v[46:47], v[2:3], -v[6:7]
	s_waitcnt vmcnt(60) lgkmcnt(2)
	v_mul_f64 v[68:69], v[58:59], v[12:13]
	v_fmac_f64_e32 v[68:69], v[60:61], v[8:9]
	v_add_f64 v[70:71], v[66:67], v[68:69]
	ds_read_b128 v[66:69], v52 offset:1232
	s_waitcnt vmcnt(56) lgkmcnt(2)
	v_mul_f64 v[72:73], v[62:63], v[18:19]
	v_mul_f64 v[6:7], v[56:57], v[10:11]
	s_waitcnt vmcnt(54)
	v_fmac_f64_e32 v[72:73], v[64:65], v[20:21]
	v_add_f64 v[74:75], v[70:71], v[72:73]
	ds_read_b128 v[70:73], v52 offset:1248
	s_waitcnt vmcnt(53) lgkmcnt(1)
	v_mul_f64 v[76:77], v[66:67], v[14:15]
	s_waitcnt vmcnt(52)
	v_fmac_f64_e32 v[76:77], v[68:69], v[16:17]
	v_add_f64 v[78:79], v[74:75], v[76:77]
	ds_read_b128 v[74:77], v52 offset:1264
	s_waitcnt vmcnt(48) lgkmcnt(1)
	;; [unrolled: 6-line block ×4, first 2 shown]
	v_mul_f64 v[88:89], v[78:79], v[34:35]
	s_waitcnt vmcnt(38)
	v_fmac_f64_e32 v[88:89], v[80:81], v[36:37]
	v_add_f64 v[2:3], v[2:3], 0
	v_fma_f64 v[4:5], v[54:55], v[4:5], -v[6:7]
	v_add_f64 v[90:91], v[86:87], v[88:89]
	ds_read_b128 v[86:89], v52 offset:1312
	v_add_f64 v[2:3], v[2:3], v[4:5]
	v_mul_f64 v[4:5], v[60:61], v[12:13]
	v_fma_f64 v[4:5], v[58:59], v[8:9], -v[4:5]
	v_add_f64 v[2:3], v[2:3], v[4:5]
	v_mul_f64 v[4:5], v[64:65], v[18:19]
	s_waitcnt vmcnt(37) lgkmcnt(1)
	v_mul_f64 v[92:93], v[82:83], v[30:31]
	v_fma_f64 v[4:5], v[62:63], v[20:21], -v[4:5]
	s_waitcnt vmcnt(36)
	v_fmac_f64_e32 v[92:93], v[84:85], v[32:33]
	v_add_f64 v[2:3], v[2:3], v[4:5]
	v_mul_f64 v[4:5], v[68:69], v[14:15]
	v_add_f64 v[94:95], v[90:91], v[92:93]
	ds_read_b128 v[90:93], v52 offset:1328
	s_waitcnt vmcnt(32) lgkmcnt(1)
	v_mul_f64 v[96:97], v[86:87], v[42:43]
	v_fma_f64 v[4:5], v[66:67], v[16:17], -v[4:5]
	s_waitcnt vmcnt(30)
	v_fmac_f64_e32 v[96:97], v[88:89], v[44:45]
	v_add_f64 v[2:3], v[2:3], v[4:5]
	v_mul_f64 v[4:5], v[72:73], v[26:27]
	v_add_f64 v[98:99], v[94:95], v[96:97]
	ds_read_b128 v[94:97], v52 offset:1344
	v_fma_f64 v[4:5], v[70:71], v[28:29], -v[4:5]
	v_add_f64 v[2:3], v[2:3], v[4:5]
	v_mul_f64 v[4:5], v[76:77], v[22:23]
	v_fma_f64 v[4:5], v[74:75], v[24:25], -v[4:5]
	s_waitcnt vmcnt(29) lgkmcnt(1)
	v_mul_f64 v[100:101], v[90:91], v[38:39]
	v_add_f64 v[2:3], v[2:3], v[4:5]
	v_mul_f64 v[4:5], v[80:81], v[34:35]
	s_waitcnt vmcnt(28)
	v_fmac_f64_e32 v[100:101], v[92:93], v[40:41]
	v_fma_f64 v[4:5], v[78:79], v[36:37], -v[4:5]
	v_add_f64 v[102:103], v[98:99], v[100:101]
	ds_read_b128 v[98:101], v52 offset:1360
	s_waitcnt vmcnt(24) lgkmcnt(1)
	v_mul_f64 v[104:105], v[94:95], v[120:121]
	v_add_f64 v[2:3], v[2:3], v[4:5]
	v_mul_f64 v[4:5], v[84:85], v[30:31]
	s_waitcnt vmcnt(22)
	v_fmac_f64_e32 v[104:105], v[96:97], v[122:123]
	v_fma_f64 v[4:5], v[82:83], v[32:33], -v[4:5]
	v_add_f64 v[106:107], v[102:103], v[104:105]
	ds_read_b128 v[102:105], v52 offset:1376
	v_add_f64 v[2:3], v[2:3], v[4:5]
	v_mul_f64 v[4:5], v[88:89], v[42:43]
	v_fma_f64 v[4:5], v[86:87], v[44:45], -v[4:5]
	v_add_f64 v[2:3], v[2:3], v[4:5]
	v_mul_f64 v[4:5], v[92:93], v[38:39]
	s_waitcnt vmcnt(21) lgkmcnt(1)
	v_mul_f64 v[108:109], v[98:99], v[50:51]
	v_fma_f64 v[4:5], v[90:91], v[40:41], -v[4:5]
	s_waitcnt vmcnt(20)
	v_fmac_f64_e32 v[108:109], v[100:101], v[118:119]
	v_add_f64 v[2:3], v[2:3], v[4:5]
	v_mul_f64 v[4:5], v[96:97], v[120:121]
	v_add_f64 v[110:111], v[106:107], v[108:109]
	ds_read_b128 v[106:109], v52 offset:1392
	s_waitcnt vmcnt(16) lgkmcnt(1)
	v_mul_f64 v[112:113], v[102:103], v[128:129]
	v_fma_f64 v[4:5], v[94:95], v[122:123], -v[4:5]
	s_waitcnt vmcnt(14)
	v_fmac_f64_e32 v[112:113], v[104:105], v[130:131]
	v_add_f64 v[2:3], v[2:3], v[4:5]
	v_mul_f64 v[4:5], v[100:101], v[50:51]
	v_add_f64 v[144:145], v[110:111], v[112:113]
	ds_read_b128 v[110:113], v52 offset:1408
	v_fma_f64 v[4:5], v[98:99], v[118:119], -v[4:5]
	v_add_f64 v[2:3], v[2:3], v[4:5]
	v_mul_f64 v[4:5], v[104:105], v[128:129]
	v_fma_f64 v[4:5], v[102:103], v[130:131], -v[4:5]
	v_add_f64 v[2:3], v[2:3], v[4:5]
	s_waitcnt vmcnt(13) lgkmcnt(1)
	v_mul_f64 v[4:5], v[108:109], v[124:125]
	v_mul_f64 v[146:147], v[106:107], v[124:125]
	s_waitcnt vmcnt(12)
	v_fma_f64 v[4:5], v[106:107], v[126:127], -v[4:5]
	v_fmac_f64_e32 v[146:147], v[108:109], v[126:127]
	v_add_f64 v[2:3], v[2:3], v[4:5]
	s_waitcnt vmcnt(8) lgkmcnt(0)
	v_mul_f64 v[4:5], v[112:113], v[136:137]
	v_add_f64 v[144:145], v[144:145], v[146:147]
	v_mul_f64 v[146:147], v[110:111], v[136:137]
	s_waitcnt vmcnt(6)
	v_fma_f64 v[4:5], v[110:111], v[138:139], -v[4:5]
	v_fmac_f64_e32 v[146:147], v[112:113], v[138:139]
	v_add_f64 v[2:3], v[2:3], v[4:5]
	s_waitcnt vmcnt(5)
	v_mul_f64 v[4:5], v[116:117], v[132:133]
	v_add_f64 v[144:145], v[144:145], v[146:147]
	v_mul_f64 v[146:147], v[114:115], v[132:133]
	s_waitcnt vmcnt(4)
	v_fma_f64 v[4:5], v[114:115], v[134:135], -v[4:5]
	v_fmac_f64_e32 v[146:147], v[116:117], v[134:135]
	v_add_f64 v[2:3], v[2:3], v[4:5]
	v_add_f64 v[144:145], v[144:145], v[146:147]
	s_waitcnt vmcnt(2)
	v_add_f64 v[2:3], v[140:141], -v[2:3]
	s_waitcnt vmcnt(0)
	v_add_f64 v[4:5], v[142:143], -v[144:145]
	buffer_store_dword v3, off, s[0:3], 0 offset:452
	buffer_store_dword v2, off, s[0:3], 0 offset:448
	;; [unrolled: 1-line block ×4, first 2 shown]
	s_and_saveexec_b64 s[4:5], vcc
	s_cbranch_execz .LBB44_231
; %bb.230:
	v_accvgpr_read_b32 v0, a108
	buffer_load_dword v2, v0, s[0:3], 0 offen
	buffer_load_dword v3, v0, s[0:3], 0 offen offset:4
	buffer_load_dword v4, v0, s[0:3], 0 offen offset:8
	;; [unrolled: 1-line block ×3, first 2 shown]
	v_accvgpr_read_b32 v0, a135
	buffer_store_dword v52, off, s[0:3], 0 offset:432
	buffer_store_dword v52, off, s[0:3], 0 offset:436
	;; [unrolled: 1-line block ×4, first 2 shown]
	s_waitcnt vmcnt(4)
	ds_write_b128 v0, v[2:5]
.LBB44_231:
	s_or_b64 exec, exec, s[4:5]
	s_waitcnt lgkmcnt(0)
	; wave barrier
	s_waitcnt lgkmcnt(0)
	buffer_load_dword v2, off, s[0:3], 0 offset:448
	buffer_load_dword v3, off, s[0:3], 0 offset:452
	;; [unrolled: 1-line block ×72, first 2 shown]
	ds_read_b128 v[54:57], v52 offset:1152
	buffer_load_dword v148, off, s[0:3], 0 offset:432
	buffer_load_dword v149, off, s[0:3], 0 offset:436
	;; [unrolled: 1-line block ×4, first 2 shown]
	ds_read_b128 v[58:61], v52 offset:1168
	ds_read_b128 v[62:65], v52 offset:1184
	;; [unrolled: 1-line block ×3, first 2 shown]
	v_cmp_lt_u32_e32 vcc, 25, v255
	ds_read_b128 v[124:127], v52 offset:1424
	s_waitcnt vmcnt(62) lgkmcnt(4)
	v_mul_f64 v[70:71], v[54:55], v[8:9]
	v_fmac_f64_e32 v[70:71], v[56:57], v[2:3]
	v_add_f64 v[70:71], v[70:71], 0
	v_mul_f64 v[8:9], v[56:57], v[8:9]
	s_waitcnt lgkmcnt(3)
	v_mul_f64 v[72:73], v[58:59], v[10:11]
	v_fmac_f64_e32 v[72:73], v[60:61], v[4:5]
	v_add_f64 v[70:71], v[70:71], v[72:73]
	v_fma_f64 v[2:3], v[54:55], v[2:3], -v[8:9]
	s_waitcnt lgkmcnt(2)
	v_mul_f64 v[72:73], v[62:63], v[12:13]
	v_fmac_f64_e32 v[72:73], v[64:65], v[6:7]
	v_add_f64 v[74:75], v[70:71], v[72:73]
	ds_read_b128 v[70:73], v52 offset:1216
	s_waitcnt vmcnt(60) lgkmcnt(2)
	v_mul_f64 v[76:77], v[66:67], v[18:19]
	v_mul_f64 v[8:9], v[60:61], v[10:11]
	s_waitcnt vmcnt(58)
	v_fmac_f64_e32 v[76:77], v[68:69], v[20:21]
	v_add_f64 v[78:79], v[74:75], v[76:77]
	ds_read_b128 v[74:77], v52 offset:1232
	s_waitcnt vmcnt(57) lgkmcnt(1)
	v_mul_f64 v[80:81], v[70:71], v[14:15]
	s_waitcnt vmcnt(56)
	v_fmac_f64_e32 v[80:81], v[72:73], v[16:17]
	v_add_f64 v[82:83], v[78:79], v[80:81]
	ds_read_b128 v[78:81], v52 offset:1248
	s_waitcnt vmcnt(52) lgkmcnt(1)
	v_mul_f64 v[84:85], v[74:75], v[26:27]
	s_waitcnt vmcnt(50)
	v_fmac_f64_e32 v[84:85], v[76:77], v[28:29]
	v_add_f64 v[86:87], v[82:83], v[84:85]
	ds_read_b128 v[82:85], v52 offset:1264
	s_waitcnt vmcnt(49) lgkmcnt(1)
	v_mul_f64 v[88:89], v[78:79], v[22:23]
	s_waitcnt vmcnt(48)
	v_fmac_f64_e32 v[88:89], v[80:81], v[24:25]
	v_add_f64 v[90:91], v[86:87], v[88:89]
	ds_read_b128 v[86:89], v52 offset:1280
	s_waitcnt vmcnt(44) lgkmcnt(1)
	v_mul_f64 v[92:93], v[82:83], v[34:35]
	s_waitcnt vmcnt(42)
	v_fmac_f64_e32 v[92:93], v[84:85], v[36:37]
	v_add_f64 v[2:3], v[2:3], 0
	v_fma_f64 v[4:5], v[58:59], v[4:5], -v[8:9]
	v_add_f64 v[94:95], v[90:91], v[92:93]
	ds_read_b128 v[90:93], v52 offset:1296
	s_waitcnt vmcnt(41) lgkmcnt(1)
	v_mul_f64 v[96:97], v[86:87], v[30:31]
	v_add_f64 v[2:3], v[2:3], v[4:5]
	v_mul_f64 v[4:5], v[64:65], v[12:13]
	s_waitcnt vmcnt(40)
	v_fmac_f64_e32 v[96:97], v[88:89], v[32:33]
	v_fma_f64 v[4:5], v[62:63], v[6:7], -v[4:5]
	v_add_f64 v[98:99], v[94:95], v[96:97]
	ds_read_b128 v[94:97], v52 offset:1312
	v_add_f64 v[2:3], v[2:3], v[4:5]
	v_mul_f64 v[4:5], v[68:69], v[18:19]
	v_fma_f64 v[4:5], v[66:67], v[20:21], -v[4:5]
	v_add_f64 v[2:3], v[2:3], v[4:5]
	v_mul_f64 v[4:5], v[72:73], v[14:15]
	s_waitcnt vmcnt(36) lgkmcnt(1)
	v_mul_f64 v[100:101], v[90:91], v[42:43]
	v_fma_f64 v[4:5], v[70:71], v[16:17], -v[4:5]
	s_waitcnt vmcnt(34)
	v_fmac_f64_e32 v[100:101], v[92:93], v[44:45]
	v_add_f64 v[2:3], v[2:3], v[4:5]
	v_mul_f64 v[4:5], v[76:77], v[26:27]
	v_add_f64 v[102:103], v[98:99], v[100:101]
	ds_read_b128 v[98:101], v52 offset:1328
	s_waitcnt vmcnt(33) lgkmcnt(1)
	v_mul_f64 v[104:105], v[94:95], v[38:39]
	v_fma_f64 v[4:5], v[74:75], v[28:29], -v[4:5]
	s_waitcnt vmcnt(32)
	v_fmac_f64_e32 v[104:105], v[96:97], v[40:41]
	v_add_f64 v[2:3], v[2:3], v[4:5]
	v_mul_f64 v[4:5], v[80:81], v[22:23]
	v_add_f64 v[106:107], v[102:103], v[104:105]
	ds_read_b128 v[102:105], v52 offset:1344
	v_fma_f64 v[4:5], v[78:79], v[24:25], -v[4:5]
	v_add_f64 v[2:3], v[2:3], v[4:5]
	v_mul_f64 v[4:5], v[84:85], v[34:35]
	v_fma_f64 v[4:5], v[82:83], v[36:37], -v[4:5]
	s_waitcnt vmcnt(28) lgkmcnt(1)
	v_mul_f64 v[108:109], v[98:99], v[50:51]
	v_add_f64 v[2:3], v[2:3], v[4:5]
	v_mul_f64 v[4:5], v[88:89], v[30:31]
	s_waitcnt vmcnt(26)
	v_fmac_f64_e32 v[108:109], v[100:101], v[118:119]
	v_fma_f64 v[4:5], v[86:87], v[32:33], -v[4:5]
	v_add_f64 v[110:111], v[106:107], v[108:109]
	ds_read_b128 v[106:109], v52 offset:1360
	s_waitcnt vmcnt(25) lgkmcnt(1)
	v_mul_f64 v[112:113], v[102:103], v[46:47]
	v_add_f64 v[2:3], v[2:3], v[4:5]
	v_mul_f64 v[4:5], v[92:93], v[42:43]
	s_waitcnt vmcnt(24)
	v_fmac_f64_e32 v[112:113], v[104:105], v[48:49]
	v_fma_f64 v[4:5], v[90:91], v[44:45], -v[4:5]
	v_add_f64 v[114:115], v[110:111], v[112:113]
	ds_read_b128 v[110:113], v52 offset:1376
	v_add_f64 v[2:3], v[2:3], v[4:5]
	v_mul_f64 v[4:5], v[96:97], v[38:39]
	v_fma_f64 v[4:5], v[94:95], v[40:41], -v[4:5]
	v_add_f64 v[2:3], v[2:3], v[4:5]
	v_mul_f64 v[4:5], v[100:101], v[50:51]
	s_waitcnt vmcnt(20) lgkmcnt(1)
	v_mul_f64 v[116:117], v[106:107], v[132:133]
	v_fma_f64 v[4:5], v[98:99], v[118:119], -v[4:5]
	s_waitcnt vmcnt(18)
	v_fmac_f64_e32 v[116:117], v[108:109], v[134:135]
	v_add_f64 v[2:3], v[2:3], v[4:5]
	v_mul_f64 v[4:5], v[104:105], v[46:47]
	v_add_f64 v[120:121], v[114:115], v[116:117]
	ds_read_b128 v[114:117], v52 offset:1392
	s_waitcnt vmcnt(17) lgkmcnt(1)
	v_mul_f64 v[122:123], v[110:111], v[128:129]
	v_fma_f64 v[4:5], v[102:103], v[48:49], -v[4:5]
	s_waitcnt vmcnt(16)
	v_fmac_f64_e32 v[122:123], v[112:113], v[130:131]
	v_add_f64 v[2:3], v[2:3], v[4:5]
	v_mul_f64 v[4:5], v[108:109], v[132:133]
	v_add_f64 v[152:153], v[120:121], v[122:123]
	ds_read_b128 v[120:123], v52 offset:1408
	v_fma_f64 v[4:5], v[106:107], v[134:135], -v[4:5]
	v_add_f64 v[2:3], v[2:3], v[4:5]
	v_mul_f64 v[4:5], v[112:113], v[128:129]
	v_fma_f64 v[4:5], v[110:111], v[130:131], -v[4:5]
	v_add_f64 v[2:3], v[2:3], v[4:5]
	s_waitcnt vmcnt(12) lgkmcnt(1)
	v_mul_f64 v[4:5], v[116:117], v[140:141]
	v_mul_f64 v[154:155], v[114:115], v[140:141]
	s_waitcnt vmcnt(10)
	v_fma_f64 v[4:5], v[114:115], v[142:143], -v[4:5]
	v_fmac_f64_e32 v[154:155], v[116:117], v[142:143]
	v_add_f64 v[2:3], v[2:3], v[4:5]
	s_waitcnt vmcnt(9) lgkmcnt(0)
	v_mul_f64 v[4:5], v[122:123], v[136:137]
	v_add_f64 v[52:53], v[152:153], v[154:155]
	v_mul_f64 v[152:153], v[120:121], v[136:137]
	s_waitcnt vmcnt(8)
	v_fma_f64 v[4:5], v[120:121], v[138:139], -v[4:5]
	v_fmac_f64_e32 v[152:153], v[122:123], v[138:139]
	v_add_f64 v[2:3], v[2:3], v[4:5]
	s_waitcnt vmcnt(6)
	v_mul_f64 v[4:5], v[126:127], v[144:145]
	v_add_f64 v[52:53], v[52:53], v[152:153]
	v_mul_f64 v[152:153], v[124:125], v[144:145]
	s_waitcnt vmcnt(4)
	v_fma_f64 v[4:5], v[124:125], v[146:147], -v[4:5]
	v_fmac_f64_e32 v[152:153], v[126:127], v[146:147]
	v_add_f64 v[2:3], v[2:3], v[4:5]
	v_add_f64 v[52:53], v[52:53], v[152:153]
	s_waitcnt vmcnt(2)
	v_add_f64 v[2:3], v[148:149], -v[2:3]
	s_waitcnt vmcnt(0)
	v_add_f64 v[4:5], v[150:151], -v[52:53]
	buffer_store_dword v3, off, s[0:3], 0 offset:436
	buffer_store_dword v2, off, s[0:3], 0 offset:432
	;; [unrolled: 1-line block ×4, first 2 shown]
	s_and_saveexec_b64 s[4:5], vcc
	s_cbranch_execz .LBB44_233
; %bb.232:
	v_accvgpr_read_b32 v0, a109
	buffer_load_dword v2, v0, s[0:3], 0 offen
	buffer_load_dword v3, v0, s[0:3], 0 offen offset:4
	buffer_load_dword v4, v0, s[0:3], 0 offen offset:8
	;; [unrolled: 1-line block ×3, first 2 shown]
	v_mov_b32_e32 v0, 0
	v_accvgpr_read_b32 v1, a135
	buffer_store_dword v0, off, s[0:3], 0 offset:416
	buffer_store_dword v0, off, s[0:3], 0 offset:420
	;; [unrolled: 1-line block ×4, first 2 shown]
	s_waitcnt vmcnt(4)
	ds_write_b128 v1, v[2:5]
.LBB44_233:
	s_or_b64 exec, exec, s[4:5]
	s_waitcnt lgkmcnt(0)
	; wave barrier
	s_waitcnt lgkmcnt(0)
	buffer_load_dword v2, off, s[0:3], 0 offset:432
	buffer_load_dword v3, off, s[0:3], 0 offset:436
	;; [unrolled: 1-line block ×76, first 2 shown]
	v_mov_b32_e32 v54, 0
	ds_read_b128 v[56:59], v54 offset:1136
	buffer_load_dword v156, off, s[0:3], 0 offset:416
	buffer_load_dword v157, off, s[0:3], 0 offset:420
	;; [unrolled: 1-line block ×4, first 2 shown]
	ds_read_b128 v[60:63], v54 offset:1152
	ds_read_b128 v[64:67], v54 offset:1168
	;; [unrolled: 1-line block ×4, first 2 shown]
	v_cmp_lt_u32_e32 vcc, 24, v255
	s_waitcnt vmcnt(62) lgkmcnt(4)
	v_mul_f64 v[72:73], v[56:57], v[8:9]
	v_fmac_f64_e32 v[72:73], v[58:59], v[2:3]
	v_add_f64 v[72:73], v[72:73], 0
	v_mul_f64 v[8:9], v[58:59], v[8:9]
	s_waitcnt lgkmcnt(3)
	v_mul_f64 v[74:75], v[60:61], v[10:11]
	v_fmac_f64_e32 v[74:75], v[62:63], v[4:5]
	v_add_f64 v[72:73], v[72:73], v[74:75]
	v_fma_f64 v[2:3], v[56:57], v[2:3], -v[8:9]
	s_waitcnt lgkmcnt(2)
	v_mul_f64 v[74:75], v[64:65], v[12:13]
	v_fmac_f64_e32 v[74:75], v[66:67], v[6:7]
	v_add_f64 v[76:77], v[72:73], v[74:75]
	ds_read_b128 v[72:75], v54 offset:1200
	s_waitcnt lgkmcnt(2)
	v_mul_f64 v[78:79], v[68:69], v[18:19]
	v_mul_f64 v[8:9], v[62:63], v[10:11]
	v_fmac_f64_e32 v[78:79], v[70:71], v[20:21]
	v_add_f64 v[80:81], v[76:77], v[78:79]
	ds_read_b128 v[76:79], v54 offset:1216
	s_waitcnt vmcnt(61) lgkmcnt(1)
	v_mul_f64 v[82:83], v[72:73], v[14:15]
	s_waitcnt vmcnt(60)
	v_fmac_f64_e32 v[82:83], v[74:75], v[16:17]
	v_add_f64 v[84:85], v[80:81], v[82:83]
	ds_read_b128 v[80:83], v54 offset:1232
	s_waitcnt vmcnt(56) lgkmcnt(1)
	v_mul_f64 v[86:87], v[76:77], v[26:27]
	s_waitcnt vmcnt(54)
	v_fmac_f64_e32 v[86:87], v[78:79], v[28:29]
	v_add_f64 v[88:89], v[84:85], v[86:87]
	ds_read_b128 v[84:87], v54 offset:1248
	s_waitcnt vmcnt(53) lgkmcnt(1)
	v_mul_f64 v[90:91], v[80:81], v[22:23]
	s_waitcnt vmcnt(52)
	v_fmac_f64_e32 v[90:91], v[82:83], v[24:25]
	v_add_f64 v[92:93], v[88:89], v[90:91]
	ds_read_b128 v[88:91], v54 offset:1264
	s_waitcnt vmcnt(48) lgkmcnt(1)
	v_mul_f64 v[94:95], v[84:85], v[34:35]
	s_waitcnt vmcnt(46)
	v_fmac_f64_e32 v[94:95], v[86:87], v[36:37]
	v_add_f64 v[96:97], v[92:93], v[94:95]
	ds_read_b128 v[92:95], v54 offset:1280
	v_add_f64 v[2:3], v[2:3], 0
	v_fma_f64 v[4:5], v[60:61], v[4:5], -v[8:9]
	s_waitcnt vmcnt(45) lgkmcnt(1)
	v_mul_f64 v[98:99], v[88:89], v[30:31]
	v_add_f64 v[2:3], v[2:3], v[4:5]
	v_mul_f64 v[4:5], v[66:67], v[12:13]
	s_waitcnt vmcnt(44)
	v_fmac_f64_e32 v[98:99], v[90:91], v[32:33]
	v_fma_f64 v[4:5], v[64:65], v[6:7], -v[4:5]
	v_add_f64 v[100:101], v[96:97], v[98:99]
	ds_read_b128 v[96:99], v54 offset:1296
	s_waitcnt vmcnt(40) lgkmcnt(1)
	v_mul_f64 v[102:103], v[92:93], v[42:43]
	v_add_f64 v[2:3], v[2:3], v[4:5]
	v_mul_f64 v[4:5], v[70:71], v[18:19]
	s_waitcnt vmcnt(38)
	v_fmac_f64_e32 v[102:103], v[94:95], v[44:45]
	v_fma_f64 v[4:5], v[68:69], v[20:21], -v[4:5]
	v_add_f64 v[104:105], v[100:101], v[102:103]
	ds_read_b128 v[100:103], v54 offset:1312
	v_add_f64 v[2:3], v[2:3], v[4:5]
	v_mul_f64 v[4:5], v[74:75], v[14:15]
	v_fma_f64 v[4:5], v[72:73], v[16:17], -v[4:5]
	v_add_f64 v[2:3], v[2:3], v[4:5]
	v_mul_f64 v[4:5], v[78:79], v[26:27]
	s_waitcnt vmcnt(37) lgkmcnt(1)
	v_mul_f64 v[106:107], v[96:97], v[38:39]
	v_fma_f64 v[4:5], v[76:77], v[28:29], -v[4:5]
	s_waitcnt vmcnt(36)
	v_fmac_f64_e32 v[106:107], v[98:99], v[40:41]
	v_add_f64 v[2:3], v[2:3], v[4:5]
	v_mul_f64 v[4:5], v[82:83], v[22:23]
	v_add_f64 v[108:109], v[104:105], v[106:107]
	ds_read_b128 v[104:107], v54 offset:1328
	s_waitcnt vmcnt(32) lgkmcnt(1)
	v_mul_f64 v[110:111], v[100:101], v[50:51]
	v_fma_f64 v[4:5], v[80:81], v[24:25], -v[4:5]
	s_waitcnt vmcnt(30)
	v_fmac_f64_e32 v[110:111], v[102:103], v[52:53]
	v_add_f64 v[2:3], v[2:3], v[4:5]
	v_mul_f64 v[4:5], v[86:87], v[34:35]
	v_add_f64 v[112:113], v[108:109], v[110:111]
	ds_read_b128 v[108:111], v54 offset:1344
	v_fma_f64 v[4:5], v[84:85], v[36:37], -v[4:5]
	v_add_f64 v[2:3], v[2:3], v[4:5]
	v_mul_f64 v[4:5], v[90:91], v[30:31]
	v_fma_f64 v[4:5], v[88:89], v[32:33], -v[4:5]
	s_waitcnt vmcnt(29) lgkmcnt(1)
	v_mul_f64 v[114:115], v[104:105], v[46:47]
	v_add_f64 v[2:3], v[2:3], v[4:5]
	v_mul_f64 v[4:5], v[94:95], v[42:43]
	s_waitcnt vmcnt(28)
	v_fmac_f64_e32 v[114:115], v[106:107], v[48:49]
	v_fma_f64 v[4:5], v[92:93], v[44:45], -v[4:5]
	v_add_f64 v[120:121], v[112:113], v[114:115]
	ds_read_b128 v[112:115], v54 offset:1360
	s_waitcnt vmcnt(24) lgkmcnt(1)
	v_mul_f64 v[122:123], v[108:109], v[136:137]
	v_add_f64 v[2:3], v[2:3], v[4:5]
	v_mul_f64 v[4:5], v[98:99], v[38:39]
	s_waitcnt vmcnt(22)
	v_fmac_f64_e32 v[122:123], v[110:111], v[138:139]
	v_fma_f64 v[4:5], v[96:97], v[40:41], -v[4:5]
	v_add_f64 v[124:125], v[120:121], v[122:123]
	ds_read_b128 v[120:123], v54 offset:1376
	v_add_f64 v[2:3], v[2:3], v[4:5]
	v_mul_f64 v[4:5], v[102:103], v[50:51]
	v_fma_f64 v[4:5], v[100:101], v[52:53], -v[4:5]
	v_add_f64 v[2:3], v[2:3], v[4:5]
	v_mul_f64 v[4:5], v[106:107], v[46:47]
	s_waitcnt vmcnt(21) lgkmcnt(1)
	v_mul_f64 v[126:127], v[112:113], v[116:117]
	v_fma_f64 v[4:5], v[104:105], v[48:49], -v[4:5]
	s_waitcnt vmcnt(20)
	v_fmac_f64_e32 v[126:127], v[114:115], v[118:119]
	v_add_f64 v[2:3], v[2:3], v[4:5]
	v_mul_f64 v[4:5], v[110:111], v[136:137]
	v_add_f64 v[128:129], v[124:125], v[126:127]
	ds_read_b128 v[124:127], v54 offset:1392
	s_waitcnt vmcnt(16) lgkmcnt(1)
	v_mul_f64 v[130:131], v[120:121], v[144:145]
	v_fma_f64 v[4:5], v[108:109], v[138:139], -v[4:5]
	s_waitcnt vmcnt(14)
	v_fmac_f64_e32 v[130:131], v[122:123], v[146:147]
	v_add_f64 v[2:3], v[2:3], v[4:5]
	v_mul_f64 v[4:5], v[114:115], v[116:117]
	v_add_f64 v[160:161], v[128:129], v[130:131]
	ds_read_b128 v[128:131], v54 offset:1408
	v_fma_f64 v[4:5], v[112:113], v[118:119], -v[4:5]
	v_add_f64 v[2:3], v[2:3], v[4:5]
	v_mul_f64 v[4:5], v[122:123], v[144:145]
	v_fma_f64 v[4:5], v[120:121], v[146:147], -v[4:5]
	v_add_f64 v[2:3], v[2:3], v[4:5]
	s_waitcnt vmcnt(13) lgkmcnt(1)
	v_mul_f64 v[4:5], v[126:127], v[140:141]
	v_mul_f64 v[162:163], v[124:125], v[140:141]
	s_waitcnt vmcnt(12)
	v_fma_f64 v[4:5], v[124:125], v[142:143], -v[4:5]
	v_fmac_f64_e32 v[162:163], v[126:127], v[142:143]
	v_add_f64 v[2:3], v[2:3], v[4:5]
	s_waitcnt vmcnt(8) lgkmcnt(0)
	v_mul_f64 v[4:5], v[130:131], v[152:153]
	v_add_f64 v[160:161], v[160:161], v[162:163]
	v_mul_f64 v[162:163], v[128:129], v[152:153]
	s_waitcnt vmcnt(6)
	v_fma_f64 v[4:5], v[128:129], v[154:155], -v[4:5]
	v_fmac_f64_e32 v[162:163], v[130:131], v[154:155]
	v_add_f64 v[2:3], v[2:3], v[4:5]
	s_waitcnt vmcnt(5)
	v_mul_f64 v[4:5], v[134:135], v[148:149]
	v_add_f64 v[160:161], v[160:161], v[162:163]
	v_mul_f64 v[162:163], v[132:133], v[148:149]
	s_waitcnt vmcnt(4)
	v_fma_f64 v[4:5], v[132:133], v[150:151], -v[4:5]
	v_fmac_f64_e32 v[162:163], v[134:135], v[150:151]
	v_add_f64 v[2:3], v[2:3], v[4:5]
	v_add_f64 v[160:161], v[160:161], v[162:163]
	s_waitcnt vmcnt(2)
	v_add_f64 v[2:3], v[156:157], -v[2:3]
	s_waitcnt vmcnt(0)
	v_add_f64 v[4:5], v[158:159], -v[160:161]
	buffer_store_dword v3, off, s[0:3], 0 offset:420
	buffer_store_dword v2, off, s[0:3], 0 offset:416
	;; [unrolled: 1-line block ×4, first 2 shown]
	s_and_saveexec_b64 s[4:5], vcc
	s_cbranch_execz .LBB44_235
; %bb.234:
	v_accvgpr_read_b32 v0, a110
	buffer_load_dword v2, v0, s[0:3], 0 offen
	buffer_load_dword v3, v0, s[0:3], 0 offen offset:4
	buffer_load_dword v4, v0, s[0:3], 0 offen offset:8
	;; [unrolled: 1-line block ×3, first 2 shown]
	v_accvgpr_read_b32 v0, a135
	buffer_store_dword v54, off, s[0:3], 0 offset:400
	buffer_store_dword v54, off, s[0:3], 0 offset:404
	;; [unrolled: 1-line block ×4, first 2 shown]
	s_waitcnt vmcnt(4)
	ds_write_b128 v0, v[2:5]
.LBB44_235:
	s_or_b64 exec, exec, s[4:5]
	s_waitcnt lgkmcnt(0)
	; wave barrier
	s_waitcnt lgkmcnt(0)
	buffer_load_dword v2, off, s[0:3], 0 offset:416
	buffer_load_dword v3, off, s[0:3], 0 offset:420
	;; [unrolled: 1-line block ×76, first 2 shown]
	ds_read_b128 v[56:59], v54 offset:1120
	buffer_load_dword v161, off, s[0:3], 0 offset:732
	buffer_load_dword v160, off, s[0:3], 0 offset:728
	;; [unrolled: 1-line block ×8, first 2 shown]
	ds_read_b128 v[60:63], v54 offset:1136
	ds_read_b128 v[64:67], v54 offset:1152
	;; [unrolled: 1-line block ×3, first 2 shown]
	v_cmp_lt_u32_e32 vcc, 23, v255
	ds_read_b128 v[136:139], v54 offset:1424
	s_waitcnt vmcnt(62) lgkmcnt(4)
	v_mul_f64 v[72:73], v[56:57], v[8:9]
	v_fmac_f64_e32 v[72:73], v[58:59], v[2:3]
	v_add_f64 v[72:73], v[72:73], 0
	v_mul_f64 v[8:9], v[58:59], v[8:9]
	s_waitcnt lgkmcnt(3)
	v_mul_f64 v[74:75], v[60:61], v[10:11]
	v_fmac_f64_e32 v[74:75], v[62:63], v[4:5]
	v_add_f64 v[72:73], v[72:73], v[74:75]
	v_fma_f64 v[2:3], v[56:57], v[2:3], -v[8:9]
	s_waitcnt lgkmcnt(2)
	v_mul_f64 v[74:75], v[64:65], v[12:13]
	v_fmac_f64_e32 v[74:75], v[66:67], v[6:7]
	v_add_f64 v[76:77], v[72:73], v[74:75]
	ds_read_b128 v[72:75], v54 offset:1184
	v_mul_f64 v[8:9], v[62:63], v[10:11]
	v_add_f64 v[2:3], v[2:3], 0
	s_waitcnt lgkmcnt(2)
	v_mul_f64 v[78:79], v[68:69], v[18:19]
	v_fma_f64 v[4:5], v[60:61], v[4:5], -v[8:9]
	v_fmac_f64_e32 v[78:79], v[70:71], v[20:21]
	v_add_f64 v[80:81], v[76:77], v[78:79]
	ds_read_b128 v[76:79], v54 offset:1200
	s_waitcnt lgkmcnt(1)
	v_mul_f64 v[82:83], v[72:73], v[14:15]
	v_fmac_f64_e32 v[82:83], v[74:75], v[16:17]
	v_add_f64 v[84:85], v[80:81], v[82:83]
	ds_read_b128 v[80:83], v54 offset:1216
	s_waitcnt vmcnt(58) lgkmcnt(1)
	v_mul_f64 v[86:87], v[76:77], v[26:27]
	s_waitcnt vmcnt(56)
	v_fmac_f64_e32 v[86:87], v[78:79], v[28:29]
	v_add_f64 v[88:89], v[84:85], v[86:87]
	ds_read_b128 v[84:87], v54 offset:1232
	s_waitcnt lgkmcnt(1)
	v_mul_f64 v[90:91], v[80:81], v[22:23]
	v_fmac_f64_e32 v[90:91], v[82:83], v[24:25]
	v_add_f64 v[92:93], v[88:89], v[90:91]
	ds_read_b128 v[88:91], v54 offset:1248
	s_waitcnt vmcnt(50) lgkmcnt(1)
	v_mul_f64 v[94:95], v[84:85], v[34:35]
	s_waitcnt vmcnt(48)
	v_fmac_f64_e32 v[94:95], v[86:87], v[36:37]
	v_add_f64 v[96:97], v[92:93], v[94:95]
	ds_read_b128 v[92:95], v54 offset:1264
	s_waitcnt lgkmcnt(1)
	v_mul_f64 v[98:99], v[88:89], v[30:31]
	v_fmac_f64_e32 v[98:99], v[90:91], v[32:33]
	v_add_f64 v[100:101], v[96:97], v[98:99]
	ds_read_b128 v[96:99], v54 offset:1280
	v_add_f64 v[2:3], v[2:3], v[4:5]
	v_mul_f64 v[4:5], v[66:67], v[12:13]
	v_fma_f64 v[4:5], v[64:65], v[6:7], -v[4:5]
	s_waitcnt vmcnt(42) lgkmcnt(1)
	v_mul_f64 v[102:103], v[92:93], v[42:43]
	v_add_f64 v[2:3], v[2:3], v[4:5]
	v_mul_f64 v[4:5], v[70:71], v[18:19]
	s_waitcnt vmcnt(40)
	v_fmac_f64_e32 v[102:103], v[94:95], v[44:45]
	v_fma_f64 v[4:5], v[68:69], v[20:21], -v[4:5]
	v_add_f64 v[104:105], v[100:101], v[102:103]
	ds_read_b128 v[100:103], v54 offset:1296
	s_waitcnt lgkmcnt(1)
	v_mul_f64 v[106:107], v[96:97], v[38:39]
	v_add_f64 v[2:3], v[2:3], v[4:5]
	v_mul_f64 v[4:5], v[74:75], v[14:15]
	v_fmac_f64_e32 v[106:107], v[98:99], v[40:41]
	v_fma_f64 v[4:5], v[72:73], v[16:17], -v[4:5]
	v_add_f64 v[108:109], v[104:105], v[106:107]
	ds_read_b128 v[104:107], v54 offset:1312
	v_add_f64 v[2:3], v[2:3], v[4:5]
	v_mul_f64 v[4:5], v[78:79], v[26:27]
	v_fma_f64 v[4:5], v[76:77], v[28:29], -v[4:5]
	v_add_f64 v[2:3], v[2:3], v[4:5]
	v_mul_f64 v[4:5], v[82:83], v[22:23]
	s_waitcnt vmcnt(34) lgkmcnt(1)
	v_mul_f64 v[110:111], v[100:101], v[50:51]
	v_fma_f64 v[4:5], v[80:81], v[24:25], -v[4:5]
	s_waitcnt vmcnt(32)
	v_fmac_f64_e32 v[110:111], v[102:103], v[52:53]
	v_add_f64 v[2:3], v[2:3], v[4:5]
	v_mul_f64 v[4:5], v[86:87], v[34:35]
	v_add_f64 v[112:113], v[108:109], v[110:111]
	ds_read_b128 v[108:111], v54 offset:1328
	s_waitcnt lgkmcnt(1)
	v_mul_f64 v[114:115], v[104:105], v[46:47]
	v_fma_f64 v[4:5], v[84:85], v[36:37], -v[4:5]
	v_fmac_f64_e32 v[114:115], v[106:107], v[48:49]
	v_add_f64 v[2:3], v[2:3], v[4:5]
	v_mul_f64 v[4:5], v[90:91], v[30:31]
	v_add_f64 v[120:121], v[112:113], v[114:115]
	ds_read_b128 v[112:115], v54 offset:1344
	v_fma_f64 v[4:5], v[88:89], v[32:33], -v[4:5]
	v_add_f64 v[2:3], v[2:3], v[4:5]
	v_mul_f64 v[4:5], v[94:95], v[42:43]
	v_fma_f64 v[4:5], v[92:93], v[44:45], -v[4:5]
	s_waitcnt vmcnt(26) lgkmcnt(1)
	v_mul_f64 v[122:123], v[108:109], v[140:141]
	v_add_f64 v[2:3], v[2:3], v[4:5]
	v_mul_f64 v[4:5], v[98:99], v[38:39]
	s_waitcnt vmcnt(24)
	v_fmac_f64_e32 v[122:123], v[110:111], v[142:143]
	v_fma_f64 v[4:5], v[96:97], v[40:41], -v[4:5]
	v_add_f64 v[124:125], v[120:121], v[122:123]
	ds_read_b128 v[120:123], v54 offset:1360
	s_waitcnt lgkmcnt(1)
	v_mul_f64 v[126:127], v[112:113], v[116:117]
	v_add_f64 v[2:3], v[2:3], v[4:5]
	v_mul_f64 v[4:5], v[102:103], v[50:51]
	v_fmac_f64_e32 v[126:127], v[114:115], v[118:119]
	v_fma_f64 v[4:5], v[100:101], v[52:53], -v[4:5]
	v_add_f64 v[128:129], v[124:125], v[126:127]
	ds_read_b128 v[124:127], v54 offset:1376
	v_add_f64 v[2:3], v[2:3], v[4:5]
	v_mul_f64 v[4:5], v[106:107], v[46:47]
	v_fma_f64 v[4:5], v[104:105], v[48:49], -v[4:5]
	v_add_f64 v[2:3], v[2:3], v[4:5]
	v_mul_f64 v[4:5], v[110:111], v[140:141]
	s_waitcnt vmcnt(18) lgkmcnt(1)
	v_mul_f64 v[130:131], v[120:121], v[148:149]
	v_fma_f64 v[4:5], v[108:109], v[142:143], -v[4:5]
	s_waitcnt vmcnt(16)
	v_fmac_f64_e32 v[130:131], v[122:123], v[150:151]
	v_add_f64 v[2:3], v[2:3], v[4:5]
	v_mul_f64 v[4:5], v[114:115], v[116:117]
	v_add_f64 v[132:133], v[128:129], v[130:131]
	ds_read_b128 v[128:131], v54 offset:1392
	s_waitcnt lgkmcnt(1)
	v_mul_f64 v[134:135], v[124:125], v[144:145]
	v_fma_f64 v[4:5], v[112:113], v[118:119], -v[4:5]
	v_fmac_f64_e32 v[134:135], v[126:127], v[146:147]
	v_add_f64 v[2:3], v[2:3], v[4:5]
	v_mul_f64 v[4:5], v[122:123], v[148:149]
	v_add_f64 v[168:169], v[132:133], v[134:135]
	ds_read_b128 v[132:135], v54 offset:1408
	v_fma_f64 v[4:5], v[120:121], v[150:151], -v[4:5]
	v_add_f64 v[2:3], v[2:3], v[4:5]
	v_mul_f64 v[4:5], v[126:127], v[144:145]
	v_fma_f64 v[4:5], v[124:125], v[146:147], -v[4:5]
	v_add_f64 v[2:3], v[2:3], v[4:5]
	s_waitcnt vmcnt(10) lgkmcnt(1)
	v_mul_f64 v[4:5], v[130:131], v[156:157]
	v_mul_f64 v[170:171], v[128:129], v[156:157]
	s_waitcnt vmcnt(8)
	v_fma_f64 v[4:5], v[128:129], v[158:159], -v[4:5]
	v_fmac_f64_e32 v[170:171], v[130:131], v[158:159]
	v_add_f64 v[2:3], v[2:3], v[4:5]
	s_waitcnt lgkmcnt(0)
	v_mul_f64 v[4:5], v[134:135], v[152:153]
	v_add_f64 v[54:55], v[168:169], v[170:171]
	v_mul_f64 v[168:169], v[132:133], v[152:153]
	v_fma_f64 v[4:5], v[132:133], v[154:155], -v[4:5]
	v_fmac_f64_e32 v[168:169], v[134:135], v[154:155]
	v_add_f64 v[2:3], v[2:3], v[4:5]
	s_waitcnt vmcnt(6)
	v_mul_f64 v[4:5], v[138:139], v[160:161]
	v_add_f64 v[54:55], v[54:55], v[168:169]
	v_mul_f64 v[168:169], v[136:137], v[160:161]
	s_waitcnt vmcnt(4)
	v_fma_f64 v[4:5], v[136:137], v[162:163], -v[4:5]
	v_fmac_f64_e32 v[168:169], v[138:139], v[162:163]
	v_add_f64 v[2:3], v[2:3], v[4:5]
	v_add_f64 v[54:55], v[54:55], v[168:169]
	s_waitcnt vmcnt(2)
	v_add_f64 v[2:3], v[164:165], -v[2:3]
	s_waitcnt vmcnt(0)
	v_add_f64 v[4:5], v[166:167], -v[54:55]
	buffer_store_dword v3, off, s[0:3], 0 offset:404
	buffer_store_dword v2, off, s[0:3], 0 offset:400
	;; [unrolled: 1-line block ×4, first 2 shown]
	s_and_saveexec_b64 s[4:5], vcc
	s_cbranch_execz .LBB44_237
; %bb.236:
	v_accvgpr_read_b32 v0, a111
	buffer_load_dword v2, v0, s[0:3], 0 offen
	buffer_load_dword v3, v0, s[0:3], 0 offen offset:4
	buffer_load_dword v4, v0, s[0:3], 0 offen offset:8
	;; [unrolled: 1-line block ×3, first 2 shown]
	v_mov_b32_e32 v0, 0
	v_accvgpr_read_b32 v1, a135
	buffer_store_dword v0, off, s[0:3], 0 offset:384
	buffer_store_dword v0, off, s[0:3], 0 offset:388
	;; [unrolled: 1-line block ×4, first 2 shown]
	s_waitcnt vmcnt(4)
	ds_write_b128 v1, v[2:5]
.LBB44_237:
	s_or_b64 exec, exec, s[4:5]
	s_waitcnt lgkmcnt(0)
	; wave barrier
	s_waitcnt lgkmcnt(0)
	buffer_load_dword v4, off, s[0:3], 0 offset:384
	buffer_load_dword v5, off, s[0:3], 0 offset:388
	;; [unrolled: 1-line block ×84, first 2 shown]
	v_mov_b32_e32 v86, 0
	ds_read_b128 v[66:69], v86 offset:1104
	buffer_load_dword v173, off, s[0:3], 0 offset:732
	buffer_load_dword v172, off, s[0:3], 0 offset:728
	;; [unrolled: 1-line block ×4, first 2 shown]
	ds_read_b128 v[70:73], v86 offset:1120
	ds_read_b128 v[74:77], v86 offset:1136
	ds_read_b128 v[78:81], v86 offset:1152
	ds_read_b128 v[152:155], v86 offset:1424
	v_cmp_lt_u32_e32 vcc, 22, v255
	s_waitcnt vmcnt(62) lgkmcnt(4)
	v_mul_f64 v[82:83], v[66:67], v[12:13]
	v_fmac_f64_e32 v[82:83], v[68:69], v[6:7]
	s_waitcnt lgkmcnt(3)
	v_mul_f64 v[84:85], v[70:71], v[14:15]
	v_add_f64 v[82:83], v[82:83], 0
	v_fmac_f64_e32 v[84:85], v[72:73], v[8:9]
	v_add_f64 v[82:83], v[82:83], v[84:85]
	s_waitcnt lgkmcnt(2)
	v_mul_f64 v[84:85], v[74:75], v[16:17]
	v_fmac_f64_e32 v[84:85], v[76:77], v[10:11]
	v_add_f64 v[88:89], v[82:83], v[84:85]
	ds_read_b128 v[82:85], v86 offset:1168
	v_mul_f64 v[12:13], v[68:69], v[12:13]
	s_waitcnt lgkmcnt(2)
	v_mul_f64 v[90:91], v[78:79], v[22:23]
	v_fma_f64 v[6:7], v[66:67], v[6:7], -v[12:13]
	v_fmac_f64_e32 v[90:91], v[80:81], v[24:25]
	v_add_f64 v[92:93], v[88:89], v[90:91]
	ds_read_b128 v[88:91], v86 offset:1184
	s_waitcnt lgkmcnt(1)
	v_mul_f64 v[94:95], v[82:83], v[18:19]
	v_fmac_f64_e32 v[94:95], v[84:85], v[20:21]
	v_add_f64 v[96:97], v[92:93], v[94:95]
	ds_read_b128 v[92:95], v86 offset:1200
	s_waitcnt vmcnt(58) lgkmcnt(1)
	v_mul_f64 v[98:99], v[88:89], v[30:31]
	s_waitcnt vmcnt(56)
	v_fmac_f64_e32 v[98:99], v[90:91], v[32:33]
	v_add_f64 v[100:101], v[96:97], v[98:99]
	ds_read_b128 v[96:99], v86 offset:1216
	s_waitcnt lgkmcnt(1)
	v_mul_f64 v[102:103], v[92:93], v[26:27]
	v_fmac_f64_e32 v[102:103], v[94:95], v[28:29]
	v_add_f64 v[104:105], v[100:101], v[102:103]
	ds_read_b128 v[100:103], v86 offset:1232
	s_waitcnt vmcnt(50) lgkmcnt(1)
	v_mul_f64 v[106:107], v[96:97], v[38:39]
	s_waitcnt vmcnt(48)
	v_fmac_f64_e32 v[106:107], v[98:99], v[40:41]
	v_add_f64 v[108:109], v[104:105], v[106:107]
	ds_read_b128 v[104:107], v86 offset:1248
	s_waitcnt lgkmcnt(1)
	v_mul_f64 v[110:111], v[100:101], v[34:35]
	v_fmac_f64_e32 v[110:111], v[102:103], v[36:37]
	v_mul_f64 v[12:13], v[72:73], v[14:15]
	v_add_f64 v[112:113], v[108:109], v[110:111]
	ds_read_b128 v[108:111], v86 offset:1264
	s_waitcnt vmcnt(42) lgkmcnt(1)
	v_mul_f64 v[114:115], v[104:105], v[46:47]
	v_add_f64 v[6:7], v[6:7], 0
	v_fma_f64 v[8:9], v[70:71], v[8:9], -v[12:13]
	s_waitcnt vmcnt(40)
	v_fmac_f64_e32 v[114:115], v[106:107], v[48:49]
	v_add_f64 v[6:7], v[6:7], v[8:9]
	v_mul_f64 v[8:9], v[76:77], v[16:17]
	v_add_f64 v[120:121], v[112:113], v[114:115]
	ds_read_b128 v[112:115], v86 offset:1280
	v_fma_f64 v[8:9], v[74:75], v[10:11], -v[8:9]
	v_add_f64 v[6:7], v[6:7], v[8:9]
	v_mul_f64 v[8:9], v[80:81], v[22:23]
	v_fma_f64 v[8:9], v[78:79], v[24:25], -v[8:9]
	s_waitcnt lgkmcnt(1)
	v_mul_f64 v[122:123], v[108:109], v[42:43]
	v_add_f64 v[6:7], v[6:7], v[8:9]
	v_mul_f64 v[8:9], v[84:85], v[18:19]
	v_fmac_f64_e32 v[122:123], v[110:111], v[44:45]
	v_fma_f64 v[8:9], v[82:83], v[20:21], -v[8:9]
	v_add_f64 v[124:125], v[120:121], v[122:123]
	ds_read_b128 v[120:123], v86 offset:1296
	s_waitcnt vmcnt(34) lgkmcnt(1)
	v_mul_f64 v[126:127], v[112:113], v[54:55]
	v_add_f64 v[6:7], v[6:7], v[8:9]
	v_mul_f64 v[8:9], v[90:91], v[30:31]
	s_waitcnt vmcnt(32)
	v_fmac_f64_e32 v[126:127], v[114:115], v[56:57]
	v_fma_f64 v[8:9], v[88:89], v[32:33], -v[8:9]
	v_add_f64 v[128:129], v[124:125], v[126:127]
	ds_read_b128 v[124:127], v86 offset:1312
	v_add_f64 v[6:7], v[6:7], v[8:9]
	v_mul_f64 v[8:9], v[94:95], v[26:27]
	v_fma_f64 v[8:9], v[92:93], v[28:29], -v[8:9]
	v_add_f64 v[6:7], v[6:7], v[8:9]
	v_mul_f64 v[8:9], v[98:99], v[38:39]
	s_waitcnt lgkmcnt(1)
	v_mul_f64 v[130:131], v[120:121], v[50:51]
	v_fma_f64 v[8:9], v[96:97], v[40:41], -v[8:9]
	v_fmac_f64_e32 v[130:131], v[122:123], v[52:53]
	v_add_f64 v[6:7], v[6:7], v[8:9]
	v_mul_f64 v[8:9], v[102:103], v[34:35]
	v_add_f64 v[132:133], v[128:129], v[130:131]
	ds_read_b128 v[128:131], v86 offset:1328
	s_waitcnt vmcnt(26) lgkmcnt(1)
	v_mul_f64 v[134:135], v[124:125], v[62:63]
	v_fma_f64 v[8:9], v[100:101], v[36:37], -v[8:9]
	s_waitcnt vmcnt(24)
	v_fmac_f64_e32 v[134:135], v[126:127], v[64:65]
	v_add_f64 v[6:7], v[6:7], v[8:9]
	v_mul_f64 v[8:9], v[106:107], v[46:47]
	v_add_f64 v[136:137], v[132:133], v[134:135]
	ds_read_b128 v[132:135], v86 offset:1344
	v_fma_f64 v[8:9], v[104:105], v[48:49], -v[8:9]
	v_add_f64 v[6:7], v[6:7], v[8:9]
	v_mul_f64 v[8:9], v[110:111], v[42:43]
	v_fma_f64 v[8:9], v[108:109], v[44:45], -v[8:9]
	s_waitcnt lgkmcnt(1)
	v_mul_f64 v[138:139], v[128:129], v[58:59]
	v_add_f64 v[6:7], v[6:7], v[8:9]
	v_mul_f64 v[8:9], v[114:115], v[54:55]
	v_fmac_f64_e32 v[138:139], v[130:131], v[60:61]
	v_fma_f64 v[8:9], v[112:113], v[56:57], -v[8:9]
	v_add_f64 v[140:141], v[136:137], v[138:139]
	ds_read_b128 v[136:139], v86 offset:1360
	s_waitcnt vmcnt(18) lgkmcnt(1)
	v_mul_f64 v[142:143], v[132:133], v[156:157]
	v_add_f64 v[6:7], v[6:7], v[8:9]
	v_mul_f64 v[8:9], v[122:123], v[50:51]
	s_waitcnt vmcnt(16)
	v_fmac_f64_e32 v[142:143], v[134:135], v[158:159]
	v_fma_f64 v[8:9], v[120:121], v[52:53], -v[8:9]
	v_add_f64 v[144:145], v[140:141], v[142:143]
	ds_read_b128 v[140:143], v86 offset:1376
	v_add_f64 v[6:7], v[6:7], v[8:9]
	v_mul_f64 v[8:9], v[126:127], v[62:63]
	v_fma_f64 v[8:9], v[124:125], v[64:65], -v[8:9]
	v_add_f64 v[6:7], v[6:7], v[8:9]
	v_mul_f64 v[8:9], v[130:131], v[58:59]
	s_waitcnt lgkmcnt(1)
	v_mul_f64 v[146:147], v[136:137], v[116:117]
	v_fma_f64 v[8:9], v[128:129], v[60:61], -v[8:9]
	v_fmac_f64_e32 v[146:147], v[138:139], v[118:119]
	v_add_f64 v[6:7], v[6:7], v[8:9]
	v_mul_f64 v[8:9], v[134:135], v[156:157]
	v_add_f64 v[148:149], v[144:145], v[146:147]
	ds_read_b128 v[144:147], v86 offset:1392
	s_waitcnt vmcnt(10) lgkmcnt(1)
	v_mul_f64 v[150:151], v[140:141], v[164:165]
	v_fma_f64 v[8:9], v[132:133], v[158:159], -v[8:9]
	s_waitcnt vmcnt(8)
	v_fmac_f64_e32 v[150:151], v[142:143], v[166:167]
	v_add_f64 v[6:7], v[6:7], v[8:9]
	v_mul_f64 v[8:9], v[138:139], v[116:117]
	v_add_f64 v[176:177], v[148:149], v[150:151]
	ds_read_b128 v[148:151], v86 offset:1408
	v_fma_f64 v[8:9], v[136:137], v[118:119], -v[8:9]
	v_add_f64 v[6:7], v[6:7], v[8:9]
	v_mul_f64 v[8:9], v[142:143], v[164:165]
	v_fma_f64 v[8:9], v[140:141], v[166:167], -v[8:9]
	v_add_f64 v[6:7], v[6:7], v[8:9]
	s_waitcnt lgkmcnt(1)
	v_mul_f64 v[8:9], v[146:147], v[160:161]
	v_mul_f64 v[178:179], v[144:145], v[160:161]
	v_fma_f64 v[8:9], v[144:145], v[162:163], -v[8:9]
	v_fmac_f64_e32 v[178:179], v[146:147], v[162:163]
	v_add_f64 v[6:7], v[6:7], v[8:9]
	s_waitcnt vmcnt(6) lgkmcnt(0)
	v_mul_f64 v[8:9], v[150:151], v[168:169]
	v_add_f64 v[176:177], v[176:177], v[178:179]
	v_mul_f64 v[178:179], v[148:149], v[168:169]
	s_waitcnt vmcnt(4)
	v_fma_f64 v[8:9], v[148:149], v[170:171], -v[8:9]
	v_fmac_f64_e32 v[178:179], v[150:151], v[170:171]
	v_add_f64 v[6:7], v[6:7], v[8:9]
	s_waitcnt vmcnt(2)
	v_mul_f64 v[8:9], v[154:155], v[172:173]
	v_add_f64 v[176:177], v[176:177], v[178:179]
	v_mul_f64 v[178:179], v[152:153], v[172:173]
	s_waitcnt vmcnt(0)
	v_fma_f64 v[8:9], v[152:153], v[174:175], -v[8:9]
	v_fmac_f64_e32 v[178:179], v[154:155], v[174:175]
	v_add_f64 v[6:7], v[6:7], v[8:9]
	v_add_f64 v[176:177], v[176:177], v[178:179]
	v_add_f64 v[4:5], v[4:5], -v[6:7]
	v_add_f64 v[2:3], v[2:3], -v[176:177]
	buffer_store_dword v5, off, s[0:3], 0 offset:388
	buffer_store_dword v4, off, s[0:3], 0 offset:384
	;; [unrolled: 1-line block ×4, first 2 shown]
	s_and_saveexec_b64 s[4:5], vcc
	s_cbranch_execz .LBB44_239
; %bb.238:
	v_accvgpr_read_b32 v0, a112
	buffer_load_dword v2, v0, s[0:3], 0 offen
	buffer_load_dword v3, v0, s[0:3], 0 offen offset:4
	buffer_load_dword v4, v0, s[0:3], 0 offen offset:8
	;; [unrolled: 1-line block ×3, first 2 shown]
	v_accvgpr_read_b32 v0, a135
	buffer_store_dword v86, off, s[0:3], 0 offset:368
	buffer_store_dword v86, off, s[0:3], 0 offset:372
	;; [unrolled: 1-line block ×4, first 2 shown]
	s_waitcnt vmcnt(4)
	ds_write_b128 v0, v[2:5]
.LBB44_239:
	s_or_b64 exec, exec, s[4:5]
	s_waitcnt lgkmcnt(0)
	; wave barrier
	s_waitcnt lgkmcnt(0)
	ds_read_b128 v[14:17], v86 offset:1088
	ds_read_b128 v[10:13], v86 offset:1104
	;; [unrolled: 1-line block ×4, first 2 shown]
	buffer_load_dword v20, off, s[0:3], 0 offset:368
	buffer_load_dword v21, off, s[0:3], 0 offset:372
	buffer_load_dword v18, off, s[0:3], 0 offset:376
	buffer_load_dword v19, off, s[0:3], 0 offset:380
	buffer_load_dword v22, off, s[0:3], 0 offset:384
	buffer_load_dword v23, off, s[0:3], 0 offset:388
	buffer_load_dword v28, off, s[0:3], 0 offset:392
	buffer_load_dword v29, off, s[0:3], 0 offset:396
	buffer_load_dword v24, off, s[0:3], 0 offset:400
	buffer_load_dword v25, off, s[0:3], 0 offset:404
	buffer_load_dword v30, off, s[0:3], 0 offset:408
	buffer_load_dword v31, off, s[0:3], 0 offset:412
	buffer_load_dword v26, off, s[0:3], 0 offset:416
	buffer_load_dword v27, off, s[0:3], 0 offset:420
	buffer_load_dword v32, off, s[0:3], 0 offset:424
	buffer_load_dword v33, off, s[0:3], 0 offset:428
	buffer_load_dword v35, off, s[0:3], 0 offset:460
	buffer_load_dword v34, off, s[0:3], 0 offset:456
	buffer_load_dword v37, off, s[0:3], 0 offset:452
	buffer_load_dword v36, off, s[0:3], 0 offset:448
	buffer_load_dword v39, off, s[0:3], 0 offset:444
	buffer_load_dword v38, off, s[0:3], 0 offset:440
	buffer_load_dword v41, off, s[0:3], 0 offset:436
	buffer_load_dword v40, off, s[0:3], 0 offset:432
	buffer_load_dword v43, off, s[0:3], 0 offset:492
	buffer_load_dword v42, off, s[0:3], 0 offset:488
	buffer_load_dword v45, off, s[0:3], 0 offset:484
	buffer_load_dword v44, off, s[0:3], 0 offset:480
	buffer_load_dword v47, off, s[0:3], 0 offset:476
	buffer_load_dword v46, off, s[0:3], 0 offset:472
	buffer_load_dword v49, off, s[0:3], 0 offset:468
	buffer_load_dword v48, off, s[0:3], 0 offset:464
	buffer_load_dword v51, off, s[0:3], 0 offset:524
	buffer_load_dword v50, off, s[0:3], 0 offset:520
	buffer_load_dword v53, off, s[0:3], 0 offset:516
	buffer_load_dword v52, off, s[0:3], 0 offset:512
	buffer_load_dword v55, off, s[0:3], 0 offset:508
	buffer_load_dword v54, off, s[0:3], 0 offset:504
	buffer_load_dword v57, off, s[0:3], 0 offset:500
	buffer_load_dword v56, off, s[0:3], 0 offset:496
	buffer_load_dword v59, off, s[0:3], 0 offset:556
	buffer_load_dword v58, off, s[0:3], 0 offset:552
	buffer_load_dword v61, off, s[0:3], 0 offset:548
	buffer_load_dword v60, off, s[0:3], 0 offset:544
	buffer_load_dword v63, off, s[0:3], 0 offset:540
	buffer_load_dword v62, off, s[0:3], 0 offset:536
	buffer_load_dword v65, off, s[0:3], 0 offset:532
	buffer_load_dword v64, off, s[0:3], 0 offset:528
	buffer_load_dword v67, off, s[0:3], 0 offset:588
	buffer_load_dword v66, off, s[0:3], 0 offset:584
	buffer_load_dword v69, off, s[0:3], 0 offset:580
	buffer_load_dword v68, off, s[0:3], 0 offset:576
	buffer_load_dword v71, off, s[0:3], 0 offset:572
	buffer_load_dword v70, off, s[0:3], 0 offset:568
	buffer_load_dword v73, off, s[0:3], 0 offset:564
	buffer_load_dword v72, off, s[0:3], 0 offset:560
	buffer_load_dword v75, off, s[0:3], 0 offset:620
	buffer_load_dword v74, off, s[0:3], 0 offset:616
	buffer_load_dword v77, off, s[0:3], 0 offset:612
	buffer_load_dword v76, off, s[0:3], 0 offset:608
	buffer_load_dword v79, off, s[0:3], 0 offset:604
	buffer_load_dword v78, off, s[0:3], 0 offset:600
	buffer_load_dword v81, off, s[0:3], 0 offset:596
	buffer_load_dword v80, off, s[0:3], 0 offset:592
	buffer_load_dword v83, off, s[0:3], 0 offset:652
	buffer_load_dword v82, off, s[0:3], 0 offset:648
	buffer_load_dword v85, off, s[0:3], 0 offset:644
	buffer_load_dword v84, off, s[0:3], 0 offset:640
	buffer_load_dword v117, off, s[0:3], 0 offset:636
	buffer_load_dword v116, off, s[0:3], 0 offset:632
	buffer_load_dword v119, off, s[0:3], 0 offset:628
	buffer_load_dword v118, off, s[0:3], 0 offset:624
	buffer_load_dword v165, off, s[0:3], 0 offset:684
	buffer_load_dword v164, off, s[0:3], 0 offset:680
	buffer_load_dword v167, off, s[0:3], 0 offset:676
	buffer_load_dword v166, off, s[0:3], 0 offset:672
	buffer_load_dword v169, off, s[0:3], 0 offset:668
	buffer_load_dword v168, off, s[0:3], 0 offset:664
	buffer_load_dword v171, off, s[0:3], 0 offset:660
	buffer_load_dword v170, off, s[0:3], 0 offset:656
	buffer_load_dword v173, off, s[0:3], 0 offset:716
	buffer_load_dword v172, off, s[0:3], 0 offset:712
	buffer_load_dword v175, off, s[0:3], 0 offset:708
	buffer_load_dword v174, off, s[0:3], 0 offset:704
	buffer_load_dword v177, off, s[0:3], 0 offset:700
	buffer_load_dword v176, off, s[0:3], 0 offset:696
	buffer_load_dword v179, off, s[0:3], 0 offset:692
	buffer_load_dword v178, off, s[0:3], 0 offset:688
	buffer_load_dword v181, off, s[0:3], 0 offset:732
	buffer_load_dword v180, off, s[0:3], 0 offset:728
	buffer_load_dword v183, off, s[0:3], 0 offset:724
	buffer_load_dword v182, off, s[0:3], 0 offset:720
	s_waitcnt vmcnt(62) lgkmcnt(3)
	v_mul_f64 v[88:89], v[14:15], v[28:29]
	v_fmac_f64_e32 v[88:89], v[16:17], v[22:23]
	s_waitcnt lgkmcnt(2)
	v_mul_f64 v[90:91], v[10:11], v[30:31]
	v_add_f64 v[88:89], v[88:89], 0
	v_fmac_f64_e32 v[90:91], v[12:13], v[24:25]
	v_add_f64 v[88:89], v[88:89], v[90:91]
	s_waitcnt lgkmcnt(1)
	v_mul_f64 v[90:91], v[6:7], v[32:33]
	v_fmac_f64_e32 v[90:91], v[8:9], v[26:27]
	v_add_f64 v[92:93], v[88:89], v[90:91]
	ds_read_b128 v[88:91], v86 offset:1152
	v_mul_f64 v[16:17], v[16:17], v[28:29]
	v_fma_f64 v[14:15], v[14:15], v[22:23], -v[16:17]
	s_waitcnt lgkmcnt(1)
	v_mul_f64 v[94:95], v[2:3], v[38:39]
	v_mul_f64 v[12:13], v[12:13], v[30:31]
	v_fmac_f64_e32 v[94:95], v[4:5], v[40:41]
	v_add_f64 v[96:97], v[92:93], v[94:95]
	ds_read_b128 v[92:95], v86 offset:1168
	s_waitcnt lgkmcnt(1)
	v_mul_f64 v[98:99], v[88:89], v[34:35]
	v_fmac_f64_e32 v[98:99], v[90:91], v[36:37]
	v_add_f64 v[100:101], v[96:97], v[98:99]
	ds_read_b128 v[96:99], v86 offset:1184
	s_waitcnt lgkmcnt(1)
	v_mul_f64 v[102:103], v[92:93], v[46:47]
	s_waitcnt vmcnt(60)
	v_fmac_f64_e32 v[102:103], v[94:95], v[48:49]
	v_add_f64 v[104:105], v[100:101], v[102:103]
	ds_read_b128 v[100:103], v86 offset:1200
	s_waitcnt lgkmcnt(1)
	v_mul_f64 v[106:107], v[96:97], v[42:43]
	v_fmac_f64_e32 v[106:107], v[98:99], v[44:45]
	v_add_f64 v[108:109], v[104:105], v[106:107]
	ds_read_b128 v[104:107], v86 offset:1216
	s_waitcnt vmcnt(54) lgkmcnt(1)
	v_mul_f64 v[110:111], v[100:101], v[54:55]
	s_waitcnt vmcnt(52)
	v_fmac_f64_e32 v[110:111], v[102:103], v[56:57]
	v_add_f64 v[112:113], v[108:109], v[110:111]
	ds_read_b128 v[108:111], v86 offset:1232
	s_waitcnt lgkmcnt(1)
	v_mul_f64 v[114:115], v[104:105], v[50:51]
	v_fmac_f64_e32 v[114:115], v[106:107], v[52:53]
	v_add_f64 v[120:121], v[112:113], v[114:115]
	ds_read_b128 v[112:115], v86 offset:1248
	s_waitcnt vmcnt(46) lgkmcnt(1)
	v_mul_f64 v[122:123], v[108:109], v[62:63]
	s_waitcnt vmcnt(44)
	v_fmac_f64_e32 v[122:123], v[110:111], v[64:65]
	v_add_f64 v[124:125], v[120:121], v[122:123]
	ds_read_b128 v[120:123], v86 offset:1264
	s_waitcnt lgkmcnt(1)
	v_mul_f64 v[126:127], v[112:113], v[58:59]
	v_fmac_f64_e32 v[126:127], v[114:115], v[60:61]
	v_add_f64 v[14:15], v[14:15], 0
	v_fma_f64 v[10:11], v[10:11], v[24:25], -v[12:13]
	v_mul_f64 v[8:9], v[8:9], v[32:33]
	v_add_f64 v[128:129], v[124:125], v[126:127]
	ds_read_b128 v[124:127], v86 offset:1280
	v_add_f64 v[10:11], v[14:15], v[10:11]
	v_fma_f64 v[6:7], v[6:7], v[26:27], -v[8:9]
	v_mul_f64 v[4:5], v[4:5], v[38:39]
	v_add_f64 v[6:7], v[10:11], v[6:7]
	v_fma_f64 v[2:3], v[2:3], v[40:41], -v[4:5]
	v_mul_f64 v[4:5], v[90:91], v[34:35]
	v_add_f64 v[2:3], v[6:7], v[2:3]
	v_fma_f64 v[4:5], v[88:89], v[36:37], -v[4:5]
	s_waitcnt vmcnt(38) lgkmcnt(1)
	v_mul_f64 v[130:131], v[120:121], v[70:71]
	v_add_f64 v[2:3], v[2:3], v[4:5]
	v_mul_f64 v[4:5], v[94:95], v[46:47]
	s_waitcnt vmcnt(36)
	v_fmac_f64_e32 v[130:131], v[122:123], v[72:73]
	v_fma_f64 v[4:5], v[92:93], v[48:49], -v[4:5]
	v_add_f64 v[132:133], v[128:129], v[130:131]
	ds_read_b128 v[128:131], v86 offset:1296
	s_waitcnt lgkmcnt(1)
	v_mul_f64 v[134:135], v[124:125], v[66:67]
	v_add_f64 v[2:3], v[2:3], v[4:5]
	v_mul_f64 v[4:5], v[98:99], v[42:43]
	v_fmac_f64_e32 v[134:135], v[126:127], v[68:69]
	v_fma_f64 v[4:5], v[96:97], v[44:45], -v[4:5]
	v_add_f64 v[136:137], v[132:133], v[134:135]
	ds_read_b128 v[132:135], v86 offset:1312
	v_add_f64 v[2:3], v[2:3], v[4:5]
	v_mul_f64 v[4:5], v[102:103], v[54:55]
	v_fma_f64 v[4:5], v[100:101], v[56:57], -v[4:5]
	v_add_f64 v[2:3], v[2:3], v[4:5]
	v_mul_f64 v[4:5], v[106:107], v[50:51]
	s_waitcnt vmcnt(30) lgkmcnt(1)
	v_mul_f64 v[138:139], v[128:129], v[78:79]
	v_fma_f64 v[4:5], v[104:105], v[52:53], -v[4:5]
	s_waitcnt vmcnt(28)
	v_fmac_f64_e32 v[138:139], v[130:131], v[80:81]
	v_add_f64 v[2:3], v[2:3], v[4:5]
	v_mul_f64 v[4:5], v[110:111], v[62:63]
	v_add_f64 v[140:141], v[136:137], v[138:139]
	ds_read_b128 v[136:139], v86 offset:1328
	s_waitcnt lgkmcnt(1)
	v_mul_f64 v[142:143], v[132:133], v[74:75]
	v_fma_f64 v[4:5], v[108:109], v[64:65], -v[4:5]
	v_fmac_f64_e32 v[142:143], v[134:135], v[76:77]
	v_add_f64 v[2:3], v[2:3], v[4:5]
	v_mul_f64 v[4:5], v[114:115], v[58:59]
	v_add_f64 v[144:145], v[140:141], v[142:143]
	ds_read_b128 v[140:143], v86 offset:1344
	v_fma_f64 v[4:5], v[112:113], v[60:61], -v[4:5]
	v_add_f64 v[2:3], v[2:3], v[4:5]
	v_mul_f64 v[4:5], v[122:123], v[70:71]
	v_fma_f64 v[4:5], v[120:121], v[72:73], -v[4:5]
	s_waitcnt vmcnt(22) lgkmcnt(1)
	v_mul_f64 v[146:147], v[136:137], v[116:117]
	v_add_f64 v[2:3], v[2:3], v[4:5]
	v_mul_f64 v[4:5], v[126:127], v[66:67]
	s_waitcnt vmcnt(20)
	v_fmac_f64_e32 v[146:147], v[138:139], v[118:119]
	v_fma_f64 v[4:5], v[124:125], v[68:69], -v[4:5]
	v_add_f64 v[148:149], v[144:145], v[146:147]
	ds_read_b128 v[144:147], v86 offset:1360
	s_waitcnt lgkmcnt(1)
	v_mul_f64 v[150:151], v[140:141], v[82:83]
	v_add_f64 v[2:3], v[2:3], v[4:5]
	v_mul_f64 v[4:5], v[130:131], v[78:79]
	v_fmac_f64_e32 v[150:151], v[142:143], v[84:85]
	v_fma_f64 v[4:5], v[128:129], v[80:81], -v[4:5]
	v_add_f64 v[152:153], v[148:149], v[150:151]
	ds_read_b128 v[148:151], v86 offset:1376
	v_add_f64 v[2:3], v[2:3], v[4:5]
	v_mul_f64 v[4:5], v[134:135], v[74:75]
	v_fma_f64 v[4:5], v[132:133], v[76:77], -v[4:5]
	v_add_f64 v[2:3], v[2:3], v[4:5]
	v_mul_f64 v[4:5], v[138:139], v[116:117]
	s_waitcnt vmcnt(14) lgkmcnt(1)
	v_mul_f64 v[154:155], v[144:145], v[168:169]
	v_fma_f64 v[4:5], v[136:137], v[118:119], -v[4:5]
	s_waitcnt vmcnt(12)
	v_fmac_f64_e32 v[154:155], v[146:147], v[170:171]
	v_add_f64 v[2:3], v[2:3], v[4:5]
	v_mul_f64 v[4:5], v[142:143], v[82:83]
	v_add_f64 v[156:157], v[152:153], v[154:155]
	ds_read_b128 v[152:155], v86 offset:1392
	s_waitcnt lgkmcnt(1)
	v_mul_f64 v[158:159], v[148:149], v[164:165]
	v_fma_f64 v[4:5], v[140:141], v[84:85], -v[4:5]
	v_fmac_f64_e32 v[158:159], v[150:151], v[166:167]
	v_add_f64 v[2:3], v[2:3], v[4:5]
	v_mul_f64 v[4:5], v[146:147], v[168:169]
	v_add_f64 v[184:185], v[156:157], v[158:159]
	ds_read_b128 v[156:159], v86 offset:1408
	ds_read_b128 v[160:163], v86 offset:1424
	v_fma_f64 v[4:5], v[144:145], v[170:171], -v[4:5]
	v_add_f64 v[2:3], v[2:3], v[4:5]
	v_mul_f64 v[4:5], v[150:151], v[164:165]
	v_fma_f64 v[4:5], v[148:149], v[166:167], -v[4:5]
	v_add_f64 v[2:3], v[2:3], v[4:5]
	s_waitcnt vmcnt(6) lgkmcnt(2)
	v_mul_f64 v[4:5], v[154:155], v[176:177]
	v_mul_f64 v[186:187], v[152:153], v[176:177]
	s_waitcnt vmcnt(4)
	v_fma_f64 v[4:5], v[152:153], v[178:179], -v[4:5]
	v_fmac_f64_e32 v[186:187], v[154:155], v[178:179]
	v_add_f64 v[2:3], v[2:3], v[4:5]
	s_waitcnt lgkmcnt(1)
	v_mul_f64 v[4:5], v[158:159], v[172:173]
	v_add_f64 v[86:87], v[184:185], v[186:187]
	v_mul_f64 v[184:185], v[156:157], v[172:173]
	v_fma_f64 v[4:5], v[156:157], v[174:175], -v[4:5]
	v_fmac_f64_e32 v[184:185], v[158:159], v[174:175]
	v_add_f64 v[2:3], v[2:3], v[4:5]
	s_waitcnt vmcnt(2) lgkmcnt(0)
	v_mul_f64 v[4:5], v[162:163], v[180:181]
	v_add_f64 v[86:87], v[86:87], v[184:185]
	v_mul_f64 v[184:185], v[160:161], v[180:181]
	s_waitcnt vmcnt(0)
	v_fma_f64 v[4:5], v[160:161], v[182:183], -v[4:5]
	v_fmac_f64_e32 v[184:185], v[162:163], v[182:183]
	v_add_f64 v[2:3], v[2:3], v[4:5]
	v_add_f64 v[86:87], v[86:87], v[184:185]
	v_add_f64 v[2:3], v[20:21], -v[2:3]
	v_cmp_lt_u32_e32 vcc, 21, v255
	v_add_f64 v[4:5], v[18:19], -v[86:87]
	buffer_store_dword v3, off, s[0:3], 0 offset:372
	buffer_store_dword v2, off, s[0:3], 0 offset:368
	;; [unrolled: 1-line block ×4, first 2 shown]
	s_and_saveexec_b64 s[4:5], vcc
	s_cbranch_execz .LBB44_241
; %bb.240:
	v_accvgpr_read_b32 v0, a113
	buffer_load_dword v2, v0, s[0:3], 0 offen
	buffer_load_dword v3, v0, s[0:3], 0 offen offset:4
	buffer_load_dword v4, v0, s[0:3], 0 offen offset:8
	;; [unrolled: 1-line block ×3, first 2 shown]
	v_mov_b32_e32 v0, 0
	v_accvgpr_read_b32 v1, a135
	buffer_store_dword v0, off, s[0:3], 0 offset:352
	buffer_store_dword v0, off, s[0:3], 0 offset:356
	;; [unrolled: 1-line block ×4, first 2 shown]
	s_waitcnt vmcnt(4)
	ds_write_b128 v1, v[2:5]
.LBB44_241:
	s_or_b64 exec, exec, s[4:5]
	s_waitcnt lgkmcnt(0)
	; wave barrier
	s_waitcnt lgkmcnt(0)
	buffer_load_dword v9, off, s[0:3], 0 offset:380
	buffer_load_dword v6, off, s[0:3], 0 offset:392
	buffer_load_dword v7, off, s[0:3], 0 offset:396
	buffer_load_dword v8, off, s[0:3], 0 offset:376
	buffer_load_dword v10, off, s[0:3], 0 offset:368
	buffer_load_dword v11, off, s[0:3], 0 offset:372
	buffer_load_dword v4, off, s[0:3], 0 offset:352
	buffer_load_dword v5, off, s[0:3], 0 offset:356
	buffer_load_dword v2, off, s[0:3], 0 offset:360
	buffer_load_dword v3, off, s[0:3], 0 offset:364
	buffer_load_dword v14, off, s[0:3], 0 offset:384
	buffer_load_dword v12, off, s[0:3], 0 offset:400
	buffer_load_dword v13, off, s[0:3], 0 offset:404
	buffer_load_dword v16, off, s[0:3], 0 offset:408
	buffer_load_dword v17, off, s[0:3], 0 offset:412
	buffer_load_dword v15, off, s[0:3], 0 offset:388
	buffer_load_dword v19, off, s[0:3], 0 offset:444
	buffer_load_dword v18, off, s[0:3], 0 offset:440
	buffer_load_dword v21, off, s[0:3], 0 offset:436
	buffer_load_dword v20, off, s[0:3], 0 offset:432
	buffer_load_dword v23, off, s[0:3], 0 offset:428
	buffer_load_dword v22, off, s[0:3], 0 offset:424
	buffer_load_dword v25, off, s[0:3], 0 offset:420
	buffer_load_dword v24, off, s[0:3], 0 offset:416
	buffer_load_dword v27, off, s[0:3], 0 offset:476
	buffer_load_dword v26, off, s[0:3], 0 offset:472
	buffer_load_dword v29, off, s[0:3], 0 offset:468
	buffer_load_dword v28, off, s[0:3], 0 offset:464
	buffer_load_dword v31, off, s[0:3], 0 offset:460
	buffer_load_dword v30, off, s[0:3], 0 offset:456
	buffer_load_dword v33, off, s[0:3], 0 offset:452
	buffer_load_dword v32, off, s[0:3], 0 offset:448
	buffer_load_dword v35, off, s[0:3], 0 offset:508
	buffer_load_dword v34, off, s[0:3], 0 offset:504
	buffer_load_dword v37, off, s[0:3], 0 offset:500
	buffer_load_dword v36, off, s[0:3], 0 offset:496
	buffer_load_dword v39, off, s[0:3], 0 offset:492
	buffer_load_dword v38, off, s[0:3], 0 offset:488
	buffer_load_dword v41, off, s[0:3], 0 offset:484
	buffer_load_dword v40, off, s[0:3], 0 offset:480
	buffer_load_dword v43, off, s[0:3], 0 offset:540
	buffer_load_dword v42, off, s[0:3], 0 offset:536
	buffer_load_dword v45, off, s[0:3], 0 offset:532
	buffer_load_dword v44, off, s[0:3], 0 offset:528
	buffer_load_dword v47, off, s[0:3], 0 offset:524
	buffer_load_dword v46, off, s[0:3], 0 offset:520
	buffer_load_dword v49, off, s[0:3], 0 offset:516
	buffer_load_dword v48, off, s[0:3], 0 offset:512
	buffer_load_dword v51, off, s[0:3], 0 offset:572
	buffer_load_dword v50, off, s[0:3], 0 offset:568
	buffer_load_dword v53, off, s[0:3], 0 offset:564
	buffer_load_dword v52, off, s[0:3], 0 offset:560
	buffer_load_dword v55, off, s[0:3], 0 offset:556
	buffer_load_dword v54, off, s[0:3], 0 offset:552
	buffer_load_dword v57, off, s[0:3], 0 offset:548
	buffer_load_dword v56, off, s[0:3], 0 offset:544
	buffer_load_dword v59, off, s[0:3], 0 offset:604
	buffer_load_dword v58, off, s[0:3], 0 offset:600
	buffer_load_dword v61, off, s[0:3], 0 offset:596
	buffer_load_dword v60, off, s[0:3], 0 offset:592
	buffer_load_dword v63, off, s[0:3], 0 offset:588
	buffer_load_dword v62, off, s[0:3], 0 offset:584
	buffer_load_dword v65, off, s[0:3], 0 offset:580
	buffer_load_dword v64, off, s[0:3], 0 offset:576
	v_mov_b32_e32 v98, 0
	ds_read_b128 v[74:77], v98 offset:1072
	ds_read_b128 v[78:81], v98 offset:1088
	buffer_load_dword v67, off, s[0:3], 0 offset:636
	buffer_load_dword v66, off, s[0:3], 0 offset:632
	;; [unrolled: 1-line block ×8, first 2 shown]
	ds_read_b128 v[82:85], v98 offset:1104
	ds_read_b128 v[86:89], v98 offset:1120
	buffer_load_dword v117, off, s[0:3], 0 offset:668
	buffer_load_dword v116, off, s[0:3], 0 offset:664
	;; [unrolled: 1-line block ×24, first 2 shown]
	ds_read_b128 v[168:171], v98 offset:1424
	v_cmp_lt_u32_e32 vcc, 20, v255
	s_waitcnt vmcnt(62) lgkmcnt(1)
	v_mul_f64 v[96:97], v[86:87], v[22:23]
	v_fmac_f64_e32 v[96:97], v[88:89], v[24:25]
	v_mul_f64 v[92:93], v[78:79], v[6:7]
	v_mul_f64 v[90:91], v[74:75], v[8:9]
	;; [unrolled: 1-line block ×3, first 2 shown]
	v_fmac_f64_e32 v[90:91], v[76:77], v[10:11]
	v_add_f64 v[90:91], v[90:91], 0
	v_fma_f64 v[8:9], v[74:75], v[10:11], -v[8:9]
	v_mul_f64 v[6:7], v[80:81], v[6:7]
	v_add_f64 v[8:9], v[8:9], 0
	v_fmac_f64_e32 v[92:93], v[80:81], v[14:15]
	v_add_f64 v[90:91], v[90:91], v[92:93]
	v_mul_f64 v[92:93], v[82:83], v[16:17]
	v_fmac_f64_e32 v[92:93], v[84:85], v[12:13]
	v_add_f64 v[94:95], v[90:91], v[92:93]
	ds_read_b128 v[90:93], v98 offset:1136
	v_add_f64 v[100:101], v[94:95], v[96:97]
	ds_read_b128 v[94:97], v98 offset:1152
	v_fma_f64 v[6:7], v[78:79], v[14:15], -v[6:7]
	v_add_f64 v[6:7], v[8:9], v[6:7]
	s_waitcnt lgkmcnt(1)
	v_mul_f64 v[102:103], v[90:91], v[18:19]
	v_fmac_f64_e32 v[102:103], v[92:93], v[20:21]
	v_add_f64 v[104:105], v[100:101], v[102:103]
	ds_read_b128 v[100:103], v98 offset:1168
	s_waitcnt lgkmcnt(1)
	v_mul_f64 v[106:107], v[94:95], v[30:31]
	v_fmac_f64_e32 v[106:107], v[96:97], v[32:33]
	v_add_f64 v[108:109], v[104:105], v[106:107]
	ds_read_b128 v[104:107], v98 offset:1184
	;; [unrolled: 5-line block ×3, first 2 shown]
	s_waitcnt vmcnt(58) lgkmcnt(1)
	v_mul_f64 v[114:115], v[104:105], v[38:39]
	s_waitcnt vmcnt(56)
	v_fmac_f64_e32 v[114:115], v[106:107], v[40:41]
	v_add_f64 v[120:121], v[112:113], v[114:115]
	ds_read_b128 v[112:115], v98 offset:1216
	s_waitcnt lgkmcnt(1)
	v_mul_f64 v[122:123], v[108:109], v[34:35]
	v_fmac_f64_e32 v[122:123], v[110:111], v[36:37]
	v_add_f64 v[124:125], v[120:121], v[122:123]
	ds_read_b128 v[120:123], v98 offset:1232
	s_waitcnt vmcnt(50) lgkmcnt(1)
	v_mul_f64 v[126:127], v[112:113], v[46:47]
	s_waitcnt vmcnt(48)
	v_fmac_f64_e32 v[126:127], v[114:115], v[48:49]
	v_add_f64 v[128:129], v[124:125], v[126:127]
	ds_read_b128 v[124:127], v98 offset:1248
	v_mul_f64 v[8:9], v[84:85], v[16:17]
	s_waitcnt lgkmcnt(1)
	v_mul_f64 v[130:131], v[120:121], v[42:43]
	v_fma_f64 v[8:9], v[82:83], v[12:13], -v[8:9]
	v_fmac_f64_e32 v[130:131], v[122:123], v[44:45]
	v_add_f64 v[6:7], v[6:7], v[8:9]
	v_mul_f64 v[8:9], v[88:89], v[22:23]
	v_add_f64 v[132:133], v[128:129], v[130:131]
	ds_read_b128 v[128:131], v98 offset:1264
	s_waitcnt vmcnt(42) lgkmcnt(1)
	v_mul_f64 v[134:135], v[124:125], v[54:55]
	v_fma_f64 v[8:9], v[86:87], v[24:25], -v[8:9]
	s_waitcnt vmcnt(40)
	v_fmac_f64_e32 v[134:135], v[126:127], v[56:57]
	v_add_f64 v[6:7], v[6:7], v[8:9]
	v_mul_f64 v[8:9], v[92:93], v[18:19]
	v_add_f64 v[136:137], v[132:133], v[134:135]
	ds_read_b128 v[132:135], v98 offset:1280
	v_fma_f64 v[8:9], v[90:91], v[20:21], -v[8:9]
	v_add_f64 v[6:7], v[6:7], v[8:9]
	v_mul_f64 v[8:9], v[96:97], v[30:31]
	v_fma_f64 v[8:9], v[94:95], v[32:33], -v[8:9]
	s_waitcnt lgkmcnt(1)
	v_mul_f64 v[138:139], v[128:129], v[50:51]
	v_add_f64 v[6:7], v[6:7], v[8:9]
	v_mul_f64 v[8:9], v[102:103], v[26:27]
	v_fmac_f64_e32 v[138:139], v[130:131], v[52:53]
	v_fma_f64 v[8:9], v[100:101], v[28:29], -v[8:9]
	v_add_f64 v[140:141], v[136:137], v[138:139]
	ds_read_b128 v[136:139], v98 offset:1296
	s_waitcnt vmcnt(34) lgkmcnt(1)
	v_mul_f64 v[142:143], v[132:133], v[62:63]
	v_add_f64 v[6:7], v[6:7], v[8:9]
	v_mul_f64 v[8:9], v[106:107], v[38:39]
	s_waitcnt vmcnt(32)
	v_fmac_f64_e32 v[142:143], v[134:135], v[64:65]
	v_fma_f64 v[8:9], v[104:105], v[40:41], -v[8:9]
	v_add_f64 v[144:145], v[140:141], v[142:143]
	ds_read_b128 v[140:143], v98 offset:1312
	v_add_f64 v[6:7], v[6:7], v[8:9]
	v_mul_f64 v[8:9], v[110:111], v[34:35]
	v_fma_f64 v[8:9], v[108:109], v[36:37], -v[8:9]
	v_add_f64 v[6:7], v[6:7], v[8:9]
	v_mul_f64 v[8:9], v[114:115], v[46:47]
	s_waitcnt lgkmcnt(1)
	v_mul_f64 v[146:147], v[136:137], v[58:59]
	v_fma_f64 v[8:9], v[112:113], v[48:49], -v[8:9]
	v_fmac_f64_e32 v[146:147], v[138:139], v[60:61]
	v_add_f64 v[6:7], v[6:7], v[8:9]
	v_mul_f64 v[8:9], v[122:123], v[42:43]
	v_add_f64 v[148:149], v[144:145], v[146:147]
	ds_read_b128 v[144:147], v98 offset:1328
	s_waitcnt vmcnt(26) lgkmcnt(1)
	v_mul_f64 v[150:151], v[140:141], v[70:71]
	v_fma_f64 v[8:9], v[120:121], v[44:45], -v[8:9]
	s_waitcnt vmcnt(24)
	v_fmac_f64_e32 v[150:151], v[142:143], v[72:73]
	v_add_f64 v[6:7], v[6:7], v[8:9]
	v_mul_f64 v[8:9], v[126:127], v[54:55]
	v_add_f64 v[152:153], v[148:149], v[150:151]
	ds_read_b128 v[148:151], v98 offset:1344
	v_fma_f64 v[8:9], v[124:125], v[56:57], -v[8:9]
	v_add_f64 v[6:7], v[6:7], v[8:9]
	v_mul_f64 v[8:9], v[130:131], v[50:51]
	v_fma_f64 v[8:9], v[128:129], v[52:53], -v[8:9]
	s_waitcnt lgkmcnt(1)
	v_mul_f64 v[154:155], v[144:145], v[66:67]
	v_add_f64 v[6:7], v[6:7], v[8:9]
	v_mul_f64 v[8:9], v[134:135], v[62:63]
	v_fmac_f64_e32 v[154:155], v[146:147], v[68:69]
	v_fma_f64 v[8:9], v[132:133], v[64:65], -v[8:9]
	v_add_f64 v[156:157], v[152:153], v[154:155]
	ds_read_b128 v[152:155], v98 offset:1360
	s_waitcnt vmcnt(18) lgkmcnt(1)
	v_mul_f64 v[158:159], v[148:149], v[172:173]
	v_add_f64 v[6:7], v[6:7], v[8:9]
	v_mul_f64 v[8:9], v[138:139], v[58:59]
	s_waitcnt vmcnt(16)
	v_fmac_f64_e32 v[158:159], v[150:151], v[174:175]
	v_fma_f64 v[8:9], v[136:137], v[60:61], -v[8:9]
	v_add_f64 v[160:161], v[156:157], v[158:159]
	ds_read_b128 v[156:159], v98 offset:1376
	v_add_f64 v[6:7], v[6:7], v[8:9]
	v_mul_f64 v[8:9], v[142:143], v[70:71]
	v_fma_f64 v[8:9], v[140:141], v[72:73], -v[8:9]
	v_add_f64 v[6:7], v[6:7], v[8:9]
	v_mul_f64 v[8:9], v[146:147], v[66:67]
	s_waitcnt lgkmcnt(1)
	v_mul_f64 v[162:163], v[152:153], v[116:117]
	v_fma_f64 v[8:9], v[144:145], v[68:69], -v[8:9]
	v_fmac_f64_e32 v[162:163], v[154:155], v[118:119]
	v_add_f64 v[6:7], v[6:7], v[8:9]
	v_mul_f64 v[8:9], v[150:151], v[172:173]
	v_add_f64 v[164:165], v[160:161], v[162:163]
	ds_read_b128 v[160:163], v98 offset:1392
	s_waitcnt vmcnt(10) lgkmcnt(1)
	v_mul_f64 v[166:167], v[156:157], v[180:181]
	v_fma_f64 v[8:9], v[148:149], v[174:175], -v[8:9]
	s_waitcnt vmcnt(8)
	v_fmac_f64_e32 v[166:167], v[158:159], v[182:183]
	v_add_f64 v[6:7], v[6:7], v[8:9]
	v_mul_f64 v[8:9], v[154:155], v[116:117]
	v_add_f64 v[192:193], v[164:165], v[166:167]
	ds_read_b128 v[164:167], v98 offset:1408
	v_fma_f64 v[8:9], v[152:153], v[118:119], -v[8:9]
	v_add_f64 v[6:7], v[6:7], v[8:9]
	v_mul_f64 v[8:9], v[158:159], v[180:181]
	v_fma_f64 v[8:9], v[156:157], v[182:183], -v[8:9]
	v_add_f64 v[6:7], v[6:7], v[8:9]
	s_waitcnt lgkmcnt(1)
	v_mul_f64 v[8:9], v[162:163], v[176:177]
	v_mul_f64 v[194:195], v[160:161], v[176:177]
	v_fma_f64 v[8:9], v[160:161], v[178:179], -v[8:9]
	v_fmac_f64_e32 v[194:195], v[162:163], v[178:179]
	v_add_f64 v[6:7], v[6:7], v[8:9]
	s_waitcnt vmcnt(2) lgkmcnt(0)
	v_mul_f64 v[8:9], v[166:167], v[188:189]
	v_add_f64 v[192:193], v[192:193], v[194:195]
	v_mul_f64 v[194:195], v[164:165], v[188:189]
	s_waitcnt vmcnt(0)
	v_fma_f64 v[8:9], v[164:165], v[190:191], -v[8:9]
	v_fmac_f64_e32 v[194:195], v[166:167], v[190:191]
	v_add_f64 v[6:7], v[6:7], v[8:9]
	v_mul_f64 v[8:9], v[170:171], v[184:185]
	v_add_f64 v[192:193], v[192:193], v[194:195]
	v_mul_f64 v[194:195], v[168:169], v[184:185]
	v_fma_f64 v[8:9], v[168:169], v[186:187], -v[8:9]
	v_fmac_f64_e32 v[194:195], v[170:171], v[186:187]
	v_add_f64 v[6:7], v[6:7], v[8:9]
	v_add_f64 v[192:193], v[192:193], v[194:195]
	v_add_f64 v[4:5], v[4:5], -v[6:7]
	v_add_f64 v[2:3], v[2:3], -v[192:193]
	buffer_store_dword v5, off, s[0:3], 0 offset:356
	buffer_store_dword v4, off, s[0:3], 0 offset:352
	;; [unrolled: 1-line block ×4, first 2 shown]
	s_and_saveexec_b64 s[4:5], vcc
	s_cbranch_execz .LBB44_243
; %bb.242:
	v_accvgpr_read_b32 v0, a114
	buffer_load_dword v2, v0, s[0:3], 0 offen
	buffer_load_dword v3, v0, s[0:3], 0 offen offset:4
	buffer_load_dword v4, v0, s[0:3], 0 offen offset:8
	;; [unrolled: 1-line block ×3, first 2 shown]
	v_accvgpr_read_b32 v0, a135
	buffer_store_dword v98, off, s[0:3], 0 offset:336
	buffer_store_dword v98, off, s[0:3], 0 offset:340
	;; [unrolled: 1-line block ×4, first 2 shown]
	s_waitcnt vmcnt(4)
	ds_write_b128 v0, v[2:5]
.LBB44_243:
	s_or_b64 exec, exec, s[4:5]
	s_waitcnt lgkmcnt(0)
	; wave barrier
	s_waitcnt lgkmcnt(0)
	buffer_load_dword v22, off, s[0:3], 0 offset:352
	buffer_load_dword v23, off, s[0:3], 0 offset:356
	;; [unrolled: 1-line block ×16, first 2 shown]
	ds_read_b128 v[2:5], v98 offset:1056
	ds_read_b128 v[6:9], v98 offset:1072
	;; [unrolled: 1-line block ×4, first 2 shown]
	buffer_load_dword v35, off, s[0:3], 0 offset:428
	buffer_load_dword v34, off, s[0:3], 0 offset:424
	;; [unrolled: 1-line block ×48, first 2 shown]
	v_cmp_lt_u32_e32 vcc, 19, v255
	s_waitcnt vmcnt(42) lgkmcnt(0)
	v_mul_f64 v[106:107], v[14:15], v[38:39]
	s_waitcnt vmcnt(40)
	v_fmac_f64_e32 v[106:107], v[16:17], v[40:41]
	v_mul_f64 v[82:83], v[2:3], v[24:25]
	v_fmac_f64_e32 v[82:83], v[4:5], v[22:23]
	v_add_f64 v[82:83], v[82:83], 0
	v_mul_f64 v[4:5], v[4:5], v[24:25]
	v_mul_f64 v[84:85], v[6:7], v[32:33]
	v_fma_f64 v[2:3], v[2:3], v[22:23], -v[4:5]
	v_mul_f64 v[100:101], v[10:11], v[26:27]
	v_fmac_f64_e32 v[100:101], v[12:13], v[30:31]
	v_fmac_f64_e32 v[84:85], v[8:9], v[28:29]
	v_add_f64 v[102:103], v[82:83], v[84:85]
	buffer_load_dword v83, off, s[0:3], 0 offset:620
	buffer_load_dword v82, off, s[0:3], 0 offset:616
	;; [unrolled: 1-line block ×32, first 2 shown]
	v_add_f64 v[104:105], v[102:103], v[100:101]
	ds_read_b128 v[100:103], v98 offset:1120
	buffer_load_dword v197, off, s[0:3], 0 offset:732
	buffer_load_dword v196, off, s[0:3], 0 offset:728
	;; [unrolled: 1-line block ×4, first 2 shown]
	v_add_f64 v[108:109], v[104:105], v[106:107]
	ds_read_b128 v[104:107], v98 offset:1136
	v_mul_f64 v[4:5], v[8:9], v[32:33]
	s_waitcnt lgkmcnt(1)
	v_mul_f64 v[110:111], v[100:101], v[34:35]
	v_fmac_f64_e32 v[110:111], v[102:103], v[36:37]
	v_add_f64 v[112:113], v[108:109], v[110:111]
	ds_read_b128 v[108:111], v98 offset:1152
	s_waitcnt vmcnt(62) lgkmcnt(1)
	v_mul_f64 v[114:115], v[104:105], v[46:47]
	v_fmac_f64_e32 v[114:115], v[106:107], v[48:49]
	v_add_f64 v[120:121], v[112:113], v[114:115]
	ds_read_b128 v[112:115], v98 offset:1168
	s_waitcnt lgkmcnt(1)
	v_mul_f64 v[122:123], v[108:109], v[42:43]
	v_fmac_f64_e32 v[122:123], v[110:111], v[44:45]
	v_add_f64 v[124:125], v[120:121], v[122:123]
	ds_read_b128 v[120:123], v98 offset:1184
	s_waitcnt lgkmcnt(1)
	v_mul_f64 v[126:127], v[112:113], v[54:55]
	s_waitcnt vmcnt(60)
	v_fmac_f64_e32 v[126:127], v[114:115], v[56:57]
	v_add_f64 v[128:129], v[124:125], v[126:127]
	ds_read_b128 v[124:127], v98 offset:1200
	s_waitcnt lgkmcnt(1)
	v_mul_f64 v[130:131], v[120:121], v[50:51]
	v_fmac_f64_e32 v[130:131], v[122:123], v[52:53]
	v_add_f64 v[132:133], v[128:129], v[130:131]
	ds_read_b128 v[128:131], v98 offset:1216
	s_waitcnt vmcnt(54) lgkmcnt(1)
	v_mul_f64 v[134:135], v[124:125], v[62:63]
	s_waitcnt vmcnt(52)
	v_fmac_f64_e32 v[134:135], v[126:127], v[64:65]
	v_add_f64 v[136:137], v[132:133], v[134:135]
	ds_read_b128 v[132:135], v98 offset:1232
	s_waitcnt lgkmcnt(1)
	v_mul_f64 v[138:139], v[128:129], v[58:59]
	v_fmac_f64_e32 v[138:139], v[130:131], v[60:61]
	v_add_f64 v[2:3], v[2:3], 0
	v_fma_f64 v[4:5], v[6:7], v[28:29], -v[4:5]
	v_add_f64 v[140:141], v[136:137], v[138:139]
	ds_read_b128 v[136:139], v98 offset:1248
	v_add_f64 v[2:3], v[2:3], v[4:5]
	v_mul_f64 v[4:5], v[12:13], v[26:27]
	v_fma_f64 v[4:5], v[10:11], v[30:31], -v[4:5]
	v_add_f64 v[2:3], v[2:3], v[4:5]
	v_mul_f64 v[4:5], v[16:17], v[38:39]
	s_waitcnt vmcnt(46) lgkmcnt(1)
	v_mul_f64 v[142:143], v[132:133], v[70:71]
	v_fma_f64 v[4:5], v[14:15], v[40:41], -v[4:5]
	s_waitcnt vmcnt(44)
	v_fmac_f64_e32 v[142:143], v[134:135], v[72:73]
	v_add_f64 v[2:3], v[2:3], v[4:5]
	v_mul_f64 v[4:5], v[102:103], v[34:35]
	v_add_f64 v[144:145], v[140:141], v[142:143]
	ds_read_b128 v[140:143], v98 offset:1264
	s_waitcnt lgkmcnt(1)
	v_mul_f64 v[146:147], v[136:137], v[66:67]
	v_fma_f64 v[4:5], v[100:101], v[36:37], -v[4:5]
	v_fmac_f64_e32 v[146:147], v[138:139], v[68:69]
	v_add_f64 v[2:3], v[2:3], v[4:5]
	v_mul_f64 v[4:5], v[106:107], v[46:47]
	v_add_f64 v[148:149], v[144:145], v[146:147]
	ds_read_b128 v[144:147], v98 offset:1280
	v_fma_f64 v[4:5], v[104:105], v[48:49], -v[4:5]
	v_add_f64 v[2:3], v[2:3], v[4:5]
	v_mul_f64 v[4:5], v[110:111], v[42:43]
	v_fma_f64 v[4:5], v[108:109], v[44:45], -v[4:5]
	s_waitcnt vmcnt(38) lgkmcnt(1)
	v_mul_f64 v[150:151], v[140:141], v[78:79]
	v_add_f64 v[2:3], v[2:3], v[4:5]
	v_mul_f64 v[4:5], v[114:115], v[54:55]
	s_waitcnt vmcnt(36)
	v_fmac_f64_e32 v[150:151], v[142:143], v[80:81]
	v_fma_f64 v[4:5], v[112:113], v[56:57], -v[4:5]
	v_add_f64 v[152:153], v[148:149], v[150:151]
	ds_read_b128 v[148:151], v98 offset:1296
	s_waitcnt lgkmcnt(1)
	v_mul_f64 v[154:155], v[144:145], v[74:75]
	v_add_f64 v[2:3], v[2:3], v[4:5]
	v_mul_f64 v[4:5], v[122:123], v[50:51]
	v_fmac_f64_e32 v[154:155], v[146:147], v[76:77]
	v_fma_f64 v[4:5], v[120:121], v[52:53], -v[4:5]
	v_add_f64 v[156:157], v[152:153], v[154:155]
	ds_read_b128 v[152:155], v98 offset:1312
	v_add_f64 v[2:3], v[2:3], v[4:5]
	v_mul_f64 v[4:5], v[126:127], v[62:63]
	v_fma_f64 v[4:5], v[124:125], v[64:65], -v[4:5]
	v_add_f64 v[2:3], v[2:3], v[4:5]
	v_mul_f64 v[4:5], v[130:131], v[58:59]
	s_waitcnt vmcnt(30) lgkmcnt(1)
	v_mul_f64 v[158:159], v[148:149], v[86:87]
	v_fma_f64 v[4:5], v[128:129], v[60:61], -v[4:5]
	s_waitcnt vmcnt(28)
	v_fmac_f64_e32 v[158:159], v[150:151], v[88:89]
	v_add_f64 v[2:3], v[2:3], v[4:5]
	v_mul_f64 v[4:5], v[134:135], v[70:71]
	v_add_f64 v[160:161], v[156:157], v[158:159]
	ds_read_b128 v[156:159], v98 offset:1328
	s_waitcnt lgkmcnt(1)
	v_mul_f64 v[162:163], v[152:153], v[82:83]
	v_fma_f64 v[4:5], v[132:133], v[72:73], -v[4:5]
	v_fmac_f64_e32 v[162:163], v[154:155], v[84:85]
	v_add_f64 v[2:3], v[2:3], v[4:5]
	v_mul_f64 v[4:5], v[138:139], v[66:67]
	v_add_f64 v[164:165], v[160:161], v[162:163]
	ds_read_b128 v[160:163], v98 offset:1344
	v_fma_f64 v[4:5], v[136:137], v[68:69], -v[4:5]
	v_add_f64 v[2:3], v[2:3], v[4:5]
	v_mul_f64 v[4:5], v[142:143], v[78:79]
	v_fma_f64 v[4:5], v[140:141], v[80:81], -v[4:5]
	s_waitcnt vmcnt(22) lgkmcnt(1)
	v_mul_f64 v[166:167], v[156:157], v[94:95]
	v_add_f64 v[2:3], v[2:3], v[4:5]
	v_mul_f64 v[4:5], v[146:147], v[74:75]
	s_waitcnt vmcnt(20)
	v_fmac_f64_e32 v[166:167], v[158:159], v[96:97]
	v_fma_f64 v[4:5], v[144:145], v[76:77], -v[4:5]
	v_add_f64 v[168:169], v[164:165], v[166:167]
	ds_read_b128 v[164:167], v98 offset:1360
	s_waitcnt lgkmcnt(1)
	v_mul_f64 v[170:171], v[160:161], v[90:91]
	v_add_f64 v[2:3], v[2:3], v[4:5]
	v_mul_f64 v[4:5], v[150:151], v[86:87]
	v_fmac_f64_e32 v[170:171], v[162:163], v[92:93]
	v_fma_f64 v[4:5], v[148:149], v[88:89], -v[4:5]
	v_add_f64 v[172:173], v[168:169], v[170:171]
	ds_read_b128 v[168:171], v98 offset:1376
	v_add_f64 v[2:3], v[2:3], v[4:5]
	v_mul_f64 v[4:5], v[154:155], v[82:83]
	v_fma_f64 v[4:5], v[152:153], v[84:85], -v[4:5]
	v_add_f64 v[2:3], v[2:3], v[4:5]
	v_mul_f64 v[4:5], v[158:159], v[94:95]
	s_waitcnt vmcnt(14) lgkmcnt(1)
	v_mul_f64 v[174:175], v[164:165], v[184:185]
	v_fma_f64 v[4:5], v[156:157], v[96:97], -v[4:5]
	s_waitcnt vmcnt(12)
	v_fmac_f64_e32 v[174:175], v[166:167], v[186:187]
	v_add_f64 v[2:3], v[2:3], v[4:5]
	v_mul_f64 v[4:5], v[162:163], v[90:91]
	v_add_f64 v[176:177], v[172:173], v[174:175]
	ds_read_b128 v[172:175], v98 offset:1392
	s_waitcnt lgkmcnt(1)
	v_mul_f64 v[178:179], v[168:169], v[116:117]
	v_fma_f64 v[4:5], v[160:161], v[92:93], -v[4:5]
	v_fmac_f64_e32 v[178:179], v[170:171], v[118:119]
	v_add_f64 v[2:3], v[2:3], v[4:5]
	v_mul_f64 v[4:5], v[166:167], v[184:185]
	v_add_f64 v[200:201], v[176:177], v[178:179]
	ds_read_b128 v[176:179], v98 offset:1408
	v_fma_f64 v[4:5], v[164:165], v[186:187], -v[4:5]
	v_add_f64 v[2:3], v[2:3], v[4:5]
	v_mul_f64 v[4:5], v[170:171], v[116:117]
	ds_read_b128 v[180:183], v98 offset:1424
	v_fma_f64 v[4:5], v[168:169], v[118:119], -v[4:5]
	v_add_f64 v[2:3], v[2:3], v[4:5]
	s_waitcnt vmcnt(6) lgkmcnt(2)
	v_mul_f64 v[4:5], v[174:175], v[192:193]
	v_mul_f64 v[202:203], v[172:173], v[192:193]
	s_waitcnt vmcnt(4)
	v_fma_f64 v[4:5], v[172:173], v[194:195], -v[4:5]
	v_fmac_f64_e32 v[202:203], v[174:175], v[194:195]
	v_add_f64 v[2:3], v[2:3], v[4:5]
	s_waitcnt lgkmcnt(1)
	v_mul_f64 v[4:5], v[178:179], v[188:189]
	v_add_f64 v[98:99], v[200:201], v[202:203]
	v_mul_f64 v[200:201], v[176:177], v[188:189]
	v_fma_f64 v[4:5], v[176:177], v[190:191], -v[4:5]
	v_fmac_f64_e32 v[200:201], v[178:179], v[190:191]
	v_add_f64 v[2:3], v[2:3], v[4:5]
	s_waitcnt vmcnt(2) lgkmcnt(0)
	v_mul_f64 v[4:5], v[182:183], v[196:197]
	v_add_f64 v[98:99], v[98:99], v[200:201]
	v_mul_f64 v[200:201], v[180:181], v[196:197]
	s_waitcnt vmcnt(0)
	v_fma_f64 v[4:5], v[180:181], v[198:199], -v[4:5]
	v_fmac_f64_e32 v[200:201], v[182:183], v[198:199]
	v_add_f64 v[2:3], v[2:3], v[4:5]
	v_add_f64 v[98:99], v[98:99], v[200:201]
	v_add_f64 v[2:3], v[20:21], -v[2:3]
	v_add_f64 v[4:5], v[18:19], -v[98:99]
	buffer_store_dword v3, off, s[0:3], 0 offset:340
	buffer_store_dword v2, off, s[0:3], 0 offset:336
	;; [unrolled: 1-line block ×4, first 2 shown]
	s_and_saveexec_b64 s[4:5], vcc
	s_cbranch_execz .LBB44_245
; %bb.244:
	v_accvgpr_read_b32 v0, a115
	buffer_load_dword v2, v0, s[0:3], 0 offen
	buffer_load_dword v3, v0, s[0:3], 0 offen offset:4
	buffer_load_dword v4, v0, s[0:3], 0 offen offset:8
	;; [unrolled: 1-line block ×3, first 2 shown]
	v_mov_b32_e32 v0, 0
	v_accvgpr_read_b32 v1, a135
	buffer_store_dword v0, off, s[0:3], 0 offset:320
	buffer_store_dword v0, off, s[0:3], 0 offset:324
	buffer_store_dword v0, off, s[0:3], 0 offset:328
	buffer_store_dword v0, off, s[0:3], 0 offset:332
	s_waitcnt vmcnt(4)
	ds_write_b128 v1, v[2:5]
.LBB44_245:
	s_or_b64 exec, exec, s[4:5]
	s_waitcnt lgkmcnt(0)
	; wave barrier
	s_waitcnt lgkmcnt(0)
	buffer_load_dword v22, off, s[0:3], 0 offset:336
	buffer_load_dword v23, off, s[0:3], 0 offset:340
	buffer_load_dword v26, off, s[0:3], 0 offset:344
	buffer_load_dword v27, off, s[0:3], 0 offset:348
	buffer_load_dword v24, off, s[0:3], 0 offset:352
	buffer_load_dword v25, off, s[0:3], 0 offset:356
	buffer_load_dword v28, off, s[0:3], 0 offset:360
	buffer_load_dword v29, off, s[0:3], 0 offset:364
	buffer_load_dword v30, off, s[0:3], 0 offset:376
	buffer_load_dword v31, off, s[0:3], 0 offset:380
	buffer_load_dword v37, off, s[0:3], 0 offset:412
	buffer_load_dword v39, off, s[0:3], 0 offset:404
	buffer_load_dword v41, off, s[0:3], 0 offset:396
	buffer_load_dword v40, off, s[0:3], 0 offset:392
	buffer_load_dword v44, off, s[0:3], 0 offset:368
	buffer_load_dword v45, off, s[0:3], 0 offset:372
	buffer_load_dword v43, off, s[0:3], 0 offset:388
	buffer_load_dword v42, off, s[0:3], 0 offset:384
	buffer_load_dword v36, off, s[0:3], 0 offset:408
	buffer_load_dword v38, off, s[0:3], 0 offset:400
	buffer_load_dword v34, off, s[0:3], 0 offset:320
	buffer_load_dword v35, off, s[0:3], 0 offset:324
	buffer_load_dword v32, off, s[0:3], 0 offset:328
	buffer_load_dword v33, off, s[0:3], 0 offset:332
	buffer_load_dword v47, off, s[0:3], 0 offset:444
	buffer_load_dword v46, off, s[0:3], 0 offset:440
	buffer_load_dword v49, off, s[0:3], 0 offset:436
	buffer_load_dword v48, off, s[0:3], 0 offset:432
	buffer_load_dword v51, off, s[0:3], 0 offset:428
	buffer_load_dword v50, off, s[0:3], 0 offset:424
	buffer_load_dword v53, off, s[0:3], 0 offset:420
	buffer_load_dword v52, off, s[0:3], 0 offset:416
	buffer_load_dword v55, off, s[0:3], 0 offset:476
	buffer_load_dword v54, off, s[0:3], 0 offset:472
	buffer_load_dword v57, off, s[0:3], 0 offset:468
	buffer_load_dword v56, off, s[0:3], 0 offset:464
	buffer_load_dword v59, off, s[0:3], 0 offset:460
	buffer_load_dword v58, off, s[0:3], 0 offset:456
	buffer_load_dword v61, off, s[0:3], 0 offset:452
	buffer_load_dword v60, off, s[0:3], 0 offset:448
	buffer_load_dword v63, off, s[0:3], 0 offset:508
	buffer_load_dword v62, off, s[0:3], 0 offset:504
	buffer_load_dword v65, off, s[0:3], 0 offset:500
	buffer_load_dword v64, off, s[0:3], 0 offset:496
	buffer_load_dword v67, off, s[0:3], 0 offset:492
	buffer_load_dword v66, off, s[0:3], 0 offset:488
	buffer_load_dword v69, off, s[0:3], 0 offset:484
	buffer_load_dword v68, off, s[0:3], 0 offset:480
	buffer_load_dword v71, off, s[0:3], 0 offset:540
	buffer_load_dword v70, off, s[0:3], 0 offset:536
	buffer_load_dword v73, off, s[0:3], 0 offset:532
	buffer_load_dword v72, off, s[0:3], 0 offset:528
	buffer_load_dword v75, off, s[0:3], 0 offset:524
	buffer_load_dword v74, off, s[0:3], 0 offset:520
	buffer_load_dword v77, off, s[0:3], 0 offset:516
	buffer_load_dword v76, off, s[0:3], 0 offset:512
	buffer_load_dword v79, off, s[0:3], 0 offset:572
	buffer_load_dword v78, off, s[0:3], 0 offset:568
	buffer_load_dword v81, off, s[0:3], 0 offset:564
	buffer_load_dword v80, off, s[0:3], 0 offset:560
	buffer_load_dword v83, off, s[0:3], 0 offset:556
	buffer_load_dword v82, off, s[0:3], 0 offset:552
	buffer_load_dword v85, off, s[0:3], 0 offset:548
	buffer_load_dword v84, off, s[0:3], 0 offset:544
	v_mov_b32_e32 v114, 0
	ds_read_b128 v[18:21], v114 offset:1040
	ds_read_b128 v[14:17], v114 offset:1056
	;; [unrolled: 1-line block ×5, first 2 shown]
	v_cmp_lt_u32_e32 vcc, 18, v255
	s_waitcnt vmcnt(60) lgkmcnt(4)
	v_mul_f64 v[86:87], v[18:19], v[26:27]
	v_fmac_f64_e32 v[86:87], v[20:21], v[22:23]
	v_add_f64 v[86:87], v[86:87], 0
	v_mul_f64 v[20:21], v[20:21], v[26:27]
	s_waitcnt vmcnt(56) lgkmcnt(3)
	v_mul_f64 v[88:89], v[14:15], v[28:29]
	v_fmac_f64_e32 v[88:89], v[16:17], v[24:25]
	s_waitcnt vmcnt(54) lgkmcnt(2)
	v_mul_f64 v[90:91], v[10:11], v[30:31]
	v_add_f64 v[86:87], v[86:87], v[88:89]
	v_fma_f64 v[18:19], v[18:19], v[22:23], -v[20:21]
	v_mul_f64 v[16:17], v[16:17], v[28:29]
	s_waitcnt vmcnt(50) lgkmcnt(1)
	v_mul_f64 v[102:103], v[6:7], v[40:41]
	v_add_f64 v[18:19], v[18:19], 0
	s_waitcnt vmcnt(48)
	v_fmac_f64_e32 v[90:91], v[12:13], v[44:45]
	v_add_f64 v[104:105], v[86:87], v[90:91]
	buffer_load_dword v87, off, s[0:3], 0 offset:604
	buffer_load_dword v86, off, s[0:3], 0 offset:600
	buffer_load_dword v89, off, s[0:3], 0 offset:596
	buffer_load_dword v88, off, s[0:3], 0 offset:592
	buffer_load_dword v91, off, s[0:3], 0 offset:588
	buffer_load_dword v90, off, s[0:3], 0 offset:584
	buffer_load_dword v93, off, s[0:3], 0 offset:580
	buffer_load_dword v92, off, s[0:3], 0 offset:576
	buffer_load_dword v95, off, s[0:3], 0 offset:636
	buffer_load_dword v94, off, s[0:3], 0 offset:632
	buffer_load_dword v97, off, s[0:3], 0 offset:628
	buffer_load_dword v96, off, s[0:3], 0 offset:624
	buffer_load_dword v99, off, s[0:3], 0 offset:620
	buffer_load_dword v98, off, s[0:3], 0 offset:616
	buffer_load_dword v101, off, s[0:3], 0 offset:612
	buffer_load_dword v100, off, s[0:3], 0 offset:608
	buffer_load_dword v117, off, s[0:3], 0 offset:668
	buffer_load_dword v116, off, s[0:3], 0 offset:664
	buffer_load_dword v119, off, s[0:3], 0 offset:660
	buffer_load_dword v118, off, s[0:3], 0 offset:656
	buffer_load_dword v189, off, s[0:3], 0 offset:652
	buffer_load_dword v188, off, s[0:3], 0 offset:648
	buffer_load_dword v191, off, s[0:3], 0 offset:644
	buffer_load_dword v190, off, s[0:3], 0 offset:640
	buffer_load_dword v193, off, s[0:3], 0 offset:700
	buffer_load_dword v192, off, s[0:3], 0 offset:696
	buffer_load_dword v195, off, s[0:3], 0 offset:692
	buffer_load_dword v194, off, s[0:3], 0 offset:688
	buffer_load_dword v197, off, s[0:3], 0 offset:684
	buffer_load_dword v196, off, s[0:3], 0 offset:680
	buffer_load_dword v199, off, s[0:3], 0 offset:676
	buffer_load_dword v198, off, s[0:3], 0 offset:672
	buffer_load_dword v201, off, s[0:3], 0 offset:732
	buffer_load_dword v200, off, s[0:3], 0 offset:728
	buffer_load_dword v203, off, s[0:3], 0 offset:724
	buffer_load_dword v202, off, s[0:3], 0 offset:720
	buffer_load_dword v205, off, s[0:3], 0 offset:716
	buffer_load_dword v204, off, s[0:3], 0 offset:712
	buffer_load_dword v207, off, s[0:3], 0 offset:708
	buffer_load_dword v206, off, s[0:3], 0 offset:704
	s_waitcnt vmcnt(62)
	v_fmac_f64_e32 v[102:103], v[8:9], v[42:43]
	v_add_f64 v[106:107], v[104:105], v[102:103]
	ds_read_b128 v[102:105], v114 offset:1120
	s_waitcnt lgkmcnt(1)
	v_mul_f64 v[108:109], v[2:3], v[36:37]
	v_fmac_f64_e32 v[108:109], v[4:5], v[38:39]
	v_add_f64 v[110:111], v[106:107], v[108:109]
	ds_read_b128 v[106:109], v114 offset:1136
	s_waitcnt lgkmcnt(1)
	v_mul_f64 v[112:113], v[102:103], v[50:51]
	;; [unrolled: 5-line block ×5, first 2 shown]
	v_fmac_f64_e32 v[130:131], v[122:123], v[56:57]
	v_add_f64 v[132:133], v[128:129], v[130:131]
	ds_read_b128 v[128:131], v114 offset:1200
	s_waitcnt vmcnt(58) lgkmcnt(1)
	v_mul_f64 v[134:135], v[124:125], v[66:67]
	s_waitcnt vmcnt(56)
	v_fmac_f64_e32 v[134:135], v[126:127], v[68:69]
	v_add_f64 v[136:137], v[132:133], v[134:135]
	ds_read_b128 v[132:135], v114 offset:1216
	s_waitcnt lgkmcnt(1)
	v_mul_f64 v[138:139], v[128:129], v[62:63]
	v_fmac_f64_e32 v[138:139], v[130:131], v[64:65]
	v_add_f64 v[140:141], v[136:137], v[138:139]
	ds_read_b128 v[136:139], v114 offset:1232
	s_waitcnt vmcnt(50) lgkmcnt(1)
	v_mul_f64 v[142:143], v[132:133], v[74:75]
	s_waitcnt vmcnt(48)
	v_fmac_f64_e32 v[142:143], v[134:135], v[76:77]
	v_add_f64 v[144:145], v[140:141], v[142:143]
	ds_read_b128 v[140:143], v114 offset:1248
	v_fma_f64 v[14:15], v[14:15], v[24:25], -v[16:17]
	v_mul_f64 v[12:13], v[12:13], v[30:31]
	v_add_f64 v[14:15], v[18:19], v[14:15]
	v_fma_f64 v[10:11], v[10:11], v[44:45], -v[12:13]
	v_mul_f64 v[8:9], v[8:9], v[40:41]
	s_waitcnt lgkmcnt(1)
	v_mul_f64 v[146:147], v[136:137], v[70:71]
	v_add_f64 v[10:11], v[14:15], v[10:11]
	v_fma_f64 v[6:7], v[6:7], v[42:43], -v[8:9]
	v_mul_f64 v[4:5], v[4:5], v[36:37]
	v_fmac_f64_e32 v[146:147], v[138:139], v[72:73]
	v_add_f64 v[6:7], v[10:11], v[6:7]
	v_fma_f64 v[2:3], v[2:3], v[38:39], -v[4:5]
	v_mul_f64 v[4:5], v[104:105], v[50:51]
	v_add_f64 v[148:149], v[144:145], v[146:147]
	ds_read_b128 v[144:147], v114 offset:1264
	s_waitcnt vmcnt(42) lgkmcnt(1)
	v_mul_f64 v[150:151], v[140:141], v[82:83]
	v_add_f64 v[2:3], v[6:7], v[2:3]
	v_fma_f64 v[4:5], v[102:103], v[52:53], -v[4:5]
	s_waitcnt vmcnt(40)
	v_fmac_f64_e32 v[150:151], v[142:143], v[84:85]
	v_add_f64 v[2:3], v[2:3], v[4:5]
	v_mul_f64 v[4:5], v[108:109], v[46:47]
	v_add_f64 v[152:153], v[148:149], v[150:151]
	ds_read_b128 v[148:151], v114 offset:1280
	v_fma_f64 v[4:5], v[106:107], v[48:49], -v[4:5]
	v_add_f64 v[2:3], v[2:3], v[4:5]
	v_mul_f64 v[4:5], v[112:113], v[58:59]
	v_fma_f64 v[4:5], v[110:111], v[60:61], -v[4:5]
	s_waitcnt lgkmcnt(1)
	v_mul_f64 v[154:155], v[144:145], v[78:79]
	v_add_f64 v[2:3], v[2:3], v[4:5]
	v_mul_f64 v[4:5], v[122:123], v[54:55]
	v_fmac_f64_e32 v[154:155], v[146:147], v[80:81]
	v_fma_f64 v[4:5], v[120:121], v[56:57], -v[4:5]
	v_add_f64 v[156:157], v[152:153], v[154:155]
	ds_read_b128 v[152:155], v114 offset:1296
	s_waitcnt vmcnt(34) lgkmcnt(1)
	v_mul_f64 v[158:159], v[148:149], v[90:91]
	v_add_f64 v[2:3], v[2:3], v[4:5]
	v_mul_f64 v[4:5], v[126:127], v[66:67]
	s_waitcnt vmcnt(32)
	v_fmac_f64_e32 v[158:159], v[150:151], v[92:93]
	v_fma_f64 v[4:5], v[124:125], v[68:69], -v[4:5]
	v_add_f64 v[160:161], v[156:157], v[158:159]
	ds_read_b128 v[156:159], v114 offset:1312
	v_add_f64 v[2:3], v[2:3], v[4:5]
	v_mul_f64 v[4:5], v[130:131], v[62:63]
	v_fma_f64 v[4:5], v[128:129], v[64:65], -v[4:5]
	v_add_f64 v[2:3], v[2:3], v[4:5]
	v_mul_f64 v[4:5], v[134:135], v[74:75]
	s_waitcnt lgkmcnt(1)
	v_mul_f64 v[162:163], v[152:153], v[86:87]
	v_fma_f64 v[4:5], v[132:133], v[76:77], -v[4:5]
	v_fmac_f64_e32 v[162:163], v[154:155], v[88:89]
	v_add_f64 v[2:3], v[2:3], v[4:5]
	v_mul_f64 v[4:5], v[138:139], v[70:71]
	v_add_f64 v[164:165], v[160:161], v[162:163]
	ds_read_b128 v[160:163], v114 offset:1328
	s_waitcnt vmcnt(26) lgkmcnt(1)
	v_mul_f64 v[166:167], v[156:157], v[98:99]
	v_fma_f64 v[4:5], v[136:137], v[72:73], -v[4:5]
	s_waitcnt vmcnt(24)
	v_fmac_f64_e32 v[166:167], v[158:159], v[100:101]
	v_add_f64 v[2:3], v[2:3], v[4:5]
	v_mul_f64 v[4:5], v[142:143], v[82:83]
	v_add_f64 v[168:169], v[164:165], v[166:167]
	ds_read_b128 v[164:167], v114 offset:1344
	v_fma_f64 v[4:5], v[140:141], v[84:85], -v[4:5]
	v_add_f64 v[2:3], v[2:3], v[4:5]
	v_mul_f64 v[4:5], v[146:147], v[78:79]
	v_fma_f64 v[4:5], v[144:145], v[80:81], -v[4:5]
	s_waitcnt lgkmcnt(1)
	v_mul_f64 v[170:171], v[160:161], v[94:95]
	v_add_f64 v[2:3], v[2:3], v[4:5]
	v_mul_f64 v[4:5], v[150:151], v[90:91]
	v_fmac_f64_e32 v[170:171], v[162:163], v[96:97]
	v_fma_f64 v[4:5], v[148:149], v[92:93], -v[4:5]
	v_add_f64 v[172:173], v[168:169], v[170:171]
	ds_read_b128 v[168:171], v114 offset:1360
	s_waitcnt vmcnt(18) lgkmcnt(1)
	v_mul_f64 v[174:175], v[164:165], v[188:189]
	v_add_f64 v[2:3], v[2:3], v[4:5]
	v_mul_f64 v[4:5], v[154:155], v[86:87]
	s_waitcnt vmcnt(16)
	v_fmac_f64_e32 v[174:175], v[166:167], v[190:191]
	v_fma_f64 v[4:5], v[152:153], v[88:89], -v[4:5]
	v_add_f64 v[176:177], v[172:173], v[174:175]
	ds_read_b128 v[172:175], v114 offset:1376
	v_add_f64 v[2:3], v[2:3], v[4:5]
	v_mul_f64 v[4:5], v[158:159], v[98:99]
	v_fma_f64 v[4:5], v[156:157], v[100:101], -v[4:5]
	v_add_f64 v[2:3], v[2:3], v[4:5]
	v_mul_f64 v[4:5], v[162:163], v[94:95]
	s_waitcnt lgkmcnt(1)
	v_mul_f64 v[178:179], v[168:169], v[116:117]
	v_fma_f64 v[4:5], v[160:161], v[96:97], -v[4:5]
	v_fmac_f64_e32 v[178:179], v[170:171], v[118:119]
	v_add_f64 v[2:3], v[2:3], v[4:5]
	v_mul_f64 v[4:5], v[166:167], v[188:189]
	v_add_f64 v[180:181], v[176:177], v[178:179]
	ds_read_b128 v[176:179], v114 offset:1392
	s_waitcnt vmcnt(10) lgkmcnt(1)
	v_mul_f64 v[182:183], v[172:173], v[196:197]
	v_fma_f64 v[4:5], v[164:165], v[190:191], -v[4:5]
	s_waitcnt vmcnt(8)
	v_fmac_f64_e32 v[182:183], v[174:175], v[198:199]
	v_add_f64 v[2:3], v[2:3], v[4:5]
	v_mul_f64 v[4:5], v[170:171], v[116:117]
	v_add_f64 v[208:209], v[180:181], v[182:183]
	ds_read_b128 v[180:183], v114 offset:1408
	ds_read_b128 v[184:187], v114 offset:1424
	v_fma_f64 v[4:5], v[168:169], v[118:119], -v[4:5]
	v_add_f64 v[2:3], v[2:3], v[4:5]
	v_mul_f64 v[4:5], v[174:175], v[196:197]
	v_fma_f64 v[4:5], v[172:173], v[198:199], -v[4:5]
	v_add_f64 v[2:3], v[2:3], v[4:5]
	s_waitcnt lgkmcnt(2)
	v_mul_f64 v[4:5], v[178:179], v[192:193]
	v_mul_f64 v[210:211], v[176:177], v[192:193]
	v_fma_f64 v[4:5], v[176:177], v[194:195], -v[4:5]
	v_fmac_f64_e32 v[210:211], v[178:179], v[194:195]
	v_add_f64 v[2:3], v[2:3], v[4:5]
	s_waitcnt vmcnt(2) lgkmcnt(1)
	v_mul_f64 v[4:5], v[182:183], v[204:205]
	v_add_f64 v[208:209], v[208:209], v[210:211]
	v_mul_f64 v[210:211], v[180:181], v[204:205]
	s_waitcnt vmcnt(0)
	v_fma_f64 v[4:5], v[180:181], v[206:207], -v[4:5]
	v_fmac_f64_e32 v[210:211], v[182:183], v[206:207]
	v_add_f64 v[2:3], v[2:3], v[4:5]
	s_waitcnt lgkmcnt(0)
	v_mul_f64 v[4:5], v[186:187], v[200:201]
	v_add_f64 v[208:209], v[208:209], v[210:211]
	v_mul_f64 v[210:211], v[184:185], v[200:201]
	v_fma_f64 v[4:5], v[184:185], v[202:203], -v[4:5]
	v_fmac_f64_e32 v[210:211], v[186:187], v[202:203]
	v_add_f64 v[2:3], v[2:3], v[4:5]
	v_add_f64 v[208:209], v[208:209], v[210:211]
	v_add_f64 v[2:3], v[34:35], -v[2:3]
	v_add_f64 v[4:5], v[32:33], -v[208:209]
	buffer_store_dword v3, off, s[0:3], 0 offset:324
	buffer_store_dword v2, off, s[0:3], 0 offset:320
	buffer_store_dword v5, off, s[0:3], 0 offset:332
	buffer_store_dword v4, off, s[0:3], 0 offset:328
	s_and_saveexec_b64 s[4:5], vcc
	s_cbranch_execz .LBB44_247
; %bb.246:
	v_accvgpr_read_b32 v0, a116
	buffer_load_dword v2, v0, s[0:3], 0 offen
	buffer_load_dword v3, v0, s[0:3], 0 offen offset:4
	buffer_load_dword v4, v0, s[0:3], 0 offen offset:8
	;; [unrolled: 1-line block ×3, first 2 shown]
	v_accvgpr_read_b32 v0, a135
	buffer_store_dword v114, off, s[0:3], 0 offset:304
	buffer_store_dword v114, off, s[0:3], 0 offset:308
	;; [unrolled: 1-line block ×4, first 2 shown]
	s_waitcnt vmcnt(4)
	ds_write_b128 v0, v[2:5]
.LBB44_247:
	s_or_b64 exec, exec, s[4:5]
	s_waitcnt lgkmcnt(0)
	; wave barrier
	s_waitcnt lgkmcnt(0)
	buffer_load_dword v26, off, s[0:3], 0 offset:320
	buffer_load_dword v27, off, s[0:3], 0 offset:324
	;; [unrolled: 1-line block ×24, first 2 shown]
	ds_read_b128 v[22:25], v114 offset:1024
	ds_read_b128 v[18:21], v114 offset:1040
	;; [unrolled: 1-line block ×6, first 2 shown]
	buffer_load_dword v51, off, s[0:3], 0 offset:428
	buffer_load_dword v50, off, s[0:3], 0 offset:424
	buffer_load_dword v53, off, s[0:3], 0 offset:420
	buffer_load_dword v52, off, s[0:3], 0 offset:416
	buffer_load_dword v55, off, s[0:3], 0 offset:412
	buffer_load_dword v54, off, s[0:3], 0 offset:408
	buffer_load_dword v57, off, s[0:3], 0 offset:404
	buffer_load_dword v56, off, s[0:3], 0 offset:400
	buffer_load_dword v59, off, s[0:3], 0 offset:460
	buffer_load_dword v58, off, s[0:3], 0 offset:456
	buffer_load_dword v61, off, s[0:3], 0 offset:452
	buffer_load_dword v60, off, s[0:3], 0 offset:448
	buffer_load_dword v63, off, s[0:3], 0 offset:444
	buffer_load_dword v62, off, s[0:3], 0 offset:440
	buffer_load_dword v65, off, s[0:3], 0 offset:436
	buffer_load_dword v64, off, s[0:3], 0 offset:432
	buffer_load_dword v67, off, s[0:3], 0 offset:492
	buffer_load_dword v66, off, s[0:3], 0 offset:488
	buffer_load_dword v69, off, s[0:3], 0 offset:484
	buffer_load_dword v68, off, s[0:3], 0 offset:480
	buffer_load_dword v71, off, s[0:3], 0 offset:476
	buffer_load_dword v70, off, s[0:3], 0 offset:472
	buffer_load_dword v73, off, s[0:3], 0 offset:468
	buffer_load_dword v72, off, s[0:3], 0 offset:464
	buffer_load_dword v75, off, s[0:3], 0 offset:524
	buffer_load_dword v74, off, s[0:3], 0 offset:520
	buffer_load_dword v77, off, s[0:3], 0 offset:516
	buffer_load_dword v76, off, s[0:3], 0 offset:512
	buffer_load_dword v79, off, s[0:3], 0 offset:508
	buffer_load_dword v78, off, s[0:3], 0 offset:504
	buffer_load_dword v81, off, s[0:3], 0 offset:500
	buffer_load_dword v80, off, s[0:3], 0 offset:496
	buffer_load_dword v83, off, s[0:3], 0 offset:556
	buffer_load_dword v82, off, s[0:3], 0 offset:552
	buffer_load_dword v85, off, s[0:3], 0 offset:548
	buffer_load_dword v84, off, s[0:3], 0 offset:544
	buffer_load_dword v87, off, s[0:3], 0 offset:540
	buffer_load_dword v86, off, s[0:3], 0 offset:536
	buffer_load_dword v89, off, s[0:3], 0 offset:532
	buffer_load_dword v88, off, s[0:3], 0 offset:528
	v_cmp_lt_u32_e32 vcc, 17, v255
	s_waitcnt vmcnt(60) lgkmcnt(5)
	v_mul_f64 v[90:91], v[22:23], v[28:29]
	v_fmac_f64_e32 v[90:91], v[24:25], v[26:27]
	s_waitcnt vmcnt(58) lgkmcnt(4)
	v_mul_f64 v[92:93], v[18:19], v[30:31]
	v_add_f64 v[90:91], v[90:91], 0
	s_waitcnt vmcnt(56) lgkmcnt(3)
	v_mul_f64 v[94:95], v[10:11], v[32:33]
	v_mul_f64 v[24:25], v[24:25], v[28:29]
	v_fma_f64 v[22:23], v[22:23], v[26:27], -v[24:25]
	s_waitcnt vmcnt(54) lgkmcnt(1)
	v_mul_f64 v[116:117], v[2:3], v[38:39]
	v_add_f64 v[22:23], v[22:23], 0
	s_waitcnt vmcnt(51)
	v_mul_f64 v[96:97], v[6:7], v[42:43]
	s_waitcnt vmcnt(49)
	v_fmac_f64_e32 v[92:93], v[20:21], v[48:49]
	v_add_f64 v[90:91], v[90:91], v[92:93]
	s_waitcnt vmcnt(47)
	v_fmac_f64_e32 v[94:95], v[12:13], v[46:47]
	v_add_f64 v[90:91], v[90:91], v[94:95]
	s_waitcnt vmcnt(45)
	v_fmac_f64_e32 v[96:97], v[8:9], v[44:45]
	v_add_f64 v[118:119], v[90:91], v[96:97]
	buffer_load_dword v91, off, s[0:3], 0 offset:588
	buffer_load_dword v90, off, s[0:3], 0 offset:584
	;; [unrolled: 1-line block ×40, first 2 shown]
	ds_read_b128 v[120:123], v114 offset:1120
	buffer_load_dword v213, off, s[0:3], 0 offset:732
	buffer_load_dword v212, off, s[0:3], 0 offset:728
	;; [unrolled: 1-line block ×4, first 2 shown]
	v_mul_f64 v[20:21], v[20:21], v[30:31]
	v_fma_f64 v[18:19], v[18:19], v[48:49], -v[20:21]
	v_mul_f64 v[12:13], v[12:13], v[32:33]
	s_waitcnt vmcnt(62)
	v_fmac_f64_e32 v[116:117], v[4:5], v[40:41]
	ds_read_b128 v[124:127], v114 offset:1136
	ds_read_b128 v[128:131], v114 offset:1152
	v_add_f64 v[18:19], v[22:23], v[18:19]
	v_fma_f64 v[10:11], v[10:11], v[46:47], -v[12:13]
	v_mul_f64 v[8:9], v[8:9], v[42:43]
	v_add_f64 v[116:117], v[118:119], v[116:117]
	s_waitcnt lgkmcnt(3)
	v_mul_f64 v[118:119], v[14:15], v[54:55]
	v_add_f64 v[10:11], v[18:19], v[10:11]
	v_fma_f64 v[6:7], v[6:7], v[44:45], -v[8:9]
	v_mul_f64 v[4:5], v[4:5], v[38:39]
	v_fmac_f64_e32 v[118:119], v[16:17], v[56:57]
	v_add_f64 v[6:7], v[10:11], v[6:7]
	v_fma_f64 v[2:3], v[2:3], v[40:41], -v[4:5]
	v_mul_f64 v[4:5], v[16:17], v[54:55]
	v_add_f64 v[116:117], v[116:117], v[118:119]
	s_waitcnt lgkmcnt(2)
	v_mul_f64 v[118:119], v[120:121], v[50:51]
	v_add_f64 v[2:3], v[6:7], v[2:3]
	v_fma_f64 v[4:5], v[14:15], v[56:57], -v[4:5]
	v_fmac_f64_e32 v[118:119], v[122:123], v[52:53]
	ds_read_b128 v[132:135], v114 offset:1168
	ds_read_b128 v[136:139], v114 offset:1184
	v_add_f64 v[2:3], v[2:3], v[4:5]
	v_mul_f64 v[4:5], v[122:123], v[50:51]
	v_add_f64 v[116:117], v[116:117], v[118:119]
	s_waitcnt lgkmcnt(3)
	v_mul_f64 v[118:119], v[124:125], v[62:63]
	v_fma_f64 v[4:5], v[120:121], v[52:53], -v[4:5]
	v_fmac_f64_e32 v[118:119], v[126:127], v[64:65]
	v_add_f64 v[2:3], v[2:3], v[4:5]
	v_mul_f64 v[4:5], v[126:127], v[62:63]
	v_add_f64 v[116:117], v[116:117], v[118:119]
	s_waitcnt lgkmcnt(2)
	v_mul_f64 v[118:119], v[128:129], v[58:59]
	v_fma_f64 v[4:5], v[124:125], v[64:65], -v[4:5]
	v_fmac_f64_e32 v[118:119], v[130:131], v[60:61]
	ds_read_b128 v[140:143], v114 offset:1200
	ds_read_b128 v[144:147], v114 offset:1216
	v_add_f64 v[2:3], v[2:3], v[4:5]
	v_mul_f64 v[4:5], v[130:131], v[58:59]
	v_add_f64 v[116:117], v[116:117], v[118:119]
	s_waitcnt lgkmcnt(3)
	v_mul_f64 v[118:119], v[132:133], v[70:71]
	v_fma_f64 v[4:5], v[128:129], v[60:61], -v[4:5]
	s_waitcnt vmcnt(60)
	v_fmac_f64_e32 v[118:119], v[134:135], v[72:73]
	v_add_f64 v[2:3], v[2:3], v[4:5]
	v_mul_f64 v[4:5], v[134:135], v[70:71]
	v_add_f64 v[116:117], v[116:117], v[118:119]
	s_waitcnt lgkmcnt(2)
	v_mul_f64 v[118:119], v[136:137], v[66:67]
	v_fma_f64 v[4:5], v[132:133], v[72:73], -v[4:5]
	v_fmac_f64_e32 v[118:119], v[138:139], v[68:69]
	ds_read_b128 v[148:151], v114 offset:1232
	ds_read_b128 v[152:155], v114 offset:1248
	v_add_f64 v[2:3], v[2:3], v[4:5]
	v_mul_f64 v[4:5], v[138:139], v[66:67]
	v_add_f64 v[116:117], v[116:117], v[118:119]
	s_waitcnt vmcnt(54) lgkmcnt(3)
	v_mul_f64 v[118:119], v[140:141], v[78:79]
	v_fma_f64 v[4:5], v[136:137], v[68:69], -v[4:5]
	s_waitcnt vmcnt(52)
	v_fmac_f64_e32 v[118:119], v[142:143], v[80:81]
	v_add_f64 v[2:3], v[2:3], v[4:5]
	v_mul_f64 v[4:5], v[142:143], v[78:79]
	v_add_f64 v[116:117], v[116:117], v[118:119]
	s_waitcnt lgkmcnt(2)
	v_mul_f64 v[118:119], v[144:145], v[74:75]
	v_fma_f64 v[4:5], v[140:141], v[80:81], -v[4:5]
	v_fmac_f64_e32 v[118:119], v[146:147], v[76:77]
	ds_read_b128 v[156:159], v114 offset:1264
	ds_read_b128 v[160:163], v114 offset:1280
	v_add_f64 v[2:3], v[2:3], v[4:5]
	v_mul_f64 v[4:5], v[146:147], v[74:75]
	v_add_f64 v[116:117], v[116:117], v[118:119]
	s_waitcnt vmcnt(46) lgkmcnt(3)
	;; [unrolled: 17-line block ×5, first 2 shown]
	v_mul_f64 v[118:119], v[172:173], v[110:111]
	v_fma_f64 v[4:5], v[168:169], v[100:101], -v[4:5]
	s_waitcnt vmcnt(20)
	v_fmac_f64_e32 v[118:119], v[174:175], v[112:113]
	v_add_f64 v[2:3], v[2:3], v[4:5]
	v_mul_f64 v[4:5], v[174:175], v[110:111]
	v_add_f64 v[116:117], v[116:117], v[118:119]
	s_waitcnt lgkmcnt(2)
	v_mul_f64 v[118:119], v[176:177], v[106:107]
	v_fma_f64 v[4:5], v[172:173], v[112:113], -v[4:5]
	v_fmac_f64_e32 v[118:119], v[178:179], v[108:109]
	v_add_f64 v[2:3], v[2:3], v[4:5]
	v_mul_f64 v[4:5], v[178:179], v[106:107]
	v_add_f64 v[116:117], v[116:117], v[118:119]
	s_waitcnt vmcnt(14) lgkmcnt(1)
	v_mul_f64 v[118:119], v[180:181], v[200:201]
	ds_read_b128 v[188:191], v114 offset:1392
	ds_read_b128 v[192:195], v114 offset:1408
	v_fma_f64 v[4:5], v[176:177], v[108:109], -v[4:5]
	s_waitcnt vmcnt(12)
	v_fmac_f64_e32 v[118:119], v[182:183], v[202:203]
	v_add_f64 v[2:3], v[2:3], v[4:5]
	v_mul_f64 v[4:5], v[182:183], v[200:201]
	v_add_f64 v[116:117], v[116:117], v[118:119]
	s_waitcnt lgkmcnt(2)
	v_mul_f64 v[118:119], v[184:185], v[196:197]
	v_fma_f64 v[4:5], v[180:181], v[202:203], -v[4:5]
	v_fmac_f64_e32 v[118:119], v[186:187], v[198:199]
	v_add_f64 v[2:3], v[2:3], v[4:5]
	v_mul_f64 v[4:5], v[186:187], v[196:197]
	v_add_f64 v[118:119], v[116:117], v[118:119]
	ds_read_b128 v[114:117], v114 offset:1424
	v_fma_f64 v[4:5], v[184:185], v[198:199], -v[4:5]
	v_add_f64 v[2:3], v[2:3], v[4:5]
	s_waitcnt vmcnt(6) lgkmcnt(2)
	v_mul_f64 v[4:5], v[190:191], v[208:209]
	v_mul_f64 v[216:217], v[188:189], v[208:209]
	s_waitcnt vmcnt(4)
	v_fma_f64 v[4:5], v[188:189], v[210:211], -v[4:5]
	v_fmac_f64_e32 v[216:217], v[190:191], v[210:211]
	v_add_f64 v[2:3], v[2:3], v[4:5]
	s_waitcnt lgkmcnt(1)
	v_mul_f64 v[4:5], v[194:195], v[204:205]
	v_add_f64 v[118:119], v[118:119], v[216:217]
	v_mul_f64 v[216:217], v[192:193], v[204:205]
	v_fma_f64 v[4:5], v[192:193], v[206:207], -v[4:5]
	v_fmac_f64_e32 v[216:217], v[194:195], v[206:207]
	v_add_f64 v[2:3], v[2:3], v[4:5]
	s_waitcnt vmcnt(2) lgkmcnt(0)
	v_mul_f64 v[4:5], v[116:117], v[212:213]
	v_add_f64 v[118:119], v[118:119], v[216:217]
	v_mul_f64 v[216:217], v[114:115], v[212:213]
	s_waitcnt vmcnt(0)
	v_fma_f64 v[4:5], v[114:115], v[214:215], -v[4:5]
	v_fmac_f64_e32 v[216:217], v[116:117], v[214:215]
	v_add_f64 v[2:3], v[2:3], v[4:5]
	v_add_f64 v[118:119], v[118:119], v[216:217]
	v_add_f64 v[2:3], v[36:37], -v[2:3]
	v_add_f64 v[4:5], v[34:35], -v[118:119]
	buffer_store_dword v3, off, s[0:3], 0 offset:308
	buffer_store_dword v2, off, s[0:3], 0 offset:304
	;; [unrolled: 1-line block ×4, first 2 shown]
	s_and_saveexec_b64 s[4:5], vcc
	s_cbranch_execz .LBB44_249
; %bb.248:
	v_accvgpr_read_b32 v0, a117
	buffer_load_dword v2, v0, s[0:3], 0 offen
	buffer_load_dword v3, v0, s[0:3], 0 offen offset:4
	buffer_load_dword v4, v0, s[0:3], 0 offen offset:8
	;; [unrolled: 1-line block ×3, first 2 shown]
	v_mov_b32_e32 v0, 0
	v_accvgpr_read_b32 v1, a135
	buffer_store_dword v0, off, s[0:3], 0 offset:288
	buffer_store_dword v0, off, s[0:3], 0 offset:292
	;; [unrolled: 1-line block ×4, first 2 shown]
	s_waitcnt vmcnt(4)
	ds_write_b128 v1, v[2:5]
.LBB44_249:
	s_or_b64 exec, exec, s[4:5]
	s_waitcnt lgkmcnt(0)
	; wave barrier
	s_waitcnt lgkmcnt(0)
	buffer_load_dword v30, off, s[0:3], 0 offset:304
	buffer_load_dword v31, off, s[0:3], 0 offset:308
	buffer_load_dword v34, off, s[0:3], 0 offset:312
	buffer_load_dword v35, off, s[0:3], 0 offset:316
	buffer_load_dword v32, off, s[0:3], 0 offset:320
	buffer_load_dword v33, off, s[0:3], 0 offset:324
	buffer_load_dword v36, off, s[0:3], 0 offset:328
	buffer_load_dword v37, off, s[0:3], 0 offset:332
	buffer_load_dword v38, off, s[0:3], 0 offset:344
	buffer_load_dword v39, off, s[0:3], 0 offset:348
	buffer_load_dword v41, off, s[0:3], 0 offset:380
	buffer_load_dword v40, off, s[0:3], 0 offset:376
	buffer_load_dword v43, off, s[0:3], 0 offset:372
	buffer_load_dword v42, off, s[0:3], 0 offset:368
	buffer_load_dword v49, off, s[0:3], 0 offset:364
	buffer_load_dword v48, off, s[0:3], 0 offset:360
	buffer_load_dword v51, off, s[0:3], 0 offset:412
	buffer_load_dword v53, off, s[0:3], 0 offset:404
	buffer_load_dword v55, off, s[0:3], 0 offset:396
	buffer_load_dword v54, off, s[0:3], 0 offset:392
	buffer_load_dword v60, off, s[0:3], 0 offset:336
	buffer_load_dword v61, off, s[0:3], 0 offset:340
	buffer_load_dword v59, off, s[0:3], 0 offset:356
	buffer_load_dword v58, off, s[0:3], 0 offset:352
	buffer_load_dword v57, off, s[0:3], 0 offset:388
	buffer_load_dword v56, off, s[0:3], 0 offset:384
	buffer_load_dword v50, off, s[0:3], 0 offset:408
	buffer_load_dword v52, off, s[0:3], 0 offset:400
	buffer_load_dword v46, off, s[0:3], 0 offset:288
	buffer_load_dword v47, off, s[0:3], 0 offset:292
	buffer_load_dword v44, off, s[0:3], 0 offset:296
	buffer_load_dword v45, off, s[0:3], 0 offset:300
	buffer_load_dword v63, off, s[0:3], 0 offset:444
	buffer_load_dword v62, off, s[0:3], 0 offset:440
	buffer_load_dword v65, off, s[0:3], 0 offset:436
	buffer_load_dword v64, off, s[0:3], 0 offset:432
	buffer_load_dword v67, off, s[0:3], 0 offset:428
	buffer_load_dword v66, off, s[0:3], 0 offset:424
	buffer_load_dword v69, off, s[0:3], 0 offset:420
	buffer_load_dword v68, off, s[0:3], 0 offset:416
	buffer_load_dword v71, off, s[0:3], 0 offset:476
	buffer_load_dword v70, off, s[0:3], 0 offset:472
	buffer_load_dword v73, off, s[0:3], 0 offset:468
	buffer_load_dword v72, off, s[0:3], 0 offset:464
	buffer_load_dword v75, off, s[0:3], 0 offset:460
	buffer_load_dword v74, off, s[0:3], 0 offset:456
	buffer_load_dword v77, off, s[0:3], 0 offset:452
	buffer_load_dword v76, off, s[0:3], 0 offset:448
	buffer_load_dword v79, off, s[0:3], 0 offset:508
	buffer_load_dword v78, off, s[0:3], 0 offset:504
	buffer_load_dword v81, off, s[0:3], 0 offset:500
	buffer_load_dword v80, off, s[0:3], 0 offset:496
	buffer_load_dword v83, off, s[0:3], 0 offset:492
	buffer_load_dword v82, off, s[0:3], 0 offset:488
	buffer_load_dword v85, off, s[0:3], 0 offset:484
	buffer_load_dword v84, off, s[0:3], 0 offset:480
	v_mov_b32_e32 v136, 0
	ds_read_b128 v[26:29], v136 offset:1008
	ds_read_b128 v[22:25], v136 offset:1024
	;; [unrolled: 1-line block ×7, first 2 shown]
	v_cmp_lt_u32_e32 vcc, 16, v255
	s_waitcnt vmcnt(52) lgkmcnt(6)
	v_mul_f64 v[86:87], v[26:27], v[34:35]
	v_fmac_f64_e32 v[86:87], v[28:29], v[30:31]
	v_add_f64 v[86:87], v[86:87], 0
	v_mul_f64 v[28:29], v[28:29], v[34:35]
	s_waitcnt vmcnt(48) lgkmcnt(5)
	v_mul_f64 v[88:89], v[22:23], v[36:37]
	v_fmac_f64_e32 v[88:89], v[24:25], v[32:33]
	s_waitcnt vmcnt(46) lgkmcnt(4)
	v_mul_f64 v[90:91], v[18:19], v[38:39]
	v_add_f64 v[86:87], v[86:87], v[88:89]
	s_waitcnt vmcnt(44) lgkmcnt(2)
	v_mul_f64 v[94:95], v[10:11], v[40:41]
	v_fma_f64 v[26:27], v[26:27], v[30:31], -v[28:29]
	s_waitcnt vmcnt(42)
	v_fmac_f64_e32 v[94:95], v[12:13], v[42:43]
	v_mul_f64 v[24:25], v[24:25], v[36:37]
	s_waitcnt vmcnt(40)
	v_mul_f64 v[92:93], v[14:15], v[48:49]
	v_add_f64 v[26:27], v[26:27], 0
	v_fma_f64 v[22:23], v[22:23], v[32:33], -v[24:25]
	v_add_f64 v[22:23], v[26:27], v[22:23]
	s_waitcnt vmcnt(36) lgkmcnt(1)
	v_mul_f64 v[110:111], v[6:7], v[54:55]
	v_mul_f64 v[12:13], v[12:13], v[40:41]
	s_waitcnt vmcnt(34)
	v_fmac_f64_e32 v[90:91], v[20:21], v[60:61]
	v_add_f64 v[86:87], v[86:87], v[90:91]
	s_waitcnt vmcnt(32)
	v_fmac_f64_e32 v[92:93], v[16:17], v[58:59]
	v_add_f64 v[86:87], v[86:87], v[92:93]
	v_add_f64 v[116:117], v[86:87], v[94:95]
	buffer_load_dword v87, off, s[0:3], 0 offset:540
	buffer_load_dword v86, off, s[0:3], 0 offset:536
	;; [unrolled: 1-line block ×56, first 2 shown]
	ds_read_b128 v[126:129], v136 offset:1120
	ds_read_b128 v[130:133], v136 offset:1136
	v_mul_f64 v[20:21], v[20:21], v[38:39]
	v_fma_f64 v[18:19], v[18:19], v[60:61], -v[20:21]
	v_mul_f64 v[16:17], v[16:17], v[48:49]
	s_waitcnt vmcnt(62)
	v_fmac_f64_e32 v[110:111], v[8:9], v[56:57]
	v_add_f64 v[18:19], v[22:23], v[18:19]
	v_fma_f64 v[14:15], v[14:15], v[58:59], -v[16:17]
	v_add_f64 v[110:111], v[116:117], v[110:111]
	s_waitcnt lgkmcnt(2)
	v_mul_f64 v[116:117], v[2:3], v[50:51]
	v_add_f64 v[14:15], v[18:19], v[14:15]
	v_fma_f64 v[10:11], v[10:11], v[42:43], -v[12:13]
	v_mul_f64 v[8:9], v[8:9], v[54:55]
	v_fmac_f64_e32 v[116:117], v[4:5], v[52:53]
	ds_read_b128 v[138:141], v136 offset:1152
	ds_read_b128 v[142:145], v136 offset:1168
	v_add_f64 v[10:11], v[14:15], v[10:11]
	v_fma_f64 v[6:7], v[6:7], v[56:57], -v[8:9]
	v_mul_f64 v[4:5], v[4:5], v[50:51]
	v_add_f64 v[6:7], v[10:11], v[6:7]
	v_fma_f64 v[2:3], v[2:3], v[52:53], -v[4:5]
	s_waitcnt lgkmcnt(3)
	v_mul_f64 v[4:5], v[128:129], v[66:67]
	v_add_f64 v[110:111], v[110:111], v[116:117]
	v_mul_f64 v[116:117], v[126:127], v[66:67]
	v_add_f64 v[2:3], v[6:7], v[2:3]
	v_fma_f64 v[4:5], v[126:127], v[68:69], -v[4:5]
	v_fmac_f64_e32 v[116:117], v[128:129], v[68:69]
	v_add_f64 v[2:3], v[2:3], v[4:5]
	s_waitcnt lgkmcnt(2)
	v_mul_f64 v[4:5], v[132:133], v[62:63]
	v_add_f64 v[110:111], v[110:111], v[116:117]
	v_mul_f64 v[116:117], v[130:131], v[62:63]
	ds_read_b128 v[146:149], v136 offset:1184
	ds_read_b128 v[150:153], v136 offset:1200
	v_fma_f64 v[4:5], v[130:131], v[64:65], -v[4:5]
	v_fmac_f64_e32 v[116:117], v[132:133], v[64:65]
	v_add_f64 v[2:3], v[2:3], v[4:5]
	s_waitcnt lgkmcnt(3)
	v_mul_f64 v[4:5], v[140:141], v[74:75]
	v_add_f64 v[110:111], v[110:111], v[116:117]
	v_mul_f64 v[116:117], v[138:139], v[74:75]
	v_fma_f64 v[4:5], v[138:139], v[76:77], -v[4:5]
	v_fmac_f64_e32 v[116:117], v[140:141], v[76:77]
	v_add_f64 v[2:3], v[2:3], v[4:5]
	s_waitcnt lgkmcnt(2)
	v_mul_f64 v[4:5], v[144:145], v[70:71]
	v_add_f64 v[110:111], v[110:111], v[116:117]
	v_mul_f64 v[116:117], v[142:143], v[70:71]
	ds_read_b128 v[154:157], v136 offset:1216
	ds_read_b128 v[158:161], v136 offset:1232
	v_fma_f64 v[4:5], v[142:143], v[72:73], -v[4:5]
	v_fmac_f64_e32 v[116:117], v[144:145], v[72:73]
	v_add_f64 v[2:3], v[2:3], v[4:5]
	s_waitcnt vmcnt(58) lgkmcnt(3)
	v_mul_f64 v[4:5], v[148:149], v[82:83]
	v_add_f64 v[110:111], v[110:111], v[116:117]
	v_mul_f64 v[116:117], v[146:147], v[82:83]
	s_waitcnt vmcnt(56)
	v_fma_f64 v[4:5], v[146:147], v[84:85], -v[4:5]
	v_fmac_f64_e32 v[116:117], v[148:149], v[84:85]
	v_add_f64 v[2:3], v[2:3], v[4:5]
	s_waitcnt lgkmcnt(2)
	v_mul_f64 v[4:5], v[152:153], v[78:79]
	v_add_f64 v[110:111], v[110:111], v[116:117]
	v_mul_f64 v[116:117], v[150:151], v[78:79]
	ds_read_b128 v[162:165], v136 offset:1248
	ds_read_b128 v[166:169], v136 offset:1264
	v_fma_f64 v[4:5], v[150:151], v[80:81], -v[4:5]
	v_fmac_f64_e32 v[116:117], v[152:153], v[80:81]
	v_add_f64 v[2:3], v[2:3], v[4:5]
	s_waitcnt vmcnt(50) lgkmcnt(3)
	v_mul_f64 v[4:5], v[156:157], v[90:91]
	v_add_f64 v[110:111], v[110:111], v[116:117]
	v_mul_f64 v[116:117], v[154:155], v[90:91]
	s_waitcnt vmcnt(48)
	;; [unrolled: 17-line block ×7, first 2 shown]
	v_fma_f64 v[4:5], v[194:195], v[206:207], -v[4:5]
	v_fmac_f64_e32 v[116:117], v[196:197], v[206:207]
	v_add_f64 v[2:3], v[2:3], v[4:5]
	s_waitcnt lgkmcnt(2)
	v_mul_f64 v[4:5], v[210:211], v[200:201]
	v_add_f64 v[110:111], v[110:111], v[116:117]
	v_mul_f64 v[116:117], v[208:209], v[200:201]
	v_fma_f64 v[4:5], v[208:209], v[202:203], -v[4:5]
	v_fmac_f64_e32 v[116:117], v[210:211], v[202:203]
	v_add_f64 v[2:3], v[2:3], v[4:5]
	s_waitcnt vmcnt(2) lgkmcnt(1)
	v_mul_f64 v[4:5], v[214:215], v[224:225]
	v_add_f64 v[110:111], v[110:111], v[116:117]
	v_mul_f64 v[116:117], v[212:213], v[224:225]
	s_waitcnt vmcnt(0)
	v_fma_f64 v[4:5], v[212:213], v[226:227], -v[4:5]
	v_fmac_f64_e32 v[116:117], v[214:215], v[226:227]
	v_add_f64 v[2:3], v[2:3], v[4:5]
	s_waitcnt lgkmcnt(0)
	v_mul_f64 v[4:5], v[218:219], v[220:221]
	v_add_f64 v[110:111], v[110:111], v[116:117]
	v_mul_f64 v[116:117], v[216:217], v[220:221]
	v_fma_f64 v[4:5], v[216:217], v[222:223], -v[4:5]
	v_fmac_f64_e32 v[116:117], v[218:219], v[222:223]
	v_add_f64 v[2:3], v[2:3], v[4:5]
	v_add_f64 v[110:111], v[110:111], v[116:117]
	v_add_f64 v[2:3], v[46:47], -v[2:3]
	v_add_f64 v[4:5], v[44:45], -v[110:111]
	buffer_store_dword v3, off, s[0:3], 0 offset:292
	buffer_store_dword v2, off, s[0:3], 0 offset:288
	;; [unrolled: 1-line block ×4, first 2 shown]
	s_and_saveexec_b64 s[4:5], vcc
	s_cbranch_execz .LBB44_251
; %bb.250:
	v_accvgpr_read_b32 v0, a118
	buffer_load_dword v2, v0, s[0:3], 0 offen
	buffer_load_dword v3, v0, s[0:3], 0 offen offset:4
	buffer_load_dword v4, v0, s[0:3], 0 offen offset:8
	;; [unrolled: 1-line block ×3, first 2 shown]
	v_accvgpr_read_b32 v0, a135
	buffer_store_dword v136, off, s[0:3], 0 offset:272
	buffer_store_dword v136, off, s[0:3], 0 offset:276
	;; [unrolled: 1-line block ×4, first 2 shown]
	s_waitcnt vmcnt(4)
	ds_write_b128 v0, v[2:5]
.LBB44_251:
	s_or_b64 exec, exec, s[4:5]
	s_waitcnt lgkmcnt(0)
	; wave barrier
	s_waitcnt lgkmcnt(0)
	buffer_load_dword v34, off, s[0:3], 0 offset:288
	buffer_load_dword v35, off, s[0:3], 0 offset:292
	;; [unrolled: 1-line block ×32, first 2 shown]
	ds_read_b128 v[30:33], v136 offset:992
	ds_read_b128 v[26:29], v136 offset:1008
	;; [unrolled: 1-line block ×8, first 2 shown]
	buffer_load_dword v67, off, s[0:3], 0 offset:428
	buffer_load_dword v66, off, s[0:3], 0 offset:424
	;; [unrolled: 1-line block ×24, first 2 shown]
	v_cmp_lt_u32_e32 vcc, 15, v255
	s_waitcnt vmcnt(52) lgkmcnt(7)
	v_mul_f64 v[90:91], v[30:31], v[38:39]
	v_fmac_f64_e32 v[90:91], v[32:33], v[34:35]
	v_add_f64 v[90:91], v[90:91], 0
	v_mul_f64 v[32:33], v[32:33], v[38:39]
	s_waitcnt vmcnt(48) lgkmcnt(6)
	v_mul_f64 v[92:93], v[26:27], v[40:41]
	v_fmac_f64_e32 v[92:93], v[28:29], v[36:37]
	s_waitcnt vmcnt(46) lgkmcnt(5)
	v_mul_f64 v[94:95], v[22:23], v[42:43]
	v_add_f64 v[90:91], v[90:91], v[92:93]
	s_waitcnt vmcnt(44) lgkmcnt(4)
	v_mul_f64 v[96:97], v[18:19], v[48:49]
	v_fma_f64 v[30:31], v[30:31], v[34:35], -v[32:33]
	s_waitcnt vmcnt(42) lgkmcnt(1)
	v_mul_f64 v[124:125], v[2:3], v[50:51]
	v_mul_f64 v[28:29], v[28:29], v[40:41]
	s_waitcnt vmcnt(18) lgkmcnt(0)
	v_mul_f64 v[140:141], v[14:15], v[70:71]
	v_mul_f64 v[100:101], v[6:7], v[54:55]
	s_waitcnt vmcnt(16)
	v_fmac_f64_e32 v[140:141], v[16:17], v[72:73]
	v_mul_f64 v[98:99], v[10:11], v[56:57]
	v_add_f64 v[30:31], v[30:31], 0
	v_fmac_f64_e32 v[98:99], v[12:13], v[58:59]
	v_fma_f64 v[26:27], v[26:27], v[36:37], -v[28:29]
	v_fmac_f64_e32 v[94:95], v[24:25], v[64:65]
	v_add_f64 v[90:91], v[90:91], v[94:95]
	v_fmac_f64_e32 v[96:97], v[20:21], v[62:63]
	v_add_f64 v[90:91], v[90:91], v[96:97]
	;; [unrolled: 2-line block ×3, first 2 shown]
	v_add_f64 v[126:127], v[90:91], v[100:101]
	buffer_load_dword v91, off, s[0:3], 0 offset:524
	buffer_load_dword v90, off, s[0:3], 0 offset:520
	;; [unrolled: 1-line block ×56, first 2 shown]
	v_fmac_f64_e32 v[124:125], v[4:5], v[52:53]
	v_add_f64 v[138:139], v[126:127], v[124:125]
	ds_read_b128 v[124:127], v136 offset:1120
	buffer_load_dword v229, off, s[0:3], 0 offset:732
	buffer_load_dword v228, off, s[0:3], 0 offset:728
	;; [unrolled: 1-line block ×4, first 2 shown]
	v_add_f64 v[142:143], v[138:139], v[140:141]
	ds_read_b128 v[138:141], v136 offset:1136
	v_mul_f64 v[24:25], v[24:25], v[42:43]
	s_waitcnt lgkmcnt(1)
	v_mul_f64 v[144:145], v[124:125], v[66:67]
	v_fmac_f64_e32 v[144:145], v[126:127], v[68:69]
	v_add_f64 v[146:147], v[142:143], v[144:145]
	ds_read_b128 v[142:145], v136 offset:1152
	s_waitcnt vmcnt(62) lgkmcnt(1)
	v_mul_f64 v[148:149], v[138:139], v[78:79]
	v_fmac_f64_e32 v[148:149], v[140:141], v[80:81]
	v_add_f64 v[150:151], v[146:147], v[148:149]
	ds_read_b128 v[146:149], v136 offset:1168
	s_waitcnt lgkmcnt(1)
	v_mul_f64 v[152:153], v[142:143], v[74:75]
	v_fmac_f64_e32 v[152:153], v[144:145], v[76:77]
	v_add_f64 v[154:155], v[150:151], v[152:153]
	ds_read_b128 v[150:153], v136 offset:1184
	s_waitcnt lgkmcnt(1)
	v_mul_f64 v[156:157], v[146:147], v[86:87]
	s_waitcnt vmcnt(60)
	v_fmac_f64_e32 v[156:157], v[148:149], v[88:89]
	v_add_f64 v[158:159], v[154:155], v[156:157]
	ds_read_b128 v[154:157], v136 offset:1200
	s_waitcnt lgkmcnt(1)
	v_mul_f64 v[160:161], v[150:151], v[82:83]
	v_fmac_f64_e32 v[160:161], v[152:153], v[84:85]
	v_add_f64 v[162:163], v[158:159], v[160:161]
	ds_read_b128 v[158:161], v136 offset:1216
	v_add_f64 v[26:27], v[30:31], v[26:27]
	v_fma_f64 v[22:23], v[22:23], v[64:65], -v[24:25]
	s_waitcnt vmcnt(54) lgkmcnt(1)
	v_mul_f64 v[164:165], v[154:155], v[94:95]
	v_mul_f64 v[20:21], v[20:21], v[48:49]
	s_waitcnt vmcnt(52)
	v_fmac_f64_e32 v[164:165], v[156:157], v[96:97]
	v_add_f64 v[166:167], v[162:163], v[164:165]
	ds_read_b128 v[162:165], v136 offset:1232
	s_waitcnt lgkmcnt(1)
	v_mul_f64 v[168:169], v[158:159], v[90:91]
	v_fmac_f64_e32 v[168:169], v[160:161], v[92:93]
	v_add_f64 v[22:23], v[26:27], v[22:23]
	v_fma_f64 v[18:19], v[18:19], v[62:63], -v[20:21]
	v_mul_f64 v[12:13], v[12:13], v[56:57]
	v_add_f64 v[170:171], v[166:167], v[168:169]
	ds_read_b128 v[166:169], v136 offset:1248
	v_add_f64 v[18:19], v[22:23], v[18:19]
	v_fma_f64 v[10:11], v[10:11], v[58:59], -v[12:13]
	v_mul_f64 v[8:9], v[8:9], v[54:55]
	v_add_f64 v[10:11], v[18:19], v[10:11]
	v_fma_f64 v[6:7], v[6:7], v[60:61], -v[8:9]
	v_mul_f64 v[4:5], v[4:5], v[50:51]
	;; [unrolled: 3-line block ×3, first 2 shown]
	s_waitcnt vmcnt(46) lgkmcnt(1)
	v_mul_f64 v[172:173], v[162:163], v[102:103]
	v_add_f64 v[2:3], v[6:7], v[2:3]
	v_fma_f64 v[4:5], v[14:15], v[72:73], -v[4:5]
	s_waitcnt vmcnt(44)
	v_fmac_f64_e32 v[172:173], v[164:165], v[104:105]
	v_add_f64 v[2:3], v[2:3], v[4:5]
	v_mul_f64 v[4:5], v[126:127], v[66:67]
	v_add_f64 v[174:175], v[170:171], v[172:173]
	ds_read_b128 v[170:173], v136 offset:1264
	s_waitcnt lgkmcnt(1)
	v_mul_f64 v[176:177], v[166:167], v[98:99]
	v_fma_f64 v[4:5], v[124:125], v[68:69], -v[4:5]
	v_fmac_f64_e32 v[176:177], v[168:169], v[100:101]
	v_add_f64 v[2:3], v[2:3], v[4:5]
	v_mul_f64 v[4:5], v[140:141], v[78:79]
	v_add_f64 v[178:179], v[174:175], v[176:177]
	ds_read_b128 v[174:177], v136 offset:1280
	v_fma_f64 v[4:5], v[138:139], v[80:81], -v[4:5]
	v_add_f64 v[2:3], v[2:3], v[4:5]
	v_mul_f64 v[4:5], v[144:145], v[74:75]
	v_fma_f64 v[4:5], v[142:143], v[76:77], -v[4:5]
	s_waitcnt vmcnt(38) lgkmcnt(1)
	v_mul_f64 v[180:181], v[170:171], v[110:111]
	v_add_f64 v[2:3], v[2:3], v[4:5]
	v_mul_f64 v[4:5], v[148:149], v[86:87]
	s_waitcnt vmcnt(36)
	v_fmac_f64_e32 v[180:181], v[172:173], v[112:113]
	v_fma_f64 v[4:5], v[146:147], v[88:89], -v[4:5]
	v_add_f64 v[182:183], v[178:179], v[180:181]
	ds_read_b128 v[178:181], v136 offset:1296
	s_waitcnt lgkmcnt(1)
	v_mul_f64 v[184:185], v[174:175], v[106:107]
	v_add_f64 v[2:3], v[2:3], v[4:5]
	v_mul_f64 v[4:5], v[152:153], v[82:83]
	v_fmac_f64_e32 v[184:185], v[176:177], v[108:109]
	v_fma_f64 v[4:5], v[150:151], v[84:85], -v[4:5]
	v_add_f64 v[186:187], v[182:183], v[184:185]
	ds_read_b128 v[182:185], v136 offset:1312
	v_add_f64 v[2:3], v[2:3], v[4:5]
	v_mul_f64 v[4:5], v[156:157], v[94:95]
	v_fma_f64 v[4:5], v[154:155], v[96:97], -v[4:5]
	v_add_f64 v[2:3], v[2:3], v[4:5]
	v_mul_f64 v[4:5], v[160:161], v[90:91]
	s_waitcnt vmcnt(30) lgkmcnt(1)
	v_mul_f64 v[188:189], v[178:179], v[120:121]
	v_fma_f64 v[4:5], v[158:159], v[92:93], -v[4:5]
	s_waitcnt vmcnt(28)
	v_fmac_f64_e32 v[188:189], v[180:181], v[122:123]
	v_add_f64 v[2:3], v[2:3], v[4:5]
	v_mul_f64 v[4:5], v[164:165], v[102:103]
	v_add_f64 v[190:191], v[186:187], v[188:189]
	ds_read_b128 v[186:189], v136 offset:1328
	s_waitcnt lgkmcnt(1)
	v_mul_f64 v[192:193], v[182:183], v[114:115]
	v_fma_f64 v[4:5], v[162:163], v[104:105], -v[4:5]
	v_fmac_f64_e32 v[192:193], v[184:185], v[116:117]
	v_add_f64 v[2:3], v[2:3], v[4:5]
	v_mul_f64 v[4:5], v[168:169], v[98:99]
	v_add_f64 v[194:195], v[190:191], v[192:193]
	ds_read_b128 v[190:193], v136 offset:1344
	v_fma_f64 v[4:5], v[166:167], v[100:101], -v[4:5]
	v_add_f64 v[2:3], v[2:3], v[4:5]
	v_mul_f64 v[4:5], v[172:173], v[110:111]
	v_fma_f64 v[4:5], v[170:171], v[112:113], -v[4:5]
	s_waitcnt vmcnt(22) lgkmcnt(1)
	v_mul_f64 v[196:197], v[186:187], v[132:133]
	v_add_f64 v[2:3], v[2:3], v[4:5]
	v_mul_f64 v[4:5], v[176:177], v[106:107]
	s_waitcnt vmcnt(20)
	v_fmac_f64_e32 v[196:197], v[188:189], v[134:135]
	v_fma_f64 v[4:5], v[174:175], v[108:109], -v[4:5]
	v_add_f64 v[208:209], v[194:195], v[196:197]
	ds_read_b128 v[194:197], v136 offset:1360
	s_waitcnt lgkmcnt(1)
	v_mul_f64 v[210:211], v[190:191], v[128:129]
	v_add_f64 v[2:3], v[2:3], v[4:5]
	v_mul_f64 v[4:5], v[180:181], v[120:121]
	v_fmac_f64_e32 v[210:211], v[192:193], v[130:131]
	v_fma_f64 v[4:5], v[178:179], v[122:123], -v[4:5]
	v_add_f64 v[212:213], v[208:209], v[210:211]
	ds_read_b128 v[208:211], v136 offset:1376
	v_add_f64 v[2:3], v[2:3], v[4:5]
	v_mul_f64 v[4:5], v[184:185], v[114:115]
	v_fma_f64 v[4:5], v[182:183], v[116:117], -v[4:5]
	v_add_f64 v[2:3], v[2:3], v[4:5]
	v_mul_f64 v[4:5], v[188:189], v[132:133]
	s_waitcnt vmcnt(14) lgkmcnt(1)
	v_mul_f64 v[214:215], v[194:195], v[200:201]
	v_fma_f64 v[4:5], v[186:187], v[134:135], -v[4:5]
	s_waitcnt vmcnt(12)
	v_fmac_f64_e32 v[214:215], v[196:197], v[202:203]
	v_add_f64 v[2:3], v[2:3], v[4:5]
	v_mul_f64 v[4:5], v[192:193], v[128:129]
	v_add_f64 v[216:217], v[212:213], v[214:215]
	ds_read_b128 v[212:215], v136 offset:1392
	s_waitcnt lgkmcnt(1)
	v_mul_f64 v[218:219], v[208:209], v[118:119]
	v_fma_f64 v[4:5], v[190:191], v[130:131], -v[4:5]
	v_fmac_f64_e32 v[218:219], v[210:211], v[198:199]
	v_add_f64 v[2:3], v[2:3], v[4:5]
	v_mul_f64 v[4:5], v[196:197], v[200:201]
	v_add_f64 v[232:233], v[216:217], v[218:219]
	ds_read_b128 v[216:219], v136 offset:1408
	v_fma_f64 v[4:5], v[194:195], v[202:203], -v[4:5]
	v_add_f64 v[2:3], v[2:3], v[4:5]
	v_mul_f64 v[4:5], v[210:211], v[118:119]
	ds_read_b128 v[220:223], v136 offset:1424
	v_fma_f64 v[4:5], v[208:209], v[198:199], -v[4:5]
	v_add_f64 v[2:3], v[2:3], v[4:5]
	s_waitcnt vmcnt(6) lgkmcnt(2)
	v_mul_f64 v[4:5], v[214:215], v[224:225]
	v_mul_f64 v[234:235], v[212:213], v[224:225]
	s_waitcnt vmcnt(4)
	v_fma_f64 v[4:5], v[212:213], v[226:227], -v[4:5]
	v_fmac_f64_e32 v[234:235], v[214:215], v[226:227]
	v_add_f64 v[2:3], v[2:3], v[4:5]
	s_waitcnt lgkmcnt(1)
	v_mul_f64 v[4:5], v[218:219], v[204:205]
	v_add_f64 v[136:137], v[232:233], v[234:235]
	v_mul_f64 v[232:233], v[216:217], v[204:205]
	v_fma_f64 v[4:5], v[216:217], v[206:207], -v[4:5]
	v_fmac_f64_e32 v[232:233], v[218:219], v[206:207]
	v_add_f64 v[2:3], v[2:3], v[4:5]
	s_waitcnt vmcnt(2) lgkmcnt(0)
	v_mul_f64 v[4:5], v[222:223], v[228:229]
	v_add_f64 v[136:137], v[136:137], v[232:233]
	v_mul_f64 v[232:233], v[220:221], v[228:229]
	s_waitcnt vmcnt(0)
	v_fma_f64 v[4:5], v[220:221], v[230:231], -v[4:5]
	v_fmac_f64_e32 v[232:233], v[222:223], v[230:231]
	v_add_f64 v[2:3], v[2:3], v[4:5]
	v_add_f64 v[136:137], v[136:137], v[232:233]
	v_add_f64 v[2:3], v[46:47], -v[2:3]
	v_add_f64 v[4:5], v[44:45], -v[136:137]
	buffer_store_dword v3, off, s[0:3], 0 offset:276
	buffer_store_dword v2, off, s[0:3], 0 offset:272
	;; [unrolled: 1-line block ×4, first 2 shown]
	s_and_saveexec_b64 s[4:5], vcc
	s_cbranch_execz .LBB44_253
; %bb.252:
	v_accvgpr_read_b32 v0, a119
	buffer_load_dword v2, v0, s[0:3], 0 offen
	buffer_load_dword v3, v0, s[0:3], 0 offen offset:4
	buffer_load_dword v4, v0, s[0:3], 0 offen offset:8
	;; [unrolled: 1-line block ×3, first 2 shown]
	v_mov_b32_e32 v0, 0
	v_accvgpr_read_b32 v1, a135
	buffer_store_dword v0, off, s[0:3], 0 offset:256
	buffer_store_dword v0, off, s[0:3], 0 offset:260
	;; [unrolled: 1-line block ×4, first 2 shown]
	s_waitcnt vmcnt(4)
	ds_write_b128 v1, v[2:5]
.LBB44_253:
	s_or_b64 exec, exec, s[4:5]
	s_waitcnt lgkmcnt(0)
	; wave barrier
	s_waitcnt lgkmcnt(0)
	buffer_load_dword v38, off, s[0:3], 0 offset:272
	buffer_load_dword v39, off, s[0:3], 0 offset:276
	buffer_load_dword v42, off, s[0:3], 0 offset:280
	buffer_load_dword v43, off, s[0:3], 0 offset:284
	buffer_load_dword v40, off, s[0:3], 0 offset:288
	buffer_load_dword v41, off, s[0:3], 0 offset:292
	buffer_load_dword v44, off, s[0:3], 0 offset:296
	buffer_load_dword v45, off, s[0:3], 0 offset:300
	buffer_load_dword v46, off, s[0:3], 0 offset:312
	buffer_load_dword v47, off, s[0:3], 0 offset:316
	buffer_load_dword v49, off, s[0:3], 0 offset:348
	buffer_load_dword v48, off, s[0:3], 0 offset:344
	buffer_load_dword v51, off, s[0:3], 0 offset:340
	buffer_load_dword v50, off, s[0:3], 0 offset:336
	buffer_load_dword v53, off, s[0:3], 0 offset:332
	buffer_load_dword v52, off, s[0:3], 0 offset:328
	buffer_load_dword v55, off, s[0:3], 0 offset:380
	buffer_load_dword v54, off, s[0:3], 0 offset:376
	buffer_load_dword v57, off, s[0:3], 0 offset:372
	buffer_load_dword v56, off, s[0:3], 0 offset:368
	buffer_load_dword v59, off, s[0:3], 0 offset:364
	buffer_load_dword v58, off, s[0:3], 0 offset:360
	buffer_load_dword v65, off, s[0:3], 0 offset:412
	buffer_load_dword v67, off, s[0:3], 0 offset:404
	buffer_load_dword v69, off, s[0:3], 0 offset:396
	buffer_load_dword v68, off, s[0:3], 0 offset:392
	buffer_load_dword v76, off, s[0:3], 0 offset:304
	buffer_load_dword v77, off, s[0:3], 0 offset:308
	buffer_load_dword v75, off, s[0:3], 0 offset:324
	buffer_load_dword v74, off, s[0:3], 0 offset:320
	buffer_load_dword v73, off, s[0:3], 0 offset:356
	buffer_load_dword v72, off, s[0:3], 0 offset:352
	buffer_load_dword v71, off, s[0:3], 0 offset:388
	buffer_load_dword v70, off, s[0:3], 0 offset:384
	buffer_load_dword v64, off, s[0:3], 0 offset:408
	buffer_load_dword v66, off, s[0:3], 0 offset:400
	buffer_load_dword v62, off, s[0:3], 0 offset:256
	buffer_load_dword v63, off, s[0:3], 0 offset:260
	buffer_load_dword v60, off, s[0:3], 0 offset:264
	buffer_load_dword v61, off, s[0:3], 0 offset:268
	buffer_load_dword v79, off, s[0:3], 0 offset:444
	buffer_load_dword v78, off, s[0:3], 0 offset:440
	buffer_load_dword v81, off, s[0:3], 0 offset:436
	buffer_load_dword v80, off, s[0:3], 0 offset:432
	buffer_load_dword v83, off, s[0:3], 0 offset:428
	buffer_load_dword v82, off, s[0:3], 0 offset:424
	buffer_load_dword v85, off, s[0:3], 0 offset:420
	buffer_load_dword v84, off, s[0:3], 0 offset:416
	v_mov_b32_e32 v152, 0
	ds_read_b128 v[34:37], v152 offset:976
	ds_read_b128 v[30:33], v152 offset:992
	;; [unrolled: 1-line block ×9, first 2 shown]
	v_cmp_lt_u32_e32 vcc, 14, v255
	s_waitcnt vmcnt(44) lgkmcnt(8)
	v_mul_f64 v[86:87], v[34:35], v[42:43]
	v_fmac_f64_e32 v[86:87], v[36:37], v[38:39]
	v_add_f64 v[86:87], v[86:87], 0
	v_mul_f64 v[36:37], v[36:37], v[42:43]
	s_waitcnt vmcnt(40) lgkmcnt(7)
	v_mul_f64 v[88:89], v[30:31], v[44:45]
	v_fmac_f64_e32 v[88:89], v[32:33], v[40:41]
	s_waitcnt vmcnt(38) lgkmcnt(6)
	v_mul_f64 v[90:91], v[26:27], v[46:47]
	v_add_f64 v[86:87], v[86:87], v[88:89]
	s_waitcnt vmcnt(36) lgkmcnt(4)
	v_mul_f64 v[94:95], v[18:19], v[48:49]
	v_fma_f64 v[34:35], v[34:35], v[38:39], -v[36:37]
	s_waitcnt vmcnt(34)
	v_fmac_f64_e32 v[94:95], v[20:21], v[50:51]
	v_mul_f64 v[32:33], v[32:33], v[44:45]
	s_waitcnt vmcnt(32)
	v_mul_f64 v[92:93], v[22:23], v[52:53]
	v_add_f64 v[34:35], v[34:35], 0
	s_waitcnt vmcnt(30) lgkmcnt(2)
	v_mul_f64 v[98:99], v[10:11], v[54:55]
	v_fma_f64 v[30:31], v[30:31], v[40:41], -v[32:33]
	s_waitcnt vmcnt(28)
	v_fmac_f64_e32 v[98:99], v[12:13], v[56:57]
	v_add_f64 v[30:31], v[34:35], v[30:31]
	s_waitcnt vmcnt(26)
	v_mul_f64 v[96:97], v[14:15], v[58:59]
	v_mul_f64 v[20:21], v[20:21], v[48:49]
	v_fma_f64 v[18:19], v[18:19], v[50:51], -v[20:21]
	v_mul_f64 v[12:13], v[12:13], v[54:55]
	s_waitcnt vmcnt(22) lgkmcnt(1)
	v_mul_f64 v[110:111], v[6:7], v[68:69]
	v_fma_f64 v[10:11], v[10:11], v[56:57], -v[12:13]
	s_waitcnt vmcnt(20)
	v_fmac_f64_e32 v[90:91], v[28:29], v[76:77]
	v_add_f64 v[86:87], v[86:87], v[90:91]
	s_waitcnt vmcnt(18)
	v_fmac_f64_e32 v[92:93], v[24:25], v[74:75]
	v_add_f64 v[86:87], v[86:87], v[92:93]
	;; [unrolled: 3-line block ×3, first 2 shown]
	v_add_f64 v[86:87], v[86:87], v[96:97]
	v_add_f64 v[112:113], v[86:87], v[98:99]
	buffer_load_dword v87, off, s[0:3], 0 offset:476
	buffer_load_dword v86, off, s[0:3], 0 offset:472
	buffer_load_dword v89, off, s[0:3], 0 offset:468
	buffer_load_dword v88, off, s[0:3], 0 offset:464
	buffer_load_dword v91, off, s[0:3], 0 offset:460
	buffer_load_dword v90, off, s[0:3], 0 offset:456
	buffer_load_dword v93, off, s[0:3], 0 offset:452
	buffer_load_dword v92, off, s[0:3], 0 offset:448
	buffer_load_dword v95, off, s[0:3], 0 offset:508
	buffer_load_dword v94, off, s[0:3], 0 offset:504
	buffer_load_dword v97, off, s[0:3], 0 offset:500
	buffer_load_dword v96, off, s[0:3], 0 offset:496
	buffer_load_dword v99, off, s[0:3], 0 offset:492
	buffer_load_dword v98, off, s[0:3], 0 offset:488
	buffer_load_dword v101, off, s[0:3], 0 offset:484
	buffer_load_dword v100, off, s[0:3], 0 offset:480
	buffer_load_dword v103, off, s[0:3], 0 offset:540
	buffer_load_dword v102, off, s[0:3], 0 offset:536
	buffer_load_dword v105, off, s[0:3], 0 offset:532
	buffer_load_dword v104, off, s[0:3], 0 offset:528
	buffer_load_dword v107, off, s[0:3], 0 offset:524
	buffer_load_dword v106, off, s[0:3], 0 offset:520
	buffer_load_dword v109, off, s[0:3], 0 offset:516
	buffer_load_dword v108, off, s[0:3], 0 offset:512
	buffer_load_dword v115, off, s[0:3], 0 offset:572
	buffer_load_dword v114, off, s[0:3], 0 offset:568
	buffer_load_dword v117, off, s[0:3], 0 offset:564
	buffer_load_dword v116, off, s[0:3], 0 offset:560
	buffer_load_dword v121, off, s[0:3], 0 offset:556
	buffer_load_dword v120, off, s[0:3], 0 offset:552
	buffer_load_dword v123, off, s[0:3], 0 offset:548
	buffer_load_dword v122, off, s[0:3], 0 offset:544
	buffer_load_dword v125, off, s[0:3], 0 offset:604
	buffer_load_dword v124, off, s[0:3], 0 offset:600
	buffer_load_dword v127, off, s[0:3], 0 offset:596
	buffer_load_dword v126, off, s[0:3], 0 offset:592
	buffer_load_dword v129, off, s[0:3], 0 offset:588
	buffer_load_dword v128, off, s[0:3], 0 offset:584
	buffer_load_dword v131, off, s[0:3], 0 offset:580
	buffer_load_dword v130, off, s[0:3], 0 offset:576
	buffer_load_dword v133, off, s[0:3], 0 offset:636
	buffer_load_dword v132, off, s[0:3], 0 offset:632
	buffer_load_dword v135, off, s[0:3], 0 offset:628
	buffer_load_dword v134, off, s[0:3], 0 offset:624
	buffer_load_dword v137, off, s[0:3], 0 offset:620
	buffer_load_dword v136, off, s[0:3], 0 offset:616
	buffer_load_dword v139, off, s[0:3], 0 offset:612
	buffer_load_dword v138, off, s[0:3], 0 offset:608
	buffer_load_dword v141, off, s[0:3], 0 offset:668
	buffer_load_dword v140, off, s[0:3], 0 offset:664
	buffer_load_dword v143, off, s[0:3], 0 offset:660
	buffer_load_dword v142, off, s[0:3], 0 offset:656
	buffer_load_dword v119, off, s[0:3], 0 offset:652
	buffer_load_dword v118, off, s[0:3], 0 offset:648
	buffer_load_dword v199, off, s[0:3], 0 offset:644
	buffer_load_dword v198, off, s[0:3], 0 offset:640
	buffer_load_dword v201, off, s[0:3], 0 offset:700
	buffer_load_dword v200, off, s[0:3], 0 offset:696
	buffer_load_dword v203, off, s[0:3], 0 offset:692
	buffer_load_dword v202, off, s[0:3], 0 offset:688
	buffer_load_dword v205, off, s[0:3], 0 offset:684
	buffer_load_dword v204, off, s[0:3], 0 offset:680
	buffer_load_dword v207, off, s[0:3], 0 offset:676
	buffer_load_dword v206, off, s[0:3], 0 offset:672
	buffer_load_dword v233, off, s[0:3], 0 offset:732
	buffer_load_dword v232, off, s[0:3], 0 offset:728
	buffer_load_dword v235, off, s[0:3], 0 offset:724
	buffer_load_dword v234, off, s[0:3], 0 offset:720
	buffer_load_dword v237, off, s[0:3], 0 offset:716
	buffer_load_dword v236, off, s[0:3], 0 offset:712
	buffer_load_dword v239, off, s[0:3], 0 offset:708
	buffer_load_dword v238, off, s[0:3], 0 offset:704
	s_waitcnt vmcnt(62)
	v_fmac_f64_e32 v[110:111], v[8:9], v[70:71]
	v_add_f64 v[144:145], v[112:113], v[110:111]
	ds_read_b128 v[110:113], v152 offset:1120
	s_waitcnt lgkmcnt(1)
	v_mul_f64 v[146:147], v[2:3], v[64:65]
	v_fmac_f64_e32 v[146:147], v[4:5], v[66:67]
	v_add_f64 v[148:149], v[144:145], v[146:147]
	ds_read_b128 v[144:147], v152 offset:1136
	s_waitcnt lgkmcnt(1)
	v_mul_f64 v[150:151], v[110:111], v[82:83]
	;; [unrolled: 5-line block ×5, first 2 shown]
	v_fmac_f64_e32 v[164:165], v[156:157], v[88:89]
	v_add_f64 v[166:167], v[162:163], v[164:165]
	ds_read_b128 v[162:165], v152 offset:1200
	s_waitcnt vmcnt(58) lgkmcnt(1)
	v_mul_f64 v[168:169], v[158:159], v[98:99]
	s_waitcnt vmcnt(56)
	v_fmac_f64_e32 v[168:169], v[160:161], v[100:101]
	v_add_f64 v[170:171], v[166:167], v[168:169]
	ds_read_b128 v[166:169], v152 offset:1216
	s_waitcnt lgkmcnt(1)
	v_mul_f64 v[172:173], v[162:163], v[94:95]
	v_fmac_f64_e32 v[172:173], v[164:165], v[96:97]
	v_mul_f64 v[28:29], v[28:29], v[46:47]
	v_add_f64 v[174:175], v[170:171], v[172:173]
	ds_read_b128 v[170:173], v152 offset:1232
	s_waitcnt vmcnt(50) lgkmcnt(1)
	v_mul_f64 v[176:177], v[166:167], v[106:107]
	v_fma_f64 v[26:27], v[26:27], v[76:77], -v[28:29]
	v_mul_f64 v[24:25], v[24:25], v[52:53]
	s_waitcnt vmcnt(48)
	v_fmac_f64_e32 v[176:177], v[168:169], v[108:109]
	v_add_f64 v[26:27], v[30:31], v[26:27]
	v_fma_f64 v[22:23], v[22:23], v[74:75], -v[24:25]
	v_add_f64 v[178:179], v[174:175], v[176:177]
	ds_read_b128 v[174:177], v152 offset:1248
	v_add_f64 v[22:23], v[26:27], v[22:23]
	v_mul_f64 v[16:17], v[16:17], v[58:59]
	v_add_f64 v[18:19], v[22:23], v[18:19]
	v_fma_f64 v[14:15], v[14:15], v[72:73], -v[16:17]
	v_add_f64 v[14:15], v[18:19], v[14:15]
	v_mul_f64 v[8:9], v[8:9], v[68:69]
	s_waitcnt lgkmcnt(1)
	v_mul_f64 v[180:181], v[170:171], v[102:103]
	v_add_f64 v[10:11], v[14:15], v[10:11]
	v_fma_f64 v[6:7], v[6:7], v[70:71], -v[8:9]
	v_mul_f64 v[4:5], v[4:5], v[64:65]
	v_fmac_f64_e32 v[180:181], v[172:173], v[104:105]
	v_add_f64 v[6:7], v[10:11], v[6:7]
	v_fma_f64 v[2:3], v[2:3], v[66:67], -v[4:5]
	v_mul_f64 v[4:5], v[112:113], v[82:83]
	v_add_f64 v[182:183], v[178:179], v[180:181]
	ds_read_b128 v[178:181], v152 offset:1264
	s_waitcnt vmcnt(42) lgkmcnt(1)
	v_mul_f64 v[184:185], v[174:175], v[120:121]
	v_add_f64 v[2:3], v[6:7], v[2:3]
	v_fma_f64 v[4:5], v[110:111], v[84:85], -v[4:5]
	s_waitcnt vmcnt(40)
	v_fmac_f64_e32 v[184:185], v[176:177], v[122:123]
	v_add_f64 v[2:3], v[2:3], v[4:5]
	v_mul_f64 v[4:5], v[146:147], v[78:79]
	v_add_f64 v[186:187], v[182:183], v[184:185]
	ds_read_b128 v[182:185], v152 offset:1280
	v_fma_f64 v[4:5], v[144:145], v[80:81], -v[4:5]
	v_add_f64 v[2:3], v[2:3], v[4:5]
	v_mul_f64 v[4:5], v[150:151], v[90:91]
	v_fma_f64 v[4:5], v[148:149], v[92:93], -v[4:5]
	s_waitcnt lgkmcnt(1)
	v_mul_f64 v[188:189], v[178:179], v[114:115]
	v_add_f64 v[2:3], v[2:3], v[4:5]
	v_mul_f64 v[4:5], v[156:157], v[86:87]
	v_fmac_f64_e32 v[188:189], v[180:181], v[116:117]
	v_fma_f64 v[4:5], v[154:155], v[88:89], -v[4:5]
	v_add_f64 v[190:191], v[186:187], v[188:189]
	ds_read_b128 v[186:189], v152 offset:1296
	s_waitcnt vmcnt(34) lgkmcnt(1)
	v_mul_f64 v[192:193], v[182:183], v[128:129]
	v_add_f64 v[2:3], v[2:3], v[4:5]
	v_mul_f64 v[4:5], v[160:161], v[98:99]
	s_waitcnt vmcnt(32)
	v_fmac_f64_e32 v[192:193], v[184:185], v[130:131]
	v_fma_f64 v[4:5], v[158:159], v[100:101], -v[4:5]
	v_add_f64 v[194:195], v[190:191], v[192:193]
	ds_read_b128 v[190:193], v152 offset:1312
	v_add_f64 v[2:3], v[2:3], v[4:5]
	v_mul_f64 v[4:5], v[164:165], v[94:95]
	v_fma_f64 v[4:5], v[162:163], v[96:97], -v[4:5]
	v_add_f64 v[2:3], v[2:3], v[4:5]
	v_mul_f64 v[4:5], v[168:169], v[106:107]
	s_waitcnt lgkmcnt(1)
	v_mul_f64 v[196:197], v[186:187], v[124:125]
	v_fma_f64 v[4:5], v[166:167], v[108:109], -v[4:5]
	v_fmac_f64_e32 v[196:197], v[188:189], v[126:127]
	v_add_f64 v[2:3], v[2:3], v[4:5]
	v_mul_f64 v[4:5], v[172:173], v[102:103]
	v_add_f64 v[208:209], v[194:195], v[196:197]
	ds_read_b128 v[194:197], v152 offset:1328
	s_waitcnt vmcnt(26) lgkmcnt(1)
	v_mul_f64 v[210:211], v[190:191], v[136:137]
	v_fma_f64 v[4:5], v[170:171], v[104:105], -v[4:5]
	s_waitcnt vmcnt(24)
	v_fmac_f64_e32 v[210:211], v[192:193], v[138:139]
	v_add_f64 v[2:3], v[2:3], v[4:5]
	v_mul_f64 v[4:5], v[176:177], v[120:121]
	v_add_f64 v[212:213], v[208:209], v[210:211]
	ds_read_b128 v[208:211], v152 offset:1344
	v_fma_f64 v[4:5], v[174:175], v[122:123], -v[4:5]
	v_add_f64 v[2:3], v[2:3], v[4:5]
	v_mul_f64 v[4:5], v[180:181], v[114:115]
	v_fma_f64 v[4:5], v[178:179], v[116:117], -v[4:5]
	s_waitcnt lgkmcnt(1)
	v_mul_f64 v[214:215], v[194:195], v[132:133]
	v_add_f64 v[2:3], v[2:3], v[4:5]
	v_mul_f64 v[4:5], v[184:185], v[128:129]
	v_fmac_f64_e32 v[214:215], v[196:197], v[134:135]
	v_fma_f64 v[4:5], v[182:183], v[130:131], -v[4:5]
	v_add_f64 v[216:217], v[212:213], v[214:215]
	ds_read_b128 v[212:215], v152 offset:1360
	s_waitcnt vmcnt(18) lgkmcnt(1)
	v_mul_f64 v[218:219], v[208:209], v[118:119]
	v_add_f64 v[2:3], v[2:3], v[4:5]
	v_mul_f64 v[4:5], v[188:189], v[124:125]
	s_waitcnt vmcnt(16)
	v_fmac_f64_e32 v[218:219], v[210:211], v[198:199]
	v_fma_f64 v[4:5], v[186:187], v[126:127], -v[4:5]
	v_add_f64 v[220:221], v[216:217], v[218:219]
	ds_read_b128 v[216:219], v152 offset:1376
	v_add_f64 v[2:3], v[2:3], v[4:5]
	v_mul_f64 v[4:5], v[192:193], v[136:137]
	v_fma_f64 v[4:5], v[190:191], v[138:139], -v[4:5]
	v_add_f64 v[2:3], v[2:3], v[4:5]
	v_mul_f64 v[4:5], v[196:197], v[132:133]
	s_waitcnt lgkmcnt(1)
	v_mul_f64 v[222:223], v[212:213], v[140:141]
	v_fma_f64 v[4:5], v[194:195], v[134:135], -v[4:5]
	v_fmac_f64_e32 v[222:223], v[214:215], v[142:143]
	v_add_f64 v[2:3], v[2:3], v[4:5]
	v_mul_f64 v[4:5], v[210:211], v[118:119]
	v_add_f64 v[224:225], v[220:221], v[222:223]
	ds_read_b128 v[220:223], v152 offset:1392
	s_waitcnt vmcnt(10) lgkmcnt(1)
	v_mul_f64 v[226:227], v[216:217], v[204:205]
	v_fma_f64 v[4:5], v[208:209], v[198:199], -v[4:5]
	s_waitcnt vmcnt(8)
	v_fmac_f64_e32 v[226:227], v[218:219], v[206:207]
	v_add_f64 v[2:3], v[2:3], v[4:5]
	v_mul_f64 v[4:5], v[214:215], v[140:141]
	v_add_f64 v[240:241], v[224:225], v[226:227]
	ds_read_b128 v[224:227], v152 offset:1408
	ds_read_b128 v[228:231], v152 offset:1424
	v_fma_f64 v[4:5], v[212:213], v[142:143], -v[4:5]
	v_add_f64 v[2:3], v[2:3], v[4:5]
	v_mul_f64 v[4:5], v[218:219], v[204:205]
	v_fma_f64 v[4:5], v[216:217], v[206:207], -v[4:5]
	v_add_f64 v[2:3], v[2:3], v[4:5]
	s_waitcnt lgkmcnt(2)
	v_mul_f64 v[4:5], v[222:223], v[200:201]
	v_mul_f64 v[242:243], v[220:221], v[200:201]
	v_fma_f64 v[4:5], v[220:221], v[202:203], -v[4:5]
	v_fmac_f64_e32 v[242:243], v[222:223], v[202:203]
	v_add_f64 v[2:3], v[2:3], v[4:5]
	s_waitcnt vmcnt(2) lgkmcnt(1)
	v_mul_f64 v[4:5], v[226:227], v[236:237]
	v_add_f64 v[240:241], v[240:241], v[242:243]
	v_mul_f64 v[242:243], v[224:225], v[236:237]
	s_waitcnt vmcnt(0)
	v_fma_f64 v[4:5], v[224:225], v[238:239], -v[4:5]
	v_fmac_f64_e32 v[242:243], v[226:227], v[238:239]
	v_add_f64 v[2:3], v[2:3], v[4:5]
	s_waitcnt lgkmcnt(0)
	v_mul_f64 v[4:5], v[230:231], v[232:233]
	v_add_f64 v[240:241], v[240:241], v[242:243]
	v_mul_f64 v[242:243], v[228:229], v[232:233]
	v_fma_f64 v[4:5], v[228:229], v[234:235], -v[4:5]
	v_fmac_f64_e32 v[242:243], v[230:231], v[234:235]
	v_add_f64 v[2:3], v[2:3], v[4:5]
	v_add_f64 v[240:241], v[240:241], v[242:243]
	v_add_f64 v[2:3], v[62:63], -v[2:3]
	v_add_f64 v[4:5], v[60:61], -v[240:241]
	buffer_store_dword v3, off, s[0:3], 0 offset:260
	buffer_store_dword v2, off, s[0:3], 0 offset:256
	;; [unrolled: 1-line block ×4, first 2 shown]
	s_and_saveexec_b64 s[4:5], vcc
	s_cbranch_execz .LBB44_255
; %bb.254:
	v_accvgpr_read_b32 v0, a120
	buffer_load_dword v2, v0, s[0:3], 0 offen
	buffer_load_dword v3, v0, s[0:3], 0 offen offset:4
	buffer_load_dword v4, v0, s[0:3], 0 offen offset:8
	buffer_load_dword v5, v0, s[0:3], 0 offen offset:12
	v_accvgpr_read_b32 v0, a135
	buffer_store_dword v152, off, s[0:3], 0 offset:240
	buffer_store_dword v152, off, s[0:3], 0 offset:244
	;; [unrolled: 1-line block ×4, first 2 shown]
	s_waitcnt vmcnt(4)
	ds_write_b128 v0, v[2:5]
.LBB44_255:
	s_or_b64 exec, exec, s[4:5]
	s_waitcnt lgkmcnt(0)
	; wave barrier
	s_waitcnt lgkmcnt(0)
	buffer_load_dword v48, off, s[0:3], 0 offset:256
	buffer_load_dword v49, off, s[0:3], 0 offset:260
	;; [unrolled: 1-line block ×40, first 2 shown]
	ds_read_b128 v[38:41], v152 offset:960
	ds_read_b128 v[34:37], v152 offset:976
	;; [unrolled: 1-line block ×10, first 2 shown]
	buffer_load_dword v83, off, s[0:3], 0 offset:428
	buffer_load_dword v82, off, s[0:3], 0 offset:424
	;; [unrolled: 1-line block ×8, first 2 shown]
	v_cmp_lt_u32_e32 vcc, 13, v255
	s_waitcnt vmcnt(44) lgkmcnt(9)
	v_mul_f64 v[90:91], v[38:39], v[50:51]
	v_fmac_f64_e32 v[90:91], v[40:41], v[48:49]
	v_add_f64 v[90:91], v[90:91], 0
	v_mul_f64 v[40:41], v[40:41], v[50:51]
	s_waitcnt vmcnt(40) lgkmcnt(8)
	v_mul_f64 v[92:93], v[34:35], v[44:45]
	v_fmac_f64_e32 v[92:93], v[36:37], v[42:43]
	s_waitcnt vmcnt(38) lgkmcnt(7)
	v_mul_f64 v[94:95], v[30:31], v[46:47]
	v_add_f64 v[90:91], v[90:91], v[92:93]
	s_waitcnt vmcnt(36) lgkmcnt(5)
	v_mul_f64 v[98:99], v[22:23], v[52:53]
	v_mul_f64 v[36:37], v[36:37], v[44:45]
	s_waitcnt vmcnt(34)
	v_fmac_f64_e32 v[98:99], v[24:25], v[54:55]
	v_fma_f64 v[34:35], v[34:35], v[42:43], -v[36:37]
	s_waitcnt vmcnt(32)
	v_mul_f64 v[96:97], v[26:27], v[56:57]
	v_mul_f64 v[24:25], v[24:25], v[52:53]
	s_waitcnt vmcnt(30) lgkmcnt(4)
	v_mul_f64 v[100:101], v[18:19], v[62:63]
	v_fma_f64 v[22:23], v[22:23], v[54:55], -v[24:25]
	s_waitcnt vmcnt(28) lgkmcnt(1)
	v_mul_f64 v[124:125], v[2:3], v[64:65]
	s_waitcnt vmcnt(25)
	v_mul_f64 v[104:105], v[6:7], v[68:69]
	s_waitcnt vmcnt(23)
	;; [unrolled: 2-line block ×3, first 2 shown]
	v_fmac_f64_e32 v[102:103], v[12:13], v[72:73]
	v_mul_f64 v[12:13], v[12:13], v[70:71]
	s_waitcnt vmcnt(19)
	v_fmac_f64_e32 v[94:95], v[32:33], v[80:81]
	v_add_f64 v[90:91], v[90:91], v[94:95]
	s_waitcnt vmcnt(17)
	v_fmac_f64_e32 v[96:97], v[28:29], v[78:79]
	v_add_f64 v[90:91], v[90:91], v[96:97]
	;; [unrolled: 3-line block ×3, first 2 shown]
	v_add_f64 v[90:91], v[90:91], v[100:101]
	s_waitcnt vmcnt(13)
	v_fmac_f64_e32 v[104:105], v[8:9], v[74:75]
	v_add_f64 v[90:91], v[90:91], v[102:103]
	v_add_f64 v[126:127], v[90:91], v[104:105]
	buffer_load_dword v91, off, s[0:3], 0 offset:460
	buffer_load_dword v90, off, s[0:3], 0 offset:456
	;; [unrolled: 1-line block ×72, first 2 shown]
	s_waitcnt vmcnt(62)
	v_fmac_f64_e32 v[124:125], v[4:5], v[66:67]
	v_add_f64 v[154:155], v[126:127], v[124:125]
	ds_read_b128 v[124:127], v152 offset:1120
	buffer_load_dword v237, off, s[0:3], 0 offset:732
	buffer_load_dword v236, off, s[0:3], 0 offset:728
	;; [unrolled: 1-line block ×4, first 2 shown]
	s_waitcnt lgkmcnt(1)
	v_mul_f64 v[156:157], v[14:15], v[86:87]
	v_fmac_f64_e32 v[156:157], v[16:17], v[88:89]
	v_add_f64 v[158:159], v[154:155], v[156:157]
	ds_read_b128 v[154:157], v152 offset:1136
	s_waitcnt lgkmcnt(1)
	v_mul_f64 v[160:161], v[124:125], v[82:83]
	v_fmac_f64_e32 v[160:161], v[126:127], v[84:85]
	v_add_f64 v[162:163], v[158:159], v[160:161]
	ds_read_b128 v[158:161], v152 offset:1152
	v_mul_f64 v[32:33], v[32:33], v[46:47]
	s_waitcnt lgkmcnt(1)
	v_mul_f64 v[164:165], v[154:155], v[94:95]
	v_fma_f64 v[30:31], v[30:31], v[80:81], -v[32:33]
	v_fmac_f64_e32 v[164:165], v[156:157], v[96:97]
	v_add_f64 v[166:167], v[162:163], v[164:165]
	ds_read_b128 v[162:165], v152 offset:1168
	s_waitcnt lgkmcnt(1)
	v_mul_f64 v[168:169], v[158:159], v[90:91]
	v_fmac_f64_e32 v[168:169], v[160:161], v[92:93]
	v_add_f64 v[170:171], v[166:167], v[168:169]
	ds_read_b128 v[166:169], v152 offset:1184
	s_waitcnt vmcnt(62) lgkmcnt(1)
	v_mul_f64 v[172:173], v[162:163], v[102:103]
	s_waitcnt vmcnt(60)
	v_fmac_f64_e32 v[172:173], v[164:165], v[104:105]
	v_add_f64 v[174:175], v[170:171], v[172:173]
	ds_read_b128 v[170:173], v152 offset:1200
	s_waitcnt lgkmcnt(1)
	v_mul_f64 v[176:177], v[166:167], v[98:99]
	v_fmac_f64_e32 v[176:177], v[168:169], v[100:101]
	v_add_f64 v[178:179], v[174:175], v[176:177]
	ds_read_b128 v[174:177], v152 offset:1216
	s_waitcnt vmcnt(54) lgkmcnt(1)
	v_mul_f64 v[180:181], v[170:171], v[110:111]
	s_waitcnt vmcnt(52)
	;; [unrolled: 11-line block ×7, first 2 shown]
	v_fmac_f64_e32 v[230:231], v[222:223], v[202:203]
	v_add_f64 v[240:241], v[228:229], v[230:231]
	ds_read_b128 v[228:231], v152 offset:1392
	s_waitcnt lgkmcnt(1)
	v_mul_f64 v[242:243], v[224:225], v[118:119]
	v_fmac_f64_e32 v[242:243], v[226:227], v[198:199]
	v_add_f64 v[240:241], v[240:241], v[242:243]
	v_fma_f64 v[242:243], v[38:39], v[48:49], -v[40:41]
	ds_read_b128 v[38:41], v152 offset:1408
	ds_read_b128 v[48:51], v152 offset:1424
	s_waitcnt vmcnt(6) lgkmcnt(2)
	v_mul_f64 v[244:245], v[228:229], v[232:233]
	s_waitcnt vmcnt(4)
	v_fmac_f64_e32 v[244:245], v[230:231], v[234:235]
	v_add_f64 v[152:153], v[240:241], v[244:245]
	s_waitcnt lgkmcnt(1)
	v_mul_f64 v[240:241], v[38:39], v[204:205]
	v_fmac_f64_e32 v[240:241], v[40:41], v[206:207]
	v_add_f64 v[152:153], v[152:153], v[240:241]
	s_waitcnt vmcnt(2) lgkmcnt(0)
	v_mul_f64 v[240:241], v[48:49], v[236:237]
	s_waitcnt vmcnt(0)
	v_fmac_f64_e32 v[240:241], v[50:51], v[238:239]
	v_add_f64 v[152:153], v[152:153], v[240:241]
	v_add_f64 v[240:241], v[242:243], 0
	;; [unrolled: 1-line block ×3, first 2 shown]
	v_mul_f64 v[28:29], v[28:29], v[56:57]
	v_add_f64 v[30:31], v[34:35], v[30:31]
	v_fma_f64 v[26:27], v[26:27], v[78:79], -v[28:29]
	v_add_f64 v[26:27], v[30:31], v[26:27]
	v_mul_f64 v[20:21], v[20:21], v[62:63]
	v_add_f64 v[22:23], v[26:27], v[22:23]
	v_fma_f64 v[18:19], v[18:19], v[76:77], -v[20:21]
	v_add_f64 v[18:19], v[22:23], v[18:19]
	v_fma_f64 v[10:11], v[10:11], v[72:73], -v[12:13]
	v_mul_f64 v[8:9], v[8:9], v[68:69]
	v_add_f64 v[10:11], v[18:19], v[10:11]
	v_fma_f64 v[6:7], v[6:7], v[74:75], -v[8:9]
	v_mul_f64 v[4:5], v[4:5], v[64:65]
	v_add_f64 v[6:7], v[10:11], v[6:7]
	v_fma_f64 v[2:3], v[2:3], v[66:67], -v[4:5]
	v_mul_f64 v[4:5], v[16:17], v[86:87]
	v_add_f64 v[2:3], v[6:7], v[2:3]
	v_fma_f64 v[4:5], v[14:15], v[88:89], -v[4:5]
	v_add_f64 v[2:3], v[2:3], v[4:5]
	v_mul_f64 v[4:5], v[126:127], v[82:83]
	v_fma_f64 v[4:5], v[124:125], v[84:85], -v[4:5]
	v_add_f64 v[2:3], v[2:3], v[4:5]
	v_mul_f64 v[4:5], v[156:157], v[94:95]
	;; [unrolled: 3-line block ×20, first 2 shown]
	v_fma_f64 v[4:5], v[48:49], v[238:239], -v[4:5]
	v_add_f64 v[2:3], v[2:3], v[4:5]
	v_add_f64 v[2:3], v[60:61], -v[2:3]
	v_add_f64 v[4:5], v[58:59], -v[152:153]
	buffer_store_dword v3, off, s[0:3], 0 offset:244
	buffer_store_dword v2, off, s[0:3], 0 offset:240
	;; [unrolled: 1-line block ×4, first 2 shown]
	s_and_saveexec_b64 s[4:5], vcc
	s_cbranch_execz .LBB44_257
; %bb.256:
	v_accvgpr_read_b32 v0, a121
	buffer_load_dword v2, v0, s[0:3], 0 offen
	buffer_load_dword v3, v0, s[0:3], 0 offen offset:4
	buffer_load_dword v4, v0, s[0:3], 0 offen offset:8
	;; [unrolled: 1-line block ×3, first 2 shown]
	v_mov_b32_e32 v0, 0
	v_accvgpr_read_b32 v1, a135
	buffer_store_dword v0, off, s[0:3], 0 offset:224
	buffer_store_dword v0, off, s[0:3], 0 offset:228
	buffer_store_dword v0, off, s[0:3], 0 offset:232
	buffer_store_dword v0, off, s[0:3], 0 offset:236
	s_waitcnt vmcnt(4)
	ds_write_b128 v1, v[2:5]
.LBB44_257:
	s_or_b64 exec, exec, s[4:5]
	s_waitcnt lgkmcnt(0)
	; wave barrier
	s_waitcnt lgkmcnt(0)
	buffer_load_dword v106, off, s[0:3], 0 offset:240
	buffer_load_dword v107, off, s[0:3], 0 offset:244
	;; [unrolled: 1-line block ×49, first 2 shown]
	v_mov_b32_e32 v254, 0
	ds_read_b128 v[110:113], v254 offset:944
	ds_read_b128 v[250:253], v254 offset:960
	;; [unrolled: 1-line block ×10, first 2 shown]
	buffer_load_dword v160, off, s[0:3], 0 offset:432
	buffer_load_dword v175, off, s[0:3], 0 offset:428
	;; [unrolled: 1-line block ×69, first 2 shown]
	v_accvgpr_write_b32 a134, v255
	v_cmp_lt_u32_e32 vcc, 12, v255
	s_waitcnt vmcnt(62) lgkmcnt(9)
	v_mul_f64 v[34:35], v[110:111], v[108:109]
	v_fmac_f64_e32 v[34:35], v[112:113], v[106:107]
	v_add_f64 v[34:35], v[34:35], 0
	v_mul_f64 v[108:109], v[112:113], v[108:109]
	s_waitcnt lgkmcnt(8)
	v_mul_f64 v[36:37], v[250:251], v[116:117]
	v_fmac_f64_e32 v[36:37], v[252:253], v[114:115]
	s_waitcnt lgkmcnt(7)
	v_mul_f64 v[38:39], v[30:31], v[120:121]
	v_add_f64 v[34:35], v[34:35], v[36:37]
	s_waitcnt lgkmcnt(5)
	v_mul_f64 v[42:43], v[22:23], v[122:123]
	v_mul_f64 v[116:117], v[252:253], v[116:117]
	v_fmac_f64_e32 v[42:43], v[24:25], v[124:125]
	v_fma_f64 v[248:249], v[110:111], v[106:107], -v[108:109]
	v_mul_f64 v[40:41], v[26:27], v[126:127]
	v_fma_f64 v[250:251], v[250:251], v[114:115], -v[116:117]
	s_waitcnt lgkmcnt(3)
	v_mul_f64 v[46:47], v[14:15], v[128:129]
	v_mul_f64 v[24:25], v[24:25], v[122:123]
	v_fmac_f64_e32 v[46:47], v[16:17], v[130:131]
	v_fma_f64 v[22:23], v[22:23], v[124:125], -v[24:25]
	v_mul_f64 v[44:45], v[18:19], v[132:133]
	v_mul_f64 v[16:17], v[16:17], v[128:129]
	s_waitcnt lgkmcnt(1)
	v_mul_f64 v[50:51], v[6:7], v[134:135]
	v_fma_f64 v[14:15], v[14:15], v[130:131], -v[16:17]
	v_fmac_f64_e32 v[50:51], v[8:9], v[136:137]
	v_mul_f64 v[8:9], v[8:9], v[134:135]
	v_mul_f64 v[48:49], v[10:11], v[142:143]
	v_fma_f64 v[6:7], v[6:7], v[136:137], -v[8:9]
	s_waitcnt lgkmcnt(0)
	v_mul_f64 v[52:53], v[2:3], v[138:139]
	v_fmac_f64_e32 v[38:39], v[32:33], v[154:155]
	v_add_f64 v[34:35], v[34:35], v[38:39]
	v_fmac_f64_e32 v[40:41], v[28:29], v[152:153]
	v_add_f64 v[34:35], v[34:35], v[40:41]
	;; [unrolled: 2-line block ×3, first 2 shown]
	v_add_f64 v[34:35], v[34:35], v[44:45]
	v_fmac_f64_e32 v[48:49], v[12:13], v[148:149]
	v_add_f64 v[34:35], v[34:35], v[46:47]
	v_add_f64 v[34:35], v[34:35], v[48:49]
	v_fmac_f64_e32 v[52:53], v[4:5], v[146:147]
	v_add_f64 v[34:35], v[34:35], v[50:51]
	v_add_f64 v[42:43], v[34:35], v[52:53]
	ds_read_b128 v[38:41], v254 offset:1104
	ds_read_b128 v[34:37], v254 offset:1120
	buffer_load_dword v231, off, s[0:3], 0 offset:732
	buffer_load_dword v230, off, s[0:3], 0 offset:728
	;; [unrolled: 1-line block ×8, first 2 shown]
	ds_read_b128 v[110:113], v254 offset:1392
	ds_read_b128 v[106:109], v254 offset:1408
	s_waitcnt lgkmcnt(3)
	v_mul_f64 v[44:45], v[38:39], v[144:145]
	v_fmac_f64_e32 v[44:45], v[40:41], v[156:157]
	v_add_f64 v[46:47], v[42:43], v[44:45]
	ds_read_b128 v[42:45], v254 offset:1136
	s_waitcnt lgkmcnt(3)
	v_mul_f64 v[48:49], v[34:35], v[174:175]
	v_fmac_f64_e32 v[48:49], v[36:37], v[178:179]
	v_add_f64 v[50:51], v[46:47], v[48:49]
	;; [unrolled: 5-line block ×3, first 2 shown]
	ds_read_b128 v[50:53], v254 offset:1168
	s_waitcnt vmcnt(62) lgkmcnt(1)
	v_mul_f64 v[56:57], v[46:47], v[182:183]
	v_fmac_f64_e32 v[56:57], v[48:49], v[186:187]
	v_add_f64 v[58:59], v[54:55], v[56:57]
	ds_read_b128 v[54:57], v254 offset:1184
	s_waitcnt lgkmcnt(1)
	v_mul_f64 v[60:61], v[50:51], v[162:163]
	v_fmac_f64_e32 v[60:61], v[52:53], v[164:165]
	v_add_f64 v[62:63], v[58:59], v[60:61]
	ds_read_b128 v[58:61], v254 offset:1200
	s_waitcnt vmcnt(58) lgkmcnt(1)
	v_mul_f64 v[64:65], v[54:55], v[190:191]
	s_waitcnt vmcnt(56)
	v_fmac_f64_e32 v[64:65], v[56:57], v[194:195]
	v_add_f64 v[66:67], v[62:63], v[64:65]
	ds_read_b128 v[62:65], v254 offset:1216
	s_waitcnt lgkmcnt(1)
	v_mul_f64 v[68:69], v[58:59], v[166:167]
	v_fmac_f64_e32 v[68:69], v[60:61], v[168:169]
	v_add_f64 v[70:71], v[66:67], v[68:69]
	ds_read_b128 v[66:69], v254 offset:1232
	s_waitcnt vmcnt(50) lgkmcnt(1)
	v_mul_f64 v[72:73], v[62:63], v[198:199]
	s_waitcnt vmcnt(48)
	;; [unrolled: 11-line block ×5, first 2 shown]
	v_fmac_f64_e32 v[96:97], v[88:89], v[228:229]
	v_add_f64 v[98:99], v[94:95], v[96:97]
	ds_read_b128 v[94:97], v254 offset:1344
	s_waitcnt lgkmcnt(1)
	v_mul_f64 v[100:101], v[90:91], v[192:193]
	v_fmac_f64_e32 v[100:101], v[92:93], v[196:197]
	v_add_f64 v[118:119], v[98:99], v[100:101]
	ds_read_b128 v[98:101], v254 offset:1360
	ds_read_b128 v[102:105], v254 offset:1376
	;; [unrolled: 1-line block ×3, first 2 shown]
	buffer_load_dword v252, off, s[0:3], 0 offset:232
	buffer_load_dword v253, off, s[0:3], 0 offset:236
	s_waitcnt vmcnt(20) lgkmcnt(3)
	v_mul_f64 v[200:201], v[94:95], v[232:233]
	s_waitcnt vmcnt(18)
	v_fmac_f64_e32 v[200:201], v[96:97], v[236:237]
	v_add_f64 v[118:119], v[118:119], v[200:201]
	s_waitcnt lgkmcnt(2)
	v_mul_f64 v[200:201], v[98:99], v[208:209]
	v_fmac_f64_e32 v[200:201], v[100:101], v[212:213]
	v_add_f64 v[118:119], v[118:119], v[200:201]
	s_waitcnt vmcnt(12) lgkmcnt(1)
	v_mul_f64 v[200:201], v[102:103], v[238:239]
	s_waitcnt vmcnt(10)
	v_fmac_f64_e32 v[200:201], v[104:105], v[240:241]
	v_add_f64 v[118:119], v[118:119], v[200:201]
	v_mul_f64 v[200:201], v[110:111], v[216:217]
	v_fmac_f64_e32 v[200:201], v[112:113], v[220:221]
	v_add_f64 v[118:119], v[118:119], v[200:201]
	s_waitcnt vmcnt(4)
	v_mul_f64 v[200:201], v[106:107], v[242:243]
	v_mul_f64 v[32:33], v[32:33], v[120:121]
	s_waitcnt vmcnt(2)
	v_fmac_f64_e32 v[200:201], v[108:109], v[244:245]
	v_add_f64 v[118:119], v[118:119], v[200:201]
	s_waitcnt lgkmcnt(0)
	v_mul_f64 v[200:201], v[114:115], v[230:231]
	v_fmac_f64_e32 v[200:201], v[116:117], v[234:235]
	v_add_f64 v[246:247], v[118:119], v[200:201]
	v_add_f64 v[118:119], v[248:249], 0
	;; [unrolled: 1-line block ×3, first 2 shown]
	v_fma_f64 v[30:31], v[30:31], v[154:155], -v[32:33]
	v_mul_f64 v[28:29], v[28:29], v[126:127]
	v_add_f64 v[30:31], v[118:119], v[30:31]
	v_fma_f64 v[26:27], v[26:27], v[152:153], -v[28:29]
	v_add_f64 v[26:27], v[30:31], v[26:27]
	v_mul_f64 v[20:21], v[20:21], v[132:133]
	v_add_f64 v[22:23], v[26:27], v[22:23]
	v_fma_f64 v[18:19], v[18:19], v[150:151], -v[20:21]
	v_add_f64 v[18:19], v[22:23], v[18:19]
	;; [unrolled: 4-line block ×3, first 2 shown]
	v_mul_f64 v[4:5], v[4:5], v[138:139]
	v_add_f64 v[6:7], v[10:11], v[6:7]
	v_fma_f64 v[2:3], v[2:3], v[146:147], -v[4:5]
	v_mul_f64 v[4:5], v[40:41], v[144:145]
	v_add_f64 v[2:3], v[6:7], v[2:3]
	v_fma_f64 v[4:5], v[38:39], v[156:157], -v[4:5]
	v_add_f64 v[2:3], v[2:3], v[4:5]
	v_mul_f64 v[4:5], v[36:37], v[174:175]
	v_fma_f64 v[4:5], v[34:35], v[178:179], -v[4:5]
	v_add_f64 v[2:3], v[2:3], v[4:5]
	v_mul_f64 v[4:5], v[44:45], v[158:159]
	;; [unrolled: 3-line block ×20, first 2 shown]
	v_fma_f64 v[4:5], v[114:115], v[234:235], -v[4:5]
	v_add_f64 v[2:3], v[2:3], v[4:5]
	v_add_f64 v[2:3], v[140:141], -v[2:3]
	s_waitcnt vmcnt(0)
	v_add_f64 v[4:5], v[252:253], -v[246:247]
	buffer_store_dword v3, off, s[0:3], 0 offset:228
	buffer_store_dword v2, off, s[0:3], 0 offset:224
	buffer_store_dword v5, off, s[0:3], 0 offset:236
	buffer_store_dword v4, off, s[0:3], 0 offset:232
	s_and_saveexec_b64 s[4:5], vcc
	s_cbranch_execz .LBB44_259
; %bb.258:
	v_accvgpr_read_b32 v0, a122
	buffer_load_dword v2, v0, s[0:3], 0 offen
	buffer_load_dword v3, v0, s[0:3], 0 offen offset:4
	buffer_load_dword v4, v0, s[0:3], 0 offen offset:8
	;; [unrolled: 1-line block ×3, first 2 shown]
	v_accvgpr_read_b32 v0, a135
	buffer_store_dword v254, off, s[0:3], 0 offset:208
	buffer_store_dword v254, off, s[0:3], 0 offset:212
	;; [unrolled: 1-line block ×4, first 2 shown]
	s_waitcnt vmcnt(4)
	ds_write_b128 v0, v[2:5]
.LBB44_259:
	s_or_b64 exec, exec, s[4:5]
	s_waitcnt lgkmcnt(0)
	; wave barrier
	s_waitcnt lgkmcnt(0)
	buffer_load_dword v112, off, s[0:3], 0 offset:224
	buffer_load_dword v113, off, s[0:3], 0 offset:228
	;; [unrolled: 1-line block ×36, first 2 shown]
	ds_read_b128 v[102:105], v254 offset:928
	ds_read_b128 v[106:109], v254 offset:944
	;; [unrolled: 1-line block ×9, first 2 shown]
	buffer_load_dword v145, off, s[0:3], 0 offset:396
	buffer_load_dword v144, off, s[0:3], 0 offset:392
	;; [unrolled: 1-line block ×78, first 2 shown]
	v_accvgpr_read_b32 v1, a134
	v_cmp_lt_u32_e32 vcc, 11, v1
	s_waitcnt vmcnt(62) lgkmcnt(8)
	v_mul_f64 v[26:27], v[102:103], v[246:247]
	v_fmac_f64_e32 v[26:27], v[104:105], v[112:113]
	v_add_f64 v[26:27], v[26:27], 0
	v_mul_f64 v[104:105], v[104:105], v[246:247]
	s_waitcnt lgkmcnt(7)
	v_mul_f64 v[28:29], v[106:107], v[248:249]
	v_fmac_f64_e32 v[28:29], v[108:109], v[110:111]
	s_waitcnt lgkmcnt(6)
	v_mul_f64 v[30:31], v[114:115], v[244:245]
	v_add_f64 v[26:27], v[26:27], v[28:29]
	s_waitcnt lgkmcnt(4)
	v_mul_f64 v[34:35], v[18:19], v[120:121]
	v_fma_f64 v[246:247], v[102:103], v[112:113], -v[104:105]
	v_fmac_f64_e32 v[34:35], v[20:21], v[122:123]
	v_mul_f64 v[108:109], v[108:109], v[248:249]
	v_mul_f64 v[32:33], v[22:23], v[124:125]
	v_fma_f64 v[248:249], v[106:107], v[110:111], -v[108:109]
	s_waitcnt lgkmcnt(2)
	v_mul_f64 v[38:39], v[10:11], v[126:127]
	v_mul_f64 v[20:21], v[20:21], v[120:121]
	v_fmac_f64_e32 v[38:39], v[12:13], v[128:129]
	v_fma_f64 v[18:19], v[18:19], v[122:123], -v[20:21]
	v_mul_f64 v[36:37], v[14:15], v[132:133]
	v_mul_f64 v[12:13], v[12:13], v[126:127]
	s_waitcnt lgkmcnt(1)
	v_mul_f64 v[40:41], v[6:7], v[130:131]
	v_fma_f64 v[10:11], v[10:11], v[128:129], -v[12:13]
	v_fmac_f64_e32 v[30:31], v[116:117], v[250:251]
	v_add_f64 v[26:27], v[26:27], v[30:31]
	v_fmac_f64_e32 v[32:33], v[24:25], v[140:141]
	v_add_f64 v[26:27], v[26:27], v[32:33]
	;; [unrolled: 2-line block ×3, first 2 shown]
	v_add_f64 v[26:27], v[26:27], v[36:37]
	v_fmac_f64_e32 v[40:41], v[8:9], v[136:137]
	v_add_f64 v[30:31], v[26:27], v[38:39]
	v_add_f64 v[30:31], v[30:31], v[40:41]
	s_waitcnt lgkmcnt(0)
	v_mul_f64 v[32:33], v[2:3], v[134:135]
	v_fmac_f64_e32 v[32:33], v[4:5], v[142:143]
	ds_read_b128 v[26:29], v254 offset:1072
	v_add_f64 v[34:35], v[30:31], v[32:33]
	ds_read_b128 v[30:33], v254 offset:1088
	buffer_load_dword v231, off, s[0:3], 0 offset:660
	buffer_load_dword v230, off, s[0:3], 0 offset:656
	v_mul_f64 v[116:117], v[116:117], v[244:245]
	s_waitcnt lgkmcnt(1)
	v_mul_f64 v[36:37], v[26:27], v[148:149]
	v_fmac_f64_e32 v[36:37], v[28:29], v[150:151]
	v_add_f64 v[38:39], v[34:35], v[36:37]
	ds_read_b128 v[34:37], v254 offset:1104
	s_waitcnt lgkmcnt(1)
	v_mul_f64 v[40:41], v[30:31], v[144:145]
	v_fmac_f64_e32 v[40:41], v[32:33], v[146:147]
	v_add_f64 v[42:43], v[38:39], v[40:41]
	ds_read_b128 v[38:41], v254 offset:1120
	;; [unrolled: 5-line block ×4, first 2 shown]
	buffer_load_dword v233, off, s[0:3], 0 offset:716
	buffer_load_dword v235, off, s[0:3], 0 offset:700
	;; [unrolled: 1-line block ×12, first 2 shown]
	s_waitcnt vmcnt(62) lgkmcnt(1)
	v_mul_f64 v[52:53], v[42:43], v[176:177]
	v_fmac_f64_e32 v[52:53], v[44:45], v[180:181]
	v_add_f64 v[54:55], v[50:51], v[52:53]
	ds_read_b128 v[50:53], v254 offset:1168
	s_waitcnt lgkmcnt(1)
	v_mul_f64 v[56:57], v[46:47], v[156:157]
	v_fmac_f64_e32 v[56:57], v[48:49], v[158:159]
	v_add_f64 v[58:59], v[54:55], v[56:57]
	ds_read_b128 v[54:57], v254 offset:1184
	s_waitcnt lgkmcnt(1)
	v_mul_f64 v[60:61], v[50:51], v[184:185]
	s_waitcnt vmcnt(60)
	v_fmac_f64_e32 v[60:61], v[52:53], v[188:189]
	v_add_f64 v[62:63], v[58:59], v[60:61]
	ds_read_b128 v[58:61], v254 offset:1200
	s_waitcnt lgkmcnt(1)
	v_mul_f64 v[64:65], v[54:55], v[164:165]
	v_fmac_f64_e32 v[64:65], v[56:57], v[166:167]
	v_add_f64 v[66:67], v[62:63], v[64:65]
	ds_read_b128 v[62:65], v254 offset:1216
	s_waitcnt vmcnt(54) lgkmcnt(1)
	v_mul_f64 v[68:69], v[58:59], v[192:193]
	s_waitcnt vmcnt(52)
	v_fmac_f64_e32 v[68:69], v[60:61], v[196:197]
	v_add_f64 v[70:71], v[66:67], v[68:69]
	ds_read_b128 v[66:69], v254 offset:1232
	s_waitcnt lgkmcnt(1)
	v_mul_f64 v[72:73], v[62:63], v[168:169]
	v_fmac_f64_e32 v[72:73], v[64:65], v[170:171]
	v_add_f64 v[74:75], v[70:71], v[72:73]
	ds_read_b128 v[70:73], v254 offset:1248
	s_waitcnt vmcnt(46) lgkmcnt(1)
	;; [unrolled: 11-line block ×4, first 2 shown]
	v_mul_f64 v[92:93], v[82:83], v[220:221]
	s_waitcnt vmcnt(28)
	v_fmac_f64_e32 v[92:93], v[84:85], v[222:223]
	v_add_f64 v[98:99], v[90:91], v[92:93]
	ds_read_b128 v[90:93], v254 offset:1328
	ds_read_b128 v[94:97], v254 offset:1344
	s_waitcnt lgkmcnt(2)
	v_mul_f64 v[100:101], v[86:87], v[186:187]
	v_fmac_f64_e32 v[100:101], v[88:89], v[190:191]
	v_add_f64 v[98:99], v[98:99], v[100:101]
	s_waitcnt vmcnt(22) lgkmcnt(1)
	v_mul_f64 v[100:101], v[90:91], v[224:225]
	s_waitcnt vmcnt(20)
	v_fmac_f64_e32 v[100:101], v[92:93], v[226:227]
	v_add_f64 v[98:99], v[98:99], v[100:101]
	s_waitcnt lgkmcnt(0)
	v_mul_f64 v[100:101], v[94:95], v[194:195]
	v_fmac_f64_e32 v[100:101], v[96:97], v[198:199]
	v_add_f64 v[118:119], v[98:99], v[100:101]
	ds_read_b128 v[98:101], v254 offset:1360
	ds_read_b128 v[102:105], v254 offset:1376
	;; [unrolled: 1-line block ×3, first 2 shown]
	v_fma_f64 v[250:251], v[114:115], v[250:251], -v[116:117]
	ds_read_b128 v[114:117], v254 offset:1424
	s_waitcnt vmcnt(14) lgkmcnt(3)
	v_mul_f64 v[112:113], v[98:99], v[228:229]
	s_waitcnt lgkmcnt(2)
	v_mul_f64 v[110:111], v[102:103], v[210:211]
	s_waitcnt vmcnt(12)
	v_fmac_f64_e32 v[112:113], v[100:101], v[230:231]
	v_add_f64 v[112:113], v[118:119], v[112:113]
	v_fmac_f64_e32 v[110:111], v[104:105], v[214:215]
	v_add_f64 v[118:119], v[112:113], v[110:111]
	ds_read_b128 v[110:113], v254 offset:1408
	buffer_load_dword v254, off, s[0:3], 0 offset:208
	buffer_load_dword v255, off, s[0:3], 0 offset:212
	;; [unrolled: 1-line block ×4, first 2 shown]
	v_mul_f64 v[24:25], v[24:25], v[124:125]
	v_fma_f64 v[22:23], v[22:23], v[140:141], -v[24:25]
	v_mul_f64 v[16:17], v[16:17], v[132:133]
	s_waitcnt vmcnt(13) lgkmcnt(2)
	v_mul_f64 v[200:201], v[106:107], v[234:235]
	v_fma_f64 v[14:15], v[14:15], v[138:139], -v[16:17]
	s_waitcnt vmcnt(11)
	v_fmac_f64_e32 v[200:201], v[108:109], v[240:241]
	v_add_f64 v[118:119], v[118:119], v[200:201]
	s_waitcnt vmcnt(10) lgkmcnt(0)
	v_mul_f64 v[200:201], v[110:111], v[232:233]
	s_waitcnt vmcnt(8)
	v_fmac_f64_e32 v[200:201], v[112:113], v[238:239]
	v_add_f64 v[118:119], v[118:119], v[200:201]
	s_waitcnt vmcnt(6)
	v_mul_f64 v[200:201], v[114:115], v[236:237]
	v_mul_f64 v[8:9], v[8:9], v[130:131]
	s_waitcnt vmcnt(4)
	v_fmac_f64_e32 v[200:201], v[116:117], v[242:243]
	v_add_f64 v[244:245], v[118:119], v[200:201]
	v_add_f64 v[118:119], v[246:247], 0
	;; [unrolled: 1-line block ×8, first 2 shown]
	v_fma_f64 v[6:7], v[6:7], v[136:137], -v[8:9]
	v_mul_f64 v[4:5], v[4:5], v[134:135]
	v_add_f64 v[6:7], v[10:11], v[6:7]
	v_fma_f64 v[2:3], v[2:3], v[142:143], -v[4:5]
	v_mul_f64 v[4:5], v[28:29], v[148:149]
	v_add_f64 v[2:3], v[6:7], v[2:3]
	v_fma_f64 v[4:5], v[26:27], v[150:151], -v[4:5]
	v_add_f64 v[2:3], v[2:3], v[4:5]
	v_mul_f64 v[4:5], v[32:33], v[144:145]
	v_fma_f64 v[4:5], v[30:31], v[146:147], -v[4:5]
	v_add_f64 v[2:3], v[2:3], v[4:5]
	v_mul_f64 v[4:5], v[36:37], v[160:161]
	;; [unrolled: 3-line block ×22, first 2 shown]
	v_fma_f64 v[4:5], v[114:115], v[242:243], -v[4:5]
	v_add_f64 v[2:3], v[2:3], v[4:5]
	s_waitcnt vmcnt(2)
	v_add_f64 v[2:3], v[254:255], -v[2:3]
	s_waitcnt vmcnt(0)
	v_add_f64 v[4:5], v[252:253], -v[244:245]
	buffer_store_dword v3, off, s[0:3], 0 offset:212
	buffer_store_dword v2, off, s[0:3], 0 offset:208
	;; [unrolled: 1-line block ×4, first 2 shown]
	s_and_saveexec_b64 s[4:5], vcc
	s_cbranch_execz .LBB44_261
; %bb.260:
	v_accvgpr_read_b32 v0, a123
	buffer_load_dword v2, v0, s[0:3], 0 offen
	buffer_load_dword v3, v0, s[0:3], 0 offen offset:4
	buffer_load_dword v4, v0, s[0:3], 0 offen offset:8
	;; [unrolled: 1-line block ×3, first 2 shown]
	v_mov_b32_e32 v0, 0
	v_accvgpr_read_b32 v6, a135
	buffer_store_dword v0, off, s[0:3], 0 offset:192
	buffer_store_dword v0, off, s[0:3], 0 offset:196
	;; [unrolled: 1-line block ×4, first 2 shown]
	s_waitcnt vmcnt(4)
	ds_write_b128 v6, v[2:5]
.LBB44_261:
	s_or_b64 exec, exec, s[4:5]
	s_waitcnt lgkmcnt(0)
	; wave barrier
	s_waitcnt lgkmcnt(0)
	buffer_load_dword v94, off, s[0:3], 0 offset:208
	buffer_load_dword v95, off, s[0:3], 0 offset:212
	;; [unrolled: 1-line block ×52, first 2 shown]
	v_mov_b32_e32 v254, 0
	ds_read_b128 v[102:105], v254 offset:912
	ds_read_b128 v[114:117], v254 offset:928
	;; [unrolled: 1-line block ×10, first 2 shown]
	v_cmp_lt_u32_e32 vcc, 10, v1
	s_waitcnt vmcnt(48) lgkmcnt(9)
	v_mul_f64 v[26:27], v[102:103], v[96:97]
	v_fmac_f64_e32 v[26:27], v[104:105], v[94:95]
	v_add_f64 v[26:27], v[26:27], 0
	v_mul_f64 v[96:97], v[104:105], v[96:97]
	s_waitcnt vmcnt(44) lgkmcnt(8)
	v_mul_f64 v[28:29], v[114:115], v[100:101]
	v_fmac_f64_e32 v[28:29], v[116:117], v[98:99]
	s_waitcnt vmcnt(42) lgkmcnt(7)
	v_mul_f64 v[30:31], v[244:245], v[106:107]
	v_add_f64 v[26:27], v[26:27], v[28:29]
	s_waitcnt vmcnt(40) lgkmcnt(5)
	v_mul_f64 v[34:35], v[22:23], v[122:123]
	v_fma_f64 v[200:201], v[102:103], v[94:95], -v[96:97]
	s_waitcnt vmcnt(38)
	v_fmac_f64_e32 v[34:35], v[24:25], v[126:127]
	v_mul_f64 v[100:101], v[116:117], v[100:101]
	s_waitcnt vmcnt(36)
	v_mul_f64 v[32:33], v[250:251], v[110:111]
	v_fma_f64 v[202:203], v[114:115], v[98:99], -v[100:101]
	s_waitcnt vmcnt(34) lgkmcnt(3)
	v_mul_f64 v[38:39], v[14:15], v[120:121]
	v_mul_f64 v[106:107], v[246:247], v[106:107]
	s_waitcnt vmcnt(32)
	v_fmac_f64_e32 v[38:39], v[16:17], v[124:125]
	v_mul_f64 v[110:111], v[252:253], v[110:111]
	s_waitcnt vmcnt(30)
	v_mul_f64 v[36:37], v[18:19], v[132:133]
	v_mul_f64 v[24:25], v[24:25], v[122:123]
	v_fma_f64 v[22:23], v[22:23], v[126:127], -v[24:25]
	s_waitcnt vmcnt(27) lgkmcnt(2)
	v_mul_f64 v[40:41], v[10:11], v[130:131]
	s_waitcnt vmcnt(26) lgkmcnt(1)
	v_mul_f64 v[42:43], v[6:7], v[128:129]
	v_mul_f64 v[16:17], v[16:17], v[120:121]
	s_waitcnt vmcnt(24)
	v_fmac_f64_e32 v[30:31], v[246:247], v[108:109]
	v_add_f64 v[26:27], v[26:27], v[30:31]
	s_waitcnt vmcnt(22)
	v_fmac_f64_e32 v[32:33], v[252:253], v[112:113]
	v_add_f64 v[26:27], v[26:27], v[32:33]
	;; [unrolled: 3-line block ×3, first 2 shown]
	v_add_f64 v[26:27], v[26:27], v[36:37]
	s_waitcnt vmcnt(18)
	v_fmac_f64_e32 v[40:41], v[12:13], v[134:135]
	v_add_f64 v[26:27], v[26:27], v[38:39]
	v_add_f64 v[26:27], v[26:27], v[40:41]
	s_waitcnt vmcnt(16)
	v_fmac_f64_e32 v[42:43], v[8:9], v[140:141]
	v_add_f64 v[34:35], v[26:27], v[42:43]
	ds_read_b128 v[26:29], v254 offset:1072
	ds_read_b128 v[30:33], v254 offset:1088
	buffer_load_dword v157, off, s[0:3], 0 offset:444
	buffer_load_dword v156, off, s[0:3], 0 offset:440
	;; [unrolled: 1-line block ×56, first 2 shown]
	s_waitcnt vmcnt(62) lgkmcnt(2)
	v_mul_f64 v[36:37], v[2:3], v[144:145]
	v_fmac_f64_e32 v[36:37], v[4:5], v[146:147]
	v_add_f64 v[34:35], v[34:35], v[36:37]
	s_waitcnt lgkmcnt(1)
	v_mul_f64 v[36:37], v[26:27], v[138:139]
	v_fmac_f64_e32 v[36:37], v[28:29], v[142:143]
	v_add_f64 v[34:35], v[34:35], v[36:37]
	s_waitcnt lgkmcnt(0)
	v_mul_f64 v[36:37], v[30:31], v[148:149]
	s_waitcnt vmcnt(60)
	v_fmac_f64_e32 v[36:37], v[32:33], v[152:153]
	v_add_f64 v[42:43], v[34:35], v[36:37]
	ds_read_b128 v[34:37], v254 offset:1104
	buffer_load_dword v209, off, s[0:3], 0 offset:668
	buffer_load_dword v208, off, s[0:3], 0 offset:664
	;; [unrolled: 1-line block ×16, first 2 shown]
	ds_read_b128 v[38:41], v254 offset:1120
	buffer_load_dword v231, off, s[0:3], 0 offset:732
	buffer_load_dword v230, off, s[0:3], 0 offset:728
	;; [unrolled: 1-line block ×8, first 2 shown]
	ds_read_b128 v[98:101], v254 offset:1360
	s_waitcnt vmcnt(62) lgkmcnt(2)
	v_mul_f64 v[44:45], v[34:35], v[150:151]
	v_fmac_f64_e32 v[44:45], v[36:37], v[154:155]
	v_add_f64 v[46:47], v[42:43], v[44:45]
	ds_read_b128 v[42:45], v254 offset:1136
	v_fma_f64 v[248:249], v[244:245], v[108:109], -v[106:107]
	ds_read_b128 v[106:109], v254 offset:1392
	v_fma_f64 v[246:247], v[250:251], v[112:113], -v[110:111]
	v_mul_f64 v[20:21], v[20:21], v[132:133]
	v_fma_f64 v[18:19], v[18:19], v[136:137], -v[20:21]
	v_fma_f64 v[14:15], v[14:15], v[124:125], -v[16:17]
	v_mul_f64 v[12:13], v[12:13], v[130:131]
	v_fma_f64 v[10:11], v[10:11], v[134:135], -v[12:13]
	v_mul_f64 v[8:9], v[8:9], v[128:129]
	;; [unrolled: 2-line block ×3, first 2 shown]
	s_waitcnt lgkmcnt(3)
	v_mul_f64 v[48:49], v[38:39], v[172:173]
	v_fma_f64 v[2:3], v[2:3], v[146:147], -v[4:5]
	v_fmac_f64_e32 v[48:49], v[40:41], v[176:177]
	v_add_f64 v[50:51], v[46:47], v[48:49]
	ds_read_b128 v[46:49], v254 offset:1152
	s_waitcnt lgkmcnt(2)
	v_mul_f64 v[52:53], v[42:43], v[156:157]
	v_fmac_f64_e32 v[52:53], v[44:45], v[158:159]
	v_add_f64 v[54:55], v[50:51], v[52:53]
	ds_read_b128 v[50:53], v254 offset:1168
	s_waitcnt lgkmcnt(1)
	v_mul_f64 v[56:57], v[46:47], v[180:181]
	;; [unrolled: 5-line block ×3, first 2 shown]
	v_fmac_f64_e32 v[60:61], v[52:53], v[162:163]
	v_add_f64 v[62:63], v[58:59], v[60:61]
	ds_read_b128 v[58:61], v254 offset:1200
	s_waitcnt vmcnt(58) lgkmcnt(1)
	v_mul_f64 v[64:65], v[54:55], v[188:189]
	s_waitcnt vmcnt(56)
	v_fmac_f64_e32 v[64:65], v[56:57], v[192:193]
	v_add_f64 v[66:67], v[62:63], v[64:65]
	ds_read_b128 v[62:65], v254 offset:1216
	s_waitcnt lgkmcnt(1)
	v_mul_f64 v[68:69], v[58:59], v[164:165]
	v_fmac_f64_e32 v[68:69], v[60:61], v[166:167]
	v_add_f64 v[70:71], v[66:67], v[68:69]
	ds_read_b128 v[66:69], v254 offset:1232
	s_waitcnt vmcnt(50) lgkmcnt(1)
	v_mul_f64 v[72:73], v[62:63], v[196:197]
	s_waitcnt vmcnt(48)
	v_fmac_f64_e32 v[72:73], v[64:65], v[198:199]
	v_add_f64 v[74:75], v[70:71], v[72:73]
	ds_read_b128 v[70:73], v254 offset:1248
	s_waitcnt lgkmcnt(1)
	v_mul_f64 v[76:77], v[66:67], v[168:169]
	v_fmac_f64_e32 v[76:77], v[68:69], v[170:171]
	v_add_f64 v[78:79], v[74:75], v[76:77]
	ds_read_b128 v[74:77], v254 offset:1264
	s_waitcnt vmcnt(42) lgkmcnt(1)
	v_mul_f64 v[80:81], v[70:71], v[210:211]
	s_waitcnt vmcnt(40)
	v_fmac_f64_e32 v[80:81], v[72:73], v[214:215]
	v_add_f64 v[82:83], v[78:79], v[80:81]
	ds_read_b128 v[78:81], v254 offset:1280
	s_waitcnt lgkmcnt(1)
	v_mul_f64 v[84:85], v[74:75], v[174:175]
	v_fmac_f64_e32 v[84:85], v[76:77], v[178:179]
	v_add_f64 v[90:91], v[82:83], v[84:85]
	ds_read_b128 v[82:85], v254 offset:1296
	ds_read_b128 v[86:89], v254 offset:1312
	s_waitcnt vmcnt(34) lgkmcnt(2)
	v_mul_f64 v[92:93], v[78:79], v[218:219]
	s_waitcnt vmcnt(32)
	v_fmac_f64_e32 v[92:93], v[80:81], v[224:225]
	v_add_f64 v[90:91], v[90:91], v[92:93]
	s_waitcnt lgkmcnt(1)
	v_mul_f64 v[92:93], v[82:83], v[182:183]
	v_fmac_f64_e32 v[92:93], v[84:85], v[186:187]
	v_add_f64 v[90:91], v[90:91], v[92:93]
	s_waitcnt vmcnt(27) lgkmcnt(0)
	v_mul_f64 v[92:93], v[86:87], v[222:223]
	s_waitcnt vmcnt(25)
	v_fmac_f64_e32 v[92:93], v[88:89], v[226:227]
	v_add_f64 v[118:119], v[90:91], v[92:93]
	ds_read_b128 v[90:93], v254 offset:1328
	ds_read_b128 v[94:97], v254 offset:1344
	;; [unrolled: 1-line block ×3, first 2 shown]
	v_mul_f64 v[4:5], v[28:29], v[138:139]
	v_fma_f64 v[4:5], v[26:27], v[142:143], -v[4:5]
	s_waitcnt lgkmcnt(2)
	v_mul_f64 v[102:103], v[90:91], v[190:191]
	s_waitcnt vmcnt(24)
	v_fmac_f64_e32 v[102:103], v[92:93], v[194:195]
	s_waitcnt vmcnt(18) lgkmcnt(1)
	v_mul_f64 v[104:105], v[94:95], v[228:229]
	v_add_f64 v[102:103], v[118:119], v[102:103]
	s_waitcnt vmcnt(16)
	v_fmac_f64_e32 v[104:105], v[96:97], v[232:233]
	v_add_f64 v[102:103], v[102:103], v[104:105]
	v_mul_f64 v[104:105], v[98:99], v[208:209]
	v_fmac_f64_e32 v[104:105], v[100:101], v[212:213]
	v_add_f64 v[114:115], v[102:103], v[104:105]
	ds_read_b128 v[102:105], v254 offset:1376
	s_waitcnt vmcnt(10) lgkmcnt(0)
	v_mul_f64 v[116:117], v[102:103], v[236:237]
	s_waitcnt vmcnt(8)
	v_fmac_f64_e32 v[116:117], v[104:105], v[238:239]
	v_add_f64 v[114:115], v[114:115], v[116:117]
	v_mul_f64 v[116:117], v[106:107], v[216:217]
	v_fmac_f64_e32 v[116:117], v[108:109], v[220:221]
	v_add_f64 v[114:115], v[114:115], v[116:117]
	s_waitcnt vmcnt(2)
	v_mul_f64 v[116:117], v[110:111], v[240:241]
	s_waitcnt vmcnt(0)
	v_fmac_f64_e32 v[116:117], v[112:113], v[242:243]
	v_add_f64 v[118:119], v[114:115], v[116:117]
	ds_read_b128 v[114:117], v254 offset:1424
	buffer_load_dword v252, off, s[0:3], 0 offset:192
	buffer_load_dword v253, off, s[0:3], 0 offset:196
	s_waitcnt lgkmcnt(0)
	v_mul_f64 v[204:205], v[114:115], v[230:231]
	v_fmac_f64_e32 v[204:205], v[116:117], v[234:235]
	v_add_f64 v[244:245], v[118:119], v[204:205]
	v_add_f64 v[118:119], v[200:201], 0
	v_add_f64 v[250:251], v[118:119], v[202:203]
	v_add_f64 v[118:119], v[250:251], v[248:249]
	buffer_load_dword v248, off, s[0:3], 0 offset:200
	buffer_load_dword v249, off, s[0:3], 0 offset:204
	v_add_f64 v[118:119], v[118:119], v[246:247]
	v_add_f64 v[22:23], v[118:119], v[22:23]
	;; [unrolled: 1-line block ×8, first 2 shown]
	v_mul_f64 v[4:5], v[32:33], v[148:149]
	v_fma_f64 v[4:5], v[30:31], v[152:153], -v[4:5]
	v_add_f64 v[2:3], v[2:3], v[4:5]
	v_mul_f64 v[4:5], v[36:37], v[150:151]
	v_fma_f64 v[4:5], v[34:35], v[154:155], -v[4:5]
	v_add_f64 v[2:3], v[2:3], v[4:5]
	;; [unrolled: 3-line block ×22, first 2 shown]
	s_waitcnt vmcnt(2)
	v_add_f64 v[2:3], v[252:253], -v[2:3]
	s_waitcnt vmcnt(0)
	v_add_f64 v[4:5], v[248:249], -v[244:245]
	buffer_store_dword v3, off, s[0:3], 0 offset:196
	buffer_store_dword v2, off, s[0:3], 0 offset:192
	;; [unrolled: 1-line block ×4, first 2 shown]
	s_and_saveexec_b64 s[4:5], vcc
	s_cbranch_execz .LBB44_263
; %bb.262:
	v_accvgpr_read_b32 v0, a124
	buffer_load_dword v2, v0, s[0:3], 0 offen
	buffer_load_dword v3, v0, s[0:3], 0 offen offset:4
	buffer_load_dword v4, v0, s[0:3], 0 offen offset:8
	;; [unrolled: 1-line block ×3, first 2 shown]
	v_accvgpr_read_b32 v0, a135
	buffer_store_dword v254, off, s[0:3], 0 offset:176
	buffer_store_dword v254, off, s[0:3], 0 offset:180
	;; [unrolled: 1-line block ×4, first 2 shown]
	s_waitcnt vmcnt(4)
	ds_write_b128 v0, v[2:5]
.LBB44_263:
	s_or_b64 exec, exec, s[4:5]
	s_waitcnt lgkmcnt(0)
	; wave barrier
	s_waitcnt lgkmcnt(0)
	buffer_load_dword v86, off, s[0:3], 0 offset:192
	buffer_load_dword v87, off, s[0:3], 0 offset:196
	;; [unrolled: 1-line block ×42, first 2 shown]
	ds_read_b128 v[94:97], v254 offset:896
	ds_read_b128 v[106:109], v254 offset:912
	;; [unrolled: 1-line block ×10, first 2 shown]
	buffer_load_dword v147, off, s[0:3], 0 offset:340
	buffer_load_dword v146, off, s[0:3], 0 offset:336
	ds_read_b128 v[6:9], v254 offset:1056
	buffer_load_dword v143, off, s[0:3], 0 offset:396
	buffer_load_dword v142, off, s[0:3], 0 offset:392
	;; [unrolled: 1-line block ×80, first 2 shown]
	v_accvgpr_read_b32 v1, a134
	v_cmp_lt_u32_e32 vcc, 9, v1
	s_waitcnt vmcnt(62) lgkmcnt(10)
	v_mul_f64 v[26:27], v[94:95], v[88:89]
	v_fmac_f64_e32 v[26:27], v[96:97], v[86:87]
	v_add_f64 v[26:27], v[26:27], 0
	v_mul_f64 v[88:89], v[96:97], v[88:89]
	s_waitcnt lgkmcnt(9)
	v_mul_f64 v[28:29], v[106:107], v[92:93]
	v_fmac_f64_e32 v[28:29], v[108:109], v[90:91]
	s_waitcnt lgkmcnt(8)
	v_mul_f64 v[30:31], v[114:115], v[98:99]
	v_add_f64 v[26:27], v[26:27], v[28:29]
	s_waitcnt lgkmcnt(6)
	v_mul_f64 v[34:35], v[248:249], v[110:111]
	v_fma_f64 v[200:201], v[94:95], v[86:87], -v[88:89]
	v_fmac_f64_e32 v[34:35], v[250:251], v[112:113]
	v_mul_f64 v[92:93], v[108:109], v[92:93]
	v_mul_f64 v[32:33], v[244:245], v[102:103]
	;; [unrolled: 1-line block ×3, first 2 shown]
	s_waitcnt lgkmcnt(4)
	v_mul_f64 v[38:39], v[18:19], v[120:121]
	v_mul_f64 v[102:103], v[246:247], v[102:103]
	v_fmac_f64_e32 v[38:39], v[20:21], v[122:123]
	v_mul_f64 v[110:111], v[250:251], v[110:111]
	v_mul_f64 v[36:37], v[22:23], v[124:125]
	v_fma_f64 v[248:249], v[248:249], v[112:113], -v[110:111]
	s_waitcnt lgkmcnt(2)
	v_mul_f64 v[42:43], v[10:11], v[126:127]
	v_add_f64 v[200:201], v[200:201], 0
	v_mul_f64 v[20:21], v[20:21], v[120:121]
	v_mul_f64 v[40:41], v[14:15], v[132:133]
	v_fma_f64 v[18:19], v[18:19], v[122:123], -v[20:21]
	s_waitcnt lgkmcnt(1)
	v_mul_f64 v[44:45], v[2:3], v[130:131]
	v_fmac_f64_e32 v[30:31], v[116:117], v[100:101]
	v_add_f64 v[26:27], v[26:27], v[30:31]
	v_fmac_f64_e32 v[32:33], v[246:247], v[104:105]
	v_add_f64 v[26:27], v[26:27], v[32:33]
	v_fmac_f64_e32 v[36:37], v[24:25], v[136:137]
	v_add_f64 v[26:27], v[26:27], v[34:35]
	v_add_f64 v[26:27], v[26:27], v[36:37]
	v_fmac_f64_e32 v[40:41], v[16:17], v[134:135]
	v_add_f64 v[26:27], v[26:27], v[38:39]
	v_fmac_f64_e32 v[42:43], v[12:13], v[128:129]
	v_add_f64 v[26:27], v[26:27], v[40:41]
	v_add_f64 v[26:27], v[26:27], v[42:43]
	s_waitcnt lgkmcnt(0)
	v_mul_f64 v[32:33], v[6:7], v[138:139]
	v_fmac_f64_e32 v[44:45], v[4:5], v[146:147]
	v_add_f64 v[30:31], v[26:27], v[44:45]
	ds_read_b128 v[26:29], v254 offset:1072
	v_fmac_f64_e32 v[32:33], v[8:9], v[140:141]
	v_add_f64 v[34:35], v[30:31], v[32:33]
	ds_read_b128 v[30:33], v254 offset:1088
	v_fma_f64 v[202:203], v[114:115], v[100:101], -v[98:99]
	s_waitcnt lgkmcnt(1)
	v_mul_f64 v[36:37], v[26:27], v[148:149]
	v_fmac_f64_e32 v[36:37], v[28:29], v[164:165]
	v_add_f64 v[38:39], v[34:35], v[36:37]
	ds_read_b128 v[34:37], v254 offset:1104
	s_waitcnt lgkmcnt(1)
	v_mul_f64 v[40:41], v[30:31], v[142:143]
	v_fmac_f64_e32 v[40:41], v[32:33], v[144:145]
	v_add_f64 v[42:43], v[38:39], v[40:41]
	ds_read_b128 v[38:41], v254 offset:1120
	;; [unrolled: 5-line block ×4, first 2 shown]
	s_waitcnt vmcnt(58) lgkmcnt(1)
	v_mul_f64 v[52:53], v[42:43], v[176:177]
	s_waitcnt vmcnt(56)
	v_fmac_f64_e32 v[52:53], v[44:45], v[180:181]
	v_add_f64 v[54:55], v[50:51], v[52:53]
	ds_read_b128 v[50:53], v254 offset:1168
	buffer_load_dword v232, off, s[0:3], 0 offset:712
	buffer_load_dword v237, off, s[0:3], 0 offset:700
	;; [unrolled: 1-line block ×8, first 2 shown]
	s_waitcnt lgkmcnt(1)
	v_mul_f64 v[56:57], v[46:47], v[154:155]
	v_fmac_f64_e32 v[56:57], v[48:49], v[156:157]
	v_add_f64 v[58:59], v[54:55], v[56:57]
	ds_read_b128 v[54:57], v254 offset:1184
	s_waitcnt vmcnt(58) lgkmcnt(1)
	v_mul_f64 v[60:61], v[50:51], v[184:185]
	s_waitcnt vmcnt(56)
	v_fmac_f64_e32 v[60:61], v[52:53], v[188:189]
	buffer_load_dword v241, off, s[0:3], 0 offset:732
	buffer_load_dword v240, off, s[0:3], 0 offset:728
	;; [unrolled: 1-line block ×4, first 2 shown]
	v_add_f64 v[62:63], v[58:59], v[60:61]
	ds_read_b128 v[58:61], v254 offset:1200
	s_waitcnt lgkmcnt(1)
	v_mul_f64 v[64:65], v[54:55], v[158:159]
	v_fmac_f64_e32 v[64:65], v[56:57], v[160:161]
	v_add_f64 v[66:67], v[62:63], v[64:65]
	ds_read_b128 v[62:65], v254 offset:1216
	s_waitcnt vmcnt(54) lgkmcnt(1)
	v_mul_f64 v[68:69], v[58:59], v[192:193]
	s_waitcnt vmcnt(52)
	v_fmac_f64_e32 v[68:69], v[60:61], v[196:197]
	v_add_f64 v[70:71], v[66:67], v[68:69]
	ds_read_b128 v[66:69], v254 offset:1232
	s_waitcnt lgkmcnt(1)
	v_mul_f64 v[72:73], v[62:63], v[162:163]
	v_fmac_f64_e32 v[72:73], v[64:65], v[166:167]
	v_add_f64 v[74:75], v[70:71], v[72:73]
	ds_read_b128 v[70:73], v254 offset:1248
	s_waitcnt vmcnt(46) lgkmcnt(1)
	v_mul_f64 v[76:77], v[66:67], v[208:209]
	s_waitcnt vmcnt(44)
	v_fmac_f64_e32 v[76:77], v[68:69], v[212:213]
	v_add_f64 v[82:83], v[74:75], v[76:77]
	ds_read_b128 v[74:77], v254 offset:1264
	ds_read_b128 v[78:81], v254 offset:1280
	s_waitcnt lgkmcnt(2)
	v_mul_f64 v[84:85], v[70:71], v[170:171]
	v_fmac_f64_e32 v[84:85], v[72:73], v[174:175]
	v_add_f64 v[82:83], v[82:83], v[84:85]
	s_waitcnt vmcnt(38) lgkmcnt(1)
	v_mul_f64 v[84:85], v[74:75], v[216:217]
	s_waitcnt vmcnt(36)
	v_fmac_f64_e32 v[84:85], v[76:77], v[218:219]
	v_add_f64 v[82:83], v[82:83], v[84:85]
	s_waitcnt lgkmcnt(0)
	v_mul_f64 v[84:85], v[78:79], v[178:179]
	v_fmac_f64_e32 v[84:85], v[80:81], v[182:183]
	v_add_f64 v[118:119], v[82:83], v[84:85]
	ds_read_b128 v[82:85], v254 offset:1296
	ds_read_b128 v[86:89], v254 offset:1312
	;; [unrolled: 1-line block ×3, first 2 shown]
	v_fma_f64 v[246:247], v[244:245], v[104:105], -v[102:103]
	ds_read_b128 v[102:105], v254 offset:1392
	ds_read_b128 v[110:113], v254 offset:1408
	s_waitcnt vmcnt(30) lgkmcnt(4)
	v_mul_f64 v[94:95], v[82:83], v[220:221]
	s_waitcnt vmcnt(28)
	v_fmac_f64_e32 v[94:95], v[84:85], v[222:223]
	v_add_f64 v[94:95], v[118:119], v[94:95]
	v_fma_f64 v[118:119], v[106:107], v[90:91], -v[92:93]
	ds_read_b128 v[90:93], v254 offset:1328
	s_waitcnt lgkmcnt(4)
	v_mul_f64 v[96:97], v[86:87], v[186:187]
	v_fmac_f64_e32 v[96:97], v[88:89], v[190:191]
	v_add_f64 v[106:107], v[94:95], v[96:97]
	ds_read_b128 v[94:97], v254 offset:1344
	s_waitcnt vmcnt(22) lgkmcnt(1)
	v_mul_f64 v[108:109], v[90:91], v[224:225]
	s_waitcnt vmcnt(20)
	v_fmac_f64_e32 v[108:109], v[92:93], v[226:227]
	v_add_f64 v[106:107], v[106:107], v[108:109]
	v_add_f64 v[118:119], v[200:201], v[118:119]
	s_waitcnt lgkmcnt(0)
	v_mul_f64 v[108:109], v[94:95], v[194:195]
	v_fmac_f64_e32 v[108:109], v[96:97], v[198:199]
	v_add_f64 v[114:115], v[106:107], v[108:109]
	ds_read_b128 v[106:109], v254 offset:1376
	s_waitcnt vmcnt(14)
	v_mul_f64 v[116:117], v[98:99], v[228:229]
	s_waitcnt vmcnt(12)
	v_fmac_f64_e32 v[116:117], v[100:101], v[230:231]
	v_add_f64 v[114:115], v[114:115], v[116:117]
	v_add_f64 v[250:251], v[118:119], v[202:203]
	s_waitcnt lgkmcnt(0)
	v_mul_f64 v[116:117], v[106:107], v[210:211]
	v_fmac_f64_e32 v[116:117], v[108:109], v[214:215]
	v_add_f64 v[114:115], v[114:115], v[116:117]
	v_add_f64 v[118:119], v[250:251], v[246:247]
	v_mul_f64 v[24:25], v[24:25], v[124:125]
	v_add_f64 v[118:119], v[118:119], v[248:249]
	v_fma_f64 v[22:23], v[22:23], v[136:137], -v[24:25]
	v_add_f64 v[22:23], v[118:119], v[22:23]
	v_mul_f64 v[16:17], v[16:17], v[132:133]
	v_add_f64 v[18:19], v[22:23], v[18:19]
	v_fma_f64 v[14:15], v[14:15], v[134:135], -v[16:17]
	v_mul_f64 v[12:13], v[12:13], v[126:127]
	s_waitcnt vmcnt(9)
	v_mul_f64 v[116:117], v[102:103], v[236:237]
	v_add_f64 v[14:15], v[18:19], v[14:15]
	s_waitcnt vmcnt(7)
	v_fmac_f64_e32 v[116:117], v[104:105], v[238:239]
	v_add_f64 v[114:115], v[114:115], v[116:117]
	s_waitcnt vmcnt(5)
	v_mul_f64 v[116:117], v[110:111], v[232:233]
	s_waitcnt vmcnt(4)
	v_fmac_f64_e32 v[116:117], v[112:113], v[234:235]
	v_add_f64 v[204:205], v[114:115], v[116:117]
	ds_read_b128 v[114:117], v254 offset:1424
	buffer_load_dword v254, off, s[0:3], 0 offset:176
	buffer_load_dword v255, off, s[0:3], 0 offset:180
	;; [unrolled: 1-line block ×4, first 2 shown]
	v_fma_f64 v[10:11], v[10:11], v[128:129], -v[12:13]
	v_mul_f64 v[4:5], v[4:5], v[130:131]
	v_add_f64 v[10:11], v[14:15], v[10:11]
	v_fma_f64 v[2:3], v[2:3], v[146:147], -v[4:5]
	v_mul_f64 v[4:5], v[8:9], v[138:139]
	v_add_f64 v[2:3], v[10:11], v[2:3]
	v_fma_f64 v[4:5], v[6:7], v[140:141], -v[4:5]
	v_add_f64 v[2:3], v[2:3], v[4:5]
	v_mul_f64 v[4:5], v[28:29], v[148:149]
	v_fma_f64 v[4:5], v[26:27], v[164:165], -v[4:5]
	v_add_f64 v[2:3], v[2:3], v[4:5]
	v_mul_f64 v[4:5], v[32:33], v[142:143]
	;; [unrolled: 3-line block ×22, first 2 shown]
	v_fma_f64 v[4:5], v[110:111], v[234:235], -v[4:5]
	v_add_f64 v[2:3], v[2:3], v[4:5]
	s_waitcnt vmcnt(6) lgkmcnt(0)
	v_mul_f64 v[4:5], v[116:117], v[240:241]
	v_mul_f64 v[206:207], v[114:115], v[240:241]
	s_waitcnt vmcnt(4)
	v_fma_f64 v[4:5], v[114:115], v[242:243], -v[4:5]
	v_fmac_f64_e32 v[206:207], v[116:117], v[242:243]
	v_add_f64 v[2:3], v[2:3], v[4:5]
	v_add_f64 v[244:245], v[204:205], v[206:207]
	s_waitcnt vmcnt(2)
	v_add_f64 v[2:3], v[254:255], -v[2:3]
	s_waitcnt vmcnt(0)
	v_add_f64 v[4:5], v[252:253], -v[244:245]
	buffer_store_dword v3, off, s[0:3], 0 offset:180
	buffer_store_dword v2, off, s[0:3], 0 offset:176
	;; [unrolled: 1-line block ×4, first 2 shown]
	s_and_saveexec_b64 s[4:5], vcc
	s_cbranch_execz .LBB44_265
; %bb.264:
	v_accvgpr_read_b32 v0, a125
	buffer_load_dword v2, v0, s[0:3], 0 offen
	buffer_load_dword v3, v0, s[0:3], 0 offen offset:4
	buffer_load_dword v4, v0, s[0:3], 0 offen offset:8
	;; [unrolled: 1-line block ×3, first 2 shown]
	v_mov_b32_e32 v0, 0
	v_accvgpr_read_b32 v6, a135
	buffer_store_dword v0, off, s[0:3], 0 offset:160
	buffer_store_dword v0, off, s[0:3], 0 offset:164
	;; [unrolled: 1-line block ×4, first 2 shown]
	s_waitcnt vmcnt(4)
	ds_write_b128 v6, v[2:5]
.LBB44_265:
	s_or_b64 exec, exec, s[4:5]
	s_waitcnt lgkmcnt(0)
	; wave barrier
	s_waitcnt lgkmcnt(0)
	buffer_load_dword v82, off, s[0:3], 0 offset:176
	buffer_load_dword v83, off, s[0:3], 0 offset:180
	;; [unrolled: 1-line block ×54, first 2 shown]
	v_mov_b32_e32 v254, 0
	ds_read_b128 v[90:93], v254 offset:880
	ds_read_b128 v[106:109], v254 offset:896
	;; [unrolled: 1-line block ×9, first 2 shown]
	buffer_load_dword v151, off, s[0:3], 0 offset:404
	buffer_load_dword v150, off, s[0:3], 0 offset:400
	;; [unrolled: 1-line block ×62, first 2 shown]
	v_cmp_lt_u32_e32 vcc, 8, v1
	s_waitcnt vmcnt(62) lgkmcnt(8)
	v_mul_f64 v[14:15], v[90:91], v[84:85]
	v_fmac_f64_e32 v[14:15], v[92:93], v[82:83]
	v_add_f64 v[14:15], v[14:15], 0
	v_mul_f64 v[84:85], v[92:93], v[84:85]
	s_waitcnt lgkmcnt(7)
	v_mul_f64 v[16:17], v[106:107], v[88:89]
	v_fmac_f64_e32 v[16:17], v[108:109], v[86:87]
	s_waitcnt lgkmcnt(6)
	v_mul_f64 v[18:19], v[114:115], v[94:95]
	v_add_f64 v[14:15], v[14:15], v[16:17]
	s_waitcnt lgkmcnt(4)
	v_mul_f64 v[22:23], v[246:247], v[102:103]
	v_fma_f64 v[200:201], v[90:91], v[82:83], -v[84:85]
	v_fmac_f64_e32 v[22:23], v[248:249], v[104:105]
	v_mul_f64 v[88:89], v[108:109], v[88:89]
	v_mul_f64 v[20:21], v[242:243], v[98:99]
	v_fma_f64 v[202:203], v[106:107], v[86:87], -v[88:89]
	s_waitcnt lgkmcnt(2)
	v_mul_f64 v[26:27], v[10:11], v[120:121]
	v_mul_f64 v[94:95], v[116:117], v[94:95]
	v_fmac_f64_e32 v[26:27], v[12:13], v[122:123]
	v_mul_f64 v[98:99], v[244:245], v[98:99]
	v_mul_f64 v[24:25], v[250:251], v[110:111]
	;; [unrolled: 1-line block ×3, first 2 shown]
	s_waitcnt lgkmcnt(1)
	v_mul_f64 v[28:29], v[6:7], v[124:125]
	v_mul_f64 v[110:111], v[252:253], v[110:111]
	v_fmac_f64_e32 v[18:19], v[116:117], v[96:97]
	v_add_f64 v[14:15], v[14:15], v[18:19]
	v_fmac_f64_e32 v[20:21], v[244:245], v[100:101]
	v_add_f64 v[14:15], v[14:15], v[20:21]
	;; [unrolled: 2-line block ×3, first 2 shown]
	v_add_f64 v[14:15], v[14:15], v[24:25]
	v_fmac_f64_e32 v[28:29], v[8:9], v[128:129]
	v_add_f64 v[14:15], v[14:15], v[26:27]
	v_add_f64 v[18:19], v[14:15], v[28:29]
	ds_read_b128 v[14:17], v254 offset:1024
	s_waitcnt lgkmcnt(1)
	v_mul_f64 v[20:21], v[2:3], v[126:127]
	v_fmac_f64_e32 v[20:21], v[4:5], v[130:131]
	v_add_f64 v[22:23], v[18:19], v[20:21]
	ds_read_b128 v[18:21], v254 offset:1040
	s_waitcnt lgkmcnt(1)
	v_mul_f64 v[24:25], v[14:15], v[136:137]
	v_fmac_f64_e32 v[24:25], v[16:17], v[138:139]
	;; [unrolled: 5-line block ×5, first 2 shown]
	v_add_f64 v[38:39], v[34:35], v[36:37]
	ds_read_b128 v[34:37], v254 offset:1104
	s_waitcnt vmcnt(58) lgkmcnt(1)
	v_mul_f64 v[40:41], v[30:31], v[164:165]
	s_waitcnt vmcnt(56)
	v_fmac_f64_e32 v[40:41], v[32:33], v[168:169]
	v_add_f64 v[42:43], v[38:39], v[40:41]
	ds_read_b128 v[38:41], v254 offset:1120
	s_waitcnt lgkmcnt(1)
	v_mul_f64 v[44:45], v[34:35], v[144:145]
	v_fmac_f64_e32 v[44:45], v[36:37], v[150:151]
	v_add_f64 v[46:47], v[42:43], v[44:45]
	ds_read_b128 v[42:45], v254 offset:1136
	s_waitcnt vmcnt(50) lgkmcnt(1)
	v_mul_f64 v[48:49], v[38:39], v[172:173]
	s_waitcnt vmcnt(48)
	v_fmac_f64_e32 v[48:49], v[40:41], v[176:177]
	v_add_f64 v[50:51], v[46:47], v[48:49]
	ds_read_b128 v[46:49], v254 offset:1152
	buffer_load_dword v221, off, s[0:3], 0 offset:652
	buffer_load_dword v220, off, s[0:3], 0 offset:648
	;; [unrolled: 1-line block ×8, first 2 shown]
	s_waitcnt lgkmcnt(1)
	v_mul_f64 v[52:53], v[42:43], v[152:153]
	v_fmac_f64_e32 v[52:53], v[44:45], v[154:155]
	v_add_f64 v[54:55], v[50:51], v[52:53]
	ds_read_b128 v[50:53], v254 offset:1168
	s_waitcnt vmcnt(50) lgkmcnt(1)
	v_mul_f64 v[56:57], v[46:47], v[180:181]
	s_waitcnt vmcnt(48)
	v_fmac_f64_e32 v[56:57], v[48:49], v[184:185]
	buffer_load_dword v225, off, s[0:3], 0 offset:700
	buffer_load_dword v231, off, s[0:3], 0 offset:684
	;; [unrolled: 1-line block ×12, first 2 shown]
	v_add_f64 v[58:59], v[54:55], v[56:57]
	ds_read_b128 v[54:57], v254 offset:1184
	s_waitcnt lgkmcnt(1)
	v_mul_f64 v[60:61], v[50:51], v[156:157]
	v_fmac_f64_e32 v[60:61], v[52:53], v[158:159]
	v_add_f64 v[62:63], v[58:59], v[60:61]
	ds_read_b128 v[58:61], v254 offset:1200
	s_waitcnt vmcnt(54) lgkmcnt(1)
	v_mul_f64 v[64:65], v[54:55], v[188:189]
	s_waitcnt vmcnt(52)
	v_fmac_f64_e32 v[64:65], v[56:57], v[192:193]
	v_add_f64 v[66:67], v[62:63], v[64:65]
	ds_read_b128 v[62:65], v254 offset:1216
	s_waitcnt lgkmcnt(1)
	v_mul_f64 v[68:69], v[58:59], v[160:161]
	v_fmac_f64_e32 v[68:69], v[60:61], v[162:163]
	v_add_f64 v[70:71], v[66:67], v[68:69]
	ds_read_b128 v[66:69], v254 offset:1232
	s_waitcnt vmcnt(46) lgkmcnt(1)
	v_mul_f64 v[72:73], v[62:63], v[196:197]
	s_waitcnt vmcnt(44)
	v_fmac_f64_e32 v[72:73], v[64:65], v[198:199]
	v_add_f64 v[78:79], v[70:71], v[72:73]
	ds_read_b128 v[70:73], v254 offset:1248
	ds_read_b128 v[74:77], v254 offset:1264
	s_waitcnt lgkmcnt(2)
	v_mul_f64 v[80:81], v[66:67], v[166:167]
	v_fmac_f64_e32 v[80:81], v[68:69], v[170:171]
	v_add_f64 v[78:79], v[78:79], v[80:81]
	s_waitcnt vmcnt(38) lgkmcnt(1)
	v_mul_f64 v[80:81], v[70:71], v[208:209]
	s_waitcnt vmcnt(36)
	v_fmac_f64_e32 v[80:81], v[72:73], v[210:211]
	v_add_f64 v[78:79], v[78:79], v[80:81]
	s_waitcnt lgkmcnt(0)
	v_mul_f64 v[80:81], v[74:75], v[174:175]
	v_fmac_f64_e32 v[80:81], v[76:77], v[178:179]
	v_add_f64 v[118:119], v[78:79], v[80:81]
	ds_read_b128 v[78:81], v254 offset:1280
	ds_read_b128 v[82:85], v254 offset:1296
	;; [unrolled: 1-line block ×3, first 2 shown]
	v_fma_f64 v[204:205], v[242:243], v[100:101], -v[98:99]
	ds_read_b128 v[98:101], v254 offset:1360
	s_waitcnt vmcnt(30) lgkmcnt(3)
	v_mul_f64 v[90:91], v[78:79], v[212:213]
	s_waitcnt vmcnt(28)
	v_fmac_f64_e32 v[90:91], v[80:81], v[214:215]
	s_waitcnt lgkmcnt(2)
	v_mul_f64 v[92:93], v[82:83], v[182:183]
	v_add_f64 v[90:91], v[118:119], v[90:91]
	v_fmac_f64_e32 v[92:93], v[84:85], v[186:187]
	v_add_f64 v[90:91], v[90:91], v[92:93]
	v_fma_f64 v[118:119], v[114:115], v[96:97], -v[94:95]
	ds_read_b128 v[94:97], v254 offset:1344
	s_waitcnt vmcnt(22) lgkmcnt(2)
	v_mul_f64 v[92:93], v[86:87], v[216:217]
	s_waitcnt vmcnt(20)
	v_fmac_f64_e32 v[92:93], v[88:89], v[218:219]
	v_add_f64 v[106:107], v[90:91], v[92:93]
	ds_read_b128 v[90:93], v254 offset:1328
	buffer_load_dword v240, off, s[0:3], 0 offset:728
	v_fma_f64 v[206:207], v[246:247], v[104:105], -v[102:103]
	ds_read_b128 v[102:105], v254 offset:1376
	v_fma_f64 v[250:251], v[250:251], v[112:113], -v[110:111]
	s_waitcnt lgkmcnt(1)
	v_mul_f64 v[108:109], v[90:91], v[190:191]
	v_fmac_f64_e32 v[108:109], v[92:93], v[194:195]
	v_add_f64 v[106:107], v[106:107], v[108:109]
	ds_read_b128 v[110:113], v254 offset:1408
	v_add_f64 v[200:201], v[200:201], 0
	v_add_f64 v[200:201], v[200:201], v[202:203]
	;; [unrolled: 1-line block ×5, first 2 shown]
	v_mul_f64 v[12:13], v[12:13], v[120:121]
	v_add_f64 v[118:119], v[252:253], v[250:251]
	v_fma_f64 v[10:11], v[10:11], v[122:123], -v[12:13]
	v_mul_f64 v[8:9], v[8:9], v[124:125]
	v_add_f64 v[10:11], v[118:119], v[10:11]
	v_fma_f64 v[6:7], v[6:7], v[128:129], -v[8:9]
	v_mul_f64 v[4:5], v[4:5], v[126:127]
	v_add_f64 v[6:7], v[10:11], v[6:7]
	v_fma_f64 v[2:3], v[2:3], v[130:131], -v[4:5]
	v_mul_f64 v[4:5], v[16:17], v[136:137]
	v_add_f64 v[2:3], v[6:7], v[2:3]
	s_waitcnt vmcnt(19)
	v_mul_f64 v[108:109], v[94:95], v[220:221]
	v_fma_f64 v[4:5], v[14:15], v[138:139], -v[4:5]
	s_waitcnt vmcnt(17)
	v_fmac_f64_e32 v[108:109], v[96:97], v[222:223]
	v_add_f64 v[106:107], v[106:107], v[108:109]
	s_waitcnt vmcnt(15)
	v_mul_f64 v[108:109], v[98:99], v[226:227]
	s_waitcnt vmcnt(13)
	v_fmac_f64_e32 v[108:109], v[100:101], v[228:229]
	v_add_f64 v[114:115], v[106:107], v[108:109]
	ds_read_b128 v[106:109], v254 offset:1392
	buffer_load_dword v244, off, s[0:3], 0 offset:720
	buffer_load_dword v241, off, s[0:3], 0 offset:732
	;; [unrolled: 1-line block ×3, first 2 shown]
	s_waitcnt vmcnt(13) lgkmcnt(2)
	v_mul_f64 v[116:117], v[102:103], v[230:231]
	s_waitcnt vmcnt(11)
	v_fmac_f64_e32 v[116:117], v[104:105], v[236:237]
	v_add_f64 v[114:115], v[114:115], v[116:117]
	s_waitcnt vmcnt(10) lgkmcnt(0)
	v_mul_f64 v[116:117], v[106:107], v[224:225]
	s_waitcnt vmcnt(8)
	v_fmac_f64_e32 v[116:117], v[108:109], v[234:235]
	v_add_f64 v[114:115], v[114:115], v[116:117]
	s_waitcnt vmcnt(6)
	v_mul_f64 v[116:117], v[110:111], v[232:233]
	s_waitcnt vmcnt(4)
	v_fmac_f64_e32 v[116:117], v[112:113], v[238:239]
	v_add_f64 v[242:243], v[114:115], v[116:117]
	ds_read_b128 v[114:117], v254 offset:1424
	buffer_load_dword v248, off, s[0:3], 0 offset:160
	buffer_load_dword v249, off, s[0:3], 0 offset:164
	v_add_f64 v[2:3], v[2:3], v[4:5]
	v_mul_f64 v[4:5], v[20:21], v[132:133]
	v_fma_f64 v[4:5], v[18:19], v[134:135], -v[4:5]
	v_add_f64 v[2:3], v[2:3], v[4:5]
	v_mul_f64 v[4:5], v[24:25], v[146:147]
	v_fma_f64 v[4:5], v[22:23], v[148:149], -v[4:5]
	;; [unrolled: 3-line block ×22, first 2 shown]
	v_add_f64 v[2:3], v[2:3], v[4:5]
	s_waitcnt vmcnt(3) lgkmcnt(0)
	v_mul_f64 v[246:247], v[114:115], v[240:241]
	s_waitcnt vmcnt(2)
	v_fmac_f64_e32 v[246:247], v[116:117], v[244:245]
	v_add_f64 v[242:243], v[242:243], v[246:247]
	buffer_load_dword v246, off, s[0:3], 0 offset:168
	buffer_load_dword v247, off, s[0:3], 0 offset:172
	v_mul_f64 v[4:5], v[108:109], v[224:225]
	v_fma_f64 v[4:5], v[106:107], v[234:235], -v[4:5]
	v_add_f64 v[2:3], v[2:3], v[4:5]
	v_mul_f64 v[4:5], v[112:113], v[232:233]
	v_fma_f64 v[4:5], v[110:111], v[238:239], -v[4:5]
	v_add_f64 v[2:3], v[2:3], v[4:5]
	v_mul_f64 v[4:5], v[116:117], v[240:241]
	v_fma_f64 v[4:5], v[114:115], v[244:245], -v[4:5]
	v_add_f64 v[2:3], v[2:3], v[4:5]
	s_waitcnt vmcnt(2)
	v_add_f64 v[2:3], v[248:249], -v[2:3]
	s_waitcnt vmcnt(0)
	v_add_f64 v[4:5], v[246:247], -v[242:243]
	buffer_store_dword v3, off, s[0:3], 0 offset:164
	buffer_store_dword v2, off, s[0:3], 0 offset:160
	;; [unrolled: 1-line block ×4, first 2 shown]
	s_and_saveexec_b64 s[4:5], vcc
	s_cbranch_execz .LBB44_267
; %bb.266:
	v_accvgpr_read_b32 v0, a126
	buffer_load_dword v2, v0, s[0:3], 0 offen
	buffer_load_dword v3, v0, s[0:3], 0 offen offset:4
	buffer_load_dword v4, v0, s[0:3], 0 offen offset:8
	;; [unrolled: 1-line block ×3, first 2 shown]
	v_accvgpr_read_b32 v0, a135
	buffer_store_dword v254, off, s[0:3], 0 offset:144
	buffer_store_dword v254, off, s[0:3], 0 offset:148
	;; [unrolled: 1-line block ×4, first 2 shown]
	s_waitcnt vmcnt(4)
	ds_write_b128 v0, v[2:5]
.LBB44_267:
	s_or_b64 exec, exec, s[4:5]
	s_waitcnt lgkmcnt(0)
	; wave barrier
	s_waitcnt lgkmcnt(0)
	buffer_load_dword v84, off, s[0:3], 0 offset:160
	buffer_load_dword v85, off, s[0:3], 0 offset:164
	buffer_load_dword v106, off, s[0:3], 0 offset:168
	buffer_load_dword v107, off, s[0:3], 0 offset:172
	buffer_load_dword v82, off, s[0:3], 0 offset:176
	buffer_load_dword v83, off, s[0:3], 0 offset:180
	buffer_load_dword v96, off, s[0:3], 0 offset:184
	buffer_load_dword v97, off, s[0:3], 0 offset:188
	buffer_load_dword v94, off, s[0:3], 0 offset:200
	buffer_load_dword v95, off, s[0:3], 0 offset:204
	buffer_load_dword v109, off, s[0:3], 0 offset:236
	buffer_load_dword v108, off, s[0:3], 0 offset:232
	buffer_load_dword v115, off, s[0:3], 0 offset:228
	buffer_load_dword v114, off, s[0:3], 0 offset:224
	buffer_load_dword v117, off, s[0:3], 0 offset:220
	buffer_load_dword v116, off, s[0:3], 0 offset:216
	buffer_load_dword v241, off, s[0:3], 0 offset:268
	buffer_load_dword v240, off, s[0:3], 0 offset:264
	buffer_load_dword v242, off, s[0:3], 0 offset:256
	buffer_load_dword v245, off, s[0:3], 0 offset:252
	buffer_load_dword v244, off, s[0:3], 0 offset:248
	buffer_load_dword v121, off, s[0:3], 0 offset:284
	buffer_load_dword v120, off, s[0:3], 0 offset:280
	buffer_load_dword v250, off, s[0:3], 0 offset:192
	buffer_load_dword v251, off, s[0:3], 0 offset:196
	buffer_load_dword v249, off, s[0:3], 0 offset:212
	buffer_load_dword v248, off, s[0:3], 0 offset:208
	buffer_load_dword v247, off, s[0:3], 0 offset:244
	buffer_load_dword v246, off, s[0:3], 0 offset:240
	buffer_load_dword v243, off, s[0:3], 0 offset:260
	buffer_load_dword v122, off, s[0:3], 0 offset:296
	buffer_load_dword v124, off, s[0:3], 0 offset:288
	buffer_load_dword v125, off, s[0:3], 0 offset:292
	buffer_load_dword v123, off, s[0:3], 0 offset:300
	ds_read_b128 v[74:77], v254 offset:864
	ds_read_b128 v[78:81], v254 offset:880
	;; [unrolled: 1-line block ×8, first 2 shown]
	buffer_load_dword v127, off, s[0:3], 0 offset:276
	buffer_load_dword v126, off, s[0:3], 0 offset:272
	ds_read_b128 v[6:9], v254 offset:992
	buffer_load_dword v129, off, s[0:3], 0 offset:332
	buffer_load_dword v128, off, s[0:3], 0 offset:328
	buffer_load_dword v131, off, s[0:3], 0 offset:324
	buffer_load_dword v130, off, s[0:3], 0 offset:320
	buffer_load_dword v133, off, s[0:3], 0 offset:316
	buffer_load_dword v132, off, s[0:3], 0 offset:312
	buffer_load_dword v135, off, s[0:3], 0 offset:308
	buffer_load_dword v134, off, s[0:3], 0 offset:304
	buffer_load_dword v137, off, s[0:3], 0 offset:364
	buffer_load_dword v136, off, s[0:3], 0 offset:360
	buffer_load_dword v139, off, s[0:3], 0 offset:356
	buffer_load_dword v138, off, s[0:3], 0 offset:352
	buffer_load_dword v145, off, s[0:3], 0 offset:348
	buffer_load_dword v144, off, s[0:3], 0 offset:344
	buffer_load_dword v147, off, s[0:3], 0 offset:340
	buffer_load_dword v146, off, s[0:3], 0 offset:336
	buffer_load_dword v141, off, s[0:3], 0 offset:396
	buffer_load_dword v140, off, s[0:3], 0 offset:392
	buffer_load_dword v143, off, s[0:3], 0 offset:388
	buffer_load_dword v142, off, s[0:3], 0 offset:384
	buffer_load_dword v161, off, s[0:3], 0 offset:380
	buffer_load_dword v160, off, s[0:3], 0 offset:376
	buffer_load_dword v165, off, s[0:3], 0 offset:372
	buffer_load_dword v164, off, s[0:3], 0 offset:368
	buffer_load_dword v149, off, s[0:3], 0 offset:428
	buffer_load_dword v148, off, s[0:3], 0 offset:424
	buffer_load_dword v151, off, s[0:3], 0 offset:420
	buffer_load_dword v150, off, s[0:3], 0 offset:416
	buffer_load_dword v169, off, s[0:3], 0 offset:412
	buffer_load_dword v168, off, s[0:3], 0 offset:408
	buffer_load_dword v173, off, s[0:3], 0 offset:404
	buffer_load_dword v172, off, s[0:3], 0 offset:400
	buffer_load_dword v153, off, s[0:3], 0 offset:460
	buffer_load_dword v152, off, s[0:3], 0 offset:456
	buffer_load_dword v155, off, s[0:3], 0 offset:452
	buffer_load_dword v154, off, s[0:3], 0 offset:448
	buffer_load_dword v177, off, s[0:3], 0 offset:444
	buffer_load_dword v176, off, s[0:3], 0 offset:440
	buffer_load_dword v181, off, s[0:3], 0 offset:436
	buffer_load_dword v180, off, s[0:3], 0 offset:432
	buffer_load_dword v157, off, s[0:3], 0 offset:492
	buffer_load_dword v156, off, s[0:3], 0 offset:488
	buffer_load_dword v159, off, s[0:3], 0 offset:484
	buffer_load_dword v158, off, s[0:3], 0 offset:480
	buffer_load_dword v185, off, s[0:3], 0 offset:476
	buffer_load_dword v184, off, s[0:3], 0 offset:472
	buffer_load_dword v189, off, s[0:3], 0 offset:468
	buffer_load_dword v188, off, s[0:3], 0 offset:464
	buffer_load_dword v163, off, s[0:3], 0 offset:524
	buffer_load_dword v162, off, s[0:3], 0 offset:520
	buffer_load_dword v167, off, s[0:3], 0 offset:516
	buffer_load_dword v166, off, s[0:3], 0 offset:512
	buffer_load_dword v193, off, s[0:3], 0 offset:508
	buffer_load_dword v192, off, s[0:3], 0 offset:504
	buffer_load_dword v195, off, s[0:3], 0 offset:500
	buffer_load_dword v194, off, s[0:3], 0 offset:496
	buffer_load_dword v171, off, s[0:3], 0 offset:556
	buffer_load_dword v170, off, s[0:3], 0 offset:552
	buffer_load_dword v175, off, s[0:3], 0 offset:548
	buffer_load_dword v174, off, s[0:3], 0 offset:544
	buffer_load_dword v197, off, s[0:3], 0 offset:540
	buffer_load_dword v196, off, s[0:3], 0 offset:536
	buffer_load_dword v199, off, s[0:3], 0 offset:532
	buffer_load_dword v198, off, s[0:3], 0 offset:528
	buffer_load_dword v179, off, s[0:3], 0 offset:588
	buffer_load_dword v178, off, s[0:3], 0 offset:584
	buffer_load_dword v183, off, s[0:3], 0 offset:580
	buffer_load_dword v182, off, s[0:3], 0 offset:576
	buffer_load_dword v209, off, s[0:3], 0 offset:572
	buffer_load_dword v208, off, s[0:3], 0 offset:568
	buffer_load_dword v211, off, s[0:3], 0 offset:564
	buffer_load_dword v210, off, s[0:3], 0 offset:560
	buffer_load_dword v187, off, s[0:3], 0 offset:620
	buffer_load_dword v186, off, s[0:3], 0 offset:616
	buffer_load_dword v191, off, s[0:3], 0 offset:612
	buffer_load_dword v190, off, s[0:3], 0 offset:608
	buffer_load_dword v213, off, s[0:3], 0 offset:604
	buffer_load_dword v212, off, s[0:3], 0 offset:600
	buffer_load_dword v215, off, s[0:3], 0 offset:596
	buffer_load_dword v214, off, s[0:3], 0 offset:592
	v_accvgpr_read_b32 v1, a134
	v_cmp_lt_u32_e32 vcc, 7, v1
	s_waitcnt vmcnt(62) lgkmcnt(8)
	v_mul_f64 v[10:11], v[74:75], v[106:107]
	v_fmac_f64_e32 v[10:11], v[76:77], v[84:85]
	v_add_f64 v[10:11], v[10:11], 0
	v_mul_f64 v[76:77], v[76:77], v[106:107]
	s_waitcnt lgkmcnt(7)
	v_mul_f64 v[12:13], v[78:79], v[96:97]
	v_fmac_f64_e32 v[12:13], v[80:81], v[82:83]
	s_waitcnt lgkmcnt(6)
	v_mul_f64 v[14:15], v[86:87], v[94:95]
	v_add_f64 v[10:11], v[10:11], v[12:13]
	s_waitcnt lgkmcnt(4)
	v_mul_f64 v[18:19], v[98:99], v[108:109]
	v_fma_f64 v[200:201], v[74:75], v[84:85], -v[76:77]
	v_fmac_f64_e32 v[18:19], v[100:101], v[114:115]
	v_mul_f64 v[80:81], v[80:81], v[96:97]
	v_mul_f64 v[16:17], v[90:91], v[116:117]
	v_fma_f64 v[202:203], v[78:79], v[82:83], -v[80:81]
	s_waitcnt lgkmcnt(2)
	v_mul_f64 v[22:23], v[110:111], v[240:241]
	v_mul_f64 v[100:101], v[100:101], v[108:109]
	v_fma_f64 v[206:207], v[98:99], v[114:115], -v[100:101]
	v_mul_f64 v[20:21], v[102:103], v[244:245]
	v_add_f64 v[200:201], v[200:201], 0
	s_waitcnt lgkmcnt(1)
	v_mul_f64 v[24:25], v[2:3], v[120:121]
	v_add_f64 v[200:201], v[200:201], v[202:203]
	v_fmac_f64_e32 v[14:15], v[88:89], v[250:251]
	v_add_f64 v[10:11], v[10:11], v[14:15]
	v_fmac_f64_e32 v[16:17], v[92:93], v[248:249]
	;; [unrolled: 2-line block ×4, first 2 shown]
	v_add_f64 v[10:11], v[10:11], v[20:21]
	v_add_f64 v[10:11], v[10:11], v[22:23]
	s_waitcnt lgkmcnt(0)
	v_mul_f64 v[16:17], v[6:7], v[122:123]
	v_fmac_f64_e32 v[16:17], v[8:9], v[124:125]
	v_fmac_f64_e32 v[24:25], v[4:5], v[126:127]
	v_add_f64 v[14:15], v[10:11], v[24:25]
	ds_read_b128 v[10:13], v254 offset:1008
	v_add_f64 v[18:19], v[14:15], v[16:17]
	ds_read_b128 v[14:17], v254 offset:1024
	v_mul_f64 v[88:89], v[88:89], v[94:95]
	v_mul_f64 v[92:93], v[92:93], v[116:117]
	s_waitcnt lgkmcnt(1)
	v_mul_f64 v[20:21], v[10:11], v[132:133]
	v_fmac_f64_e32 v[20:21], v[12:13], v[134:135]
	s_waitcnt lgkmcnt(0)
	v_mul_f64 v[24:25], v[14:15], v[128:129]
	v_add_f64 v[22:23], v[18:19], v[20:21]
	ds_read_b128 v[18:21], v254 offset:1040
	v_fmac_f64_e32 v[24:25], v[16:17], v[130:131]
	v_add_f64 v[26:27], v[22:23], v[24:25]
	ds_read_b128 v[22:25], v254 offset:1056
	v_fma_f64 v[204:205], v[90:91], v[248:249], -v[92:93]
	s_waitcnt lgkmcnt(1)
	v_mul_f64 v[28:29], v[18:19], v[144:145]
	v_fmac_f64_e32 v[28:29], v[20:21], v[146:147]
	v_add_f64 v[30:31], v[26:27], v[28:29]
	s_waitcnt lgkmcnt(0)
	v_mul_f64 v[32:33], v[22:23], v[136:137]
	ds_read_b128 v[26:29], v254 offset:1072
	v_fmac_f64_e32 v[32:33], v[24:25], v[138:139]
	v_add_f64 v[34:35], v[30:31], v[32:33]
	ds_read_b128 v[30:33], v254 offset:1088
	v_mul_f64 v[104:105], v[104:105], v[244:245]
	s_waitcnt vmcnt(58) lgkmcnt(1)
	v_mul_f64 v[36:37], v[26:27], v[160:161]
	s_waitcnt vmcnt(56)
	v_fmac_f64_e32 v[36:37], v[28:29], v[164:165]
	v_add_f64 v[38:39], v[34:35], v[36:37]
	s_waitcnt lgkmcnt(0)
	v_mul_f64 v[40:41], v[30:31], v[140:141]
	ds_read_b128 v[34:37], v254 offset:1104
	v_fmac_f64_e32 v[40:41], v[32:33], v[142:143]
	v_add_f64 v[42:43], v[38:39], v[40:41]
	ds_read_b128 v[38:41], v254 offset:1120
	v_mul_f64 v[112:113], v[112:113], v[240:241]
	s_waitcnt vmcnt(50) lgkmcnt(1)
	v_mul_f64 v[44:45], v[34:35], v[168:169]
	s_waitcnt vmcnt(48)
	v_fmac_f64_e32 v[44:45], v[36:37], v[172:173]
	v_add_f64 v[46:47], v[42:43], v[44:45]
	s_waitcnt lgkmcnt(0)
	v_mul_f64 v[48:49], v[38:39], v[148:149]
	v_fmac_f64_e32 v[48:49], v[40:41], v[150:151]
	ds_read_b128 v[42:45], v254 offset:1136
	v_add_f64 v[50:51], v[46:47], v[48:49]
	ds_read_b128 v[46:49], v254 offset:1152
	buffer_load_dword v217, off, s[0:3], 0 offset:652
	buffer_load_dword v219, off, s[0:3], 0 offset:636
	;; [unrolled: 1-line block ×12, first 2 shown]
	v_fma_f64 v[252:253], v[110:111], v[242:243], -v[112:113]
	s_waitcnt vmcnt(54) lgkmcnt(1)
	v_mul_f64 v[52:53], v[42:43], v[176:177]
	s_waitcnt vmcnt(52)
	v_fmac_f64_e32 v[52:53], v[44:45], v[180:181]
	v_add_f64 v[54:55], v[50:51], v[52:53]
	ds_read_b128 v[50:53], v254 offset:1168
	s_waitcnt lgkmcnt(1)
	v_mul_f64 v[56:57], v[46:47], v[152:153]
	v_fmac_f64_e32 v[56:57], v[48:49], v[154:155]
	buffer_load_dword v231, off, s[0:3], 0 offset:684
	buffer_load_dword v230, off, s[0:3], 0 offset:680
	buffer_load_dword v233, off, s[0:3], 0 offset:676
	buffer_load_dword v232, off, s[0:3], 0 offset:672
	buffer_load_dword v228, off, s[0:3], 0 offset:712
	buffer_load_dword v237, off, s[0:3], 0 offset:700
	buffer_load_dword v236, off, s[0:3], 0 offset:696
	buffer_load_dword v239, off, s[0:3], 0 offset:692
	buffer_load_dword v238, off, s[0:3], 0 offset:688
	buffer_load_dword v234, off, s[0:3], 0 offset:704
	buffer_load_dword v229, off, s[0:3], 0 offset:716
	buffer_load_dword v235, off, s[0:3], 0 offset:708
	v_add_f64 v[58:59], v[54:55], v[56:57]
	ds_read_b128 v[54:57], v254 offset:1184
	s_waitcnt vmcnt(58) lgkmcnt(1)
	v_mul_f64 v[60:61], v[50:51], v[184:185]
	s_waitcnt vmcnt(56)
	v_fmac_f64_e32 v[60:61], v[52:53], v[188:189]
	v_add_f64 v[62:63], v[58:59], v[60:61]
	ds_read_b128 v[58:61], v254 offset:1200
	s_waitcnt lgkmcnt(1)
	v_mul_f64 v[64:65], v[54:55], v[156:157]
	v_fmac_f64_e32 v[64:65], v[56:57], v[158:159]
	v_add_f64 v[70:71], v[62:63], v[64:65]
	ds_read_b128 v[62:65], v254 offset:1216
	ds_read_b128 v[66:69], v254 offset:1232
	s_waitcnt vmcnt(50) lgkmcnt(2)
	v_mul_f64 v[72:73], v[58:59], v[192:193]
	s_waitcnt vmcnt(48)
	v_fmac_f64_e32 v[72:73], v[60:61], v[194:195]
	v_add_f64 v[70:71], v[70:71], v[72:73]
	s_waitcnt lgkmcnt(1)
	v_mul_f64 v[72:73], v[62:63], v[162:163]
	v_fmac_f64_e32 v[72:73], v[64:65], v[166:167]
	v_add_f64 v[70:71], v[70:71], v[72:73]
	s_waitcnt vmcnt(42) lgkmcnt(0)
	v_mul_f64 v[72:73], v[66:67], v[196:197]
	s_waitcnt vmcnt(40)
	v_fmac_f64_e32 v[72:73], v[68:69], v[198:199]
	v_add_f64 v[118:119], v[70:71], v[72:73]
	ds_read_b128 v[70:73], v254 offset:1248
	ds_read_b128 v[74:77], v254 offset:1264
	ds_read_b128 v[78:81], v254 offset:1280
	ds_read_b128 v[90:93], v254 offset:1328
	ds_read_b128 v[98:101], v254 offset:1360
	s_waitcnt lgkmcnt(4)
	v_mul_f64 v[84:85], v[70:71], v[170:171]
	v_fmac_f64_e32 v[84:85], v[72:73], v[174:175]
	v_add_f64 v[82:83], v[118:119], v[84:85]
	s_waitcnt vmcnt(34) lgkmcnt(3)
	v_mul_f64 v[84:85], v[74:75], v[208:209]
	s_waitcnt vmcnt(32)
	v_fmac_f64_e32 v[84:85], v[76:77], v[210:211]
	v_add_f64 v[82:83], v[82:83], v[84:85]
	v_fma_f64 v[118:119], v[86:87], v[250:251], -v[88:89]
	ds_read_b128 v[86:89], v254 offset:1312
	s_waitcnt lgkmcnt(3)
	v_mul_f64 v[84:85], v[78:79], v[178:179]
	v_fmac_f64_e32 v[84:85], v[80:81], v[182:183]
	v_add_f64 v[96:97], v[82:83], v[84:85]
	ds_read_b128 v[82:85], v254 offset:1296
	v_fma_f64 v[250:251], v[102:103], v[246:247], -v[104:105]
	ds_read_b128 v[110:113], v254 offset:1408
	v_add_f64 v[118:119], v[200:201], v[118:119]
	v_add_f64 v[118:119], v[118:119], v[204:205]
	s_waitcnt vmcnt(26) lgkmcnt(1)
	v_mul_f64 v[94:95], v[82:83], v[212:213]
	s_waitcnt vmcnt(24)
	v_fmac_f64_e32 v[94:95], v[84:85], v[214:215]
	v_add_f64 v[94:95], v[96:97], v[94:95]
	v_mul_f64 v[96:97], v[86:87], v[186:187]
	v_fmac_f64_e32 v[96:97], v[88:89], v[190:191]
	v_add_f64 v[106:107], v[94:95], v[96:97]
	ds_read_b128 v[94:97], v254 offset:1344
	v_mul_f64 v[4:5], v[4:5], v[120:121]
	v_fma_f64 v[2:3], v[2:3], v[126:127], -v[4:5]
	v_mul_f64 v[4:5], v[8:9], v[122:123]
	v_fma_f64 v[4:5], v[6:7], v[124:125], -v[4:5]
	ds_read_b128 v[102:105], v254 offset:1392
	s_waitcnt vmcnt(21)
	v_mul_f64 v[108:109], v[90:91], v[218:219]
	s_waitcnt vmcnt(19)
	v_fmac_f64_e32 v[108:109], v[92:93], v[224:225]
	v_add_f64 v[106:107], v[106:107], v[108:109]
	s_waitcnt vmcnt(18) lgkmcnt(1)
	v_mul_f64 v[108:109], v[94:95], v[216:217]
	s_waitcnt vmcnt(16)
	v_fmac_f64_e32 v[108:109], v[96:97], v[222:223]
	v_add_f64 v[114:115], v[106:107], v[108:109]
	ds_read_b128 v[106:109], v254 offset:1376
	buffer_load_dword v243, off, s[0:3], 0 offset:732
	buffer_load_dword v242, off, s[0:3], 0 offset:728
	;; [unrolled: 1-line block ×4, first 2 shown]
	s_waitcnt vmcnt(18)
	v_mul_f64 v[116:117], v[98:99], v[220:221]
	s_waitcnt vmcnt(16)
	v_fmac_f64_e32 v[116:117], v[100:101], v[226:227]
	v_add_f64 v[114:115], v[114:115], v[116:117]
	s_waitcnt vmcnt(14) lgkmcnt(0)
	v_mul_f64 v[116:117], v[106:107], v[230:231]
	s_waitcnt vmcnt(12)
	v_fmac_f64_e32 v[116:117], v[108:109], v[232:233]
	v_add_f64 v[114:115], v[114:115], v[116:117]
	s_waitcnt vmcnt(9)
	v_mul_f64 v[116:117], v[102:103], v[236:237]
	s_waitcnt vmcnt(7)
	v_fmac_f64_e32 v[116:117], v[104:105], v[238:239]
	v_add_f64 v[114:115], v[114:115], v[116:117]
	s_waitcnt vmcnt(5)
	v_mul_f64 v[116:117], v[110:111], v[228:229]
	s_waitcnt vmcnt(4)
	v_fmac_f64_e32 v[116:117], v[112:113], v[234:235]
	v_add_f64 v[240:241], v[114:115], v[116:117]
	ds_read_b128 v[114:117], v254 offset:1424
	v_add_f64 v[254:255], v[118:119], v[206:207]
	v_add_f64 v[118:119], v[254:255], v[250:251]
	;; [unrolled: 1-line block ×5, first 2 shown]
	v_mul_f64 v[4:5], v[12:13], v[132:133]
	v_fma_f64 v[4:5], v[10:11], v[134:135], -v[4:5]
	v_add_f64 v[2:3], v[2:3], v[4:5]
	v_mul_f64 v[4:5], v[16:17], v[128:129]
	v_fma_f64 v[4:5], v[14:15], v[130:131], -v[4:5]
	v_add_f64 v[2:3], v[2:3], v[4:5]
	;; [unrolled: 3-line block ×19, first 2 shown]
	v_mul_f64 v[4:5], v[88:89], v[186:187]
	v_fma_f64 v[4:5], v[86:87], v[190:191], -v[4:5]
	s_waitcnt vmcnt(2) lgkmcnt(0)
	v_mul_f64 v[246:247], v[114:115], v[242:243]
	v_add_f64 v[2:3], v[2:3], v[4:5]
	s_waitcnt vmcnt(0)
	v_fmac_f64_e32 v[246:247], v[116:117], v[244:245]
	v_add_f64 v[240:241], v[240:241], v[246:247]
	buffer_load_dword v248, off, s[0:3], 0 offset:144
	buffer_load_dword v249, off, s[0:3], 0 offset:148
	;; [unrolled: 1-line block ×4, first 2 shown]
	v_mul_f64 v[4:5], v[92:93], v[218:219]
	v_fma_f64 v[4:5], v[90:91], v[224:225], -v[4:5]
	v_add_f64 v[2:3], v[2:3], v[4:5]
	v_mul_f64 v[4:5], v[96:97], v[216:217]
	v_fma_f64 v[4:5], v[94:95], v[222:223], -v[4:5]
	v_add_f64 v[2:3], v[2:3], v[4:5]
	;; [unrolled: 3-line block ×7, first 2 shown]
	s_waitcnt vmcnt(2)
	v_add_f64 v[2:3], v[248:249], -v[2:3]
	s_waitcnt vmcnt(0)
	v_add_f64 v[4:5], v[246:247], -v[240:241]
	buffer_store_dword v3, off, s[0:3], 0 offset:148
	buffer_store_dword v2, off, s[0:3], 0 offset:144
	;; [unrolled: 1-line block ×4, first 2 shown]
	s_and_saveexec_b64 s[4:5], vcc
	s_cbranch_execz .LBB44_269
; %bb.268:
	v_accvgpr_read_b32 v0, a127
	buffer_load_dword v2, v0, s[0:3], 0 offen
	buffer_load_dword v3, v0, s[0:3], 0 offen offset:4
	buffer_load_dword v4, v0, s[0:3], 0 offen offset:8
	;; [unrolled: 1-line block ×3, first 2 shown]
	v_mov_b32_e32 v0, 0
	v_accvgpr_read_b32 v6, a135
	buffer_store_dword v0, off, s[0:3], 0 offset:128
	buffer_store_dword v0, off, s[0:3], 0 offset:132
	;; [unrolled: 1-line block ×4, first 2 shown]
	s_waitcnt vmcnt(4)
	ds_write_b128 v6, v[2:5]
.LBB44_269:
	s_or_b64 exec, exec, s[4:5]
	s_waitcnt lgkmcnt(0)
	; wave barrier
	s_waitcnt lgkmcnt(0)
	buffer_load_dword v66, off, s[0:3], 0 offset:144
	buffer_load_dword v67, off, s[0:3], 0 offset:148
	;; [unrolled: 1-line block ×55, first 2 shown]
	v_mov_b32_e32 v254, 0
	ds_read_b128 v[74:77], v254 offset:848
	ds_read_b128 v[86:89], v254 offset:864
	;; [unrolled: 1-line block ×9, first 2 shown]
	buffer_load_dword v138, off, s[0:3], 0 offset:368
	buffer_load_dword v157, off, s[0:3], 0 offset:364
	;; [unrolled: 1-line block ×61, first 2 shown]
	v_cmp_lt_u32_e32 vcc, 6, v1
	s_waitcnt vmcnt(62) lgkmcnt(8)
	v_mul_f64 v[6:7], v[74:75], v[68:69]
	v_fmac_f64_e32 v[6:7], v[76:77], v[66:67]
	v_add_f64 v[6:7], v[6:7], 0
	v_mul_f64 v[68:69], v[76:77], v[68:69]
	s_waitcnt lgkmcnt(7)
	v_mul_f64 v[8:9], v[86:87], v[72:73]
	v_fmac_f64_e32 v[8:9], v[88:89], v[70:71]
	s_waitcnt lgkmcnt(6)
	v_mul_f64 v[10:11], v[98:99], v[78:79]
	v_add_f64 v[6:7], v[6:7], v[8:9]
	s_waitcnt lgkmcnt(4)
	v_mul_f64 v[14:15], v[114:115], v[90:91]
	v_fma_f64 v[200:201], v[74:75], v[66:67], -v[68:69]
	v_fmac_f64_e32 v[14:15], v[116:117], v[92:93]
	v_mul_f64 v[72:73], v[88:89], v[72:73]
	v_mul_f64 v[12:13], v[110:111], v[82:83]
	;; [unrolled: 1-line block ×3, first 2 shown]
	s_waitcnt lgkmcnt(2)
	v_mul_f64 v[18:19], v[244:245], v[102:103]
	v_mul_f64 v[82:83], v[112:113], v[82:83]
	;; [unrolled: 1-line block ×4, first 2 shown]
	v_fma_f64 v[206:207], v[114:115], v[92:93], -v[90:91]
	s_waitcnt lgkmcnt(1)
	v_mul_f64 v[20:21], v[248:249], v[106:107]
	v_fmac_f64_e32 v[20:21], v[250:251], v[108:109]
	v_fmac_f64_e32 v[10:11], v[100:101], v[80:81]
	v_add_f64 v[6:7], v[6:7], v[10:11]
	v_fmac_f64_e32 v[12:13], v[112:113], v[84:85]
	v_add_f64 v[6:7], v[6:7], v[12:13]
	;; [unrolled: 2-line block ×4, first 2 shown]
	v_add_f64 v[6:7], v[6:7], v[18:19]
	v_add_f64 v[10:11], v[6:7], v[20:21]
	ds_read_b128 v[6:9], v254 offset:992
	s_waitcnt lgkmcnt(1)
	v_mul_f64 v[12:13], v[2:3], v[120:121]
	v_fmac_f64_e32 v[12:13], v[4:5], v[122:123]
	v_add_f64 v[14:15], v[10:11], v[12:13]
	ds_read_b128 v[10:13], v254 offset:1008
	s_waitcnt lgkmcnt(1)
	v_mul_f64 v[16:17], v[6:7], v[128:129]
	v_fmac_f64_e32 v[16:17], v[8:9], v[130:131]
	;; [unrolled: 5-line block ×5, first 2 shown]
	v_add_f64 v[30:31], v[26:27], v[28:29]
	ds_read_b128 v[26:29], v254 offset:1072
	s_waitcnt vmcnt(58) lgkmcnt(1)
	v_mul_f64 v[32:33], v[22:23], v[156:157]
	s_waitcnt vmcnt(56)
	v_fmac_f64_e32 v[32:33], v[24:25], v[160:161]
	v_add_f64 v[34:35], v[30:31], v[32:33]
	ds_read_b128 v[30:33], v254 offset:1088
	s_waitcnt lgkmcnt(1)
	v_mul_f64 v[36:37], v[26:27], v[136:137]
	v_fmac_f64_e32 v[36:37], v[28:29], v[138:139]
	v_add_f64 v[38:39], v[34:35], v[36:37]
	ds_read_b128 v[34:37], v254 offset:1104
	s_waitcnt vmcnt(50) lgkmcnt(1)
	v_mul_f64 v[40:41], v[30:31], v[164:165]
	s_waitcnt vmcnt(48)
	v_fmac_f64_e32 v[40:41], v[32:33], v[168:169]
	v_add_f64 v[42:43], v[38:39], v[40:41]
	ds_read_b128 v[38:41], v254 offset:1120
	s_waitcnt lgkmcnt(1)
	v_mul_f64 v[44:45], v[34:35], v[144:145]
	v_fmac_f64_e32 v[44:45], v[36:37], v[146:147]
	v_add_f64 v[46:47], v[42:43], v[44:45]
	ds_read_b128 v[42:45], v254 offset:1136
	s_waitcnt vmcnt(42) lgkmcnt(1)
	v_mul_f64 v[48:49], v[38:39], v[172:173]
	s_waitcnt vmcnt(40)
	v_fmac_f64_e32 v[48:49], v[40:41], v[176:177]
	v_add_f64 v[50:51], v[46:47], v[48:49]
	ds_read_b128 v[46:49], v254 offset:1152
	buffer_load_dword v213, off, s[0:3], 0 offset:620
	buffer_load_dword v212, off, s[0:3], 0 offset:616
	;; [unrolled: 1-line block ×4, first 2 shown]
	s_waitcnt lgkmcnt(1)
	v_mul_f64 v[52:53], v[42:43], v[148:149]
	v_fmac_f64_e32 v[52:53], v[44:45], v[150:151]
	v_add_f64 v[54:55], v[50:51], v[52:53]
	ds_read_b128 v[50:53], v254 offset:1168
	buffer_load_dword v217, off, s[0:3], 0 offset:636
	buffer_load_dword v216, off, s[0:3], 0 offset:632
	;; [unrolled: 1-line block ×8, first 2 shown]
	s_waitcnt vmcnt(46) lgkmcnt(1)
	v_mul_f64 v[56:57], v[46:47], v[180:181]
	s_waitcnt vmcnt(44)
	v_fmac_f64_e32 v[56:57], v[48:49], v[184:185]
	v_add_f64 v[58:59], v[54:55], v[56:57]
	ds_read_b128 v[54:57], v254 offset:1184
	buffer_load_dword v227, off, s[0:3], 0 offset:668
	buffer_load_dword v226, off, s[0:3], 0 offset:664
	;; [unrolled: 1-line block ×12, first 2 shown]
	s_waitcnt lgkmcnt(1)
	v_mul_f64 v[60:61], v[50:51], v[152:153]
	v_fmac_f64_e32 v[60:61], v[52:53], v[154:155]
	v_add_f64 v[62:63], v[58:59], v[60:61]
	ds_read_b128 v[58:61], v254 offset:1200
	s_waitcnt vmcnt(50) lgkmcnt(1)
	v_mul_f64 v[64:65], v[54:55], v[188:189]
	s_waitcnt vmcnt(48)
	v_fmac_f64_e32 v[64:65], v[56:57], v[190:191]
	v_add_f64 v[62:63], v[62:63], v[64:65]
	buffer_load_dword v237, off, s[0:3], 0 offset:716
	buffer_load_dword v236, off, s[0:3], 0 offset:712
	;; [unrolled: 1-line block ×4, first 2 shown]
	s_waitcnt lgkmcnt(0)
	v_mul_f64 v[64:65], v[58:59], v[158:159]
	v_fmac_f64_e32 v[64:65], v[60:61], v[162:163]
	v_add_f64 v[118:119], v[62:63], v[64:65]
	ds_read_b128 v[62:65], v254 offset:1216
	ds_read_b128 v[66:69], v254 offset:1232
	v_fma_f64 v[202:203], v[98:99], v[80:81], -v[78:79]
	ds_read_b128 v[78:81], v254 offset:1280
	v_fma_f64 v[204:205], v[110:111], v[84:85], -v[82:83]
	ds_read_b128 v[82:85], v254 offset:1296
	s_waitcnt vmcnt(46) lgkmcnt(3)
	v_mul_f64 v[74:75], v[62:63], v[192:193]
	s_waitcnt vmcnt(44)
	v_fmac_f64_e32 v[74:75], v[64:65], v[194:195]
	v_add_f64 v[74:75], v[118:119], v[74:75]
	v_fma_f64 v[118:119], v[86:87], v[70:71], -v[72:73]
	ds_read_b128 v[70:73], v254 offset:1248
	s_waitcnt lgkmcnt(3)
	v_mul_f64 v[76:77], v[66:67], v[166:167]
	v_fmac_f64_e32 v[76:77], v[68:69], v[170:171]
	v_add_f64 v[86:87], v[74:75], v[76:77]
	ds_read_b128 v[74:77], v254 offset:1264
	s_waitcnt vmcnt(38) lgkmcnt(1)
	v_mul_f64 v[88:89], v[70:71], v[196:197]
	s_waitcnt vmcnt(36)
	v_fmac_f64_e32 v[88:89], v[72:73], v[198:199]
	v_add_f64 v[86:87], v[86:87], v[88:89]
	ds_read_b128 v[90:93], v254 offset:1328
	s_waitcnt lgkmcnt(1)
	v_mul_f64 v[88:89], v[74:75], v[174:175]
	v_fmac_f64_e32 v[88:89], v[76:77], v[178:179]
	v_add_f64 v[86:87], v[86:87], v[88:89]
	s_waitcnt vmcnt(30)
	v_mul_f64 v[88:89], v[78:79], v[208:209]
	s_waitcnt vmcnt(28)
	v_fmac_f64_e32 v[88:89], v[80:81], v[210:211]
	v_add_f64 v[86:87], v[86:87], v[88:89]
	v_mul_f64 v[88:89], v[82:83], v[182:183]
	v_fmac_f64_e32 v[88:89], v[84:85], v[186:187]
	v_add_f64 v[98:99], v[86:87], v[88:89]
	ds_read_b128 v[86:89], v254 offset:1312
	v_mul_f64 v[94:95], v[242:243], v[94:95]
	v_fma_f64 v[252:253], v[240:241], v[96:97], -v[94:95]
	ds_read_b128 v[94:97], v254 offset:1344
	v_mul_f64 v[102:103], v[246:247], v[102:103]
	v_fma_f64 v[246:247], v[244:245], v[104:105], -v[102:103]
	;; [unrolled: 3-line block ×3, first 2 shown]
	v_add_f64 v[200:201], v[200:201], 0
	v_add_f64 v[118:119], v[200:201], v[118:119]
	;; [unrolled: 1-line block ×7, first 2 shown]
	v_mul_f64 v[4:5], v[4:5], v[120:121]
	v_add_f64 v[118:119], v[252:253], v[250:251]
	v_fma_f64 v[2:3], v[2:3], v[122:123], -v[4:5]
	v_mul_f64 v[4:5], v[8:9], v[128:129]
	v_add_f64 v[2:3], v[118:119], v[2:3]
	v_fma_f64 v[4:5], v[6:7], v[130:131], -v[4:5]
	v_add_f64 v[2:3], v[2:3], v[4:5]
	ds_read_b128 v[106:109], v254 offset:1392
	v_mul_f64 v[4:5], v[12:13], v[124:125]
	v_fma_f64 v[4:5], v[10:11], v[126:127], -v[4:5]
	v_add_f64 v[2:3], v[2:3], v[4:5]
	s_waitcnt vmcnt(26) lgkmcnt(3)
	v_mul_f64 v[100:101], v[86:87], v[212:213]
	v_mul_f64 v[4:5], v[16:17], v[140:141]
	s_waitcnt vmcnt(24)
	v_fmac_f64_e32 v[100:101], v[88:89], v[214:215]
	v_add_f64 v[98:99], v[98:99], v[100:101]
	s_waitcnt vmcnt(22)
	v_mul_f64 v[100:101], v[90:91], v[216:217]
	s_waitcnt vmcnt(20)
	v_fmac_f64_e32 v[100:101], v[92:93], v[220:221]
	v_add_f64 v[98:99], v[98:99], v[100:101]
	s_waitcnt vmcnt(18) lgkmcnt(2)
	v_mul_f64 v[100:101], v[94:95], v[218:219]
	s_waitcnt vmcnt(16)
	v_fmac_f64_e32 v[100:101], v[96:97], v[222:223]
	v_add_f64 v[110:111], v[98:99], v[100:101]
	ds_read_b128 v[98:101], v254 offset:1360
	v_fma_f64 v[4:5], v[14:15], v[142:143], -v[4:5]
	v_add_f64 v[2:3], v[2:3], v[4:5]
	v_mul_f64 v[4:5], v[20:21], v[132:133]
	v_fma_f64 v[4:5], v[18:19], v[134:135], -v[4:5]
	s_waitcnt vmcnt(14) lgkmcnt(0)
	v_mul_f64 v[112:113], v[98:99], v[226:227]
	s_waitcnt vmcnt(12)
	v_fmac_f64_e32 v[112:113], v[100:101], v[228:229]
	v_add_f64 v[110:111], v[110:111], v[112:113]
	s_waitcnt vmcnt(9)
	v_mul_f64 v[112:113], v[102:103], v[232:233]
	s_waitcnt vmcnt(7)
	v_fmac_f64_e32 v[112:113], v[104:105], v[234:235]
	v_add_f64 v[110:111], v[110:111], v[112:113]
	s_waitcnt vmcnt(5)
	v_mul_f64 v[112:113], v[106:107], v[224:225]
	s_waitcnt vmcnt(4)
	v_fmac_f64_e32 v[112:113], v[108:109], v[230:231]
	v_add_f64 v[114:115], v[110:111], v[112:113]
	ds_read_b128 v[110:113], v254 offset:1408
	buffer_load_dword v242, off, s[0:3], 0 offset:728
	buffer_load_dword v243, off, s[0:3], 0 offset:732
	;; [unrolled: 1-line block ×4, first 2 shown]
	v_add_f64 v[2:3], v[2:3], v[4:5]
	v_mul_f64 v[4:5], v[24:25], v[156:157]
	v_fma_f64 v[4:5], v[22:23], v[160:161], -v[4:5]
	s_waitcnt vmcnt(6) lgkmcnt(0)
	v_mul_f64 v[116:117], v[110:111], v[236:237]
	s_waitcnt vmcnt(4)
	v_fmac_f64_e32 v[116:117], v[112:113], v[238:239]
	v_add_f64 v[240:241], v[114:115], v[116:117]
	ds_read_b128 v[114:117], v254 offset:1424
	v_add_f64 v[2:3], v[2:3], v[4:5]
	v_mul_f64 v[4:5], v[28:29], v[136:137]
	v_fma_f64 v[4:5], v[26:27], v[138:139], -v[4:5]
	v_add_f64 v[2:3], v[2:3], v[4:5]
	v_mul_f64 v[4:5], v[32:33], v[164:165]
	v_fma_f64 v[4:5], v[30:31], v[168:169], -v[4:5]
	;; [unrolled: 3-line block ×22, first 2 shown]
	v_add_f64 v[2:3], v[2:3], v[4:5]
	s_waitcnt vmcnt(2) lgkmcnt(0)
	v_mul_f64 v[248:249], v[114:115], v[242:243]
	v_mul_f64 v[4:5], v[116:117], v[242:243]
	s_waitcnt vmcnt(0)
	v_fmac_f64_e32 v[248:249], v[116:117], v[244:245]
	v_add_f64 v[240:241], v[240:241], v[248:249]
	buffer_load_dword v248, off, s[0:3], 0 offset:128
	buffer_load_dword v249, off, s[0:3], 0 offset:132
	;; [unrolled: 1-line block ×4, first 2 shown]
	v_fma_f64 v[4:5], v[114:115], v[244:245], -v[4:5]
	v_add_f64 v[2:3], v[2:3], v[4:5]
	s_waitcnt vmcnt(2)
	v_add_f64 v[2:3], v[248:249], -v[2:3]
	s_waitcnt vmcnt(0)
	v_add_f64 v[4:5], v[246:247], -v[240:241]
	buffer_store_dword v3, off, s[0:3], 0 offset:132
	buffer_store_dword v2, off, s[0:3], 0 offset:128
	;; [unrolled: 1-line block ×4, first 2 shown]
	s_and_saveexec_b64 s[4:5], vcc
	s_cbranch_execz .LBB44_271
; %bb.270:
	v_accvgpr_read_b32 v0, a128
	buffer_load_dword v2, v0, s[0:3], 0 offen
	buffer_load_dword v3, v0, s[0:3], 0 offen offset:4
	buffer_load_dword v4, v0, s[0:3], 0 offen offset:8
	;; [unrolled: 1-line block ×3, first 2 shown]
	v_accvgpr_read_b32 v0, a135
	buffer_store_dword v254, off, s[0:3], 0 offset:112
	buffer_store_dword v254, off, s[0:3], 0 offset:116
	;; [unrolled: 1-line block ×4, first 2 shown]
	s_waitcnt vmcnt(4)
	ds_write_b128 v0, v[2:5]
.LBB44_271:
	s_or_b64 exec, exec, s[4:5]
	s_waitcnt lgkmcnt(0)
	; wave barrier
	s_waitcnt lgkmcnt(0)
	buffer_load_dword v66, off, s[0:3], 0 offset:128
	buffer_load_dword v67, off, s[0:3], 0 offset:132
	;; [unrolled: 1-line block ×42, first 2 shown]
	ds_read_b128 v[78:81], v254 offset:832
	ds_read_b128 v[90:93], v254 offset:848
	;; [unrolled: 1-line block ×10, first 2 shown]
	buffer_load_dword v131, off, s[0:3], 0 offset:276
	buffer_load_dword v130, off, s[0:3], 0 offset:272
	ds_read_b128 v[6:9], v254 offset:992
	buffer_load_dword v127, off, s[0:3], 0 offset:332
	buffer_load_dword v126, off, s[0:3], 0 offset:328
	buffer_load_dword v129, off, s[0:3], 0 offset:324
	buffer_load_dword v128, off, s[0:3], 0 offset:320
	buffer_load_dword v133, off, s[0:3], 0 offset:316
	buffer_load_dword v132, off, s[0:3], 0 offset:312
	buffer_load_dword v149, off, s[0:3], 0 offset:308
	buffer_load_dword v148, off, s[0:3], 0 offset:304
	buffer_load_dword v135, off, s[0:3], 0 offset:364
	buffer_load_dword v134, off, s[0:3], 0 offset:360
	buffer_load_dword v137, off, s[0:3], 0 offset:356
	buffer_load_dword v136, off, s[0:3], 0 offset:352
	buffer_load_dword v153, off, s[0:3], 0 offset:348
	buffer_load_dword v152, off, s[0:3], 0 offset:344
	buffer_load_dword v157, off, s[0:3], 0 offset:340
	buffer_load_dword v156, off, s[0:3], 0 offset:336
	buffer_load_dword v139, off, s[0:3], 0 offset:396
	buffer_load_dword v138, off, s[0:3], 0 offset:392
	buffer_load_dword v141, off, s[0:3], 0 offset:388
	buffer_load_dword v140, off, s[0:3], 0 offset:384
	buffer_load_dword v161, off, s[0:3], 0 offset:380
	buffer_load_dword v160, off, s[0:3], 0 offset:376
	buffer_load_dword v165, off, s[0:3], 0 offset:372
	buffer_load_dword v164, off, s[0:3], 0 offset:368
	buffer_load_dword v143, off, s[0:3], 0 offset:428
	buffer_load_dword v142, off, s[0:3], 0 offset:424
	buffer_load_dword v145, off, s[0:3], 0 offset:420
	buffer_load_dword v144, off, s[0:3], 0 offset:416
	buffer_load_dword v169, off, s[0:3], 0 offset:412
	buffer_load_dword v168, off, s[0:3], 0 offset:408
	buffer_load_dword v173, off, s[0:3], 0 offset:404
	buffer_load_dword v172, off, s[0:3], 0 offset:400
	buffer_load_dword v147, off, s[0:3], 0 offset:460
	buffer_load_dword v146, off, s[0:3], 0 offset:456
	buffer_load_dword v151, off, s[0:3], 0 offset:452
	buffer_load_dword v150, off, s[0:3], 0 offset:448
	buffer_load_dword v177, off, s[0:3], 0 offset:444
	buffer_load_dword v176, off, s[0:3], 0 offset:440
	buffer_load_dword v181, off, s[0:3], 0 offset:436
	buffer_load_dword v180, off, s[0:3], 0 offset:432
	buffer_load_dword v155, off, s[0:3], 0 offset:492
	buffer_load_dword v154, off, s[0:3], 0 offset:488
	buffer_load_dword v159, off, s[0:3], 0 offset:484
	buffer_load_dword v158, off, s[0:3], 0 offset:480
	buffer_load_dword v185, off, s[0:3], 0 offset:476
	buffer_load_dword v184, off, s[0:3], 0 offset:472
	buffer_load_dword v189, off, s[0:3], 0 offset:468
	buffer_load_dword v188, off, s[0:3], 0 offset:464
	buffer_load_dword v163, off, s[0:3], 0 offset:524
	buffer_load_dword v162, off, s[0:3], 0 offset:520
	buffer_load_dword v167, off, s[0:3], 0 offset:516
	buffer_load_dword v166, off, s[0:3], 0 offset:512
	buffer_load_dword v193, off, s[0:3], 0 offset:508
	buffer_load_dword v192, off, s[0:3], 0 offset:504
	buffer_load_dword v195, off, s[0:3], 0 offset:500
	buffer_load_dword v194, off, s[0:3], 0 offset:496
	buffer_load_dword v171, off, s[0:3], 0 offset:556
	buffer_load_dword v170, off, s[0:3], 0 offset:552
	buffer_load_dword v175, off, s[0:3], 0 offset:548
	buffer_load_dword v174, off, s[0:3], 0 offset:544
	buffer_load_dword v197, off, s[0:3], 0 offset:540
	buffer_load_dword v196, off, s[0:3], 0 offset:536
	buffer_load_dword v209, off, s[0:3], 0 offset:532
	buffer_load_dword v208, off, s[0:3], 0 offset:528
	buffer_load_dword v179, off, s[0:3], 0 offset:588
	buffer_load_dword v178, off, s[0:3], 0 offset:584
	buffer_load_dword v183, off, s[0:3], 0 offset:580
	buffer_load_dword v182, off, s[0:3], 0 offset:576
	buffer_load_dword v211, off, s[0:3], 0 offset:572
	buffer_load_dword v210, off, s[0:3], 0 offset:568
	buffer_load_dword v213, off, s[0:3], 0 offset:564
	buffer_load_dword v212, off, s[0:3], 0 offset:560
	buffer_load_dword v187, off, s[0:3], 0 offset:620
	buffer_load_dword v186, off, s[0:3], 0 offset:616
	buffer_load_dword v191, off, s[0:3], 0 offset:612
	buffer_load_dword v190, off, s[0:3], 0 offset:608
	buffer_load_dword v215, off, s[0:3], 0 offset:604
	buffer_load_dword v214, off, s[0:3], 0 offset:600
	buffer_load_dword v217, off, s[0:3], 0 offset:596
	buffer_load_dword v216, off, s[0:3], 0 offset:592
	s_waitcnt vmcnt(62) lgkmcnt(10)
	v_mul_f64 v[10:11], v[78:79], v[68:69]
	v_fmac_f64_e32 v[10:11], v[80:81], v[66:67]
	v_add_f64 v[10:11], v[10:11], 0
	v_mul_f64 v[68:69], v[80:81], v[68:69]
	s_waitcnt lgkmcnt(9)
	v_mul_f64 v[12:13], v[90:91], v[64:65]
	v_fmac_f64_e32 v[12:13], v[92:93], v[62:63]
	s_waitcnt lgkmcnt(8)
	v_mul_f64 v[14:15], v[102:103], v[70:71]
	v_add_f64 v[10:11], v[10:11], v[12:13]
	s_waitcnt lgkmcnt(6)
	v_mul_f64 v[18:19], v[114:115], v[82:83]
	v_mul_f64 v[64:65], v[92:93], v[64:65]
	v_fmac_f64_e32 v[18:19], v[116:117], v[84:85]
	v_fma_f64 v[206:207], v[90:91], v[62:63], -v[64:65]
	v_mul_f64 v[16:17], v[110:111], v[74:75]
	v_fma_f64 v[204:205], v[78:79], v[66:67], -v[68:69]
	s_waitcnt lgkmcnt(4)
	v_mul_f64 v[22:23], v[244:245], v[94:95]
	v_mul_f64 v[70:71], v[104:105], v[70:71]
	v_fmac_f64_e32 v[22:23], v[246:247], v[96:97]
	v_mul_f64 v[74:75], v[112:113], v[74:75]
	v_mul_f64 v[20:21], v[240:241], v[86:87]
	;; [unrolled: 1-line block ×3, first 2 shown]
	s_waitcnt lgkmcnt(2)
	v_mul_f64 v[26:27], v[200:201], v[106:107]
	v_fma_f64 v[0:1], v[114:115], v[84:85], -v[82:83]
	v_mul_f64 v[86:87], v[242:243], v[86:87]
	v_mul_f64 v[24:25], v[248:249], v[98:99]
	;; [unrolled: 1-line block ×3, first 2 shown]
	s_waitcnt lgkmcnt(1)
	v_mul_f64 v[28:29], v[2:3], v[120:121]
	v_fma_f64 v[246:247], v[244:245], v[96:97], -v[94:95]
	v_fmac_f64_e32 v[14:15], v[104:105], v[72:73]
	v_add_f64 v[10:11], v[10:11], v[14:15]
	v_fmac_f64_e32 v[16:17], v[112:113], v[76:77]
	v_add_f64 v[10:11], v[10:11], v[16:17]
	;; [unrolled: 2-line block ×3, first 2 shown]
	v_add_f64 v[10:11], v[10:11], v[20:21]
	v_fmac_f64_e32 v[24:25], v[250:251], v[100:101]
	v_add_f64 v[10:11], v[10:11], v[22:23]
	v_fmac_f64_e32 v[26:27], v[202:203], v[108:109]
	v_add_f64 v[10:11], v[10:11], v[24:25]
	v_add_f64 v[10:11], v[10:11], v[26:27]
	s_waitcnt lgkmcnt(0)
	v_mul_f64 v[16:17], v[6:7], v[122:123]
	v_fmac_f64_e32 v[28:29], v[4:5], v[130:131]
	v_add_f64 v[14:15], v[10:11], v[28:29]
	ds_read_b128 v[10:13], v254 offset:1008
	v_fmac_f64_e32 v[16:17], v[8:9], v[124:125]
	v_add_f64 v[18:19], v[14:15], v[16:17]
	ds_read_b128 v[14:17], v254 offset:1024
	v_fma_f64 v[252:253], v[110:111], v[76:77], -v[74:75]
	s_waitcnt lgkmcnt(1)
	v_mul_f64 v[20:21], v[10:11], v[132:133]
	v_fmac_f64_e32 v[20:21], v[12:13], v[148:149]
	v_add_f64 v[22:23], v[18:19], v[20:21]
	ds_read_b128 v[18:21], v254 offset:1040
	s_waitcnt lgkmcnt(1)
	v_mul_f64 v[24:25], v[14:15], v[126:127]
	v_fmac_f64_e32 v[24:25], v[16:17], v[128:129]
	v_add_f64 v[26:27], v[22:23], v[24:25]
	ds_read_b128 v[22:25], v254 offset:1056
	;; [unrolled: 5-line block ×4, first 2 shown]
	s_waitcnt vmcnt(58) lgkmcnt(1)
	v_mul_f64 v[36:37], v[26:27], v[160:161]
	s_waitcnt vmcnt(56)
	v_fmac_f64_e32 v[36:37], v[28:29], v[164:165]
	v_add_f64 v[38:39], v[34:35], v[36:37]
	ds_read_b128 v[34:37], v254 offset:1104
	s_waitcnt lgkmcnt(1)
	v_mul_f64 v[40:41], v[30:31], v[138:139]
	v_fmac_f64_e32 v[40:41], v[32:33], v[140:141]
	v_add_f64 v[42:43], v[38:39], v[40:41]
	ds_read_b128 v[38:41], v254 offset:1120
	s_waitcnt vmcnt(50) lgkmcnt(1)
	v_mul_f64 v[44:45], v[34:35], v[168:169]
	s_waitcnt vmcnt(48)
	v_fmac_f64_e32 v[44:45], v[36:37], v[172:173]
	v_add_f64 v[46:47], v[42:43], v[44:45]
	ds_read_b128 v[42:45], v254 offset:1136
	s_waitcnt lgkmcnt(1)
	v_mul_f64 v[48:49], v[38:39], v[142:143]
	v_fmac_f64_e32 v[48:49], v[40:41], v[144:145]
	v_add_f64 v[50:51], v[46:47], v[48:49]
	ds_read_b128 v[46:49], v254 offset:1152
	s_waitcnt vmcnt(42) lgkmcnt(1)
	v_mul_f64 v[52:53], v[42:43], v[176:177]
	s_waitcnt vmcnt(40)
	v_fmac_f64_e32 v[52:53], v[44:45], v[180:181]
	v_add_f64 v[54:55], v[50:51], v[52:53]
	ds_read_b128 v[50:53], v254 offset:1168
	s_waitcnt lgkmcnt(1)
	v_mul_f64 v[56:57], v[46:47], v[146:147]
	buffer_load_dword v199, off, s[0:3], 0 offset:636
	buffer_load_dword v198, off, s[0:3], 0 offset:632
	;; [unrolled: 1-line block ×4, first 2 shown]
	v_fmac_f64_e32 v[56:57], v[48:49], v[150:151]
	v_add_f64 v[58:59], v[54:55], v[56:57]
	ds_read_b128 v[54:57], v254 offset:1184
	buffer_load_dword v222, off, s[0:3], 0 offset:648
	buffer_load_dword v224, off, s[0:3], 0 offset:640
	;; [unrolled: 1-line block ×16, first 2 shown]
	s_waitcnt vmcnt(54) lgkmcnt(1)
	v_mul_f64 v[60:61], v[50:51], v[184:185]
	s_waitcnt vmcnt(52)
	v_fmac_f64_e32 v[60:61], v[52:53], v[188:189]
	v_add_f64 v[118:119], v[58:59], v[60:61]
	ds_read_b128 v[58:61], v254 offset:1200
	buffer_load_dword v236, off, s[0:3], 0 offset:712
	buffer_load_dword v238, off, s[0:3], 0 offset:704
	;; [unrolled: 1-line block ×4, first 2 shown]
	ds_read_b128 v[62:65], v254 offset:1216
	s_waitcnt lgkmcnt(2)
	v_mul_f64 v[66:67], v[54:55], v[154:155]
	v_fmac_f64_e32 v[66:67], v[56:57], v[158:159]
	s_waitcnt vmcnt(50) lgkmcnt(1)
	v_mul_f64 v[68:69], v[58:59], v[192:193]
	v_add_f64 v[66:67], v[118:119], v[66:67]
	s_waitcnt vmcnt(48)
	v_fmac_f64_e32 v[68:69], v[60:61], v[194:195]
	v_add_f64 v[66:67], v[66:67], v[68:69]
	v_fma_f64 v[118:119], v[102:103], v[72:73], -v[70:71]
	ds_read_b128 v[70:73], v254 offset:1248
	s_waitcnt lgkmcnt(1)
	v_mul_f64 v[68:69], v[62:63], v[162:163]
	v_fmac_f64_e32 v[68:69], v[64:65], v[166:167]
	v_add_f64 v[78:79], v[66:67], v[68:69]
	ds_read_b128 v[66:69], v254 offset:1232
	ds_read_b128 v[74:77], v254 offset:1264
	;; [unrolled: 1-line block ×3, first 2 shown]
	v_fma_f64 v[240:241], v[240:241], v[88:89], -v[86:87]
	ds_read_b128 v[86:89], v254 offset:1312
	ds_read_b128 v[94:97], v254 offset:1344
	s_waitcnt vmcnt(42) lgkmcnt(4)
	v_mul_f64 v[80:81], v[66:67], v[196:197]
	s_waitcnt vmcnt(40)
	v_fmac_f64_e32 v[80:81], v[68:69], v[208:209]
	v_add_f64 v[78:79], v[78:79], v[80:81]
	v_mul_f64 v[80:81], v[70:71], v[170:171]
	v_fmac_f64_e32 v[80:81], v[72:73], v[174:175]
	v_add_f64 v[90:91], v[78:79], v[80:81]
	ds_read_b128 v[78:81], v254 offset:1280
	s_waitcnt vmcnt(34) lgkmcnt(4)
	v_mul_f64 v[92:93], v[74:75], v[210:211]
	s_waitcnt vmcnt(32)
	v_fmac_f64_e32 v[92:93], v[76:77], v[212:213]
	v_add_f64 v[90:91], v[90:91], v[92:93]
	v_mul_f64 v[98:99], v[250:251], v[98:99]
	s_waitcnt lgkmcnt(0)
	v_mul_f64 v[92:93], v[78:79], v[178:179]
	v_fmac_f64_e32 v[92:93], v[80:81], v[182:183]
	v_add_f64 v[90:91], v[90:91], v[92:93]
	s_waitcnt vmcnt(26)
	v_mul_f64 v[92:93], v[82:83], v[214:215]
	s_waitcnt vmcnt(24)
	v_fmac_f64_e32 v[92:93], v[84:85], v[216:217]
	v_add_f64 v[90:91], v[90:91], v[92:93]
	v_mul_f64 v[92:93], v[86:87], v[186:187]
	v_fmac_f64_e32 v[92:93], v[88:89], v[190:191]
	v_add_f64 v[102:103], v[90:91], v[92:93]
	ds_read_b128 v[90:93], v254 offset:1328
	v_fma_f64 v[250:251], v[248:249], v[100:101], -v[98:99]
	ds_read_b128 v[98:101], v254 offset:1360
	v_mul_f64 v[106:107], v[202:203], v[106:107]
	v_fma_f64 v[200:201], v[200:201], v[108:109], -v[106:107]
	v_add_f64 v[204:205], v[204:205], 0
	v_add_f64 v[204:205], v[204:205], v[206:207]
	;; [unrolled: 1-line block ×6, first 2 shown]
	v_mul_f64 v[4:5], v[4:5], v[120:121]
	v_fma_f64 v[2:3], v[2:3], v[130:131], -v[4:5]
	ds_read_b128 v[106:109], v254 offset:1392
	s_waitcnt vmcnt(13) lgkmcnt(1)
	v_mul_f64 v[112:113], v[98:99], v[226:227]
	v_mul_f64 v[104:105], v[90:91], v[198:199]
	s_waitcnt vmcnt(11)
	v_fmac_f64_e32 v[112:113], v[100:101], v[232:233]
	v_fmac_f64_e32 v[104:105], v[92:93], v[218:219]
	v_add_f64 v[102:103], v[102:103], v[104:105]
	v_mul_f64 v[104:105], v[94:95], v[222:223]
	v_fmac_f64_e32 v[104:105], v[96:97], v[224:225]
	v_add_f64 v[110:111], v[102:103], v[104:105]
	ds_read_b128 v[102:105], v254 offset:1376
	v_add_f64 v[110:111], v[110:111], v[112:113]
	s_waitcnt vmcnt(10) lgkmcnt(0)
	v_mul_f64 v[112:113], v[102:103], v[220:221]
	s_waitcnt vmcnt(8)
	v_fmac_f64_e32 v[112:113], v[104:105], v[230:231]
	v_add_f64 v[110:111], v[110:111], v[112:113]
	s_waitcnt vmcnt(6)
	v_mul_f64 v[112:113], v[106:107], v[228:229]
	s_waitcnt vmcnt(4)
	v_fmac_f64_e32 v[112:113], v[108:109], v[234:235]
	v_add_f64 v[114:115], v[110:111], v[112:113]
	ds_read_b128 v[110:113], v254 offset:1408
	buffer_load_dword v243, off, s[0:3], 0 offset:732
	buffer_load_dword v242, off, s[0:3], 0 offset:728
	;; [unrolled: 1-line block ×4, first 2 shown]
	s_waitcnt vmcnt(5) lgkmcnt(0)
	v_mul_f64 v[116:117], v[110:111], v[236:237]
	s_waitcnt vmcnt(4)
	v_fmac_f64_e32 v[116:117], v[112:113], v[238:239]
	v_add_f64 v[202:203], v[114:115], v[116:117]
	ds_read_b128 v[114:117], v254 offset:1424
	v_add_f64 v[254:255], v[0:1], v[246:247]
	v_add_f64 v[0:1], v[254:255], v[250:251]
	;; [unrolled: 1-line block ×4, first 2 shown]
	v_mul_f64 v[2:3], v[8:9], v[122:123]
	v_fma_f64 v[2:3], v[6:7], v[124:125], -v[2:3]
	v_add_f64 v[0:1], v[0:1], v[2:3]
	v_mul_f64 v[2:3], v[12:13], v[132:133]
	v_fma_f64 v[2:3], v[10:11], v[148:149], -v[2:3]
	v_add_f64 v[0:1], v[0:1], v[2:3]
	;; [unrolled: 3-line block ×22, first 2 shown]
	s_waitcnt vmcnt(2) lgkmcnt(0)
	v_mul_f64 v[248:249], v[114:115], v[242:243]
	v_mul_f64 v[2:3], v[96:97], v[222:223]
	s_waitcnt vmcnt(0)
	v_fmac_f64_e32 v[248:249], v[116:117], v[244:245]
	v_add_f64 v[202:203], v[202:203], v[248:249]
	buffer_load_dword v248, off, s[0:3], 0 offset:112
	buffer_load_dword v249, off, s[0:3], 0 offset:116
	;; [unrolled: 1-line block ×4, first 2 shown]
	v_fma_f64 v[2:3], v[94:95], v[224:225], -v[2:3]
	v_add_f64 v[0:1], v[0:1], v[2:3]
	v_mul_f64 v[2:3], v[100:101], v[226:227]
	v_fma_f64 v[2:3], v[98:99], v[232:233], -v[2:3]
	v_add_f64 v[0:1], v[0:1], v[2:3]
	v_mul_f64 v[2:3], v[104:105], v[220:221]
	;; [unrolled: 3-line block ×5, first 2 shown]
	v_fma_f64 v[2:3], v[114:115], v[244:245], -v[2:3]
	v_add_f64 v[0:1], v[0:1], v[2:3]
	v_accvgpr_read_b32 v255, a134
	v_cmp_lt_u32_e32 vcc, 5, v255
	s_waitcnt vmcnt(2)
	v_add_f64 v[0:1], v[248:249], -v[0:1]
	s_waitcnt vmcnt(0)
	v_add_f64 v[2:3], v[246:247], -v[202:203]
	buffer_store_dword v1, off, s[0:3], 0 offset:116
	buffer_store_dword v0, off, s[0:3], 0 offset:112
	;; [unrolled: 1-line block ×4, first 2 shown]
	s_and_saveexec_b64 s[4:5], vcc
	s_cbranch_execz .LBB44_273
; %bb.272:
	v_accvgpr_read_b32 v0, a129
	buffer_load_dword v2, v0, s[0:3], 0 offen
	buffer_load_dword v3, v0, s[0:3], 0 offen offset:4
	buffer_load_dword v4, v0, s[0:3], 0 offen offset:8
	;; [unrolled: 1-line block ×3, first 2 shown]
	v_mov_b32_e32 v0, 0
	v_accvgpr_read_b32 v1, a135
	buffer_store_dword v0, off, s[0:3], 0 offset:96
	buffer_store_dword v0, off, s[0:3], 0 offset:100
	;; [unrolled: 1-line block ×4, first 2 shown]
	s_waitcnt vmcnt(4)
	ds_write_b128 v1, v[2:5]
.LBB44_273:
	s_or_b64 exec, exec, s[4:5]
	s_waitcnt lgkmcnt(0)
	; wave barrier
	s_waitcnt lgkmcnt(0)
	buffer_load_dword v54, off, s[0:3], 0 offset:112
	buffer_load_dword v55, off, s[0:3], 0 offset:116
	;; [unrolled: 1-line block ×49, first 2 shown]
	v_mov_b32_e32 v254, 0
	ds_read_b128 v[62:65], v254 offset:816
	ds_read_b128 v[74:77], v254 offset:832
	;; [unrolled: 1-line block ×11, first 2 shown]
	buffer_load_dword v128, off, s[0:3], 0 offset:296
	buffer_load_dword v145, off, s[0:3], 0 offset:292
	;; [unrolled: 1-line block ×75, first 2 shown]
	v_cmp_lt_u32_e32 vcc, 4, v255
	s_waitcnt vmcnt(62) lgkmcnt(10)
	v_mul_f64 v[0:1], v[62:63], v[56:57]
	v_fmac_f64_e32 v[0:1], v[64:65], v[54:55]
	v_add_f64 v[0:1], v[0:1], 0
	v_mul_f64 v[56:57], v[64:65], v[56:57]
	s_waitcnt lgkmcnt(9)
	v_mul_f64 v[6:7], v[74:75], v[60:61]
	v_fmac_f64_e32 v[6:7], v[76:77], v[58:59]
	s_waitcnt lgkmcnt(8)
	v_mul_f64 v[8:9], v[86:87], v[66:67]
	v_add_f64 v[0:1], v[0:1], v[6:7]
	s_waitcnt lgkmcnt(6)
	v_mul_f64 v[12:13], v[110:111], v[78:79]
	v_mul_f64 v[60:61], v[76:77], v[60:61]
	v_fmac_f64_e32 v[12:13], v[112:113], v[80:81]
	v_fma_f64 v[204:205], v[74:75], v[58:59], -v[60:61]
	v_mul_f64 v[10:11], v[98:99], v[70:71]
	v_mul_f64 v[66:67], v[88:89], v[66:67]
	s_waitcnt lgkmcnt(4)
	v_mul_f64 v[16:17], v[196:197], v[90:91]
	v_mul_f64 v[70:71], v[100:101], v[70:71]
	v_fmac_f64_e32 v[16:17], v[198:199], v[92:93]
	v_mul_f64 v[78:79], v[112:113], v[78:79]
	v_mul_f64 v[14:15], v[114:115], v[82:83]
	v_fma_f64 v[250:251], v[110:111], v[80:81], -v[78:79]
	s_waitcnt lgkmcnt(2)
	v_mul_f64 v[20:21], v[240:241], v[102:103]
	v_mul_f64 v[82:83], v[116:117], v[82:83]
	;; [unrolled: 1-line block ×4, first 2 shown]
	v_fma_f64 v[198:199], v[196:197], v[92:93], -v[90:91]
	s_waitcnt lgkmcnt(1)
	v_mul_f64 v[22:23], v[244:245], v[106:107]
	v_mul_f64 v[94:95], v[202:203], v[94:95]
	v_fmac_f64_e32 v[8:9], v[88:89], v[68:69]
	v_add_f64 v[0:1], v[0:1], v[8:9]
	v_fmac_f64_e32 v[10:11], v[100:101], v[72:73]
	v_add_f64 v[0:1], v[0:1], v[10:11]
	;; [unrolled: 2-line block ×3, first 2 shown]
	v_add_f64 v[0:1], v[0:1], v[14:15]
	v_fmac_f64_e32 v[18:19], v[202:203], v[96:97]
	v_add_f64 v[0:1], v[0:1], v[16:17]
	v_fmac_f64_e32 v[20:21], v[242:243], v[104:105]
	v_add_f64 v[0:1], v[0:1], v[18:19]
	v_add_f64 v[0:1], v[0:1], v[20:21]
	v_fmac_f64_e32 v[22:23], v[246:247], v[108:109]
	ds_read_b128 v[6:9], v254 offset:992
	s_waitcnt lgkmcnt(1)
	v_mul_f64 v[10:11], v[2:3], v[120:121]
	v_add_f64 v[0:1], v[0:1], v[22:23]
	v_fmac_f64_e32 v[10:11], v[4:5], v[122:123]
	v_add_f64 v[0:1], v[0:1], v[10:11]
	ds_read_b128 v[10:13], v254 offset:1008
	s_waitcnt lgkmcnt(1)
	v_mul_f64 v[14:15], v[6:7], v[128:129]
	v_fmac_f64_e32 v[14:15], v[8:9], v[144:145]
	v_add_f64 v[0:1], v[0:1], v[14:15]
	ds_read_b128 v[14:17], v254 offset:1024
	s_waitcnt lgkmcnt(1)
	v_mul_f64 v[18:19], v[10:11], v[124:125]
	;; [unrolled: 5-line block ×4, first 2 shown]
	v_fmac_f64_e32 v[26:27], v[20:21], v[132:133]
	v_add_f64 v[0:1], v[0:1], v[26:27]
	ds_read_b128 v[26:29], v254 offset:1072
	s_waitcnt vmcnt(58) lgkmcnt(1)
	v_mul_f64 v[30:31], v[22:23], v[156:157]
	s_waitcnt vmcnt(56)
	v_fmac_f64_e32 v[30:31], v[24:25], v[160:161]
	v_add_f64 v[0:1], v[0:1], v[30:31]
	ds_read_b128 v[30:33], v254 offset:1088
	s_waitcnt lgkmcnt(1)
	v_mul_f64 v[34:35], v[26:27], v[134:135]
	v_fmac_f64_e32 v[34:35], v[28:29], v[136:137]
	v_add_f64 v[0:1], v[0:1], v[34:35]
	ds_read_b128 v[34:37], v254 offset:1104
	s_waitcnt vmcnt(50) lgkmcnt(1)
	v_mul_f64 v[38:39], v[30:31], v[164:165]
	s_waitcnt vmcnt(48)
	v_fmac_f64_e32 v[38:39], v[32:33], v[168:169]
	v_add_f64 v[0:1], v[0:1], v[38:39]
	ds_read_b128 v[38:41], v254 offset:1120
	s_waitcnt lgkmcnt(1)
	v_mul_f64 v[42:43], v[34:35], v[138:139]
	;; [unrolled: 11-line block ×3, first 2 shown]
	buffer_load_dword v193, off, s[0:3], 0 offset:620
	buffer_load_dword v192, off, s[0:3], 0 offset:616
	;; [unrolled: 1-line block ×4, first 2 shown]
	v_fmac_f64_e32 v[50:51], v[44:45], v[146:147]
	v_add_f64 v[0:1], v[0:1], v[50:51]
	ds_read_b128 v[50:53], v254 offset:1168
	buffer_load_dword v220, off, s[0:3], 0 offset:632
	buffer_load_dword v222, off, s[0:3], 0 offset:624
	buffer_load_dword v221, off, s[0:3], 0 offset:636
	buffer_load_dword v223, off, s[0:3], 0 offset:628
	buffer_load_dword v227, off, s[0:3], 0 offset:652
	buffer_load_dword v226, off, s[0:3], 0 offset:648
	buffer_load_dword v231, off, s[0:3], 0 offset:644
	buffer_load_dword v230, off, s[0:3], 0 offset:640
	buffer_load_dword v229, off, s[0:3], 0 offset:668
	buffer_load_dword v228, off, s[0:3], 0 offset:664
	buffer_load_dword v233, off, s[0:3], 0 offset:660
	buffer_load_dword v232, off, s[0:3], 0 offset:656
	buffer_load_dword v224, off, s[0:3], 0 offset:696
	buffer_load_dword v237, off, s[0:3], 0 offset:684
	buffer_load_dword v236, off, s[0:3], 0 offset:680
	buffer_load_dword v239, off, s[0:3], 0 offset:676
	buffer_load_dword v238, off, s[0:3], 0 offset:672
	buffer_load_dword v234, off, s[0:3], 0 offset:688
	buffer_load_dword v225, off, s[0:3], 0 offset:700
	buffer_load_dword v235, off, s[0:3], 0 offset:692
	s_waitcnt vmcnt(58) lgkmcnt(1)
	v_mul_f64 v[118:119], v[46:47], v[180:181]
	s_waitcnt vmcnt(56)
	v_fmac_f64_e32 v[118:119], v[48:49], v[184:185]
	v_add_f64 v[0:1], v[0:1], v[118:119]
	v_fma_f64 v[118:119], v[62:63], v[54:55], -v[56:57]
	ds_read_b128 v[54:57], v254 offset:1184
	ds_read_b128 v[58:61], v254 offset:1200
	s_waitcnt lgkmcnt(2)
	v_mul_f64 v[62:63], v[50:51], v[150:151]
	v_fmac_f64_e32 v[62:63], v[52:53], v[154:155]
	v_add_f64 v[0:1], v[0:1], v[62:63]
	s_waitcnt vmcnt(50) lgkmcnt(1)
	v_mul_f64 v[62:63], v[54:55], v[208:209]
	s_waitcnt vmcnt(48)
	v_fmac_f64_e32 v[62:63], v[56:57], v[188:189]
	v_add_f64 v[0:1], v[0:1], v[62:63]
	s_waitcnt lgkmcnt(0)
	v_mul_f64 v[62:63], v[58:59], v[158:159]
	v_fmac_f64_e32 v[62:63], v[60:61], v[162:163]
	v_add_f64 v[0:1], v[0:1], v[62:63]
	ds_read_b128 v[62:65], v254 offset:1216
	v_fma_f64 v[206:207], v[86:87], v[68:69], -v[66:67]
	ds_read_b128 v[66:69], v254 offset:1232
	v_fma_f64 v[248:249], v[98:99], v[72:73], -v[70:71]
	ds_read_b128 v[70:73], v254 offset:1248
	s_waitcnt vmcnt(42) lgkmcnt(2)
	v_mul_f64 v[74:75], v[62:63], v[190:191]
	s_waitcnt vmcnt(40)
	v_fmac_f64_e32 v[74:75], v[64:65], v[210:211]
	v_add_f64 v[0:1], v[0:1], v[74:75]
	s_waitcnt lgkmcnt(1)
	v_mul_f64 v[74:75], v[66:67], v[166:167]
	v_fmac_f64_e32 v[74:75], v[68:69], v[170:171]
	v_add_f64 v[0:1], v[0:1], v[74:75]
	ds_read_b128 v[74:77], v254 offset:1264
	ds_read_b128 v[78:81], v254 offset:1280
	s_waitcnt vmcnt(34) lgkmcnt(2)
	v_mul_f64 v[86:87], v[70:71], v[212:213]
	s_waitcnt vmcnt(32)
	v_fmac_f64_e32 v[86:87], v[72:73], v[214:215]
	v_fma_f64 v[252:253], v[114:115], v[84:85], -v[82:83]
	ds_read_b128 v[82:85], v254 offset:1296
	v_add_f64 v[0:1], v[0:1], v[86:87]
	s_waitcnt lgkmcnt(2)
	v_mul_f64 v[86:87], v[74:75], v[174:175]
	v_fmac_f64_e32 v[86:87], v[76:77], v[178:179]
	v_add_f64 v[0:1], v[0:1], v[86:87]
	s_waitcnt vmcnt(26) lgkmcnt(1)
	v_mul_f64 v[86:87], v[78:79], v[216:217]
	s_waitcnt vmcnt(24)
	v_fmac_f64_e32 v[86:87], v[80:81], v[218:219]
	v_add_f64 v[0:1], v[0:1], v[86:87]
	s_waitcnt lgkmcnt(0)
	v_mul_f64 v[86:87], v[82:83], v[182:183]
	v_fmac_f64_e32 v[86:87], v[84:85], v[186:187]
	v_add_f64 v[0:1], v[0:1], v[86:87]
	ds_read_b128 v[86:89], v254 offset:1312
	ds_read_b128 v[90:93], v254 offset:1328
	v_fma_f64 v[200:201], v[200:201], v[96:97], -v[94:95]
	ds_read_b128 v[94:97], v254 offset:1344
	v_mul_f64 v[102:103], v[242:243], v[102:103]
	v_fma_f64 v[202:203], v[240:241], v[104:105], -v[102:103]
	ds_read_b128 v[102:105], v254 offset:1376
	v_mul_f64 v[4:5], v[4:5], v[120:121]
	v_fma_f64 v[2:3], v[2:3], v[122:123], -v[4:5]
	s_waitcnt vmcnt(22) lgkmcnt(3)
	v_mul_f64 v[98:99], v[86:87], v[192:193]
	s_waitcnt vmcnt(20)
	v_fmac_f64_e32 v[98:99], v[88:89], v[194:195]
	v_add_f64 v[0:1], v[0:1], v[98:99]
	s_waitcnt vmcnt(17) lgkmcnt(2)
	v_mul_f64 v[98:99], v[90:91], v[220:221]
	s_waitcnt vmcnt(16)
	v_fmac_f64_e32 v[98:99], v[92:93], v[222:223]
	v_add_f64 v[0:1], v[0:1], v[98:99]
	ds_read_b128 v[98:101], v254 offset:1360
	s_waitcnt vmcnt(14) lgkmcnt(2)
	v_mul_f64 v[110:111], v[94:95], v[226:227]
	s_waitcnt vmcnt(12)
	v_fmac_f64_e32 v[110:111], v[96:97], v[230:231]
	v_add_f64 v[110:111], v[0:1], v[110:111]
	v_mul_f64 v[0:1], v[246:247], v[106:107]
	v_fma_f64 v[0:1], v[244:245], v[108:109], -v[0:1]
	ds_read_b128 v[106:109], v254 offset:1392
	buffer_load_dword v197, off, s[0:3], 0 offset:716
	buffer_load_dword v196, off, s[0:3], 0 offset:712
	buffer_load_dword v241, off, s[0:3], 0 offset:708
	buffer_load_dword v240, off, s[0:3], 0 offset:704
	s_waitcnt vmcnt(14) lgkmcnt(1)
	v_mul_f64 v[112:113], v[98:99], v[228:229]
	s_waitcnt vmcnt(12)
	v_fmac_f64_e32 v[112:113], v[100:101], v[232:233]
	v_add_f64 v[110:111], v[110:111], v[112:113]
	s_waitcnt vmcnt(9)
	v_mul_f64 v[112:113], v[102:103], v[236:237]
	s_waitcnt vmcnt(7)
	v_fmac_f64_e32 v[112:113], v[104:105], v[238:239]
	v_add_f64 v[110:111], v[110:111], v[112:113]
	s_waitcnt vmcnt(5) lgkmcnt(0)
	v_mul_f64 v[112:113], v[106:107], v[224:225]
	s_waitcnt vmcnt(4)
	v_fmac_f64_e32 v[112:113], v[108:109], v[234:235]
	v_add_f64 v[114:115], v[110:111], v[112:113]
	ds_read_b128 v[110:113], v254 offset:1408
	buffer_load_dword v244, off, s[0:3], 0 offset:728
	buffer_load_dword v245, off, s[0:3], 0 offset:732
	;; [unrolled: 1-line block ×4, first 2 shown]
	v_accvgpr_write_b32 a137, v1
	v_accvgpr_write_b32 a136, v0
	s_waitcnt vmcnt(6) lgkmcnt(0)
	v_mul_f64 v[116:117], v[110:111], v[196:197]
	s_waitcnt vmcnt(4)
	v_fmac_f64_e32 v[116:117], v[112:113], v[240:241]
	v_add_f64 v[242:243], v[114:115], v[116:117]
	ds_read_b128 v[114:117], v254 offset:1424
	s_waitcnt vmcnt(2) lgkmcnt(0)
	v_mul_f64 v[0:1], v[114:115], v[244:245]
	s_waitcnt vmcnt(0)
	v_fmac_f64_e32 v[0:1], v[116:117], v[246:247]
	v_add_f64 v[242:243], v[242:243], v[0:1]
	v_add_f64 v[0:1], v[118:119], 0
	;; [unrolled: 1-line block ×6, first 2 shown]
	buffer_load_dword v250, off, s[0:3], 0 offset:96
	buffer_load_dword v251, off, s[0:3], 0 offset:100
	;; [unrolled: 1-line block ×4, first 2 shown]
	v_add_f64 v[0:1], v[0:1], v[252:253]
	v_add_f64 v[0:1], v[0:1], v[198:199]
	;; [unrolled: 1-line block ×4, first 2 shown]
	v_accvgpr_read_b32 v0, a136
	v_accvgpr_read_b32 v1, a137
	v_add_f64 v[0:1], v[252:253], v[0:1]
	v_add_f64 v[0:1], v[0:1], v[2:3]
	v_mul_f64 v[2:3], v[8:9], v[128:129]
	v_fma_f64 v[2:3], v[6:7], v[144:145], -v[2:3]
	v_add_f64 v[0:1], v[0:1], v[2:3]
	v_mul_f64 v[2:3], v[12:13], v[124:125]
	v_fma_f64 v[2:3], v[10:11], v[126:127], -v[2:3]
	;; [unrolled: 3-line block ×28, first 2 shown]
	v_add_f64 v[0:1], v[0:1], v[2:3]
	s_waitcnt vmcnt(2)
	v_add_f64 v[0:1], v[250:251], -v[0:1]
	s_waitcnt vmcnt(0)
	v_add_f64 v[2:3], v[248:249], -v[242:243]
	buffer_store_dword v1, off, s[0:3], 0 offset:100
	buffer_store_dword v0, off, s[0:3], 0 offset:96
	;; [unrolled: 1-line block ×4, first 2 shown]
	s_and_saveexec_b64 s[4:5], vcc
	s_cbranch_execz .LBB44_275
; %bb.274:
	v_accvgpr_read_b32 v0, a130
	buffer_load_dword v2, v0, s[0:3], 0 offen
	buffer_load_dword v3, v0, s[0:3], 0 offen offset:4
	buffer_load_dword v4, v0, s[0:3], 0 offen offset:8
	buffer_load_dword v5, v0, s[0:3], 0 offen offset:12
	v_accvgpr_read_b32 v0, a135
	buffer_store_dword v254, off, s[0:3], 0 offset:80
	buffer_store_dword v254, off, s[0:3], 0 offset:84
	;; [unrolled: 1-line block ×4, first 2 shown]
	s_waitcnt vmcnt(4)
	ds_write_b128 v0, v[2:5]
.LBB44_275:
	s_or_b64 exec, exec, s[4:5]
	s_waitcnt lgkmcnt(0)
	; wave barrier
	s_waitcnt lgkmcnt(0)
	buffer_load_dword v56, off, s[0:3], 0 offset:96
	buffer_load_dword v57, off, s[0:3], 0 offset:100
	buffer_load_dword v60, off, s[0:3], 0 offset:104
	buffer_load_dword v61, off, s[0:3], 0 offset:108
	buffer_load_dword v54, off, s[0:3], 0 offset:112
	buffer_load_dword v55, off, s[0:3], 0 offset:116
	buffer_load_dword v62, off, s[0:3], 0 offset:120
	buffer_load_dword v63, off, s[0:3], 0 offset:124
	buffer_load_dword v58, off, s[0:3], 0 offset:136
	buffer_load_dword v59, off, s[0:3], 0 offset:140
	buffer_load_dword v71, off, s[0:3], 0 offset:172
	buffer_load_dword v70, off, s[0:3], 0 offset:168
	buffer_load_dword v73, off, s[0:3], 0 offset:164
	buffer_load_dword v72, off, s[0:3], 0 offset:160
	buffer_load_dword v65, off, s[0:3], 0 offset:156
	buffer_load_dword v64, off, s[0:3], 0 offset:152
	buffer_load_dword v83, off, s[0:3], 0 offset:204
	buffer_load_dword v82, off, s[0:3], 0 offset:200
	buffer_load_dword v85, off, s[0:3], 0 offset:196
	buffer_load_dword v84, off, s[0:3], 0 offset:192
	buffer_load_dword v75, off, s[0:3], 0 offset:188
	buffer_load_dword v74, off, s[0:3], 0 offset:184
	buffer_load_dword v95, off, s[0:3], 0 offset:236
	buffer_load_dword v94, off, s[0:3], 0 offset:232
	buffer_load_dword v96, off, s[0:3], 0 offset:224
	buffer_load_dword v87, off, s[0:3], 0 offset:220
	buffer_load_dword v86, off, s[0:3], 0 offset:216
	buffer_load_dword v103, off, s[0:3], 0 offset:252
	buffer_load_dword v102, off, s[0:3], 0 offset:248
	buffer_load_dword v68, off, s[0:3], 0 offset:128
	buffer_load_dword v69, off, s[0:3], 0 offset:132
	buffer_load_dword v67, off, s[0:3], 0 offset:148
	buffer_load_dword v66, off, s[0:3], 0 offset:144
	buffer_load_dword v77, off, s[0:3], 0 offset:180
	buffer_load_dword v76, off, s[0:3], 0 offset:176
	buffer_load_dword v89, off, s[0:3], 0 offset:212
	buffer_load_dword v88, off, s[0:3], 0 offset:208
	buffer_load_dword v97, off, s[0:3], 0 offset:228
	buffer_load_dword v110, off, s[0:3], 0 offset:264
	buffer_load_dword v112, off, s[0:3], 0 offset:256
	buffer_load_dword v113, off, s[0:3], 0 offset:260
	buffer_load_dword v111, off, s[0:3], 0 offset:268
	ds_read_b128 v[78:81], v254 offset:800
	ds_read_b128 v[90:93], v254 offset:816
	;; [unrolled: 1-line block ×10, first 2 shown]
	buffer_load_dword v1, off, s[0:3], 0 offset:244
	buffer_load_dword v0, off, s[0:3], 0 offset:240
	ds_read_b128 v[106:109], v254 offset:960
	buffer_load_dword v3, off, s[0:3], 0 offset:300
	buffer_load_dword v2, off, s[0:3], 0 offset:296
	s_waitcnt vmcnt(38) lgkmcnt(9)
	v_mul_f64 v[4:5], v[90:91], v[62:63]
	v_fmac_f64_e32 v[4:5], v[92:93], v[54:55]
	s_waitcnt vmcnt(36) lgkmcnt(8)
	v_mul_f64 v[6:7], v[114:115], v[58:59]
	v_mul_f64 v[58:59], v[116:117], v[58:59]
	s_waitcnt vmcnt(34) lgkmcnt(6)
	v_mul_f64 v[10:11], v[200:201], v[70:71]
	v_mul_f64 v[70:71], v[202:203], v[70:71]
	s_waitcnt vmcnt(32)
	v_fmac_f64_e32 v[10:11], v[202:203], v[72:73]
	v_fma_f64 v[200:201], v[200:201], v[72:73], -v[70:71]
	s_waitcnt vmcnt(30)
	v_mul_f64 v[8:9], v[196:197], v[64:65]
	s_waitcnt vmcnt(28) lgkmcnt(4)
	v_mul_f64 v[14:15], v[244:245], v[82:83]
	v_mul_f64 v[82:83], v[246:247], v[82:83]
	s_waitcnt vmcnt(26)
	v_fmac_f64_e32 v[14:15], v[246:247], v[84:85]
	s_waitcnt vmcnt(24)
	v_mul_f64 v[12:13], v[240:241], v[74:75]
	v_mul_f64 v[74:75], v[242:243], v[74:75]
	s_waitcnt vmcnt(22) lgkmcnt(2)
	v_mul_f64 v[18:19], v[204:205], v[94:95]
	v_mul_f64 v[94:95], v[206:207], v[94:95]
	s_waitcnt vmcnt(19)
	v_mul_f64 v[16:17], v[248:249], v[86:87]
	v_mul_f64 v[86:87], v[250:251], v[86:87]
	s_waitcnt vmcnt(17) lgkmcnt(1)
	v_mul_f64 v[20:21], v[98:99], v[102:103]
	s_waitcnt vmcnt(15)
	v_fmac_f64_e32 v[6:7], v[116:117], v[68:69]
	s_waitcnt vmcnt(13)
	v_fmac_f64_e32 v[8:9], v[198:199], v[66:67]
	;; [unrolled: 2-line block ×3, first 2 shown]
	v_fma_f64 v[202:203], v[240:241], v[76:77], -v[74:75]
	s_waitcnt vmcnt(9)
	v_fmac_f64_e32 v[16:17], v[250:251], v[88:89]
	s_waitcnt vmcnt(8)
	v_fmac_f64_e32 v[18:19], v[206:207], v[96:97]
	v_fma_f64 v[242:243], v[244:245], v[84:85], -v[82:83]
	v_fma_f64 v[248:249], v[248:249], v[88:89], -v[86:87]
	;; [unrolled: 1-line block ×3, first 2 shown]
	s_waitcnt vmcnt(2)
	v_fmac_f64_e32 v[20:21], v[100:101], v[0:1]
	v_mul_f64 v[100:101], v[100:101], v[102:103]
	s_waitcnt vmcnt(0)
	v_pk_mov_b32 v[22:23], v[2:3], v[2:3] op_sel:[0,1]
	buffer_load_dword v3, off, s[0:3], 0 offset:292
	buffer_load_dword v2, off, s[0:3], 0 offset:288
	;; [unrolled: 1-line block ×78, first 2 shown]
	ds_read_b128 v[120:123], v254 offset:976
	v_accvgpr_write_b32 a137, v23
	v_accvgpr_write_b32 a136, v22
	v_fma_f64 v[250:251], v[98:99], v[0:1], -v[100:101]
	s_waitcnt vmcnt(62)
	v_pk_mov_b32 v[24:25], v[2:3], v[2:3] op_sel:[0,1]
	v_mul_f64 v[2:3], v[78:79], v[60:61]
	v_fmac_f64_e32 v[2:3], v[80:81], v[56:57]
	v_add_f64 v[2:3], v[2:3], 0
	v_add_f64 v[2:3], v[2:3], v[4:5]
	;; [unrolled: 1-line block ×9, first 2 shown]
	s_waitcnt lgkmcnt(1)
	v_mul_f64 v[8:9], v[106:107], v[110:111]
	v_add_f64 v[6:7], v[2:3], v[20:21]
	v_fmac_f64_e32 v[8:9], v[108:109], v[112:113]
	v_add_f64 v[10:11], v[6:7], v[8:9]
	ds_read_b128 v[6:9], v254 offset:992
	s_waitcnt lgkmcnt(1)
	v_mul_f64 v[12:13], v[120:121], v[124:125]
	v_fmac_f64_e32 v[12:13], v[122:123], v[140:141]
	v_add_f64 v[14:15], v[10:11], v[12:13]
	ds_read_b128 v[10:13], v254 offset:1008
	s_waitcnt lgkmcnt(1)
	v_mul_f64 v[16:17], v[6:7], v[22:23]
	;; [unrolled: 5-line block ×3, first 2 shown]
	v_fmac_f64_e32 v[20:21], v[12:13], v[148:149]
	v_add_f64 v[22:23], v[18:19], v[20:21]
	ds_read_b128 v[18:21], v254 offset:1040
	v_accvgpr_write_b32 a139, v25
	v_accvgpr_write_b32 a138, v24
	s_waitcnt lgkmcnt(1)
	v_mul_f64 v[24:25], v[14:15], v[126:127]
	v_fmac_f64_e32 v[24:25], v[16:17], v[128:129]
	v_add_f64 v[26:27], v[22:23], v[24:25]
	ds_read_b128 v[22:25], v254 offset:1056
	s_waitcnt vmcnt(58) lgkmcnt(1)
	v_mul_f64 v[28:29], v[18:19], v[152:153]
	s_waitcnt vmcnt(56)
	v_fmac_f64_e32 v[28:29], v[20:21], v[156:157]
	v_add_f64 v[30:31], v[26:27], v[28:29]
	ds_read_b128 v[26:29], v254 offset:1072
	s_waitcnt lgkmcnt(1)
	v_mul_f64 v[32:33], v[22:23], v[130:131]
	v_fmac_f64_e32 v[32:33], v[24:25], v[132:133]
	v_add_f64 v[34:35], v[30:31], v[32:33]
	ds_read_b128 v[30:33], v254 offset:1088
	s_waitcnt vmcnt(50) lgkmcnt(1)
	v_mul_f64 v[36:37], v[26:27], v[160:161]
	s_waitcnt vmcnt(48)
	v_fmac_f64_e32 v[36:37], v[28:29], v[164:165]
	v_add_f64 v[38:39], v[34:35], v[36:37]
	ds_read_b128 v[34:37], v254 offset:1104
	;; [unrolled: 11-line block ×4, first 2 shown]
	buffer_load_dword v192, off, s[0:3], 0 offset:616
	buffer_load_dword v217, off, s[0:3], 0 offset:604
	;; [unrolled: 1-line block ×28, first 2 shown]
	s_waitcnt lgkmcnt(1)
	v_mul_f64 v[118:119], v[46:47], v[146:147]
	v_fmac_f64_e32 v[118:119], v[48:49], v[150:151]
	v_mul_f64 v[60:61], v[80:81], v[60:61]
	v_add_f64 v[104:105], v[104:105], v[118:119]
	s_waitcnt vmcnt(54) lgkmcnt(0)
	v_mul_f64 v[118:119], v[50:51], v[184:185]
	v_fma_f64 v[252:253], v[78:79], v[56:57], -v[60:61]
	v_mul_f64 v[56:57], v[92:93], v[62:63]
	v_fma_f64 v[2:3], v[90:91], v[54:55], -v[56:57]
	s_waitcnt vmcnt(52)
	v_fmac_f64_e32 v[118:119], v[52:53], v[186:187]
	ds_read_b128 v[54:57], v254 offset:1184
	v_add_f64 v[4:5], v[104:105], v[118:119]
	v_fma_f64 v[118:119], v[114:115], v[68:69], -v[58:59]
	ds_read_b128 v[58:61], v254 offset:1200
	v_mul_f64 v[62:63], v[198:199], v[64:65]
	v_fma_f64 v[198:199], v[196:197], v[66:67], -v[62:63]
	ds_read_b128 v[62:65], v254 offset:1216
	ds_read_b128 v[70:73], v254 offset:1248
	s_waitcnt lgkmcnt(3)
	v_mul_f64 v[68:69], v[54:55], v[154:155]
	v_fmac_f64_e32 v[68:69], v[56:57], v[158:159]
	s_waitcnt vmcnt(46) lgkmcnt(2)
	v_mul_f64 v[66:67], v[58:59], v[188:189]
	v_add_f64 v[4:5], v[4:5], v[68:69]
	s_waitcnt vmcnt(44)
	v_fmac_f64_e32 v[66:67], v[60:61], v[190:191]
	v_add_f64 v[4:5], v[4:5], v[66:67]
	s_waitcnt lgkmcnt(1)
	v_mul_f64 v[66:67], v[62:63], v[162:163]
	v_fmac_f64_e32 v[66:67], v[64:65], v[166:167]
	v_add_f64 v[4:5], v[4:5], v[66:67]
	ds_read_b128 v[66:69], v254 offset:1232
	ds_read_b128 v[74:77], v254 offset:1264
	;; [unrolled: 1-line block ×5, first 2 shown]
	s_waitcnt vmcnt(38) lgkmcnt(4)
	v_mul_f64 v[78:79], v[66:67], v[208:209]
	s_waitcnt vmcnt(36)
	v_fmac_f64_e32 v[78:79], v[68:69], v[210:211]
	v_add_f64 v[4:5], v[4:5], v[78:79]
	v_mul_f64 v[78:79], v[70:71], v[170:171]
	v_fmac_f64_e32 v[78:79], v[72:73], v[174:175]
	v_add_f64 v[4:5], v[4:5], v[78:79]
	s_waitcnt vmcnt(30) lgkmcnt(3)
	v_mul_f64 v[78:79], v[74:75], v[212:213]
	s_waitcnt vmcnt(28)
	v_fmac_f64_e32 v[78:79], v[76:77], v[214:215]
	v_add_f64 v[4:5], v[4:5], v[78:79]
	ds_read_b128 v[78:81], v254 offset:1280
	ds_read_b128 v[98:101], v254 offset:1360
	s_waitcnt lgkmcnt(1)
	v_mul_f64 v[90:91], v[78:79], v[178:179]
	v_fmac_f64_e32 v[90:91], v[80:81], v[182:183]
	v_add_f64 v[4:5], v[4:5], v[90:91]
	s_waitcnt vmcnt(25)
	v_mul_f64 v[90:91], v[82:83], v[216:217]
	s_waitcnt vmcnt(23)
	v_fmac_f64_e32 v[90:91], v[84:85], v[218:219]
	v_add_f64 v[4:5], v[4:5], v[90:91]
	s_waitcnt vmcnt(21)
	v_mul_f64 v[90:91], v[86:87], v[192:193]
	s_waitcnt vmcnt(20)
	v_fmac_f64_e32 v[90:91], v[88:89], v[194:195]
	v_add_f64 v[4:5], v[4:5], v[90:91]
	ds_read_b128 v[90:93], v254 offset:1328
	s_waitcnt vmcnt(18) lgkmcnt(0)
	v_mul_f64 v[104:105], v[90:91], v[220:221]
	s_waitcnt vmcnt(16)
	v_fmac_f64_e32 v[104:105], v[92:93], v[222:223]
	v_add_f64 v[0:1], v[4:5], v[104:105]
	s_waitcnt vmcnt(14)
	v_mul_f64 v[4:5], v[94:95], v[226:227]
	s_waitcnt vmcnt(12)
	v_fmac_f64_e32 v[4:5], v[96:97], v[228:229]
	ds_read_b128 v[102:105], v254 offset:1376
	v_add_f64 v[4:5], v[0:1], v[4:5]
	v_mul_f64 v[0:1], v[108:109], v[110:111]
	v_fma_f64 v[0:1], v[106:107], v[112:113], -v[0:1]
	ds_read_b128 v[106:109], v254 offset:1392
	buffer_load_dword v196, off, s[0:3], 0 offset:712
	buffer_load_dword v197, off, s[0:3], 0 offset:716
	;; [unrolled: 1-line block ×4, first 2 shown]
	s_waitcnt vmcnt(13)
	v_mul_f64 v[110:111], v[98:99], v[232:233]
	s_waitcnt vmcnt(11)
	v_fmac_f64_e32 v[110:111], v[100:101], v[236:237]
	v_add_f64 v[4:5], v[4:5], v[110:111]
	s_waitcnt vmcnt(9) lgkmcnt(1)
	v_mul_f64 v[110:111], v[102:103], v[224:225]
	s_waitcnt vmcnt(8)
	v_fmac_f64_e32 v[110:111], v[104:105], v[230:231]
	v_add_f64 v[4:5], v[4:5], v[110:111]
	s_waitcnt vmcnt(6) lgkmcnt(0)
	v_mul_f64 v[110:111], v[106:107], v[234:235]
	s_waitcnt vmcnt(4)
	v_fmac_f64_e32 v[110:111], v[108:109], v[238:239]
	v_add_f64 v[4:5], v[4:5], v[110:111]
	ds_read_b128 v[110:113], v254 offset:1408
	buffer_load_dword v245, off, s[0:3], 0 offset:732
	buffer_load_dword v244, off, s[0:3], 0 offset:728
	;; [unrolled: 1-line block ×4, first 2 shown]
	s_waitcnt vmcnt(6) lgkmcnt(0)
	v_mul_f64 v[114:115], v[110:111], v[196:197]
	s_waitcnt vmcnt(4)
	v_fmac_f64_e32 v[114:115], v[112:113], v[240:241]
	v_add_f64 v[4:5], v[4:5], v[114:115]
	ds_read_b128 v[114:117], v254 offset:1424
	s_waitcnt vmcnt(2) lgkmcnt(0)
	v_mul_f64 v[206:207], v[114:115], v[244:245]
	s_waitcnt vmcnt(0)
	v_fmac_f64_e32 v[206:207], v[116:117], v[246:247]
	v_add_f64 v[4:5], v[4:5], v[206:207]
	v_add_f64 v[206:207], v[252:253], 0
	;; [unrolled: 1-line block ×9, first 2 shown]
	buffer_load_dword v248, off, s[0:3], 0 offset:80
	buffer_load_dword v249, off, s[0:3], 0 offset:84
	;; [unrolled: 1-line block ×4, first 2 shown]
	v_add_f64 v[254:255], v[2:3], v[204:205]
	v_add_f64 v[2:3], v[254:255], v[250:251]
	;; [unrolled: 1-line block ×3, first 2 shown]
	v_mul_f64 v[2:3], v[122:123], v[124:125]
	v_fma_f64 v[2:3], v[120:121], v[140:141], -v[2:3]
	v_add_f64 v[0:1], v[0:1], v[2:3]
	v_accvgpr_read_b32 v2, a136
	v_accvgpr_read_b32 v3, a137
	v_mul_f64 v[2:3], v[8:9], v[2:3]
	v_accvgpr_read_b32 v8, a138
	v_accvgpr_read_b32 v9, a139
	v_fma_f64 v[2:3], v[6:7], v[8:9], -v[2:3]
	v_add_f64 v[0:1], v[0:1], v[2:3]
	v_mul_f64 v[2:3], v[12:13], v[144:145]
	v_fma_f64 v[2:3], v[10:11], v[148:149], -v[2:3]
	v_add_f64 v[0:1], v[0:1], v[2:3]
	v_mul_f64 v[2:3], v[16:17], v[126:127]
	;; [unrolled: 3-line block ×27, first 2 shown]
	v_fma_f64 v[2:3], v[114:115], v[246:247], -v[2:3]
	v_add_f64 v[0:1], v[0:1], v[2:3]
	s_waitcnt vmcnt(2)
	v_add_f64 v[0:1], v[248:249], -v[0:1]
	s_waitcnt vmcnt(0)
	v_add_f64 v[2:3], v[198:199], -v[4:5]
	buffer_store_dword v1, off, s[0:3], 0 offset:84
	buffer_store_dword v0, off, s[0:3], 0 offset:80
	;; [unrolled: 1-line block ×4, first 2 shown]
	v_accvgpr_read_b32 v0, a134
	v_cmp_lt_u32_e32 vcc, 3, v0
	s_and_saveexec_b64 s[4:5], vcc
	s_cbranch_execz .LBB44_277
; %bb.276:
	v_accvgpr_read_b32 v0, a131
	buffer_load_dword v2, v0, s[0:3], 0 offen
	buffer_load_dword v3, v0, s[0:3], 0 offen offset:4
	buffer_load_dword v4, v0, s[0:3], 0 offen offset:8
	;; [unrolled: 1-line block ×3, first 2 shown]
	v_mov_b32_e32 v0, 0
	v_accvgpr_read_b32 v1, a135
	buffer_store_dword v0, off, s[0:3], 0 offset:64
	buffer_store_dword v0, off, s[0:3], 0 offset:68
	;; [unrolled: 1-line block ×4, first 2 shown]
	s_waitcnt vmcnt(4)
	ds_write_b128 v1, v[2:5]
.LBB44_277:
	s_or_b64 exec, exec, s[4:5]
	s_waitcnt lgkmcnt(0)
	; wave barrier
	s_waitcnt lgkmcnt(0)
	buffer_load_dword v54, off, s[0:3], 0 offset:80
	buffer_load_dword v55, off, s[0:3], 0 offset:84
	buffer_load_dword v56, off, s[0:3], 0 offset:88
	buffer_load_dword v57, off, s[0:3], 0 offset:92
	buffer_load_dword v58, off, s[0:3], 0 offset:96
	buffer_load_dword v59, off, s[0:3], 0 offset:100
	buffer_load_dword v62, off, s[0:3], 0 offset:104
	buffer_load_dword v63, off, s[0:3], 0 offset:108
	buffer_load_dword v60, off, s[0:3], 0 offset:120
	buffer_load_dword v61, off, s[0:3], 0 offset:124
	buffer_load_dword v65, off, s[0:3], 0 offset:156
	buffer_load_dword v64, off, s[0:3], 0 offset:152
	buffer_load_dword v67, off, s[0:3], 0 offset:148
	buffer_load_dword v66, off, s[0:3], 0 offset:144
	buffer_load_dword v69, off, s[0:3], 0 offset:140
	buffer_load_dword v68, off, s[0:3], 0 offset:136
	buffer_load_dword v75, off, s[0:3], 0 offset:188
	buffer_load_dword v74, off, s[0:3], 0 offset:184
	buffer_load_dword v77, off, s[0:3], 0 offset:180
	buffer_load_dword v76, off, s[0:3], 0 offset:176
	buffer_load_dword v71, off, s[0:3], 0 offset:172
	buffer_load_dword v70, off, s[0:3], 0 offset:168
	buffer_load_dword v87, off, s[0:3], 0 offset:220
	buffer_load_dword v86, off, s[0:3], 0 offset:216
	buffer_load_dword v88, off, s[0:3], 0 offset:208
	buffer_load_dword v79, off, s[0:3], 0 offset:204
	buffer_load_dword v78, off, s[0:3], 0 offset:200
	buffer_load_dword v91, off, s[0:3], 0 offset:236
	buffer_load_dword v90, off, s[0:3], 0 offset:232
	buffer_load_dword v84, off, s[0:3], 0 offset:112
	buffer_load_dword v85, off, s[0:3], 0 offset:116
	buffer_load_dword v83, off, s[0:3], 0 offset:132
	buffer_load_dword v82, off, s[0:3], 0 offset:128
	buffer_load_dword v73, off, s[0:3], 0 offset:164
	buffer_load_dword v72, off, s[0:3], 0 offset:160
	buffer_load_dword v81, off, s[0:3], 0 offset:196
	buffer_load_dword v80, off, s[0:3], 0 offset:192
	buffer_load_dword v89, off, s[0:3], 0 offset:212
	buffer_load_dword v102, off, s[0:3], 0 offset:248
	buffer_load_dword v104, off, s[0:3], 0 offset:240
	buffer_load_dword v105, off, s[0:3], 0 offset:244
	buffer_load_dword v103, off, s[0:3], 0 offset:252
	buffer_load_dword v93, off, s[0:3], 0 offset:228
	buffer_load_dword v92, off, s[0:3], 0 offset:224
	buffer_load_dword v1, off, s[0:3], 0 offset:284
	buffer_load_dword v0, off, s[0:3], 0 offset:280
	v_mov_b32_e32 v128, 0
	s_waitcnt vmcnt(0)
	v_pk_mov_b32 v[20:21], v[0:1], v[0:1] op_sel:[0,1]
	buffer_load_dword v1, off, s[0:3], 0 offset:276
	buffer_load_dword v0, off, s[0:3], 0 offset:272
	;; [unrolled: 1-line block ×3, first 2 shown]
	ds_read_b128 v[94:97], v128 offset:784
	ds_read_b128 v[108:111], v128 offset:800
	ds_read_b128 v[112:115], v128 offset:816
	ds_read_b128 v[176:179], v128 offset:832
	ds_read_b128 v[180:183], v128 offset:848
	ds_read_b128 v[184:187], v128 offset:864
	ds_read_b128 v[188:191], v128 offset:880
	ds_read_b128 v[192:195], v128 offset:896
	ds_read_b128 v[200:203], v128 offset:912
	ds_read_b128 v[204:207], v128 offset:928
	ds_read_b128 v[98:101], v128 offset:944
	s_waitcnt lgkmcnt(9)
	v_mul_f64 v[2:3], v[108:109], v[62:63]
	s_waitcnt lgkmcnt(8)
	v_mul_f64 v[4:5], v[112:113], v[60:61]
	v_fmac_f64_e32 v[2:3], v[110:111], v[58:59]
	s_waitcnt lgkmcnt(7)
	v_mul_f64 v[6:7], v[176:177], v[68:69]
	v_fmac_f64_e32 v[4:5], v[114:115], v[84:85]
	;; [unrolled: 3-line block ×3, first 2 shown]
	v_fmac_f64_e32 v[8:9], v[182:183], v[66:67]
	s_waitcnt lgkmcnt(5)
	v_mul_f64 v[10:11], v[184:185], v[70:71]
	s_waitcnt lgkmcnt(4)
	v_mul_f64 v[12:13], v[188:189], v[74:75]
	v_fmac_f64_e32 v[10:11], v[186:187], v[72:73]
	s_waitcnt lgkmcnt(3)
	v_mul_f64 v[14:15], v[192:193], v[78:79]
	v_fmac_f64_e32 v[12:13], v[190:191], v[76:77]
	;; [unrolled: 3-line block ×4, first 2 shown]
	v_fmac_f64_e32 v[18:19], v[206:207], v[92:93]
	v_accvgpr_write_b32 a137, v21
	v_accvgpr_write_b32 a136, v20
	v_mul_f64 v[62:63], v[110:111], v[62:63]
	v_mul_f64 v[74:75], v[190:191], v[74:75]
	v_fma_f64 v[190:191], v[188:189], v[76:77], -v[74:75]
	v_mul_f64 v[78:79], v[194:195], v[78:79]
	v_fma_f64 v[192:193], v[192:193], v[80:81], -v[78:79]
	v_mul_f64 v[86:87], v[202:203], v[86:87]
	v_mul_f64 v[90:91], v[206:207], v[90:91]
	v_fma_f64 v[194:195], v[200:201], v[88:89], -v[86:87]
	s_waitcnt vmcnt(1)
	v_pk_mov_b32 v[22:23], v[0:1], v[0:1] op_sel:[0,1]
	v_mul_f64 v[0:1], v[94:95], v[56:57]
	v_fmac_f64_e32 v[0:1], v[96:97], v[54:55]
	v_add_f64 v[0:1], v[0:1], 0
	v_add_f64 v[0:1], v[0:1], v[2:3]
	;; [unrolled: 1-line block ×5, first 2 shown]
	buffer_load_dword v106, off, s[0:3], 0 offset:264
	buffer_load_dword v197, off, s[0:3], 0 offset:260
	;; [unrolled: 1-line block ×75, first 2 shown]
	ds_read_b128 v[116:119], v128 offset:960
	ds_read_b128 v[120:123], v128 offset:976
	v_add_f64 v[0:1], v[0:1], v[10:11]
	v_add_f64 v[0:1], v[0:1], v[12:13]
	;; [unrolled: 1-line block ×5, first 2 shown]
	s_waitcnt lgkmcnt(0)
	v_mul_f64 v[10:11], v[120:121], v[20:21]
	ds_read_b128 v[124:127], v128 offset:992
	v_fmac_f64_e32 v[10:11], v[122:123], v[22:23]
	v_accvgpr_write_b32 a139, v23
	v_accvgpr_write_b32 a138, v22
	v_mul_f64 v[56:57], v[96:97], v[56:57]
	s_waitcnt vmcnt(62)
	v_mul_f64 v[6:7], v[116:117], v[106:107]
	v_fmac_f64_e32 v[6:7], v[118:119], v[196:197]
	v_pk_mov_b32 v[4:5], v[2:3], v[2:3] op_sel:[0,1]
	v_mul_f64 v[2:3], v[98:99], v[102:103]
	v_fmac_f64_e32 v[2:3], v[100:101], v[104:105]
	v_add_f64 v[0:1], v[0:1], v[2:3]
	v_add_f64 v[0:1], v[0:1], v[6:7]
	;; [unrolled: 1-line block ×3, first 2 shown]
	ds_read_b128 v[10:13], v128 offset:1008
	s_waitcnt lgkmcnt(1)
	v_mul_f64 v[14:15], v[124:125], v[212:213]
	v_fmac_f64_e32 v[14:15], v[126:127], v[216:217]
	v_add_f64 v[0:1], v[0:1], v[14:15]
	ds_read_b128 v[14:17], v128 offset:1024
	s_waitcnt lgkmcnt(1)
	v_mul_f64 v[18:19], v[10:11], v[8:9]
	v_fmac_f64_e32 v[18:19], v[12:13], v[4:5]
	v_add_f64 v[0:1], v[0:1], v[18:19]
	ds_read_b128 v[18:21], v128 offset:1040
	s_waitcnt vmcnt(58) lgkmcnt(1)
	v_mul_f64 v[22:23], v[14:15], v[138:139]
	s_waitcnt vmcnt(56)
	v_fmac_f64_e32 v[22:23], v[16:17], v[142:143]
	v_add_f64 v[0:1], v[0:1], v[22:23]
	ds_read_b128 v[22:25], v128 offset:1056
	s_waitcnt lgkmcnt(1)
	v_mul_f64 v[26:27], v[18:19], v[198:199]
	v_fmac_f64_e32 v[26:27], v[20:21], v[130:131]
	v_add_f64 v[0:1], v[0:1], v[26:27]
	ds_read_b128 v[26:29], v128 offset:1072
	s_waitcnt vmcnt(50) lgkmcnt(1)
	v_mul_f64 v[30:31], v[22:23], v[220:221]
	s_waitcnt vmcnt(48)
	;; [unrolled: 11-line block ×4, first 2 shown]
	v_fmac_f64_e32 v[46:47], v[40:41], v[234:235]
	v_add_f64 v[0:1], v[0:1], v[46:47]
	ds_read_b128 v[46:49], v128 offset:1152
	s_waitcnt lgkmcnt(1)
	v_mul_f64 v[50:51], v[42:43], v[214:215]
	v_fmac_f64_e32 v[50:51], v[44:45], v[136:137]
	v_add_f64 v[0:1], v[0:1], v[50:51]
	ds_read_b128 v[50:53], v128 offset:1168
	buffer_load_dword v163, off, s[0:3], 0 offset:588
	buffer_load_dword v162, off, s[0:3], 0 offset:584
	;; [unrolled: 1-line block ×8, first 2 shown]
	s_waitcnt vmcnt(34) lgkmcnt(1)
	v_mul_f64 v[166:167], v[46:47], v[238:239]
	s_waitcnt vmcnt(32)
	v_fmac_f64_e32 v[166:167], v[48:49], v[150:151]
	v_add_f64 v[0:1], v[0:1], v[166:167]
	buffer_load_dword v167, off, s[0:3], 0 offset:636
	buffer_load_dword v173, off, s[0:3], 0 offset:620
	;; [unrolled: 1-line block ×8, first 2 shown]
	v_fma_f64 v[6:7], v[94:95], v[54:55], -v[56:57]
	ds_read_b128 v[54:57], v128 offset:1184
	buffer_load_dword v245, off, s[0:3], 0 offset:652
	buffer_load_dword v244, off, s[0:3], 0 offset:648
	;; [unrolled: 1-line block ×4, first 2 shown]
	v_accvgpr_write_b32 a141, v5
	v_accvgpr_write_b32 a140, v4
	s_waitcnt lgkmcnt(1)
	v_mul_f64 v[4:5], v[50:51], v[140:141]
	buffer_load_dword v248, off, s[0:3], 0 offset:664
	buffer_load_dword v250, off, s[0:3], 0 offset:656
	;; [unrolled: 1-line block ×8, first 2 shown]
	v_fmac_f64_e32 v[4:5], v[52:53], v[218:219]
	v_add_f64 v[0:1], v[0:1], v[4:5]
	v_mul_f64 v[4:5], v[178:179], v[68:69]
	v_fma_f64 v[4:5], v[176:177], v[82:83], -v[4:5]
	buffer_load_dword v176, off, s[0:3], 0 offset:696
	buffer_load_dword v178, off, s[0:3], 0 offset:688
	;; [unrolled: 1-line block ×4, first 2 shown]
	v_fma_f64 v[94:95], v[108:109], v[58:59], -v[62:63]
	v_mul_f64 v[58:59], v[114:115], v[60:61]
	v_fma_f64 v[96:97], v[112:113], v[84:85], -v[58:59]
	s_waitcnt vmcnt(50) lgkmcnt(0)
	v_mul_f64 v[58:59], v[54:55], v[152:153]
	s_waitcnt vmcnt(48)
	v_fmac_f64_e32 v[58:59], v[56:57], v[240:241]
	v_add_f64 v[0:1], v[0:1], v[58:59]
	ds_read_b128 v[58:61], v128 offset:1200
	v_mul_f64 v[62:63], v[182:183], v[64:65]
	v_fma_f64 v[108:109], v[180:181], v[66:67], -v[62:63]
	ds_read_b128 v[62:65], v128 offset:1216
	v_mul_f64 v[66:67], v[186:187], v[70:71]
	v_fma_f64 v[184:185], v[184:185], v[72:73], -v[66:67]
	ds_read_b128 v[66:69], v128 offset:1232
	ds_read_b128 v[74:77], v128 offset:1264
	s_waitcnt lgkmcnt(3)
	v_mul_f64 v[82:83], v[58:59], v[222:223]
	v_fmac_f64_e32 v[82:83], v[60:61], v[144:145]
	s_waitcnt vmcnt(42) lgkmcnt(2)
	v_mul_f64 v[70:71], v[62:63], v[154:155]
	v_add_f64 v[0:1], v[0:1], v[82:83]
	s_waitcnt vmcnt(40)
	v_fmac_f64_e32 v[70:71], v[64:65], v[156:157]
	v_add_f64 v[0:1], v[0:1], v[70:71]
	s_waitcnt lgkmcnt(1)
	v_mul_f64 v[70:71], v[66:67], v[148:149]
	v_fmac_f64_e32 v[70:71], v[68:69], v[228:229]
	v_add_f64 v[0:1], v[0:1], v[70:71]
	ds_read_b128 v[70:73], v128 offset:1248
	ds_read_b128 v[78:81], v128 offset:1280
	v_mul_f64 v[100:101], v[100:101], v[102:103]
	v_mul_f64 v[102:103], v[118:119], v[106:107]
	v_fma_f64 v[180:181], v[204:205], v[92:93], -v[90:91]
	s_waitcnt vmcnt(34) lgkmcnt(1)
	v_mul_f64 v[82:83], v[70:71], v[158:159]
	s_waitcnt vmcnt(32)
	v_fmac_f64_e32 v[82:83], v[72:73], v[160:161]
	v_add_f64 v[0:1], v[0:1], v[82:83]
	v_mul_f64 v[82:83], v[74:75], v[232:233]
	v_fmac_f64_e32 v[82:83], v[76:77], v[236:237]
	v_add_f64 v[0:1], v[0:1], v[82:83]
	ds_read_b128 v[90:93], v128 offset:1328
	ds_read_b128 v[200:203], v128 offset:1344
	v_fma_f64 v[2:3], v[98:99], v[104:105], -v[100:101]
	ds_read_b128 v[98:101], v128 offset:1360
	v_fma_f64 v[106:107], v[116:117], v[196:197], -v[102:103]
	ds_read_b128 v[102:105], v128 offset:1376
	ds_read_b128 v[204:207], v128 offset:1392
	v_add_f64 v[6:7], v[6:7], 0
	v_add_f64 v[6:7], v[6:7], v[94:95]
	;; [unrolled: 1-line block ×8, first 2 shown]
	ds_read_b128 v[86:89], v128 offset:1312
	v_add_f64 v[4:5], v[4:5], v[194:195]
	v_add_f64 v[4:5], v[4:5], v[180:181]
	v_accvgpr_read_b32 v6, a138
	v_accvgpr_read_b32 v7, a139
	s_waitcnt vmcnt(30) lgkmcnt(6)
	v_mul_f64 v[82:83], v[78:79], v[162:163]
	s_waitcnt vmcnt(28)
	v_fmac_f64_e32 v[82:83], v[80:81], v[164:165]
	v_add_f64 v[0:1], v[0:1], v[82:83]
	ds_read_b128 v[82:85], v128 offset:1296
	buffer_load_dword v119, off, s[0:3], 0 offset:716
	buffer_load_dword v118, off, s[0:3], 0 offset:712
	;; [unrolled: 1-line block ×4, first 2 shown]
	s_waitcnt vmcnt(29) lgkmcnt(0)
	v_mul_f64 v[110:111], v[82:83], v[168:169]
	s_waitcnt vmcnt(28)
	v_fmac_f64_e32 v[110:111], v[84:85], v[170:171]
	v_add_f64 v[0:1], v[0:1], v[110:111]
	s_waitcnt vmcnt(25)
	v_mul_f64 v[110:111], v[86:87], v[172:173]
	s_waitcnt vmcnt(23)
	v_fmac_f64_e32 v[110:111], v[88:89], v[242:243]
	v_add_f64 v[0:1], v[0:1], v[110:111]
	s_waitcnt vmcnt(22)
	;; [unrolled: 5-line block ×6, first 2 shown]
	v_mul_f64 v[110:111], v[204:205], v[176:177]
	s_waitcnt vmcnt(4)
	v_fmac_f64_e32 v[110:111], v[206:207], v[178:179]
	v_add_f64 v[0:1], v[0:1], v[110:111]
	ds_read_b128 v[110:113], v128 offset:1408
	buffer_load_dword v186, off, s[0:3], 0 offset:728
	buffer_load_dword v187, off, s[0:3], 0 offset:732
	;; [unrolled: 1-line block ×4, first 2 shown]
	s_waitcnt vmcnt(6) lgkmcnt(0)
	v_mul_f64 v[114:115], v[110:111], v[118:119]
	s_waitcnt vmcnt(4)
	v_fmac_f64_e32 v[114:115], v[112:113], v[182:183]
	v_add_f64 v[0:1], v[0:1], v[114:115]
	ds_read_b128 v[114:117], v128 offset:1424
	buffer_load_dword v192, off, s[0:3], 0 offset:64
	buffer_load_dword v193, off, s[0:3], 0 offset:68
	buffer_load_dword v190, off, s[0:3], 0 offset:72
	buffer_load_dword v191, off, s[0:3], 0 offset:76
	s_waitcnt vmcnt(6) lgkmcnt(0)
	v_mul_f64 v[196:197], v[114:115], v[186:187]
	s_waitcnt vmcnt(4)
	v_fmac_f64_e32 v[196:197], v[116:117], v[188:189]
	v_add_f64 v[0:1], v[0:1], v[196:197]
	v_add_f64 v[196:197], v[4:5], v[2:3]
	v_accvgpr_read_b32 v4, a136
	v_accvgpr_read_b32 v5, a137
	v_mul_f64 v[4:5], v[122:123], v[4:5]
	v_add_f64 v[2:3], v[196:197], v[106:107]
	v_fma_f64 v[4:5], v[120:121], v[6:7], -v[4:5]
	v_add_f64 v[2:3], v[2:3], v[4:5]
	v_mul_f64 v[4:5], v[126:127], v[212:213]
	v_fma_f64 v[4:5], v[124:125], v[216:217], -v[4:5]
	v_accvgpr_read_b32 v6, a140
	v_add_f64 v[2:3], v[2:3], v[4:5]
	v_mul_f64 v[4:5], v[12:13], v[8:9]
	v_accvgpr_read_b32 v7, a141
	v_fma_f64 v[4:5], v[10:11], v[6:7], -v[4:5]
	v_add_f64 v[2:3], v[2:3], v[4:5]
	v_mul_f64 v[4:5], v[16:17], v[138:139]
	v_fma_f64 v[4:5], v[14:15], v[142:143], -v[4:5]
	v_add_f64 v[2:3], v[2:3], v[4:5]
	v_mul_f64 v[4:5], v[20:21], v[198:199]
	;; [unrolled: 3-line block ×26, first 2 shown]
	v_fma_f64 v[4:5], v[114:115], v[188:189], -v[4:5]
	v_add_f64 v[2:3], v[2:3], v[4:5]
	s_waitcnt vmcnt(2)
	v_add_f64 v[2:3], v[192:193], -v[2:3]
	s_waitcnt vmcnt(0)
	v_add_f64 v[0:1], v[190:191], -v[0:1]
	buffer_store_dword v3, off, s[0:3], 0 offset:68
	buffer_store_dword v2, off, s[0:3], 0 offset:64
	;; [unrolled: 1-line block ×4, first 2 shown]
	v_accvgpr_read_b32 v0, a134
	v_cmp_lt_u32_e32 vcc, 2, v0
	s_and_saveexec_b64 s[4:5], vcc
	s_cbranch_execz .LBB44_279
; %bb.278:
	v_accvgpr_read_b32 v0, a132
	buffer_load_dword v2, v0, s[0:3], 0 offen
	buffer_load_dword v3, v0, s[0:3], 0 offen offset:4
	buffer_load_dword v4, v0, s[0:3], 0 offen offset:8
	;; [unrolled: 1-line block ×3, first 2 shown]
	v_accvgpr_read_b32 v0, a135
	buffer_store_dword v128, off, s[0:3], 0 offset:48
	buffer_store_dword v128, off, s[0:3], 0 offset:52
	;; [unrolled: 1-line block ×4, first 2 shown]
	s_waitcnt vmcnt(4)
	ds_write_b128 v0, v[2:5]
.LBB44_279:
	s_or_b64 exec, exec, s[4:5]
	s_waitcnt lgkmcnt(0)
	; wave barrier
	s_waitcnt lgkmcnt(0)
	buffer_load_dword v58, off, s[0:3], 0 offset:64
	buffer_load_dword v59, off, s[0:3], 0 offset:68
	;; [unrolled: 1-line block ×42, first 2 shown]
	ds_read_b128 v[110:113], v128 offset:768
	ds_read_b128 v[114:117], v128 offset:784
	ds_read_b128 v[176:179], v128 offset:800
	ds_read_b128 v[180:183], v128 offset:816
	ds_read_b128 v[184:187], v128 offset:832
	ds_read_b128 v[188:191], v128 offset:848
	ds_read_b128 v[192:195], v128 offset:864
	ds_read_b128 v[200:203], v128 offset:880
	ds_read_b128 v[204:207], v128 offset:896
	ds_read_b128 v[82:85], v128 offset:912
	buffer_load_dword v1, off, s[0:3], 0 offset:212
	buffer_load_dword v0, off, s[0:3], 0 offset:208
	ds_read_b128 v[90:93], v128 offset:928
	buffer_load_dword v105, off, s[0:3], 0 offset:268
	buffer_load_dword v104, off, s[0:3], 0 offset:264
	buffer_load_dword v107, off, s[0:3], 0 offset:260
	buffer_load_dword v106, off, s[0:3], 0 offset:256
	buffer_load_dword v109, off, s[0:3], 0 offset:252
	buffer_load_dword v108, off, s[0:3], 0 offset:248
	s_waitcnt vmcnt(46) lgkmcnt(10)
	v_mul_f64 v[2:3], v[110:111], v[60:61]
	v_fmac_f64_e32 v[2:3], v[112:113], v[58:59]
	v_add_f64 v[2:3], v[2:3], 0
	v_mul_f64 v[60:61], v[112:113], v[60:61]
	s_waitcnt vmcnt(42) lgkmcnt(9)
	v_mul_f64 v[4:5], v[114:115], v[62:63]
	v_fmac_f64_e32 v[4:5], v[116:117], v[56:57]
	v_add_f64 v[2:3], v[2:3], v[4:5]
	buffer_load_dword v199, off, s[0:3], 0 offset:244
	buffer_load_dword v198, off, s[0:3], 0 offset:240
	;; [unrolled: 1-line block ×4, first 2 shown]
	s_waitcnt vmcnt(44) lgkmcnt(8)
	v_mul_f64 v[6:7], v[176:177], v[54:55]
	s_waitcnt vmcnt(42) lgkmcnt(6)
	v_mul_f64 v[10:11], v[184:185], v[64:65]
	s_waitcnt vmcnt(40)
	v_fmac_f64_e32 v[10:11], v[186:187], v[66:67]
	v_mul_f64 v[54:55], v[178:179], v[54:55]
	s_waitcnt vmcnt(38)
	v_mul_f64 v[8:9], v[180:181], v[68:69]
	s_waitcnt vmcnt(36) lgkmcnt(4)
	v_mul_f64 v[14:15], v[192:193], v[70:71]
	s_waitcnt vmcnt(34)
	v_fmac_f64_e32 v[14:15], v[194:195], v[72:73]
	s_waitcnt vmcnt(32)
	v_mul_f64 v[12:13], v[188:189], v[74:75]
	s_waitcnt vmcnt(30) lgkmcnt(2)
	v_mul_f64 v[18:19], v[204:205], v[78:79]
	v_mul_f64 v[78:79], v[206:207], v[78:79]
	s_waitcnt vmcnt(27)
	v_mul_f64 v[16:17], v[200:201], v[76:77]
	s_waitcnt vmcnt(25) lgkmcnt(1)
	v_mul_f64 v[20:21], v[82:83], v[86:87]
	s_waitcnt vmcnt(23)
	v_fmac_f64_e32 v[6:7], v[178:179], v[246:247]
	v_add_f64 v[2:3], v[2:3], v[6:7]
	s_waitcnt vmcnt(21)
	v_fmac_f64_e32 v[8:9], v[182:183], v[244:245]
	v_add_f64 v[2:3], v[2:3], v[8:9]
	s_waitcnt vmcnt(19)
	v_fmac_f64_e32 v[12:13], v[190:191], v[94:95]
	v_add_f64 v[2:3], v[2:3], v[10:11]
	v_add_f64 v[2:3], v[2:3], v[12:13]
	s_waitcnt vmcnt(17)
	v_fmac_f64_e32 v[16:17], v[202:203], v[88:89]
	v_add_f64 v[2:3], v[2:3], v[14:15]
	s_waitcnt vmcnt(16)
	v_fmac_f64_e32 v[18:19], v[206:207], v[80:81]
	v_add_f64 v[2:3], v[2:3], v[16:17]
	v_add_f64 v[2:3], v[2:3], v[18:19]
	v_fma_f64 v[204:205], v[204:205], v[80:81], -v[78:79]
	s_waitcnt vmcnt(10)
	v_fmac_f64_e32 v[20:21], v[84:85], v[0:1]
	v_add_f64 v[2:3], v[2:3], v[20:21]
	v_mul_f64 v[84:85], v[84:85], v[86:87]
	v_fma_f64 v[206:207], v[82:83], v[0:1], -v[84:85]
	s_waitcnt vmcnt(0)
	v_pk_mov_b32 v[18:19], v[4:5], v[4:5] op_sel:[0,1]
	buffer_load_dword v5, off, s[0:3], 0 offset:292
	buffer_load_dword v4, off, s[0:3], 0 offset:288
	v_accvgpr_write_b32 a137, v19
	v_accvgpr_write_b32 a136, v18
	s_waitcnt vmcnt(0)
	v_pk_mov_b32 v[22:23], v[4:5], v[4:5] op_sel:[0,1]
	buffer_load_dword v137, off, s[0:3], 0 offset:284
	buffer_load_dword v136, off, s[0:3], 0 offset:280
	;; [unrolled: 1-line block ×6, first 2 shown]
	v_accvgpr_write_b32 a139, v23
	v_accvgpr_write_b32 a138, v22
	s_waitcnt vmcnt(0)
	v_pk_mov_b32 v[26:27], v[4:5], v[4:5] op_sel:[0,1]
	buffer_load_dword v5, off, s[0:3], 0 offset:324
	buffer_load_dword v4, off, s[0:3], 0 offset:320
	v_accvgpr_write_b32 a141, v27
	v_accvgpr_write_b32 a140, v26
	s_waitcnt vmcnt(0)
	v_pk_mov_b32 v[28:29], v[4:5], v[4:5] op_sel:[0,1]
	buffer_load_dword v145, off, s[0:3], 0 offset:316
	buffer_load_dword v144, off, s[0:3], 0 offset:312
	buffer_load_dword v149, off, s[0:3], 0 offset:308
	buffer_load_dword v148, off, s[0:3], 0 offset:304
	buffer_load_dword v197, off, s[0:3], 0 offset:364
	buffer_load_dword v196, off, s[0:3], 0 offset:360
	buffer_load_dword v127, off, s[0:3], 0 offset:356
	buffer_load_dword v126, off, s[0:3], 0 offset:352
	buffer_load_dword v153, off, s[0:3], 0 offset:348
	buffer_load_dword v152, off, s[0:3], 0 offset:344
	buffer_load_dword v211, off, s[0:3], 0 offset:340
	buffer_load_dword v210, off, s[0:3], 0 offset:336
	buffer_load_dword v5, off, s[0:3], 0 offset:396
	buffer_load_dword v4, off, s[0:3], 0 offset:392
	buffer_load_dword v135, off, s[0:3], 0 offset:388
	buffer_load_dword v134, off, s[0:3], 0 offset:384
	buffer_load_dword v213, off, s[0:3], 0 offset:380
	buffer_load_dword v212, off, s[0:3], 0 offset:376
	buffer_load_dword v159, off, s[0:3], 0 offset:372
	buffer_load_dword v158, off, s[0:3], 0 offset:368
	buffer_load_dword v139, off, s[0:3], 0 offset:428
	buffer_load_dword v138, off, s[0:3], 0 offset:424
	buffer_load_dword v143, off, s[0:3], 0 offset:420
	buffer_load_dword v142, off, s[0:3], 0 offset:416
	buffer_load_dword v215, off, s[0:3], 0 offset:412
	buffer_load_dword v214, off, s[0:3], 0 offset:408
	buffer_load_dword v219, off, s[0:3], 0 offset:404
	buffer_load_dword v218, off, s[0:3], 0 offset:400
	buffer_load_dword v147, off, s[0:3], 0 offset:460
	buffer_load_dword v146, off, s[0:3], 0 offset:456
	buffer_load_dword v151, off, s[0:3], 0 offset:452
	buffer_load_dword v150, off, s[0:3], 0 offset:448
	buffer_load_dword v223, off, s[0:3], 0 offset:444
	buffer_load_dword v222, off, s[0:3], 0 offset:440
	buffer_load_dword v163, off, s[0:3], 0 offset:436
	buffer_load_dword v162, off, s[0:3], 0 offset:432
	buffer_load_dword v209, off, s[0:3], 0 offset:492
	buffer_load_dword v208, off, s[0:3], 0 offset:488
	buffer_load_dword v155, off, s[0:3], 0 offset:484
	buffer_load_dword v154, off, s[0:3], 0 offset:480
	buffer_load_dword v165, off, s[0:3], 0 offset:476
	buffer_load_dword v164, off, s[0:3], 0 offset:472
	buffer_load_dword v167, off, s[0:3], 0 offset:468
	buffer_load_dword v166, off, s[0:3], 0 offset:464
	buffer_load_dword v157, off, s[0:3], 0 offset:524
	buffer_load_dword v156, off, s[0:3], 0 offset:520
	buffer_load_dword v161, off, s[0:3], 0 offset:516
	buffer_load_dword v160, off, s[0:3], 0 offset:512
	buffer_load_dword v225, off, s[0:3], 0 offset:508
	buffer_load_dword v224, off, s[0:3], 0 offset:504
	buffer_load_dword v169, off, s[0:3], 0 offset:500
	buffer_load_dword v168, off, s[0:3], 0 offset:496
	buffer_load_dword v217, off, s[0:3], 0 offset:556
	buffer_load_dword v216, off, s[0:3], 0 offset:552
	buffer_load_dword v221, off, s[0:3], 0 offset:548
	buffer_load_dword v220, off, s[0:3], 0 offset:544
	buffer_load_dword v171, off, s[0:3], 0 offset:540
	buffer_load_dword v170, off, s[0:3], 0 offset:536
	buffer_load_dword v173, off, s[0:3], 0 offset:532
	buffer_load_dword v172, off, s[0:3], 0 offset:528
	ds_read_b128 v[118:121], v128 offset:944
	ds_read_b128 v[98:101], v128 offset:960
	;; [unrolled: 1-line block ×4, first 2 shown]
	v_accvgpr_write_b32 a143, v29
	v_accvgpr_write_b32 a142, v28
	s_waitcnt lgkmcnt(2)
	v_mul_f64 v[8:9], v[98:99], v[104:105]
	v_fmac_f64_e32 v[8:9], v[100:101], v[106:107]
	s_waitcnt lgkmcnt(1)
	v_mul_f64 v[12:13], v[130:131], v[136:137]
	v_fmac_f64_e32 v[12:13], v[132:133], v[140:141]
	;; [unrolled: 3-line block ×3, first 2 shown]
	s_waitcnt vmcnt(46)
	v_pk_mov_b32 v[42:43], v[4:5], v[4:5] op_sel:[0,1]
	v_mul_f64 v[4:5], v[90:91], v[96:97]
	v_fmac_f64_e32 v[4:5], v[92:93], v[102:103]
	v_add_f64 v[2:3], v[2:3], v[4:5]
	v_mul_f64 v[4:5], v[118:119], v[108:109]
	v_fmac_f64_e32 v[4:5], v[120:121], v[198:199]
	v_add_f64 v[6:7], v[2:3], v[4:5]
	v_add_f64 v[10:11], v[6:7], v[8:9]
	v_add_f64 v[14:15], v[10:11], v[12:13]
	ds_read_b128 v[10:13], v128 offset:1008
	v_add_f64 v[18:19], v[14:15], v[16:17]
	ds_read_b128 v[14:17], v128 offset:1024
	v_accvgpr_write_b32 a145, v43
	v_accvgpr_write_b32 a144, v42
	s_waitcnt lgkmcnt(1)
	v_mul_f64 v[20:21], v[10:11], v[144:145]
	v_fmac_f64_e32 v[20:21], v[12:13], v[148:149]
	v_add_f64 v[22:23], v[18:19], v[20:21]
	ds_read_b128 v[18:21], v128 offset:1040
	s_waitcnt lgkmcnt(1)
	v_mul_f64 v[24:25], v[14:15], v[26:27]
	v_fmac_f64_e32 v[24:25], v[16:17], v[28:29]
	v_add_f64 v[26:27], v[22:23], v[24:25]
	ds_read_b128 v[22:25], v128 offset:1056
	;; [unrolled: 5-line block ×4, first 2 shown]
	s_waitcnt vmcnt(42) lgkmcnt(1)
	v_mul_f64 v[36:37], v[26:27], v[212:213]
	s_waitcnt vmcnt(40)
	v_fmac_f64_e32 v[36:37], v[28:29], v[158:159]
	v_add_f64 v[38:39], v[34:35], v[36:37]
	ds_read_b128 v[34:37], v128 offset:1104
	s_waitcnt lgkmcnt(1)
	v_mul_f64 v[40:41], v[30:31], v[42:43]
	v_fmac_f64_e32 v[40:41], v[32:33], v[134:135]
	v_add_f64 v[42:43], v[38:39], v[40:41]
	ds_read_b128 v[38:41], v128 offset:1120
	s_waitcnt vmcnt(34) lgkmcnt(1)
	v_mul_f64 v[44:45], v[34:35], v[214:215]
	s_waitcnt vmcnt(32)
	v_fmac_f64_e32 v[44:45], v[36:37], v[218:219]
	v_add_f64 v[46:47], v[42:43], v[44:45]
	ds_read_b128 v[42:45], v128 offset:1136
	s_waitcnt lgkmcnt(1)
	v_mul_f64 v[48:49], v[38:39], v[138:139]
	v_fmac_f64_e32 v[48:49], v[40:41], v[142:143]
	v_add_f64 v[50:51], v[46:47], v[48:49]
	ds_read_b128 v[46:49], v128 offset:1152
	s_waitcnt vmcnt(26) lgkmcnt(1)
	v_mul_f64 v[52:53], v[42:43], v[222:223]
	s_waitcnt vmcnt(24)
	v_fmac_f64_e32 v[52:53], v[44:45], v[162:163]
	v_add_f64 v[252:253], v[50:51], v[52:53]
	ds_read_b128 v[50:53], v128 offset:1168
	buffer_load_dword v175, off, s[0:3], 0 offset:572
	buffer_load_dword v174, off, s[0:3], 0 offset:568
	;; [unrolled: 1-line block ×20, first 2 shown]
	s_waitcnt lgkmcnt(1)
	v_mul_f64 v[254:255], v[46:47], v[146:147]
	v_fma_f64 v[6:7], v[110:111], v[58:59], -v[60:61]
	v_fma_f64 v[110:111], v[176:177], v[246:247], -v[54:55]
	v_mul_f64 v[54:55], v[182:183], v[68:69]
	v_mul_f64 v[4:5], v[116:117], v[62:63]
	v_fma_f64 v[112:113], v[180:181], v[244:245], -v[54:55]
	v_fmac_f64_e32 v[254:255], v[48:49], v[150:151]
	v_mul_f64 v[54:55], v[186:187], v[64:65]
	s_waitcnt vmcnt(38) lgkmcnt(0)
	v_mul_f64 v[60:61], v[50:51], v[164:165]
	v_fma_f64 v[4:5], v[114:115], v[56:57], -v[4:5]
	buffer_load_dword v178, off, s[0:3], 0 offset:648
	buffer_load_dword v244, off, s[0:3], 0 offset:640
	;; [unrolled: 1-line block ×12, first 2 shown]
	v_add_f64 v[58:59], v[252:253], v[254:255]
	v_fma_f64 v[184:185], v[184:185], v[66:67], -v[54:55]
	buffer_load_dword v253, off, s[0:3], 0 offset:700
	buffer_load_dword v252, off, s[0:3], 0 offset:696
	;; [unrolled: 1-line block ×4, first 2 shown]
	ds_read_b128 v[54:57], v128 offset:1184
	s_waitcnt vmcnt(52)
	v_fmac_f64_e32 v[60:61], v[52:53], v[166:167]
	v_add_f64 v[62:63], v[58:59], v[60:61]
	v_mul_f64 v[58:59], v[190:191], v[74:75]
	v_fma_f64 v[190:191], v[188:189], v[94:95], -v[58:59]
	ds_read_b128 v[58:61], v128 offset:1200
	s_waitcnt lgkmcnt(1)
	v_mul_f64 v[64:65], v[54:55], v[208:209]
	v_fmac_f64_e32 v[64:65], v[56:57], v[154:155]
	v_add_f64 v[74:75], v[62:63], v[64:65]
	ds_read_b128 v[62:65], v128 offset:1216
	v_mul_f64 v[66:67], v[194:195], v[70:71]
	s_waitcnt vmcnt(46) lgkmcnt(1)
	v_mul_f64 v[70:71], v[58:59], v[224:225]
	v_fma_f64 v[192:193], v[192:193], v[72:73], -v[66:67]
	ds_read_b128 v[66:69], v128 offset:1232
	s_waitcnt vmcnt(44)
	v_fmac_f64_e32 v[70:71], v[60:61], v[168:169]
	v_add_f64 v[74:75], v[74:75], v[70:71]
	v_mul_f64 v[70:71], v[202:203], v[76:77]
	v_fma_f64 v[194:195], v[200:201], v[88:89], -v[70:71]
	ds_read_b128 v[70:73], v128 offset:1248
	ds_read_b128 v[78:81], v128 offset:1280
	s_waitcnt lgkmcnt(3)
	v_mul_f64 v[94:95], v[62:63], v[156:157]
	v_fmac_f64_e32 v[94:95], v[64:65], v[160:161]
	s_waitcnt vmcnt(38) lgkmcnt(2)
	v_mul_f64 v[76:77], v[66:67], v[170:171]
	v_add_f64 v[74:75], v[74:75], v[94:95]
	s_waitcnt vmcnt(36)
	v_fmac_f64_e32 v[76:77], v[68:69], v[172:173]
	v_add_f64 v[74:75], v[74:75], v[76:77]
	s_waitcnt lgkmcnt(1)
	v_mul_f64 v[76:77], v[70:71], v[216:217]
	v_fmac_f64_e32 v[76:77], v[72:73], v[220:221]
	v_add_f64 v[88:89], v[74:75], v[76:77]
	ds_read_b128 v[74:77], v128 offset:1264
	ds_read_b128 v[82:85], v128 offset:1296
	v_mul_f64 v[92:93], v[92:93], v[96:97]
	v_fma_f64 v[2:3], v[90:91], v[102:103], -v[92:93]
	v_add_f64 v[6:7], v[6:7], 0
	v_add_f64 v[4:5], v[6:7], v[4:5]
	ds_read_b128 v[200:203], v128 offset:1344
	v_add_f64 v[4:5], v[4:5], v[110:111]
	v_add_f64 v[4:5], v[4:5], v[112:113]
	;; [unrolled: 1-line block ×8, first 2 shown]
	v_accvgpr_read_b32 v6, a138
	v_accvgpr_read_b32 v7, a139
	ds_read_b128 v[90:93], v128 offset:1328
	s_waitcnt vmcnt(25) lgkmcnt(2)
	v_mul_f64 v[8:9], v[82:83], v[234:235]
	s_waitcnt vmcnt(23)
	v_fmac_f64_e32 v[8:9], v[84:85], v[240:241]
	v_mul_f64 v[94:95], v[74:75], v[174:175]
	v_fmac_f64_e32 v[94:95], v[76:77], v[226:227]
	v_mul_f64 v[0:1], v[78:79], v[230:231]
	v_add_f64 v[88:89], v[88:89], v[94:95]
	v_fmac_f64_e32 v[0:1], v[80:81], v[232:233]
	v_add_f64 v[0:1], v[88:89], v[0:1]
	ds_read_b128 v[86:89], v128 offset:1312
	v_add_f64 v[0:1], v[0:1], v[8:9]
	v_mul_f64 v[94:95], v[120:121], v[108:109]
	v_fma_f64 v[120:121], v[118:119], v[198:199], -v[94:95]
	ds_read_b128 v[94:97], v128 offset:1360
	s_waitcnt vmcnt(22) lgkmcnt(1)
	v_mul_f64 v[8:9], v[86:87], v[228:229]
	s_waitcnt vmcnt(20)
	v_fmac_f64_e32 v[8:9], v[88:89], v[238:239]
	v_add_f64 v[0:1], v[0:1], v[8:9]
	s_waitcnt vmcnt(18)
	v_mul_f64 v[8:9], v[90:91], v[236:237]
	s_waitcnt vmcnt(16)
	v_fmac_f64_e32 v[8:9], v[92:93], v[242:243]
	v_add_f64 v[0:1], v[0:1], v[8:9]
	v_mul_f64 v[8:9], v[100:101], v[104:105]
	v_fma_f64 v[118:119], v[98:99], v[106:107], -v[8:9]
	ds_read_b128 v[102:105], v128 offset:1376
	ds_read_b128 v[106:109], v128 offset:1392
	buffer_load_dword v180, off, s[0:3], 0 offset:712
	buffer_load_dword v181, off, s[0:3], 0 offset:716
	buffer_load_dword v182, off, s[0:3], 0 offset:704
	buffer_load_dword v183, off, s[0:3], 0 offset:708
	ds_read_b128 v[98:101], v128 offset:1408
	buffer_load_dword v187, off, s[0:3], 0 offset:732
	buffer_load_dword v186, off, s[0:3], 0 offset:728
	buffer_load_dword v189, off, s[0:3], 0 offset:724
	buffer_load_dword v188, off, s[0:3], 0 offset:720
	;; [unrolled: 5-line block ×3, first 2 shown]
	v_add_f64 v[198:199], v[4:5], v[2:3]
	v_add_f64 v[2:3], v[198:199], v[120:121]
	v_mul_f64 v[4:5], v[132:133], v[136:137]
	v_add_f64 v[2:3], v[2:3], v[118:119]
	v_fma_f64 v[4:5], v[130:131], v[140:141], -v[4:5]
	v_add_f64 v[2:3], v[2:3], v[4:5]
	v_accvgpr_read_b32 v4, a136
	v_accvgpr_read_b32 v5, a137
	v_mul_f64 v[4:5], v[124:125], v[4:5]
	v_fma_f64 v[4:5], v[122:123], v[6:7], -v[4:5]
	v_add_f64 v[2:3], v[2:3], v[4:5]
	v_mul_f64 v[4:5], v[12:13], v[144:145]
	v_fma_f64 v[4:5], v[10:11], v[148:149], -v[4:5]
	v_add_f64 v[2:3], v[2:3], v[4:5]
	v_accvgpr_read_b32 v4, a140
	v_accvgpr_read_b32 v5, a141
	;; [unrolled: 1-line block ×3, first 2 shown]
	v_mul_f64 v[4:5], v[16:17], v[4:5]
	v_accvgpr_read_b32 v7, a143
	v_fma_f64 v[4:5], v[14:15], v[6:7], -v[4:5]
	v_add_f64 v[2:3], v[2:3], v[4:5]
	v_mul_f64 v[4:5], v[20:21], v[152:153]
	v_fma_f64 v[4:5], v[18:19], v[210:211], -v[4:5]
	v_add_f64 v[2:3], v[2:3], v[4:5]
	v_mul_f64 v[4:5], v[24:25], v[196:197]
	v_fma_f64 v[4:5], v[22:23], v[126:127], -v[4:5]
	v_add_f64 v[2:3], v[2:3], v[4:5]
	v_mul_f64 v[4:5], v[28:29], v[212:213]
	v_fma_f64 v[4:5], v[26:27], v[158:159], -v[4:5]
	v_add_f64 v[2:3], v[2:3], v[4:5]
	v_accvgpr_read_b32 v4, a144
	v_accvgpr_read_b32 v5, a145
	v_mul_f64 v[4:5], v[32:33], v[4:5]
	v_fma_f64 v[4:5], v[30:31], v[134:135], -v[4:5]
	v_add_f64 v[2:3], v[2:3], v[4:5]
	v_mul_f64 v[4:5], v[36:37], v[214:215]
	v_fma_f64 v[4:5], v[34:35], v[218:219], -v[4:5]
	v_add_f64 v[2:3], v[2:3], v[4:5]
	;; [unrolled: 3-line block ×15, first 2 shown]
	v_mul_f64 v[4:5], v[92:93], v[236:237]
	v_fma_f64 v[4:5], v[90:91], v[242:243], -v[4:5]
	s_waitcnt vmcnt(25)
	v_mul_f64 v[8:9], v[200:201], v[178:179]
	v_add_f64 v[2:3], v[2:3], v[4:5]
	v_mul_f64 v[4:5], v[202:203], v[178:179]
	s_waitcnt vmcnt(24)
	v_fmac_f64_e32 v[8:9], v[202:203], v[244:245]
	v_fma_f64 v[4:5], v[200:201], v[244:245], -v[4:5]
	v_add_f64 v[0:1], v[0:1], v[8:9]
	s_waitcnt vmcnt(21) lgkmcnt(4)
	v_mul_f64 v[8:9], v[94:95], v[248:249]
	v_add_f64 v[2:3], v[2:3], v[4:5]
	v_mul_f64 v[4:5], v[96:97], v[248:249]
	s_waitcnt vmcnt(19)
	v_fmac_f64_e32 v[8:9], v[96:97], v[250:251]
	v_fma_f64 v[4:5], v[94:95], v[250:251], -v[4:5]
	v_add_f64 v[0:1], v[0:1], v[8:9]
	s_waitcnt vmcnt(17) lgkmcnt(3)
	;; [unrolled: 8-line block ×5, first 2 shown]
	v_mul_f64 v[8:9], v[114:115], v[186:187]
	v_add_f64 v[2:3], v[2:3], v[4:5]
	v_mul_f64 v[4:5], v[116:117], v[186:187]
	s_waitcnt vmcnt(4)
	v_fmac_f64_e32 v[8:9], v[116:117], v[188:189]
	v_fma_f64 v[4:5], v[114:115], v[188:189], -v[4:5]
	v_add_f64 v[0:1], v[0:1], v[8:9]
	v_add_f64 v[2:3], v[2:3], v[4:5]
	s_waitcnt vmcnt(2)
	v_add_f64 v[2:3], v[192:193], -v[2:3]
	s_waitcnt vmcnt(0)
	v_add_f64 v[0:1], v[190:191], -v[0:1]
	buffer_store_dword v3, off, s[0:3], 0 offset:52
	buffer_store_dword v2, off, s[0:3], 0 offset:48
	;; [unrolled: 1-line block ×4, first 2 shown]
	v_accvgpr_read_b32 v0, a134
	v_cmp_lt_u32_e32 vcc, 1, v0
	s_and_saveexec_b64 s[4:5], vcc
	s_cbranch_execz .LBB44_281
; %bb.280:
	v_accvgpr_read_b32 v0, a133
	buffer_load_dword v2, v0, s[0:3], 0 offen
	buffer_load_dword v3, v0, s[0:3], 0 offen offset:4
	buffer_load_dword v4, v0, s[0:3], 0 offen offset:8
	buffer_load_dword v5, v0, s[0:3], 0 offen offset:12
	v_mov_b32_e32 v0, 0
	v_accvgpr_read_b32 v1, a135
	buffer_store_dword v0, off, s[0:3], 0 offset:32
	buffer_store_dword v0, off, s[0:3], 0 offset:36
	;; [unrolled: 1-line block ×4, first 2 shown]
	s_waitcnt vmcnt(4)
	ds_write_b128 v1, v[2:5]
.LBB44_281:
	s_or_b64 exec, exec, s[4:5]
	s_waitcnt lgkmcnt(0)
	; wave barrier
	s_waitcnt lgkmcnt(0)
	buffer_load_dword v50, off, s[0:3], 0 offset:48
	buffer_load_dword v51, off, s[0:3], 0 offset:52
	;; [unrolled: 1-line block ×54, first 2 shown]
	v_mov_b32_e32 v198, 0
	ds_read_b128 v[102:105], v198 offset:752
	ds_read_b128 v[106:109], v198 offset:768
	;; [unrolled: 1-line block ×9, first 2 shown]
	s_waitcnt vmcnt(46) lgkmcnt(7)
	v_mul_f64 v[2:3], v[106:107], v[58:59]
	v_fmac_f64_e32 v[2:3], v[108:109], v[52:53]
	s_waitcnt vmcnt(44) lgkmcnt(6)
	v_mul_f64 v[4:5], v[110:111], v[54:55]
	s_waitcnt vmcnt(42) lgkmcnt(4)
	v_mul_f64 v[8:9], v[160:161], v[62:63]
	s_waitcnt vmcnt(40)
	v_fmac_f64_e32 v[8:9], v[162:163], v[60:61]
	s_waitcnt vmcnt(38)
	v_mul_f64 v[6:7], v[164:165], v[64:65]
	s_waitcnt vmcnt(36) lgkmcnt(2)
	v_mul_f64 v[12:13], v[180:181], v[66:67]
	s_waitcnt vmcnt(34)
	v_fmac_f64_e32 v[12:13], v[182:183], v[70:71]
	s_waitcnt vmcnt(32)
	;; [unrolled: 6-line block ×3, first 2 shown]
	v_fmac_f64_e32 v[6:7], v[166:167], v[80:81]
	s_waitcnt vmcnt(24)
	v_fmac_f64_e32 v[10:11], v[178:179], v[78:79]
	s_waitcnt vmcnt(22)
	;; [unrolled: 2-line block ×3, first 2 shown]
	v_pk_mov_b32 v[16:17], v[0:1], v[0:1] op_sel:[0,1]
	v_mul_f64 v[0:1], v[102:103], v[56:57]
	v_fmac_f64_e32 v[0:1], v[104:105], v[50:51]
	v_add_f64 v[0:1], v[0:1], 0
	v_add_f64 v[0:1], v[0:1], v[2:3]
	;; [unrolled: 1-line block ×7, first 2 shown]
	buffer_load_dword v1, off, s[0:3], 0 offset:276
	buffer_load_dword v0, off, s[0:3], 0 offset:272
	v_add_f64 v[2:3], v[2:3], v[14:15]
	v_accvgpr_write_b32 a137, v17
	v_accvgpr_write_b32 a136, v16
	v_mul_f64 v[56:57], v[104:105], v[56:57]
	s_waitcnt vmcnt(0)
	v_pk_mov_b32 v[18:19], v[0:1], v[0:1] op_sel:[0,1]
	buffer_load_dword v133, off, s[0:3], 0 offset:268
	buffer_load_dword v132, off, s[0:3], 0 offset:264
	;; [unrolled: 1-line block ×6, first 2 shown]
	v_accvgpr_write_b32 a139, v19
	v_accvgpr_write_b32 a138, v18
	s_waitcnt vmcnt(0)
	v_pk_mov_b32 v[22:23], v[4:5], v[4:5] op_sel:[0,1]
	buffer_load_dword v5, off, s[0:3], 0 offset:308
	buffer_load_dword v4, off, s[0:3], 0 offset:304
	;; [unrolled: 1-line block ×54, first 2 shown]
	ds_read_b128 v[192:195], v198 offset:896
	ds_read_b128 v[200:203], v198 offset:912
	;; [unrolled: 1-line block ×7, first 2 shown]
	v_accvgpr_write_b32 a141, v23
	v_accvgpr_write_b32 a140, v22
	s_waitcnt lgkmcnt(2)
	v_mul_f64 v[8:9], v[114:115], v[132:133]
	v_fmac_f64_e32 v[8:9], v[116:117], v[0:1]
	s_waitcnt lgkmcnt(1)
	v_mul_f64 v[12:13], v[126:127], v[16:17]
	v_fmac_f64_e32 v[12:13], v[128:129], v[18:19]
	s_waitcnt vmcnt(52)
	v_pk_mov_b32 v[24:25], v[4:5], v[4:5] op_sel:[0,1]
	v_mul_f64 v[4:5], v[188:189], v[74:75]
	v_fmac_f64_e32 v[4:5], v[190:191], v[84:85]
	v_add_f64 v[2:3], v[2:3], v[4:5]
	v_mul_f64 v[4:5], v[192:193], v[90:91]
	v_fmac_f64_e32 v[4:5], v[194:195], v[92:93]
	v_add_f64 v[2:3], v[2:3], v[4:5]
	v_mul_f64 v[4:5], v[200:201], v[86:87]
	v_fmac_f64_e32 v[4:5], v[202:203], v[88:89]
	v_add_f64 v[2:3], v[2:3], v[4:5]
	v_mul_f64 v[4:5], v[204:205], v[98:99]
	v_fmac_f64_e32 v[4:5], v[206:207], v[100:101]
	v_add_f64 v[2:3], v[2:3], v[4:5]
	v_mul_f64 v[4:5], v[118:119], v[94:95]
	v_fmac_f64_e32 v[4:5], v[120:121], v[96:97]
	v_add_f64 v[6:7], v[2:3], v[4:5]
	v_add_f64 v[10:11], v[6:7], v[8:9]
	v_add_f64 v[14:15], v[10:11], v[12:13]
	ds_read_b128 v[10:13], v198 offset:1008
	s_waitcnt vmcnt(50) lgkmcnt(1)
	v_mul_f64 v[16:17], v[122:123], v[222:223]
	s_waitcnt vmcnt(48)
	v_fmac_f64_e32 v[16:17], v[124:125], v[226:227]
	v_add_f64 v[18:19], v[14:15], v[16:17]
	ds_read_b128 v[14:17], v198 offset:1024
	s_waitcnt lgkmcnt(1)
	v_mul_f64 v[20:21], v[10:11], v[22:23]
	v_fmac_f64_e32 v[20:21], v[12:13], v[24:25]
	v_add_f64 v[22:23], v[18:19], v[20:21]
	ds_read_b128 v[18:21], v198 offset:1040
	v_accvgpr_write_b32 a143, v25
	v_accvgpr_write_b32 a142, v24
	s_waitcnt vmcnt(42) lgkmcnt(1)
	v_mul_f64 v[24:25], v[14:15], v[230:231]
	s_waitcnt vmcnt(40)
	v_fmac_f64_e32 v[24:25], v[16:17], v[234:235]
	s_waitcnt lgkmcnt(0)
	v_mul_f64 v[28:29], v[18:19], v[210:211]
	v_add_f64 v[26:27], v[22:23], v[24:25]
	ds_read_b128 v[22:25], v198 offset:1056
	v_fmac_f64_e32 v[28:29], v[20:21], v[212:213]
	v_add_f64 v[30:31], v[26:27], v[28:29]
	ds_read_b128 v[26:29], v198 offset:1072
	v_fma_f64 v[6:7], v[102:103], v[50:51], -v[56:57]
	s_waitcnt vmcnt(34) lgkmcnt(1)
	v_mul_f64 v[32:33], v[22:23], v[238:239]
	s_waitcnt vmcnt(32)
	v_fmac_f64_e32 v[32:33], v[24:25], v[242:243]
	v_add_f64 v[34:35], v[30:31], v[32:33]
	s_waitcnt lgkmcnt(0)
	v_mul_f64 v[36:37], v[26:27], v[214:215]
	ds_read_b128 v[30:33], v198 offset:1088
	v_fmac_f64_e32 v[36:37], v[28:29], v[216:217]
	v_add_f64 v[38:39], v[34:35], v[36:37]
	ds_read_b128 v[34:37], v198 offset:1104
	v_mul_f64 v[50:51], v[108:109], v[58:59]
	s_waitcnt vmcnt(26) lgkmcnt(1)
	v_mul_f64 v[40:41], v[30:31], v[246:247]
	s_waitcnt vmcnt(24)
	v_fmac_f64_e32 v[40:41], v[32:33], v[248:249]
	v_add_f64 v[42:43], v[38:39], v[40:41]
	s_waitcnt lgkmcnt(0)
	v_mul_f64 v[44:45], v[34:35], v[218:219]
	v_fmac_f64_e32 v[44:45], v[36:37], v[220:221]
	ds_read_b128 v[38:41], v198 offset:1120
	v_add_f64 v[46:47], v[42:43], v[44:45]
	ds_read_b128 v[42:45], v198 offset:1136
	buffer_load_dword v9, off, s[0:3], 0 offset:540
	buffer_load_dword v135, off, s[0:3], 0 offset:524
	;; [unrolled: 1-line block ×8, first 2 shown]
	v_fma_f64 v[102:103], v[106:107], v[52:53], -v[50:51]
	s_waitcnt vmcnt(26) lgkmcnt(1)
	v_mul_f64 v[48:49], v[38:39], v[250:251]
	s_waitcnt vmcnt(24)
	v_fmac_f64_e32 v[48:49], v[40:41], v[252:253]
	v_add_f64 v[144:145], v[46:47], v[48:49]
	ds_read_b128 v[46:49], v198 offset:1152
	buffer_load_dword v141, off, s[0:3], 0 offset:556
	buffer_load_dword v140, off, s[0:3], 0 offset:552
	;; [unrolled: 1-line block ×4, first 2 shown]
	s_waitcnt lgkmcnt(1)
	v_mul_f64 v[146:147], v[42:43], v[224:225]
	v_fmac_f64_e32 v[146:147], v[44:45], v[228:229]
	v_add_f64 v[2:3], v[144:145], v[146:147]
	buffer_load_dword v145, off, s[0:3], 0 offset:572
	buffer_load_dword v144, off, s[0:3], 0 offset:568
	;; [unrolled: 1-line block ×12, first 2 shown]
	v_mul_f64 v[50:51], v[112:113], v[54:55]
	buffer_load_dword v157, off, s[0:3], 0 offset:620
	buffer_load_dword v156, off, s[0:3], 0 offset:616
	;; [unrolled: 1-line block ×4, first 2 shown]
	v_fma_f64 v[104:105], v[110:111], v[82:83], -v[50:51]
	v_mul_f64 v[50:51], v[166:167], v[64:65]
	v_fma_f64 v[106:107], v[164:165], v[80:81], -v[50:51]
	v_mul_f64 v[50:51], v[162:163], v[62:63]
	buffer_load_dword v163, off, s[0:3], 0 offset:636
	buffer_load_dword v162, off, s[0:3], 0 offset:632
	;; [unrolled: 1-line block ×4, first 2 shown]
	v_fma_f64 v[108:109], v[160:161], v[60:61], -v[50:51]
	buffer_load_dword v161, off, s[0:3], 0 offset:668
	buffer_load_dword v167, off, s[0:3], 0 offset:652
	;; [unrolled: 1-line block ×12, first 2 shown]
	ds_read_b128 v[50:53], v198 offset:1168
	v_mul_f64 v[54:55], v[178:179], v[76:77]
	v_fma_f64 v[178:179], v[176:177], v[78:79], -v[54:55]
	ds_read_b128 v[54:57], v198 offset:1184
	s_waitcnt vmcnt(54) lgkmcnt(2)
	v_mul_f64 v[58:59], v[46:47], v[254:255]
	s_waitcnt vmcnt(52)
	v_fmac_f64_e32 v[58:59], v[48:49], v[208:209]
	v_add_f64 v[2:3], v[2:3], v[58:59]
	s_waitcnt lgkmcnt(1)
	v_mul_f64 v[58:59], v[50:51], v[232:233]
	v_fmac_f64_e32 v[58:59], v[52:53], v[236:237]
	v_add_f64 v[2:3], v[2:3], v[58:59]
	s_waitcnt vmcnt(46) lgkmcnt(0)
	v_mul_f64 v[58:59], v[54:55], v[196:197]
	s_waitcnt vmcnt(44)
	v_fmac_f64_e32 v[58:59], v[56:57], v[130:131]
	v_add_f64 v[2:3], v[2:3], v[58:59]
	ds_read_b128 v[58:61], v198 offset:1200
	v_mul_f64 v[62:63], v[182:183], v[66:67]
	v_fma_f64 v[180:181], v[180:181], v[70:71], -v[62:63]
	ds_read_b128 v[62:65], v198 offset:1216
	v_mul_f64 v[66:67], v[186:187], v[68:69]
	v_fma_f64 v[184:185], v[184:185], v[72:73], -v[66:67]
	ds_read_b128 v[66:69], v198 offset:1232
	s_waitcnt lgkmcnt(2)
	v_mul_f64 v[70:71], v[58:59], v[240:241]
	v_fmac_f64_e32 v[70:71], v[60:61], v[244:245]
	v_add_f64 v[2:3], v[2:3], v[70:71]
	v_mul_f64 v[74:75], v[190:191], v[74:75]
	v_fma_f64 v[190:191], v[188:189], v[84:85], -v[74:75]
	ds_read_b128 v[74:77], v198 offset:1264
	v_mul_f64 v[78:79], v[194:195], v[90:91]
	v_fma_f64 v[192:193], v[192:193], v[92:93], -v[78:79]
	v_mul_f64 v[86:87], v[202:203], v[86:87]
	v_fma_f64 v[194:195], v[200:201], v[88:89], -v[86:87]
	;; [unrolled: 2-line block ×3, first 2 shown]
	buffer_load_dword v176, off, s[0:3], 0 offset:696
	v_add_f64 v[6:7], v[6:7], 0
	v_add_f64 v[6:7], v[6:7], v[102:103]
	;; [unrolled: 1-line block ×4, first 2 shown]
	ds_read_b128 v[78:81], v198 offset:1280
	v_add_f64 v[6:7], v[6:7], v[108:109]
	v_add_f64 v[6:7], v[6:7], v[178:179]
	;; [unrolled: 1-line block ×7, first 2 shown]
	v_accvgpr_read_b32 v102, a138
	v_accvgpr_read_b32 v103, a139
	ds_read_b128 v[86:89], v198 offset:1312
	ds_read_b128 v[94:97], v198 offset:1344
	s_waitcnt vmcnt(42) lgkmcnt(5)
	v_mul_f64 v[70:71], v[62:63], v[134:135]
	s_waitcnt vmcnt(40)
	v_fmac_f64_e32 v[70:71], v[64:65], v[138:139]
	v_add_f64 v[2:3], v[2:3], v[70:71]
	s_waitcnt vmcnt(39) lgkmcnt(4)
	v_mul_f64 v[70:71], v[66:67], v[8:9]
	s_waitcnt vmcnt(37)
	v_fmac_f64_e32 v[70:71], v[68:69], v[136:137]
	v_add_f64 v[2:3], v[2:3], v[70:71]
	ds_read_b128 v[70:73], v198 offset:1248
	s_waitcnt vmcnt(35) lgkmcnt(0)
	v_mul_f64 v[82:83], v[70:71], v[140:141]
	s_waitcnt vmcnt(33)
	v_fmac_f64_e32 v[82:83], v[72:73], v[142:143]
	v_add_f64 v[2:3], v[2:3], v[82:83]
	s_waitcnt vmcnt(31)
	v_mul_f64 v[82:83], v[74:75], v[144:145]
	s_waitcnt vmcnt(29)
	v_fmac_f64_e32 v[82:83], v[76:77], v[148:149]
	v_add_f64 v[2:3], v[2:3], v[82:83]
	s_waitcnt vmcnt(27)
	v_mul_f64 v[82:83], v[78:79], v[146:147]
	s_waitcnt vmcnt(25)
	v_fmac_f64_e32 v[82:83], v[80:81], v[150:151]
	v_add_f64 v[2:3], v[2:3], v[82:83]
	ds_read_b128 v[82:85], v198 offset:1296
	s_waitcnt vmcnt(10)
	v_mul_f64 v[112:113], v[94:95], v[166:167]
	s_waitcnt vmcnt(8)
	v_fmac_f64_e32 v[112:113], v[96:97], v[172:173]
	s_waitcnt lgkmcnt(0)
	v_mul_f64 v[90:91], v[82:83], v[152:153]
	v_fmac_f64_e32 v[90:91], v[84:85], v[154:155]
	v_add_f64 v[2:3], v[2:3], v[90:91]
	v_mul_f64 v[90:91], v[206:207], v[98:99]
	v_fma_f64 v[4:5], v[204:205], v[100:101], -v[90:91]
	ds_read_b128 v[90:93], v198 offset:1328
	v_mul_f64 v[98:99], v[86:87], v[156:157]
	v_fmac_f64_e32 v[98:99], v[88:89], v[158:159]
	v_add_f64 v[2:3], v[2:3], v[98:99]
	v_add_f64 v[4:5], v[6:7], v[4:5]
	s_waitcnt lgkmcnt(0)
	v_mul_f64 v[98:99], v[90:91], v[162:163]
	v_fmac_f64_e32 v[98:99], v[92:93], v[164:165]
	v_add_f64 v[110:111], v[2:3], v[98:99]
	v_mul_f64 v[2:3], v[116:117], v[132:133]
	v_fma_f64 v[0:1], v[114:115], v[0:1], -v[2:3]
	v_accvgpr_write_b32 a145, v1
	ds_read_b128 v[98:101], v198 offset:1360
	v_accvgpr_write_b32 a144, v0
	ds_read_b128 v[0:3], v198 offset:1376
	buffer_load_dword v120, off, s[0:3], 0 offset:688
	buffer_load_dword v177, off, s[0:3], 0 offset:700
	buffer_load_dword v121, off, s[0:3], 0 offset:692
	ds_read_b128 v[200:203], v198 offset:1392
	buffer_load_dword v133, off, s[0:3], 0 offset:716
	buffer_load_dword v132, off, s[0:3], 0 offset:712
	;; [unrolled: 1-line block ×4, first 2 shown]
	v_add_f64 v[110:111], v[110:111], v[112:113]
	s_waitcnt vmcnt(14) lgkmcnt(2)
	v_mul_f64 v[112:113], v[98:99], v[160:161]
	s_waitcnt vmcnt(12)
	v_fmac_f64_e32 v[112:113], v[100:101], v[170:171]
	v_add_f64 v[110:111], v[110:111], v[112:113]
	s_waitcnt vmcnt(10) lgkmcnt(1)
	v_mul_f64 v[112:113], v[0:1], v[168:169]
	s_waitcnt vmcnt(8)
	v_fmac_f64_e32 v[112:113], v[2:3], v[174:175]
	v_add_f64 v[110:111], v[110:111], v[112:113]
	v_accvgpr_read_b32 v6, a136
	v_add_f64 v[118:119], v[4:5], v[118:119]
	v_accvgpr_read_b32 v4, a144
	v_accvgpr_read_b32 v7, a137
	;; [unrolled: 1-line block ×3, first 2 shown]
	v_mul_f64 v[6:7], v[128:129], v[6:7]
	v_add_f64 v[4:5], v[118:119], v[4:5]
	v_fma_f64 v[6:7], v[126:127], v[102:103], -v[6:7]
	v_add_f64 v[4:5], v[4:5], v[6:7]
	v_mul_f64 v[6:7], v[124:125], v[222:223]
	v_fma_f64 v[6:7], v[122:123], v[226:227], -v[6:7]
	v_add_f64 v[4:5], v[4:5], v[6:7]
	v_accvgpr_read_b32 v6, a140
	v_accvgpr_read_b32 v7, a141
	v_mul_f64 v[6:7], v[12:13], v[6:7]
	v_accvgpr_read_b32 v12, a142
	v_accvgpr_read_b32 v13, a143
	v_fma_f64 v[6:7], v[10:11], v[12:13], -v[6:7]
	v_add_f64 v[4:5], v[4:5], v[6:7]
	v_mul_f64 v[6:7], v[16:17], v[230:231]
	v_fma_f64 v[6:7], v[14:15], v[234:235], -v[6:7]
	v_add_f64 v[4:5], v[4:5], v[6:7]
	v_mul_f64 v[6:7], v[20:21], v[210:211]
	;; [unrolled: 3-line block ×17, first 2 shown]
	v_fma_f64 v[6:7], v[78:79], v[150:151], -v[6:7]
	s_waitcnt vmcnt(5) lgkmcnt(0)
	v_mul_f64 v[112:113], v[200:201], v[176:177]
	s_waitcnt vmcnt(4)
	v_fmac_f64_e32 v[112:113], v[202:203], v[120:121]
	v_add_f64 v[114:115], v[110:111], v[112:113]
	ds_read_b128 v[110:113], v198 offset:1408
	buffer_load_dword v186, off, s[0:3], 0 offset:728
	buffer_load_dword v187, off, s[0:3], 0 offset:732
	;; [unrolled: 1-line block ×4, first 2 shown]
	v_add_f64 v[4:5], v[4:5], v[6:7]
	v_mul_f64 v[6:7], v[84:85], v[152:153]
	v_fma_f64 v[6:7], v[82:83], v[154:155], -v[6:7]
	s_waitcnt vmcnt(6) lgkmcnt(0)
	v_mul_f64 v[116:117], v[110:111], v[132:133]
	s_waitcnt vmcnt(4)
	v_fmac_f64_e32 v[116:117], v[112:113], v[182:183]
	v_add_f64 v[204:205], v[114:115], v[116:117]
	ds_read_b128 v[114:117], v198 offset:1424
	buffer_load_dword v192, off, s[0:3], 0 offset:32
	buffer_load_dword v193, off, s[0:3], 0 offset:36
	;; [unrolled: 1-line block ×4, first 2 shown]
	v_add_f64 v[4:5], v[4:5], v[6:7]
	v_mul_f64 v[6:7], v[88:89], v[156:157]
	v_fma_f64 v[6:7], v[86:87], v[158:159], -v[6:7]
	v_add_f64 v[4:5], v[4:5], v[6:7]
	v_mul_f64 v[6:7], v[92:93], v[162:163]
	v_fma_f64 v[6:7], v[90:91], v[164:165], -v[6:7]
	;; [unrolled: 3-line block ×4, first 2 shown]
	v_mul_f64 v[2:3], v[2:3], v[168:169]
	v_add_f64 v[4:5], v[4:5], v[6:7]
	v_fma_f64 v[0:1], v[0:1], v[174:175], -v[2:3]
	v_mul_f64 v[2:3], v[202:203], v[176:177]
	v_add_f64 v[0:1], v[4:5], v[0:1]
	v_fma_f64 v[2:3], v[200:201], v[120:121], -v[2:3]
	v_add_f64 v[0:1], v[0:1], v[2:3]
	v_mul_f64 v[2:3], v[112:113], v[132:133]
	v_fma_f64 v[2:3], v[110:111], v[182:183], -v[2:3]
	v_add_f64 v[0:1], v[0:1], v[2:3]
	s_waitcnt vmcnt(6) lgkmcnt(0)
	v_mul_f64 v[2:3], v[116:117], v[186:187]
	v_mul_f64 v[206:207], v[114:115], v[186:187]
	s_waitcnt vmcnt(4)
	v_fma_f64 v[2:3], v[114:115], v[188:189], -v[2:3]
	v_fmac_f64_e32 v[206:207], v[116:117], v[188:189]
	v_add_f64 v[0:1], v[0:1], v[2:3]
	v_add_f64 v[204:205], v[204:205], v[206:207]
	s_waitcnt vmcnt(2)
	v_add_f64 v[0:1], v[192:193], -v[0:1]
	s_waitcnt vmcnt(0)
	v_add_f64 v[2:3], v[190:191], -v[204:205]
	buffer_store_dword v1, off, s[0:3], 0 offset:36
	buffer_store_dword v0, off, s[0:3], 0 offset:32
	;; [unrolled: 1-line block ×4, first 2 shown]
	v_accvgpr_read_b32 v0, a134
	v_cmp_ne_u32_e32 vcc, 0, v0
	s_and_saveexec_b64 s[4:5], vcc
	s_cbranch_execz .LBB44_283
; %bb.282:
	buffer_load_dword v2, off, s[0:3], 0 offset:16
	buffer_load_dword v3, off, s[0:3], 0 offset:20
	;; [unrolled: 1-line block ×4, first 2 shown]
	v_accvgpr_read_b32 v0, a135
	buffer_store_dword v198, off, s[0:3], 0 offset:16
	buffer_store_dword v198, off, s[0:3], 0 offset:20
	;; [unrolled: 1-line block ×4, first 2 shown]
	s_waitcnt vmcnt(4)
	ds_write_b128 v0, v[2:5]
.LBB44_283:
	s_or_b64 exec, exec, s[4:5]
	s_waitcnt lgkmcnt(0)
	; wave barrier
	s_waitcnt lgkmcnt(0)
	buffer_load_dword v90, off, s[0:3], 0 offset:32
	buffer_load_dword v91, off, s[0:3], 0 offset:36
	;; [unrolled: 1-line block ×36, first 2 shown]
	ds_read_b128 v[80:83], v198 offset:736
	ds_read_b128 v[76:79], v198 offset:752
	;; [unrolled: 1-line block ×9, first 2 shown]
	buffer_load_dword v177, off, s[0:3], 0 offset:204
	buffer_load_dword v176, off, s[0:3], 0 offset:200
	;; [unrolled: 1-line block ×19, first 2 shown]
	s_and_b64 vcc, exec, s[20:21]
	s_waitcnt vmcnt(51) lgkmcnt(8)
	v_mul_f64 v[0:1], v[80:81], v[92:93]
	v_fmac_f64_e32 v[0:1], v[82:83], v[90:91]
	v_add_f64 v[0:1], v[0:1], 0
	v_mul_f64 v[82:83], v[82:83], v[92:93]
	s_waitcnt vmcnt(47) lgkmcnt(7)
	v_mul_f64 v[2:3], v[76:77], v[86:87]
	v_fmac_f64_e32 v[2:3], v[78:79], v[84:85]
	s_waitcnt vmcnt(45) lgkmcnt(6)
	v_mul_f64 v[4:5], v[72:73], v[88:89]
	v_add_f64 v[0:1], v[0:1], v[2:3]
	s_waitcnt vmcnt(43) lgkmcnt(4)
	v_mul_f64 v[8:9], v[68:69], v[94:95]
	v_mul_f64 v[78:79], v[78:79], v[86:87]
	s_waitcnt vmcnt(41)
	v_fmac_f64_e32 v[8:9], v[70:71], v[96:97]
	v_fma_f64 v[76:77], v[76:77], v[84:85], -v[78:79]
	s_waitcnt vmcnt(39)
	v_mul_f64 v[6:7], v[48:49], v[98:99]
	v_mul_f64 v[70:71], v[70:71], v[94:95]
	s_waitcnt vmcnt(37) lgkmcnt(2)
	v_mul_f64 v[12:13], v[52:53], v[104:105]
	s_waitcnt vmcnt(35)
	v_fmac_f64_e32 v[12:13], v[54:55], v[106:107]
	v_mul_f64 v[54:55], v[54:55], v[104:105]
	s_waitcnt vmcnt(33)
	v_mul_f64 v[10:11], v[56:57], v[110:111]
	s_waitcnt vmcnt(31) lgkmcnt(1)
	v_mul_f64 v[14:15], v[60:61], v[100:101]
	s_waitcnt vmcnt(29)
	v_fmac_f64_e32 v[4:5], v[74:75], v[150:151]
	v_add_f64 v[0:1], v[0:1], v[4:5]
	s_waitcnt vmcnt(27)
	v_fmac_f64_e32 v[6:7], v[50:51], v[114:115]
	v_add_f64 v[0:1], v[0:1], v[6:7]
	;; [unrolled: 3-line block ×3, first 2 shown]
	v_add_f64 v[0:1], v[0:1], v[10:11]
	v_add_f64 v[0:1], v[0:1], v[12:13]
	buffer_load_dword v186, off, s[0:3], 0 offset:256
	buffer_load_dword v13, off, s[0:3], 0 offset:252
	;; [unrolled: 1-line block ×7, first 2 shown]
	s_waitcnt vmcnt(30)
	v_fmac_f64_e32 v[14:15], v[62:63], v[108:109]
	v_add_f64 v[0:1], v[0:1], v[14:15]
	v_mul_f64 v[74:75], v[74:75], v[88:89]
	v_fma_f64 v[78:79], v[72:73], v[150:151], -v[74:75]
	v_mul_f64 v[50:51], v[50:51], v[98:99]
	v_mul_f64 v[58:59], v[58:59], v[110:111]
	v_fma_f64 v[88:89], v[56:57], v[112:113], -v[58:59]
	v_mul_f64 v[62:63], v[62:63], v[100:101]
	s_waitcnt vmcnt(0)
	v_pk_mov_b32 v[20:21], v[2:3], v[2:3] op_sel:[0,1]
	buffer_load_dword v3, off, s[0:3], 0 offset:292
	buffer_load_dword v2, off, s[0:3], 0 offset:288
	v_accvgpr_write_b32 a139, v21
	v_accvgpr_write_b32 a138, v20
	s_waitcnt vmcnt(0)
	v_pk_mov_b32 v[22:23], v[2:3], v[2:3] op_sel:[0,1]
	buffer_load_dword v3, off, s[0:3], 0 offset:284
	buffer_load_dword v2, off, s[0:3], 0 offset:280
	v_accvgpr_write_b32 a141, v23
	v_accvgpr_write_b32 a140, v22
	;; [unrolled: 6-line block ×5, first 2 shown]
	s_waitcnt vmcnt(0)
	v_pk_mov_b32 v[26:27], v[2:3], v[2:3] op_sel:[0,1]
	buffer_load_dword v231, off, s[0:3], 0 offset:316
	buffer_load_dword v230, off, s[0:3], 0 offset:312
	;; [unrolled: 1-line block ×6, first 2 shown]
	v_accvgpr_write_b32 a145, v27
	v_accvgpr_write_b32 a144, v26
	s_waitcnt vmcnt(0)
	v_pk_mov_b32 v[30:31], v[2:3], v[2:3] op_sel:[0,1]
	buffer_load_dword v3, off, s[0:3], 0 offset:356
	buffer_load_dword v2, off, s[0:3], 0 offset:352
	v_accvgpr_write_b32 a147, v31
	v_accvgpr_write_b32 a146, v30
	s_waitcnt vmcnt(0)
	v_pk_mov_b32 v[32:33], v[2:3], v[2:3] op_sel:[0,1]
	buffer_load_dword v239, off, s[0:3], 0 offset:348
	buffer_load_dword v238, off, s[0:3], 0 offset:344
	;; [unrolled: 1-line block ×6, first 2 shown]
	v_accvgpr_write_b32 a149, v33
	v_accvgpr_write_b32 a148, v32
	s_waitcnt vmcnt(0)
	v_pk_mov_b32 v[38:39], v[2:3], v[2:3] op_sel:[0,1]
	buffer_load_dword v3, off, s[0:3], 0 offset:388
	buffer_load_dword v2, off, s[0:3], 0 offset:384
	;; [unrolled: 1-line block ×30, first 2 shown]
	ds_read_b128 v[200:203], v198 offset:880
	ds_read_b128 v[204:207], v198 offset:896
	;; [unrolled: 1-line block ×8, first 2 shown]
	v_accvgpr_write_b32 a151, v39
	v_accvgpr_write_b32 a150, v38
	s_waitcnt lgkmcnt(7)
	v_mul_f64 v[72:73], v[202:203], v[180:181]
	s_waitcnt lgkmcnt(6)
	v_mul_f64 v[86:87], v[206:207], v[176:177]
	v_fma_f64 v[100:101], v[204:205], v[178:179], -v[86:87]
	s_waitcnt vmcnt(28)
	v_pk_mov_b32 v[40:41], v[2:3], v[2:3] op_sel:[0,1]
	v_mul_f64 v[2:3], v[64:65], v[102:103]
	v_fmac_f64_e32 v[2:3], v[66:67], v[174:175]
	v_add_f64 v[0:1], v[0:1], v[2:3]
	v_mul_f64 v[2:3], v[200:201], v[180:181]
	v_fmac_f64_e32 v[2:3], v[202:203], v[182:183]
	v_add_f64 v[0:1], v[0:1], v[2:3]
	;; [unrolled: 3-line block ×3, first 2 shown]
	ds_read_b128 v[0:3], v198 offset:928
	s_waitcnt lgkmcnt(6)
	v_mul_f64 v[6:7], v[116:117], v[192:193]
	v_fmac_f64_e32 v[6:7], v[118:119], v[194:195]
	v_add_f64 v[8:9], v[4:5], v[6:7]
	ds_read_b128 v[4:7], v198 offset:944
	s_waitcnt lgkmcnt(1)
	v_mul_f64 v[10:11], v[0:1], v[188:189]
	v_fmac_f64_e32 v[10:11], v[2:3], v[190:191]
	v_add_f64 v[14:15], v[8:9], v[10:11]
	;; [unrolled: 5-line block ×3, first 2 shown]
	v_accvgpr_write_b32 a153, v41
	s_waitcnt lgkmcnt(0)
	v_mul_f64 v[16:17], v[8:9], v[184:185]
	v_fmac_f64_e32 v[16:17], v[10:11], v[186:187]
	v_add_f64 v[14:15], v[14:15], v[16:17]
	v_mul_f64 v[16:17], v[216:217], v[28:29]
	v_fmac_f64_e32 v[16:17], v[218:219], v[34:35]
	v_add_f64 v[14:15], v[14:15], v[16:17]
	;; [unrolled: 3-line block ×3, first 2 shown]
	v_mul_f64 v[16:17], v[208:209], v[230:231]
	v_fmac_f64_e32 v[16:17], v[210:211], v[234:235]
	v_mul_f64 v[20:21], v[120:121], v[24:25]
	v_add_f64 v[14:15], v[14:15], v[16:17]
	v_fmac_f64_e32 v[20:21], v[122:123], v[26:27]
	v_add_f64 v[14:15], v[14:15], v[20:21]
	ds_read_b128 v[20:23], v198 offset:1056
	v_mul_f64 v[24:25], v[224:225], v[238:239]
	v_fmac_f64_e32 v[24:25], v[226:227], v[242:243]
	v_add_f64 v[14:15], v[14:15], v[24:25]
	ds_read_b128 v[24:27], v198 offset:1072
	s_waitcnt lgkmcnt(1)
	v_mul_f64 v[28:29], v[20:21], v[30:31]
	v_fmac_f64_e32 v[28:29], v[22:23], v[32:33]
	v_add_f64 v[14:15], v[14:15], v[28:29]
	ds_read_b128 v[28:31], v198 offset:1088
	s_waitcnt vmcnt(26) lgkmcnt(1)
	v_mul_f64 v[32:33], v[24:25], v[246:247]
	s_waitcnt vmcnt(24)
	v_fmac_f64_e32 v[32:33], v[26:27], v[248:249]
	v_add_f64 v[14:15], v[14:15], v[32:33]
	ds_read_b128 v[32:35], v198 offset:1104
	s_waitcnt lgkmcnt(1)
	v_mul_f64 v[36:37], v[28:29], v[38:39]
	v_fmac_f64_e32 v[36:37], v[30:31], v[40:41]
	v_add_f64 v[14:15], v[14:15], v[36:37]
	ds_read_b128 v[36:39], v198 offset:1120
	v_accvgpr_write_b32 a152, v40
	s_waitcnt vmcnt(18) lgkmcnt(1)
	v_mul_f64 v[40:41], v[32:33], v[250:251]
	s_waitcnt vmcnt(16)
	v_fmac_f64_e32 v[40:41], v[34:35], v[252:253]
	v_add_f64 v[14:15], v[14:15], v[40:41]
	ds_read_b128 v[40:43], v198 offset:1136
	s_waitcnt lgkmcnt(1)
	v_mul_f64 v[44:45], v[36:37], v[18:19]
	buffer_load_dword v125, off, s[0:3], 0 offset:508
	buffer_load_dword v124, off, s[0:3], 0 offset:504
	;; [unrolled: 1-line block ×4, first 2 shown]
	v_fmac_f64_e32 v[44:45], v[38:39], v[228:229]
	v_add_f64 v[130:131], v[14:15], v[44:45]
	ds_read_b128 v[44:47], v198 offset:1152
	buffer_load_dword v133, off, s[0:3], 0 offset:524
	buffer_load_dword v132, off, s[0:3], 0 offset:520
	;; [unrolled: 1-line block ×4, first 2 shown]
	s_waitcnt vmcnt(18) lgkmcnt(1)
	v_mul_f64 v[136:137], v[40:41], v[254:255]
	s_waitcnt vmcnt(16)
	v_fmac_f64_e32 v[136:137], v[42:43], v[222:223]
	v_add_f64 v[14:15], v[130:131], v[136:137]
	buffer_load_dword v131, off, s[0:3], 0 offset:556
	buffer_load_dword v139, off, s[0:3], 0 offset:540
	;; [unrolled: 1-line block ×28, first 2 shown]
	v_fma_f64 v[16:17], v[80:81], v[90:91], -v[82:83]
	v_fma_f64 v[80:81], v[48:49], v[114:115], -v[50:51]
	ds_read_b128 v[48:51], v198 offset:1168
	buffer_load_dword v165, off, s[0:3], 0 offset:652
	buffer_load_dword v164, off, s[0:3], 0 offset:648
	;; [unrolled: 1-line block ×12, first 2 shown]
	v_fma_f64 v[90:91], v[52:53], v[106:107], -v[54:55]
	ds_read_b128 v[52:55], v198 offset:1184
	s_waitcnt lgkmcnt(2)
	v_mul_f64 v[56:57], v[44:45], v[232:233]
	v_fmac_f64_e32 v[56:57], v[46:47], v[236:237]
	v_add_f64 v[14:15], v[14:15], v[56:57]
	s_waitcnt vmcnt(50) lgkmcnt(1)
	v_mul_f64 v[56:57], v[48:49], v[220:221]
	s_waitcnt vmcnt(48)
	v_fmac_f64_e32 v[56:57], v[50:51], v[196:197]
	v_fma_f64 v[82:83], v[68:69], v[96:97], -v[70:71]
	v_add_f64 v[14:15], v[14:15], v[56:57]
	v_fma_f64 v[96:97], v[60:61], v[108:109], -v[62:63]
	ds_read_b128 v[60:63], v198 offset:1216
	s_waitcnt lgkmcnt(1)
	v_mul_f64 v[56:57], v[52:53], v[240:241]
	v_fmac_f64_e32 v[56:57], v[54:55], v[244:245]
	v_add_f64 v[14:15], v[14:15], v[56:57]
	ds_read_b128 v[56:59], v198 offset:1200
	v_mul_f64 v[66:67], v[66:67], v[102:103]
	v_fma_f64 v[98:99], v[64:65], v[174:175], -v[66:67]
	ds_read_b128 v[64:67], v198 offset:1232
	v_fma_f64 v[182:183], v[200:201], v[182:183], -v[72:73]
	ds_read_b128 v[200:203], v198 offset:1280
	ds_read_b128 v[204:207], v198 offset:1296
	v_mul_f64 v[2:3], v[2:3], v[188:189]
	v_mul_f64 v[6:7], v[6:7], v[12:13]
	;; [unrolled: 1-line block ×3, first 2 shown]
	ds_read_b128 v[72:75], v198 offset:1264
	s_waitcnt vmcnt(46) lgkmcnt(4)
	v_mul_f64 v[68:69], v[56:57], v[124:125]
	s_waitcnt vmcnt(44)
	v_fmac_f64_e32 v[68:69], v[58:59], v[128:129]
	v_add_f64 v[14:15], v[14:15], v[68:69]
	s_waitcnt vmcnt(42)
	v_mul_f64 v[68:69], v[60:61], v[132:133]
	s_waitcnt vmcnt(37) lgkmcnt(3)
	v_mul_f64 v[84:85], v[64:65], v[138:139]
	v_fmac_f64_e32 v[68:69], v[62:63], v[134:135]
	v_add_f64 v[14:15], v[14:15], v[68:69]
	ds_read_b128 v[68:71], v198 offset:1248
	s_waitcnt vmcnt(35)
	v_fmac_f64_e32 v[84:85], v[66:67], v[142:143]
	v_add_f64 v[14:15], v[14:15], v[84:85]
	s_waitcnt vmcnt(22) lgkmcnt(2)
	v_mul_f64 v[92:93], v[204:205], v[150:151]
	s_waitcnt vmcnt(20)
	v_fmac_f64_e32 v[92:93], v[206:207], v[152:153]
	s_waitcnt lgkmcnt(0)
	v_mul_f64 v[84:85], v[68:69], v[130:131]
	v_fmac_f64_e32 v[84:85], v[70:71], v[140:141]
	v_add_f64 v[14:15], v[14:15], v[84:85]
	v_mul_f64 v[84:85], v[72:73], v[146:147]
	v_fmac_f64_e32 v[84:85], v[74:75], v[148:149]
	v_add_f64 v[14:15], v[14:15], v[84:85]
	;; [unrolled: 3-line block ×3, first 2 shown]
	v_mul_f64 v[84:85], v[118:119], v[192:193]
	v_fma_f64 v[102:103], v[116:117], v[194:195], -v[84:85]
	ds_read_b128 v[84:87], v198 offset:1312
	v_fma_f64 v[116:117], v[0:1], v[190:191], -v[2:3]
	ds_read_b128 v[0:3], v198 offset:1328
	v_add_f64 v[14:15], v[14:15], v[92:93]
	v_fma_f64 v[192:193], v[4:5], v[126:127], -v[6:7]
	s_waitcnt vmcnt(18) lgkmcnt(1)
	v_mul_f64 v[92:93], v[84:85], v[154:155]
	s_waitcnt vmcnt(16)
	v_fmac_f64_e32 v[92:93], v[86:87], v[158:159]
	v_add_f64 v[14:15], v[14:15], v[92:93]
	s_waitcnt vmcnt(14) lgkmcnt(0)
	v_mul_f64 v[92:93], v[0:1], v[156:157]
	s_waitcnt vmcnt(12)
	v_fmac_f64_e32 v[92:93], v[2:3], v[160:161]
	v_add_f64 v[14:15], v[14:15], v[92:93]
	ds_read_b128 v[92:95], v198 offset:1344
	ds_read_b128 v[4:7], v198 offset:1360
	v_fma_f64 v[194:195], v[8:9], v[186:187], -v[10:11]
	ds_read_b128 v[10:13], v198 offset:1376
	buffer_load_dword v175, off, s[0:3], 0 offset:700
	buffer_load_dword v174, off, s[0:3], 0 offset:696
	;; [unrolled: 1-line block ×4, first 2 shown]
	s_waitcnt vmcnt(14) lgkmcnt(2)
	v_mul_f64 v[104:105], v[92:93], v[164:165]
	s_waitcnt vmcnt(12)
	v_fmac_f64_e32 v[104:105], v[94:95], v[166:167]
	v_add_f64 v[8:9], v[14:15], v[104:105]
	ds_read_b128 v[104:107], v198 offset:1392
	buffer_load_dword v178, off, s[0:3], 0 offset:712
	buffer_load_dword v179, off, s[0:3], 0 offset:716
	;; [unrolled: 1-line block ×4, first 2 shown]
	ds_read_b128 v[108:111], v198 offset:1408
	buffer_load_dword v185, off, s[0:3], 0 offset:732
	buffer_load_dword v184, off, s[0:3], 0 offset:728
	;; [unrolled: 1-line block ×4, first 2 shown]
	s_waitcnt vmcnt(17) lgkmcnt(3)
	v_mul_f64 v[14:15], v[4:5], v[170:171]
	s_waitcnt vmcnt(15)
	v_fmac_f64_e32 v[14:15], v[6:7], v[172:173]
	v_add_f64 v[8:9], v[8:9], v[14:15]
	s_waitcnt vmcnt(13) lgkmcnt(2)
	v_mul_f64 v[14:15], v[10:11], v[162:163]
	s_waitcnt vmcnt(12)
	v_fmac_f64_e32 v[14:15], v[12:13], v[168:169]
	ds_read_b128 v[112:115], v198 offset:1424
	v_add_f64 v[8:9], v[8:9], v[14:15]
	buffer_load_dword v190, off, s[0:3], 0 offset:16
	buffer_load_dword v191, off, s[0:3], 0 offset:20
	;; [unrolled: 1-line block ×4, first 2 shown]
	v_mul_f64 v[2:3], v[2:3], v[156:157]
	v_fma_f64 v[0:1], v[0:1], v[160:161], -v[2:3]
	v_mul_f64 v[2:3], v[94:95], v[164:165]
	v_fma_f64 v[2:3], v[92:93], v[166:167], -v[2:3]
	s_waitcnt vmcnt(14) lgkmcnt(2)
	v_mul_f64 v[14:15], v[104:105], v[174:175]
	s_waitcnt vmcnt(12)
	v_fmac_f64_e32 v[14:15], v[106:107], v[176:177]
	v_add_f64 v[8:9], v[8:9], v[14:15]
	s_waitcnt vmcnt(10) lgkmcnt(1)
	v_mul_f64 v[14:15], v[108:109], v[178:179]
	s_waitcnt vmcnt(8)
	v_fmac_f64_e32 v[14:15], v[110:111], v[180:181]
	v_add_f64 v[8:9], v[8:9], v[14:15]
	;; [unrolled: 5-line block ×3, first 2 shown]
	v_add_f64 v[14:15], v[16:17], 0
	v_add_f64 v[14:15], v[14:15], v[76:77]
	;; [unrolled: 1-line block ×12, first 2 shown]
	v_accvgpr_read_b32 v16, a134
	v_add_f64 v[116:117], v[14:15], v[116:117]
	v_accvgpr_read_b32 v17, a135
	v_accvgpr_read_b32 v76, a136
	v_add_f64 v[14:15], v[116:117], v[192:193]
	v_mul_f64 v[16:17], v[218:219], v[16:17]
	v_accvgpr_read_b32 v77, a137
	v_add_f64 v[14:15], v[14:15], v[194:195]
	v_fma_f64 v[16:17], v[216:217], v[76:77], -v[16:17]
	v_add_f64 v[14:15], v[14:15], v[16:17]
	v_accvgpr_read_b32 v16, a138
	v_accvgpr_read_b32 v17, a139
	v_accvgpr_read_b32 v76, a140
	v_mul_f64 v[16:17], v[214:215], v[16:17]
	v_accvgpr_read_b32 v77, a141
	v_fma_f64 v[16:17], v[212:213], v[76:77], -v[16:17]
	v_add_f64 v[14:15], v[14:15], v[16:17]
	v_mul_f64 v[16:17], v[210:211], v[230:231]
	v_fma_f64 v[16:17], v[208:209], v[234:235], -v[16:17]
	v_add_f64 v[14:15], v[14:15], v[16:17]
	v_accvgpr_read_b32 v16, a142
	v_accvgpr_read_b32 v17, a143
	;; [unrolled: 1-line block ×3, first 2 shown]
	v_mul_f64 v[16:17], v[122:123], v[16:17]
	v_accvgpr_read_b32 v77, a145
	v_fma_f64 v[16:17], v[120:121], v[76:77], -v[16:17]
	v_add_f64 v[14:15], v[14:15], v[16:17]
	v_mul_f64 v[16:17], v[226:227], v[238:239]
	v_fma_f64 v[16:17], v[224:225], v[242:243], -v[16:17]
	v_add_f64 v[14:15], v[14:15], v[16:17]
	v_accvgpr_read_b32 v16, a146
	v_accvgpr_read_b32 v17, a147
	v_mul_f64 v[16:17], v[22:23], v[16:17]
	v_accvgpr_read_b32 v22, a148
	v_accvgpr_read_b32 v23, a149
	v_fma_f64 v[16:17], v[20:21], v[22:23], -v[16:17]
	v_add_f64 v[14:15], v[14:15], v[16:17]
	v_mul_f64 v[16:17], v[26:27], v[246:247]
	v_fma_f64 v[16:17], v[24:25], v[248:249], -v[16:17]
	v_add_f64 v[14:15], v[14:15], v[16:17]
	v_accvgpr_read_b32 v16, a150
	v_accvgpr_read_b32 v17, a151
	;; [unrolled: 1-line block ×3, first 2 shown]
	v_mul_f64 v[16:17], v[30:31], v[16:17]
	v_accvgpr_read_b32 v21, a153
	v_fma_f64 v[16:17], v[28:29], v[20:21], -v[16:17]
	v_add_f64 v[14:15], v[14:15], v[16:17]
	v_mul_f64 v[16:17], v[34:35], v[250:251]
	v_fma_f64 v[16:17], v[32:33], v[252:253], -v[16:17]
	v_add_f64 v[14:15], v[14:15], v[16:17]
	v_mul_f64 v[16:17], v[38:39], v[18:19]
	;; [unrolled: 3-line block ×14, first 2 shown]
	v_fma_f64 v[16:17], v[84:85], v[158:159], -v[16:17]
	v_add_f64 v[14:15], v[14:15], v[16:17]
	v_add_f64 v[0:1], v[14:15], v[0:1]
	;; [unrolled: 1-line block ×3, first 2 shown]
	v_mul_f64 v[2:3], v[6:7], v[170:171]
	v_fma_f64 v[2:3], v[4:5], v[172:173], -v[2:3]
	v_add_f64 v[0:1], v[0:1], v[2:3]
	v_mul_f64 v[2:3], v[12:13], v[162:163]
	v_fma_f64 v[2:3], v[10:11], v[168:169], -v[2:3]
	v_add_f64 v[0:1], v[0:1], v[2:3]
	;; [unrolled: 3-line block ×5, first 2 shown]
	s_waitcnt vmcnt(2)
	v_add_f64 v[0:1], v[190:191], -v[0:1]
	s_waitcnt vmcnt(0)
	v_add_f64 v[2:3], v[188:189], -v[8:9]
	buffer_store_dword v1, off, s[0:3], 0 offset:20
	buffer_store_dword v0, off, s[0:3], 0 offset:16
	;; [unrolled: 1-line block ×4, first 2 shown]
	s_cbranch_vccz .LBB44_373
; %bb.284:
	v_pk_mov_b32 v[0:1], s[10:11], s[10:11] op_sel:[0,1]
	flat_load_dword v0, v[0:1] offset:172
	s_waitcnt vmcnt(0) lgkmcnt(0)
	v_add_u32_e32 v0, -1, v0
	v_cmp_ne_u32_e32 vcc, 43, v0
	s_and_saveexec_b64 s[4:5], vcc
	s_cbranch_execz .LBB44_286
; %bb.285:
	v_mov_b32_e32 v1, 16
	v_accvgpr_read_b32 v9, a91
	v_lshl_add_u32 v0, v0, 4, v1
	buffer_load_dword v1, v9, s[0:3], 0 offen offset:4
	buffer_load_dword v2, v9, s[0:3], 0 offen offset:8
	buffer_load_dword v3, v9, s[0:3], 0 offen offset:12
	buffer_load_dword v4, v0, s[0:3], 0 offen
	buffer_load_dword v5, v0, s[0:3], 0 offen offset:4
	buffer_load_dword v6, v0, s[0:3], 0 offen offset:8
	buffer_load_dword v7, v0, s[0:3], 0 offen offset:12
	buffer_load_dword v8, v9, s[0:3], 0 offen
	s_waitcnt vmcnt(4)
	buffer_store_dword v4, v9, s[0:3], 0 offen
	s_waitcnt vmcnt(4)
	buffer_store_dword v5, v9, s[0:3], 0 offen offset:4
	s_waitcnt vmcnt(4)
	buffer_store_dword v6, v9, s[0:3], 0 offen offset:8
	s_waitcnt vmcnt(4)
	buffer_store_dword v7, v9, s[0:3], 0 offen offset:12
	buffer_store_dword v3, v0, s[0:3], 0 offen offset:12
	buffer_store_dword v2, v0, s[0:3], 0 offen offset:8
	buffer_store_dword v1, v0, s[0:3], 0 offen offset:4
	s_waitcnt vmcnt(7)
	buffer_store_dword v8, v0, s[0:3], 0 offen
.LBB44_286:
	s_or_b64 exec, exec, s[4:5]
	v_pk_mov_b32 v[0:1], s[10:11], s[10:11] op_sel:[0,1]
	flat_load_dword v0, v[0:1] offset:168
	s_waitcnt vmcnt(0) lgkmcnt(0)
	v_add_u32_e32 v0, -1, v0
	v_cmp_ne_u32_e32 vcc, 42, v0
	s_and_saveexec_b64 s[4:5], vcc
	s_cbranch_execz .LBB44_288
; %bb.287:
	v_mov_b32_e32 v1, 16
	v_accvgpr_read_b32 v9, a92
	v_lshl_add_u32 v0, v0, 4, v1
	buffer_load_dword v1, v9, s[0:3], 0 offen offset:4
	buffer_load_dword v2, v9, s[0:3], 0 offen offset:8
	buffer_load_dword v3, v9, s[0:3], 0 offen offset:12
	buffer_load_dword v4, v0, s[0:3], 0 offen
	buffer_load_dword v5, v0, s[0:3], 0 offen offset:4
	buffer_load_dword v6, v0, s[0:3], 0 offen offset:8
	buffer_load_dword v7, v0, s[0:3], 0 offen offset:12
	buffer_load_dword v8, v9, s[0:3], 0 offen
	s_waitcnt vmcnt(4)
	buffer_store_dword v4, v9, s[0:3], 0 offen
	s_waitcnt vmcnt(4)
	buffer_store_dword v5, v9, s[0:3], 0 offen offset:4
	s_waitcnt vmcnt(4)
	buffer_store_dword v6, v9, s[0:3], 0 offen offset:8
	s_waitcnt vmcnt(4)
	buffer_store_dword v7, v9, s[0:3], 0 offen offset:12
	buffer_store_dword v3, v0, s[0:3], 0 offen offset:12
	buffer_store_dword v2, v0, s[0:3], 0 offen offset:8
	buffer_store_dword v1, v0, s[0:3], 0 offen offset:4
	s_waitcnt vmcnt(7)
	buffer_store_dword v8, v0, s[0:3], 0 offen
.LBB44_288:
	s_or_b64 exec, exec, s[4:5]
	;; [unrolled: 34-line block ×43, first 2 shown]
	v_pk_mov_b32 v[0:1], s[10:11], s[10:11] op_sel:[0,1]
	flat_load_dword v0, v[0:1]
	s_waitcnt vmcnt(0) lgkmcnt(0)
	v_add_u32_e32 v0, -1, v0
	v_cmp_ne_u32_e32 vcc, 0, v0
	s_and_saveexec_b64 s[4:5], vcc
	s_cbranch_execz .LBB44_372
; %bb.371:
	v_mov_b32_e32 v1, 16
	v_lshl_add_u32 v0, v0, 4, v1
	buffer_load_dword v1, v0, s[0:3], 0 offen
	buffer_load_dword v2, v0, s[0:3], 0 offen offset:4
	buffer_load_dword v3, v0, s[0:3], 0 offen offset:8
	;; [unrolled: 1-line block ×3, first 2 shown]
	buffer_load_dword v5, off, s[0:3], 0 offset:28
	buffer_load_dword v6, off, s[0:3], 0 offset:24
	buffer_load_dword v7, off, s[0:3], 0 offset:20
	buffer_load_dword v8, off, s[0:3], 0 offset:16
	s_waitcnt vmcnt(7)
	buffer_store_dword v1, off, s[0:3], 0 offset:16
	s_waitcnt vmcnt(7)
	buffer_store_dword v2, off, s[0:3], 0 offset:20
	;; [unrolled: 2-line block ×4, first 2 shown]
	s_waitcnt vmcnt(7)
	buffer_store_dword v5, v0, s[0:3], 0 offen offset:12
	s_waitcnt vmcnt(7)
	buffer_store_dword v6, v0, s[0:3], 0 offen offset:8
	;; [unrolled: 2-line block ×3, first 2 shown]
	s_waitcnt vmcnt(7)
	buffer_store_dword v8, v0, s[0:3], 0 offen
.LBB44_372:
	s_or_b64 exec, exec, s[4:5]
.LBB44_373:
	buffer_load_dword v0, off, s[0:3], 0 offset:16
	buffer_load_dword v1, off, s[0:3], 0 offset:20
	;; [unrolled: 1-line block ×4, first 2 shown]
	v_accvgpr_read_b32 v5, a1
	v_accvgpr_read_b32 v4, a0
	s_waitcnt vmcnt(0)
	global_store_dwordx4 v[4:5], v[0:3], off
	s_nop 0
	v_accvgpr_read_b32 v3, a133
	buffer_load_dword v0, v3, s[0:3], 0 offen
	buffer_load_dword v1, v3, s[0:3], 0 offen offset:4
	buffer_load_dword v2, v3, s[0:3], 0 offen offset:8
	s_nop 0
	buffer_load_dword v3, v3, s[0:3], 0 offen offset:12
	v_accvgpr_read_b32 v5, a3
	v_accvgpr_read_b32 v4, a2
	s_waitcnt vmcnt(0)
	global_store_dwordx4 v[4:5], v[0:3], off
	s_nop 0
	v_accvgpr_read_b32 v3, a132
	buffer_load_dword v0, v3, s[0:3], 0 offen
	buffer_load_dword v1, v3, s[0:3], 0 offen offset:4
	buffer_load_dword v2, v3, s[0:3], 0 offen offset:8
	s_nop 0
	buffer_load_dword v3, v3, s[0:3], 0 offen offset:12
	;; [unrolled: 11-line block ×3, first 2 shown]
	v_accvgpr_read_b32 v4, a6
	v_accvgpr_read_b32 v5, a7
	s_waitcnt vmcnt(0)
	global_store_dwordx4 v[4:5], v[0:3], off
	v_accvgpr_read_b32 v4, a130
	buffer_load_dword v0, v4, s[0:3], 0 offen
	buffer_load_dword v1, v4, s[0:3], 0 offen offset:4
	buffer_load_dword v2, v4, s[0:3], 0 offen offset:8
	buffer_load_dword v3, v4, s[0:3], 0 offen offset:12
	v_accvgpr_read_b32 v4, a10
	v_accvgpr_read_b32 v5, a11
	s_waitcnt vmcnt(0)
	global_store_dwordx4 v[4:5], v[0:3], off
	v_accvgpr_read_b32 v4, a129
	buffer_load_dword v0, v4, s[0:3], 0 offen
	buffer_load_dword v1, v4, s[0:3], 0 offen offset:4
	buffer_load_dword v2, v4, s[0:3], 0 offen offset:8
	buffer_load_dword v3, v4, s[0:3], 0 offen offset:12
	;; [unrolled: 9-line block ×41, first 2 shown]
	v_accvgpr_read_b32 v4, a50
	v_accvgpr_read_b32 v5, a51
	s_waitcnt vmcnt(0)
	global_store_dwordx4 v[4:5], v[0:3], off
	s_endpgm
	.section	.rodata,"a",@progbits
	.p2align	6, 0x0
	.amdhsa_kernel _ZN9rocsolver6v33100L18getri_kernel_smallILi45E19rocblas_complex_numIdEPS3_EEvT1_iilPiilS6_bb
		.amdhsa_group_segment_fixed_size 1448
		.amdhsa_private_segment_fixed_size 752
		.amdhsa_kernarg_size 60
		.amdhsa_user_sgpr_count 8
		.amdhsa_user_sgpr_private_segment_buffer 1
		.amdhsa_user_sgpr_dispatch_ptr 0
		.amdhsa_user_sgpr_queue_ptr 0
		.amdhsa_user_sgpr_kernarg_segment_ptr 1
		.amdhsa_user_sgpr_dispatch_id 0
		.amdhsa_user_sgpr_flat_scratch_init 1
		.amdhsa_user_sgpr_kernarg_preload_length 0
		.amdhsa_user_sgpr_kernarg_preload_offset 0
		.amdhsa_user_sgpr_private_segment_size 0
		.amdhsa_uses_dynamic_stack 0
		.amdhsa_system_sgpr_private_segment_wavefront_offset 1
		.amdhsa_system_sgpr_workgroup_id_x 1
		.amdhsa_system_sgpr_workgroup_id_y 0
		.amdhsa_system_sgpr_workgroup_id_z 0
		.amdhsa_system_sgpr_workgroup_info 0
		.amdhsa_system_vgpr_workitem_id 0
		.amdhsa_next_free_vgpr 410
		.amdhsa_next_free_sgpr 23
		.amdhsa_accum_offset 256
		.amdhsa_reserve_vcc 1
		.amdhsa_reserve_flat_scratch 1
		.amdhsa_float_round_mode_32 0
		.amdhsa_float_round_mode_16_64 0
		.amdhsa_float_denorm_mode_32 3
		.amdhsa_float_denorm_mode_16_64 3
		.amdhsa_dx10_clamp 1
		.amdhsa_ieee_mode 1
		.amdhsa_fp16_overflow 0
		.amdhsa_tg_split 0
		.amdhsa_exception_fp_ieee_invalid_op 0
		.amdhsa_exception_fp_denorm_src 0
		.amdhsa_exception_fp_ieee_div_zero 0
		.amdhsa_exception_fp_ieee_overflow 0
		.amdhsa_exception_fp_ieee_underflow 0
		.amdhsa_exception_fp_ieee_inexact 0
		.amdhsa_exception_int_div_zero 0
	.end_amdhsa_kernel
	.section	.text._ZN9rocsolver6v33100L18getri_kernel_smallILi45E19rocblas_complex_numIdEPS3_EEvT1_iilPiilS6_bb,"axG",@progbits,_ZN9rocsolver6v33100L18getri_kernel_smallILi45E19rocblas_complex_numIdEPS3_EEvT1_iilPiilS6_bb,comdat
.Lfunc_end44:
	.size	_ZN9rocsolver6v33100L18getri_kernel_smallILi45E19rocblas_complex_numIdEPS3_EEvT1_iilPiilS6_bb, .Lfunc_end44-_ZN9rocsolver6v33100L18getri_kernel_smallILi45E19rocblas_complex_numIdEPS3_EEvT1_iilPiilS6_bb
                                        ; -- End function
	.section	.AMDGPU.csdata,"",@progbits
; Kernel info:
; codeLenInByte = 130848
; NumSgprs: 29
; NumVgprs: 256
; NumAgprs: 154
; TotalNumVgprs: 410
; ScratchSize: 752
; MemoryBound: 0
; FloatMode: 240
; IeeeMode: 1
; LDSByteSize: 1448 bytes/workgroup (compile time only)
; SGPRBlocks: 3
; VGPRBlocks: 51
; NumSGPRsForWavesPerEU: 29
; NumVGPRsForWavesPerEU: 410
; AccumOffset: 256
; Occupancy: 1
; WaveLimiterHint : 1
; COMPUTE_PGM_RSRC2:SCRATCH_EN: 1
; COMPUTE_PGM_RSRC2:USER_SGPR: 8
; COMPUTE_PGM_RSRC2:TRAP_HANDLER: 0
; COMPUTE_PGM_RSRC2:TGID_X_EN: 1
; COMPUTE_PGM_RSRC2:TGID_Y_EN: 0
; COMPUTE_PGM_RSRC2:TGID_Z_EN: 0
; COMPUTE_PGM_RSRC2:TIDIG_COMP_CNT: 0
; COMPUTE_PGM_RSRC3_GFX90A:ACCUM_OFFSET: 63
; COMPUTE_PGM_RSRC3_GFX90A:TG_SPLIT: 0
	.section	.text._ZN9rocsolver6v33100L18getri_kernel_smallILi46E19rocblas_complex_numIdEPS3_EEvT1_iilPiilS6_bb,"axG",@progbits,_ZN9rocsolver6v33100L18getri_kernel_smallILi46E19rocblas_complex_numIdEPS3_EEvT1_iilPiilS6_bb,comdat
	.globl	_ZN9rocsolver6v33100L18getri_kernel_smallILi46E19rocblas_complex_numIdEPS3_EEvT1_iilPiilS6_bb ; -- Begin function _ZN9rocsolver6v33100L18getri_kernel_smallILi46E19rocblas_complex_numIdEPS3_EEvT1_iilPiilS6_bb
	.p2align	8
	.type	_ZN9rocsolver6v33100L18getri_kernel_smallILi46E19rocblas_complex_numIdEPS3_EEvT1_iilPiilS6_bb,@function
_ZN9rocsolver6v33100L18getri_kernel_smallILi46E19rocblas_complex_numIdEPS3_EEvT1_iilPiilS6_bb: ; @_ZN9rocsolver6v33100L18getri_kernel_smallILi46E19rocblas_complex_numIdEPS3_EEvT1_iilPiilS6_bb
; %bb.0:
	s_add_u32 flat_scratch_lo, s6, s9
	s_addc_u32 flat_scratch_hi, s7, 0
	s_add_u32 s0, s0, s9
	v_mov_b32_e32 v254, v0
	s_addc_u32 s1, s1, 0
	v_cmp_gt_u32_e32 vcc, 46, v254
	s_and_saveexec_b64 s[6:7], vcc
	s_cbranch_execz .LBB45_198
; %bb.1:
	s_load_dword s22, s[4:5], 0x38
	s_load_dwordx4 s[16:19], s[4:5], 0x10
	s_load_dwordx4 s[12:15], s[4:5], 0x28
                                        ; implicit-def: $sgpr10_sgpr11
	s_waitcnt lgkmcnt(0)
	s_bitcmp1_b32 s22, 8
	s_cselect_b64 s[20:21], -1, 0
	s_ashr_i32 s9, s8, 31
	s_bfe_u32 s6, s22, 0x10008
	s_cmp_eq_u32 s6, 0
	s_cbranch_scc1 .LBB45_3
; %bb.2:
	s_load_dword s6, s[4:5], 0x20
	s_mul_i32 s7, s8, s13
	s_mul_hi_u32 s10, s8, s12
	s_mul_i32 s11, s9, s12
	s_add_i32 s10, s10, s7
	s_add_i32 s11, s10, s11
	s_mul_i32 s10, s8, s12
	s_waitcnt lgkmcnt(0)
	s_ashr_i32 s7, s6, 31
	s_lshl_b64 s[10:11], s[10:11], 2
	s_add_u32 s10, s18, s10
	s_addc_u32 s11, s19, s11
	s_lshl_b64 s[6:7], s[6:7], 2
	s_add_u32 s10, s10, s6
	s_addc_u32 s11, s11, s7
.LBB45_3:
	s_load_dwordx4 s[4:7], s[4:5], 0x0
	s_mul_i32 s12, s8, s17
	s_mul_hi_u32 s13, s8, s16
	s_add_i32 s17, s13, s12
	v_lshlrev_b32_e32 v1, 4, v254
	s_waitcnt lgkmcnt(0)
	s_ashr_i32 s13, s6, 31
	s_mov_b32 s12, s6
	s_mul_i32 s6, s9, s16
	s_add_i32 s17, s17, s6
	s_mul_i32 s16, s8, s16
	s_lshl_b64 s[16:17], s[16:17], 4
	s_add_u32 s6, s4, s16
	s_addc_u32 s16, s5, s17
	s_lshl_b64 s[4:5], s[12:13], 4
	s_add_u32 s4, s6, s4
	s_addc_u32 s5, s16, s5
	s_add_i32 s6, s7, s7
	v_add_u32_e32 v6, s6, v254
	v_ashrrev_i32_e32 v7, 31, v6
	v_add_u32_e32 v2, s7, v6
	v_lshlrev_b64 v[6:7], 4, v[6:7]
	v_mov_b32_e32 v0, s5
	v_add_co_u32_e32 v10, vcc, s4, v6
	v_addc_co_u32_e32 v11, vcc, v0, v7, vcc
	v_add_co_u32_e32 v8, vcc, s4, v1
	s_mov_b32 s12, s7
	s_ashr_i32 s13, s7, 31
	global_load_dwordx4 v[54:57], v1, s[4:5]
	v_addc_co_u32_e32 v9, vcc, 0, v0, vcc
	s_lshl_b64 s[12:13], s[12:13], 4
	v_mov_b32_e32 v0, s13
	v_add_co_u32_e32 v6, vcc, s12, v8
	v_addc_co_u32_e32 v7, vcc, v9, v0, vcc
	v_accvgpr_write_b32 a75, v9
	v_accvgpr_write_b32 a69, v7
	;; [unrolled: 1-line block ×4, first 2 shown]
	global_load_dwordx4 v[6:9], v[6:7], off
	v_ashrrev_i32_e32 v3, 31, v2
	global_load_dwordx4 v[58:61], v[10:11], off
	v_add_u32_e32 v4, s7, v2
	v_accvgpr_write_b32 a43, v11
	v_lshlrev_b64 v[2:3], 4, v[2:3]
	v_accvgpr_write_b32 a42, v10
	v_mov_b32_e32 v0, s5
	v_add_co_u32_e32 v10, vcc, s4, v2
	v_addc_co_u32_e32 v11, vcc, v0, v3, vcc
	v_ashrrev_i32_e32 v5, 31, v4
	global_load_dwordx4 v[62:65], v[10:11], off
	v_lshlrev_b64 v[2:3], 4, v[4:5]
	v_add_co_u32_e32 v2, vcc, s4, v2
	v_accvgpr_write_b32 a55, v11
	v_addc_co_u32_e32 v3, vcc, v0, v3, vcc
	v_accvgpr_write_b32 a54, v10
	global_load_dwordx4 v[10:13], v[2:3], off
	v_add_u32_e32 v66, s7, v4
	v_add_u32_e32 v68, s7, v66
	;; [unrolled: 1-line block ×39, first 2 shown]
	v_accvgpr_write_b32 a49, v3
	v_add_u32_e32 v14, s7, v16
	v_accvgpr_write_b32 a48, v2
	v_add_u32_e32 v2, s7, v14
	v_ashrrev_i32_e32 v3, 31, v2
	v_lshlrev_b64 v[2:3], 4, v[2:3]
	v_add_co_u32_e32 v2, vcc, s4, v2
	v_addc_co_u32_e32 v3, vcc, v0, v3, vcc
	v_accvgpr_write_b32 a0, v2
	v_ashrrev_i32_e32 v67, 31, v66
	v_accvgpr_write_b32 a1, v3
	global_load_dwordx4 v[2:5], v[2:3], off
	s_waitcnt vmcnt(5)
	buffer_store_dword v57, off, s[0:3], 0 offset:28
	buffer_store_dword v56, off, s[0:3], 0 offset:24
	buffer_store_dword v55, off, s[0:3], 0 offset:20
	buffer_store_dword v54, off, s[0:3], 0 offset:16
	s_waitcnt vmcnt(8)
	buffer_store_dword v9, off, s[0:3], 0 offset:44
	buffer_store_dword v8, off, s[0:3], 0 offset:40
	buffer_store_dword v7, off, s[0:3], 0 offset:36
	buffer_store_dword v6, off, s[0:3], 0 offset:32
	;; [unrolled: 5-line block ×4, first 2 shown]
	s_waitcnt vmcnt(17)
	buffer_store_dword v13, off, s[0:3], 0 offset:92
	v_lshlrev_b64 v[6:7], 4, v[66:67]
	v_add_co_u32_e32 v8, vcc, s4, v6
	v_addc_co_u32_e32 v9, vcc, v0, v7, vcc
	v_ashrrev_i32_e32 v69, 31, v68
	global_load_dwordx4 v[54:57], v[8:9], off
	v_lshlrev_b64 v[6:7], 4, v[68:69]
	v_add_co_u32_e32 v6, vcc, s4, v6
	v_addc_co_u32_e32 v7, vcc, v0, v7, vcc
	global_load_dwordx4 v[58:61], v[6:7], off
	v_accvgpr_write_b32 a87, v7
	v_ashrrev_i32_e32 v71, 31, v70
	v_accvgpr_write_b32 a91, v9
	v_accvgpr_write_b32 a86, v6
	v_lshlrev_b64 v[6:7], 4, v[70:71]
	v_accvgpr_write_b32 a90, v8
	v_add_co_u32_e32 v8, vcc, s4, v6
	v_addc_co_u32_e32 v9, vcc, v0, v7, vcc
	v_ashrrev_i32_e32 v73, 31, v72
	global_load_dwordx4 v[62:65], v[8:9], off
	v_lshlrev_b64 v[6:7], 4, v[72:73]
	v_add_co_u32_e32 v6, vcc, s4, v6
	v_addc_co_u32_e32 v7, vcc, v0, v7, vcc
	global_load_dwordx4 v[66:69], v[6:7], off
	v_accvgpr_write_b32 a83, v7
	v_ashrrev_i32_e32 v75, 31, v74
	v_accvgpr_write_b32 a89, v9
	v_accvgpr_write_b32 a82, v6
	v_lshlrev_b64 v[6:7], 4, v[74:75]
	v_accvgpr_write_b32 a88, v8
	;; [unrolled: 14-line block ×3, first 2 shown]
	v_add_co_u32_e32 v8, vcc, s4, v6
	v_addc_co_u32_e32 v9, vcc, v0, v7, vcc
	v_ashrrev_i32_e32 v81, 31, v80
	v_lshlrev_b64 v[6:7], 4, v[80:81]
	global_load_dwordx4 v[78:81], v[8:9], off
	v_add_co_u32_e32 v6, vcc, s4, v6
	v_addc_co_u32_e32 v7, vcc, v0, v7, vcc
	global_load_dwordx4 v[82:85], v[6:7], off
	v_accvgpr_write_b32 a65, v7
	v_ashrrev_i32_e32 v87, 31, v86
	v_accvgpr_write_b32 a79, v9
	v_accvgpr_write_b32 a64, v6
	v_lshlrev_b64 v[6:7], 4, v[86:87]
	v_accvgpr_write_b32 a78, v8
	v_add_co_u32_e32 v8, vcc, s4, v6
	v_addc_co_u32_e32 v9, vcc, v0, v7, vcc
	v_ashrrev_i32_e32 v89, 31, v88
	v_lshlrev_b64 v[6:7], 4, v[88:89]
	global_load_dwordx4 v[86:89], v[8:9], off
	v_add_co_u32_e32 v6, vcc, s4, v6
	v_addc_co_u32_e32 v7, vcc, v0, v7, vcc
	global_load_dwordx4 v[90:93], v[6:7], off
	v_accvgpr_write_b32 a57, v7
	v_ashrrev_i32_e32 v95, 31, v94
	v_accvgpr_write_b32 a67, v9
	v_accvgpr_write_b32 a56, v6
	v_lshlrev_b64 v[6:7], 4, v[94:95]
	v_accvgpr_write_b32 a66, v8
	;; [unrolled: 14-line block ×6, first 2 shown]
	v_add_co_u32_e32 v8, vcc, s4, v6
	v_addc_co_u32_e32 v9, vcc, v0, v7, vcc
	v_ashrrev_i32_e32 v129, 31, v128
	v_lshlrev_b64 v[6:7], 4, v[128:129]
	global_load_dwordx4 v[126:129], v[8:9], off
	v_add_co_u32_e32 v6, vcc, s4, v6
	v_addc_co_u32_e32 v7, vcc, v0, v7, vcc
	v_accvgpr_write_b32 a21, v9
	v_accvgpr_write_b32 a13, v7
	;; [unrolled: 1-line block ×4, first 2 shown]
	global_load_dwordx4 v[6:9], v[6:7], off
	v_ashrrev_i32_e32 v53, 31, v52
	buffer_store_dword v12, off, s[0:3], 0 offset:88
	buffer_store_dword v11, off, s[0:3], 0 offset:84
	buffer_store_dword v10, off, s[0:3], 0 offset:80
	s_waitcnt vmcnt(22)
	buffer_store_dword v57, off, s[0:3], 0 offset:108
	buffer_store_dword v56, off, s[0:3], 0 offset:104
	buffer_store_dword v55, off, s[0:3], 0 offset:100
	buffer_store_dword v54, off, s[0:3], 0 offset:96
	s_waitcnt vmcnt(25)
	buffer_store_dword v61, off, s[0:3], 0 offset:124
	buffer_store_dword v60, off, s[0:3], 0 offset:120
	buffer_store_dword v59, off, s[0:3], 0 offset:116
	buffer_store_dword v58, off, s[0:3], 0 offset:112
	s_waitcnt vmcnt(28)
	buffer_store_dword v65, off, s[0:3], 0 offset:140
	buffer_store_dword v64, off, s[0:3], 0 offset:136
	buffer_store_dword v63, off, s[0:3], 0 offset:132
	buffer_store_dword v62, off, s[0:3], 0 offset:128
	s_waitcnt vmcnt(31)
	buffer_store_dword v69, off, s[0:3], 0 offset:156
	buffer_store_dword v68, off, s[0:3], 0 offset:152
	buffer_store_dword v67, off, s[0:3], 0 offset:148
	buffer_store_dword v66, off, s[0:3], 0 offset:144
	s_waitcnt vmcnt(34)
	buffer_store_dword v70, off, s[0:3], 0 offset:160
	buffer_store_dword v71, off, s[0:3], 0 offset:164
	buffer_store_dword v72, off, s[0:3], 0 offset:168
	buffer_store_dword v73, off, s[0:3], 0 offset:172
	s_waitcnt vmcnt(37)
	buffer_store_dword v74, off, s[0:3], 0 offset:176
	buffer_store_dword v75, off, s[0:3], 0 offset:180
	buffer_store_dword v76, off, s[0:3], 0 offset:184
	buffer_store_dword v77, off, s[0:3], 0 offset:188
	s_waitcnt vmcnt(40)
	buffer_store_dword v78, off, s[0:3], 0 offset:192
	buffer_store_dword v79, off, s[0:3], 0 offset:196
	buffer_store_dword v80, off, s[0:3], 0 offset:200
	buffer_store_dword v81, off, s[0:3], 0 offset:204
	s_waitcnt vmcnt(43)
	buffer_store_dword v85, off, s[0:3], 0 offset:220
	buffer_store_dword v84, off, s[0:3], 0 offset:216
	buffer_store_dword v83, off, s[0:3], 0 offset:212
	buffer_store_dword v82, off, s[0:3], 0 offset:208
	s_waitcnt vmcnt(46)
	buffer_store_dword v89, off, s[0:3], 0 offset:236
	buffer_store_dword v88, off, s[0:3], 0 offset:232
	buffer_store_dword v87, off, s[0:3], 0 offset:228
	buffer_store_dword v86, off, s[0:3], 0 offset:224
	s_waitcnt vmcnt(49)
	buffer_store_dword v93, off, s[0:3], 0 offset:252
	buffer_store_dword v92, off, s[0:3], 0 offset:248
	buffer_store_dword v91, off, s[0:3], 0 offset:244
	buffer_store_dword v90, off, s[0:3], 0 offset:240
	s_waitcnt vmcnt(52)
	buffer_store_dword v97, off, s[0:3], 0 offset:268
	buffer_store_dword v96, off, s[0:3], 0 offset:264
	buffer_store_dword v95, off, s[0:3], 0 offset:260
	buffer_store_dword v94, off, s[0:3], 0 offset:256
	s_waitcnt vmcnt(55)
	buffer_store_dword v101, off, s[0:3], 0 offset:284
	buffer_store_dword v100, off, s[0:3], 0 offset:280
	buffer_store_dword v99, off, s[0:3], 0 offset:276
	buffer_store_dword v98, off, s[0:3], 0 offset:272
	s_waitcnt vmcnt(58)
	buffer_store_dword v105, off, s[0:3], 0 offset:300
	buffer_store_dword v104, off, s[0:3], 0 offset:296
	buffer_store_dword v103, off, s[0:3], 0 offset:292
	buffer_store_dword v102, off, s[0:3], 0 offset:288
	s_waitcnt vmcnt(61)
	buffer_store_dword v109, off, s[0:3], 0 offset:316
	buffer_store_dword v108, off, s[0:3], 0 offset:312
	buffer_store_dword v107, off, s[0:3], 0 offset:308
	buffer_store_dword v106, off, s[0:3], 0 offset:304
	s_waitcnt vmcnt(62)
	buffer_store_dword v113, off, s[0:3], 0 offset:332
	buffer_store_dword v112, off, s[0:3], 0 offset:328
	buffer_store_dword v111, off, s[0:3], 0 offset:324
	;; [unrolled: 1-line block ×11, first 2 shown]
	s_waitcnt vmcnt(62)
	buffer_store_dword v125, off, s[0:3], 0 offset:380
	buffer_store_dword v124, off, s[0:3], 0 offset:376
	;; [unrolled: 1-line block ×9, first 2 shown]
	v_lshlrev_b64 v[10:11], 4, v[52:53]
	v_add_co_u32_e32 v12, vcc, s4, v10
	v_ashrrev_i32_e32 v51, 31, v50
	v_addc_co_u32_e32 v13, vcc, v0, v11, vcc
	v_lshlrev_b64 v[10:11], 4, v[50:51]
	v_add_co_u32_e32 v50, vcc, s4, v10
	v_accvgpr_write_b32 a81, v13
	v_addc_co_u32_e32 v51, vcc, v0, v11, vcc
	v_accvgpr_write_b32 a80, v12
	global_load_dwordx4 v[10:13], v[12:13], off
	v_accvgpr_write_b32 a71, v51
	v_ashrrev_i32_e32 v49, 31, v48
	v_accvgpr_write_b32 a70, v50
	global_load_dwordx4 v[50:53], v[50:51], off
	v_lshlrev_b64 v[48:49], 4, v[48:49]
	v_add_co_u32_e32 v48, vcc, s4, v48
	v_ashrrev_i32_e32 v47, 31, v46
	v_addc_co_u32_e32 v49, vcc, v0, v49, vcc
	v_lshlrev_b64 v[46:47], 4, v[46:47]
	v_add_co_u32_e32 v54, vcc, s4, v46
	v_accvgpr_write_b32 a73, v49
	v_addc_co_u32_e32 v55, vcc, v0, v47, vcc
	v_accvgpr_write_b32 a72, v48
	global_load_dwordx4 v[46:49], v[48:49], off
	v_accvgpr_write_b32 a61, v55
	v_ashrrev_i32_e32 v45, 31, v44
	v_accvgpr_write_b32 a60, v54
	global_load_dwordx4 v[54:57], v[54:55], off
	;; [unrolled: 14-line block ×8, first 2 shown]
	v_lshlrev_b64 v[20:21], 4, v[20:21]
	v_add_co_u32_e32 v20, vcc, s4, v20
	v_ashrrev_i32_e32 v19, 31, v18
	v_addc_co_u32_e32 v21, vcc, v0, v21, vcc
	v_lshlrev_b64 v[18:19], 4, v[18:19]
	v_add_co_u32_e32 v82, vcc, s4, v18
	v_accvgpr_write_b32 a10, v20
	v_addc_co_u32_e32 v83, vcc, v0, v19, vcc
	v_accvgpr_write_b32 a11, v21
	global_load_dwordx4 v[18:21], v[20:21], off
	v_accvgpr_write_b32 a4, v82
	v_accvgpr_write_b32 a5, v83
	global_load_dwordx4 v[82:85], v[82:83], off
	v_ashrrev_i32_e32 v17, 31, v16
	v_lshlrev_b64 v[16:17], 4, v[16:17]
	v_add_co_u32_e32 v16, vcc, s4, v16
	v_addc_co_u32_e32 v17, vcc, v0, v17, vcc
	v_ashrrev_i32_e32 v15, 31, v14
	v_accvgpr_write_b32 a6, v16
	v_lshlrev_b64 v[86:87], 4, v[14:15]
	v_accvgpr_write_b32 a7, v17
	global_load_dwordx4 v[14:17], v[16:17], off
	v_add_co_u32_e32 v86, vcc, s4, v86
	v_addc_co_u32_e32 v87, vcc, v0, v87, vcc
	v_accvgpr_write_b32 a2, v86
	v_accvgpr_write_b32 a3, v87
	global_load_dwordx4 v[86:89], v[86:87], off
	v_mov_b32_e32 v0, 16
	buffer_store_dword v8, off, s[0:3], 0 offset:408
	buffer_store_dword v7, off, s[0:3], 0 offset:404
	buffer_store_dword v6, off, s[0:3], 0 offset:400
	s_waitcnt vmcnt(22)
	buffer_store_dword v13, off, s[0:3], 0 offset:428
	buffer_store_dword v12, off, s[0:3], 0 offset:424
	buffer_store_dword v11, off, s[0:3], 0 offset:420
	buffer_store_dword v10, off, s[0:3], 0 offset:416
	s_waitcnt vmcnt(25)
	buffer_store_dword v53, off, s[0:3], 0 offset:444
	buffer_store_dword v52, off, s[0:3], 0 offset:440
	buffer_store_dword v51, off, s[0:3], 0 offset:436
	buffer_store_dword v50, off, s[0:3], 0 offset:432
	s_waitcnt vmcnt(28)
	buffer_store_dword v49, off, s[0:3], 0 offset:460
	buffer_store_dword v48, off, s[0:3], 0 offset:456
	buffer_store_dword v47, off, s[0:3], 0 offset:452
	buffer_store_dword v46, off, s[0:3], 0 offset:448
	s_waitcnt vmcnt(31)
	buffer_store_dword v57, off, s[0:3], 0 offset:476
	buffer_store_dword v56, off, s[0:3], 0 offset:472
	buffer_store_dword v55, off, s[0:3], 0 offset:468
	buffer_store_dword v54, off, s[0:3], 0 offset:464
	s_waitcnt vmcnt(34)
	buffer_store_dword v45, off, s[0:3], 0 offset:492
	buffer_store_dword v44, off, s[0:3], 0 offset:488
	buffer_store_dword v43, off, s[0:3], 0 offset:484
	buffer_store_dword v42, off, s[0:3], 0 offset:480
	s_waitcnt vmcnt(37)
	buffer_store_dword v61, off, s[0:3], 0 offset:508
	buffer_store_dword v60, off, s[0:3], 0 offset:504
	buffer_store_dword v59, off, s[0:3], 0 offset:500
	buffer_store_dword v58, off, s[0:3], 0 offset:496
	s_waitcnt vmcnt(40)
	buffer_store_dword v41, off, s[0:3], 0 offset:524
	buffer_store_dword v40, off, s[0:3], 0 offset:520
	buffer_store_dword v39, off, s[0:3], 0 offset:516
	buffer_store_dword v38, off, s[0:3], 0 offset:512
	s_waitcnt vmcnt(43)
	buffer_store_dword v65, off, s[0:3], 0 offset:540
	buffer_store_dword v64, off, s[0:3], 0 offset:536
	buffer_store_dword v63, off, s[0:3], 0 offset:532
	buffer_store_dword v62, off, s[0:3], 0 offset:528
	s_waitcnt vmcnt(46)
	buffer_store_dword v37, off, s[0:3], 0 offset:556
	buffer_store_dword v36, off, s[0:3], 0 offset:552
	buffer_store_dword v35, off, s[0:3], 0 offset:548
	buffer_store_dword v34, off, s[0:3], 0 offset:544
	s_waitcnt vmcnt(49)
	buffer_store_dword v69, off, s[0:3], 0 offset:572
	buffer_store_dword v68, off, s[0:3], 0 offset:568
	buffer_store_dword v67, off, s[0:3], 0 offset:564
	buffer_store_dword v66, off, s[0:3], 0 offset:560
	s_waitcnt vmcnt(52)
	buffer_store_dword v33, off, s[0:3], 0 offset:588
	buffer_store_dword v32, off, s[0:3], 0 offset:584
	buffer_store_dword v31, off, s[0:3], 0 offset:580
	buffer_store_dword v30, off, s[0:3], 0 offset:576
	s_waitcnt vmcnt(55)
	buffer_store_dword v73, off, s[0:3], 0 offset:604
	buffer_store_dword v72, off, s[0:3], 0 offset:600
	buffer_store_dword v71, off, s[0:3], 0 offset:596
	buffer_store_dword v70, off, s[0:3], 0 offset:592
	s_waitcnt vmcnt(58)
	buffer_store_dword v29, off, s[0:3], 0 offset:620
	buffer_store_dword v28, off, s[0:3], 0 offset:616
	buffer_store_dword v27, off, s[0:3], 0 offset:612
	buffer_store_dword v26, off, s[0:3], 0 offset:608
	s_waitcnt vmcnt(61)
	buffer_store_dword v77, off, s[0:3], 0 offset:636
	buffer_store_dword v76, off, s[0:3], 0 offset:632
	buffer_store_dword v75, off, s[0:3], 0 offset:628
	buffer_store_dword v74, off, s[0:3], 0 offset:624
	s_waitcnt vmcnt(62)
	buffer_store_dword v25, off, s[0:3], 0 offset:652
	buffer_store_dword v24, off, s[0:3], 0 offset:648
	buffer_store_dword v23, off, s[0:3], 0 offset:644
	;; [unrolled: 1-line block ×11, first 2 shown]
	s_waitcnt vmcnt(62)
	buffer_store_dword v85, off, s[0:3], 0 offset:700
	buffer_store_dword v84, off, s[0:3], 0 offset:696
	;; [unrolled: 1-line block ×16, first 2 shown]
	v_add_u32_e32 v2, 16, v0
	v_accvgpr_write_b32 a136, v2
	v_add_u32_e32 v2, 32, v0
	v_accvgpr_write_b32 a135, v2
	;; [unrolled: 2-line block ×43, first 2 shown]
	v_add_u32_e32 v2, 0x2c0, v0
	v_add_u32_e32 v0, 0x2d0, v0
	v_accvgpr_write_b32 a93, v2
	v_accvgpr_write_b32 a92, v0
	s_bitcmp0_b32 s22, 0
	s_mov_b64 s[6:7], -1
	s_cbranch_scc1 .LBB45_196
; %bb.4:
	v_cmp_eq_u32_e64 s[4:5], 0, v254
	s_and_saveexec_b64 s[6:7], s[4:5]
	s_cbranch_execz .LBB45_6
; %bb.5:
	v_mov_b32_e32 v0, 0
	ds_write_b32 v0, v0 offset:1472
.LBB45_6:
	s_or_b64 exec, exec, s[6:7]
	v_mov_b32_e32 v0, 16
	v_lshl_add_u32 v12, v254, 4, v0
	s_waitcnt lgkmcnt(0)
	; wave barrier
	s_waitcnt lgkmcnt(0)
	buffer_load_dword v2, v12, s[0:3], 0 offen
	buffer_load_dword v3, v12, s[0:3], 0 offen offset:4
	buffer_load_dword v4, v12, s[0:3], 0 offen offset:8
	;; [unrolled: 1-line block ×3, first 2 shown]
	s_waitcnt vmcnt(2)
	v_cmp_eq_f64_e32 vcc, 0, v[2:3]
	s_waitcnt vmcnt(0)
	v_cmp_eq_f64_e64 s[6:7], 0, v[4:5]
	s_and_b64 s[6:7], vcc, s[6:7]
	s_and_saveexec_b64 s[12:13], s[6:7]
	s_cbranch_execz .LBB45_10
; %bb.7:
	v_mov_b32_e32 v2, 0
	ds_read_b32 v0, v2 offset:1472
	v_add_u32_e32 v3, 1, v254
	s_waitcnt lgkmcnt(0)
	v_readfirstlane_b32 s6, v0
	s_cmp_eq_u32 s6, 0
	s_cselect_b64 s[16:17], -1, 0
	v_cmp_gt_i32_e32 vcc, s6, v3
	s_or_b64 s[16:17], s[16:17], vcc
	s_and_b64 exec, exec, s[16:17]
	s_cbranch_execz .LBB45_10
; %bb.8:
	s_mov_b64 s[16:17], 0
	v_mov_b32_e32 v4, s6
.LBB45_9:                               ; =>This Inner Loop Header: Depth=1
	ds_cmpst_rtn_b32 v4, v2, v4, v3 offset:1472
	s_waitcnt lgkmcnt(0)
	v_cmp_ne_u32_e32 vcc, 0, v4
	v_cmp_le_i32_e64 s[6:7], v4, v3
	s_and_b64 s[6:7], vcc, s[6:7]
	s_and_b64 s[6:7], exec, s[6:7]
	s_or_b64 s[16:17], s[6:7], s[16:17]
	s_andn2_b64 exec, exec, s[16:17]
	s_cbranch_execnz .LBB45_9
.LBB45_10:
	s_or_b64 exec, exec, s[12:13]
	v_mov_b32_e32 v3, 0
	s_waitcnt lgkmcnt(0)
	; wave barrier
	ds_read_b32 v2, v3 offset:1472
	s_and_saveexec_b64 s[6:7], s[4:5]
	s_cbranch_execz .LBB45_12
; %bb.11:
	s_lshl_b64 s[12:13], s[8:9], 2
	s_add_u32 s12, s14, s12
	s_addc_u32 s13, s15, s13
	s_waitcnt lgkmcnt(0)
	global_store_dword v3, v2, s[12:13]
.LBB45_12:
	s_or_b64 exec, exec, s[6:7]
	s_waitcnt lgkmcnt(0)
	v_cmp_ne_u32_e32 vcc, 0, v2
	s_mov_b64 s[6:7], 0
	s_cbranch_vccnz .LBB45_196
; %bb.13:
	buffer_load_dword v7, v12, s[0:3], 0 offen offset:4
	buffer_load_dword v6, v12, s[0:3], 0 offen
	buffer_load_dword v9, v12, s[0:3], 0 offen offset:12
	buffer_load_dword v8, v12, s[0:3], 0 offen offset:8
                                        ; implicit-def: $vgpr10_vgpr11
	s_waitcnt vmcnt(3)
	v_xor_b32_e32 v0, 0x80000000, v7
	s_waitcnt vmcnt(2)
	v_cmp_gt_f64_e32 vcc, 0, v[6:7]
	s_waitcnt vmcnt(1)
	v_xor_b32_e32 v4, 0x80000000, v9
	v_cndmask_b32_e32 v3, v7, v0, vcc
	s_waitcnt vmcnt(0)
	v_cmp_gt_f64_e32 vcc, 0, v[8:9]
	v_mov_b32_e32 v2, v6
	v_cndmask_b32_e32 v5, v9, v4, vcc
	v_mov_b32_e32 v4, v8
	v_cmp_ngt_f64_e32 vcc, v[2:3], v[4:5]
                                        ; implicit-def: $vgpr4_vgpr5
	s_and_saveexec_b64 s[6:7], vcc
	s_xor_b64 s[6:7], exec, s[6:7]
	s_cbranch_execz .LBB45_15
; %bb.14:
	v_div_scale_f64 v[2:3], s[12:13], v[8:9], v[8:9], v[6:7]
	v_rcp_f64_e32 v[4:5], v[2:3]
	v_div_scale_f64 v[10:11], vcc, v[6:7], v[8:9], v[6:7]
	v_fma_f64 v[14:15], -v[2:3], v[4:5], 1.0
	v_fmac_f64_e32 v[4:5], v[4:5], v[14:15]
	v_fma_f64 v[14:15], -v[2:3], v[4:5], 1.0
	v_fmac_f64_e32 v[4:5], v[4:5], v[14:15]
	v_mul_f64 v[14:15], v[10:11], v[4:5]
	v_fma_f64 v[2:3], -v[2:3], v[14:15], v[10:11]
	v_div_fmas_f64 v[2:3], v[2:3], v[4:5], v[14:15]
	v_div_fixup_f64 v[2:3], v[2:3], v[8:9], v[6:7]
	v_fmac_f64_e32 v[8:9], v[6:7], v[2:3]
	v_div_scale_f64 v[4:5], s[12:13], v[8:9], v[8:9], 1.0
	v_rcp_f64_e32 v[6:7], v[4:5]
	v_fma_f64 v[10:11], -v[4:5], v[6:7], 1.0
	v_fmac_f64_e32 v[6:7], v[6:7], v[10:11]
	v_fma_f64 v[10:11], -v[4:5], v[6:7], 1.0
	v_fmac_f64_e32 v[6:7], v[6:7], v[10:11]
	v_div_scale_f64 v[10:11], vcc, 1.0, v[8:9], 1.0
	v_mul_f64 v[14:15], v[10:11], v[6:7]
	v_fma_f64 v[4:5], -v[4:5], v[14:15], v[10:11]
	s_nop 1
	v_div_fmas_f64 v[4:5], v[4:5], v[6:7], v[14:15]
	v_div_fixup_f64 v[4:5], v[4:5], v[8:9], 1.0
	v_mul_f64 v[10:11], v[2:3], v[4:5]
	v_xor_b32_e32 v5, 0x80000000, v5
	v_xor_b32_e32 v3, 0x80000000, v11
	v_mov_b32_e32 v2, v10
                                        ; implicit-def: $vgpr6_vgpr7
                                        ; implicit-def: $vgpr8_vgpr9
.LBB45_15:
	s_andn2_saveexec_b64 s[6:7], s[6:7]
	s_cbranch_execz .LBB45_17
; %bb.16:
	v_div_scale_f64 v[2:3], s[12:13], v[6:7], v[6:7], v[8:9]
	v_rcp_f64_e32 v[4:5], v[2:3]
	v_div_scale_f64 v[10:11], vcc, v[8:9], v[6:7], v[8:9]
	v_fma_f64 v[14:15], -v[2:3], v[4:5], 1.0
	v_fmac_f64_e32 v[4:5], v[4:5], v[14:15]
	v_fma_f64 v[14:15], -v[2:3], v[4:5], 1.0
	v_fmac_f64_e32 v[4:5], v[4:5], v[14:15]
	v_mul_f64 v[14:15], v[10:11], v[4:5]
	v_fma_f64 v[2:3], -v[2:3], v[14:15], v[10:11]
	v_div_fmas_f64 v[2:3], v[2:3], v[4:5], v[14:15]
	v_div_fixup_f64 v[4:5], v[2:3], v[6:7], v[8:9]
	v_fmac_f64_e32 v[6:7], v[8:9], v[4:5]
	v_div_scale_f64 v[2:3], s[12:13], v[6:7], v[6:7], 1.0
	v_rcp_f64_e32 v[8:9], v[2:3]
	v_fma_f64 v[10:11], -v[2:3], v[8:9], 1.0
	v_fmac_f64_e32 v[8:9], v[8:9], v[10:11]
	v_fma_f64 v[10:11], -v[2:3], v[8:9], 1.0
	v_fmac_f64_e32 v[8:9], v[8:9], v[10:11]
	v_div_scale_f64 v[10:11], vcc, 1.0, v[6:7], 1.0
	v_mul_f64 v[14:15], v[10:11], v[8:9]
	v_fma_f64 v[2:3], -v[2:3], v[14:15], v[10:11]
	s_nop 1
	v_div_fmas_f64 v[2:3], v[2:3], v[8:9], v[14:15]
	v_div_fixup_f64 v[10:11], v[2:3], v[6:7], 1.0
	v_xor_b32_e32 v3, 0x80000000, v11
	v_mov_b32_e32 v2, v10
	v_mul_f64 v[4:5], v[4:5], -v[10:11]
.LBB45_17:
	s_or_b64 exec, exec, s[6:7]
	buffer_store_dword v11, v12, s[0:3], 0 offen offset:4
	buffer_store_dword v10, v12, s[0:3], 0 offen
	buffer_store_dword v5, v12, s[0:3], 0 offen offset:12
	buffer_store_dword v4, v12, s[0:3], 0 offen offset:8
	v_accvgpr_read_b32 v0, a136
	buffer_load_dword v11, v0, s[0:3], 0 offen offset:12
	buffer_load_dword v10, v0, s[0:3], 0 offen offset:8
	;; [unrolled: 1-line block ×3, first 2 shown]
	buffer_load_dword v8, v0, s[0:3], 0 offen
	v_xor_b32_e32 v5, 0x80000000, v5
	v_add_u32_e32 v6, 0x2e0, v1
	ds_write_b128 v1, v[2:5]
	s_waitcnt vmcnt(0)
	ds_write_b128 v1, v[8:11] offset:736
	s_waitcnt lgkmcnt(0)
	; wave barrier
	s_waitcnt lgkmcnt(0)
	s_and_saveexec_b64 s[6:7], s[4:5]
	s_cbranch_execz .LBB45_19
; %bb.18:
	buffer_load_dword v14, v12, s[0:3], 0 offen offset:8
	buffer_load_dword v15, v12, s[0:3], 0 offen offset:12
	buffer_load_dword v16, v12, s[0:3], 0 offen
	buffer_load_dword v17, v12, s[0:3], 0 offen offset:4
	ds_read_b128 v[2:5], v6
	v_mov_b32_e32 v0, 0
	ds_read_b128 v[8:11], v0 offset:16
	s_waitcnt vmcnt(2) lgkmcnt(1)
	v_mul_f64 v[18:19], v[4:5], v[14:15]
	v_mul_f64 v[14:15], v[2:3], v[14:15]
	s_waitcnt vmcnt(0)
	v_fmac_f64_e32 v[14:15], v[4:5], v[16:17]
	v_fma_f64 v[2:3], v[2:3], v[16:17], -v[18:19]
	v_add_f64 v[4:5], v[14:15], 0
	v_add_f64 v[2:3], v[2:3], 0
	s_waitcnt lgkmcnt(0)
	v_mul_f64 v[14:15], v[4:5], v[10:11]
	v_mul_f64 v[10:11], v[2:3], v[10:11]
	v_fma_f64 v[2:3], v[2:3], v[8:9], -v[14:15]
	v_fmac_f64_e32 v[10:11], v[4:5], v[8:9]
	buffer_store_dword v2, off, s[0:3], 0 offset:32
	buffer_store_dword v3, off, s[0:3], 0 offset:36
	;; [unrolled: 1-line block ×4, first 2 shown]
.LBB45_19:
	s_or_b64 exec, exec, s[6:7]
	v_accvgpr_read_b32 v0, a135
	s_waitcnt lgkmcnt(0)
	; wave barrier
	buffer_load_dword v2, v0, s[0:3], 0 offen
	buffer_load_dword v3, v0, s[0:3], 0 offen offset:4
	buffer_load_dword v4, v0, s[0:3], 0 offen offset:8
	;; [unrolled: 1-line block ×3, first 2 shown]
	v_cmp_gt_u32_e32 vcc, 2, v254
	s_waitcnt vmcnt(0)
	ds_write_b128 v6, v[2:5]
	s_waitcnt lgkmcnt(0)
	; wave barrier
	s_waitcnt lgkmcnt(0)
	s_and_saveexec_b64 s[6:7], vcc
	s_cbranch_execz .LBB45_23
; %bb.20:
	buffer_load_dword v8, v12, s[0:3], 0 offen offset:8
	buffer_load_dword v9, v12, s[0:3], 0 offen offset:12
	buffer_load_dword v10, v12, s[0:3], 0 offen
	buffer_load_dword v11, v12, s[0:3], 0 offen offset:4
	ds_read_b128 v[2:5], v6
	s_waitcnt vmcnt(2) lgkmcnt(0)
	v_mul_f64 v[12:13], v[4:5], v[8:9]
	v_mul_f64 v[8:9], v[2:3], v[8:9]
	s_waitcnt vmcnt(0)
	v_fma_f64 v[2:3], v[2:3], v[10:11], -v[12:13]
	v_fmac_f64_e32 v[8:9], v[4:5], v[10:11]
	v_add_f64 v[4:5], v[2:3], 0
	v_add_f64 v[2:3], v[8:9], 0
	s_and_saveexec_b64 s[12:13], s[4:5]
	s_cbranch_execz .LBB45_22
; %bb.21:
	buffer_load_dword v12, off, s[0:3], 0 offset:40
	buffer_load_dword v13, off, s[0:3], 0 offset:44
	;; [unrolled: 1-line block ×4, first 2 shown]
	v_mov_b32_e32 v0, 0
	ds_read_b128 v[8:11], v0 offset:752
	s_waitcnt vmcnt(2) lgkmcnt(0)
	v_mul_f64 v[16:17], v[8:9], v[12:13]
	v_mul_f64 v[12:13], v[10:11], v[12:13]
	s_waitcnt vmcnt(0)
	v_fmac_f64_e32 v[16:17], v[10:11], v[14:15]
	v_fma_f64 v[8:9], v[8:9], v[14:15], -v[12:13]
	v_add_f64 v[2:3], v[2:3], v[16:17]
	v_add_f64 v[4:5], v[4:5], v[8:9]
.LBB45_22:
	s_or_b64 exec, exec, s[12:13]
	v_mov_b32_e32 v0, 0
	ds_read_b128 v[8:11], v0 offset:32
	s_waitcnt lgkmcnt(0)
	v_mul_f64 v[12:13], v[2:3], v[10:11]
	v_mul_f64 v[10:11], v[4:5], v[10:11]
	v_fma_f64 v[4:5], v[4:5], v[8:9], -v[12:13]
	v_fmac_f64_e32 v[10:11], v[2:3], v[8:9]
	buffer_store_dword v5, off, s[0:3], 0 offset:52
	buffer_store_dword v4, off, s[0:3], 0 offset:48
	;; [unrolled: 1-line block ×4, first 2 shown]
.LBB45_23:
	s_or_b64 exec, exec, s[6:7]
	v_accvgpr_read_b32 v0, a134
	s_waitcnt lgkmcnt(0)
	; wave barrier
	buffer_load_dword v2, v0, s[0:3], 0 offen
	buffer_load_dword v3, v0, s[0:3], 0 offen offset:4
	buffer_load_dword v4, v0, s[0:3], 0 offen offset:8
	;; [unrolled: 1-line block ×3, first 2 shown]
	v_cmp_gt_u32_e32 vcc, 3, v254
	v_add_u32_e32 v7, -1, v254
	s_waitcnt vmcnt(0)
	ds_write_b128 v6, v[2:5]
	s_waitcnt lgkmcnt(0)
	; wave barrier
	s_waitcnt lgkmcnt(0)
	s_and_saveexec_b64 s[4:5], vcc
	s_cbranch_execz .LBB45_27
; %bb.24:
	v_pk_mov_b32 v[2:3], 0, 0
	v_add_u32_e32 v8, -1, v254
	v_add_u32_e32 v9, 0x2e0, v1
	v_add_u32_e32 v10, 16, v1
	s_mov_b64 s[6:7], 0
	v_pk_mov_b32 v[4:5], v[2:3], v[2:3] op_sel:[0,1]
.LBB45_25:                              ; =>This Inner Loop Header: Depth=1
	buffer_load_dword v16, v10, s[0:3], 0 offen offset:8
	buffer_load_dword v17, v10, s[0:3], 0 offen offset:12
	buffer_load_dword v18, v10, s[0:3], 0 offen
	buffer_load_dword v19, v10, s[0:3], 0 offen offset:4
	ds_read_b128 v[12:15], v9
	v_add_u32_e32 v8, 1, v8
	v_cmp_lt_u32_e32 vcc, 1, v8
	v_add_u32_e32 v9, 16, v9
	v_add_u32_e32 v10, 16, v10
	s_or_b64 s[6:7], vcc, s[6:7]
	s_waitcnt vmcnt(2) lgkmcnt(0)
	v_mul_f64 v[20:21], v[14:15], v[16:17]
	v_mul_f64 v[16:17], v[12:13], v[16:17]
	s_waitcnt vmcnt(0)
	v_fma_f64 v[12:13], v[12:13], v[18:19], -v[20:21]
	v_fmac_f64_e32 v[16:17], v[14:15], v[18:19]
	v_add_f64 v[4:5], v[4:5], v[12:13]
	v_add_f64 v[2:3], v[2:3], v[16:17]
	s_andn2_b64 exec, exec, s[6:7]
	s_cbranch_execnz .LBB45_25
; %bb.26:
	s_or_b64 exec, exec, s[6:7]
	v_mov_b32_e32 v0, 0
	ds_read_b128 v[8:11], v0 offset:48
	s_waitcnt lgkmcnt(0)
	v_mul_f64 v[12:13], v[2:3], v[10:11]
	v_mul_f64 v[10:11], v[4:5], v[10:11]
	v_fma_f64 v[4:5], v[4:5], v[8:9], -v[12:13]
	v_fmac_f64_e32 v[10:11], v[2:3], v[8:9]
	buffer_store_dword v5, off, s[0:3], 0 offset:68
	buffer_store_dword v4, off, s[0:3], 0 offset:64
	buffer_store_dword v11, off, s[0:3], 0 offset:76
	buffer_store_dword v10, off, s[0:3], 0 offset:72
.LBB45_27:
	s_or_b64 exec, exec, s[4:5]
	v_accvgpr_read_b32 v0, a133
	s_waitcnt lgkmcnt(0)
	; wave barrier
	buffer_load_dword v2, v0, s[0:3], 0 offen
	buffer_load_dword v3, v0, s[0:3], 0 offen offset:4
	buffer_load_dword v4, v0, s[0:3], 0 offen offset:8
	buffer_load_dword v5, v0, s[0:3], 0 offen offset:12
	v_cmp_gt_u32_e32 vcc, 4, v254
	s_waitcnt vmcnt(0)
	ds_write_b128 v6, v[2:5]
	s_waitcnt lgkmcnt(0)
	; wave barrier
	s_waitcnt lgkmcnt(0)
	s_and_saveexec_b64 s[4:5], vcc
	s_cbranch_execz .LBB45_31
; %bb.28:
	v_pk_mov_b32 v[2:3], 0, 0
	v_add_u32_e32 v8, -1, v254
	v_add_u32_e32 v9, 0x2e0, v1
	v_add_u32_e32 v10, 16, v1
	s_mov_b64 s[6:7], 0
	v_pk_mov_b32 v[4:5], v[2:3], v[2:3] op_sel:[0,1]
.LBB45_29:                              ; =>This Inner Loop Header: Depth=1
	buffer_load_dword v16, v10, s[0:3], 0 offen offset:8
	buffer_load_dword v17, v10, s[0:3], 0 offen offset:12
	buffer_load_dword v18, v10, s[0:3], 0 offen
	buffer_load_dword v19, v10, s[0:3], 0 offen offset:4
	ds_read_b128 v[12:15], v9
	v_add_u32_e32 v8, 1, v8
	v_cmp_lt_u32_e32 vcc, 2, v8
	v_add_u32_e32 v9, 16, v9
	v_add_u32_e32 v10, 16, v10
	s_or_b64 s[6:7], vcc, s[6:7]
	s_waitcnt vmcnt(2) lgkmcnt(0)
	v_mul_f64 v[20:21], v[14:15], v[16:17]
	v_mul_f64 v[16:17], v[12:13], v[16:17]
	s_waitcnt vmcnt(0)
	v_fma_f64 v[12:13], v[12:13], v[18:19], -v[20:21]
	v_fmac_f64_e32 v[16:17], v[14:15], v[18:19]
	v_add_f64 v[4:5], v[4:5], v[12:13]
	v_add_f64 v[2:3], v[2:3], v[16:17]
	s_andn2_b64 exec, exec, s[6:7]
	s_cbranch_execnz .LBB45_29
; %bb.30:
	s_or_b64 exec, exec, s[6:7]
	v_mov_b32_e32 v0, 0
	ds_read_b128 v[8:11], v0 offset:64
	s_waitcnt lgkmcnt(0)
	v_mul_f64 v[12:13], v[2:3], v[10:11]
	v_mul_f64 v[10:11], v[4:5], v[10:11]
	v_fma_f64 v[4:5], v[4:5], v[8:9], -v[12:13]
	v_fmac_f64_e32 v[10:11], v[2:3], v[8:9]
	buffer_store_dword v5, off, s[0:3], 0 offset:84
	buffer_store_dword v4, off, s[0:3], 0 offset:80
	buffer_store_dword v11, off, s[0:3], 0 offset:92
	buffer_store_dword v10, off, s[0:3], 0 offset:88
.LBB45_31:
	s_or_b64 exec, exec, s[4:5]
	v_accvgpr_read_b32 v0, a132
	s_waitcnt lgkmcnt(0)
	; wave barrier
	buffer_load_dword v2, v0, s[0:3], 0 offen
	buffer_load_dword v3, v0, s[0:3], 0 offen offset:4
	buffer_load_dword v4, v0, s[0:3], 0 offen offset:8
	buffer_load_dword v5, v0, s[0:3], 0 offen offset:12
	v_cmp_gt_u32_e32 vcc, 5, v254
	;; [unrolled: 58-line block ×19, first 2 shown]
	s_waitcnt vmcnt(0)
	ds_write_b128 v6, v[2:5]
	s_waitcnt lgkmcnt(0)
	; wave barrier
	s_waitcnt lgkmcnt(0)
	s_and_saveexec_b64 s[4:5], vcc
	s_cbranch_execz .LBB45_103
; %bb.100:
	v_pk_mov_b32 v[2:3], 0, 0
	v_add_u32_e32 v8, -1, v254
	v_add_u32_e32 v9, 0x2e0, v1
	v_add_u32_e32 v10, 16, v1
	s_mov_b64 s[6:7], 0
	v_pk_mov_b32 v[4:5], v[2:3], v[2:3] op_sel:[0,1]
.LBB45_101:                             ; =>This Inner Loop Header: Depth=1
	buffer_load_dword v16, v10, s[0:3], 0 offen offset:8
	buffer_load_dword v17, v10, s[0:3], 0 offen offset:12
	buffer_load_dword v18, v10, s[0:3], 0 offen
	buffer_load_dword v19, v10, s[0:3], 0 offen offset:4
	ds_read_b128 v[12:15], v9
	v_add_u32_e32 v8, 1, v8
	v_cmp_lt_u32_e32 vcc, 20, v8
	v_add_u32_e32 v9, 16, v9
	v_add_u32_e32 v10, 16, v10
	s_or_b64 s[6:7], vcc, s[6:7]
	s_waitcnt vmcnt(2) lgkmcnt(0)
	v_mul_f64 v[20:21], v[14:15], v[16:17]
	v_mul_f64 v[16:17], v[12:13], v[16:17]
	s_waitcnt vmcnt(0)
	v_fma_f64 v[12:13], v[12:13], v[18:19], -v[20:21]
	v_fmac_f64_e32 v[16:17], v[14:15], v[18:19]
	v_add_f64 v[4:5], v[4:5], v[12:13]
	v_add_f64 v[2:3], v[2:3], v[16:17]
	s_andn2_b64 exec, exec, s[6:7]
	s_cbranch_execnz .LBB45_101
; %bb.102:
	s_or_b64 exec, exec, s[6:7]
	v_mov_b32_e32 v0, 0
	ds_read_b128 v[8:11], v0 offset:352
	s_waitcnt lgkmcnt(0)
	v_mul_f64 v[12:13], v[2:3], v[10:11]
	v_mul_f64 v[10:11], v[4:5], v[10:11]
	v_fma_f64 v[4:5], v[4:5], v[8:9], -v[12:13]
	v_fmac_f64_e32 v[10:11], v[2:3], v[8:9]
	buffer_store_dword v5, off, s[0:3], 0 offset:372
	buffer_store_dword v4, off, s[0:3], 0 offset:368
	buffer_store_dword v11, off, s[0:3], 0 offset:380
	buffer_store_dword v10, off, s[0:3], 0 offset:376
.LBB45_103:
	s_or_b64 exec, exec, s[4:5]
	v_accvgpr_read_b32 v0, a114
	s_waitcnt lgkmcnt(0)
	; wave barrier
	buffer_load_dword v2, v0, s[0:3], 0 offen
	buffer_load_dword v3, v0, s[0:3], 0 offen offset:4
	buffer_load_dword v4, v0, s[0:3], 0 offen offset:8
	buffer_load_dword v5, v0, s[0:3], 0 offen offset:12
	v_cmp_gt_u32_e32 vcc, 23, v254
	s_waitcnt vmcnt(0)
	ds_write_b128 v6, v[2:5]
	s_waitcnt lgkmcnt(0)
	; wave barrier
	s_waitcnt lgkmcnt(0)
	s_and_saveexec_b64 s[4:5], vcc
	s_cbranch_execz .LBB45_107
; %bb.104:
	v_pk_mov_b32 v[2:3], 0, 0
	v_add_u32_e32 v8, -1, v254
	v_add_u32_e32 v9, 0x2e0, v1
	v_add_u32_e32 v10, 16, v1
	s_mov_b64 s[6:7], 0
	v_pk_mov_b32 v[4:5], v[2:3], v[2:3] op_sel:[0,1]
.LBB45_105:                             ; =>This Inner Loop Header: Depth=1
	buffer_load_dword v16, v10, s[0:3], 0 offen offset:8
	buffer_load_dword v17, v10, s[0:3], 0 offen offset:12
	buffer_load_dword v18, v10, s[0:3], 0 offen
	buffer_load_dword v19, v10, s[0:3], 0 offen offset:4
	ds_read_b128 v[12:15], v9
	v_add_u32_e32 v8, 1, v8
	v_cmp_lt_u32_e32 vcc, 21, v8
	v_add_u32_e32 v9, 16, v9
	v_add_u32_e32 v10, 16, v10
	s_or_b64 s[6:7], vcc, s[6:7]
	s_waitcnt vmcnt(2) lgkmcnt(0)
	v_mul_f64 v[20:21], v[14:15], v[16:17]
	v_mul_f64 v[16:17], v[12:13], v[16:17]
	s_waitcnt vmcnt(0)
	v_fma_f64 v[12:13], v[12:13], v[18:19], -v[20:21]
	v_fmac_f64_e32 v[16:17], v[14:15], v[18:19]
	v_add_f64 v[4:5], v[4:5], v[12:13]
	v_add_f64 v[2:3], v[2:3], v[16:17]
	s_andn2_b64 exec, exec, s[6:7]
	s_cbranch_execnz .LBB45_105
; %bb.106:
	s_or_b64 exec, exec, s[6:7]
	v_mov_b32_e32 v0, 0
	ds_read_b128 v[8:11], v0 offset:368
	s_waitcnt lgkmcnt(0)
	v_mul_f64 v[12:13], v[2:3], v[10:11]
	v_mul_f64 v[10:11], v[4:5], v[10:11]
	v_fma_f64 v[4:5], v[4:5], v[8:9], -v[12:13]
	v_fmac_f64_e32 v[10:11], v[2:3], v[8:9]
	buffer_store_dword v5, off, s[0:3], 0 offset:388
	buffer_store_dword v4, off, s[0:3], 0 offset:384
	buffer_store_dword v11, off, s[0:3], 0 offset:396
	buffer_store_dword v10, off, s[0:3], 0 offset:392
.LBB45_107:
	s_or_b64 exec, exec, s[4:5]
	v_accvgpr_read_b32 v0, a113
	s_waitcnt lgkmcnt(0)
	; wave barrier
	buffer_load_dword v2, v0, s[0:3], 0 offen
	buffer_load_dword v3, v0, s[0:3], 0 offen offset:4
	buffer_load_dword v4, v0, s[0:3], 0 offen offset:8
	buffer_load_dword v5, v0, s[0:3], 0 offen offset:12
	v_cmp_gt_u32_e32 vcc, 24, v254
	;; [unrolled: 58-line block ×22, first 2 shown]
	s_waitcnt vmcnt(0)
	ds_write_b128 v6, v[2:5]
	s_waitcnt lgkmcnt(0)
	; wave barrier
	s_waitcnt lgkmcnt(0)
	s_and_saveexec_b64 s[4:5], vcc
	s_cbranch_execz .LBB45_191
; %bb.188:
	v_pk_mov_b32 v[2:3], 0, 0
	v_add_u32_e32 v8, -1, v254
	v_add_u32_e32 v9, 0x2e0, v1
	v_add_u32_e32 v10, 16, v1
	s_mov_b64 s[6:7], 0
	v_pk_mov_b32 v[4:5], v[2:3], v[2:3] op_sel:[0,1]
.LBB45_189:                             ; =>This Inner Loop Header: Depth=1
	buffer_load_dword v16, v10, s[0:3], 0 offen offset:8
	buffer_load_dword v17, v10, s[0:3], 0 offen offset:12
	buffer_load_dword v18, v10, s[0:3], 0 offen
	buffer_load_dword v19, v10, s[0:3], 0 offen offset:4
	ds_read_b128 v[12:15], v9
	v_add_u32_e32 v8, 1, v8
	v_cmp_lt_u32_e32 vcc, 42, v8
	v_add_u32_e32 v9, 16, v9
	v_add_u32_e32 v10, 16, v10
	s_or_b64 s[6:7], vcc, s[6:7]
	s_waitcnt vmcnt(2) lgkmcnt(0)
	v_mul_f64 v[20:21], v[14:15], v[16:17]
	v_mul_f64 v[16:17], v[12:13], v[16:17]
	s_waitcnt vmcnt(0)
	v_fma_f64 v[12:13], v[12:13], v[18:19], -v[20:21]
	v_fmac_f64_e32 v[16:17], v[14:15], v[18:19]
	v_add_f64 v[4:5], v[4:5], v[12:13]
	v_add_f64 v[2:3], v[2:3], v[16:17]
	s_andn2_b64 exec, exec, s[6:7]
	s_cbranch_execnz .LBB45_189
; %bb.190:
	s_or_b64 exec, exec, s[6:7]
	v_mov_b32_e32 v0, 0
	ds_read_b128 v[8:11], v0 offset:704
	s_waitcnt lgkmcnt(0)
	v_mul_f64 v[12:13], v[2:3], v[10:11]
	v_mul_f64 v[10:11], v[4:5], v[10:11]
	v_fma_f64 v[4:5], v[4:5], v[8:9], -v[12:13]
	v_fmac_f64_e32 v[10:11], v[2:3], v[8:9]
	buffer_store_dword v5, off, s[0:3], 0 offset:724
	buffer_store_dword v4, off, s[0:3], 0 offset:720
	;; [unrolled: 1-line block ×4, first 2 shown]
.LBB45_191:
	s_or_b64 exec, exec, s[4:5]
	v_accvgpr_read_b32 v0, a92
	s_waitcnt lgkmcnt(0)
	; wave barrier
	buffer_load_dword v2, v0, s[0:3], 0 offen
	buffer_load_dword v3, v0, s[0:3], 0 offen offset:4
	buffer_load_dword v4, v0, s[0:3], 0 offen offset:8
	;; [unrolled: 1-line block ×3, first 2 shown]
	v_cmp_ne_u32_e32 vcc, 45, v254
	s_waitcnt vmcnt(0)
	ds_write_b128 v6, v[2:5]
	s_waitcnt lgkmcnt(0)
	; wave barrier
	s_waitcnt lgkmcnt(0)
	s_and_saveexec_b64 s[4:5], vcc
	s_cbranch_execz .LBB45_195
; %bb.192:
	v_pk_mov_b32 v[2:3], 0, 0
	v_add_u32_e32 v6, 0x2e0, v1
	v_add_u32_e32 v1, 16, v1
	s_mov_b64 s[6:7], 0
	v_pk_mov_b32 v[4:5], v[2:3], v[2:3] op_sel:[0,1]
.LBB45_193:                             ; =>This Inner Loop Header: Depth=1
	buffer_load_dword v12, v1, s[0:3], 0 offen offset:8
	buffer_load_dword v13, v1, s[0:3], 0 offen offset:12
	buffer_load_dword v14, v1, s[0:3], 0 offen
	buffer_load_dword v15, v1, s[0:3], 0 offen offset:4
	ds_read_b128 v[8:11], v6
	v_add_u32_e32 v7, 1, v7
	v_cmp_lt_u32_e32 vcc, 43, v7
	v_add_u32_e32 v6, 16, v6
	v_add_u32_e32 v1, 16, v1
	s_or_b64 s[6:7], vcc, s[6:7]
	s_waitcnt vmcnt(2) lgkmcnt(0)
	v_mul_f64 v[16:17], v[10:11], v[12:13]
	v_mul_f64 v[12:13], v[8:9], v[12:13]
	s_waitcnt vmcnt(0)
	v_fma_f64 v[8:9], v[8:9], v[14:15], -v[16:17]
	v_fmac_f64_e32 v[12:13], v[10:11], v[14:15]
	v_add_f64 v[4:5], v[4:5], v[8:9]
	v_add_f64 v[2:3], v[2:3], v[12:13]
	s_andn2_b64 exec, exec, s[6:7]
	s_cbranch_execnz .LBB45_193
; %bb.194:
	s_or_b64 exec, exec, s[6:7]
	v_mov_b32_e32 v0, 0
	ds_read_b128 v[6:9], v0 offset:720
	s_waitcnt lgkmcnt(0)
	v_mul_f64 v[10:11], v[2:3], v[8:9]
	v_mul_f64 v[8:9], v[4:5], v[8:9]
	v_fma_f64 v[4:5], v[4:5], v[6:7], -v[10:11]
	v_fmac_f64_e32 v[8:9], v[2:3], v[6:7]
	buffer_store_dword v5, off, s[0:3], 0 offset:740
	buffer_store_dword v4, off, s[0:3], 0 offset:736
	buffer_store_dword v9, off, s[0:3], 0 offset:748
	buffer_store_dword v8, off, s[0:3], 0 offset:744
.LBB45_195:
	s_or_b64 exec, exec, s[4:5]
	s_mov_b64 s[6:7], -1
	s_waitcnt lgkmcnt(0)
	; wave barrier
.LBB45_196:
	s_and_b64 vcc, exec, s[6:7]
	s_cbranch_vccz .LBB45_198
; %bb.197:
	s_lshl_b64 s[4:5], s[8:9], 2
	s_add_u32 s4, s14, s4
	s_addc_u32 s5, s15, s5
	v_mov_b32_e32 v0, 0
	global_load_dword v0, v0, s[4:5]
	s_waitcnt vmcnt(0)
	v_cmp_ne_u32_e32 vcc, 0, v0
	s_cbranch_vccz .LBB45_199
.LBB45_198:
	s_endpgm
.LBB45_199:
	v_mov_b32_e32 v0, 0x2e0
	v_lshl_add_u32 v0, v254, 4, v0
	v_accvgpr_write_b32 a138, v0
	v_cmp_eq_u32_e32 vcc, 45, v254
	s_and_saveexec_b64 s[4:5], vcc
	s_cbranch_execz .LBB45_201
; %bb.200:
	v_accvgpr_read_b32 v0, a93
	buffer_load_dword v2, v0, s[0:3], 0 offen
	buffer_load_dword v3, v0, s[0:3], 0 offen offset:4
	buffer_load_dword v4, v0, s[0:3], 0 offen offset:8
	;; [unrolled: 1-line block ×3, first 2 shown]
	v_mov_b32_e32 v0, 0
	v_accvgpr_read_b32 v1, a138
	buffer_store_dword v0, off, s[0:3], 0 offset:720
	buffer_store_dword v0, off, s[0:3], 0 offset:724
	;; [unrolled: 1-line block ×4, first 2 shown]
	s_waitcnt vmcnt(4)
	ds_write_b128 v1, v[2:5]
.LBB45_201:
	s_or_b64 exec, exec, s[4:5]
	s_waitcnt lgkmcnt(0)
	; wave barrier
	s_waitcnt lgkmcnt(0)
	buffer_load_dword v6, off, s[0:3], 0 offset:744
	buffer_load_dword v7, off, s[0:3], 0 offset:748
	buffer_load_dword v8, off, s[0:3], 0 offset:736
	buffer_load_dword v9, off, s[0:3], 0 offset:740
	buffer_load_dword v10, off, s[0:3], 0 offset:720
	buffer_load_dword v11, off, s[0:3], 0 offset:724
	buffer_load_dword v12, off, s[0:3], 0 offset:728
	buffer_load_dword v13, off, s[0:3], 0 offset:732
	v_mov_b32_e32 v1, 0
	ds_read_b128 v[2:5], v1 offset:1456
	v_cmp_lt_u32_e32 vcc, 43, v254
	s_waitcnt vmcnt(6) lgkmcnt(0)
	v_mul_f64 v[14:15], v[2:3], v[6:7]
	v_mul_f64 v[6:7], v[4:5], v[6:7]
	s_waitcnt vmcnt(4)
	v_fma_f64 v[2:3], v[2:3], v[8:9], -v[6:7]
	v_fmac_f64_e32 v[14:15], v[4:5], v[8:9]
	v_add_f64 v[2:3], v[2:3], 0
	v_add_f64 v[4:5], v[14:15], 0
	s_waitcnt vmcnt(2)
	v_add_f64 v[2:3], v[10:11], -v[2:3]
	s_waitcnt vmcnt(0)
	v_add_f64 v[4:5], v[12:13], -v[4:5]
	buffer_store_dword v2, off, s[0:3], 0 offset:720
	buffer_store_dword v3, off, s[0:3], 0 offset:724
	;; [unrolled: 1-line block ×4, first 2 shown]
	s_and_saveexec_b64 s[4:5], vcc
	s_cbranch_execz .LBB45_203
; %bb.202:
	v_accvgpr_read_b32 v0, a94
	buffer_load_dword v2, v0, s[0:3], 0 offen
	buffer_load_dword v3, v0, s[0:3], 0 offen offset:4
	buffer_load_dword v4, v0, s[0:3], 0 offen offset:8
	;; [unrolled: 1-line block ×3, first 2 shown]
	v_accvgpr_read_b32 v0, a138
	buffer_store_dword v1, off, s[0:3], 0 offset:704
	buffer_store_dword v1, off, s[0:3], 0 offset:708
	;; [unrolled: 1-line block ×4, first 2 shown]
	s_waitcnt vmcnt(4)
	ds_write_b128 v0, v[2:5]
.LBB45_203:
	s_or_b64 exec, exec, s[4:5]
	s_waitcnt lgkmcnt(0)
	; wave barrier
	s_waitcnt lgkmcnt(0)
	buffer_load_dword v10, off, s[0:3], 0 offset:728
	buffer_load_dword v11, off, s[0:3], 0 offset:732
	;; [unrolled: 1-line block ×12, first 2 shown]
	ds_read_b128 v[2:5], v1 offset:1440
	ds_read_b128 v[6:9], v1 offset:1456
	v_cmp_lt_u32_e32 vcc, 42, v254
	s_waitcnt vmcnt(10) lgkmcnt(1)
	v_mul_f64 v[22:23], v[2:3], v[10:11]
	v_mul_f64 v[10:11], v[4:5], v[10:11]
	s_waitcnt vmcnt(8) lgkmcnt(0)
	v_mul_f64 v[24:25], v[6:7], v[12:13]
	v_mul_f64 v[12:13], v[8:9], v[12:13]
	s_waitcnt vmcnt(6)
	v_fma_f64 v[2:3], v[2:3], v[14:15], -v[10:11]
	v_fmac_f64_e32 v[22:23], v[4:5], v[14:15]
	s_waitcnt vmcnt(4)
	v_fma_f64 v[4:5], v[6:7], v[16:17], -v[12:13]
	v_add_f64 v[2:3], v[2:3], 0
	v_fmac_f64_e32 v[24:25], v[8:9], v[16:17]
	v_add_f64 v[6:7], v[22:23], 0
	v_add_f64 v[2:3], v[2:3], v[4:5]
	v_add_f64 v[6:7], v[6:7], v[24:25]
	s_waitcnt vmcnt(2)
	v_add_f64 v[2:3], v[18:19], -v[2:3]
	s_waitcnt vmcnt(0)
	v_add_f64 v[4:5], v[20:21], -v[6:7]
	buffer_store_dword v2, off, s[0:3], 0 offset:704
	buffer_store_dword v3, off, s[0:3], 0 offset:708
	;; [unrolled: 1-line block ×4, first 2 shown]
	s_and_saveexec_b64 s[4:5], vcc
	s_cbranch_execz .LBB45_205
; %bb.204:
	v_accvgpr_read_b32 v0, a95
	buffer_load_dword v2, v0, s[0:3], 0 offen
	buffer_load_dword v3, v0, s[0:3], 0 offen offset:4
	buffer_load_dword v4, v0, s[0:3], 0 offen offset:8
	;; [unrolled: 1-line block ×3, first 2 shown]
	v_mov_b32_e32 v0, 0
	v_accvgpr_read_b32 v1, a138
	buffer_store_dword v0, off, s[0:3], 0 offset:688
	buffer_store_dword v0, off, s[0:3], 0 offset:692
	;; [unrolled: 1-line block ×4, first 2 shown]
	s_waitcnt vmcnt(4)
	ds_write_b128 v1, v[2:5]
.LBB45_205:
	s_or_b64 exec, exec, s[4:5]
	s_waitcnt lgkmcnt(0)
	; wave barrier
	s_waitcnt lgkmcnt(0)
	buffer_load_dword v14, off, s[0:3], 0 offset:712
	buffer_load_dword v15, off, s[0:3], 0 offset:716
	;; [unrolled: 1-line block ×16, first 2 shown]
	v_mov_b32_e32 v1, 0
	ds_read_b128 v[2:5], v1 offset:1424
	ds_read_b128 v[6:9], v1 offset:1440
	;; [unrolled: 1-line block ×3, first 2 shown]
	v_cmp_lt_u32_e32 vcc, 41, v254
	s_waitcnt vmcnt(14) lgkmcnt(2)
	v_mul_f64 v[30:31], v[2:3], v[14:15]
	v_mul_f64 v[14:15], v[4:5], v[14:15]
	s_waitcnt vmcnt(12) lgkmcnt(1)
	v_mul_f64 v[32:33], v[6:7], v[16:17]
	v_mul_f64 v[16:17], v[8:9], v[16:17]
	;; [unrolled: 3-line block ×3, first 2 shown]
	s_waitcnt vmcnt(8)
	v_fma_f64 v[2:3], v[2:3], v[20:21], -v[14:15]
	v_fmac_f64_e32 v[30:31], v[4:5], v[20:21]
	s_waitcnt vmcnt(6)
	v_fma_f64 v[4:5], v[6:7], v[22:23], -v[16:17]
	v_add_f64 v[2:3], v[2:3], 0
	v_fmac_f64_e32 v[32:33], v[8:9], v[22:23]
	s_waitcnt vmcnt(4)
	v_fma_f64 v[6:7], v[10:11], v[24:25], -v[18:19]
	v_add_f64 v[8:9], v[30:31], 0
	v_add_f64 v[2:3], v[2:3], v[4:5]
	v_fmac_f64_e32 v[34:35], v[12:13], v[24:25]
	v_add_f64 v[8:9], v[8:9], v[32:33]
	v_add_f64 v[2:3], v[2:3], v[6:7]
	;; [unrolled: 1-line block ×3, first 2 shown]
	s_waitcnt vmcnt(2)
	v_add_f64 v[2:3], v[26:27], -v[2:3]
	s_waitcnt vmcnt(0)
	v_add_f64 v[4:5], v[28:29], -v[4:5]
	buffer_store_dword v2, off, s[0:3], 0 offset:688
	buffer_store_dword v3, off, s[0:3], 0 offset:692
	;; [unrolled: 1-line block ×4, first 2 shown]
	s_and_saveexec_b64 s[4:5], vcc
	s_cbranch_execz .LBB45_207
; %bb.206:
	v_accvgpr_read_b32 v0, a96
	buffer_load_dword v2, v0, s[0:3], 0 offen
	buffer_load_dword v3, v0, s[0:3], 0 offen offset:4
	buffer_load_dword v4, v0, s[0:3], 0 offen offset:8
	buffer_load_dword v5, v0, s[0:3], 0 offen offset:12
	v_accvgpr_read_b32 v0, a138
	buffer_store_dword v1, off, s[0:3], 0 offset:672
	buffer_store_dword v1, off, s[0:3], 0 offset:676
	;; [unrolled: 1-line block ×4, first 2 shown]
	s_waitcnt vmcnt(4)
	ds_write_b128 v0, v[2:5]
.LBB45_207:
	s_or_b64 exec, exec, s[4:5]
	s_waitcnt lgkmcnt(0)
	; wave barrier
	s_waitcnt lgkmcnt(0)
	buffer_load_dword v18, off, s[0:3], 0 offset:696
	buffer_load_dword v19, off, s[0:3], 0 offset:700
	;; [unrolled: 1-line block ×20, first 2 shown]
	ds_read_b128 v[2:5], v1 offset:1408
	ds_read_b128 v[6:9], v1 offset:1424
	;; [unrolled: 1-line block ×4, first 2 shown]
	v_cmp_lt_u32_e32 vcc, 40, v254
	s_waitcnt vmcnt(18) lgkmcnt(3)
	v_mul_f64 v[38:39], v[2:3], v[18:19]
	v_mul_f64 v[18:19], v[4:5], v[18:19]
	s_waitcnt vmcnt(16) lgkmcnt(2)
	v_mul_f64 v[40:41], v[6:7], v[20:21]
	v_mul_f64 v[20:21], v[8:9], v[20:21]
	;; [unrolled: 3-line block ×4, first 2 shown]
	s_waitcnt vmcnt(10)
	v_fma_f64 v[2:3], v[2:3], v[26:27], -v[18:19]
	v_fmac_f64_e32 v[38:39], v[4:5], v[26:27]
	s_waitcnt vmcnt(8)
	v_fma_f64 v[4:5], v[6:7], v[28:29], -v[20:21]
	v_add_f64 v[2:3], v[2:3], 0
	v_fmac_f64_e32 v[40:41], v[8:9], v[28:29]
	s_waitcnt vmcnt(6)
	v_fma_f64 v[6:7], v[10:11], v[30:31], -v[22:23]
	v_add_f64 v[10:11], v[38:39], 0
	v_add_f64 v[2:3], v[2:3], v[4:5]
	v_fmac_f64_e32 v[42:43], v[12:13], v[30:31]
	s_waitcnt vmcnt(4)
	v_fma_f64 v[8:9], v[14:15], v[32:33], -v[24:25]
	v_add_f64 v[10:11], v[10:11], v[40:41]
	v_add_f64 v[2:3], v[2:3], v[6:7]
	v_fmac_f64_e32 v[44:45], v[16:17], v[32:33]
	v_add_f64 v[4:5], v[10:11], v[42:43]
	v_add_f64 v[2:3], v[2:3], v[8:9]
	;; [unrolled: 1-line block ×3, first 2 shown]
	s_waitcnt vmcnt(2)
	v_add_f64 v[2:3], v[34:35], -v[2:3]
	s_waitcnt vmcnt(0)
	v_add_f64 v[4:5], v[36:37], -v[4:5]
	buffer_store_dword v2, off, s[0:3], 0 offset:672
	buffer_store_dword v3, off, s[0:3], 0 offset:676
	;; [unrolled: 1-line block ×4, first 2 shown]
	s_and_saveexec_b64 s[4:5], vcc
	s_cbranch_execz .LBB45_209
; %bb.208:
	v_accvgpr_read_b32 v0, a97
	buffer_load_dword v2, v0, s[0:3], 0 offen
	buffer_load_dword v3, v0, s[0:3], 0 offen offset:4
	buffer_load_dword v4, v0, s[0:3], 0 offen offset:8
	;; [unrolled: 1-line block ×3, first 2 shown]
	v_mov_b32_e32 v0, 0
	v_accvgpr_read_b32 v1, a138
	buffer_store_dword v0, off, s[0:3], 0 offset:656
	buffer_store_dword v0, off, s[0:3], 0 offset:660
	;; [unrolled: 1-line block ×4, first 2 shown]
	s_waitcnt vmcnt(4)
	ds_write_b128 v1, v[2:5]
.LBB45_209:
	s_or_b64 exec, exec, s[4:5]
	s_waitcnt lgkmcnt(0)
	; wave barrier
	s_waitcnt lgkmcnt(0)
	buffer_load_dword v22, off, s[0:3], 0 offset:680
	buffer_load_dword v23, off, s[0:3], 0 offset:684
	;; [unrolled: 1-line block ×24, first 2 shown]
	v_mov_b32_e32 v1, 0
	ds_read_b128 v[2:5], v1 offset:1392
	ds_read_b128 v[6:9], v1 offset:1408
	;; [unrolled: 1-line block ×5, first 2 shown]
	v_cmp_lt_u32_e32 vcc, 39, v254
	s_waitcnt vmcnt(22) lgkmcnt(4)
	v_mul_f64 v[46:47], v[2:3], v[22:23]
	v_mul_f64 v[22:23], v[4:5], v[22:23]
	s_waitcnt vmcnt(20) lgkmcnt(3)
	v_mul_f64 v[48:49], v[6:7], v[24:25]
	v_mul_f64 v[24:25], v[8:9], v[24:25]
	;; [unrolled: 3-line block ×4, first 2 shown]
	s_waitcnt vmcnt(13) lgkmcnt(0)
	v_mul_f64 v[54:55], v[18:19], v[28:29]
	s_waitcnt vmcnt(11)
	v_fma_f64 v[2:3], v[2:3], v[34:35], -v[22:23]
	v_fmac_f64_e32 v[46:47], v[4:5], v[34:35]
	s_waitcnt vmcnt(9)
	v_fma_f64 v[4:5], v[6:7], v[36:37], -v[24:25]
	v_add_f64 v[2:3], v[2:3], 0
	v_fmac_f64_e32 v[48:49], v[8:9], v[36:37]
	s_waitcnt vmcnt(7)
	v_fmac_f64_e32 v[50:51], v[12:13], v[38:39]
	v_fma_f64 v[6:7], v[10:11], v[38:39], -v[26:27]
	v_add_f64 v[12:13], v[46:47], 0
	v_add_f64 v[2:3], v[2:3], v[4:5]
	v_mul_f64 v[28:29], v[20:21], v[28:29]
	s_waitcnt vmcnt(5)
	v_fma_f64 v[8:9], v[14:15], v[40:41], -v[32:33]
	v_add_f64 v[12:13], v[12:13], v[48:49]
	v_add_f64 v[2:3], v[2:3], v[6:7]
	v_fmac_f64_e32 v[52:53], v[16:17], v[40:41]
	s_waitcnt vmcnt(4)
	v_fma_f64 v[10:11], v[18:19], v[30:31], -v[28:29]
	v_add_f64 v[4:5], v[12:13], v[50:51]
	v_add_f64 v[2:3], v[2:3], v[8:9]
	v_fmac_f64_e32 v[54:55], v[20:21], v[30:31]
	v_add_f64 v[4:5], v[4:5], v[52:53]
	v_add_f64 v[2:3], v[2:3], v[10:11]
	;; [unrolled: 1-line block ×3, first 2 shown]
	s_waitcnt vmcnt(2)
	v_add_f64 v[2:3], v[42:43], -v[2:3]
	s_waitcnt vmcnt(0)
	v_add_f64 v[4:5], v[44:45], -v[4:5]
	buffer_store_dword v3, off, s[0:3], 0 offset:660
	buffer_store_dword v2, off, s[0:3], 0 offset:656
	;; [unrolled: 1-line block ×4, first 2 shown]
	s_and_saveexec_b64 s[4:5], vcc
	s_cbranch_execz .LBB45_211
; %bb.210:
	v_accvgpr_read_b32 v0, a98
	buffer_load_dword v2, v0, s[0:3], 0 offen
	buffer_load_dword v3, v0, s[0:3], 0 offen offset:4
	buffer_load_dword v4, v0, s[0:3], 0 offen offset:8
	;; [unrolled: 1-line block ×3, first 2 shown]
	v_accvgpr_read_b32 v0, a138
	buffer_store_dword v1, off, s[0:3], 0 offset:640
	buffer_store_dword v1, off, s[0:3], 0 offset:644
	;; [unrolled: 1-line block ×4, first 2 shown]
	s_waitcnt vmcnt(4)
	ds_write_b128 v0, v[2:5]
.LBB45_211:
	s_or_b64 exec, exec, s[4:5]
	s_waitcnt lgkmcnt(0)
	; wave barrier
	s_waitcnt lgkmcnt(0)
	buffer_load_dword v26, off, s[0:3], 0 offset:664
	buffer_load_dword v27, off, s[0:3], 0 offset:668
	;; [unrolled: 1-line block ×28, first 2 shown]
	ds_read_b128 v[2:5], v1 offset:1376
	ds_read_b128 v[6:9], v1 offset:1392
	;; [unrolled: 1-line block ×6, first 2 shown]
	v_cmp_lt_u32_e32 vcc, 38, v254
	s_waitcnt vmcnt(26) lgkmcnt(5)
	v_mul_f64 v[54:55], v[2:3], v[26:27]
	v_mul_f64 v[26:27], v[4:5], v[26:27]
	s_waitcnt vmcnt(24) lgkmcnt(4)
	v_mul_f64 v[56:57], v[6:7], v[28:29]
	v_mul_f64 v[28:29], v[8:9], v[28:29]
	;; [unrolled: 3-line block ×4, first 2 shown]
	s_waitcnt vmcnt(17)
	v_mul_f64 v[60:61], v[14:15], v[36:37]
	v_mul_f64 v[36:37], v[16:17], v[36:37]
	s_waitcnt vmcnt(15) lgkmcnt(0)
	v_mul_f64 v[64:65], v[22:23], v[38:39]
	v_mul_f64 v[38:39], v[24:25], v[38:39]
	s_waitcnt vmcnt(14)
	v_fmac_f64_e32 v[62:63], v[20:21], v[34:35]
	s_waitcnt vmcnt(12)
	v_fma_f64 v[2:3], v[2:3], v[40:41], -v[26:27]
	v_fmac_f64_e32 v[54:55], v[4:5], v[40:41]
	s_waitcnt vmcnt(10)
	v_fma_f64 v[4:5], v[6:7], v[42:43], -v[28:29]
	v_add_f64 v[2:3], v[2:3], 0
	v_fmac_f64_e32 v[56:57], v[8:9], v[42:43]
	s_waitcnt vmcnt(8)
	v_fma_f64 v[6:7], v[10:11], v[44:45], -v[30:31]
	s_waitcnt vmcnt(6)
	v_fma_f64 v[8:9], v[14:15], v[46:47], -v[36:37]
	v_add_f64 v[14:15], v[54:55], 0
	v_add_f64 v[2:3], v[2:3], v[4:5]
	v_fmac_f64_e32 v[58:59], v[12:13], v[44:45]
	v_add_f64 v[14:15], v[14:15], v[56:57]
	v_add_f64 v[2:3], v[2:3], v[6:7]
	v_fmac_f64_e32 v[60:61], v[16:17], v[46:47]
	v_fma_f64 v[10:11], v[18:19], v[34:35], -v[32:33]
	v_add_f64 v[4:5], v[14:15], v[58:59]
	v_add_f64 v[2:3], v[2:3], v[8:9]
	s_waitcnt vmcnt(4)
	v_fma_f64 v[12:13], v[22:23], v[48:49], -v[38:39]
	v_add_f64 v[4:5], v[4:5], v[60:61]
	v_add_f64 v[2:3], v[2:3], v[10:11]
	v_fmac_f64_e32 v[64:65], v[24:25], v[48:49]
	v_add_f64 v[4:5], v[4:5], v[62:63]
	v_add_f64 v[2:3], v[2:3], v[12:13]
	;; [unrolled: 1-line block ×3, first 2 shown]
	s_waitcnt vmcnt(2)
	v_add_f64 v[2:3], v[50:51], -v[2:3]
	s_waitcnt vmcnt(0)
	v_add_f64 v[4:5], v[52:53], -v[4:5]
	buffer_store_dword v3, off, s[0:3], 0 offset:644
	buffer_store_dword v2, off, s[0:3], 0 offset:640
	;; [unrolled: 1-line block ×4, first 2 shown]
	s_and_saveexec_b64 s[4:5], vcc
	s_cbranch_execz .LBB45_213
; %bb.212:
	v_accvgpr_read_b32 v0, a99
	buffer_load_dword v2, v0, s[0:3], 0 offen
	buffer_load_dword v3, v0, s[0:3], 0 offen offset:4
	buffer_load_dword v4, v0, s[0:3], 0 offen offset:8
	buffer_load_dword v5, v0, s[0:3], 0 offen offset:12
	v_mov_b32_e32 v0, 0
	v_accvgpr_read_b32 v1, a138
	buffer_store_dword v0, off, s[0:3], 0 offset:624
	buffer_store_dword v0, off, s[0:3], 0 offset:628
	;; [unrolled: 1-line block ×4, first 2 shown]
	s_waitcnt vmcnt(4)
	ds_write_b128 v1, v[2:5]
.LBB45_213:
	s_or_b64 exec, exec, s[4:5]
	s_waitcnt lgkmcnt(0)
	; wave barrier
	s_waitcnt lgkmcnt(0)
	buffer_load_dword v30, off, s[0:3], 0 offset:648
	buffer_load_dword v31, off, s[0:3], 0 offset:652
	;; [unrolled: 1-line block ×32, first 2 shown]
	v_mov_b32_e32 v1, 0
	ds_read_b128 v[2:5], v1 offset:1360
	ds_read_b128 v[6:9], v1 offset:1376
	;; [unrolled: 1-line block ×7, first 2 shown]
	v_cmp_lt_u32_e32 vcc, 37, v254
	s_waitcnt vmcnt(30) lgkmcnt(6)
	v_mul_f64 v[62:63], v[2:3], v[30:31]
	v_mul_f64 v[30:31], v[4:5], v[30:31]
	s_waitcnt vmcnt(28) lgkmcnt(5)
	v_mul_f64 v[64:65], v[6:7], v[32:33]
	v_mul_f64 v[32:33], v[8:9], v[32:33]
	;; [unrolled: 3-line block ×4, first 2 shown]
	s_waitcnt vmcnt(21)
	v_mul_f64 v[68:69], v[14:15], v[40:41]
	v_mul_f64 v[40:41], v[16:17], v[40:41]
	s_waitcnt vmcnt(17) lgkmcnt(1)
	v_mul_f64 v[72:73], v[22:23], v[46:47]
	v_mul_f64 v[46:47], v[24:25], v[46:47]
	s_waitcnt vmcnt(16) lgkmcnt(0)
	v_mul_f64 v[74:75], v[26:27], v[42:43]
	v_mul_f64 v[42:43], v[28:29], v[42:43]
	s_waitcnt vmcnt(13)
	v_fma_f64 v[2:3], v[2:3], v[48:49], -v[30:31]
	v_fmac_f64_e32 v[62:63], v[4:5], v[48:49]
	s_waitcnt vmcnt(11)
	v_fma_f64 v[4:5], v[6:7], v[50:51], -v[32:33]
	v_add_f64 v[2:3], v[2:3], 0
	v_fmac_f64_e32 v[64:65], v[8:9], v[50:51]
	s_waitcnt vmcnt(9)
	v_fma_f64 v[6:7], v[10:11], v[52:53], -v[34:35]
	s_waitcnt vmcnt(7)
	v_fmac_f64_e32 v[68:69], v[16:17], v[54:55]
	v_add_f64 v[16:17], v[62:63], 0
	v_add_f64 v[2:3], v[2:3], v[4:5]
	v_fmac_f64_e32 v[66:67], v[12:13], v[52:53]
	v_fma_f64 v[8:9], v[14:15], v[54:55], -v[40:41]
	v_add_f64 v[16:17], v[16:17], v[64:65]
	v_add_f64 v[2:3], v[2:3], v[6:7]
	v_fma_f64 v[10:11], v[18:19], v[38:39], -v[36:37]
	v_add_f64 v[4:5], v[16:17], v[66:67]
	v_add_f64 v[2:3], v[2:3], v[8:9]
	v_fmac_f64_e32 v[70:71], v[20:21], v[38:39]
	s_waitcnt vmcnt(5)
	v_fma_f64 v[12:13], v[22:23], v[56:57], -v[46:47]
	v_add_f64 v[4:5], v[4:5], v[68:69]
	v_add_f64 v[2:3], v[2:3], v[10:11]
	v_fmac_f64_e32 v[72:73], v[24:25], v[56:57]
	s_waitcnt vmcnt(4)
	v_fma_f64 v[14:15], v[26:27], v[44:45], -v[42:43]
	v_add_f64 v[4:5], v[4:5], v[70:71]
	v_add_f64 v[2:3], v[2:3], v[12:13]
	v_fmac_f64_e32 v[74:75], v[28:29], v[44:45]
	v_add_f64 v[4:5], v[4:5], v[72:73]
	v_add_f64 v[2:3], v[2:3], v[14:15]
	;; [unrolled: 1-line block ×3, first 2 shown]
	s_waitcnt vmcnt(2)
	v_add_f64 v[2:3], v[58:59], -v[2:3]
	s_waitcnt vmcnt(0)
	v_add_f64 v[4:5], v[60:61], -v[4:5]
	buffer_store_dword v3, off, s[0:3], 0 offset:628
	buffer_store_dword v2, off, s[0:3], 0 offset:624
	;; [unrolled: 1-line block ×4, first 2 shown]
	s_and_saveexec_b64 s[4:5], vcc
	s_cbranch_execz .LBB45_215
; %bb.214:
	v_accvgpr_read_b32 v0, a100
	buffer_load_dword v2, v0, s[0:3], 0 offen
	buffer_load_dword v3, v0, s[0:3], 0 offen offset:4
	buffer_load_dword v4, v0, s[0:3], 0 offen offset:8
	;; [unrolled: 1-line block ×3, first 2 shown]
	v_accvgpr_read_b32 v0, a138
	buffer_store_dword v1, off, s[0:3], 0 offset:608
	buffer_store_dword v1, off, s[0:3], 0 offset:612
	buffer_store_dword v1, off, s[0:3], 0 offset:616
	buffer_store_dword v1, off, s[0:3], 0 offset:620
	s_waitcnt vmcnt(4)
	ds_write_b128 v0, v[2:5]
.LBB45_215:
	s_or_b64 exec, exec, s[4:5]
	s_waitcnt lgkmcnt(0)
	; wave barrier
	s_waitcnt lgkmcnt(0)
	buffer_load_dword v34, off, s[0:3], 0 offset:632
	buffer_load_dword v35, off, s[0:3], 0 offset:636
	;; [unrolled: 1-line block ×36, first 2 shown]
	ds_read_b128 v[2:5], v1 offset:1344
	ds_read_b128 v[6:9], v1 offset:1360
	ds_read_b128 v[10:13], v1 offset:1376
	ds_read_b128 v[14:17], v1 offset:1392
	ds_read_b128 v[18:21], v1 offset:1408
	ds_read_b128 v[22:25], v1 offset:1424
	ds_read_b128 v[26:29], v1 offset:1440
	ds_read_b128 v[30:33], v1 offset:1456
	v_cmp_lt_u32_e32 vcc, 36, v254
	s_waitcnt vmcnt(34) lgkmcnt(7)
	v_mul_f64 v[70:71], v[2:3], v[34:35]
	v_mul_f64 v[34:35], v[4:5], v[34:35]
	s_waitcnt vmcnt(32) lgkmcnt(6)
	v_mul_f64 v[72:73], v[6:7], v[36:37]
	v_mul_f64 v[36:37], v[8:9], v[36:37]
	;; [unrolled: 3-line block ×4, first 2 shown]
	s_waitcnt vmcnt(25)
	v_mul_f64 v[76:77], v[14:15], v[44:45]
	v_mul_f64 v[44:45], v[16:17], v[44:45]
	s_waitcnt vmcnt(23) lgkmcnt(1)
	v_mul_f64 v[82:83], v[26:27], v[46:47]
	v_mul_f64 v[46:47], v[28:29], v[46:47]
	s_waitcnt vmcnt(20)
	v_mul_f64 v[80:81], v[22:23], v[50:51]
	v_mul_f64 v[50:51], v[24:25], v[50:51]
	s_waitcnt vmcnt(18) lgkmcnt(0)
	v_mul_f64 v[84:85], v[30:31], v[52:53]
	s_waitcnt vmcnt(17)
	v_fmac_f64_e32 v[78:79], v[20:21], v[42:43]
	s_waitcnt vmcnt(16)
	v_fmac_f64_e32 v[82:83], v[28:29], v[48:49]
	s_waitcnt vmcnt(14)
	v_fma_f64 v[2:3], v[2:3], v[54:55], -v[34:35]
	v_fmac_f64_e32 v[70:71], v[4:5], v[54:55]
	s_waitcnt vmcnt(12)
	v_fma_f64 v[4:5], v[6:7], v[56:57], -v[36:37]
	v_add_f64 v[2:3], v[2:3], 0
	v_fmac_f64_e32 v[72:73], v[8:9], v[56:57]
	s_waitcnt vmcnt(10)
	v_fma_f64 v[6:7], v[10:11], v[58:59], -v[38:39]
	s_waitcnt vmcnt(8)
	v_fmac_f64_e32 v[76:77], v[16:17], v[60:61]
	v_add_f64 v[16:17], v[70:71], 0
	v_add_f64 v[2:3], v[2:3], v[4:5]
	v_fmac_f64_e32 v[74:75], v[12:13], v[58:59]
	v_fma_f64 v[8:9], v[14:15], v[60:61], -v[44:45]
	v_add_f64 v[16:17], v[16:17], v[72:73]
	v_add_f64 v[2:3], v[2:3], v[6:7]
	v_fma_f64 v[10:11], v[18:19], v[42:43], -v[40:41]
	v_add_f64 v[4:5], v[16:17], v[74:75]
	v_add_f64 v[2:3], v[2:3], v[8:9]
	s_waitcnt vmcnt(6)
	v_fma_f64 v[12:13], v[22:23], v[62:63], -v[50:51]
	v_add_f64 v[4:5], v[4:5], v[76:77]
	v_add_f64 v[2:3], v[2:3], v[10:11]
	v_fmac_f64_e32 v[80:81], v[24:25], v[62:63]
	v_fma_f64 v[14:15], v[26:27], v[48:49], -v[46:47]
	v_add_f64 v[4:5], v[4:5], v[78:79]
	v_add_f64 v[2:3], v[2:3], v[12:13]
	v_mul_f64 v[6:7], v[32:33], v[52:53]
	v_add_f64 v[4:5], v[4:5], v[80:81]
	v_add_f64 v[2:3], v[2:3], v[14:15]
	s_waitcnt vmcnt(4)
	v_fma_f64 v[6:7], v[30:31], v[64:65], -v[6:7]
	v_fmac_f64_e32 v[84:85], v[32:33], v[64:65]
	v_add_f64 v[4:5], v[4:5], v[82:83]
	v_add_f64 v[2:3], v[2:3], v[6:7]
	;; [unrolled: 1-line block ×3, first 2 shown]
	s_waitcnt vmcnt(2)
	v_add_f64 v[2:3], v[66:67], -v[2:3]
	s_waitcnt vmcnt(0)
	v_add_f64 v[4:5], v[68:69], -v[4:5]
	buffer_store_dword v3, off, s[0:3], 0 offset:612
	buffer_store_dword v2, off, s[0:3], 0 offset:608
	;; [unrolled: 1-line block ×4, first 2 shown]
	s_and_saveexec_b64 s[4:5], vcc
	s_cbranch_execz .LBB45_217
; %bb.216:
	v_accvgpr_read_b32 v0, a101
	buffer_load_dword v2, v0, s[0:3], 0 offen
	buffer_load_dword v3, v0, s[0:3], 0 offen offset:4
	buffer_load_dword v4, v0, s[0:3], 0 offen offset:8
	;; [unrolled: 1-line block ×3, first 2 shown]
	v_mov_b32_e32 v0, 0
	v_accvgpr_read_b32 v1, a138
	buffer_store_dword v0, off, s[0:3], 0 offset:592
	buffer_store_dword v0, off, s[0:3], 0 offset:596
	buffer_store_dword v0, off, s[0:3], 0 offset:600
	buffer_store_dword v0, off, s[0:3], 0 offset:604
	s_waitcnt vmcnt(4)
	ds_write_b128 v1, v[2:5]
.LBB45_217:
	s_or_b64 exec, exec, s[4:5]
	s_waitcnt lgkmcnt(0)
	; wave barrier
	s_waitcnt lgkmcnt(0)
	buffer_load_dword v38, off, s[0:3], 0 offset:616
	buffer_load_dword v39, off, s[0:3], 0 offset:620
	;; [unrolled: 1-line block ×40, first 2 shown]
	v_mov_b32_e32 v1, 0
	ds_read_b128 v[2:5], v1 offset:1328
	ds_read_b128 v[6:9], v1 offset:1344
	;; [unrolled: 1-line block ×9, first 2 shown]
	v_cmp_lt_u32_e32 vcc, 35, v254
	s_waitcnt vmcnt(38) lgkmcnt(8)
	v_mul_f64 v[78:79], v[2:3], v[38:39]
	v_mul_f64 v[38:39], v[4:5], v[38:39]
	s_waitcnt vmcnt(36) lgkmcnt(7)
	v_mul_f64 v[80:81], v[6:7], v[40:41]
	v_mul_f64 v[40:41], v[8:9], v[40:41]
	;; [unrolled: 3-line block ×3, first 2 shown]
	s_waitcnt vmcnt(32) lgkmcnt(4)
	v_mul_f64 v[86:87], v[18:19], v[44:45]
	s_waitcnt vmcnt(30)
	v_fmac_f64_e32 v[86:87], v[20:21], v[46:47]
	s_waitcnt vmcnt(28)
	v_mul_f64 v[84:85], v[14:15], v[48:49]
	v_mul_f64 v[48:49], v[16:17], v[48:49]
	s_waitcnt vmcnt(26) lgkmcnt(2)
	v_mul_f64 v[90:91], v[26:27], v[50:51]
	s_waitcnt vmcnt(24)
	v_fmac_f64_e32 v[90:91], v[28:29], v[52:53]
	s_waitcnt vmcnt(22)
	v_mul_f64 v[88:89], v[22:23], v[54:55]
	s_waitcnt vmcnt(18) lgkmcnt(1)
	v_mul_f64 v[92:93], v[30:31], v[60:61]
	s_waitcnt vmcnt(17) lgkmcnt(0)
	v_mul_f64 v[94:95], v[34:35], v[56:57]
	s_waitcnt vmcnt(15)
	v_fma_f64 v[2:3], v[2:3], v[62:63], -v[38:39]
	v_fmac_f64_e32 v[78:79], v[4:5], v[62:63]
	s_waitcnt vmcnt(13)
	v_fma_f64 v[4:5], v[6:7], v[64:65], -v[40:41]
	v_add_f64 v[2:3], v[2:3], 0
	s_waitcnt vmcnt(11)
	v_fma_f64 v[6:7], v[10:11], v[66:67], -v[42:43]
	v_add_f64 v[2:3], v[2:3], v[4:5]
	v_fmac_f64_e32 v[80:81], v[8:9], v[64:65]
	s_waitcnt vmcnt(9)
	v_fma_f64 v[8:9], v[14:15], v[68:69], -v[48:49]
	v_add_f64 v[2:3], v[2:3], v[6:7]
	v_mul_f64 v[6:7], v[20:21], v[44:45]
	v_add_f64 v[2:3], v[2:3], v[8:9]
	v_fma_f64 v[6:7], v[18:19], v[46:47], -v[6:7]
	v_add_f64 v[2:3], v[2:3], v[6:7]
	v_mul_f64 v[6:7], v[24:25], v[54:55]
	v_add_f64 v[10:11], v[78:79], 0
	s_waitcnt vmcnt(7)
	v_fma_f64 v[6:7], v[22:23], v[70:71], -v[6:7]
	v_fmac_f64_e32 v[82:83], v[12:13], v[66:67]
	v_add_f64 v[10:11], v[10:11], v[80:81]
	v_add_f64 v[2:3], v[2:3], v[6:7]
	v_mul_f64 v[6:7], v[28:29], v[50:51]
	v_fmac_f64_e32 v[84:85], v[16:17], v[68:69]
	v_add_f64 v[4:5], v[10:11], v[82:83]
	v_fma_f64 v[6:7], v[26:27], v[52:53], -v[6:7]
	v_add_f64 v[4:5], v[4:5], v[84:85]
	v_add_f64 v[2:3], v[2:3], v[6:7]
	v_mul_f64 v[6:7], v[32:33], v[60:61]
	v_fmac_f64_e32 v[88:89], v[24:25], v[70:71]
	v_add_f64 v[4:5], v[4:5], v[86:87]
	s_waitcnt vmcnt(5)
	v_fma_f64 v[6:7], v[30:31], v[72:73], -v[6:7]
	v_add_f64 v[4:5], v[4:5], v[88:89]
	v_add_f64 v[2:3], v[2:3], v[6:7]
	v_mul_f64 v[6:7], v[36:37], v[56:57]
	v_fmac_f64_e32 v[92:93], v[32:33], v[72:73]
	v_add_f64 v[4:5], v[4:5], v[90:91]
	s_waitcnt vmcnt(4)
	v_fma_f64 v[6:7], v[34:35], v[58:59], -v[6:7]
	v_fmac_f64_e32 v[94:95], v[36:37], v[58:59]
	v_add_f64 v[4:5], v[4:5], v[92:93]
	v_add_f64 v[2:3], v[2:3], v[6:7]
	;; [unrolled: 1-line block ×3, first 2 shown]
	s_waitcnt vmcnt(2)
	v_add_f64 v[2:3], v[74:75], -v[2:3]
	s_waitcnt vmcnt(0)
	v_add_f64 v[4:5], v[76:77], -v[4:5]
	buffer_store_dword v3, off, s[0:3], 0 offset:596
	buffer_store_dword v2, off, s[0:3], 0 offset:592
	;; [unrolled: 1-line block ×4, first 2 shown]
	s_and_saveexec_b64 s[4:5], vcc
	s_cbranch_execz .LBB45_219
; %bb.218:
	v_accvgpr_read_b32 v0, a102
	buffer_load_dword v2, v0, s[0:3], 0 offen
	buffer_load_dword v3, v0, s[0:3], 0 offen offset:4
	buffer_load_dword v4, v0, s[0:3], 0 offen offset:8
	;; [unrolled: 1-line block ×3, first 2 shown]
	v_accvgpr_read_b32 v0, a138
	buffer_store_dword v1, off, s[0:3], 0 offset:576
	buffer_store_dword v1, off, s[0:3], 0 offset:580
	;; [unrolled: 1-line block ×4, first 2 shown]
	s_waitcnt vmcnt(4)
	ds_write_b128 v0, v[2:5]
.LBB45_219:
	s_or_b64 exec, exec, s[4:5]
	s_waitcnt lgkmcnt(0)
	; wave barrier
	s_waitcnt lgkmcnt(0)
	buffer_load_dword v4, off, s[0:3], 0 offset:592
	buffer_load_dword v5, off, s[0:3], 0 offset:596
	;; [unrolled: 1-line block ×44, first 2 shown]
	ds_read_b128 v[6:9], v1 offset:1312
	ds_read_b128 v[10:13], v1 offset:1328
	;; [unrolled: 1-line block ×10, first 2 shown]
	v_cmp_lt_u32_e32 vcc, 34, v254
	s_waitcnt vmcnt(40) lgkmcnt(9)
	v_mul_f64 v[86:87], v[6:7], v[46:47]
	v_mul_f64 v[46:47], v[8:9], v[46:47]
	s_waitcnt vmcnt(38) lgkmcnt(8)
	v_mul_f64 v[88:89], v[10:11], v[48:49]
	v_mul_f64 v[48:49], v[12:13], v[48:49]
	v_fmac_f64_e32 v[86:87], v[8:9], v[4:5]
	v_fma_f64 v[4:5], v[6:7], v[4:5], -v[46:47]
	s_waitcnt vmcnt(36) lgkmcnt(7)
	v_mul_f64 v[90:91], v[14:15], v[2:3]
	v_add_f64 v[4:5], v[4:5], 0
	v_mul_f64 v[2:3], v[16:17], v[2:3]
	v_add_f64 v[8:9], v[86:87], 0
	s_waitcnt vmcnt(30) lgkmcnt(6)
	v_mul_f64 v[92:93], v[18:19], v[54:55]
	s_waitcnt lgkmcnt(5)
	v_mul_f64 v[94:95], v[22:23], v[50:51]
	v_fmac_f64_e32 v[94:95], v[24:25], v[52:53]
	s_waitcnt vmcnt(28) lgkmcnt(3)
	v_mul_f64 v[98:99], v[30:31], v[56:57]
	s_waitcnt vmcnt(26)
	v_fmac_f64_e32 v[98:99], v[32:33], v[58:59]
	s_waitcnt vmcnt(24)
	v_mul_f64 v[96:97], v[26:27], v[60:61]
	s_waitcnt vmcnt(22) lgkmcnt(1)
	v_mul_f64 v[102:103], v[38:39], v[62:63]
	s_waitcnt vmcnt(20)
	v_fmac_f64_e32 v[102:103], v[40:41], v[64:65]
	s_waitcnt vmcnt(18)
	v_mul_f64 v[100:101], v[34:35], v[66:67]
	s_waitcnt vmcnt(16) lgkmcnt(0)
	v_mul_f64 v[104:105], v[42:43], v[68:69]
	s_waitcnt vmcnt(14)
	v_fma_f64 v[6:7], v[10:11], v[70:71], -v[48:49]
	v_add_f64 v[4:5], v[4:5], v[6:7]
	s_waitcnt vmcnt(12)
	v_fma_f64 v[2:3], v[14:15], v[72:73], -v[2:3]
	v_add_f64 v[2:3], v[4:5], v[2:3]
	v_mul_f64 v[4:5], v[20:21], v[54:55]
	s_waitcnt vmcnt(10)
	v_fma_f64 v[4:5], v[18:19], v[74:75], -v[4:5]
	v_add_f64 v[2:3], v[2:3], v[4:5]
	v_mul_f64 v[4:5], v[24:25], v[50:51]
	v_fma_f64 v[4:5], v[22:23], v[52:53], -v[4:5]
	v_add_f64 v[2:3], v[2:3], v[4:5]
	v_mul_f64 v[4:5], v[28:29], v[60:61]
	s_waitcnt vmcnt(8)
	v_fma_f64 v[4:5], v[26:27], v[76:77], -v[4:5]
	v_fmac_f64_e32 v[88:89], v[12:13], v[70:71]
	v_add_f64 v[2:3], v[2:3], v[4:5]
	v_mul_f64 v[4:5], v[32:33], v[56:57]
	v_fmac_f64_e32 v[90:91], v[16:17], v[72:73]
	v_add_f64 v[8:9], v[8:9], v[88:89]
	v_fma_f64 v[4:5], v[30:31], v[58:59], -v[4:5]
	v_fmac_f64_e32 v[92:93], v[20:21], v[74:75]
	v_add_f64 v[6:7], v[8:9], v[90:91]
	v_add_f64 v[2:3], v[2:3], v[4:5]
	v_mul_f64 v[4:5], v[36:37], v[66:67]
	v_add_f64 v[6:7], v[6:7], v[92:93]
	s_waitcnt vmcnt(6)
	v_fma_f64 v[4:5], v[34:35], v[78:79], -v[4:5]
	v_fmac_f64_e32 v[96:97], v[28:29], v[76:77]
	v_add_f64 v[6:7], v[6:7], v[94:95]
	v_add_f64 v[2:3], v[2:3], v[4:5]
	v_mul_f64 v[4:5], v[40:41], v[62:63]
	v_add_f64 v[6:7], v[6:7], v[96:97]
	v_fma_f64 v[4:5], v[38:39], v[64:65], -v[4:5]
	v_fmac_f64_e32 v[100:101], v[36:37], v[78:79]
	v_add_f64 v[6:7], v[6:7], v[98:99]
	v_add_f64 v[2:3], v[2:3], v[4:5]
	v_mul_f64 v[4:5], v[44:45], v[68:69]
	v_add_f64 v[6:7], v[6:7], v[100:101]
	s_waitcnt vmcnt(4)
	v_fma_f64 v[4:5], v[42:43], v[80:81], -v[4:5]
	v_fmac_f64_e32 v[104:105], v[44:45], v[80:81]
	v_add_f64 v[6:7], v[6:7], v[102:103]
	v_add_f64 v[2:3], v[2:3], v[4:5]
	;; [unrolled: 1-line block ×3, first 2 shown]
	s_waitcnt vmcnt(2)
	v_add_f64 v[2:3], v[82:83], -v[2:3]
	s_waitcnt vmcnt(0)
	v_add_f64 v[4:5], v[84:85], -v[6:7]
	buffer_store_dword v3, off, s[0:3], 0 offset:580
	buffer_store_dword v2, off, s[0:3], 0 offset:576
	;; [unrolled: 1-line block ×4, first 2 shown]
	s_and_saveexec_b64 s[4:5], vcc
	s_cbranch_execz .LBB45_221
; %bb.220:
	v_accvgpr_read_b32 v0, a103
	buffer_load_dword v2, v0, s[0:3], 0 offen
	buffer_load_dword v3, v0, s[0:3], 0 offen offset:4
	buffer_load_dword v4, v0, s[0:3], 0 offen offset:8
	;; [unrolled: 1-line block ×3, first 2 shown]
	v_mov_b32_e32 v0, 0
	v_accvgpr_read_b32 v1, a138
	buffer_store_dword v0, off, s[0:3], 0 offset:560
	buffer_store_dword v0, off, s[0:3], 0 offset:564
	;; [unrolled: 1-line block ×4, first 2 shown]
	s_waitcnt vmcnt(4)
	ds_write_b128 v1, v[2:5]
.LBB45_221:
	s_or_b64 exec, exec, s[4:5]
	s_waitcnt lgkmcnt(0)
	; wave barrier
	s_waitcnt lgkmcnt(0)
	buffer_load_dword v2, off, s[0:3], 0 offset:576
	buffer_load_dword v3, off, s[0:3], 0 offset:580
	;; [unrolled: 1-line block ×48, first 2 shown]
	v_mov_b32_e32 v1, 0
	ds_read_b128 v[12:15], v1 offset:1296
	ds_read_b128 v[16:19], v1 offset:1312
	;; [unrolled: 1-line block ×11, first 2 shown]
	v_cmp_lt_u32_e32 vcc, 33, v254
	s_waitcnt vmcnt(44) lgkmcnt(10)
	v_mul_f64 v[94:95], v[12:13], v[6:7]
	v_mul_f64 v[6:7], v[14:15], v[6:7]
	v_fmac_f64_e32 v[94:95], v[14:15], v[2:3]
	v_fma_f64 v[2:3], v[12:13], v[2:3], -v[6:7]
	s_waitcnt vmcnt(40) lgkmcnt(9)
	v_mul_f64 v[96:97], v[16:17], v[8:9]
	v_mul_f64 v[6:7], v[18:19], v[8:9]
	v_fmac_f64_e32 v[96:97], v[18:19], v[4:5]
	v_add_f64 v[2:3], v[2:3], 0
	v_fma_f64 v[4:5], v[16:17], v[4:5], -v[6:7]
	v_add_f64 v[2:3], v[2:3], v[4:5]
	s_waitcnt vmcnt(38) lgkmcnt(8)
	v_mul_f64 v[4:5], v[22:23], v[10:11]
	v_mul_f64 v[98:99], v[20:21], v[10:11]
	v_add_f64 v[94:95], v[94:95], 0
	s_waitcnt vmcnt(32) lgkmcnt(7)
	v_mul_f64 v[100:101], v[24:25], v[60:61]
	v_add_f64 v[94:95], v[94:95], v[96:97]
	s_waitcnt lgkmcnt(6)
	v_mul_f64 v[102:103], v[28:29], v[56:57]
	v_fmac_f64_e32 v[102:103], v[30:31], v[58:59]
	s_waitcnt vmcnt(30) lgkmcnt(4)
	v_mul_f64 v[106:107], v[36:37], v[62:63]
	s_waitcnt vmcnt(26)
	v_mul_f64 v[104:105], v[32:33], v[66:67]
	v_fmac_f64_e32 v[106:107], v[38:39], v[64:65]
	s_waitcnt vmcnt(24) lgkmcnt(2)
	v_mul_f64 v[110:111], v[44:45], v[68:69]
	s_waitcnt vmcnt(22)
	v_fmac_f64_e32 v[110:111], v[46:47], v[70:71]
	s_waitcnt vmcnt(20)
	v_mul_f64 v[108:109], v[40:41], v[72:73]
	s_waitcnt vmcnt(16) lgkmcnt(1)
	v_mul_f64 v[112:113], v[48:49], v[78:79]
	s_waitcnt vmcnt(14)
	v_fma_f64 v[4:5], v[20:21], v[80:81], -v[4:5]
	v_add_f64 v[2:3], v[2:3], v[4:5]
	v_mul_f64 v[4:5], v[26:27], v[60:61]
	s_waitcnt vmcnt(12)
	v_fma_f64 v[4:5], v[24:25], v[82:83], -v[4:5]
	v_add_f64 v[2:3], v[2:3], v[4:5]
	v_mul_f64 v[4:5], v[30:31], v[56:57]
	v_fma_f64 v[4:5], v[28:29], v[58:59], -v[4:5]
	v_add_f64 v[2:3], v[2:3], v[4:5]
	v_mul_f64 v[4:5], v[34:35], v[66:67]
	s_waitcnt vmcnt(10)
	v_fma_f64 v[4:5], v[32:33], v[84:85], -v[4:5]
	v_add_f64 v[2:3], v[2:3], v[4:5]
	v_mul_f64 v[4:5], v[38:39], v[62:63]
	v_fma_f64 v[4:5], v[36:37], v[64:65], -v[4:5]
	v_fmac_f64_e32 v[98:99], v[22:23], v[80:81]
	v_add_f64 v[2:3], v[2:3], v[4:5]
	v_mul_f64 v[4:5], v[42:43], v[72:73]
	v_fmac_f64_e32 v[100:101], v[26:27], v[82:83]
	v_add_f64 v[94:95], v[94:95], v[98:99]
	s_waitcnt vmcnt(8)
	v_fma_f64 v[4:5], v[40:41], v[86:87], -v[4:5]
	v_add_f64 v[94:95], v[94:95], v[100:101]
	v_add_f64 v[2:3], v[2:3], v[4:5]
	v_mul_f64 v[4:5], v[46:47], v[68:69]
	v_fmac_f64_e32 v[104:105], v[34:35], v[84:85]
	v_add_f64 v[94:95], v[94:95], v[102:103]
	v_fma_f64 v[4:5], v[44:45], v[70:71], -v[4:5]
	v_add_f64 v[94:95], v[94:95], v[104:105]
	v_add_f64 v[2:3], v[2:3], v[4:5]
	v_mul_f64 v[4:5], v[50:51], v[78:79]
	v_fmac_f64_e32 v[108:109], v[42:43], v[86:87]
	v_add_f64 v[94:95], v[94:95], v[106:107]
	s_waitcnt vmcnt(6)
	v_fma_f64 v[4:5], v[48:49], v[88:89], -v[4:5]
	v_add_f64 v[94:95], v[94:95], v[108:109]
	v_add_f64 v[2:3], v[2:3], v[4:5]
	s_waitcnt vmcnt(5) lgkmcnt(0)
	v_mul_f64 v[4:5], v[54:55], v[74:75]
	v_fmac_f64_e32 v[112:113], v[50:51], v[88:89]
	v_add_f64 v[94:95], v[94:95], v[110:111]
	v_mul_f64 v[96:97], v[52:53], v[74:75]
	s_waitcnt vmcnt(4)
	v_fma_f64 v[4:5], v[52:53], v[76:77], -v[4:5]
	v_add_f64 v[94:95], v[94:95], v[112:113]
	v_fmac_f64_e32 v[96:97], v[54:55], v[76:77]
	v_add_f64 v[2:3], v[2:3], v[4:5]
	v_add_f64 v[94:95], v[94:95], v[96:97]
	s_waitcnt vmcnt(2)
	v_add_f64 v[2:3], v[90:91], -v[2:3]
	s_waitcnt vmcnt(0)
	v_add_f64 v[4:5], v[92:93], -v[94:95]
	buffer_store_dword v3, off, s[0:3], 0 offset:564
	buffer_store_dword v2, off, s[0:3], 0 offset:560
	;; [unrolled: 1-line block ×4, first 2 shown]
	s_and_saveexec_b64 s[4:5], vcc
	s_cbranch_execz .LBB45_223
; %bb.222:
	v_accvgpr_read_b32 v0, a104
	buffer_load_dword v2, v0, s[0:3], 0 offen
	buffer_load_dword v3, v0, s[0:3], 0 offen offset:4
	buffer_load_dword v4, v0, s[0:3], 0 offen offset:8
	;; [unrolled: 1-line block ×3, first 2 shown]
	v_accvgpr_read_b32 v0, a138
	buffer_store_dword v1, off, s[0:3], 0 offset:544
	buffer_store_dword v1, off, s[0:3], 0 offset:548
	;; [unrolled: 1-line block ×4, first 2 shown]
	s_waitcnt vmcnt(4)
	ds_write_b128 v0, v[2:5]
.LBB45_223:
	s_or_b64 exec, exec, s[4:5]
	s_waitcnt lgkmcnt(0)
	; wave barrier
	s_waitcnt lgkmcnt(0)
	buffer_load_dword v2, off, s[0:3], 0 offset:560
	buffer_load_dword v3, off, s[0:3], 0 offset:564
	;; [unrolled: 1-line block ×52, first 2 shown]
	ds_read_b128 v[12:15], v1 offset:1280
	ds_read_b128 v[16:19], v1 offset:1296
	;; [unrolled: 1-line block ×10, first 2 shown]
	v_cmp_lt_u32_e32 vcc, 32, v254
	s_waitcnt vmcnt(48) lgkmcnt(9)
	v_mul_f64 v[52:53], v[12:13], v[6:7]
	v_mul_f64 v[6:7], v[14:15], v[6:7]
	v_fmac_f64_e32 v[52:53], v[14:15], v[2:3]
	v_fma_f64 v[2:3], v[12:13], v[2:3], -v[6:7]
	s_waitcnt vmcnt(44) lgkmcnt(8)
	v_mul_f64 v[54:55], v[16:17], v[8:9]
	v_mul_f64 v[6:7], v[18:19], v[8:9]
	v_fmac_f64_e32 v[54:55], v[18:19], v[4:5]
	v_add_f64 v[2:3], v[2:3], 0
	v_fma_f64 v[4:5], v[16:17], v[4:5], -v[6:7]
	v_add_f64 v[2:3], v[2:3], v[4:5]
	s_waitcnt vmcnt(42) lgkmcnt(7)
	v_mul_f64 v[4:5], v[22:23], v[10:11]
	v_mul_f64 v[56:57], v[20:21], v[10:11]
	v_add_f64 v[52:53], v[52:53], 0
	s_waitcnt vmcnt(36) lgkmcnt(6)
	v_mul_f64 v[58:59], v[24:25], v[64:65]
	v_add_f64 v[52:53], v[52:53], v[54:55]
	s_waitcnt lgkmcnt(5)
	v_mul_f64 v[102:103], v[28:29], v[60:61]
	v_fmac_f64_e32 v[102:103], v[30:31], v[62:63]
	s_waitcnt vmcnt(34) lgkmcnt(3)
	v_mul_f64 v[106:107], v[36:37], v[66:67]
	s_waitcnt vmcnt(30)
	v_mul_f64 v[104:105], v[32:33], v[70:71]
	v_fmac_f64_e32 v[106:107], v[38:39], v[68:69]
	s_waitcnt vmcnt(26) lgkmcnt(2)
	v_mul_f64 v[108:109], v[40:41], v[76:77]
	s_waitcnt vmcnt(25) lgkmcnt(1)
	v_mul_f64 v[110:111], v[44:45], v[72:73]
	s_waitcnt vmcnt(23)
	v_fma_f64 v[4:5], v[20:21], v[78:79], -v[4:5]
	v_add_f64 v[2:3], v[2:3], v[4:5]
	v_mul_f64 v[4:5], v[26:27], v[64:65]
	s_waitcnt vmcnt(21)
	v_fma_f64 v[4:5], v[24:25], v[80:81], -v[4:5]
	v_fmac_f64_e32 v[56:57], v[22:23], v[78:79]
	v_add_f64 v[2:3], v[2:3], v[4:5]
	v_mul_f64 v[4:5], v[30:31], v[60:61]
	v_fmac_f64_e32 v[58:59], v[26:27], v[80:81]
	v_add_f64 v[52:53], v[52:53], v[56:57]
	v_fma_f64 v[4:5], v[28:29], v[62:63], -v[4:5]
	v_add_f64 v[52:53], v[52:53], v[58:59]
	v_add_f64 v[2:3], v[2:3], v[4:5]
	v_mul_f64 v[4:5], v[34:35], v[70:71]
	s_waitcnt vmcnt(19)
	v_fmac_f64_e32 v[104:105], v[34:35], v[82:83]
	v_add_f64 v[52:53], v[52:53], v[102:103]
	v_fma_f64 v[4:5], v[32:33], v[82:83], -v[4:5]
	v_add_f64 v[52:53], v[52:53], v[104:105]
	v_add_f64 v[2:3], v[2:3], v[4:5]
	v_mul_f64 v[4:5], v[38:39], v[66:67]
	s_waitcnt vmcnt(17)
	v_fmac_f64_e32 v[108:109], v[42:43], v[84:85]
	v_add_f64 v[52:53], v[52:53], v[106:107]
	v_fma_f64 v[4:5], v[36:37], v[68:69], -v[4:5]
	s_waitcnt vmcnt(16)
	v_fmac_f64_e32 v[110:111], v[46:47], v[74:75]
	v_add_f64 v[52:53], v[52:53], v[108:109]
	v_add_f64 v[2:3], v[2:3], v[4:5]
	v_mul_f64 v[4:5], v[42:43], v[76:77]
	v_add_f64 v[102:103], v[52:53], v[110:111]
	ds_read_b128 v[52:55], v1 offset:1440
	ds_read_b128 v[56:59], v1 offset:1456
	v_fma_f64 v[4:5], v[40:41], v[84:85], -v[4:5]
	v_add_f64 v[2:3], v[2:3], v[4:5]
	v_mul_f64 v[4:5], v[46:47], v[72:73]
	v_fma_f64 v[4:5], v[44:45], v[74:75], -v[4:5]
	v_add_f64 v[2:3], v[2:3], v[4:5]
	s_waitcnt vmcnt(12) lgkmcnt(2)
	v_mul_f64 v[4:5], v[50:51], v[90:91]
	v_mul_f64 v[104:105], v[48:49], v[90:91]
	s_waitcnt vmcnt(10)
	v_fma_f64 v[4:5], v[48:49], v[92:93], -v[4:5]
	v_fmac_f64_e32 v[104:105], v[50:51], v[92:93]
	v_add_f64 v[2:3], v[2:3], v[4:5]
	s_waitcnt vmcnt(8) lgkmcnt(1)
	v_mul_f64 v[4:5], v[54:55], v[86:87]
	v_add_f64 v[102:103], v[102:103], v[104:105]
	v_mul_f64 v[104:105], v[52:53], v[86:87]
	v_fma_f64 v[4:5], v[52:53], v[88:89], -v[4:5]
	v_fmac_f64_e32 v[104:105], v[54:55], v[88:89]
	v_add_f64 v[2:3], v[2:3], v[4:5]
	s_waitcnt vmcnt(6) lgkmcnt(0)
	v_mul_f64 v[4:5], v[58:59], v[94:95]
	v_add_f64 v[102:103], v[102:103], v[104:105]
	v_mul_f64 v[104:105], v[56:57], v[94:95]
	s_waitcnt vmcnt(4)
	v_fma_f64 v[4:5], v[56:57], v[96:97], -v[4:5]
	v_fmac_f64_e32 v[104:105], v[58:59], v[96:97]
	v_add_f64 v[2:3], v[2:3], v[4:5]
	v_add_f64 v[102:103], v[102:103], v[104:105]
	s_waitcnt vmcnt(2)
	v_add_f64 v[2:3], v[98:99], -v[2:3]
	s_waitcnt vmcnt(0)
	v_add_f64 v[4:5], v[100:101], -v[102:103]
	buffer_store_dword v3, off, s[0:3], 0 offset:548
	buffer_store_dword v2, off, s[0:3], 0 offset:544
	buffer_store_dword v5, off, s[0:3], 0 offset:556
	buffer_store_dword v4, off, s[0:3], 0 offset:552
	s_and_saveexec_b64 s[4:5], vcc
	s_cbranch_execz .LBB45_225
; %bb.224:
	v_accvgpr_read_b32 v0, a105
	buffer_load_dword v2, v0, s[0:3], 0 offen
	buffer_load_dword v3, v0, s[0:3], 0 offen offset:4
	buffer_load_dword v4, v0, s[0:3], 0 offen offset:8
	;; [unrolled: 1-line block ×3, first 2 shown]
	v_mov_b32_e32 v0, 0
	v_accvgpr_read_b32 v1, a138
	buffer_store_dword v0, off, s[0:3], 0 offset:528
	buffer_store_dword v0, off, s[0:3], 0 offset:532
	;; [unrolled: 1-line block ×4, first 2 shown]
	s_waitcnt vmcnt(4)
	ds_write_b128 v1, v[2:5]
.LBB45_225:
	s_or_b64 exec, exec, s[4:5]
	s_waitcnt lgkmcnt(0)
	; wave barrier
	s_waitcnt lgkmcnt(0)
	buffer_load_dword v2, off, s[0:3], 0 offset:544
	buffer_load_dword v3, off, s[0:3], 0 offset:548
	buffer_load_dword v6, off, s[0:3], 0 offset:552
	buffer_load_dword v7, off, s[0:3], 0 offset:556
	buffer_load_dword v4, off, s[0:3], 0 offset:560
	buffer_load_dword v5, off, s[0:3], 0 offset:564
	buffer_load_dword v8, off, s[0:3], 0 offset:568
	buffer_load_dword v9, off, s[0:3], 0 offset:572
	buffer_load_dword v10, off, s[0:3], 0 offset:584
	buffer_load_dword v11, off, s[0:3], 0 offset:588
	buffer_load_dword v13, off, s[0:3], 0 offset:620
	buffer_load_dword v12, off, s[0:3], 0 offset:616
	buffer_load_dword v15, off, s[0:3], 0 offset:612
	buffer_load_dword v14, off, s[0:3], 0 offset:608
	buffer_load_dword v17, off, s[0:3], 0 offset:604
	buffer_load_dword v16, off, s[0:3], 0 offset:600
	buffer_load_dword v70, off, s[0:3], 0 offset:648
	buffer_load_dword v72, off, s[0:3], 0 offset:640
	buffer_load_dword v75, off, s[0:3], 0 offset:636
	buffer_load_dword v74, off, s[0:3], 0 offset:632
	buffer_load_dword v71, off, s[0:3], 0 offset:652
	buffer_load_dword v76, off, s[0:3], 0 offset:576
	buffer_load_dword v77, off, s[0:3], 0 offset:580
	buffer_load_dword v79, off, s[0:3], 0 offset:596
	buffer_load_dword v78, off, s[0:3], 0 offset:592
	buffer_load_dword v81, off, s[0:3], 0 offset:628
	buffer_load_dword v80, off, s[0:3], 0 offset:624
	buffer_load_dword v73, off, s[0:3], 0 offset:644
	buffer_load_dword v82, off, s[0:3], 0 offset:680
	buffer_load_dword v84, off, s[0:3], 0 offset:672
	buffer_load_dword v87, off, s[0:3], 0 offset:668
	buffer_load_dword v86, off, s[0:3], 0 offset:664
	buffer_load_dword v89, off, s[0:3], 0 offset:660
	buffer_load_dword v88, off, s[0:3], 0 offset:656
	buffer_load_dword v85, off, s[0:3], 0 offset:676
	buffer_load_dword v83, off, s[0:3], 0 offset:684
	buffer_load_dword v90, off, s[0:3], 0 offset:712
	buffer_load_dword v92, off, s[0:3], 0 offset:704
	buffer_load_dword v95, off, s[0:3], 0 offset:700
	buffer_load_dword v94, off, s[0:3], 0 offset:696
	buffer_load_dword v97, off, s[0:3], 0 offset:692
	buffer_load_dword v96, off, s[0:3], 0 offset:688
	buffer_load_dword v93, off, s[0:3], 0 offset:708
	buffer_load_dword v91, off, s[0:3], 0 offset:716
	buffer_load_dword v98, off, s[0:3], 0 offset:744
	buffer_load_dword v100, off, s[0:3], 0 offset:736
	buffer_load_dword v103, off, s[0:3], 0 offset:732
	buffer_load_dword v102, off, s[0:3], 0 offset:728
	buffer_load_dword v105, off, s[0:3], 0 offset:724
	buffer_load_dword v104, off, s[0:3], 0 offset:720
	buffer_load_dword v99, off, s[0:3], 0 offset:748
	buffer_load_dword v101, off, s[0:3], 0 offset:740
	buffer_load_dword v106, off, s[0:3], 0 offset:528
	buffer_load_dword v107, off, s[0:3], 0 offset:532
	buffer_load_dword v108, off, s[0:3], 0 offset:536
	buffer_load_dword v109, off, s[0:3], 0 offset:540
	v_mov_b32_e32 v1, 0
	ds_read_b128 v[18:21], v1 offset:1264
	ds_read_b128 v[22:25], v1 offset:1280
	;; [unrolled: 1-line block ×9, first 2 shown]
	v_cmp_lt_u32_e32 vcc, 31, v254
	s_waitcnt vmcnt(52) lgkmcnt(8)
	v_mul_f64 v[50:51], v[18:19], v[6:7]
	v_fmac_f64_e32 v[50:51], v[20:21], v[2:3]
	v_mul_f64 v[6:7], v[20:21], v[6:7]
	v_add_f64 v[50:51], v[50:51], 0
	s_waitcnt vmcnt(48) lgkmcnt(7)
	v_mul_f64 v[52:53], v[22:23], v[8:9]
	v_fmac_f64_e32 v[52:53], v[24:25], v[4:5]
	s_waitcnt vmcnt(46) lgkmcnt(6)
	v_mul_f64 v[54:55], v[26:27], v[10:11]
	v_fma_f64 v[2:3], v[18:19], v[2:3], -v[6:7]
	v_mul_f64 v[6:7], v[24:25], v[8:9]
	v_add_f64 v[50:51], v[50:51], v[52:53]
	v_add_f64 v[2:3], v[2:3], 0
	v_fma_f64 v[4:5], v[22:23], v[4:5], -v[6:7]
	s_waitcnt vmcnt(40) lgkmcnt(5)
	v_mul_f64 v[56:57], v[30:31], v[16:17]
	s_waitcnt lgkmcnt(4)
	v_mul_f64 v[58:59], v[34:35], v[12:13]
	v_add_f64 v[2:3], v[2:3], v[4:5]
	v_mul_f64 v[4:5], v[28:29], v[10:11]
	s_waitcnt vmcnt(36) lgkmcnt(3)
	v_mul_f64 v[60:61], v[38:39], v[74:75]
	v_fmac_f64_e32 v[58:59], v[36:37], v[14:15]
	s_waitcnt vmcnt(35) lgkmcnt(2)
	v_mul_f64 v[62:63], v[42:43], v[70:71]
	s_waitcnt vmcnt(33)
	v_fmac_f64_e32 v[54:55], v[28:29], v[76:77]
	v_add_f64 v[50:51], v[50:51], v[54:55]
	s_waitcnt vmcnt(31)
	v_fmac_f64_e32 v[56:57], v[32:33], v[78:79]
	v_add_f64 v[50:51], v[50:51], v[56:57]
	v_fma_f64 v[4:5], v[26:27], v[76:77], -v[4:5]
	s_waitcnt vmcnt(29)
	v_fmac_f64_e32 v[60:61], v[40:41], v[80:81]
	v_add_f64 v[50:51], v[50:51], v[58:59]
	v_add_f64 v[2:3], v[2:3], v[4:5]
	v_mul_f64 v[4:5], v[32:33], v[16:17]
	s_waitcnt vmcnt(28)
	v_fmac_f64_e32 v[62:63], v[44:45], v[72:73]
	v_add_f64 v[50:51], v[50:51], v[60:61]
	v_fma_f64 v[4:5], v[30:31], v[78:79], -v[4:5]
	v_add_f64 v[54:55], v[50:51], v[62:63]
	ds_read_b128 v[50:53], v1 offset:1392
	s_waitcnt vmcnt(24) lgkmcnt(2)
	v_mul_f64 v[56:57], v[46:47], v[86:87]
	v_add_f64 v[2:3], v[2:3], v[4:5]
	v_mul_f64 v[4:5], v[36:37], v[12:13]
	s_waitcnt vmcnt(22)
	v_fmac_f64_e32 v[56:57], v[48:49], v[88:89]
	v_fma_f64 v[4:5], v[34:35], v[14:15], -v[4:5]
	v_add_f64 v[58:59], v[54:55], v[56:57]
	ds_read_b128 v[54:57], v1 offset:1408
	v_add_f64 v[2:3], v[2:3], v[4:5]
	v_mul_f64 v[4:5], v[40:41], v[74:75]
	v_fma_f64 v[4:5], v[38:39], v[80:81], -v[4:5]
	v_add_f64 v[2:3], v[2:3], v[4:5]
	v_mul_f64 v[4:5], v[44:45], v[70:71]
	s_waitcnt vmcnt(20) lgkmcnt(1)
	v_mul_f64 v[60:61], v[50:51], v[82:83]
	v_fma_f64 v[4:5], v[42:43], v[72:73], -v[4:5]
	v_fmac_f64_e32 v[60:61], v[52:53], v[84:85]
	v_add_f64 v[2:3], v[2:3], v[4:5]
	v_mul_f64 v[4:5], v[48:49], v[86:87]
	v_add_f64 v[62:63], v[58:59], v[60:61]
	ds_read_b128 v[58:61], v1 offset:1424
	s_waitcnt vmcnt(16) lgkmcnt(1)
	v_mul_f64 v[64:65], v[54:55], v[94:95]
	v_fma_f64 v[4:5], v[46:47], v[88:89], -v[4:5]
	s_waitcnt vmcnt(14)
	v_fmac_f64_e32 v[64:65], v[56:57], v[96:97]
	v_add_f64 v[2:3], v[2:3], v[4:5]
	v_mul_f64 v[4:5], v[52:53], v[82:83]
	v_add_f64 v[110:111], v[62:63], v[64:65]
	ds_read_b128 v[62:65], v1 offset:1440
	v_fma_f64 v[4:5], v[50:51], v[84:85], -v[4:5]
	v_add_f64 v[2:3], v[2:3], v[4:5]
	v_mul_f64 v[4:5], v[56:57], v[94:95]
	v_fma_f64 v[4:5], v[54:55], v[96:97], -v[4:5]
	v_add_f64 v[2:3], v[2:3], v[4:5]
	s_waitcnt vmcnt(12) lgkmcnt(1)
	v_mul_f64 v[4:5], v[60:61], v[90:91]
	v_mul_f64 v[112:113], v[58:59], v[90:91]
	v_fma_f64 v[4:5], v[58:59], v[92:93], -v[4:5]
	v_fmac_f64_e32 v[112:113], v[60:61], v[92:93]
	v_add_f64 v[2:3], v[2:3], v[4:5]
	s_waitcnt vmcnt(8) lgkmcnt(0)
	v_mul_f64 v[4:5], v[64:65], v[102:103]
	v_add_f64 v[110:111], v[110:111], v[112:113]
	v_mul_f64 v[112:113], v[62:63], v[102:103]
	s_waitcnt vmcnt(6)
	v_fma_f64 v[4:5], v[62:63], v[104:105], -v[4:5]
	v_fmac_f64_e32 v[112:113], v[64:65], v[104:105]
	v_add_f64 v[2:3], v[2:3], v[4:5]
	s_waitcnt vmcnt(5)
	v_mul_f64 v[4:5], v[68:69], v[98:99]
	v_add_f64 v[110:111], v[110:111], v[112:113]
	v_mul_f64 v[112:113], v[66:67], v[98:99]
	s_waitcnt vmcnt(4)
	v_fma_f64 v[4:5], v[66:67], v[100:101], -v[4:5]
	v_fmac_f64_e32 v[112:113], v[68:69], v[100:101]
	v_add_f64 v[2:3], v[2:3], v[4:5]
	v_add_f64 v[110:111], v[110:111], v[112:113]
	s_waitcnt vmcnt(2)
	v_add_f64 v[2:3], v[106:107], -v[2:3]
	s_waitcnt vmcnt(0)
	v_add_f64 v[4:5], v[108:109], -v[110:111]
	buffer_store_dword v3, off, s[0:3], 0 offset:532
	buffer_store_dword v2, off, s[0:3], 0 offset:528
	buffer_store_dword v5, off, s[0:3], 0 offset:540
	buffer_store_dword v4, off, s[0:3], 0 offset:536
	s_and_saveexec_b64 s[4:5], vcc
	s_cbranch_execz .LBB45_227
; %bb.226:
	v_accvgpr_read_b32 v0, a106
	buffer_load_dword v2, v0, s[0:3], 0 offen
	buffer_load_dword v3, v0, s[0:3], 0 offen offset:4
	buffer_load_dword v4, v0, s[0:3], 0 offen offset:8
	;; [unrolled: 1-line block ×3, first 2 shown]
	v_accvgpr_read_b32 v0, a138
	buffer_store_dword v1, off, s[0:3], 0 offset:512
	buffer_store_dword v1, off, s[0:3], 0 offset:516
	;; [unrolled: 1-line block ×4, first 2 shown]
	s_waitcnt vmcnt(4)
	ds_write_b128 v0, v[2:5]
.LBB45_227:
	s_or_b64 exec, exec, s[4:5]
	s_waitcnt lgkmcnt(0)
	; wave barrier
	s_waitcnt lgkmcnt(0)
	buffer_load_dword v2, off, s[0:3], 0 offset:528
	buffer_load_dword v3, off, s[0:3], 0 offset:532
	;; [unrolled: 1-line block ×60, first 2 shown]
	ds_read_b128 v[30:33], v1 offset:1248
	ds_read_b128 v[34:37], v1 offset:1264
	;; [unrolled: 1-line block ×8, first 2 shown]
	v_cmp_lt_u32_e32 vcc, 30, v254
	ds_read_b128 v[82:85], v1 offset:1456
	s_waitcnt vmcnt(56) lgkmcnt(8)
	v_mul_f64 v[62:63], v[30:31], v[6:7]
	v_fmac_f64_e32 v[62:63], v[32:33], v[2:3]
	v_add_f64 v[62:63], v[62:63], 0
	v_mul_f64 v[6:7], v[32:33], v[6:7]
	s_waitcnt vmcnt(52) lgkmcnt(7)
	v_mul_f64 v[64:65], v[34:35], v[8:9]
	v_fmac_f64_e32 v[64:65], v[36:37], v[4:5]
	s_waitcnt vmcnt(50) lgkmcnt(6)
	v_mul_f64 v[66:67], v[38:39], v[10:11]
	v_add_f64 v[62:63], v[62:63], v[64:65]
	s_waitcnt vmcnt(48) lgkmcnt(4)
	v_mul_f64 v[70:71], v[46:47], v[12:13]
	v_fma_f64 v[2:3], v[30:31], v[2:3], -v[6:7]
	s_waitcnt vmcnt(46)
	v_fmac_f64_e32 v[70:71], v[48:49], v[14:15]
	v_mul_f64 v[6:7], v[36:37], v[8:9]
	s_waitcnt vmcnt(44)
	v_mul_f64 v[68:69], v[42:43], v[16:17]
	v_add_f64 v[2:3], v[2:3], 0
	v_fma_f64 v[4:5], v[34:35], v[4:5], -v[6:7]
	v_add_f64 v[2:3], v[2:3], v[4:5]
	s_waitcnt vmcnt(40) lgkmcnt(3)
	v_mul_f64 v[72:73], v[50:51], v[22:23]
	v_mul_f64 v[4:5], v[40:41], v[10:11]
	s_waitcnt vmcnt(38)
	v_fmac_f64_e32 v[66:67], v[40:41], v[28:29]
	v_add_f64 v[62:63], v[62:63], v[66:67]
	s_waitcnt vmcnt(36)
	v_fmac_f64_e32 v[68:69], v[44:45], v[26:27]
	v_add_f64 v[62:63], v[62:63], v[68:69]
	;; [unrolled: 3-line block ×3, first 2 shown]
	s_waitcnt vmcnt(33) lgkmcnt(2)
	v_mul_f64 v[64:65], v[54:55], v[18:19]
	v_add_f64 v[62:63], v[62:63], v[72:73]
	s_waitcnt vmcnt(32)
	v_fmac_f64_e32 v[64:65], v[56:57], v[20:21]
	v_add_f64 v[66:67], v[62:63], v[64:65]
	ds_read_b128 v[62:65], v1 offset:1376
	v_fma_f64 v[4:5], v[38:39], v[28:29], -v[4:5]
	v_add_f64 v[2:3], v[2:3], v[4:5]
	v_mul_f64 v[4:5], v[44:45], v[16:17]
	v_fma_f64 v[4:5], v[42:43], v[26:27], -v[4:5]
	s_waitcnt vmcnt(28) lgkmcnt(2)
	v_mul_f64 v[68:69], v[58:59], v[90:91]
	v_add_f64 v[2:3], v[2:3], v[4:5]
	v_mul_f64 v[4:5], v[48:49], v[12:13]
	s_waitcnt vmcnt(26)
	v_fmac_f64_e32 v[68:69], v[60:61], v[92:93]
	v_fma_f64 v[4:5], v[46:47], v[14:15], -v[4:5]
	v_add_f64 v[70:71], v[66:67], v[68:69]
	ds_read_b128 v[66:69], v1 offset:1392
	s_waitcnt vmcnt(25) lgkmcnt(1)
	v_mul_f64 v[72:73], v[62:63], v[86:87]
	v_add_f64 v[2:3], v[2:3], v[4:5]
	v_mul_f64 v[4:5], v[52:53], v[22:23]
	s_waitcnt vmcnt(24)
	v_fmac_f64_e32 v[72:73], v[64:65], v[88:89]
	v_fma_f64 v[4:5], v[50:51], v[24:25], -v[4:5]
	v_add_f64 v[74:75], v[70:71], v[72:73]
	ds_read_b128 v[70:73], v1 offset:1408
	v_add_f64 v[2:3], v[2:3], v[4:5]
	v_mul_f64 v[4:5], v[56:57], v[18:19]
	v_fma_f64 v[4:5], v[54:55], v[20:21], -v[4:5]
	v_add_f64 v[2:3], v[2:3], v[4:5]
	v_mul_f64 v[4:5], v[60:61], v[90:91]
	s_waitcnt vmcnt(20) lgkmcnt(1)
	v_mul_f64 v[76:77], v[66:67], v[98:99]
	v_fma_f64 v[4:5], v[58:59], v[92:93], -v[4:5]
	s_waitcnt vmcnt(18)
	v_fmac_f64_e32 v[76:77], v[68:69], v[100:101]
	v_add_f64 v[2:3], v[2:3], v[4:5]
	v_mul_f64 v[4:5], v[64:65], v[86:87]
	v_add_f64 v[78:79], v[74:75], v[76:77]
	ds_read_b128 v[74:77], v1 offset:1424
	s_waitcnt vmcnt(17) lgkmcnt(1)
	v_mul_f64 v[80:81], v[70:71], v[94:95]
	v_fma_f64 v[4:5], v[62:63], v[88:89], -v[4:5]
	s_waitcnt vmcnt(16)
	v_fmac_f64_e32 v[80:81], v[72:73], v[96:97]
	v_add_f64 v[2:3], v[2:3], v[4:5]
	v_mul_f64 v[4:5], v[68:69], v[98:99]
	v_add_f64 v[118:119], v[78:79], v[80:81]
	ds_read_b128 v[78:81], v1 offset:1440
	v_fma_f64 v[4:5], v[66:67], v[100:101], -v[4:5]
	v_add_f64 v[2:3], v[2:3], v[4:5]
	v_mul_f64 v[4:5], v[72:73], v[94:95]
	v_fma_f64 v[4:5], v[70:71], v[96:97], -v[4:5]
	v_add_f64 v[2:3], v[2:3], v[4:5]
	s_waitcnt vmcnt(12) lgkmcnt(1)
	v_mul_f64 v[4:5], v[76:77], v[106:107]
	v_mul_f64 v[120:121], v[74:75], v[106:107]
	s_waitcnt vmcnt(10)
	v_fma_f64 v[4:5], v[74:75], v[108:109], -v[4:5]
	v_fmac_f64_e32 v[120:121], v[76:77], v[108:109]
	v_add_f64 v[2:3], v[2:3], v[4:5]
	s_waitcnt vmcnt(9) lgkmcnt(0)
	v_mul_f64 v[4:5], v[80:81], v[102:103]
	v_add_f64 v[118:119], v[118:119], v[120:121]
	v_mul_f64 v[120:121], v[78:79], v[102:103]
	s_waitcnt vmcnt(8)
	v_fma_f64 v[4:5], v[78:79], v[104:105], -v[4:5]
	v_fmac_f64_e32 v[120:121], v[80:81], v[104:105]
	v_add_f64 v[2:3], v[2:3], v[4:5]
	s_waitcnt vmcnt(6)
	v_mul_f64 v[4:5], v[84:85], v[110:111]
	v_add_f64 v[118:119], v[118:119], v[120:121]
	v_mul_f64 v[120:121], v[82:83], v[110:111]
	s_waitcnt vmcnt(4)
	v_fma_f64 v[4:5], v[82:83], v[112:113], -v[4:5]
	v_fmac_f64_e32 v[120:121], v[84:85], v[112:113]
	v_add_f64 v[2:3], v[2:3], v[4:5]
	v_add_f64 v[118:119], v[118:119], v[120:121]
	s_waitcnt vmcnt(2)
	v_add_f64 v[2:3], v[114:115], -v[2:3]
	s_waitcnt vmcnt(0)
	v_add_f64 v[4:5], v[116:117], -v[118:119]
	buffer_store_dword v3, off, s[0:3], 0 offset:516
	buffer_store_dword v2, off, s[0:3], 0 offset:512
	;; [unrolled: 1-line block ×4, first 2 shown]
	s_and_saveexec_b64 s[4:5], vcc
	s_cbranch_execz .LBB45_229
; %bb.228:
	v_accvgpr_read_b32 v0, a107
	buffer_load_dword v2, v0, s[0:3], 0 offen
	buffer_load_dword v3, v0, s[0:3], 0 offen offset:4
	buffer_load_dword v4, v0, s[0:3], 0 offen offset:8
	;; [unrolled: 1-line block ×3, first 2 shown]
	v_mov_b32_e32 v0, 0
	v_accvgpr_read_b32 v1, a138
	buffer_store_dword v0, off, s[0:3], 0 offset:496
	buffer_store_dword v0, off, s[0:3], 0 offset:500
	;; [unrolled: 1-line block ×4, first 2 shown]
	s_waitcnt vmcnt(4)
	ds_write_b128 v1, v[2:5]
.LBB45_229:
	s_or_b64 exec, exec, s[4:5]
	s_waitcnt lgkmcnt(0)
	; wave barrier
	s_waitcnt lgkmcnt(0)
	buffer_load_dword v2, off, s[0:3], 0 offset:512
	buffer_load_dword v3, off, s[0:3], 0 offset:516
	;; [unrolled: 1-line block ×64, first 2 shown]
	v_mov_b32_e32 v1, 0
	ds_read_b128 v[38:41], v1 offset:1232
	ds_read_b128 v[42:45], v1 offset:1248
	;; [unrolled: 1-line block ×7, first 2 shown]
	v_cmp_lt_u32_e32 vcc, 29, v254
	s_waitcnt vmcnt(60) lgkmcnt(6)
	v_mul_f64 v[62:63], v[38:39], v[4:5]
	v_fmac_f64_e32 v[62:63], v[40:41], v[2:3]
	s_waitcnt vmcnt(58) lgkmcnt(5)
	v_mul_f64 v[64:65], v[42:43], v[6:7]
	v_add_f64 v[62:63], v[62:63], 0
	s_waitcnt vmcnt(56) lgkmcnt(4)
	v_mul_f64 v[66:67], v[46:47], v[8:9]
	v_mul_f64 v[4:5], v[40:41], v[4:5]
	s_waitcnt vmcnt(54) lgkmcnt(2)
	v_mul_f64 v[70:71], v[54:55], v[10:11]
	v_fma_f64 v[2:3], v[38:39], v[2:3], -v[4:5]
	v_mul_f64 v[4:5], v[44:45], v[6:7]
	s_waitcnt vmcnt(51)
	v_mul_f64 v[68:69], v[50:51], v[14:15]
	v_add_f64 v[2:3], v[2:3], 0
	s_waitcnt vmcnt(49)
	v_fmac_f64_e32 v[64:65], v[44:45], v[20:21]
	v_add_f64 v[62:63], v[62:63], v[64:65]
	s_waitcnt vmcnt(47)
	v_fmac_f64_e32 v[66:67], v[48:49], v[18:19]
	;; [unrolled: 3-line block ×4, first 2 shown]
	v_add_f64 v[66:67], v[62:63], v[70:71]
	ds_read_b128 v[62:65], v1 offset:1328
	s_waitcnt vmcnt(40) lgkmcnt(2)
	v_mul_f64 v[68:69], v[58:59], v[26:27]
	v_fma_f64 v[4:5], v[42:43], v[20:21], -v[4:5]
	s_waitcnt vmcnt(38)
	v_fmac_f64_e32 v[68:69], v[60:61], v[28:29]
	v_add_f64 v[70:71], v[66:67], v[68:69]
	ds_read_b128 v[66:69], v1 offset:1344
	s_waitcnt vmcnt(37) lgkmcnt(1)
	v_mul_f64 v[72:73], v[62:63], v[22:23]
	s_waitcnt vmcnt(36)
	v_fmac_f64_e32 v[72:73], v[64:65], v[24:25]
	v_add_f64 v[2:3], v[2:3], v[4:5]
	v_mul_f64 v[4:5], v[48:49], v[8:9]
	v_add_f64 v[74:75], v[70:71], v[72:73]
	ds_read_b128 v[70:73], v1 offset:1360
	s_waitcnt vmcnt(32) lgkmcnt(1)
	v_mul_f64 v[76:77], v[66:67], v[34:35]
	v_fma_f64 v[4:5], v[46:47], v[18:19], -v[4:5]
	s_waitcnt vmcnt(30)
	v_fmac_f64_e32 v[76:77], v[68:69], v[36:37]
	v_add_f64 v[2:3], v[2:3], v[4:5]
	v_mul_f64 v[4:5], v[52:53], v[14:15]
	v_add_f64 v[78:79], v[74:75], v[76:77]
	ds_read_b128 v[74:77], v1 offset:1376
	v_fma_f64 v[4:5], v[50:51], v[16:17], -v[4:5]
	v_add_f64 v[2:3], v[2:3], v[4:5]
	v_mul_f64 v[4:5], v[56:57], v[10:11]
	v_fma_f64 v[4:5], v[54:55], v[12:13], -v[4:5]
	s_waitcnt vmcnt(29) lgkmcnt(1)
	v_mul_f64 v[80:81], v[70:71], v[30:31]
	v_add_f64 v[2:3], v[2:3], v[4:5]
	v_mul_f64 v[4:5], v[60:61], v[26:27]
	s_waitcnt vmcnt(28)
	v_fmac_f64_e32 v[80:81], v[72:73], v[32:33]
	v_fma_f64 v[4:5], v[58:59], v[28:29], -v[4:5]
	v_add_f64 v[82:83], v[78:79], v[80:81]
	ds_read_b128 v[78:81], v1 offset:1392
	s_waitcnt vmcnt(24) lgkmcnt(1)
	v_mul_f64 v[84:85], v[74:75], v[102:103]
	v_add_f64 v[2:3], v[2:3], v[4:5]
	v_mul_f64 v[4:5], v[64:65], v[22:23]
	s_waitcnt vmcnt(22)
	v_fmac_f64_e32 v[84:85], v[76:77], v[104:105]
	v_fma_f64 v[4:5], v[62:63], v[24:25], -v[4:5]
	v_add_f64 v[86:87], v[82:83], v[84:85]
	ds_read_b128 v[82:85], v1 offset:1408
	v_add_f64 v[2:3], v[2:3], v[4:5]
	v_mul_f64 v[4:5], v[68:69], v[34:35]
	v_fma_f64 v[4:5], v[66:67], v[36:37], -v[4:5]
	v_add_f64 v[2:3], v[2:3], v[4:5]
	v_mul_f64 v[4:5], v[72:73], v[30:31]
	s_waitcnt vmcnt(21) lgkmcnt(1)
	v_mul_f64 v[88:89], v[78:79], v[98:99]
	v_fma_f64 v[4:5], v[70:71], v[32:33], -v[4:5]
	s_waitcnt vmcnt(20)
	v_fmac_f64_e32 v[88:89], v[80:81], v[100:101]
	v_add_f64 v[2:3], v[2:3], v[4:5]
	v_mul_f64 v[4:5], v[76:77], v[102:103]
	v_add_f64 v[90:91], v[86:87], v[88:89]
	ds_read_b128 v[86:89], v1 offset:1424
	s_waitcnt vmcnt(16) lgkmcnt(1)
	v_mul_f64 v[92:93], v[82:83], v[110:111]
	v_fma_f64 v[4:5], v[74:75], v[104:105], -v[4:5]
	s_waitcnt vmcnt(14)
	v_fmac_f64_e32 v[92:93], v[84:85], v[112:113]
	v_add_f64 v[2:3], v[2:3], v[4:5]
	v_mul_f64 v[4:5], v[80:81], v[98:99]
	v_add_f64 v[126:127], v[90:91], v[92:93]
	ds_read_b128 v[90:93], v1 offset:1440
	v_fma_f64 v[4:5], v[78:79], v[100:101], -v[4:5]
	v_add_f64 v[2:3], v[2:3], v[4:5]
	v_mul_f64 v[4:5], v[84:85], v[110:111]
	v_fma_f64 v[4:5], v[82:83], v[112:113], -v[4:5]
	v_add_f64 v[2:3], v[2:3], v[4:5]
	s_waitcnt vmcnt(13) lgkmcnt(1)
	v_mul_f64 v[4:5], v[88:89], v[106:107]
	v_mul_f64 v[128:129], v[86:87], v[106:107]
	s_waitcnt vmcnt(12)
	v_fma_f64 v[4:5], v[86:87], v[108:109], -v[4:5]
	v_fmac_f64_e32 v[128:129], v[88:89], v[108:109]
	v_add_f64 v[2:3], v[2:3], v[4:5]
	s_waitcnt vmcnt(8) lgkmcnt(0)
	v_mul_f64 v[4:5], v[92:93], v[118:119]
	v_add_f64 v[126:127], v[126:127], v[128:129]
	v_mul_f64 v[128:129], v[90:91], v[118:119]
	s_waitcnt vmcnt(6)
	v_fma_f64 v[4:5], v[90:91], v[120:121], -v[4:5]
	v_fmac_f64_e32 v[128:129], v[92:93], v[120:121]
	v_add_f64 v[2:3], v[2:3], v[4:5]
	s_waitcnt vmcnt(5)
	v_mul_f64 v[4:5], v[96:97], v[114:115]
	v_add_f64 v[126:127], v[126:127], v[128:129]
	v_mul_f64 v[128:129], v[94:95], v[114:115]
	s_waitcnt vmcnt(4)
	v_fma_f64 v[4:5], v[94:95], v[116:117], -v[4:5]
	v_fmac_f64_e32 v[128:129], v[96:97], v[116:117]
	v_add_f64 v[2:3], v[2:3], v[4:5]
	v_add_f64 v[126:127], v[126:127], v[128:129]
	s_waitcnt vmcnt(2)
	v_add_f64 v[2:3], v[122:123], -v[2:3]
	s_waitcnt vmcnt(0)
	v_add_f64 v[4:5], v[124:125], -v[126:127]
	buffer_store_dword v3, off, s[0:3], 0 offset:500
	buffer_store_dword v2, off, s[0:3], 0 offset:496
	;; [unrolled: 1-line block ×4, first 2 shown]
	s_and_saveexec_b64 s[4:5], vcc
	s_cbranch_execz .LBB45_231
; %bb.230:
	v_accvgpr_read_b32 v0, a108
	buffer_load_dword v2, v0, s[0:3], 0 offen
	buffer_load_dword v3, v0, s[0:3], 0 offen offset:4
	buffer_load_dword v4, v0, s[0:3], 0 offen offset:8
	;; [unrolled: 1-line block ×3, first 2 shown]
	v_accvgpr_read_b32 v0, a138
	buffer_store_dword v1, off, s[0:3], 0 offset:480
	buffer_store_dword v1, off, s[0:3], 0 offset:484
	;; [unrolled: 1-line block ×4, first 2 shown]
	s_waitcnt vmcnt(4)
	ds_write_b128 v0, v[2:5]
.LBB45_231:
	s_or_b64 exec, exec, s[4:5]
	s_waitcnt lgkmcnt(0)
	; wave barrier
	s_waitcnt lgkmcnt(0)
	buffer_load_dword v2, off, s[0:3], 0 offset:496
	buffer_load_dword v3, off, s[0:3], 0 offset:500
	;; [unrolled: 1-line block ×64, first 2 shown]
	ds_read_b128 v[46:49], v1 offset:1216
	ds_read_b128 v[50:53], v1 offset:1232
	;; [unrolled: 1-line block ×4, first 2 shown]
	buffer_load_dword v130, off, s[0:3], 0 offset:480
	buffer_load_dword v131, off, s[0:3], 0 offset:484
	;; [unrolled: 1-line block ×4, first 2 shown]
	v_cmp_lt_u32_e32 vcc, 28, v254
	ds_read_b128 v[106:109], v1 offset:1456
	s_waitcnt vmcnt(62) lgkmcnt(4)
	v_mul_f64 v[62:63], v[46:47], v[4:5]
	v_fmac_f64_e32 v[62:63], v[48:49], v[2:3]
	v_add_f64 v[62:63], v[62:63], 0
	s_waitcnt lgkmcnt(2)
	v_mul_f64 v[66:67], v[54:55], v[6:7]
	v_mul_f64 v[4:5], v[48:49], v[4:5]
	v_fma_f64 v[2:3], v[46:47], v[2:3], -v[4:5]
	s_waitcnt vmcnt(58) lgkmcnt(1)
	v_mul_f64 v[68:69], v[58:59], v[12:13]
	v_add_f64 v[2:3], v[2:3], 0
	s_waitcnt vmcnt(56)
	v_mul_f64 v[64:65], v[50:51], v[18:19]
	v_mul_f64 v[4:5], v[52:53], v[18:19]
	s_waitcnt vmcnt(53)
	v_fmac_f64_e32 v[66:67], v[56:57], v[16:17]
	s_waitcnt vmcnt(52)
	v_fmac_f64_e32 v[64:65], v[52:53], v[20:21]
	v_add_f64 v[70:71], v[62:63], v[64:65]
	ds_read_b128 v[62:65], v1 offset:1280
	v_add_f64 v[66:67], v[70:71], v[66:67]
	s_waitcnt vmcnt(50)
	v_fmac_f64_e32 v[68:69], v[60:61], v[14:15]
	v_add_f64 v[70:71], v[66:67], v[68:69]
	ds_read_b128 v[66:69], v1 offset:1296
	s_waitcnt vmcnt(49) lgkmcnt(1)
	v_mul_f64 v[72:73], v[62:63], v[8:9]
	s_waitcnt vmcnt(48)
	v_fmac_f64_e32 v[72:73], v[64:65], v[10:11]
	v_add_f64 v[74:75], v[70:71], v[72:73]
	ds_read_b128 v[70:73], v1 offset:1312
	s_waitcnt vmcnt(44) lgkmcnt(1)
	v_mul_f64 v[76:77], v[66:67], v[26:27]
	;; [unrolled: 6-line block ×3, first 2 shown]
	s_waitcnt vmcnt(40)
	v_fmac_f64_e32 v[80:81], v[72:73], v[24:25]
	v_add_f64 v[82:83], v[78:79], v[80:81]
	ds_read_b128 v[78:81], v1 offset:1344
	v_fma_f64 v[4:5], v[50:51], v[20:21], -v[4:5]
	v_add_f64 v[2:3], v[2:3], v[4:5]
	v_mul_f64 v[4:5], v[56:57], v[6:7]
	s_waitcnt vmcnt(36) lgkmcnt(1)
	v_mul_f64 v[84:85], v[74:75], v[34:35]
	v_fma_f64 v[4:5], v[54:55], v[16:17], -v[4:5]
	s_waitcnt vmcnt(34)
	v_fmac_f64_e32 v[84:85], v[76:77], v[36:37]
	v_add_f64 v[2:3], v[2:3], v[4:5]
	v_mul_f64 v[4:5], v[60:61], v[12:13]
	v_add_f64 v[86:87], v[82:83], v[84:85]
	ds_read_b128 v[82:85], v1 offset:1360
	s_waitcnt vmcnt(33) lgkmcnt(1)
	v_mul_f64 v[88:89], v[78:79], v[30:31]
	v_fma_f64 v[4:5], v[58:59], v[14:15], -v[4:5]
	s_waitcnt vmcnt(32)
	v_fmac_f64_e32 v[88:89], v[80:81], v[32:33]
	v_add_f64 v[2:3], v[2:3], v[4:5]
	v_mul_f64 v[4:5], v[64:65], v[8:9]
	v_add_f64 v[90:91], v[86:87], v[88:89]
	ds_read_b128 v[86:89], v1 offset:1376
	v_fma_f64 v[4:5], v[62:63], v[10:11], -v[4:5]
	v_add_f64 v[2:3], v[2:3], v[4:5]
	v_mul_f64 v[4:5], v[68:69], v[26:27]
	v_fma_f64 v[4:5], v[66:67], v[28:29], -v[4:5]
	s_waitcnt vmcnt(28) lgkmcnt(1)
	v_mul_f64 v[92:93], v[82:83], v[42:43]
	v_add_f64 v[2:3], v[2:3], v[4:5]
	v_mul_f64 v[4:5], v[72:73], v[22:23]
	s_waitcnt vmcnt(26)
	v_fmac_f64_e32 v[92:93], v[84:85], v[44:45]
	v_fma_f64 v[4:5], v[70:71], v[24:25], -v[4:5]
	v_add_f64 v[94:95], v[90:91], v[92:93]
	ds_read_b128 v[90:93], v1 offset:1392
	s_waitcnt vmcnt(25) lgkmcnt(1)
	v_mul_f64 v[96:97], v[86:87], v[38:39]
	v_add_f64 v[2:3], v[2:3], v[4:5]
	v_mul_f64 v[4:5], v[76:77], v[34:35]
	s_waitcnt vmcnt(24)
	v_fmac_f64_e32 v[96:97], v[88:89], v[40:41]
	v_fma_f64 v[4:5], v[74:75], v[36:37], -v[4:5]
	v_add_f64 v[98:99], v[94:95], v[96:97]
	ds_read_b128 v[94:97], v1 offset:1408
	v_add_f64 v[2:3], v[2:3], v[4:5]
	v_mul_f64 v[4:5], v[80:81], v[30:31]
	v_fma_f64 v[4:5], v[78:79], v[32:33], -v[4:5]
	v_add_f64 v[2:3], v[2:3], v[4:5]
	v_mul_f64 v[4:5], v[84:85], v[42:43]
	s_waitcnt vmcnt(20) lgkmcnt(1)
	v_mul_f64 v[100:101], v[90:91], v[114:115]
	v_fma_f64 v[4:5], v[82:83], v[44:45], -v[4:5]
	s_waitcnt vmcnt(18)
	v_fmac_f64_e32 v[100:101], v[92:93], v[116:117]
	v_add_f64 v[2:3], v[2:3], v[4:5]
	v_mul_f64 v[4:5], v[88:89], v[38:39]
	v_add_f64 v[102:103], v[98:99], v[100:101]
	ds_read_b128 v[98:101], v1 offset:1424
	s_waitcnt vmcnt(17) lgkmcnt(1)
	v_mul_f64 v[104:105], v[94:95], v[110:111]
	v_fma_f64 v[4:5], v[86:87], v[40:41], -v[4:5]
	s_waitcnt vmcnt(16)
	v_fmac_f64_e32 v[104:105], v[96:97], v[112:113]
	v_add_f64 v[2:3], v[2:3], v[4:5]
	v_mul_f64 v[4:5], v[92:93], v[114:115]
	v_add_f64 v[134:135], v[102:103], v[104:105]
	ds_read_b128 v[102:105], v1 offset:1440
	v_fma_f64 v[4:5], v[90:91], v[116:117], -v[4:5]
	v_add_f64 v[2:3], v[2:3], v[4:5]
	v_mul_f64 v[4:5], v[96:97], v[110:111]
	v_fma_f64 v[4:5], v[94:95], v[112:113], -v[4:5]
	v_add_f64 v[2:3], v[2:3], v[4:5]
	s_waitcnt vmcnt(12) lgkmcnt(1)
	v_mul_f64 v[4:5], v[100:101], v[122:123]
	v_mul_f64 v[136:137], v[98:99], v[122:123]
	s_waitcnt vmcnt(10)
	v_fma_f64 v[4:5], v[98:99], v[124:125], -v[4:5]
	v_fmac_f64_e32 v[136:137], v[100:101], v[124:125]
	v_add_f64 v[2:3], v[2:3], v[4:5]
	s_waitcnt vmcnt(9) lgkmcnt(0)
	v_mul_f64 v[4:5], v[104:105], v[118:119]
	v_add_f64 v[134:135], v[134:135], v[136:137]
	v_mul_f64 v[136:137], v[102:103], v[118:119]
	s_waitcnt vmcnt(8)
	v_fma_f64 v[4:5], v[102:103], v[120:121], -v[4:5]
	v_fmac_f64_e32 v[136:137], v[104:105], v[120:121]
	v_add_f64 v[2:3], v[2:3], v[4:5]
	s_waitcnt vmcnt(6)
	v_mul_f64 v[4:5], v[108:109], v[126:127]
	v_add_f64 v[134:135], v[134:135], v[136:137]
	v_mul_f64 v[136:137], v[106:107], v[126:127]
	s_waitcnt vmcnt(4)
	v_fma_f64 v[4:5], v[106:107], v[128:129], -v[4:5]
	v_fmac_f64_e32 v[136:137], v[108:109], v[128:129]
	v_add_f64 v[2:3], v[2:3], v[4:5]
	v_add_f64 v[134:135], v[134:135], v[136:137]
	s_waitcnt vmcnt(2)
	v_add_f64 v[2:3], v[130:131], -v[2:3]
	s_waitcnt vmcnt(0)
	v_add_f64 v[4:5], v[132:133], -v[134:135]
	buffer_store_dword v3, off, s[0:3], 0 offset:484
	buffer_store_dword v2, off, s[0:3], 0 offset:480
	;; [unrolled: 1-line block ×4, first 2 shown]
	s_and_saveexec_b64 s[4:5], vcc
	s_cbranch_execz .LBB45_233
; %bb.232:
	v_accvgpr_read_b32 v0, a109
	buffer_load_dword v2, v0, s[0:3], 0 offen
	buffer_load_dword v3, v0, s[0:3], 0 offen offset:4
	buffer_load_dword v4, v0, s[0:3], 0 offen offset:8
	buffer_load_dword v5, v0, s[0:3], 0 offen offset:12
	v_mov_b32_e32 v0, 0
	v_accvgpr_read_b32 v1, a138
	buffer_store_dword v0, off, s[0:3], 0 offset:464
	buffer_store_dword v0, off, s[0:3], 0 offset:468
	;; [unrolled: 1-line block ×4, first 2 shown]
	s_waitcnt vmcnt(4)
	ds_write_b128 v1, v[2:5]
.LBB45_233:
	s_or_b64 exec, exec, s[4:5]
	s_waitcnt lgkmcnt(0)
	; wave barrier
	s_waitcnt lgkmcnt(0)
	buffer_load_dword v2, off, s[0:3], 0 offset:480
	buffer_load_dword v3, off, s[0:3], 0 offset:484
	;; [unrolled: 1-line block ×68, first 2 shown]
	v_mov_b32_e32 v1, 0
	buffer_load_dword v138, off, s[0:3], 0 offset:464
	buffer_load_dword v139, off, s[0:3], 0 offset:468
	;; [unrolled: 1-line block ×3, first 2 shown]
	ds_read_b128 v[46:49], v1 offset:1200
	ds_read_b128 v[50:53], v1 offset:1216
	buffer_load_dword v141, off, s[0:3], 0 offset:476
	ds_read_b128 v[54:57], v1 offset:1232
	ds_read_b128 v[58:61], v1 offset:1248
	;; [unrolled: 1-line block ×3, first 2 shown]
	v_cmp_lt_u32_e32 vcc, 27, v254
	s_waitcnt vmcnt(62) lgkmcnt(4)
	v_mul_f64 v[62:63], v[46:47], v[6:7]
	v_fmac_f64_e32 v[62:63], v[48:49], v[2:3]
	v_add_f64 v[62:63], v[62:63], 0
	v_mul_f64 v[6:7], v[48:49], v[6:7]
	s_waitcnt lgkmcnt(3)
	v_mul_f64 v[64:65], v[50:51], v[10:11]
	v_fmac_f64_e32 v[64:65], v[52:53], v[4:5]
	v_add_f64 v[62:63], v[62:63], v[64:65]
	v_fma_f64 v[2:3], v[46:47], v[2:3], -v[6:7]
	s_waitcnt vmcnt(60) lgkmcnt(2)
	v_mul_f64 v[64:65], v[54:55], v[12:13]
	v_fmac_f64_e32 v[64:65], v[56:57], v[8:9]
	v_add_f64 v[66:67], v[62:63], v[64:65]
	ds_read_b128 v[62:65], v1 offset:1264
	s_waitcnt vmcnt(56) lgkmcnt(2)
	v_mul_f64 v[68:69], v[58:59], v[18:19]
	v_mul_f64 v[6:7], v[52:53], v[10:11]
	s_waitcnt vmcnt(54)
	v_fmac_f64_e32 v[68:69], v[60:61], v[20:21]
	v_add_f64 v[70:71], v[66:67], v[68:69]
	ds_read_b128 v[66:69], v1 offset:1280
	s_waitcnt vmcnt(53) lgkmcnt(1)
	v_mul_f64 v[72:73], v[62:63], v[14:15]
	s_waitcnt vmcnt(52)
	v_fmac_f64_e32 v[72:73], v[64:65], v[16:17]
	v_add_f64 v[74:75], v[70:71], v[72:73]
	ds_read_b128 v[70:73], v1 offset:1296
	s_waitcnt vmcnt(48) lgkmcnt(1)
	;; [unrolled: 6-line block ×4, first 2 shown]
	v_mul_f64 v[84:85], v[74:75], v[34:35]
	s_waitcnt vmcnt(38)
	v_fmac_f64_e32 v[84:85], v[76:77], v[36:37]
	v_add_f64 v[2:3], v[2:3], 0
	v_fma_f64 v[4:5], v[50:51], v[4:5], -v[6:7]
	v_add_f64 v[86:87], v[82:83], v[84:85]
	ds_read_b128 v[82:85], v1 offset:1344
	v_add_f64 v[2:3], v[2:3], v[4:5]
	v_mul_f64 v[4:5], v[56:57], v[12:13]
	v_fma_f64 v[4:5], v[54:55], v[8:9], -v[4:5]
	v_add_f64 v[2:3], v[2:3], v[4:5]
	v_mul_f64 v[4:5], v[60:61], v[18:19]
	s_waitcnt vmcnt(37) lgkmcnt(1)
	v_mul_f64 v[88:89], v[78:79], v[30:31]
	v_fma_f64 v[4:5], v[58:59], v[20:21], -v[4:5]
	s_waitcnt vmcnt(36)
	v_fmac_f64_e32 v[88:89], v[80:81], v[32:33]
	v_add_f64 v[2:3], v[2:3], v[4:5]
	v_mul_f64 v[4:5], v[64:65], v[14:15]
	v_add_f64 v[90:91], v[86:87], v[88:89]
	ds_read_b128 v[86:89], v1 offset:1360
	s_waitcnt vmcnt(32) lgkmcnt(1)
	v_mul_f64 v[92:93], v[82:83], v[42:43]
	v_fma_f64 v[4:5], v[62:63], v[16:17], -v[4:5]
	s_waitcnt vmcnt(30)
	v_fmac_f64_e32 v[92:93], v[84:85], v[44:45]
	v_add_f64 v[2:3], v[2:3], v[4:5]
	v_mul_f64 v[4:5], v[68:69], v[26:27]
	v_add_f64 v[94:95], v[90:91], v[92:93]
	ds_read_b128 v[90:93], v1 offset:1376
	v_fma_f64 v[4:5], v[66:67], v[28:29], -v[4:5]
	v_add_f64 v[2:3], v[2:3], v[4:5]
	v_mul_f64 v[4:5], v[72:73], v[22:23]
	v_fma_f64 v[4:5], v[70:71], v[24:25], -v[4:5]
	s_waitcnt vmcnt(29) lgkmcnt(1)
	v_mul_f64 v[96:97], v[86:87], v[38:39]
	v_add_f64 v[2:3], v[2:3], v[4:5]
	v_mul_f64 v[4:5], v[76:77], v[34:35]
	s_waitcnt vmcnt(28)
	v_fmac_f64_e32 v[96:97], v[88:89], v[40:41]
	v_fma_f64 v[4:5], v[74:75], v[36:37], -v[4:5]
	v_add_f64 v[98:99], v[94:95], v[96:97]
	ds_read_b128 v[94:97], v1 offset:1392
	s_waitcnt vmcnt(24) lgkmcnt(1)
	v_mul_f64 v[100:101], v[90:91], v[118:119]
	v_add_f64 v[2:3], v[2:3], v[4:5]
	v_mul_f64 v[4:5], v[80:81], v[30:31]
	s_waitcnt vmcnt(22)
	v_fmac_f64_e32 v[100:101], v[92:93], v[120:121]
	v_fma_f64 v[4:5], v[78:79], v[32:33], -v[4:5]
	v_add_f64 v[102:103], v[98:99], v[100:101]
	ds_read_b128 v[98:101], v1 offset:1408
	v_add_f64 v[2:3], v[2:3], v[4:5]
	v_mul_f64 v[4:5], v[84:85], v[42:43]
	v_fma_f64 v[4:5], v[82:83], v[44:45], -v[4:5]
	v_add_f64 v[2:3], v[2:3], v[4:5]
	v_mul_f64 v[4:5], v[88:89], v[38:39]
	s_waitcnt vmcnt(21) lgkmcnt(1)
	v_mul_f64 v[104:105], v[94:95], v[114:115]
	v_fma_f64 v[4:5], v[86:87], v[40:41], -v[4:5]
	s_waitcnt vmcnt(20)
	v_fmac_f64_e32 v[104:105], v[96:97], v[116:117]
	v_add_f64 v[2:3], v[2:3], v[4:5]
	v_mul_f64 v[4:5], v[92:93], v[118:119]
	v_add_f64 v[106:107], v[102:103], v[104:105]
	ds_read_b128 v[102:105], v1 offset:1424
	s_waitcnt vmcnt(16) lgkmcnt(1)
	v_mul_f64 v[108:109], v[98:99], v[126:127]
	v_fma_f64 v[4:5], v[90:91], v[120:121], -v[4:5]
	s_waitcnt vmcnt(14)
	v_fmac_f64_e32 v[108:109], v[100:101], v[128:129]
	v_add_f64 v[2:3], v[2:3], v[4:5]
	v_mul_f64 v[4:5], v[96:97], v[114:115]
	v_add_f64 v[142:143], v[106:107], v[108:109]
	ds_read_b128 v[106:109], v1 offset:1440
	v_fma_f64 v[4:5], v[94:95], v[116:117], -v[4:5]
	v_add_f64 v[2:3], v[2:3], v[4:5]
	v_mul_f64 v[4:5], v[100:101], v[126:127]
	v_fma_f64 v[4:5], v[98:99], v[128:129], -v[4:5]
	v_add_f64 v[2:3], v[2:3], v[4:5]
	s_waitcnt vmcnt(13) lgkmcnt(1)
	v_mul_f64 v[4:5], v[104:105], v[122:123]
	v_mul_f64 v[144:145], v[102:103], v[122:123]
	s_waitcnt vmcnt(12)
	v_fma_f64 v[4:5], v[102:103], v[124:125], -v[4:5]
	v_fmac_f64_e32 v[144:145], v[104:105], v[124:125]
	v_add_f64 v[2:3], v[2:3], v[4:5]
	s_waitcnt vmcnt(8) lgkmcnt(0)
	v_mul_f64 v[4:5], v[108:109], v[134:135]
	v_add_f64 v[142:143], v[142:143], v[144:145]
	v_mul_f64 v[144:145], v[106:107], v[134:135]
	s_waitcnt vmcnt(6)
	v_fma_f64 v[4:5], v[106:107], v[136:137], -v[4:5]
	v_fmac_f64_e32 v[144:145], v[108:109], v[136:137]
	v_add_f64 v[2:3], v[2:3], v[4:5]
	s_waitcnt vmcnt(5)
	v_mul_f64 v[4:5], v[112:113], v[130:131]
	v_add_f64 v[142:143], v[142:143], v[144:145]
	v_mul_f64 v[144:145], v[110:111], v[130:131]
	s_waitcnt vmcnt(4)
	v_fma_f64 v[4:5], v[110:111], v[132:133], -v[4:5]
	v_fmac_f64_e32 v[144:145], v[112:113], v[132:133]
	v_add_f64 v[2:3], v[2:3], v[4:5]
	v_add_f64 v[142:143], v[142:143], v[144:145]
	s_waitcnt vmcnt(2)
	v_add_f64 v[2:3], v[138:139], -v[2:3]
	s_waitcnt vmcnt(0)
	v_add_f64 v[4:5], v[140:141], -v[142:143]
	buffer_store_dword v3, off, s[0:3], 0 offset:468
	buffer_store_dword v2, off, s[0:3], 0 offset:464
	;; [unrolled: 1-line block ×4, first 2 shown]
	s_and_saveexec_b64 s[4:5], vcc
	s_cbranch_execz .LBB45_235
; %bb.234:
	v_accvgpr_read_b32 v0, a110
	buffer_load_dword v2, v0, s[0:3], 0 offen
	buffer_load_dword v3, v0, s[0:3], 0 offen offset:4
	buffer_load_dword v4, v0, s[0:3], 0 offen offset:8
	;; [unrolled: 1-line block ×3, first 2 shown]
	v_accvgpr_read_b32 v0, a138
	buffer_store_dword v1, off, s[0:3], 0 offset:448
	buffer_store_dword v1, off, s[0:3], 0 offset:452
	;; [unrolled: 1-line block ×4, first 2 shown]
	s_waitcnt vmcnt(4)
	ds_write_b128 v0, v[2:5]
.LBB45_235:
	s_or_b64 exec, exec, s[4:5]
	s_waitcnt lgkmcnt(0)
	; wave barrier
	s_waitcnt lgkmcnt(0)
	buffer_load_dword v2, off, s[0:3], 0 offset:464
	buffer_load_dword v3, off, s[0:3], 0 offset:468
	;; [unrolled: 1-line block ×72, first 2 shown]
	ds_read_b128 v[52:55], v1 offset:1184
	buffer_load_dword v146, off, s[0:3], 0 offset:448
	buffer_load_dword v147, off, s[0:3], 0 offset:452
	;; [unrolled: 1-line block ×4, first 2 shown]
	ds_read_b128 v[56:59], v1 offset:1200
	ds_read_b128 v[60:63], v1 offset:1216
	;; [unrolled: 1-line block ×3, first 2 shown]
	v_cmp_lt_u32_e32 vcc, 26, v254
	ds_read_b128 v[120:123], v1 offset:1456
	s_waitcnt vmcnt(62) lgkmcnt(4)
	v_mul_f64 v[68:69], v[52:53], v[8:9]
	v_fmac_f64_e32 v[68:69], v[54:55], v[2:3]
	v_add_f64 v[68:69], v[68:69], 0
	v_mul_f64 v[8:9], v[54:55], v[8:9]
	s_waitcnt lgkmcnt(3)
	v_mul_f64 v[70:71], v[56:57], v[10:11]
	v_fmac_f64_e32 v[70:71], v[58:59], v[4:5]
	v_add_f64 v[68:69], v[68:69], v[70:71]
	v_fma_f64 v[2:3], v[52:53], v[2:3], -v[8:9]
	s_waitcnt lgkmcnt(2)
	v_mul_f64 v[70:71], v[60:61], v[12:13]
	v_fmac_f64_e32 v[70:71], v[62:63], v[6:7]
	v_add_f64 v[72:73], v[68:69], v[70:71]
	ds_read_b128 v[68:71], v1 offset:1248
	s_waitcnt vmcnt(60) lgkmcnt(2)
	v_mul_f64 v[74:75], v[64:65], v[18:19]
	v_mul_f64 v[8:9], v[58:59], v[10:11]
	s_waitcnt vmcnt(58)
	v_fmac_f64_e32 v[74:75], v[66:67], v[20:21]
	v_add_f64 v[76:77], v[72:73], v[74:75]
	ds_read_b128 v[72:75], v1 offset:1264
	s_waitcnt vmcnt(57) lgkmcnt(1)
	v_mul_f64 v[78:79], v[68:69], v[14:15]
	s_waitcnt vmcnt(56)
	v_fmac_f64_e32 v[78:79], v[70:71], v[16:17]
	v_add_f64 v[80:81], v[76:77], v[78:79]
	ds_read_b128 v[76:79], v1 offset:1280
	s_waitcnt vmcnt(52) lgkmcnt(1)
	;; [unrolled: 6-line block ×4, first 2 shown]
	v_mul_f64 v[90:91], v[80:81], v[34:35]
	s_waitcnt vmcnt(42)
	v_fmac_f64_e32 v[90:91], v[82:83], v[36:37]
	v_add_f64 v[2:3], v[2:3], 0
	v_fma_f64 v[4:5], v[56:57], v[4:5], -v[8:9]
	v_add_f64 v[92:93], v[88:89], v[90:91]
	ds_read_b128 v[88:91], v1 offset:1328
	s_waitcnt vmcnt(41) lgkmcnt(1)
	v_mul_f64 v[94:95], v[84:85], v[30:31]
	v_add_f64 v[2:3], v[2:3], v[4:5]
	v_mul_f64 v[4:5], v[62:63], v[12:13]
	s_waitcnt vmcnt(40)
	v_fmac_f64_e32 v[94:95], v[86:87], v[32:33]
	v_fma_f64 v[4:5], v[60:61], v[6:7], -v[4:5]
	v_add_f64 v[96:97], v[92:93], v[94:95]
	ds_read_b128 v[92:95], v1 offset:1344
	v_add_f64 v[2:3], v[2:3], v[4:5]
	v_mul_f64 v[4:5], v[66:67], v[18:19]
	v_fma_f64 v[4:5], v[64:65], v[20:21], -v[4:5]
	v_add_f64 v[2:3], v[2:3], v[4:5]
	v_mul_f64 v[4:5], v[70:71], v[14:15]
	s_waitcnt vmcnt(36) lgkmcnt(1)
	v_mul_f64 v[98:99], v[88:89], v[42:43]
	v_fma_f64 v[4:5], v[68:69], v[16:17], -v[4:5]
	s_waitcnt vmcnt(34)
	v_fmac_f64_e32 v[98:99], v[90:91], v[44:45]
	v_add_f64 v[2:3], v[2:3], v[4:5]
	v_mul_f64 v[4:5], v[74:75], v[26:27]
	v_add_f64 v[100:101], v[96:97], v[98:99]
	ds_read_b128 v[96:99], v1 offset:1360
	s_waitcnt vmcnt(33) lgkmcnt(1)
	v_mul_f64 v[102:103], v[92:93], v[38:39]
	v_fma_f64 v[4:5], v[72:73], v[28:29], -v[4:5]
	s_waitcnt vmcnt(32)
	v_fmac_f64_e32 v[102:103], v[94:95], v[40:41]
	v_add_f64 v[2:3], v[2:3], v[4:5]
	v_mul_f64 v[4:5], v[78:79], v[22:23]
	v_add_f64 v[104:105], v[100:101], v[102:103]
	ds_read_b128 v[100:103], v1 offset:1376
	v_fma_f64 v[4:5], v[76:77], v[24:25], -v[4:5]
	v_add_f64 v[2:3], v[2:3], v[4:5]
	v_mul_f64 v[4:5], v[82:83], v[34:35]
	v_fma_f64 v[4:5], v[80:81], v[36:37], -v[4:5]
	s_waitcnt vmcnt(28) lgkmcnt(1)
	v_mul_f64 v[106:107], v[96:97], v[50:51]
	v_add_f64 v[2:3], v[2:3], v[4:5]
	v_mul_f64 v[4:5], v[86:87], v[30:31]
	s_waitcnt vmcnt(26)
	v_fmac_f64_e32 v[106:107], v[98:99], v[124:125]
	v_fma_f64 v[4:5], v[84:85], v[32:33], -v[4:5]
	v_add_f64 v[108:109], v[104:105], v[106:107]
	ds_read_b128 v[104:107], v1 offset:1392
	s_waitcnt vmcnt(25) lgkmcnt(1)
	v_mul_f64 v[110:111], v[100:101], v[46:47]
	v_add_f64 v[2:3], v[2:3], v[4:5]
	v_mul_f64 v[4:5], v[90:91], v[42:43]
	s_waitcnt vmcnt(24)
	v_fmac_f64_e32 v[110:111], v[102:103], v[48:49]
	v_fma_f64 v[4:5], v[88:89], v[44:45], -v[4:5]
	v_add_f64 v[112:113], v[108:109], v[110:111]
	ds_read_b128 v[108:111], v1 offset:1408
	v_add_f64 v[2:3], v[2:3], v[4:5]
	v_mul_f64 v[4:5], v[94:95], v[38:39]
	v_fma_f64 v[4:5], v[92:93], v[40:41], -v[4:5]
	v_add_f64 v[2:3], v[2:3], v[4:5]
	v_mul_f64 v[4:5], v[98:99], v[50:51]
	s_waitcnt vmcnt(20) lgkmcnt(1)
	v_mul_f64 v[114:115], v[104:105], v[130:131]
	v_fma_f64 v[4:5], v[96:97], v[124:125], -v[4:5]
	s_waitcnt vmcnt(18)
	v_fmac_f64_e32 v[114:115], v[106:107], v[132:133]
	v_add_f64 v[2:3], v[2:3], v[4:5]
	v_mul_f64 v[4:5], v[102:103], v[46:47]
	v_add_f64 v[116:117], v[112:113], v[114:115]
	ds_read_b128 v[112:115], v1 offset:1424
	s_waitcnt vmcnt(17) lgkmcnt(1)
	v_mul_f64 v[118:119], v[108:109], v[126:127]
	v_fma_f64 v[4:5], v[100:101], v[48:49], -v[4:5]
	s_waitcnt vmcnt(16)
	v_fmac_f64_e32 v[118:119], v[110:111], v[128:129]
	v_add_f64 v[2:3], v[2:3], v[4:5]
	v_mul_f64 v[4:5], v[106:107], v[130:131]
	v_add_f64 v[150:151], v[116:117], v[118:119]
	ds_read_b128 v[116:119], v1 offset:1440
	v_fma_f64 v[4:5], v[104:105], v[132:133], -v[4:5]
	v_add_f64 v[2:3], v[2:3], v[4:5]
	v_mul_f64 v[4:5], v[110:111], v[126:127]
	v_fma_f64 v[4:5], v[108:109], v[128:129], -v[4:5]
	v_add_f64 v[2:3], v[2:3], v[4:5]
	s_waitcnt vmcnt(12) lgkmcnt(1)
	v_mul_f64 v[4:5], v[114:115], v[138:139]
	v_mul_f64 v[152:153], v[112:113], v[138:139]
	s_waitcnt vmcnt(10)
	v_fma_f64 v[4:5], v[112:113], v[140:141], -v[4:5]
	v_fmac_f64_e32 v[152:153], v[114:115], v[140:141]
	v_add_f64 v[2:3], v[2:3], v[4:5]
	s_waitcnt vmcnt(9) lgkmcnt(0)
	v_mul_f64 v[4:5], v[118:119], v[134:135]
	v_add_f64 v[150:151], v[150:151], v[152:153]
	v_mul_f64 v[152:153], v[116:117], v[134:135]
	s_waitcnt vmcnt(8)
	v_fma_f64 v[4:5], v[116:117], v[136:137], -v[4:5]
	v_fmac_f64_e32 v[152:153], v[118:119], v[136:137]
	v_add_f64 v[2:3], v[2:3], v[4:5]
	s_waitcnt vmcnt(6)
	v_mul_f64 v[4:5], v[122:123], v[142:143]
	v_add_f64 v[150:151], v[150:151], v[152:153]
	v_mul_f64 v[152:153], v[120:121], v[142:143]
	s_waitcnt vmcnt(4)
	v_fma_f64 v[4:5], v[120:121], v[144:145], -v[4:5]
	v_fmac_f64_e32 v[152:153], v[122:123], v[144:145]
	v_add_f64 v[2:3], v[2:3], v[4:5]
	v_add_f64 v[150:151], v[150:151], v[152:153]
	s_waitcnt vmcnt(2)
	v_add_f64 v[2:3], v[146:147], -v[2:3]
	s_waitcnt vmcnt(0)
	v_add_f64 v[4:5], v[148:149], -v[150:151]
	buffer_store_dword v3, off, s[0:3], 0 offset:452
	buffer_store_dword v2, off, s[0:3], 0 offset:448
	;; [unrolled: 1-line block ×4, first 2 shown]
	s_and_saveexec_b64 s[4:5], vcc
	s_cbranch_execz .LBB45_237
; %bb.236:
	v_accvgpr_read_b32 v0, a111
	buffer_load_dword v2, v0, s[0:3], 0 offen
	buffer_load_dword v3, v0, s[0:3], 0 offen offset:4
	buffer_load_dword v4, v0, s[0:3], 0 offen offset:8
	;; [unrolled: 1-line block ×3, first 2 shown]
	v_mov_b32_e32 v0, 0
	v_accvgpr_read_b32 v1, a138
	buffer_store_dword v0, off, s[0:3], 0 offset:432
	buffer_store_dword v0, off, s[0:3], 0 offset:436
	;; [unrolled: 1-line block ×4, first 2 shown]
	s_waitcnt vmcnt(4)
	ds_write_b128 v1, v[2:5]
.LBB45_237:
	s_or_b64 exec, exec, s[4:5]
	s_waitcnt lgkmcnt(0)
	; wave barrier
	s_waitcnt lgkmcnt(0)
	buffer_load_dword v2, off, s[0:3], 0 offset:448
	buffer_load_dword v3, off, s[0:3], 0 offset:452
	;; [unrolled: 1-line block ×76, first 2 shown]
	v_mov_b32_e32 v1, 0
	ds_read_b128 v[54:57], v1 offset:1168
	buffer_load_dword v154, off, s[0:3], 0 offset:432
	buffer_load_dword v155, off, s[0:3], 0 offset:436
	;; [unrolled: 1-line block ×4, first 2 shown]
	ds_read_b128 v[58:61], v1 offset:1184
	ds_read_b128 v[62:65], v1 offset:1200
	;; [unrolled: 1-line block ×4, first 2 shown]
	v_cmp_lt_u32_e32 vcc, 25, v254
	s_waitcnt vmcnt(62) lgkmcnt(4)
	v_mul_f64 v[70:71], v[54:55], v[8:9]
	v_fmac_f64_e32 v[70:71], v[56:57], v[2:3]
	v_add_f64 v[70:71], v[70:71], 0
	v_mul_f64 v[8:9], v[56:57], v[8:9]
	s_waitcnt lgkmcnt(3)
	v_mul_f64 v[72:73], v[58:59], v[10:11]
	v_fmac_f64_e32 v[72:73], v[60:61], v[4:5]
	v_add_f64 v[70:71], v[70:71], v[72:73]
	v_fma_f64 v[2:3], v[54:55], v[2:3], -v[8:9]
	s_waitcnt lgkmcnt(2)
	v_mul_f64 v[72:73], v[62:63], v[12:13]
	v_fmac_f64_e32 v[72:73], v[64:65], v[6:7]
	v_add_f64 v[74:75], v[70:71], v[72:73]
	ds_read_b128 v[70:73], v1 offset:1232
	s_waitcnt lgkmcnt(2)
	v_mul_f64 v[76:77], v[66:67], v[18:19]
	v_mul_f64 v[8:9], v[60:61], v[10:11]
	v_fmac_f64_e32 v[76:77], v[68:69], v[20:21]
	v_add_f64 v[78:79], v[74:75], v[76:77]
	ds_read_b128 v[74:77], v1 offset:1248
	s_waitcnt vmcnt(61) lgkmcnt(1)
	v_mul_f64 v[80:81], v[70:71], v[14:15]
	s_waitcnt vmcnt(60)
	v_fmac_f64_e32 v[80:81], v[72:73], v[16:17]
	v_add_f64 v[82:83], v[78:79], v[80:81]
	ds_read_b128 v[78:81], v1 offset:1264
	s_waitcnt vmcnt(56) lgkmcnt(1)
	v_mul_f64 v[84:85], v[74:75], v[26:27]
	s_waitcnt vmcnt(54)
	;; [unrolled: 6-line block ×4, first 2 shown]
	v_fmac_f64_e32 v[92:93], v[84:85], v[36:37]
	v_add_f64 v[94:95], v[90:91], v[92:93]
	ds_read_b128 v[90:93], v1 offset:1312
	v_add_f64 v[2:3], v[2:3], 0
	v_fma_f64 v[4:5], v[58:59], v[4:5], -v[8:9]
	s_waitcnt vmcnt(45) lgkmcnt(1)
	v_mul_f64 v[96:97], v[86:87], v[30:31]
	v_add_f64 v[2:3], v[2:3], v[4:5]
	v_mul_f64 v[4:5], v[64:65], v[12:13]
	s_waitcnt vmcnt(44)
	v_fmac_f64_e32 v[96:97], v[88:89], v[32:33]
	v_fma_f64 v[4:5], v[62:63], v[6:7], -v[4:5]
	v_add_f64 v[98:99], v[94:95], v[96:97]
	ds_read_b128 v[94:97], v1 offset:1328
	s_waitcnt vmcnt(40) lgkmcnt(1)
	v_mul_f64 v[100:101], v[90:91], v[42:43]
	v_add_f64 v[2:3], v[2:3], v[4:5]
	v_mul_f64 v[4:5], v[68:69], v[18:19]
	s_waitcnt vmcnt(38)
	v_fmac_f64_e32 v[100:101], v[92:93], v[44:45]
	v_fma_f64 v[4:5], v[66:67], v[20:21], -v[4:5]
	v_add_f64 v[102:103], v[98:99], v[100:101]
	ds_read_b128 v[98:101], v1 offset:1344
	v_add_f64 v[2:3], v[2:3], v[4:5]
	v_mul_f64 v[4:5], v[72:73], v[14:15]
	v_fma_f64 v[4:5], v[70:71], v[16:17], -v[4:5]
	v_add_f64 v[2:3], v[2:3], v[4:5]
	v_mul_f64 v[4:5], v[76:77], v[26:27]
	s_waitcnt vmcnt(37) lgkmcnt(1)
	v_mul_f64 v[104:105], v[94:95], v[38:39]
	v_fma_f64 v[4:5], v[74:75], v[28:29], -v[4:5]
	s_waitcnt vmcnt(36)
	v_fmac_f64_e32 v[104:105], v[96:97], v[40:41]
	v_add_f64 v[2:3], v[2:3], v[4:5]
	v_mul_f64 v[4:5], v[80:81], v[22:23]
	v_add_f64 v[106:107], v[102:103], v[104:105]
	ds_read_b128 v[102:105], v1 offset:1360
	s_waitcnt vmcnt(32) lgkmcnt(1)
	v_mul_f64 v[108:109], v[98:99], v[50:51]
	v_fma_f64 v[4:5], v[78:79], v[24:25], -v[4:5]
	s_waitcnt vmcnt(30)
	v_fmac_f64_e32 v[108:109], v[100:101], v[52:53]
	v_add_f64 v[2:3], v[2:3], v[4:5]
	v_mul_f64 v[4:5], v[84:85], v[34:35]
	v_add_f64 v[110:111], v[106:107], v[108:109]
	ds_read_b128 v[106:109], v1 offset:1376
	v_fma_f64 v[4:5], v[82:83], v[36:37], -v[4:5]
	v_add_f64 v[2:3], v[2:3], v[4:5]
	v_mul_f64 v[4:5], v[88:89], v[30:31]
	v_fma_f64 v[4:5], v[86:87], v[32:33], -v[4:5]
	s_waitcnt vmcnt(29) lgkmcnt(1)
	v_mul_f64 v[112:113], v[102:103], v[46:47]
	v_add_f64 v[2:3], v[2:3], v[4:5]
	v_mul_f64 v[4:5], v[92:93], v[42:43]
	s_waitcnt vmcnt(28)
	v_fmac_f64_e32 v[112:113], v[104:105], v[48:49]
	v_fma_f64 v[4:5], v[90:91], v[44:45], -v[4:5]
	v_add_f64 v[114:115], v[110:111], v[112:113]
	ds_read_b128 v[110:113], v1 offset:1392
	s_waitcnt vmcnt(24) lgkmcnt(1)
	v_mul_f64 v[116:117], v[106:107], v[134:135]
	v_add_f64 v[2:3], v[2:3], v[4:5]
	v_mul_f64 v[4:5], v[96:97], v[38:39]
	s_waitcnt vmcnt(22)
	v_fmac_f64_e32 v[116:117], v[108:109], v[136:137]
	v_fma_f64 v[4:5], v[94:95], v[40:41], -v[4:5]
	v_add_f64 v[118:119], v[114:115], v[116:117]
	ds_read_b128 v[114:117], v1 offset:1408
	v_add_f64 v[2:3], v[2:3], v[4:5]
	v_mul_f64 v[4:5], v[100:101], v[50:51]
	v_fma_f64 v[4:5], v[98:99], v[52:53], -v[4:5]
	v_add_f64 v[2:3], v[2:3], v[4:5]
	v_mul_f64 v[4:5], v[104:105], v[46:47]
	s_waitcnt vmcnt(21) lgkmcnt(1)
	v_mul_f64 v[120:121], v[110:111], v[130:131]
	v_fma_f64 v[4:5], v[102:103], v[48:49], -v[4:5]
	s_waitcnt vmcnt(20)
	v_fmac_f64_e32 v[120:121], v[112:113], v[132:133]
	v_add_f64 v[2:3], v[2:3], v[4:5]
	v_mul_f64 v[4:5], v[108:109], v[134:135]
	v_add_f64 v[122:123], v[118:119], v[120:121]
	ds_read_b128 v[118:121], v1 offset:1424
	s_waitcnt vmcnt(16) lgkmcnt(1)
	v_mul_f64 v[124:125], v[114:115], v[142:143]
	v_fma_f64 v[4:5], v[106:107], v[136:137], -v[4:5]
	s_waitcnt vmcnt(14)
	v_fmac_f64_e32 v[124:125], v[116:117], v[144:145]
	v_add_f64 v[2:3], v[2:3], v[4:5]
	v_mul_f64 v[4:5], v[112:113], v[130:131]
	v_add_f64 v[158:159], v[122:123], v[124:125]
	ds_read_b128 v[122:125], v1 offset:1440
	v_fma_f64 v[4:5], v[110:111], v[132:133], -v[4:5]
	v_add_f64 v[2:3], v[2:3], v[4:5]
	v_mul_f64 v[4:5], v[116:117], v[142:143]
	v_fma_f64 v[4:5], v[114:115], v[144:145], -v[4:5]
	v_add_f64 v[2:3], v[2:3], v[4:5]
	s_waitcnt vmcnt(13) lgkmcnt(1)
	v_mul_f64 v[4:5], v[120:121], v[138:139]
	v_mul_f64 v[160:161], v[118:119], v[138:139]
	s_waitcnt vmcnt(12)
	v_fma_f64 v[4:5], v[118:119], v[140:141], -v[4:5]
	v_fmac_f64_e32 v[160:161], v[120:121], v[140:141]
	v_add_f64 v[2:3], v[2:3], v[4:5]
	s_waitcnt vmcnt(8) lgkmcnt(0)
	v_mul_f64 v[4:5], v[124:125], v[150:151]
	v_add_f64 v[158:159], v[158:159], v[160:161]
	v_mul_f64 v[160:161], v[122:123], v[150:151]
	s_waitcnt vmcnt(6)
	v_fma_f64 v[4:5], v[122:123], v[152:153], -v[4:5]
	v_fmac_f64_e32 v[160:161], v[124:125], v[152:153]
	v_add_f64 v[2:3], v[2:3], v[4:5]
	s_waitcnt vmcnt(5)
	v_mul_f64 v[4:5], v[128:129], v[146:147]
	v_add_f64 v[158:159], v[158:159], v[160:161]
	v_mul_f64 v[160:161], v[126:127], v[146:147]
	s_waitcnt vmcnt(4)
	v_fma_f64 v[4:5], v[126:127], v[148:149], -v[4:5]
	v_fmac_f64_e32 v[160:161], v[128:129], v[148:149]
	v_add_f64 v[2:3], v[2:3], v[4:5]
	v_add_f64 v[158:159], v[158:159], v[160:161]
	s_waitcnt vmcnt(2)
	v_add_f64 v[2:3], v[154:155], -v[2:3]
	s_waitcnt vmcnt(0)
	v_add_f64 v[4:5], v[156:157], -v[158:159]
	buffer_store_dword v3, off, s[0:3], 0 offset:436
	buffer_store_dword v2, off, s[0:3], 0 offset:432
	;; [unrolled: 1-line block ×4, first 2 shown]
	s_and_saveexec_b64 s[4:5], vcc
	s_cbranch_execz .LBB45_239
; %bb.238:
	v_accvgpr_read_b32 v0, a112
	buffer_load_dword v2, v0, s[0:3], 0 offen
	buffer_load_dword v3, v0, s[0:3], 0 offen offset:4
	buffer_load_dword v4, v0, s[0:3], 0 offen offset:8
	;; [unrolled: 1-line block ×3, first 2 shown]
	v_accvgpr_read_b32 v0, a138
	buffer_store_dword v1, off, s[0:3], 0 offset:416
	buffer_store_dword v1, off, s[0:3], 0 offset:420
	;; [unrolled: 1-line block ×4, first 2 shown]
	s_waitcnt vmcnt(4)
	ds_write_b128 v0, v[2:5]
.LBB45_239:
	s_or_b64 exec, exec, s[4:5]
	s_waitcnt lgkmcnt(0)
	; wave barrier
	s_waitcnt lgkmcnt(0)
	buffer_load_dword v2, off, s[0:3], 0 offset:432
	buffer_load_dword v3, off, s[0:3], 0 offset:436
	;; [unrolled: 1-line block ×76, first 2 shown]
	ds_read_b128 v[54:57], v1 offset:1152
	buffer_load_dword v159, off, s[0:3], 0 offset:748
	buffer_load_dword v158, off, s[0:3], 0 offset:744
	;; [unrolled: 1-line block ×8, first 2 shown]
	ds_read_b128 v[58:61], v1 offset:1168
	ds_read_b128 v[62:65], v1 offset:1184
	;; [unrolled: 1-line block ×3, first 2 shown]
	v_cmp_lt_u32_e32 vcc, 24, v254
	ds_read_b128 v[130:133], v1 offset:1456
	s_waitcnt vmcnt(62) lgkmcnt(4)
	v_mul_f64 v[70:71], v[54:55], v[8:9]
	v_fmac_f64_e32 v[70:71], v[56:57], v[2:3]
	v_add_f64 v[70:71], v[70:71], 0
	v_mul_f64 v[8:9], v[56:57], v[8:9]
	s_waitcnt lgkmcnt(3)
	v_mul_f64 v[72:73], v[58:59], v[10:11]
	v_fmac_f64_e32 v[72:73], v[60:61], v[4:5]
	v_add_f64 v[70:71], v[70:71], v[72:73]
	v_fma_f64 v[2:3], v[54:55], v[2:3], -v[8:9]
	s_waitcnt lgkmcnt(2)
	v_mul_f64 v[72:73], v[62:63], v[12:13]
	v_fmac_f64_e32 v[72:73], v[64:65], v[6:7]
	v_add_f64 v[74:75], v[70:71], v[72:73]
	ds_read_b128 v[70:73], v1 offset:1216
	v_mul_f64 v[8:9], v[60:61], v[10:11]
	v_add_f64 v[2:3], v[2:3], 0
	s_waitcnt lgkmcnt(2)
	v_mul_f64 v[76:77], v[66:67], v[18:19]
	v_fma_f64 v[4:5], v[58:59], v[4:5], -v[8:9]
	v_fmac_f64_e32 v[76:77], v[68:69], v[20:21]
	v_add_f64 v[78:79], v[74:75], v[76:77]
	ds_read_b128 v[74:77], v1 offset:1232
	s_waitcnt lgkmcnt(1)
	v_mul_f64 v[80:81], v[70:71], v[14:15]
	v_fmac_f64_e32 v[80:81], v[72:73], v[16:17]
	v_add_f64 v[82:83], v[78:79], v[80:81]
	ds_read_b128 v[78:81], v1 offset:1248
	s_waitcnt vmcnt(58) lgkmcnt(1)
	v_mul_f64 v[84:85], v[74:75], v[26:27]
	s_waitcnt vmcnt(56)
	v_fmac_f64_e32 v[84:85], v[76:77], v[28:29]
	v_add_f64 v[86:87], v[82:83], v[84:85]
	ds_read_b128 v[82:85], v1 offset:1264
	s_waitcnt lgkmcnt(1)
	v_mul_f64 v[88:89], v[78:79], v[22:23]
	v_fmac_f64_e32 v[88:89], v[80:81], v[24:25]
	v_add_f64 v[90:91], v[86:87], v[88:89]
	ds_read_b128 v[86:89], v1 offset:1280
	s_waitcnt vmcnt(50) lgkmcnt(1)
	v_mul_f64 v[92:93], v[82:83], v[34:35]
	s_waitcnt vmcnt(48)
	v_fmac_f64_e32 v[92:93], v[84:85], v[36:37]
	v_add_f64 v[94:95], v[90:91], v[92:93]
	ds_read_b128 v[90:93], v1 offset:1296
	s_waitcnt lgkmcnt(1)
	v_mul_f64 v[96:97], v[86:87], v[30:31]
	v_fmac_f64_e32 v[96:97], v[88:89], v[32:33]
	v_add_f64 v[98:99], v[94:95], v[96:97]
	ds_read_b128 v[94:97], v1 offset:1312
	v_add_f64 v[2:3], v[2:3], v[4:5]
	v_mul_f64 v[4:5], v[64:65], v[12:13]
	v_fma_f64 v[4:5], v[62:63], v[6:7], -v[4:5]
	s_waitcnt vmcnt(42) lgkmcnt(1)
	v_mul_f64 v[100:101], v[90:91], v[42:43]
	v_add_f64 v[2:3], v[2:3], v[4:5]
	v_mul_f64 v[4:5], v[68:69], v[18:19]
	s_waitcnt vmcnt(40)
	v_fmac_f64_e32 v[100:101], v[92:93], v[44:45]
	v_fma_f64 v[4:5], v[66:67], v[20:21], -v[4:5]
	v_add_f64 v[102:103], v[98:99], v[100:101]
	ds_read_b128 v[98:101], v1 offset:1328
	s_waitcnt lgkmcnt(1)
	v_mul_f64 v[104:105], v[94:95], v[38:39]
	v_add_f64 v[2:3], v[2:3], v[4:5]
	v_mul_f64 v[4:5], v[72:73], v[14:15]
	v_fmac_f64_e32 v[104:105], v[96:97], v[40:41]
	v_fma_f64 v[4:5], v[70:71], v[16:17], -v[4:5]
	v_add_f64 v[106:107], v[102:103], v[104:105]
	ds_read_b128 v[102:105], v1 offset:1344
	v_add_f64 v[2:3], v[2:3], v[4:5]
	v_mul_f64 v[4:5], v[76:77], v[26:27]
	v_fma_f64 v[4:5], v[74:75], v[28:29], -v[4:5]
	v_add_f64 v[2:3], v[2:3], v[4:5]
	v_mul_f64 v[4:5], v[80:81], v[22:23]
	s_waitcnt vmcnt(34) lgkmcnt(1)
	v_mul_f64 v[108:109], v[98:99], v[50:51]
	v_fma_f64 v[4:5], v[78:79], v[24:25], -v[4:5]
	s_waitcnt vmcnt(32)
	v_fmac_f64_e32 v[108:109], v[100:101], v[52:53]
	v_add_f64 v[2:3], v[2:3], v[4:5]
	v_mul_f64 v[4:5], v[84:85], v[34:35]
	v_add_f64 v[110:111], v[106:107], v[108:109]
	ds_read_b128 v[106:109], v1 offset:1360
	s_waitcnt lgkmcnt(1)
	v_mul_f64 v[112:113], v[102:103], v[46:47]
	v_fma_f64 v[4:5], v[82:83], v[36:37], -v[4:5]
	v_fmac_f64_e32 v[112:113], v[104:105], v[48:49]
	v_add_f64 v[2:3], v[2:3], v[4:5]
	v_mul_f64 v[4:5], v[88:89], v[30:31]
	v_add_f64 v[114:115], v[110:111], v[112:113]
	ds_read_b128 v[110:113], v1 offset:1376
	v_fma_f64 v[4:5], v[86:87], v[32:33], -v[4:5]
	v_add_f64 v[2:3], v[2:3], v[4:5]
	v_mul_f64 v[4:5], v[92:93], v[42:43]
	v_fma_f64 v[4:5], v[90:91], v[44:45], -v[4:5]
	s_waitcnt vmcnt(26) lgkmcnt(1)
	v_mul_f64 v[116:117], v[106:107], v[138:139]
	v_add_f64 v[2:3], v[2:3], v[4:5]
	v_mul_f64 v[4:5], v[96:97], v[38:39]
	s_waitcnt vmcnt(24)
	v_fmac_f64_e32 v[116:117], v[108:109], v[140:141]
	v_fma_f64 v[4:5], v[94:95], v[40:41], -v[4:5]
	v_add_f64 v[118:119], v[114:115], v[116:117]
	ds_read_b128 v[114:117], v1 offset:1392
	s_waitcnt lgkmcnt(1)
	v_mul_f64 v[120:121], v[110:111], v[134:135]
	v_add_f64 v[2:3], v[2:3], v[4:5]
	v_mul_f64 v[4:5], v[100:101], v[50:51]
	v_fmac_f64_e32 v[120:121], v[112:113], v[136:137]
	v_fma_f64 v[4:5], v[98:99], v[52:53], -v[4:5]
	v_add_f64 v[122:123], v[118:119], v[120:121]
	ds_read_b128 v[118:121], v1 offset:1408
	v_add_f64 v[2:3], v[2:3], v[4:5]
	v_mul_f64 v[4:5], v[104:105], v[46:47]
	v_fma_f64 v[4:5], v[102:103], v[48:49], -v[4:5]
	v_add_f64 v[2:3], v[2:3], v[4:5]
	v_mul_f64 v[4:5], v[108:109], v[138:139]
	s_waitcnt vmcnt(18) lgkmcnt(1)
	v_mul_f64 v[124:125], v[114:115], v[146:147]
	v_fma_f64 v[4:5], v[106:107], v[140:141], -v[4:5]
	s_waitcnt vmcnt(16)
	v_fmac_f64_e32 v[124:125], v[116:117], v[148:149]
	v_add_f64 v[2:3], v[2:3], v[4:5]
	v_mul_f64 v[4:5], v[112:113], v[134:135]
	v_add_f64 v[126:127], v[122:123], v[124:125]
	ds_read_b128 v[122:125], v1 offset:1424
	s_waitcnt lgkmcnt(1)
	v_mul_f64 v[128:129], v[118:119], v[142:143]
	v_fma_f64 v[4:5], v[110:111], v[136:137], -v[4:5]
	v_fmac_f64_e32 v[128:129], v[120:121], v[144:145]
	v_add_f64 v[2:3], v[2:3], v[4:5]
	v_mul_f64 v[4:5], v[116:117], v[146:147]
	v_add_f64 v[166:167], v[126:127], v[128:129]
	ds_read_b128 v[126:129], v1 offset:1440
	v_fma_f64 v[4:5], v[114:115], v[148:149], -v[4:5]
	v_add_f64 v[2:3], v[2:3], v[4:5]
	v_mul_f64 v[4:5], v[120:121], v[142:143]
	v_fma_f64 v[4:5], v[118:119], v[144:145], -v[4:5]
	v_add_f64 v[2:3], v[2:3], v[4:5]
	s_waitcnt vmcnt(10) lgkmcnt(1)
	v_mul_f64 v[4:5], v[124:125], v[154:155]
	v_mul_f64 v[168:169], v[122:123], v[154:155]
	s_waitcnt vmcnt(8)
	v_fma_f64 v[4:5], v[122:123], v[156:157], -v[4:5]
	v_fmac_f64_e32 v[168:169], v[124:125], v[156:157]
	v_add_f64 v[2:3], v[2:3], v[4:5]
	s_waitcnt lgkmcnt(0)
	v_mul_f64 v[4:5], v[128:129], v[150:151]
	v_add_f64 v[166:167], v[166:167], v[168:169]
	v_mul_f64 v[168:169], v[126:127], v[150:151]
	v_fma_f64 v[4:5], v[126:127], v[152:153], -v[4:5]
	v_fmac_f64_e32 v[168:169], v[128:129], v[152:153]
	v_add_f64 v[2:3], v[2:3], v[4:5]
	s_waitcnt vmcnt(6)
	v_mul_f64 v[4:5], v[132:133], v[158:159]
	v_add_f64 v[166:167], v[166:167], v[168:169]
	v_mul_f64 v[168:169], v[130:131], v[158:159]
	s_waitcnt vmcnt(4)
	v_fma_f64 v[4:5], v[130:131], v[160:161], -v[4:5]
	v_fmac_f64_e32 v[168:169], v[132:133], v[160:161]
	v_add_f64 v[2:3], v[2:3], v[4:5]
	v_add_f64 v[166:167], v[166:167], v[168:169]
	s_waitcnt vmcnt(2)
	v_add_f64 v[2:3], v[162:163], -v[2:3]
	s_waitcnt vmcnt(0)
	v_add_f64 v[4:5], v[164:165], -v[166:167]
	buffer_store_dword v3, off, s[0:3], 0 offset:420
	buffer_store_dword v2, off, s[0:3], 0 offset:416
	;; [unrolled: 1-line block ×4, first 2 shown]
	s_and_saveexec_b64 s[4:5], vcc
	s_cbranch_execz .LBB45_241
; %bb.240:
	v_accvgpr_read_b32 v0, a113
	buffer_load_dword v2, v0, s[0:3], 0 offen
	buffer_load_dword v3, v0, s[0:3], 0 offen offset:4
	buffer_load_dword v4, v0, s[0:3], 0 offen offset:8
	;; [unrolled: 1-line block ×3, first 2 shown]
	v_mov_b32_e32 v0, 0
	v_accvgpr_read_b32 v1, a138
	buffer_store_dword v0, off, s[0:3], 0 offset:400
	buffer_store_dword v0, off, s[0:3], 0 offset:404
	;; [unrolled: 1-line block ×4, first 2 shown]
	s_waitcnt vmcnt(4)
	ds_write_b128 v1, v[2:5]
.LBB45_241:
	s_or_b64 exec, exec, s[4:5]
	s_waitcnt lgkmcnt(0)
	; wave barrier
	s_waitcnt lgkmcnt(0)
	buffer_load_dword v4, off, s[0:3], 0 offset:400
	buffer_load_dword v5, off, s[0:3], 0 offset:404
	;; [unrolled: 1-line block ×84, first 2 shown]
	v_mov_b32_e32 v1, 0
	ds_read_b128 v[66:69], v1 offset:1136
	buffer_load_dword v171, off, s[0:3], 0 offset:748
	buffer_load_dword v170, off, s[0:3], 0 offset:744
	;; [unrolled: 1-line block ×4, first 2 shown]
	ds_read_b128 v[70:73], v1 offset:1152
	ds_read_b128 v[74:77], v1 offset:1168
	;; [unrolled: 1-line block ×4, first 2 shown]
	v_cmp_lt_u32_e32 vcc, 23, v254
	s_waitcnt vmcnt(62) lgkmcnt(4)
	v_mul_f64 v[82:83], v[66:67], v[12:13]
	v_fmac_f64_e32 v[82:83], v[68:69], v[6:7]
	s_waitcnt lgkmcnt(3)
	v_mul_f64 v[84:85], v[70:71], v[14:15]
	v_add_f64 v[82:83], v[82:83], 0
	v_fmac_f64_e32 v[84:85], v[72:73], v[8:9]
	v_add_f64 v[82:83], v[82:83], v[84:85]
	s_waitcnt lgkmcnt(2)
	v_mul_f64 v[84:85], v[74:75], v[16:17]
	v_fmac_f64_e32 v[84:85], v[76:77], v[10:11]
	v_add_f64 v[86:87], v[82:83], v[84:85]
	ds_read_b128 v[82:85], v1 offset:1200
	v_mul_f64 v[12:13], v[68:69], v[12:13]
	s_waitcnt lgkmcnt(2)
	v_mul_f64 v[88:89], v[78:79], v[22:23]
	v_fma_f64 v[6:7], v[66:67], v[6:7], -v[12:13]
	v_fmac_f64_e32 v[88:89], v[80:81], v[24:25]
	v_add_f64 v[90:91], v[86:87], v[88:89]
	ds_read_b128 v[86:89], v1 offset:1216
	s_waitcnt lgkmcnt(1)
	v_mul_f64 v[92:93], v[82:83], v[18:19]
	v_fmac_f64_e32 v[92:93], v[84:85], v[20:21]
	v_add_f64 v[94:95], v[90:91], v[92:93]
	ds_read_b128 v[90:93], v1 offset:1232
	s_waitcnt vmcnt(58) lgkmcnt(1)
	v_mul_f64 v[96:97], v[86:87], v[30:31]
	s_waitcnt vmcnt(56)
	v_fmac_f64_e32 v[96:97], v[88:89], v[32:33]
	v_add_f64 v[98:99], v[94:95], v[96:97]
	ds_read_b128 v[94:97], v1 offset:1248
	s_waitcnt lgkmcnt(1)
	v_mul_f64 v[100:101], v[90:91], v[26:27]
	v_fmac_f64_e32 v[100:101], v[92:93], v[28:29]
	v_add_f64 v[102:103], v[98:99], v[100:101]
	ds_read_b128 v[98:101], v1 offset:1264
	s_waitcnt vmcnt(50) lgkmcnt(1)
	v_mul_f64 v[104:105], v[94:95], v[38:39]
	s_waitcnt vmcnt(48)
	v_fmac_f64_e32 v[104:105], v[96:97], v[40:41]
	v_add_f64 v[106:107], v[102:103], v[104:105]
	ds_read_b128 v[102:105], v1 offset:1280
	s_waitcnt lgkmcnt(1)
	v_mul_f64 v[108:109], v[98:99], v[34:35]
	v_fmac_f64_e32 v[108:109], v[100:101], v[36:37]
	v_mul_f64 v[12:13], v[72:73], v[14:15]
	v_add_f64 v[110:111], v[106:107], v[108:109]
	ds_read_b128 v[106:109], v1 offset:1296
	s_waitcnt vmcnt(42) lgkmcnt(1)
	v_mul_f64 v[112:113], v[102:103], v[46:47]
	v_add_f64 v[6:7], v[6:7], 0
	v_fma_f64 v[8:9], v[70:71], v[8:9], -v[12:13]
	s_waitcnt vmcnt(40)
	v_fmac_f64_e32 v[112:113], v[104:105], v[48:49]
	v_add_f64 v[6:7], v[6:7], v[8:9]
	v_mul_f64 v[8:9], v[76:77], v[16:17]
	v_add_f64 v[114:115], v[110:111], v[112:113]
	ds_read_b128 v[110:113], v1 offset:1312
	v_fma_f64 v[8:9], v[74:75], v[10:11], -v[8:9]
	v_add_f64 v[6:7], v[6:7], v[8:9]
	v_mul_f64 v[8:9], v[80:81], v[22:23]
	v_fma_f64 v[8:9], v[78:79], v[24:25], -v[8:9]
	s_waitcnt lgkmcnt(1)
	v_mul_f64 v[116:117], v[106:107], v[42:43]
	v_add_f64 v[6:7], v[6:7], v[8:9]
	v_mul_f64 v[8:9], v[84:85], v[18:19]
	v_fmac_f64_e32 v[116:117], v[108:109], v[44:45]
	v_fma_f64 v[8:9], v[82:83], v[20:21], -v[8:9]
	v_add_f64 v[118:119], v[114:115], v[116:117]
	ds_read_b128 v[114:117], v1 offset:1328
	s_waitcnt vmcnt(34) lgkmcnt(1)
	v_mul_f64 v[120:121], v[110:111], v[54:55]
	v_add_f64 v[6:7], v[6:7], v[8:9]
	v_mul_f64 v[8:9], v[88:89], v[30:31]
	s_waitcnt vmcnt(32)
	v_fmac_f64_e32 v[120:121], v[112:113], v[56:57]
	v_fma_f64 v[8:9], v[86:87], v[32:33], -v[8:9]
	v_add_f64 v[122:123], v[118:119], v[120:121]
	ds_read_b128 v[118:121], v1 offset:1344
	v_add_f64 v[6:7], v[6:7], v[8:9]
	v_mul_f64 v[8:9], v[92:93], v[26:27]
	v_fma_f64 v[8:9], v[90:91], v[28:29], -v[8:9]
	v_add_f64 v[6:7], v[6:7], v[8:9]
	v_mul_f64 v[8:9], v[96:97], v[38:39]
	s_waitcnt lgkmcnt(1)
	v_mul_f64 v[124:125], v[114:115], v[50:51]
	v_fma_f64 v[8:9], v[94:95], v[40:41], -v[8:9]
	v_fmac_f64_e32 v[124:125], v[116:117], v[52:53]
	v_add_f64 v[6:7], v[6:7], v[8:9]
	v_mul_f64 v[8:9], v[100:101], v[34:35]
	v_add_f64 v[126:127], v[122:123], v[124:125]
	ds_read_b128 v[122:125], v1 offset:1360
	s_waitcnt vmcnt(26) lgkmcnt(1)
	v_mul_f64 v[128:129], v[118:119], v[62:63]
	v_fma_f64 v[8:9], v[98:99], v[36:37], -v[8:9]
	s_waitcnt vmcnt(24)
	v_fmac_f64_e32 v[128:129], v[120:121], v[64:65]
	v_add_f64 v[6:7], v[6:7], v[8:9]
	v_mul_f64 v[8:9], v[104:105], v[46:47]
	v_add_f64 v[130:131], v[126:127], v[128:129]
	ds_read_b128 v[126:129], v1 offset:1376
	v_fma_f64 v[8:9], v[102:103], v[48:49], -v[8:9]
	v_add_f64 v[6:7], v[6:7], v[8:9]
	v_mul_f64 v[8:9], v[108:109], v[42:43]
	v_fma_f64 v[8:9], v[106:107], v[44:45], -v[8:9]
	s_waitcnt lgkmcnt(1)
	v_mul_f64 v[132:133], v[122:123], v[58:59]
	v_add_f64 v[6:7], v[6:7], v[8:9]
	v_mul_f64 v[8:9], v[112:113], v[54:55]
	v_fmac_f64_e32 v[132:133], v[124:125], v[60:61]
	v_fma_f64 v[8:9], v[110:111], v[56:57], -v[8:9]
	v_add_f64 v[134:135], v[130:131], v[132:133]
	ds_read_b128 v[130:133], v1 offset:1392
	s_waitcnt vmcnt(18) lgkmcnt(1)
	v_mul_f64 v[136:137], v[126:127], v[154:155]
	v_add_f64 v[6:7], v[6:7], v[8:9]
	v_mul_f64 v[8:9], v[116:117], v[50:51]
	s_waitcnt vmcnt(16)
	v_fmac_f64_e32 v[136:137], v[128:129], v[156:157]
	v_fma_f64 v[8:9], v[114:115], v[52:53], -v[8:9]
	v_add_f64 v[138:139], v[134:135], v[136:137]
	ds_read_b128 v[134:137], v1 offset:1408
	v_add_f64 v[6:7], v[6:7], v[8:9]
	v_mul_f64 v[8:9], v[120:121], v[62:63]
	v_fma_f64 v[8:9], v[118:119], v[64:65], -v[8:9]
	v_add_f64 v[6:7], v[6:7], v[8:9]
	v_mul_f64 v[8:9], v[124:125], v[58:59]
	s_waitcnt lgkmcnt(1)
	v_mul_f64 v[140:141], v[130:131], v[150:151]
	v_fma_f64 v[8:9], v[122:123], v[60:61], -v[8:9]
	v_fmac_f64_e32 v[140:141], v[132:133], v[152:153]
	v_add_f64 v[6:7], v[6:7], v[8:9]
	v_mul_f64 v[8:9], v[128:129], v[154:155]
	v_add_f64 v[142:143], v[138:139], v[140:141]
	ds_read_b128 v[138:141], v1 offset:1424
	s_waitcnt vmcnt(10) lgkmcnt(1)
	v_mul_f64 v[144:145], v[134:135], v[162:163]
	v_fma_f64 v[8:9], v[126:127], v[156:157], -v[8:9]
	s_waitcnt vmcnt(8)
	v_fmac_f64_e32 v[144:145], v[136:137], v[164:165]
	v_add_f64 v[6:7], v[6:7], v[8:9]
	v_mul_f64 v[8:9], v[132:133], v[150:151]
	v_add_f64 v[174:175], v[142:143], v[144:145]
	ds_read_b128 v[142:145], v1 offset:1440
	v_fma_f64 v[8:9], v[130:131], v[152:153], -v[8:9]
	v_add_f64 v[6:7], v[6:7], v[8:9]
	v_mul_f64 v[8:9], v[136:137], v[162:163]
	v_fma_f64 v[8:9], v[134:135], v[164:165], -v[8:9]
	v_add_f64 v[6:7], v[6:7], v[8:9]
	s_waitcnt lgkmcnt(1)
	v_mul_f64 v[8:9], v[140:141], v[158:159]
	v_mul_f64 v[176:177], v[138:139], v[158:159]
	v_fma_f64 v[8:9], v[138:139], v[160:161], -v[8:9]
	v_fmac_f64_e32 v[176:177], v[140:141], v[160:161]
	v_add_f64 v[6:7], v[6:7], v[8:9]
	s_waitcnt vmcnt(6) lgkmcnt(0)
	v_mul_f64 v[8:9], v[144:145], v[166:167]
	v_add_f64 v[174:175], v[174:175], v[176:177]
	v_mul_f64 v[176:177], v[142:143], v[166:167]
	s_waitcnt vmcnt(4)
	v_fma_f64 v[8:9], v[142:143], v[168:169], -v[8:9]
	v_fmac_f64_e32 v[176:177], v[144:145], v[168:169]
	v_add_f64 v[6:7], v[6:7], v[8:9]
	s_waitcnt vmcnt(2)
	v_mul_f64 v[8:9], v[148:149], v[170:171]
	v_add_f64 v[174:175], v[174:175], v[176:177]
	v_mul_f64 v[176:177], v[146:147], v[170:171]
	s_waitcnt vmcnt(0)
	v_fma_f64 v[8:9], v[146:147], v[172:173], -v[8:9]
	v_fmac_f64_e32 v[176:177], v[148:149], v[172:173]
	v_add_f64 v[6:7], v[6:7], v[8:9]
	v_add_f64 v[174:175], v[174:175], v[176:177]
	v_add_f64 v[4:5], v[4:5], -v[6:7]
	v_add_f64 v[2:3], v[2:3], -v[174:175]
	buffer_store_dword v5, off, s[0:3], 0 offset:404
	buffer_store_dword v4, off, s[0:3], 0 offset:400
	;; [unrolled: 1-line block ×4, first 2 shown]
	s_and_saveexec_b64 s[4:5], vcc
	s_cbranch_execz .LBB45_243
; %bb.242:
	v_accvgpr_read_b32 v0, a114
	buffer_load_dword v2, v0, s[0:3], 0 offen
	buffer_load_dword v3, v0, s[0:3], 0 offen offset:4
	buffer_load_dword v4, v0, s[0:3], 0 offen offset:8
	;; [unrolled: 1-line block ×3, first 2 shown]
	v_accvgpr_read_b32 v0, a138
	buffer_store_dword v1, off, s[0:3], 0 offset:384
	buffer_store_dword v1, off, s[0:3], 0 offset:388
	;; [unrolled: 1-line block ×4, first 2 shown]
	s_waitcnt vmcnt(4)
	ds_write_b128 v0, v[2:5]
.LBB45_243:
	s_or_b64 exec, exec, s[4:5]
	s_waitcnt lgkmcnt(0)
	; wave barrier
	s_waitcnt lgkmcnt(0)
	ds_read_b128 v[14:17], v1 offset:1120
	ds_read_b128 v[10:13], v1 offset:1136
	ds_read_b128 v[6:9], v1 offset:1152
	ds_read_b128 v[2:5], v1 offset:1168
	buffer_load_dword v20, off, s[0:3], 0 offset:384
	buffer_load_dword v21, off, s[0:3], 0 offset:388
	;; [unrolled: 1-line block ×92, first 2 shown]
	s_waitcnt vmcnt(62) lgkmcnt(3)
	v_mul_f64 v[86:87], v[14:15], v[28:29]
	v_fmac_f64_e32 v[86:87], v[16:17], v[22:23]
	s_waitcnt lgkmcnt(2)
	v_mul_f64 v[88:89], v[10:11], v[30:31]
	v_add_f64 v[86:87], v[86:87], 0
	v_fmac_f64_e32 v[88:89], v[12:13], v[24:25]
	v_add_f64 v[86:87], v[86:87], v[88:89]
	s_waitcnt lgkmcnt(1)
	v_mul_f64 v[88:89], v[6:7], v[32:33]
	v_fmac_f64_e32 v[88:89], v[8:9], v[26:27]
	v_add_f64 v[90:91], v[86:87], v[88:89]
	ds_read_b128 v[86:89], v1 offset:1184
	v_mul_f64 v[16:17], v[16:17], v[28:29]
	v_fma_f64 v[14:15], v[14:15], v[22:23], -v[16:17]
	s_waitcnt lgkmcnt(1)
	v_mul_f64 v[92:93], v[2:3], v[38:39]
	v_mul_f64 v[12:13], v[12:13], v[30:31]
	v_fmac_f64_e32 v[92:93], v[4:5], v[40:41]
	v_add_f64 v[94:95], v[90:91], v[92:93]
	ds_read_b128 v[90:93], v1 offset:1200
	s_waitcnt lgkmcnt(1)
	v_mul_f64 v[96:97], v[86:87], v[34:35]
	v_fmac_f64_e32 v[96:97], v[88:89], v[36:37]
	v_add_f64 v[98:99], v[94:95], v[96:97]
	ds_read_b128 v[94:97], v1 offset:1216
	s_waitcnt lgkmcnt(1)
	v_mul_f64 v[100:101], v[90:91], v[46:47]
	s_waitcnt vmcnt(60)
	v_fmac_f64_e32 v[100:101], v[92:93], v[48:49]
	v_add_f64 v[102:103], v[98:99], v[100:101]
	ds_read_b128 v[98:101], v1 offset:1232
	s_waitcnt lgkmcnt(1)
	v_mul_f64 v[104:105], v[94:95], v[42:43]
	v_fmac_f64_e32 v[104:105], v[96:97], v[44:45]
	v_add_f64 v[106:107], v[102:103], v[104:105]
	ds_read_b128 v[102:105], v1 offset:1248
	s_waitcnt vmcnt(54) lgkmcnt(1)
	v_mul_f64 v[108:109], v[98:99], v[54:55]
	s_waitcnt vmcnt(52)
	v_fmac_f64_e32 v[108:109], v[100:101], v[56:57]
	v_add_f64 v[110:111], v[106:107], v[108:109]
	ds_read_b128 v[106:109], v1 offset:1264
	s_waitcnt lgkmcnt(1)
	v_mul_f64 v[112:113], v[102:103], v[50:51]
	v_fmac_f64_e32 v[112:113], v[104:105], v[52:53]
	v_add_f64 v[114:115], v[110:111], v[112:113]
	ds_read_b128 v[110:113], v1 offset:1280
	s_waitcnt vmcnt(46) lgkmcnt(1)
	v_mul_f64 v[116:117], v[106:107], v[62:63]
	s_waitcnt vmcnt(44)
	v_fmac_f64_e32 v[116:117], v[108:109], v[64:65]
	v_add_f64 v[118:119], v[114:115], v[116:117]
	ds_read_b128 v[114:117], v1 offset:1296
	s_waitcnt lgkmcnt(1)
	v_mul_f64 v[120:121], v[110:111], v[58:59]
	v_fmac_f64_e32 v[120:121], v[112:113], v[60:61]
	v_add_f64 v[14:15], v[14:15], 0
	v_fma_f64 v[10:11], v[10:11], v[24:25], -v[12:13]
	v_mul_f64 v[8:9], v[8:9], v[32:33]
	v_add_f64 v[122:123], v[118:119], v[120:121]
	ds_read_b128 v[118:121], v1 offset:1312
	v_add_f64 v[10:11], v[14:15], v[10:11]
	v_fma_f64 v[6:7], v[6:7], v[26:27], -v[8:9]
	v_mul_f64 v[4:5], v[4:5], v[38:39]
	v_add_f64 v[6:7], v[10:11], v[6:7]
	v_fma_f64 v[2:3], v[2:3], v[40:41], -v[4:5]
	v_mul_f64 v[4:5], v[88:89], v[34:35]
	v_add_f64 v[2:3], v[6:7], v[2:3]
	v_fma_f64 v[4:5], v[86:87], v[36:37], -v[4:5]
	s_waitcnt vmcnt(38) lgkmcnt(1)
	v_mul_f64 v[124:125], v[114:115], v[70:71]
	v_add_f64 v[2:3], v[2:3], v[4:5]
	v_mul_f64 v[4:5], v[92:93], v[46:47]
	s_waitcnt vmcnt(36)
	v_fmac_f64_e32 v[124:125], v[116:117], v[72:73]
	v_fma_f64 v[4:5], v[90:91], v[48:49], -v[4:5]
	v_add_f64 v[126:127], v[122:123], v[124:125]
	ds_read_b128 v[122:125], v1 offset:1328
	s_waitcnt lgkmcnt(1)
	v_mul_f64 v[128:129], v[118:119], v[66:67]
	v_add_f64 v[2:3], v[2:3], v[4:5]
	v_mul_f64 v[4:5], v[96:97], v[42:43]
	v_fmac_f64_e32 v[128:129], v[120:121], v[68:69]
	v_fma_f64 v[4:5], v[94:95], v[44:45], -v[4:5]
	v_add_f64 v[130:131], v[126:127], v[128:129]
	ds_read_b128 v[126:129], v1 offset:1344
	v_add_f64 v[2:3], v[2:3], v[4:5]
	v_mul_f64 v[4:5], v[100:101], v[54:55]
	v_fma_f64 v[4:5], v[98:99], v[56:57], -v[4:5]
	v_add_f64 v[2:3], v[2:3], v[4:5]
	v_mul_f64 v[4:5], v[104:105], v[50:51]
	s_waitcnt vmcnt(30) lgkmcnt(1)
	v_mul_f64 v[132:133], v[122:123], v[78:79]
	v_fma_f64 v[4:5], v[102:103], v[52:53], -v[4:5]
	s_waitcnt vmcnt(28)
	v_fmac_f64_e32 v[132:133], v[124:125], v[80:81]
	v_add_f64 v[2:3], v[2:3], v[4:5]
	v_mul_f64 v[4:5], v[108:109], v[62:63]
	v_add_f64 v[134:135], v[130:131], v[132:133]
	ds_read_b128 v[130:133], v1 offset:1360
	s_waitcnt lgkmcnt(1)
	v_mul_f64 v[136:137], v[126:127], v[74:75]
	v_fma_f64 v[4:5], v[106:107], v[64:65], -v[4:5]
	v_fmac_f64_e32 v[136:137], v[128:129], v[76:77]
	v_add_f64 v[2:3], v[2:3], v[4:5]
	v_mul_f64 v[4:5], v[112:113], v[58:59]
	v_add_f64 v[138:139], v[134:135], v[136:137]
	ds_read_b128 v[134:137], v1 offset:1376
	v_fma_f64 v[4:5], v[110:111], v[60:61], -v[4:5]
	v_add_f64 v[2:3], v[2:3], v[4:5]
	v_mul_f64 v[4:5], v[116:117], v[70:71]
	v_fma_f64 v[4:5], v[114:115], v[72:73], -v[4:5]
	s_waitcnt vmcnt(22) lgkmcnt(1)
	v_mul_f64 v[140:141], v[130:131], v[158:159]
	v_add_f64 v[2:3], v[2:3], v[4:5]
	v_mul_f64 v[4:5], v[120:121], v[66:67]
	s_waitcnt vmcnt(20)
	v_fmac_f64_e32 v[140:141], v[132:133], v[160:161]
	v_fma_f64 v[4:5], v[118:119], v[68:69], -v[4:5]
	v_add_f64 v[142:143], v[138:139], v[140:141]
	ds_read_b128 v[138:141], v1 offset:1392
	s_waitcnt lgkmcnt(1)
	v_mul_f64 v[144:145], v[134:135], v[82:83]
	v_add_f64 v[2:3], v[2:3], v[4:5]
	v_mul_f64 v[4:5], v[124:125], v[78:79]
	v_fmac_f64_e32 v[144:145], v[136:137], v[84:85]
	v_fma_f64 v[4:5], v[122:123], v[80:81], -v[4:5]
	v_add_f64 v[146:147], v[142:143], v[144:145]
	ds_read_b128 v[142:145], v1 offset:1408
	v_add_f64 v[2:3], v[2:3], v[4:5]
	v_mul_f64 v[4:5], v[128:129], v[74:75]
	v_fma_f64 v[4:5], v[126:127], v[76:77], -v[4:5]
	v_add_f64 v[2:3], v[2:3], v[4:5]
	v_mul_f64 v[4:5], v[132:133], v[158:159]
	s_waitcnt vmcnt(14) lgkmcnt(1)
	v_mul_f64 v[148:149], v[138:139], v[166:167]
	v_fma_f64 v[4:5], v[130:131], v[160:161], -v[4:5]
	s_waitcnt vmcnt(12)
	v_fmac_f64_e32 v[148:149], v[140:141], v[168:169]
	v_add_f64 v[2:3], v[2:3], v[4:5]
	v_mul_f64 v[4:5], v[136:137], v[82:83]
	v_add_f64 v[150:151], v[146:147], v[148:149]
	ds_read_b128 v[146:149], v1 offset:1424
	s_waitcnt lgkmcnt(1)
	v_mul_f64 v[152:153], v[142:143], v[162:163]
	v_fma_f64 v[4:5], v[134:135], v[84:85], -v[4:5]
	v_fmac_f64_e32 v[152:153], v[144:145], v[164:165]
	v_add_f64 v[2:3], v[2:3], v[4:5]
	v_mul_f64 v[4:5], v[140:141], v[166:167]
	v_add_f64 v[182:183], v[150:151], v[152:153]
	ds_read_b128 v[150:153], v1 offset:1440
	ds_read_b128 v[154:157], v1 offset:1456
	v_fma_f64 v[4:5], v[138:139], v[168:169], -v[4:5]
	v_add_f64 v[2:3], v[2:3], v[4:5]
	v_mul_f64 v[4:5], v[144:145], v[162:163]
	v_fma_f64 v[4:5], v[142:143], v[164:165], -v[4:5]
	v_add_f64 v[2:3], v[2:3], v[4:5]
	s_waitcnt vmcnt(6) lgkmcnt(2)
	v_mul_f64 v[4:5], v[148:149], v[174:175]
	v_mul_f64 v[184:185], v[146:147], v[174:175]
	s_waitcnt vmcnt(4)
	v_fma_f64 v[4:5], v[146:147], v[176:177], -v[4:5]
	v_fmac_f64_e32 v[184:185], v[148:149], v[176:177]
	v_add_f64 v[2:3], v[2:3], v[4:5]
	s_waitcnt lgkmcnt(1)
	v_mul_f64 v[4:5], v[152:153], v[170:171]
	v_add_f64 v[182:183], v[182:183], v[184:185]
	v_mul_f64 v[184:185], v[150:151], v[170:171]
	v_fma_f64 v[4:5], v[150:151], v[172:173], -v[4:5]
	v_fmac_f64_e32 v[184:185], v[152:153], v[172:173]
	v_add_f64 v[2:3], v[2:3], v[4:5]
	s_waitcnt vmcnt(2) lgkmcnt(0)
	v_mul_f64 v[4:5], v[156:157], v[178:179]
	v_add_f64 v[182:183], v[182:183], v[184:185]
	v_mul_f64 v[184:185], v[154:155], v[178:179]
	s_waitcnt vmcnt(0)
	v_fma_f64 v[4:5], v[154:155], v[180:181], -v[4:5]
	v_fmac_f64_e32 v[184:185], v[156:157], v[180:181]
	v_add_f64 v[2:3], v[2:3], v[4:5]
	v_add_f64 v[182:183], v[182:183], v[184:185]
	v_add_f64 v[2:3], v[20:21], -v[2:3]
	v_cmp_lt_u32_e32 vcc, 22, v254
	v_add_f64 v[4:5], v[18:19], -v[182:183]
	buffer_store_dword v3, off, s[0:3], 0 offset:388
	buffer_store_dword v2, off, s[0:3], 0 offset:384
	;; [unrolled: 1-line block ×4, first 2 shown]
	s_and_saveexec_b64 s[4:5], vcc
	s_cbranch_execz .LBB45_245
; %bb.244:
	v_accvgpr_read_b32 v0, a115
	buffer_load_dword v2, v0, s[0:3], 0 offen
	buffer_load_dword v3, v0, s[0:3], 0 offen offset:4
	buffer_load_dword v4, v0, s[0:3], 0 offen offset:8
	;; [unrolled: 1-line block ×3, first 2 shown]
	v_mov_b32_e32 v0, 0
	v_accvgpr_read_b32 v1, a138
	buffer_store_dword v0, off, s[0:3], 0 offset:368
	buffer_store_dword v0, off, s[0:3], 0 offset:372
	;; [unrolled: 1-line block ×4, first 2 shown]
	s_waitcnt vmcnt(4)
	ds_write_b128 v1, v[2:5]
.LBB45_245:
	s_or_b64 exec, exec, s[4:5]
	s_waitcnt lgkmcnt(0)
	; wave barrier
	s_waitcnt lgkmcnt(0)
	buffer_load_dword v9, off, s[0:3], 0 offset:396
	buffer_load_dword v6, off, s[0:3], 0 offset:408
	;; [unrolled: 1-line block ×64, first 2 shown]
	v_mov_b32_e32 v1, 0
	ds_read_b128 v[74:77], v1 offset:1104
	ds_read_b128 v[78:81], v1 offset:1120
	buffer_load_dword v67, off, s[0:3], 0 offset:652
	buffer_load_dword v66, off, s[0:3], 0 offset:648
	;; [unrolled: 1-line block ×8, first 2 shown]
	ds_read_b128 v[82:85], v1 offset:1136
	ds_read_b128 v[86:89], v1 offset:1152
	buffer_load_dword v167, off, s[0:3], 0 offset:684
	buffer_load_dword v166, off, s[0:3], 0 offset:680
	;; [unrolled: 1-line block ×24, first 2 shown]
	ds_read_b128 v[162:165], v1 offset:1456
	v_cmp_lt_u32_e32 vcc, 21, v254
	s_waitcnt vmcnt(62) lgkmcnt(1)
	v_mul_f64 v[96:97], v[86:87], v[22:23]
	v_fmac_f64_e32 v[96:97], v[88:89], v[24:25]
	v_mul_f64 v[92:93], v[78:79], v[6:7]
	v_mul_f64 v[90:91], v[74:75], v[8:9]
	;; [unrolled: 1-line block ×3, first 2 shown]
	v_fmac_f64_e32 v[90:91], v[76:77], v[10:11]
	v_add_f64 v[90:91], v[90:91], 0
	v_fma_f64 v[8:9], v[74:75], v[10:11], -v[8:9]
	v_mul_f64 v[6:7], v[80:81], v[6:7]
	v_add_f64 v[8:9], v[8:9], 0
	v_fmac_f64_e32 v[92:93], v[80:81], v[14:15]
	v_add_f64 v[90:91], v[90:91], v[92:93]
	v_mul_f64 v[92:93], v[82:83], v[16:17]
	v_fmac_f64_e32 v[92:93], v[84:85], v[12:13]
	v_add_f64 v[94:95], v[90:91], v[92:93]
	ds_read_b128 v[90:93], v1 offset:1168
	v_add_f64 v[98:99], v[94:95], v[96:97]
	ds_read_b128 v[94:97], v1 offset:1184
	v_fma_f64 v[6:7], v[78:79], v[14:15], -v[6:7]
	v_add_f64 v[6:7], v[8:9], v[6:7]
	s_waitcnt lgkmcnt(1)
	v_mul_f64 v[100:101], v[90:91], v[18:19]
	v_fmac_f64_e32 v[100:101], v[92:93], v[20:21]
	v_add_f64 v[102:103], v[98:99], v[100:101]
	ds_read_b128 v[98:101], v1 offset:1200
	s_waitcnt lgkmcnt(1)
	v_mul_f64 v[104:105], v[94:95], v[30:31]
	v_fmac_f64_e32 v[104:105], v[96:97], v[32:33]
	v_add_f64 v[106:107], v[102:103], v[104:105]
	ds_read_b128 v[102:105], v1 offset:1216
	;; [unrolled: 5-line block ×3, first 2 shown]
	s_waitcnt vmcnt(58) lgkmcnt(1)
	v_mul_f64 v[112:113], v[102:103], v[38:39]
	s_waitcnt vmcnt(56)
	v_fmac_f64_e32 v[112:113], v[104:105], v[40:41]
	v_add_f64 v[114:115], v[110:111], v[112:113]
	ds_read_b128 v[110:113], v1 offset:1248
	s_waitcnt lgkmcnt(1)
	v_mul_f64 v[116:117], v[106:107], v[34:35]
	v_fmac_f64_e32 v[116:117], v[108:109], v[36:37]
	v_add_f64 v[118:119], v[114:115], v[116:117]
	ds_read_b128 v[114:117], v1 offset:1264
	s_waitcnt vmcnt(50) lgkmcnt(1)
	v_mul_f64 v[120:121], v[110:111], v[46:47]
	s_waitcnt vmcnt(48)
	v_fmac_f64_e32 v[120:121], v[112:113], v[48:49]
	v_add_f64 v[122:123], v[118:119], v[120:121]
	ds_read_b128 v[118:121], v1 offset:1280
	v_mul_f64 v[8:9], v[84:85], v[16:17]
	s_waitcnt lgkmcnt(1)
	v_mul_f64 v[124:125], v[114:115], v[42:43]
	v_fma_f64 v[8:9], v[82:83], v[12:13], -v[8:9]
	v_fmac_f64_e32 v[124:125], v[116:117], v[44:45]
	v_add_f64 v[6:7], v[6:7], v[8:9]
	v_mul_f64 v[8:9], v[88:89], v[22:23]
	v_add_f64 v[126:127], v[122:123], v[124:125]
	ds_read_b128 v[122:125], v1 offset:1296
	s_waitcnt vmcnt(42) lgkmcnt(1)
	v_mul_f64 v[128:129], v[118:119], v[54:55]
	v_fma_f64 v[8:9], v[86:87], v[24:25], -v[8:9]
	s_waitcnt vmcnt(40)
	v_fmac_f64_e32 v[128:129], v[120:121], v[56:57]
	v_add_f64 v[6:7], v[6:7], v[8:9]
	v_mul_f64 v[8:9], v[92:93], v[18:19]
	v_add_f64 v[130:131], v[126:127], v[128:129]
	ds_read_b128 v[126:129], v1 offset:1312
	v_fma_f64 v[8:9], v[90:91], v[20:21], -v[8:9]
	v_add_f64 v[6:7], v[6:7], v[8:9]
	v_mul_f64 v[8:9], v[96:97], v[30:31]
	v_fma_f64 v[8:9], v[94:95], v[32:33], -v[8:9]
	s_waitcnt lgkmcnt(1)
	v_mul_f64 v[132:133], v[122:123], v[50:51]
	v_add_f64 v[6:7], v[6:7], v[8:9]
	v_mul_f64 v[8:9], v[100:101], v[26:27]
	v_fmac_f64_e32 v[132:133], v[124:125], v[52:53]
	v_fma_f64 v[8:9], v[98:99], v[28:29], -v[8:9]
	v_add_f64 v[134:135], v[130:131], v[132:133]
	ds_read_b128 v[130:133], v1 offset:1328
	s_waitcnt vmcnt(34) lgkmcnt(1)
	v_mul_f64 v[136:137], v[126:127], v[62:63]
	v_add_f64 v[6:7], v[6:7], v[8:9]
	v_mul_f64 v[8:9], v[104:105], v[38:39]
	s_waitcnt vmcnt(32)
	v_fmac_f64_e32 v[136:137], v[128:129], v[64:65]
	v_fma_f64 v[8:9], v[102:103], v[40:41], -v[8:9]
	v_add_f64 v[138:139], v[134:135], v[136:137]
	ds_read_b128 v[134:137], v1 offset:1344
	v_add_f64 v[6:7], v[6:7], v[8:9]
	v_mul_f64 v[8:9], v[108:109], v[34:35]
	v_fma_f64 v[8:9], v[106:107], v[36:37], -v[8:9]
	v_add_f64 v[6:7], v[6:7], v[8:9]
	v_mul_f64 v[8:9], v[112:113], v[46:47]
	s_waitcnt lgkmcnt(1)
	v_mul_f64 v[140:141], v[130:131], v[58:59]
	v_fma_f64 v[8:9], v[110:111], v[48:49], -v[8:9]
	v_fmac_f64_e32 v[140:141], v[132:133], v[60:61]
	v_add_f64 v[6:7], v[6:7], v[8:9]
	v_mul_f64 v[8:9], v[116:117], v[42:43]
	v_add_f64 v[142:143], v[138:139], v[140:141]
	ds_read_b128 v[138:141], v1 offset:1360
	s_waitcnt vmcnt(26) lgkmcnt(1)
	v_mul_f64 v[144:145], v[134:135], v[70:71]
	v_fma_f64 v[8:9], v[114:115], v[44:45], -v[8:9]
	s_waitcnt vmcnt(24)
	v_fmac_f64_e32 v[144:145], v[136:137], v[72:73]
	v_add_f64 v[6:7], v[6:7], v[8:9]
	v_mul_f64 v[8:9], v[120:121], v[54:55]
	v_add_f64 v[146:147], v[142:143], v[144:145]
	ds_read_b128 v[142:145], v1 offset:1376
	v_fma_f64 v[8:9], v[118:119], v[56:57], -v[8:9]
	v_add_f64 v[6:7], v[6:7], v[8:9]
	v_mul_f64 v[8:9], v[124:125], v[50:51]
	v_fma_f64 v[8:9], v[122:123], v[52:53], -v[8:9]
	s_waitcnt lgkmcnt(1)
	v_mul_f64 v[148:149], v[138:139], v[66:67]
	v_add_f64 v[6:7], v[6:7], v[8:9]
	v_mul_f64 v[8:9], v[128:129], v[62:63]
	v_fmac_f64_e32 v[148:149], v[140:141], v[68:69]
	v_fma_f64 v[8:9], v[126:127], v[64:65], -v[8:9]
	v_add_f64 v[150:151], v[146:147], v[148:149]
	ds_read_b128 v[146:149], v1 offset:1392
	s_waitcnt vmcnt(18) lgkmcnt(1)
	v_mul_f64 v[152:153], v[142:143], v[170:171]
	v_add_f64 v[6:7], v[6:7], v[8:9]
	v_mul_f64 v[8:9], v[132:133], v[58:59]
	s_waitcnt vmcnt(16)
	v_fmac_f64_e32 v[152:153], v[144:145], v[172:173]
	v_fma_f64 v[8:9], v[130:131], v[60:61], -v[8:9]
	v_add_f64 v[154:155], v[150:151], v[152:153]
	ds_read_b128 v[150:153], v1 offset:1408
	v_add_f64 v[6:7], v[6:7], v[8:9]
	v_mul_f64 v[8:9], v[136:137], v[70:71]
	v_fma_f64 v[8:9], v[134:135], v[72:73], -v[8:9]
	v_add_f64 v[6:7], v[6:7], v[8:9]
	v_mul_f64 v[8:9], v[140:141], v[66:67]
	s_waitcnt lgkmcnt(1)
	v_mul_f64 v[156:157], v[146:147], v[166:167]
	v_fma_f64 v[8:9], v[138:139], v[68:69], -v[8:9]
	v_fmac_f64_e32 v[156:157], v[148:149], v[168:169]
	v_add_f64 v[6:7], v[6:7], v[8:9]
	v_mul_f64 v[8:9], v[144:145], v[170:171]
	v_add_f64 v[158:159], v[154:155], v[156:157]
	ds_read_b128 v[154:157], v1 offset:1424
	s_waitcnt vmcnt(10) lgkmcnt(1)
	v_mul_f64 v[160:161], v[150:151], v[178:179]
	v_fma_f64 v[8:9], v[142:143], v[172:173], -v[8:9]
	s_waitcnt vmcnt(8)
	v_fmac_f64_e32 v[160:161], v[152:153], v[180:181]
	v_add_f64 v[6:7], v[6:7], v[8:9]
	v_mul_f64 v[8:9], v[148:149], v[166:167]
	v_add_f64 v[190:191], v[158:159], v[160:161]
	ds_read_b128 v[158:161], v1 offset:1440
	v_fma_f64 v[8:9], v[146:147], v[168:169], -v[8:9]
	v_add_f64 v[6:7], v[6:7], v[8:9]
	v_mul_f64 v[8:9], v[152:153], v[178:179]
	v_fma_f64 v[8:9], v[150:151], v[180:181], -v[8:9]
	v_add_f64 v[6:7], v[6:7], v[8:9]
	s_waitcnt lgkmcnt(1)
	v_mul_f64 v[8:9], v[156:157], v[174:175]
	v_mul_f64 v[192:193], v[154:155], v[174:175]
	v_fma_f64 v[8:9], v[154:155], v[176:177], -v[8:9]
	v_fmac_f64_e32 v[192:193], v[156:157], v[176:177]
	v_add_f64 v[6:7], v[6:7], v[8:9]
	s_waitcnt vmcnt(2) lgkmcnt(0)
	v_mul_f64 v[8:9], v[160:161], v[186:187]
	v_add_f64 v[190:191], v[190:191], v[192:193]
	v_mul_f64 v[192:193], v[158:159], v[186:187]
	s_waitcnt vmcnt(0)
	v_fma_f64 v[8:9], v[158:159], v[188:189], -v[8:9]
	v_fmac_f64_e32 v[192:193], v[160:161], v[188:189]
	v_add_f64 v[6:7], v[6:7], v[8:9]
	v_mul_f64 v[8:9], v[164:165], v[182:183]
	v_add_f64 v[190:191], v[190:191], v[192:193]
	v_mul_f64 v[192:193], v[162:163], v[182:183]
	v_fma_f64 v[8:9], v[162:163], v[184:185], -v[8:9]
	v_fmac_f64_e32 v[192:193], v[164:165], v[184:185]
	v_add_f64 v[6:7], v[6:7], v[8:9]
	v_add_f64 v[190:191], v[190:191], v[192:193]
	v_add_f64 v[4:5], v[4:5], -v[6:7]
	v_add_f64 v[2:3], v[2:3], -v[190:191]
	buffer_store_dword v5, off, s[0:3], 0 offset:372
	buffer_store_dword v4, off, s[0:3], 0 offset:368
	;; [unrolled: 1-line block ×4, first 2 shown]
	s_and_saveexec_b64 s[4:5], vcc
	s_cbranch_execz .LBB45_247
; %bb.246:
	v_accvgpr_read_b32 v0, a116
	buffer_load_dword v2, v0, s[0:3], 0 offen
	buffer_load_dword v3, v0, s[0:3], 0 offen offset:4
	buffer_load_dword v4, v0, s[0:3], 0 offen offset:8
	;; [unrolled: 1-line block ×3, first 2 shown]
	v_accvgpr_read_b32 v0, a138
	buffer_store_dword v1, off, s[0:3], 0 offset:352
	buffer_store_dword v1, off, s[0:3], 0 offset:356
	;; [unrolled: 1-line block ×4, first 2 shown]
	s_waitcnt vmcnt(4)
	ds_write_b128 v0, v[2:5]
.LBB45_247:
	s_or_b64 exec, exec, s[4:5]
	s_waitcnt lgkmcnt(0)
	; wave barrier
	s_waitcnt lgkmcnt(0)
	buffer_load_dword v22, off, s[0:3], 0 offset:368
	buffer_load_dword v23, off, s[0:3], 0 offset:372
	;; [unrolled: 1-line block ×16, first 2 shown]
	ds_read_b128 v[2:5], v1 offset:1088
	ds_read_b128 v[6:9], v1 offset:1104
	;; [unrolled: 1-line block ×4, first 2 shown]
	buffer_load_dword v35, off, s[0:3], 0 offset:444
	buffer_load_dword v34, off, s[0:3], 0 offset:440
	;; [unrolled: 1-line block ×48, first 2 shown]
	v_cmp_lt_u32_e32 vcc, 20, v254
	s_waitcnt vmcnt(42) lgkmcnt(0)
	v_mul_f64 v[104:105], v[14:15], v[38:39]
	s_waitcnt vmcnt(40)
	v_fmac_f64_e32 v[104:105], v[16:17], v[40:41]
	v_mul_f64 v[82:83], v[2:3], v[24:25]
	v_fmac_f64_e32 v[82:83], v[4:5], v[22:23]
	v_add_f64 v[82:83], v[82:83], 0
	v_mul_f64 v[4:5], v[4:5], v[24:25]
	v_mul_f64 v[84:85], v[6:7], v[32:33]
	v_fma_f64 v[2:3], v[2:3], v[22:23], -v[4:5]
	v_mul_f64 v[98:99], v[10:11], v[26:27]
	v_fmac_f64_e32 v[98:99], v[12:13], v[30:31]
	v_fmac_f64_e32 v[84:85], v[8:9], v[28:29]
	v_add_f64 v[100:101], v[82:83], v[84:85]
	buffer_load_dword v83, off, s[0:3], 0 offset:636
	buffer_load_dword v82, off, s[0:3], 0 offset:632
	;; [unrolled: 1-line block ×32, first 2 shown]
	v_add_f64 v[102:103], v[100:101], v[98:99]
	ds_read_b128 v[98:101], v1 offset:1152
	buffer_load_dword v195, off, s[0:3], 0 offset:748
	buffer_load_dword v194, off, s[0:3], 0 offset:744
	;; [unrolled: 1-line block ×4, first 2 shown]
	v_add_f64 v[106:107], v[102:103], v[104:105]
	ds_read_b128 v[102:105], v1 offset:1168
	v_mul_f64 v[4:5], v[8:9], v[32:33]
	s_waitcnt lgkmcnt(1)
	v_mul_f64 v[108:109], v[98:99], v[34:35]
	v_fmac_f64_e32 v[108:109], v[100:101], v[36:37]
	v_add_f64 v[110:111], v[106:107], v[108:109]
	ds_read_b128 v[106:109], v1 offset:1184
	s_waitcnt vmcnt(62) lgkmcnt(1)
	v_mul_f64 v[112:113], v[102:103], v[46:47]
	v_fmac_f64_e32 v[112:113], v[104:105], v[48:49]
	v_add_f64 v[114:115], v[110:111], v[112:113]
	ds_read_b128 v[110:113], v1 offset:1200
	s_waitcnt lgkmcnt(1)
	v_mul_f64 v[116:117], v[106:107], v[42:43]
	v_fmac_f64_e32 v[116:117], v[108:109], v[44:45]
	v_add_f64 v[118:119], v[114:115], v[116:117]
	ds_read_b128 v[114:117], v1 offset:1216
	s_waitcnt lgkmcnt(1)
	v_mul_f64 v[120:121], v[110:111], v[54:55]
	s_waitcnt vmcnt(60)
	v_fmac_f64_e32 v[120:121], v[112:113], v[56:57]
	v_add_f64 v[122:123], v[118:119], v[120:121]
	ds_read_b128 v[118:121], v1 offset:1232
	s_waitcnt lgkmcnt(1)
	v_mul_f64 v[124:125], v[114:115], v[50:51]
	v_fmac_f64_e32 v[124:125], v[116:117], v[52:53]
	v_add_f64 v[126:127], v[122:123], v[124:125]
	ds_read_b128 v[122:125], v1 offset:1248
	s_waitcnt vmcnt(54) lgkmcnt(1)
	v_mul_f64 v[128:129], v[118:119], v[62:63]
	s_waitcnt vmcnt(52)
	v_fmac_f64_e32 v[128:129], v[120:121], v[64:65]
	v_add_f64 v[130:131], v[126:127], v[128:129]
	ds_read_b128 v[126:129], v1 offset:1264
	s_waitcnt lgkmcnt(1)
	v_mul_f64 v[132:133], v[122:123], v[58:59]
	v_fmac_f64_e32 v[132:133], v[124:125], v[60:61]
	v_add_f64 v[2:3], v[2:3], 0
	v_fma_f64 v[4:5], v[6:7], v[28:29], -v[4:5]
	v_add_f64 v[134:135], v[130:131], v[132:133]
	ds_read_b128 v[130:133], v1 offset:1280
	v_add_f64 v[2:3], v[2:3], v[4:5]
	v_mul_f64 v[4:5], v[12:13], v[26:27]
	v_fma_f64 v[4:5], v[10:11], v[30:31], -v[4:5]
	v_add_f64 v[2:3], v[2:3], v[4:5]
	v_mul_f64 v[4:5], v[16:17], v[38:39]
	s_waitcnt vmcnt(46) lgkmcnt(1)
	v_mul_f64 v[136:137], v[126:127], v[70:71]
	v_fma_f64 v[4:5], v[14:15], v[40:41], -v[4:5]
	s_waitcnt vmcnt(44)
	v_fmac_f64_e32 v[136:137], v[128:129], v[72:73]
	v_add_f64 v[2:3], v[2:3], v[4:5]
	v_mul_f64 v[4:5], v[100:101], v[34:35]
	v_add_f64 v[138:139], v[134:135], v[136:137]
	ds_read_b128 v[134:137], v1 offset:1296
	s_waitcnt lgkmcnt(1)
	v_mul_f64 v[140:141], v[130:131], v[66:67]
	v_fma_f64 v[4:5], v[98:99], v[36:37], -v[4:5]
	v_fmac_f64_e32 v[140:141], v[132:133], v[68:69]
	v_add_f64 v[2:3], v[2:3], v[4:5]
	v_mul_f64 v[4:5], v[104:105], v[46:47]
	v_add_f64 v[142:143], v[138:139], v[140:141]
	ds_read_b128 v[138:141], v1 offset:1312
	v_fma_f64 v[4:5], v[102:103], v[48:49], -v[4:5]
	v_add_f64 v[2:3], v[2:3], v[4:5]
	v_mul_f64 v[4:5], v[108:109], v[42:43]
	v_fma_f64 v[4:5], v[106:107], v[44:45], -v[4:5]
	s_waitcnt vmcnt(38) lgkmcnt(1)
	v_mul_f64 v[144:145], v[134:135], v[78:79]
	v_add_f64 v[2:3], v[2:3], v[4:5]
	v_mul_f64 v[4:5], v[112:113], v[54:55]
	s_waitcnt vmcnt(36)
	v_fmac_f64_e32 v[144:145], v[136:137], v[80:81]
	v_fma_f64 v[4:5], v[110:111], v[56:57], -v[4:5]
	v_add_f64 v[146:147], v[142:143], v[144:145]
	ds_read_b128 v[142:145], v1 offset:1328
	s_waitcnt lgkmcnt(1)
	v_mul_f64 v[148:149], v[138:139], v[74:75]
	v_add_f64 v[2:3], v[2:3], v[4:5]
	v_mul_f64 v[4:5], v[116:117], v[50:51]
	v_fmac_f64_e32 v[148:149], v[140:141], v[76:77]
	v_fma_f64 v[4:5], v[114:115], v[52:53], -v[4:5]
	v_add_f64 v[150:151], v[146:147], v[148:149]
	ds_read_b128 v[146:149], v1 offset:1344
	v_add_f64 v[2:3], v[2:3], v[4:5]
	v_mul_f64 v[4:5], v[120:121], v[62:63]
	v_fma_f64 v[4:5], v[118:119], v[64:65], -v[4:5]
	v_add_f64 v[2:3], v[2:3], v[4:5]
	v_mul_f64 v[4:5], v[124:125], v[58:59]
	s_waitcnt vmcnt(30) lgkmcnt(1)
	v_mul_f64 v[152:153], v[142:143], v[86:87]
	v_fma_f64 v[4:5], v[122:123], v[60:61], -v[4:5]
	s_waitcnt vmcnt(28)
	v_fmac_f64_e32 v[152:153], v[144:145], v[88:89]
	v_add_f64 v[2:3], v[2:3], v[4:5]
	v_mul_f64 v[4:5], v[128:129], v[70:71]
	v_add_f64 v[154:155], v[150:151], v[152:153]
	ds_read_b128 v[150:153], v1 offset:1360
	s_waitcnt lgkmcnt(1)
	v_mul_f64 v[156:157], v[146:147], v[82:83]
	v_fma_f64 v[4:5], v[126:127], v[72:73], -v[4:5]
	v_fmac_f64_e32 v[156:157], v[148:149], v[84:85]
	v_add_f64 v[2:3], v[2:3], v[4:5]
	v_mul_f64 v[4:5], v[132:133], v[66:67]
	v_add_f64 v[158:159], v[154:155], v[156:157]
	ds_read_b128 v[154:157], v1 offset:1376
	v_fma_f64 v[4:5], v[130:131], v[68:69], -v[4:5]
	v_add_f64 v[2:3], v[2:3], v[4:5]
	v_mul_f64 v[4:5], v[136:137], v[78:79]
	v_fma_f64 v[4:5], v[134:135], v[80:81], -v[4:5]
	s_waitcnt vmcnt(22) lgkmcnt(1)
	v_mul_f64 v[160:161], v[150:151], v[94:95]
	v_add_f64 v[2:3], v[2:3], v[4:5]
	v_mul_f64 v[4:5], v[140:141], v[74:75]
	s_waitcnt vmcnt(20)
	v_fmac_f64_e32 v[160:161], v[152:153], v[96:97]
	v_fma_f64 v[4:5], v[138:139], v[76:77], -v[4:5]
	v_add_f64 v[162:163], v[158:159], v[160:161]
	ds_read_b128 v[158:161], v1 offset:1392
	s_waitcnt lgkmcnt(1)
	v_mul_f64 v[164:165], v[154:155], v[90:91]
	v_add_f64 v[2:3], v[2:3], v[4:5]
	v_mul_f64 v[4:5], v[144:145], v[86:87]
	v_fmac_f64_e32 v[164:165], v[156:157], v[92:93]
	v_fma_f64 v[4:5], v[142:143], v[88:89], -v[4:5]
	v_add_f64 v[166:167], v[162:163], v[164:165]
	ds_read_b128 v[162:165], v1 offset:1408
	v_add_f64 v[2:3], v[2:3], v[4:5]
	v_mul_f64 v[4:5], v[148:149], v[82:83]
	v_fma_f64 v[4:5], v[146:147], v[84:85], -v[4:5]
	v_add_f64 v[2:3], v[2:3], v[4:5]
	v_mul_f64 v[4:5], v[152:153], v[94:95]
	s_waitcnt vmcnt(14) lgkmcnt(1)
	v_mul_f64 v[168:169], v[158:159], v[182:183]
	v_fma_f64 v[4:5], v[150:151], v[96:97], -v[4:5]
	s_waitcnt vmcnt(12)
	v_fmac_f64_e32 v[168:169], v[160:161], v[184:185]
	v_add_f64 v[2:3], v[2:3], v[4:5]
	v_mul_f64 v[4:5], v[156:157], v[90:91]
	v_add_f64 v[170:171], v[166:167], v[168:169]
	ds_read_b128 v[166:169], v1 offset:1424
	s_waitcnt lgkmcnt(1)
	v_mul_f64 v[172:173], v[162:163], v[178:179]
	v_fma_f64 v[4:5], v[154:155], v[92:93], -v[4:5]
	v_fmac_f64_e32 v[172:173], v[164:165], v[180:181]
	v_add_f64 v[2:3], v[2:3], v[4:5]
	v_mul_f64 v[4:5], v[160:161], v[182:183]
	v_add_f64 v[198:199], v[170:171], v[172:173]
	ds_read_b128 v[170:173], v1 offset:1440
	v_fma_f64 v[4:5], v[158:159], v[184:185], -v[4:5]
	v_add_f64 v[2:3], v[2:3], v[4:5]
	v_mul_f64 v[4:5], v[164:165], v[178:179]
	ds_read_b128 v[174:177], v1 offset:1456
	v_fma_f64 v[4:5], v[162:163], v[180:181], -v[4:5]
	v_add_f64 v[2:3], v[2:3], v[4:5]
	s_waitcnt vmcnt(6) lgkmcnt(2)
	v_mul_f64 v[4:5], v[168:169], v[190:191]
	v_mul_f64 v[200:201], v[166:167], v[190:191]
	s_waitcnt vmcnt(4)
	v_fma_f64 v[4:5], v[166:167], v[192:193], -v[4:5]
	v_fmac_f64_e32 v[200:201], v[168:169], v[192:193]
	v_add_f64 v[2:3], v[2:3], v[4:5]
	s_waitcnt lgkmcnt(1)
	v_mul_f64 v[4:5], v[172:173], v[186:187]
	v_add_f64 v[198:199], v[198:199], v[200:201]
	v_mul_f64 v[200:201], v[170:171], v[186:187]
	v_fma_f64 v[4:5], v[170:171], v[188:189], -v[4:5]
	v_fmac_f64_e32 v[200:201], v[172:173], v[188:189]
	v_add_f64 v[2:3], v[2:3], v[4:5]
	s_waitcnt vmcnt(2) lgkmcnt(0)
	v_mul_f64 v[4:5], v[176:177], v[194:195]
	v_add_f64 v[198:199], v[198:199], v[200:201]
	v_mul_f64 v[200:201], v[174:175], v[194:195]
	s_waitcnt vmcnt(0)
	v_fma_f64 v[4:5], v[174:175], v[196:197], -v[4:5]
	v_fmac_f64_e32 v[200:201], v[176:177], v[196:197]
	v_add_f64 v[2:3], v[2:3], v[4:5]
	v_add_f64 v[198:199], v[198:199], v[200:201]
	v_add_f64 v[2:3], v[20:21], -v[2:3]
	v_add_f64 v[4:5], v[18:19], -v[198:199]
	buffer_store_dword v3, off, s[0:3], 0 offset:356
	buffer_store_dword v2, off, s[0:3], 0 offset:352
	;; [unrolled: 1-line block ×4, first 2 shown]
	s_and_saveexec_b64 s[4:5], vcc
	s_cbranch_execz .LBB45_249
; %bb.248:
	v_accvgpr_read_b32 v0, a117
	buffer_load_dword v2, v0, s[0:3], 0 offen
	buffer_load_dword v3, v0, s[0:3], 0 offen offset:4
	buffer_load_dword v4, v0, s[0:3], 0 offen offset:8
	buffer_load_dword v5, v0, s[0:3], 0 offen offset:12
	v_mov_b32_e32 v0, 0
	v_accvgpr_read_b32 v1, a138
	buffer_store_dword v0, off, s[0:3], 0 offset:336
	buffer_store_dword v0, off, s[0:3], 0 offset:340
	;; [unrolled: 1-line block ×4, first 2 shown]
	s_waitcnt vmcnt(4)
	ds_write_b128 v1, v[2:5]
.LBB45_249:
	s_or_b64 exec, exec, s[4:5]
	s_waitcnt lgkmcnt(0)
	; wave barrier
	s_waitcnt lgkmcnt(0)
	buffer_load_dword v22, off, s[0:3], 0 offset:352
	buffer_load_dword v23, off, s[0:3], 0 offset:356
	;; [unrolled: 1-line block ×64, first 2 shown]
	v_mov_b32_e32 v1, 0
	ds_read_b128 v[18:21], v1 offset:1072
	ds_read_b128 v[14:17], v1 offset:1088
	;; [unrolled: 1-line block ×5, first 2 shown]
	v_cmp_lt_u32_e32 vcc, 19, v254
	s_waitcnt vmcnt(60) lgkmcnt(4)
	v_mul_f64 v[86:87], v[18:19], v[26:27]
	v_fmac_f64_e32 v[86:87], v[20:21], v[22:23]
	v_add_f64 v[86:87], v[86:87], 0
	v_mul_f64 v[20:21], v[20:21], v[26:27]
	s_waitcnt vmcnt(56) lgkmcnt(3)
	v_mul_f64 v[88:89], v[14:15], v[28:29]
	v_fmac_f64_e32 v[88:89], v[16:17], v[24:25]
	s_waitcnt vmcnt(54) lgkmcnt(2)
	v_mul_f64 v[90:91], v[10:11], v[30:31]
	v_add_f64 v[86:87], v[86:87], v[88:89]
	v_fma_f64 v[18:19], v[18:19], v[22:23], -v[20:21]
	v_mul_f64 v[16:17], v[16:17], v[28:29]
	s_waitcnt vmcnt(50) lgkmcnt(1)
	v_mul_f64 v[102:103], v[6:7], v[40:41]
	v_add_f64 v[18:19], v[18:19], 0
	s_waitcnt vmcnt(48)
	v_fmac_f64_e32 v[90:91], v[12:13], v[44:45]
	v_add_f64 v[104:105], v[86:87], v[90:91]
	buffer_load_dword v87, off, s[0:3], 0 offset:620
	buffer_load_dword v86, off, s[0:3], 0 offset:616
	;; [unrolled: 1-line block ×40, first 2 shown]
	s_waitcnt vmcnt(62)
	v_fmac_f64_e32 v[102:103], v[8:9], v[42:43]
	v_add_f64 v[106:107], v[104:105], v[102:103]
	ds_read_b128 v[102:105], v1 offset:1152
	s_waitcnt lgkmcnt(1)
	v_mul_f64 v[108:109], v[2:3], v[36:37]
	v_fmac_f64_e32 v[108:109], v[4:5], v[38:39]
	v_add_f64 v[110:111], v[106:107], v[108:109]
	ds_read_b128 v[106:109], v1 offset:1168
	s_waitcnt lgkmcnt(1)
	v_mul_f64 v[112:113], v[102:103], v[50:51]
	;; [unrolled: 5-line block ×5, first 2 shown]
	v_fmac_f64_e32 v[124:125], v[116:117], v[56:57]
	v_add_f64 v[126:127], v[122:123], v[124:125]
	ds_read_b128 v[122:125], v1 offset:1232
	s_waitcnt vmcnt(58) lgkmcnt(1)
	v_mul_f64 v[128:129], v[118:119], v[66:67]
	s_waitcnt vmcnt(56)
	v_fmac_f64_e32 v[128:129], v[120:121], v[68:69]
	v_add_f64 v[130:131], v[126:127], v[128:129]
	ds_read_b128 v[126:129], v1 offset:1248
	s_waitcnt lgkmcnt(1)
	v_mul_f64 v[132:133], v[122:123], v[62:63]
	v_fmac_f64_e32 v[132:133], v[124:125], v[64:65]
	v_add_f64 v[134:135], v[130:131], v[132:133]
	ds_read_b128 v[130:133], v1 offset:1264
	s_waitcnt vmcnt(50) lgkmcnt(1)
	v_mul_f64 v[136:137], v[126:127], v[74:75]
	s_waitcnt vmcnt(48)
	v_fmac_f64_e32 v[136:137], v[128:129], v[76:77]
	v_add_f64 v[138:139], v[134:135], v[136:137]
	ds_read_b128 v[134:137], v1 offset:1280
	v_fma_f64 v[14:15], v[14:15], v[24:25], -v[16:17]
	v_mul_f64 v[12:13], v[12:13], v[30:31]
	v_add_f64 v[14:15], v[18:19], v[14:15]
	v_fma_f64 v[10:11], v[10:11], v[44:45], -v[12:13]
	v_mul_f64 v[8:9], v[8:9], v[40:41]
	s_waitcnt lgkmcnt(1)
	v_mul_f64 v[140:141], v[130:131], v[70:71]
	v_add_f64 v[10:11], v[14:15], v[10:11]
	v_fma_f64 v[6:7], v[6:7], v[42:43], -v[8:9]
	v_mul_f64 v[4:5], v[4:5], v[36:37]
	v_fmac_f64_e32 v[140:141], v[132:133], v[72:73]
	v_add_f64 v[6:7], v[10:11], v[6:7]
	v_fma_f64 v[2:3], v[2:3], v[38:39], -v[4:5]
	v_mul_f64 v[4:5], v[104:105], v[50:51]
	v_add_f64 v[142:143], v[138:139], v[140:141]
	ds_read_b128 v[138:141], v1 offset:1296
	s_waitcnt vmcnt(42) lgkmcnt(1)
	v_mul_f64 v[144:145], v[134:135], v[82:83]
	v_add_f64 v[2:3], v[6:7], v[2:3]
	v_fma_f64 v[4:5], v[102:103], v[52:53], -v[4:5]
	s_waitcnt vmcnt(40)
	v_fmac_f64_e32 v[144:145], v[136:137], v[84:85]
	v_add_f64 v[2:3], v[2:3], v[4:5]
	v_mul_f64 v[4:5], v[108:109], v[46:47]
	v_add_f64 v[146:147], v[142:143], v[144:145]
	ds_read_b128 v[142:145], v1 offset:1312
	v_fma_f64 v[4:5], v[106:107], v[48:49], -v[4:5]
	v_add_f64 v[2:3], v[2:3], v[4:5]
	v_mul_f64 v[4:5], v[112:113], v[58:59]
	v_fma_f64 v[4:5], v[110:111], v[60:61], -v[4:5]
	s_waitcnt lgkmcnt(1)
	v_mul_f64 v[148:149], v[138:139], v[78:79]
	v_add_f64 v[2:3], v[2:3], v[4:5]
	v_mul_f64 v[4:5], v[116:117], v[54:55]
	v_fmac_f64_e32 v[148:149], v[140:141], v[80:81]
	v_fma_f64 v[4:5], v[114:115], v[56:57], -v[4:5]
	v_add_f64 v[150:151], v[146:147], v[148:149]
	ds_read_b128 v[146:149], v1 offset:1328
	s_waitcnt vmcnt(34) lgkmcnt(1)
	v_mul_f64 v[152:153], v[142:143], v[90:91]
	v_add_f64 v[2:3], v[2:3], v[4:5]
	v_mul_f64 v[4:5], v[120:121], v[66:67]
	s_waitcnt vmcnt(32)
	v_fmac_f64_e32 v[152:153], v[144:145], v[92:93]
	v_fma_f64 v[4:5], v[118:119], v[68:69], -v[4:5]
	v_add_f64 v[154:155], v[150:151], v[152:153]
	ds_read_b128 v[150:153], v1 offset:1344
	v_add_f64 v[2:3], v[2:3], v[4:5]
	v_mul_f64 v[4:5], v[124:125], v[62:63]
	v_fma_f64 v[4:5], v[122:123], v[64:65], -v[4:5]
	v_add_f64 v[2:3], v[2:3], v[4:5]
	v_mul_f64 v[4:5], v[128:129], v[74:75]
	s_waitcnt lgkmcnt(1)
	v_mul_f64 v[156:157], v[146:147], v[86:87]
	v_fma_f64 v[4:5], v[126:127], v[76:77], -v[4:5]
	v_fmac_f64_e32 v[156:157], v[148:149], v[88:89]
	v_add_f64 v[2:3], v[2:3], v[4:5]
	v_mul_f64 v[4:5], v[132:133], v[70:71]
	v_add_f64 v[158:159], v[154:155], v[156:157]
	ds_read_b128 v[154:157], v1 offset:1360
	s_waitcnt vmcnt(26) lgkmcnt(1)
	v_mul_f64 v[160:161], v[150:151], v[98:99]
	v_fma_f64 v[4:5], v[130:131], v[72:73], -v[4:5]
	s_waitcnt vmcnt(24)
	v_fmac_f64_e32 v[160:161], v[152:153], v[100:101]
	v_add_f64 v[2:3], v[2:3], v[4:5]
	v_mul_f64 v[4:5], v[136:137], v[82:83]
	v_add_f64 v[162:163], v[158:159], v[160:161]
	ds_read_b128 v[158:161], v1 offset:1376
	v_fma_f64 v[4:5], v[134:135], v[84:85], -v[4:5]
	v_add_f64 v[2:3], v[2:3], v[4:5]
	v_mul_f64 v[4:5], v[140:141], v[78:79]
	v_fma_f64 v[4:5], v[138:139], v[80:81], -v[4:5]
	s_waitcnt lgkmcnt(1)
	v_mul_f64 v[164:165], v[154:155], v[94:95]
	v_add_f64 v[2:3], v[2:3], v[4:5]
	v_mul_f64 v[4:5], v[144:145], v[90:91]
	v_fmac_f64_e32 v[164:165], v[156:157], v[96:97]
	v_fma_f64 v[4:5], v[142:143], v[92:93], -v[4:5]
	v_add_f64 v[166:167], v[162:163], v[164:165]
	ds_read_b128 v[162:165], v1 offset:1392
	s_waitcnt vmcnt(18) lgkmcnt(1)
	v_mul_f64 v[168:169], v[158:159], v[186:187]
	v_add_f64 v[2:3], v[2:3], v[4:5]
	v_mul_f64 v[4:5], v[148:149], v[86:87]
	s_waitcnt vmcnt(16)
	v_fmac_f64_e32 v[168:169], v[160:161], v[188:189]
	v_fma_f64 v[4:5], v[146:147], v[88:89], -v[4:5]
	v_add_f64 v[170:171], v[166:167], v[168:169]
	ds_read_b128 v[166:169], v1 offset:1408
	v_add_f64 v[2:3], v[2:3], v[4:5]
	v_mul_f64 v[4:5], v[152:153], v[98:99]
	v_fma_f64 v[4:5], v[150:151], v[100:101], -v[4:5]
	v_add_f64 v[2:3], v[2:3], v[4:5]
	v_mul_f64 v[4:5], v[156:157], v[94:95]
	s_waitcnt lgkmcnt(1)
	v_mul_f64 v[172:173], v[162:163], v[182:183]
	v_fma_f64 v[4:5], v[154:155], v[96:97], -v[4:5]
	v_fmac_f64_e32 v[172:173], v[164:165], v[184:185]
	v_add_f64 v[2:3], v[2:3], v[4:5]
	v_mul_f64 v[4:5], v[160:161], v[186:187]
	v_add_f64 v[174:175], v[170:171], v[172:173]
	ds_read_b128 v[170:173], v1 offset:1424
	s_waitcnt vmcnt(10) lgkmcnt(1)
	v_mul_f64 v[176:177], v[166:167], v[194:195]
	v_fma_f64 v[4:5], v[158:159], v[188:189], -v[4:5]
	s_waitcnt vmcnt(8)
	v_fmac_f64_e32 v[176:177], v[168:169], v[196:197]
	v_add_f64 v[2:3], v[2:3], v[4:5]
	v_mul_f64 v[4:5], v[164:165], v[182:183]
	v_add_f64 v[206:207], v[174:175], v[176:177]
	ds_read_b128 v[174:177], v1 offset:1440
	ds_read_b128 v[178:181], v1 offset:1456
	v_fma_f64 v[4:5], v[162:163], v[184:185], -v[4:5]
	v_add_f64 v[2:3], v[2:3], v[4:5]
	v_mul_f64 v[4:5], v[168:169], v[194:195]
	v_fma_f64 v[4:5], v[166:167], v[196:197], -v[4:5]
	v_add_f64 v[2:3], v[2:3], v[4:5]
	s_waitcnt lgkmcnt(2)
	v_mul_f64 v[4:5], v[172:173], v[190:191]
	v_mul_f64 v[208:209], v[170:171], v[190:191]
	v_fma_f64 v[4:5], v[170:171], v[192:193], -v[4:5]
	v_fmac_f64_e32 v[208:209], v[172:173], v[192:193]
	v_add_f64 v[2:3], v[2:3], v[4:5]
	s_waitcnt vmcnt(2) lgkmcnt(1)
	v_mul_f64 v[4:5], v[176:177], v[202:203]
	v_add_f64 v[206:207], v[206:207], v[208:209]
	v_mul_f64 v[208:209], v[174:175], v[202:203]
	s_waitcnt vmcnt(0)
	v_fma_f64 v[4:5], v[174:175], v[204:205], -v[4:5]
	v_fmac_f64_e32 v[208:209], v[176:177], v[204:205]
	v_add_f64 v[2:3], v[2:3], v[4:5]
	s_waitcnt lgkmcnt(0)
	v_mul_f64 v[4:5], v[180:181], v[198:199]
	v_add_f64 v[206:207], v[206:207], v[208:209]
	v_mul_f64 v[208:209], v[178:179], v[198:199]
	v_fma_f64 v[4:5], v[178:179], v[200:201], -v[4:5]
	v_fmac_f64_e32 v[208:209], v[180:181], v[200:201]
	v_add_f64 v[2:3], v[2:3], v[4:5]
	v_add_f64 v[206:207], v[206:207], v[208:209]
	v_add_f64 v[2:3], v[34:35], -v[2:3]
	v_add_f64 v[4:5], v[32:33], -v[206:207]
	buffer_store_dword v3, off, s[0:3], 0 offset:340
	buffer_store_dword v2, off, s[0:3], 0 offset:336
	;; [unrolled: 1-line block ×4, first 2 shown]
	s_and_saveexec_b64 s[4:5], vcc
	s_cbranch_execz .LBB45_251
; %bb.250:
	v_accvgpr_read_b32 v0, a118
	buffer_load_dword v2, v0, s[0:3], 0 offen
	buffer_load_dword v3, v0, s[0:3], 0 offen offset:4
	buffer_load_dword v4, v0, s[0:3], 0 offen offset:8
	;; [unrolled: 1-line block ×3, first 2 shown]
	v_accvgpr_read_b32 v0, a138
	buffer_store_dword v1, off, s[0:3], 0 offset:320
	buffer_store_dword v1, off, s[0:3], 0 offset:324
	;; [unrolled: 1-line block ×4, first 2 shown]
	s_waitcnt vmcnt(4)
	ds_write_b128 v0, v[2:5]
.LBB45_251:
	s_or_b64 exec, exec, s[4:5]
	s_waitcnt lgkmcnt(0)
	; wave barrier
	s_waitcnt lgkmcnt(0)
	buffer_load_dword v26, off, s[0:3], 0 offset:336
	buffer_load_dword v27, off, s[0:3], 0 offset:340
	;; [unrolled: 1-line block ×24, first 2 shown]
	ds_read_b128 v[22:25], v1 offset:1056
	ds_read_b128 v[18:21], v1 offset:1072
	;; [unrolled: 1-line block ×6, first 2 shown]
	buffer_load_dword v51, off, s[0:3], 0 offset:444
	buffer_load_dword v50, off, s[0:3], 0 offset:440
	;; [unrolled: 1-line block ×40, first 2 shown]
	v_cmp_lt_u32_e32 vcc, 18, v254
	s_waitcnt vmcnt(34) lgkmcnt(0)
	v_mul_f64 v[120:121], v[14:15], v[54:55]
	s_waitcnt vmcnt(32)
	v_fmac_f64_e32 v[120:121], v[16:17], v[56:57]
	v_mul_f64 v[90:91], v[22:23], v[28:29]
	v_fmac_f64_e32 v[90:91], v[24:25], v[26:27]
	v_mul_f64 v[92:93], v[18:19], v[30:31]
	v_add_f64 v[90:91], v[90:91], 0
	v_mul_f64 v[94:95], v[10:11], v[32:33]
	v_mul_f64 v[24:25], v[24:25], v[28:29]
	;; [unrolled: 1-line block ×3, first 2 shown]
	v_fma_f64 v[22:23], v[22:23], v[26:27], -v[24:25]
	v_add_f64 v[22:23], v[22:23], 0
	v_mul_f64 v[96:97], v[6:7], v[42:43]
	v_fmac_f64_e32 v[92:93], v[20:21], v[48:49]
	v_add_f64 v[90:91], v[90:91], v[92:93]
	v_fmac_f64_e32 v[94:95], v[12:13], v[46:47]
	v_add_f64 v[90:91], v[90:91], v[94:95]
	;; [unrolled: 2-line block ×3, first 2 shown]
	buffer_load_dword v91, off, s[0:3], 0 offset:604
	buffer_load_dword v90, off, s[0:3], 0 offset:600
	;; [unrolled: 1-line block ×40, first 2 shown]
	v_fmac_f64_e32 v[114:115], v[4:5], v[40:41]
	v_add_f64 v[118:119], v[116:117], v[114:115]
	ds_read_b128 v[114:117], v1 offset:1152
	buffer_load_dword v211, off, s[0:3], 0 offset:748
	buffer_load_dword v210, off, s[0:3], 0 offset:744
	;; [unrolled: 1-line block ×4, first 2 shown]
	v_add_f64 v[122:123], v[118:119], v[120:121]
	ds_read_b128 v[118:121], v1 offset:1168
	v_mul_f64 v[20:21], v[20:21], v[30:31]
	s_waitcnt lgkmcnt(1)
	v_mul_f64 v[124:125], v[114:115], v[50:51]
	v_fmac_f64_e32 v[124:125], v[116:117], v[52:53]
	v_add_f64 v[126:127], v[122:123], v[124:125]
	ds_read_b128 v[122:125], v1 offset:1184
	s_waitcnt vmcnt(62) lgkmcnt(1)
	v_mul_f64 v[128:129], v[118:119], v[62:63]
	v_fmac_f64_e32 v[128:129], v[120:121], v[64:65]
	v_add_f64 v[130:131], v[126:127], v[128:129]
	ds_read_b128 v[126:129], v1 offset:1200
	s_waitcnt lgkmcnt(1)
	v_mul_f64 v[132:133], v[122:123], v[58:59]
	v_fmac_f64_e32 v[132:133], v[124:125], v[60:61]
	v_add_f64 v[134:135], v[130:131], v[132:133]
	ds_read_b128 v[130:133], v1 offset:1216
	s_waitcnt lgkmcnt(1)
	v_mul_f64 v[136:137], v[126:127], v[70:71]
	s_waitcnt vmcnt(60)
	v_fmac_f64_e32 v[136:137], v[128:129], v[72:73]
	v_add_f64 v[138:139], v[134:135], v[136:137]
	ds_read_b128 v[134:137], v1 offset:1232
	s_waitcnt lgkmcnt(1)
	v_mul_f64 v[140:141], v[130:131], v[66:67]
	v_fmac_f64_e32 v[140:141], v[132:133], v[68:69]
	v_add_f64 v[142:143], v[138:139], v[140:141]
	ds_read_b128 v[138:141], v1 offset:1248
	s_waitcnt vmcnt(54) lgkmcnt(1)
	v_mul_f64 v[144:145], v[134:135], v[78:79]
	s_waitcnt vmcnt(52)
	v_fmac_f64_e32 v[144:145], v[136:137], v[80:81]
	v_add_f64 v[146:147], v[142:143], v[144:145]
	ds_read_b128 v[142:145], v1 offset:1264
	s_waitcnt lgkmcnt(1)
	v_mul_f64 v[148:149], v[138:139], v[74:75]
	v_fmac_f64_e32 v[148:149], v[140:141], v[76:77]
	v_fma_f64 v[18:19], v[18:19], v[48:49], -v[20:21]
	v_mul_f64 v[12:13], v[12:13], v[32:33]
	v_add_f64 v[150:151], v[146:147], v[148:149]
	ds_read_b128 v[146:149], v1 offset:1280
	v_add_f64 v[18:19], v[22:23], v[18:19]
	v_fma_f64 v[10:11], v[10:11], v[46:47], -v[12:13]
	v_mul_f64 v[8:9], v[8:9], v[42:43]
	v_add_f64 v[10:11], v[18:19], v[10:11]
	v_fma_f64 v[6:7], v[6:7], v[44:45], -v[8:9]
	v_mul_f64 v[4:5], v[4:5], v[38:39]
	;; [unrolled: 3-line block ×3, first 2 shown]
	s_waitcnt vmcnt(46) lgkmcnt(1)
	v_mul_f64 v[152:153], v[142:143], v[86:87]
	v_add_f64 v[2:3], v[6:7], v[2:3]
	v_fma_f64 v[4:5], v[14:15], v[56:57], -v[4:5]
	s_waitcnt vmcnt(44)
	v_fmac_f64_e32 v[152:153], v[144:145], v[88:89]
	v_add_f64 v[2:3], v[2:3], v[4:5]
	v_mul_f64 v[4:5], v[116:117], v[50:51]
	v_add_f64 v[154:155], v[150:151], v[152:153]
	ds_read_b128 v[150:153], v1 offset:1296
	s_waitcnt lgkmcnt(1)
	v_mul_f64 v[156:157], v[146:147], v[82:83]
	v_fma_f64 v[4:5], v[114:115], v[52:53], -v[4:5]
	v_fmac_f64_e32 v[156:157], v[148:149], v[84:85]
	v_add_f64 v[2:3], v[2:3], v[4:5]
	v_mul_f64 v[4:5], v[120:121], v[62:63]
	v_add_f64 v[158:159], v[154:155], v[156:157]
	ds_read_b128 v[154:157], v1 offset:1312
	v_fma_f64 v[4:5], v[118:119], v[64:65], -v[4:5]
	v_add_f64 v[2:3], v[2:3], v[4:5]
	v_mul_f64 v[4:5], v[124:125], v[58:59]
	v_fma_f64 v[4:5], v[122:123], v[60:61], -v[4:5]
	s_waitcnt vmcnt(38) lgkmcnt(1)
	v_mul_f64 v[160:161], v[150:151], v[94:95]
	v_add_f64 v[2:3], v[2:3], v[4:5]
	v_mul_f64 v[4:5], v[128:129], v[70:71]
	s_waitcnt vmcnt(36)
	v_fmac_f64_e32 v[160:161], v[152:153], v[96:97]
	v_fma_f64 v[4:5], v[126:127], v[72:73], -v[4:5]
	v_add_f64 v[162:163], v[158:159], v[160:161]
	ds_read_b128 v[158:161], v1 offset:1328
	s_waitcnt lgkmcnt(1)
	v_mul_f64 v[164:165], v[154:155], v[90:91]
	v_add_f64 v[2:3], v[2:3], v[4:5]
	v_mul_f64 v[4:5], v[132:133], v[66:67]
	v_fmac_f64_e32 v[164:165], v[156:157], v[92:93]
	v_fma_f64 v[4:5], v[130:131], v[68:69], -v[4:5]
	v_add_f64 v[166:167], v[162:163], v[164:165]
	ds_read_b128 v[162:165], v1 offset:1344
	v_add_f64 v[2:3], v[2:3], v[4:5]
	v_mul_f64 v[4:5], v[136:137], v[78:79]
	v_fma_f64 v[4:5], v[134:135], v[80:81], -v[4:5]
	v_add_f64 v[2:3], v[2:3], v[4:5]
	v_mul_f64 v[4:5], v[140:141], v[74:75]
	s_waitcnt vmcnt(30) lgkmcnt(1)
	v_mul_f64 v[168:169], v[158:159], v[102:103]
	v_fma_f64 v[4:5], v[138:139], v[76:77], -v[4:5]
	s_waitcnt vmcnt(28)
	v_fmac_f64_e32 v[168:169], v[160:161], v[104:105]
	v_add_f64 v[2:3], v[2:3], v[4:5]
	v_mul_f64 v[4:5], v[144:145], v[86:87]
	v_add_f64 v[170:171], v[166:167], v[168:169]
	ds_read_b128 v[166:169], v1 offset:1360
	s_waitcnt lgkmcnt(1)
	v_mul_f64 v[172:173], v[162:163], v[98:99]
	v_fma_f64 v[4:5], v[142:143], v[88:89], -v[4:5]
	v_fmac_f64_e32 v[172:173], v[164:165], v[100:101]
	v_add_f64 v[2:3], v[2:3], v[4:5]
	v_mul_f64 v[4:5], v[148:149], v[82:83]
	v_add_f64 v[174:175], v[170:171], v[172:173]
	ds_read_b128 v[170:173], v1 offset:1376
	v_fma_f64 v[4:5], v[146:147], v[84:85], -v[4:5]
	v_add_f64 v[2:3], v[2:3], v[4:5]
	v_mul_f64 v[4:5], v[152:153], v[94:95]
	v_fma_f64 v[4:5], v[150:151], v[96:97], -v[4:5]
	s_waitcnt vmcnt(22) lgkmcnt(1)
	v_mul_f64 v[176:177], v[166:167], v[110:111]
	v_add_f64 v[2:3], v[2:3], v[4:5]
	v_mul_f64 v[4:5], v[156:157], v[90:91]
	s_waitcnt vmcnt(20)
	v_fmac_f64_e32 v[176:177], v[168:169], v[112:113]
	v_fma_f64 v[4:5], v[154:155], v[92:93], -v[4:5]
	v_add_f64 v[178:179], v[174:175], v[176:177]
	ds_read_b128 v[174:177], v1 offset:1392
	s_waitcnt lgkmcnt(1)
	v_mul_f64 v[180:181], v[170:171], v[106:107]
	v_add_f64 v[2:3], v[2:3], v[4:5]
	v_mul_f64 v[4:5], v[160:161], v[102:103]
	v_fmac_f64_e32 v[180:181], v[172:173], v[108:109]
	v_fma_f64 v[4:5], v[158:159], v[104:105], -v[4:5]
	v_add_f64 v[182:183], v[178:179], v[180:181]
	ds_read_b128 v[178:181], v1 offset:1408
	v_add_f64 v[2:3], v[2:3], v[4:5]
	v_mul_f64 v[4:5], v[164:165], v[98:99]
	v_fma_f64 v[4:5], v[162:163], v[100:101], -v[4:5]
	v_add_f64 v[2:3], v[2:3], v[4:5]
	v_mul_f64 v[4:5], v[168:169], v[110:111]
	s_waitcnt vmcnt(14) lgkmcnt(1)
	v_mul_f64 v[184:185], v[174:175], v[198:199]
	v_fma_f64 v[4:5], v[166:167], v[112:113], -v[4:5]
	s_waitcnt vmcnt(12)
	v_fmac_f64_e32 v[184:185], v[176:177], v[200:201]
	v_add_f64 v[2:3], v[2:3], v[4:5]
	v_mul_f64 v[4:5], v[172:173], v[106:107]
	v_add_f64 v[186:187], v[182:183], v[184:185]
	ds_read_b128 v[182:185], v1 offset:1424
	s_waitcnt lgkmcnt(1)
	v_mul_f64 v[188:189], v[178:179], v[190:191]
	v_fma_f64 v[4:5], v[170:171], v[108:109], -v[4:5]
	v_fmac_f64_e32 v[188:189], v[180:181], v[192:193]
	v_add_f64 v[2:3], v[2:3], v[4:5]
	v_mul_f64 v[4:5], v[176:177], v[198:199]
	v_add_f64 v[214:215], v[186:187], v[188:189]
	ds_read_b128 v[186:189], v1 offset:1440
	v_fma_f64 v[4:5], v[174:175], v[200:201], -v[4:5]
	v_add_f64 v[2:3], v[2:3], v[4:5]
	v_mul_f64 v[4:5], v[180:181], v[190:191]
	ds_read_b128 v[194:197], v1 offset:1456
	v_fma_f64 v[4:5], v[178:179], v[192:193], -v[4:5]
	v_add_f64 v[2:3], v[2:3], v[4:5]
	s_waitcnt vmcnt(6) lgkmcnt(2)
	v_mul_f64 v[4:5], v[184:185], v[206:207]
	v_mul_f64 v[216:217], v[182:183], v[206:207]
	s_waitcnt vmcnt(4)
	v_fma_f64 v[4:5], v[182:183], v[208:209], -v[4:5]
	v_fmac_f64_e32 v[216:217], v[184:185], v[208:209]
	v_add_f64 v[2:3], v[2:3], v[4:5]
	s_waitcnt lgkmcnt(1)
	v_mul_f64 v[4:5], v[188:189], v[202:203]
	v_add_f64 v[214:215], v[214:215], v[216:217]
	v_mul_f64 v[216:217], v[186:187], v[202:203]
	v_fma_f64 v[4:5], v[186:187], v[204:205], -v[4:5]
	v_fmac_f64_e32 v[216:217], v[188:189], v[204:205]
	v_add_f64 v[2:3], v[2:3], v[4:5]
	s_waitcnt vmcnt(2) lgkmcnt(0)
	v_mul_f64 v[4:5], v[196:197], v[210:211]
	v_add_f64 v[214:215], v[214:215], v[216:217]
	v_mul_f64 v[216:217], v[194:195], v[210:211]
	s_waitcnt vmcnt(0)
	v_fma_f64 v[4:5], v[194:195], v[212:213], -v[4:5]
	v_fmac_f64_e32 v[216:217], v[196:197], v[212:213]
	v_add_f64 v[2:3], v[2:3], v[4:5]
	v_add_f64 v[214:215], v[214:215], v[216:217]
	v_add_f64 v[2:3], v[36:37], -v[2:3]
	v_add_f64 v[4:5], v[34:35], -v[214:215]
	buffer_store_dword v3, off, s[0:3], 0 offset:324
	buffer_store_dword v2, off, s[0:3], 0 offset:320
	buffer_store_dword v5, off, s[0:3], 0 offset:332
	buffer_store_dword v4, off, s[0:3], 0 offset:328
	s_and_saveexec_b64 s[4:5], vcc
	s_cbranch_execz .LBB45_253
; %bb.252:
	v_accvgpr_read_b32 v0, a119
	buffer_load_dword v2, v0, s[0:3], 0 offen
	buffer_load_dword v3, v0, s[0:3], 0 offen offset:4
	buffer_load_dword v4, v0, s[0:3], 0 offen offset:8
	;; [unrolled: 1-line block ×3, first 2 shown]
	v_mov_b32_e32 v0, 0
	v_accvgpr_read_b32 v1, a138
	buffer_store_dword v0, off, s[0:3], 0 offset:304
	buffer_store_dword v0, off, s[0:3], 0 offset:308
	;; [unrolled: 1-line block ×4, first 2 shown]
	s_waitcnt vmcnt(4)
	ds_write_b128 v1, v[2:5]
.LBB45_253:
	s_or_b64 exec, exec, s[4:5]
	s_waitcnt lgkmcnt(0)
	; wave barrier
	s_waitcnt lgkmcnt(0)
	buffer_load_dword v30, off, s[0:3], 0 offset:320
	buffer_load_dword v31, off, s[0:3], 0 offset:324
	;; [unrolled: 1-line block ×56, first 2 shown]
	v_mov_b32_e32 v1, 0
	ds_read_b128 v[26:29], v1 offset:1040
	ds_read_b128 v[22:25], v1 offset:1056
	;; [unrolled: 1-line block ×7, first 2 shown]
	v_cmp_lt_u32_e32 vcc, 17, v254
	s_waitcnt vmcnt(52) lgkmcnt(6)
	v_mul_f64 v[86:87], v[26:27], v[34:35]
	v_fmac_f64_e32 v[86:87], v[28:29], v[30:31]
	v_add_f64 v[86:87], v[86:87], 0
	v_mul_f64 v[28:29], v[28:29], v[34:35]
	s_waitcnt vmcnt(48) lgkmcnt(5)
	v_mul_f64 v[88:89], v[22:23], v[36:37]
	v_fmac_f64_e32 v[88:89], v[24:25], v[32:33]
	s_waitcnt vmcnt(46) lgkmcnt(4)
	v_mul_f64 v[90:91], v[18:19], v[38:39]
	v_add_f64 v[86:87], v[86:87], v[88:89]
	s_waitcnt vmcnt(44) lgkmcnt(2)
	v_mul_f64 v[94:95], v[10:11], v[40:41]
	v_fma_f64 v[26:27], v[26:27], v[30:31], -v[28:29]
	s_waitcnt vmcnt(42)
	v_fmac_f64_e32 v[94:95], v[12:13], v[42:43]
	v_mul_f64 v[24:25], v[24:25], v[36:37]
	s_waitcnt vmcnt(40)
	v_mul_f64 v[92:93], v[14:15], v[48:49]
	v_add_f64 v[26:27], v[26:27], 0
	v_fma_f64 v[22:23], v[22:23], v[32:33], -v[24:25]
	v_add_f64 v[22:23], v[26:27], v[22:23]
	s_waitcnt vmcnt(36) lgkmcnt(1)
	v_mul_f64 v[110:111], v[6:7], v[54:55]
	v_mul_f64 v[12:13], v[12:13], v[40:41]
	s_waitcnt vmcnt(34)
	v_fmac_f64_e32 v[90:91], v[20:21], v[60:61]
	v_add_f64 v[86:87], v[86:87], v[90:91]
	s_waitcnt vmcnt(32)
	v_fmac_f64_e32 v[92:93], v[16:17], v[58:59]
	v_add_f64 v[86:87], v[86:87], v[92:93]
	v_add_f64 v[116:117], v[86:87], v[94:95]
	buffer_load_dword v87, off, s[0:3], 0 offset:556
	buffer_load_dword v86, off, s[0:3], 0 offset:552
	;; [unrolled: 1-line block ×56, first 2 shown]
	ds_read_b128 v[124:127], v1 offset:1152
	ds_read_b128 v[128:131], v1 offset:1168
	v_mul_f64 v[20:21], v[20:21], v[38:39]
	v_fma_f64 v[18:19], v[18:19], v[60:61], -v[20:21]
	v_mul_f64 v[16:17], v[16:17], v[48:49]
	s_waitcnt vmcnt(62)
	v_fmac_f64_e32 v[110:111], v[8:9], v[56:57]
	v_add_f64 v[18:19], v[22:23], v[18:19]
	v_fma_f64 v[14:15], v[14:15], v[58:59], -v[16:17]
	v_add_f64 v[110:111], v[116:117], v[110:111]
	s_waitcnt lgkmcnt(2)
	v_mul_f64 v[116:117], v[2:3], v[50:51]
	v_add_f64 v[14:15], v[18:19], v[14:15]
	v_fma_f64 v[10:11], v[10:11], v[42:43], -v[12:13]
	v_mul_f64 v[8:9], v[8:9], v[54:55]
	v_fmac_f64_e32 v[116:117], v[4:5], v[52:53]
	ds_read_b128 v[132:135], v1 offset:1184
	ds_read_b128 v[136:139], v1 offset:1200
	v_add_f64 v[10:11], v[14:15], v[10:11]
	v_fma_f64 v[6:7], v[6:7], v[56:57], -v[8:9]
	v_mul_f64 v[4:5], v[4:5], v[50:51]
	v_add_f64 v[6:7], v[10:11], v[6:7]
	v_fma_f64 v[2:3], v[2:3], v[52:53], -v[4:5]
	s_waitcnt lgkmcnt(3)
	v_mul_f64 v[4:5], v[126:127], v[66:67]
	v_add_f64 v[110:111], v[110:111], v[116:117]
	v_mul_f64 v[116:117], v[124:125], v[66:67]
	v_add_f64 v[2:3], v[6:7], v[2:3]
	v_fma_f64 v[4:5], v[124:125], v[68:69], -v[4:5]
	v_fmac_f64_e32 v[116:117], v[126:127], v[68:69]
	v_add_f64 v[2:3], v[2:3], v[4:5]
	s_waitcnt lgkmcnt(2)
	v_mul_f64 v[4:5], v[130:131], v[62:63]
	v_add_f64 v[110:111], v[110:111], v[116:117]
	v_mul_f64 v[116:117], v[128:129], v[62:63]
	ds_read_b128 v[140:143], v1 offset:1216
	ds_read_b128 v[144:147], v1 offset:1232
	v_fma_f64 v[4:5], v[128:129], v[64:65], -v[4:5]
	v_fmac_f64_e32 v[116:117], v[130:131], v[64:65]
	v_add_f64 v[2:3], v[2:3], v[4:5]
	s_waitcnt lgkmcnt(3)
	v_mul_f64 v[4:5], v[134:135], v[74:75]
	v_add_f64 v[110:111], v[110:111], v[116:117]
	v_mul_f64 v[116:117], v[132:133], v[74:75]
	v_fma_f64 v[4:5], v[132:133], v[76:77], -v[4:5]
	v_fmac_f64_e32 v[116:117], v[134:135], v[76:77]
	v_add_f64 v[2:3], v[2:3], v[4:5]
	s_waitcnt lgkmcnt(2)
	v_mul_f64 v[4:5], v[138:139], v[70:71]
	v_add_f64 v[110:111], v[110:111], v[116:117]
	v_mul_f64 v[116:117], v[136:137], v[70:71]
	ds_read_b128 v[148:151], v1 offset:1248
	ds_read_b128 v[152:155], v1 offset:1264
	v_fma_f64 v[4:5], v[136:137], v[72:73], -v[4:5]
	v_fmac_f64_e32 v[116:117], v[138:139], v[72:73]
	v_add_f64 v[2:3], v[2:3], v[4:5]
	s_waitcnt vmcnt(58) lgkmcnt(3)
	v_mul_f64 v[4:5], v[142:143], v[82:83]
	v_add_f64 v[110:111], v[110:111], v[116:117]
	v_mul_f64 v[116:117], v[140:141], v[82:83]
	s_waitcnt vmcnt(56)
	v_fma_f64 v[4:5], v[140:141], v[84:85], -v[4:5]
	v_fmac_f64_e32 v[116:117], v[142:143], v[84:85]
	v_add_f64 v[2:3], v[2:3], v[4:5]
	s_waitcnt lgkmcnt(2)
	v_mul_f64 v[4:5], v[146:147], v[78:79]
	v_add_f64 v[110:111], v[110:111], v[116:117]
	v_mul_f64 v[116:117], v[144:145], v[78:79]
	ds_read_b128 v[156:159], v1 offset:1280
	ds_read_b128 v[160:163], v1 offset:1296
	v_fma_f64 v[4:5], v[144:145], v[80:81], -v[4:5]
	v_fmac_f64_e32 v[116:117], v[146:147], v[80:81]
	v_add_f64 v[2:3], v[2:3], v[4:5]
	s_waitcnt vmcnt(50) lgkmcnt(3)
	v_mul_f64 v[4:5], v[150:151], v[90:91]
	v_add_f64 v[110:111], v[110:111], v[116:117]
	v_mul_f64 v[116:117], v[148:149], v[90:91]
	s_waitcnt vmcnt(48)
	;; [unrolled: 17-line block ×7, first 2 shown]
	v_fma_f64 v[4:5], v[188:189], v[216:217], -v[4:5]
	v_fmac_f64_e32 v[116:117], v[190:191], v[216:217]
	v_add_f64 v[2:3], v[2:3], v[4:5]
	s_waitcnt lgkmcnt(2)
	v_mul_f64 v[4:5], v[196:197], v[206:207]
	v_add_f64 v[110:111], v[110:111], v[116:117]
	v_mul_f64 v[116:117], v[194:195], v[206:207]
	v_fma_f64 v[4:5], v[194:195], v[208:209], -v[4:5]
	v_fmac_f64_e32 v[116:117], v[196:197], v[208:209]
	v_add_f64 v[2:3], v[2:3], v[4:5]
	s_waitcnt vmcnt(2) lgkmcnt(1)
	v_mul_f64 v[4:5], v[200:201], v[222:223]
	v_add_f64 v[110:111], v[110:111], v[116:117]
	v_mul_f64 v[116:117], v[198:199], v[222:223]
	s_waitcnt vmcnt(0)
	v_fma_f64 v[4:5], v[198:199], v[224:225], -v[4:5]
	v_fmac_f64_e32 v[116:117], v[200:201], v[224:225]
	v_add_f64 v[2:3], v[2:3], v[4:5]
	s_waitcnt lgkmcnt(0)
	v_mul_f64 v[4:5], v[212:213], v[218:219]
	v_add_f64 v[110:111], v[110:111], v[116:117]
	v_mul_f64 v[116:117], v[210:211], v[218:219]
	v_fma_f64 v[4:5], v[210:211], v[220:221], -v[4:5]
	v_fmac_f64_e32 v[116:117], v[212:213], v[220:221]
	v_add_f64 v[2:3], v[2:3], v[4:5]
	v_add_f64 v[110:111], v[110:111], v[116:117]
	v_add_f64 v[2:3], v[46:47], -v[2:3]
	v_add_f64 v[4:5], v[44:45], -v[110:111]
	buffer_store_dword v3, off, s[0:3], 0 offset:308
	buffer_store_dword v2, off, s[0:3], 0 offset:304
	buffer_store_dword v5, off, s[0:3], 0 offset:316
	buffer_store_dword v4, off, s[0:3], 0 offset:312
	s_and_saveexec_b64 s[4:5], vcc
	s_cbranch_execz .LBB45_255
; %bb.254:
	v_accvgpr_read_b32 v0, a120
	buffer_load_dword v2, v0, s[0:3], 0 offen
	buffer_load_dword v3, v0, s[0:3], 0 offen offset:4
	buffer_load_dword v4, v0, s[0:3], 0 offen offset:8
	;; [unrolled: 1-line block ×3, first 2 shown]
	v_accvgpr_read_b32 v0, a138
	buffer_store_dword v1, off, s[0:3], 0 offset:288
	buffer_store_dword v1, off, s[0:3], 0 offset:292
	;; [unrolled: 1-line block ×4, first 2 shown]
	s_waitcnt vmcnt(4)
	ds_write_b128 v0, v[2:5]
.LBB45_255:
	s_or_b64 exec, exec, s[4:5]
	s_waitcnt lgkmcnt(0)
	; wave barrier
	s_waitcnt lgkmcnt(0)
	buffer_load_dword v34, off, s[0:3], 0 offset:304
	buffer_load_dword v35, off, s[0:3], 0 offset:308
	;; [unrolled: 1-line block ×32, first 2 shown]
	ds_read_b128 v[30:33], v1 offset:1024
	ds_read_b128 v[26:29], v1 offset:1040
	;; [unrolled: 1-line block ×8, first 2 shown]
	buffer_load_dword v67, off, s[0:3], 0 offset:444
	buffer_load_dword v66, off, s[0:3], 0 offset:440
	buffer_load_dword v69, off, s[0:3], 0 offset:436
	buffer_load_dword v68, off, s[0:3], 0 offset:432
	buffer_load_dword v71, off, s[0:3], 0 offset:428
	buffer_load_dword v70, off, s[0:3], 0 offset:424
	buffer_load_dword v73, off, s[0:3], 0 offset:420
	buffer_load_dword v72, off, s[0:3], 0 offset:416
	buffer_load_dword v75, off, s[0:3], 0 offset:476
	buffer_load_dword v74, off, s[0:3], 0 offset:472
	buffer_load_dword v77, off, s[0:3], 0 offset:468
	buffer_load_dword v76, off, s[0:3], 0 offset:464
	buffer_load_dword v79, off, s[0:3], 0 offset:460
	buffer_load_dword v78, off, s[0:3], 0 offset:456
	buffer_load_dword v81, off, s[0:3], 0 offset:452
	buffer_load_dword v80, off, s[0:3], 0 offset:448
	buffer_load_dword v83, off, s[0:3], 0 offset:508
	buffer_load_dword v82, off, s[0:3], 0 offset:504
	buffer_load_dword v85, off, s[0:3], 0 offset:500
	buffer_load_dword v84, off, s[0:3], 0 offset:496
	buffer_load_dword v87, off, s[0:3], 0 offset:492
	buffer_load_dword v86, off, s[0:3], 0 offset:488
	buffer_load_dword v89, off, s[0:3], 0 offset:484
	buffer_load_dword v88, off, s[0:3], 0 offset:480
	v_cmp_lt_u32_e32 vcc, 16, v254
	s_waitcnt vmcnt(52) lgkmcnt(7)
	v_mul_f64 v[90:91], v[30:31], v[38:39]
	v_fmac_f64_e32 v[90:91], v[32:33], v[34:35]
	v_add_f64 v[90:91], v[90:91], 0
	v_mul_f64 v[32:33], v[32:33], v[38:39]
	s_waitcnt vmcnt(48) lgkmcnt(6)
	v_mul_f64 v[92:93], v[26:27], v[40:41]
	v_fmac_f64_e32 v[92:93], v[28:29], v[36:37]
	s_waitcnt vmcnt(46) lgkmcnt(5)
	v_mul_f64 v[94:95], v[22:23], v[42:43]
	v_add_f64 v[90:91], v[90:91], v[92:93]
	s_waitcnt vmcnt(44) lgkmcnt(4)
	v_mul_f64 v[96:97], v[18:19], v[48:49]
	v_fma_f64 v[30:31], v[30:31], v[34:35], -v[32:33]
	s_waitcnt vmcnt(42) lgkmcnt(1)
	v_mul_f64 v[122:123], v[2:3], v[50:51]
	v_mul_f64 v[28:29], v[28:29], v[40:41]
	s_waitcnt vmcnt(18) lgkmcnt(0)
	v_mul_f64 v[136:137], v[14:15], v[70:71]
	v_mul_f64 v[100:101], v[6:7], v[54:55]
	s_waitcnt vmcnt(16)
	v_fmac_f64_e32 v[136:137], v[16:17], v[72:73]
	v_mul_f64 v[98:99], v[10:11], v[56:57]
	v_add_f64 v[30:31], v[30:31], 0
	v_fmac_f64_e32 v[98:99], v[12:13], v[58:59]
	v_fma_f64 v[26:27], v[26:27], v[36:37], -v[28:29]
	v_fmac_f64_e32 v[94:95], v[24:25], v[64:65]
	v_add_f64 v[90:91], v[90:91], v[94:95]
	v_fmac_f64_e32 v[96:97], v[20:21], v[62:63]
	v_add_f64 v[90:91], v[90:91], v[96:97]
	;; [unrolled: 2-line block ×3, first 2 shown]
	v_add_f64 v[124:125], v[90:91], v[100:101]
	buffer_load_dword v91, off, s[0:3], 0 offset:540
	buffer_load_dword v90, off, s[0:3], 0 offset:536
	;; [unrolled: 1-line block ×56, first 2 shown]
	v_fmac_f64_e32 v[122:123], v[4:5], v[52:53]
	v_add_f64 v[134:135], v[124:125], v[122:123]
	ds_read_b128 v[122:125], v1 offset:1152
	buffer_load_dword v227, off, s[0:3], 0 offset:748
	buffer_load_dword v226, off, s[0:3], 0 offset:744
	;; [unrolled: 1-line block ×4, first 2 shown]
	v_add_f64 v[138:139], v[134:135], v[136:137]
	ds_read_b128 v[134:137], v1 offset:1168
	v_mul_f64 v[24:25], v[24:25], v[42:43]
	s_waitcnt lgkmcnt(1)
	v_mul_f64 v[140:141], v[122:123], v[66:67]
	v_fmac_f64_e32 v[140:141], v[124:125], v[68:69]
	v_add_f64 v[142:143], v[138:139], v[140:141]
	ds_read_b128 v[138:141], v1 offset:1184
	s_waitcnt vmcnt(62) lgkmcnt(1)
	v_mul_f64 v[144:145], v[134:135], v[78:79]
	v_fmac_f64_e32 v[144:145], v[136:137], v[80:81]
	v_add_f64 v[146:147], v[142:143], v[144:145]
	ds_read_b128 v[142:145], v1 offset:1200
	s_waitcnt lgkmcnt(1)
	v_mul_f64 v[148:149], v[138:139], v[74:75]
	v_fmac_f64_e32 v[148:149], v[140:141], v[76:77]
	v_add_f64 v[150:151], v[146:147], v[148:149]
	ds_read_b128 v[146:149], v1 offset:1216
	s_waitcnt lgkmcnt(1)
	v_mul_f64 v[152:153], v[142:143], v[86:87]
	s_waitcnt vmcnt(60)
	v_fmac_f64_e32 v[152:153], v[144:145], v[88:89]
	v_add_f64 v[154:155], v[150:151], v[152:153]
	ds_read_b128 v[150:153], v1 offset:1232
	s_waitcnt lgkmcnt(1)
	v_mul_f64 v[156:157], v[146:147], v[82:83]
	v_fmac_f64_e32 v[156:157], v[148:149], v[84:85]
	v_add_f64 v[158:159], v[154:155], v[156:157]
	ds_read_b128 v[154:157], v1 offset:1248
	v_add_f64 v[26:27], v[30:31], v[26:27]
	v_fma_f64 v[22:23], v[22:23], v[64:65], -v[24:25]
	s_waitcnt vmcnt(54) lgkmcnt(1)
	v_mul_f64 v[160:161], v[150:151], v[94:95]
	v_mul_f64 v[20:21], v[20:21], v[48:49]
	s_waitcnt vmcnt(52)
	v_fmac_f64_e32 v[160:161], v[152:153], v[96:97]
	v_add_f64 v[162:163], v[158:159], v[160:161]
	ds_read_b128 v[158:161], v1 offset:1264
	s_waitcnt lgkmcnt(1)
	v_mul_f64 v[164:165], v[154:155], v[90:91]
	v_fmac_f64_e32 v[164:165], v[156:157], v[92:93]
	v_add_f64 v[22:23], v[26:27], v[22:23]
	v_fma_f64 v[18:19], v[18:19], v[62:63], -v[20:21]
	v_mul_f64 v[12:13], v[12:13], v[56:57]
	v_add_f64 v[166:167], v[162:163], v[164:165]
	ds_read_b128 v[162:165], v1 offset:1280
	v_add_f64 v[18:19], v[22:23], v[18:19]
	v_fma_f64 v[10:11], v[10:11], v[58:59], -v[12:13]
	v_mul_f64 v[8:9], v[8:9], v[54:55]
	v_add_f64 v[10:11], v[18:19], v[10:11]
	v_fma_f64 v[6:7], v[6:7], v[60:61], -v[8:9]
	v_mul_f64 v[4:5], v[4:5], v[50:51]
	;; [unrolled: 3-line block ×3, first 2 shown]
	s_waitcnt vmcnt(46) lgkmcnt(1)
	v_mul_f64 v[168:169], v[158:159], v[102:103]
	v_add_f64 v[2:3], v[6:7], v[2:3]
	v_fma_f64 v[4:5], v[14:15], v[72:73], -v[4:5]
	s_waitcnt vmcnt(44)
	v_fmac_f64_e32 v[168:169], v[160:161], v[104:105]
	v_add_f64 v[2:3], v[2:3], v[4:5]
	v_mul_f64 v[4:5], v[124:125], v[66:67]
	v_add_f64 v[170:171], v[166:167], v[168:169]
	ds_read_b128 v[166:169], v1 offset:1296
	s_waitcnt lgkmcnt(1)
	v_mul_f64 v[172:173], v[162:163], v[98:99]
	v_fma_f64 v[4:5], v[122:123], v[68:69], -v[4:5]
	v_fmac_f64_e32 v[172:173], v[164:165], v[100:101]
	v_add_f64 v[2:3], v[2:3], v[4:5]
	v_mul_f64 v[4:5], v[136:137], v[78:79]
	v_add_f64 v[174:175], v[170:171], v[172:173]
	ds_read_b128 v[170:173], v1 offset:1312
	v_fma_f64 v[4:5], v[134:135], v[80:81], -v[4:5]
	v_add_f64 v[2:3], v[2:3], v[4:5]
	v_mul_f64 v[4:5], v[140:141], v[74:75]
	v_fma_f64 v[4:5], v[138:139], v[76:77], -v[4:5]
	s_waitcnt vmcnt(38) lgkmcnt(1)
	v_mul_f64 v[176:177], v[166:167], v[110:111]
	v_add_f64 v[2:3], v[2:3], v[4:5]
	v_mul_f64 v[4:5], v[144:145], v[86:87]
	s_waitcnt vmcnt(36)
	v_fmac_f64_e32 v[176:177], v[168:169], v[112:113]
	v_fma_f64 v[4:5], v[142:143], v[88:89], -v[4:5]
	v_add_f64 v[178:179], v[174:175], v[176:177]
	ds_read_b128 v[174:177], v1 offset:1328
	s_waitcnt lgkmcnt(1)
	v_mul_f64 v[180:181], v[170:171], v[106:107]
	v_add_f64 v[2:3], v[2:3], v[4:5]
	v_mul_f64 v[4:5], v[148:149], v[82:83]
	v_fmac_f64_e32 v[180:181], v[172:173], v[108:109]
	v_fma_f64 v[4:5], v[146:147], v[84:85], -v[4:5]
	v_add_f64 v[182:183], v[178:179], v[180:181]
	ds_read_b128 v[178:181], v1 offset:1344
	v_add_f64 v[2:3], v[2:3], v[4:5]
	v_mul_f64 v[4:5], v[152:153], v[94:95]
	v_fma_f64 v[4:5], v[150:151], v[96:97], -v[4:5]
	v_add_f64 v[2:3], v[2:3], v[4:5]
	v_mul_f64 v[4:5], v[156:157], v[90:91]
	s_waitcnt vmcnt(30) lgkmcnt(1)
	v_mul_f64 v[184:185], v[174:175], v[118:119]
	v_fma_f64 v[4:5], v[154:155], v[92:93], -v[4:5]
	s_waitcnt vmcnt(28)
	v_fmac_f64_e32 v[184:185], v[176:177], v[120:121]
	v_add_f64 v[2:3], v[2:3], v[4:5]
	v_mul_f64 v[4:5], v[160:161], v[102:103]
	v_add_f64 v[186:187], v[182:183], v[184:185]
	ds_read_b128 v[182:185], v1 offset:1360
	s_waitcnt lgkmcnt(1)
	v_mul_f64 v[188:189], v[178:179], v[114:115]
	v_fma_f64 v[4:5], v[158:159], v[104:105], -v[4:5]
	v_fmac_f64_e32 v[188:189], v[180:181], v[116:117]
	v_add_f64 v[2:3], v[2:3], v[4:5]
	v_mul_f64 v[4:5], v[164:165], v[98:99]
	v_add_f64 v[194:195], v[186:187], v[188:189]
	ds_read_b128 v[186:189], v1 offset:1376
	v_fma_f64 v[4:5], v[162:163], v[100:101], -v[4:5]
	v_add_f64 v[2:3], v[2:3], v[4:5]
	v_mul_f64 v[4:5], v[168:169], v[110:111]
	v_fma_f64 v[4:5], v[166:167], v[112:113], -v[4:5]
	s_waitcnt vmcnt(22) lgkmcnt(1)
	v_mul_f64 v[196:197], v[182:183], v[130:131]
	v_add_f64 v[2:3], v[2:3], v[4:5]
	v_mul_f64 v[4:5], v[172:173], v[106:107]
	s_waitcnt vmcnt(20)
	v_fmac_f64_e32 v[196:197], v[184:185], v[132:133]
	v_fma_f64 v[4:5], v[170:171], v[108:109], -v[4:5]
	v_add_f64 v[198:199], v[194:195], v[196:197]
	ds_read_b128 v[194:197], v1 offset:1392
	s_waitcnt lgkmcnt(1)
	v_mul_f64 v[200:201], v[186:187], v[126:127]
	v_add_f64 v[2:3], v[2:3], v[4:5]
	v_mul_f64 v[4:5], v[176:177], v[118:119]
	v_fmac_f64_e32 v[200:201], v[188:189], v[128:129]
	v_fma_f64 v[4:5], v[174:175], v[120:121], -v[4:5]
	v_add_f64 v[210:211], v[198:199], v[200:201]
	ds_read_b128 v[198:201], v1 offset:1408
	v_add_f64 v[2:3], v[2:3], v[4:5]
	v_mul_f64 v[4:5], v[180:181], v[114:115]
	v_fma_f64 v[4:5], v[178:179], v[116:117], -v[4:5]
	v_add_f64 v[2:3], v[2:3], v[4:5]
	v_mul_f64 v[4:5], v[184:185], v[130:131]
	s_waitcnt vmcnt(14) lgkmcnt(1)
	v_mul_f64 v[212:213], v[194:195], v[202:203]
	v_fma_f64 v[4:5], v[182:183], v[132:133], -v[4:5]
	s_waitcnt vmcnt(12)
	v_fmac_f64_e32 v[212:213], v[196:197], v[204:205]
	v_add_f64 v[2:3], v[2:3], v[4:5]
	v_mul_f64 v[4:5], v[188:189], v[126:127]
	v_add_f64 v[214:215], v[210:211], v[212:213]
	ds_read_b128 v[210:213], v1 offset:1424
	s_waitcnt lgkmcnt(1)
	v_mul_f64 v[216:217], v[198:199], v[190:191]
	v_fma_f64 v[4:5], v[186:187], v[128:129], -v[4:5]
	v_fmac_f64_e32 v[216:217], v[200:201], v[192:193]
	v_add_f64 v[2:3], v[2:3], v[4:5]
	v_mul_f64 v[4:5], v[196:197], v[202:203]
	v_add_f64 v[230:231], v[214:215], v[216:217]
	ds_read_b128 v[214:217], v1 offset:1440
	v_fma_f64 v[4:5], v[194:195], v[204:205], -v[4:5]
	v_add_f64 v[2:3], v[2:3], v[4:5]
	v_mul_f64 v[4:5], v[200:201], v[190:191]
	ds_read_b128 v[218:221], v1 offset:1456
	v_fma_f64 v[4:5], v[198:199], v[192:193], -v[4:5]
	v_add_f64 v[2:3], v[2:3], v[4:5]
	s_waitcnt vmcnt(6) lgkmcnt(2)
	v_mul_f64 v[4:5], v[212:213], v[222:223]
	v_mul_f64 v[232:233], v[210:211], v[222:223]
	s_waitcnt vmcnt(4)
	v_fma_f64 v[4:5], v[210:211], v[224:225], -v[4:5]
	v_fmac_f64_e32 v[232:233], v[212:213], v[224:225]
	v_add_f64 v[2:3], v[2:3], v[4:5]
	s_waitcnt lgkmcnt(1)
	v_mul_f64 v[4:5], v[216:217], v[206:207]
	v_add_f64 v[230:231], v[230:231], v[232:233]
	v_mul_f64 v[232:233], v[214:215], v[206:207]
	v_fma_f64 v[4:5], v[214:215], v[208:209], -v[4:5]
	v_fmac_f64_e32 v[232:233], v[216:217], v[208:209]
	v_add_f64 v[2:3], v[2:3], v[4:5]
	s_waitcnt vmcnt(2) lgkmcnt(0)
	v_mul_f64 v[4:5], v[220:221], v[226:227]
	v_add_f64 v[230:231], v[230:231], v[232:233]
	v_mul_f64 v[232:233], v[218:219], v[226:227]
	s_waitcnt vmcnt(0)
	v_fma_f64 v[4:5], v[218:219], v[228:229], -v[4:5]
	v_fmac_f64_e32 v[232:233], v[220:221], v[228:229]
	v_add_f64 v[2:3], v[2:3], v[4:5]
	v_add_f64 v[230:231], v[230:231], v[232:233]
	v_add_f64 v[2:3], v[46:47], -v[2:3]
	v_add_f64 v[4:5], v[44:45], -v[230:231]
	buffer_store_dword v3, off, s[0:3], 0 offset:292
	buffer_store_dword v2, off, s[0:3], 0 offset:288
	;; [unrolled: 1-line block ×4, first 2 shown]
	s_and_saveexec_b64 s[4:5], vcc
	s_cbranch_execz .LBB45_257
; %bb.256:
	v_accvgpr_read_b32 v0, a121
	buffer_load_dword v2, v0, s[0:3], 0 offen
	buffer_load_dword v3, v0, s[0:3], 0 offen offset:4
	buffer_load_dword v4, v0, s[0:3], 0 offen offset:8
	;; [unrolled: 1-line block ×3, first 2 shown]
	v_mov_b32_e32 v0, 0
	v_accvgpr_read_b32 v1, a138
	buffer_store_dword v0, off, s[0:3], 0 offset:272
	buffer_store_dword v0, off, s[0:3], 0 offset:276
	;; [unrolled: 1-line block ×4, first 2 shown]
	s_waitcnt vmcnt(4)
	ds_write_b128 v1, v[2:5]
.LBB45_257:
	s_or_b64 exec, exec, s[4:5]
	s_waitcnt lgkmcnt(0)
	; wave barrier
	s_waitcnt lgkmcnt(0)
	buffer_load_dword v38, off, s[0:3], 0 offset:288
	buffer_load_dword v39, off, s[0:3], 0 offset:292
	;; [unrolled: 1-line block ×48, first 2 shown]
	v_mov_b32_e32 v1, 0
	ds_read_b128 v[34:37], v1 offset:1008
	ds_read_b128 v[30:33], v1 offset:1024
	;; [unrolled: 1-line block ×9, first 2 shown]
	v_cmp_lt_u32_e32 vcc, 15, v254
	s_waitcnt vmcnt(44) lgkmcnt(8)
	v_mul_f64 v[86:87], v[34:35], v[42:43]
	v_fmac_f64_e32 v[86:87], v[36:37], v[38:39]
	v_add_f64 v[86:87], v[86:87], 0
	v_mul_f64 v[36:37], v[36:37], v[42:43]
	s_waitcnt vmcnt(40) lgkmcnt(7)
	v_mul_f64 v[88:89], v[30:31], v[44:45]
	v_fmac_f64_e32 v[88:89], v[32:33], v[40:41]
	s_waitcnt vmcnt(38) lgkmcnt(6)
	v_mul_f64 v[90:91], v[26:27], v[46:47]
	v_add_f64 v[86:87], v[86:87], v[88:89]
	s_waitcnt vmcnt(36) lgkmcnt(4)
	v_mul_f64 v[94:95], v[18:19], v[48:49]
	v_fma_f64 v[34:35], v[34:35], v[38:39], -v[36:37]
	s_waitcnt vmcnt(34)
	v_fmac_f64_e32 v[94:95], v[20:21], v[50:51]
	v_mul_f64 v[32:33], v[32:33], v[44:45]
	s_waitcnt vmcnt(32)
	v_mul_f64 v[92:93], v[22:23], v[52:53]
	v_add_f64 v[34:35], v[34:35], 0
	s_waitcnt vmcnt(30) lgkmcnt(2)
	v_mul_f64 v[98:99], v[10:11], v[54:55]
	v_fma_f64 v[30:31], v[30:31], v[40:41], -v[32:33]
	s_waitcnt vmcnt(28)
	v_fmac_f64_e32 v[98:99], v[12:13], v[56:57]
	v_add_f64 v[30:31], v[34:35], v[30:31]
	s_waitcnt vmcnt(26)
	v_mul_f64 v[96:97], v[14:15], v[58:59]
	v_mul_f64 v[20:21], v[20:21], v[48:49]
	v_fma_f64 v[18:19], v[18:19], v[50:51], -v[20:21]
	v_mul_f64 v[12:13], v[12:13], v[54:55]
	s_waitcnt vmcnt(22) lgkmcnt(1)
	v_mul_f64 v[110:111], v[6:7], v[68:69]
	v_fma_f64 v[10:11], v[10:11], v[56:57], -v[12:13]
	s_waitcnt vmcnt(20)
	v_fmac_f64_e32 v[90:91], v[28:29], v[76:77]
	v_add_f64 v[86:87], v[86:87], v[90:91]
	s_waitcnt vmcnt(18)
	v_fmac_f64_e32 v[92:93], v[24:25], v[74:75]
	v_add_f64 v[86:87], v[86:87], v[92:93]
	;; [unrolled: 3-line block ×3, first 2 shown]
	v_add_f64 v[86:87], v[86:87], v[96:97]
	v_add_f64 v[112:113], v[86:87], v[98:99]
	buffer_load_dword v87, off, s[0:3], 0 offset:492
	buffer_load_dword v86, off, s[0:3], 0 offset:488
	;; [unrolled: 1-line block ×72, first 2 shown]
	s_waitcnt vmcnt(62)
	v_fmac_f64_e32 v[110:111], v[8:9], v[70:71]
	v_add_f64 v[142:143], v[112:113], v[110:111]
	ds_read_b128 v[110:113], v1 offset:1152
	s_waitcnt lgkmcnt(1)
	v_mul_f64 v[144:145], v[2:3], v[64:65]
	v_fmac_f64_e32 v[144:145], v[4:5], v[66:67]
	v_add_f64 v[146:147], v[142:143], v[144:145]
	ds_read_b128 v[142:145], v1 offset:1168
	s_waitcnt lgkmcnt(1)
	v_mul_f64 v[148:149], v[110:111], v[82:83]
	v_fmac_f64_e32 v[148:149], v[112:113], v[84:85]
	v_add_f64 v[150:151], v[146:147], v[148:149]
	ds_read_b128 v[146:149], v1 offset:1184
	s_waitcnt lgkmcnt(1)
	v_mul_f64 v[152:153], v[142:143], v[78:79]
	v_fmac_f64_e32 v[152:153], v[144:145], v[80:81]
	v_add_f64 v[154:155], v[150:151], v[152:153]
	ds_read_b128 v[150:153], v1 offset:1200
	s_waitcnt lgkmcnt(1)
	v_mul_f64 v[156:157], v[146:147], v[90:91]
	v_fmac_f64_e32 v[156:157], v[148:149], v[92:93]
	v_add_f64 v[158:159], v[154:155], v[156:157]
	ds_read_b128 v[154:157], v1 offset:1216
	s_waitcnt lgkmcnt(1)
	v_mul_f64 v[160:161], v[150:151], v[86:87]
	v_fmac_f64_e32 v[160:161], v[152:153], v[88:89]
	v_add_f64 v[162:163], v[158:159], v[160:161]
	ds_read_b128 v[158:161], v1 offset:1232
	s_waitcnt vmcnt(58) lgkmcnt(1)
	v_mul_f64 v[164:165], v[154:155], v[98:99]
	s_waitcnt vmcnt(56)
	v_fmac_f64_e32 v[164:165], v[156:157], v[100:101]
	v_add_f64 v[166:167], v[162:163], v[164:165]
	ds_read_b128 v[162:165], v1 offset:1248
	s_waitcnt lgkmcnt(1)
	v_mul_f64 v[168:169], v[158:159], v[94:95]
	v_fmac_f64_e32 v[168:169], v[160:161], v[96:97]
	v_mul_f64 v[28:29], v[28:29], v[46:47]
	v_add_f64 v[170:171], v[166:167], v[168:169]
	ds_read_b128 v[166:169], v1 offset:1264
	s_waitcnt vmcnt(50) lgkmcnt(1)
	v_mul_f64 v[172:173], v[162:163], v[106:107]
	v_fma_f64 v[26:27], v[26:27], v[76:77], -v[28:29]
	v_mul_f64 v[24:25], v[24:25], v[52:53]
	s_waitcnt vmcnt(48)
	v_fmac_f64_e32 v[172:173], v[164:165], v[108:109]
	v_add_f64 v[26:27], v[30:31], v[26:27]
	v_fma_f64 v[22:23], v[22:23], v[74:75], -v[24:25]
	v_add_f64 v[174:175], v[170:171], v[172:173]
	ds_read_b128 v[170:173], v1 offset:1280
	v_add_f64 v[22:23], v[26:27], v[22:23]
	v_mul_f64 v[16:17], v[16:17], v[58:59]
	v_add_f64 v[18:19], v[22:23], v[18:19]
	v_fma_f64 v[14:15], v[14:15], v[72:73], -v[16:17]
	v_add_f64 v[14:15], v[18:19], v[14:15]
	v_mul_f64 v[8:9], v[8:9], v[68:69]
	s_waitcnt lgkmcnt(1)
	v_mul_f64 v[176:177], v[166:167], v[102:103]
	v_add_f64 v[10:11], v[14:15], v[10:11]
	v_fma_f64 v[6:7], v[6:7], v[70:71], -v[8:9]
	v_mul_f64 v[4:5], v[4:5], v[64:65]
	v_fmac_f64_e32 v[176:177], v[168:169], v[104:105]
	v_add_f64 v[6:7], v[10:11], v[6:7]
	v_fma_f64 v[2:3], v[2:3], v[66:67], -v[4:5]
	v_mul_f64 v[4:5], v[112:113], v[82:83]
	v_add_f64 v[178:179], v[174:175], v[176:177]
	ds_read_b128 v[174:177], v1 offset:1296
	s_waitcnt vmcnt(42) lgkmcnt(1)
	v_mul_f64 v[180:181], v[170:171], v[118:119]
	v_add_f64 v[2:3], v[6:7], v[2:3]
	v_fma_f64 v[4:5], v[110:111], v[84:85], -v[4:5]
	s_waitcnt vmcnt(40)
	v_fmac_f64_e32 v[180:181], v[172:173], v[120:121]
	v_add_f64 v[2:3], v[2:3], v[4:5]
	v_mul_f64 v[4:5], v[144:145], v[78:79]
	v_add_f64 v[182:183], v[178:179], v[180:181]
	ds_read_b128 v[178:181], v1 offset:1312
	v_fma_f64 v[4:5], v[142:143], v[80:81], -v[4:5]
	v_add_f64 v[2:3], v[2:3], v[4:5]
	v_mul_f64 v[4:5], v[148:149], v[90:91]
	v_fma_f64 v[4:5], v[146:147], v[92:93], -v[4:5]
	s_waitcnt lgkmcnt(1)
	v_mul_f64 v[184:185], v[174:175], v[114:115]
	v_add_f64 v[2:3], v[2:3], v[4:5]
	v_mul_f64 v[4:5], v[152:153], v[86:87]
	v_fmac_f64_e32 v[184:185], v[176:177], v[116:117]
	v_fma_f64 v[4:5], v[150:151], v[88:89], -v[4:5]
	v_add_f64 v[186:187], v[182:183], v[184:185]
	ds_read_b128 v[182:185], v1 offset:1328
	s_waitcnt vmcnt(34) lgkmcnt(1)
	v_mul_f64 v[188:189], v[178:179], v[126:127]
	v_add_f64 v[2:3], v[2:3], v[4:5]
	v_mul_f64 v[4:5], v[156:157], v[98:99]
	s_waitcnt vmcnt(32)
	v_fmac_f64_e32 v[188:189], v[180:181], v[128:129]
	v_fma_f64 v[4:5], v[154:155], v[100:101], -v[4:5]
	v_add_f64 v[194:195], v[186:187], v[188:189]
	ds_read_b128 v[186:189], v1 offset:1344
	v_add_f64 v[2:3], v[2:3], v[4:5]
	v_mul_f64 v[4:5], v[160:161], v[94:95]
	v_fma_f64 v[4:5], v[158:159], v[96:97], -v[4:5]
	v_add_f64 v[2:3], v[2:3], v[4:5]
	v_mul_f64 v[4:5], v[164:165], v[106:107]
	s_waitcnt lgkmcnt(1)
	v_mul_f64 v[196:197], v[182:183], v[122:123]
	v_fma_f64 v[4:5], v[162:163], v[108:109], -v[4:5]
	v_fmac_f64_e32 v[196:197], v[184:185], v[124:125]
	v_add_f64 v[2:3], v[2:3], v[4:5]
	v_mul_f64 v[4:5], v[168:169], v[102:103]
	v_add_f64 v[198:199], v[194:195], v[196:197]
	ds_read_b128 v[194:197], v1 offset:1360
	s_waitcnt vmcnt(26) lgkmcnt(1)
	v_mul_f64 v[200:201], v[186:187], v[134:135]
	v_fma_f64 v[4:5], v[166:167], v[104:105], -v[4:5]
	s_waitcnt vmcnt(24)
	v_fmac_f64_e32 v[200:201], v[188:189], v[136:137]
	v_add_f64 v[2:3], v[2:3], v[4:5]
	v_mul_f64 v[4:5], v[172:173], v[118:119]
	v_add_f64 v[210:211], v[198:199], v[200:201]
	ds_read_b128 v[198:201], v1 offset:1376
	v_fma_f64 v[4:5], v[170:171], v[120:121], -v[4:5]
	v_add_f64 v[2:3], v[2:3], v[4:5]
	v_mul_f64 v[4:5], v[176:177], v[114:115]
	v_fma_f64 v[4:5], v[174:175], v[116:117], -v[4:5]
	s_waitcnt lgkmcnt(1)
	v_mul_f64 v[212:213], v[194:195], v[130:131]
	v_add_f64 v[2:3], v[2:3], v[4:5]
	v_mul_f64 v[4:5], v[180:181], v[126:127]
	v_fmac_f64_e32 v[212:213], v[196:197], v[132:133]
	v_fma_f64 v[4:5], v[178:179], v[128:129], -v[4:5]
	v_add_f64 v[214:215], v[210:211], v[212:213]
	ds_read_b128 v[210:213], v1 offset:1392
	s_waitcnt vmcnt(18) lgkmcnt(1)
	v_mul_f64 v[216:217], v[198:199], v[190:191]
	v_add_f64 v[2:3], v[2:3], v[4:5]
	v_mul_f64 v[4:5], v[184:185], v[122:123]
	s_waitcnt vmcnt(16)
	v_fmac_f64_e32 v[216:217], v[200:201], v[192:193]
	v_fma_f64 v[4:5], v[182:183], v[124:125], -v[4:5]
	v_add_f64 v[218:219], v[214:215], v[216:217]
	ds_read_b128 v[214:217], v1 offset:1408
	v_add_f64 v[2:3], v[2:3], v[4:5]
	v_mul_f64 v[4:5], v[188:189], v[134:135]
	v_fma_f64 v[4:5], v[186:187], v[136:137], -v[4:5]
	v_add_f64 v[2:3], v[2:3], v[4:5]
	v_mul_f64 v[4:5], v[196:197], v[130:131]
	s_waitcnt lgkmcnt(1)
	v_mul_f64 v[220:221], v[210:211], v[138:139]
	v_fma_f64 v[4:5], v[194:195], v[132:133], -v[4:5]
	v_fmac_f64_e32 v[220:221], v[212:213], v[140:141]
	v_add_f64 v[2:3], v[2:3], v[4:5]
	v_mul_f64 v[4:5], v[200:201], v[190:191]
	v_add_f64 v[222:223], v[218:219], v[220:221]
	ds_read_b128 v[218:221], v1 offset:1424
	s_waitcnt vmcnt(10) lgkmcnt(1)
	v_mul_f64 v[224:225], v[214:215], v[206:207]
	v_fma_f64 v[4:5], v[198:199], v[192:193], -v[4:5]
	s_waitcnt vmcnt(8)
	v_fmac_f64_e32 v[224:225], v[216:217], v[208:209]
	v_add_f64 v[2:3], v[2:3], v[4:5]
	v_mul_f64 v[4:5], v[212:213], v[138:139]
	v_add_f64 v[238:239], v[222:223], v[224:225]
	ds_read_b128 v[222:225], v1 offset:1440
	ds_read_b128 v[226:229], v1 offset:1456
	v_fma_f64 v[4:5], v[210:211], v[140:141], -v[4:5]
	v_add_f64 v[2:3], v[2:3], v[4:5]
	v_mul_f64 v[4:5], v[216:217], v[206:207]
	v_fma_f64 v[4:5], v[214:215], v[208:209], -v[4:5]
	v_add_f64 v[2:3], v[2:3], v[4:5]
	s_waitcnt lgkmcnt(2)
	v_mul_f64 v[4:5], v[220:221], v[202:203]
	v_mul_f64 v[240:241], v[218:219], v[202:203]
	v_fma_f64 v[4:5], v[218:219], v[204:205], -v[4:5]
	v_fmac_f64_e32 v[240:241], v[220:221], v[204:205]
	v_add_f64 v[2:3], v[2:3], v[4:5]
	s_waitcnt vmcnt(2) lgkmcnt(1)
	v_mul_f64 v[4:5], v[224:225], v[234:235]
	v_add_f64 v[238:239], v[238:239], v[240:241]
	v_mul_f64 v[240:241], v[222:223], v[234:235]
	s_waitcnt vmcnt(0)
	v_fma_f64 v[4:5], v[222:223], v[236:237], -v[4:5]
	v_fmac_f64_e32 v[240:241], v[224:225], v[236:237]
	v_add_f64 v[2:3], v[2:3], v[4:5]
	s_waitcnt lgkmcnt(0)
	v_mul_f64 v[4:5], v[228:229], v[230:231]
	v_add_f64 v[238:239], v[238:239], v[240:241]
	v_mul_f64 v[240:241], v[226:227], v[230:231]
	v_fma_f64 v[4:5], v[226:227], v[232:233], -v[4:5]
	v_fmac_f64_e32 v[240:241], v[228:229], v[232:233]
	v_add_f64 v[2:3], v[2:3], v[4:5]
	v_add_f64 v[238:239], v[238:239], v[240:241]
	v_add_f64 v[2:3], v[62:63], -v[2:3]
	v_add_f64 v[4:5], v[60:61], -v[238:239]
	buffer_store_dword v3, off, s[0:3], 0 offset:276
	buffer_store_dword v2, off, s[0:3], 0 offset:272
	;; [unrolled: 1-line block ×4, first 2 shown]
	s_and_saveexec_b64 s[4:5], vcc
	s_cbranch_execz .LBB45_259
; %bb.258:
	v_accvgpr_read_b32 v0, a122
	buffer_load_dword v2, v0, s[0:3], 0 offen
	buffer_load_dword v3, v0, s[0:3], 0 offen offset:4
	buffer_load_dword v4, v0, s[0:3], 0 offen offset:8
	buffer_load_dword v5, v0, s[0:3], 0 offen offset:12
	v_accvgpr_read_b32 v0, a138
	buffer_store_dword v1, off, s[0:3], 0 offset:256
	buffer_store_dword v1, off, s[0:3], 0 offset:260
	;; [unrolled: 1-line block ×4, first 2 shown]
	s_waitcnt vmcnt(4)
	ds_write_b128 v0, v[2:5]
.LBB45_259:
	s_or_b64 exec, exec, s[4:5]
	s_waitcnt lgkmcnt(0)
	; wave barrier
	s_waitcnt lgkmcnt(0)
	buffer_load_dword v48, off, s[0:3], 0 offset:272
	buffer_load_dword v49, off, s[0:3], 0 offset:276
	buffer_load_dword v50, off, s[0:3], 0 offset:280
	buffer_load_dword v51, off, s[0:3], 0 offset:284
	buffer_load_dword v42, off, s[0:3], 0 offset:288
	buffer_load_dword v43, off, s[0:3], 0 offset:292
	buffer_load_dword v44, off, s[0:3], 0 offset:296
	buffer_load_dword v45, off, s[0:3], 0 offset:300
	buffer_load_dword v46, off, s[0:3], 0 offset:312
	buffer_load_dword v47, off, s[0:3], 0 offset:316
	buffer_load_dword v53, off, s[0:3], 0 offset:348
	buffer_load_dword v52, off, s[0:3], 0 offset:344
	buffer_load_dword v55, off, s[0:3], 0 offset:340
	buffer_load_dword v54, off, s[0:3], 0 offset:336
	buffer_load_dword v57, off, s[0:3], 0 offset:332
	buffer_load_dword v56, off, s[0:3], 0 offset:328
	buffer_load_dword v63, off, s[0:3], 0 offset:364
	buffer_load_dword v62, off, s[0:3], 0 offset:360
	buffer_load_dword v65, off, s[0:3], 0 offset:412
	buffer_load_dword v64, off, s[0:3], 0 offset:408
	buffer_load_dword v67, off, s[0:3], 0 offset:404
	buffer_load_dword v69, off, s[0:3], 0 offset:396
	buffer_load_dword v68, off, s[0:3], 0 offset:392
	buffer_load_dword v71, off, s[0:3], 0 offset:380
	buffer_load_dword v70, off, s[0:3], 0 offset:376
	buffer_load_dword v73, off, s[0:3], 0 offset:372
	buffer_load_dword v72, off, s[0:3], 0 offset:368
	buffer_load_dword v80, off, s[0:3], 0 offset:304
	buffer_load_dword v81, off, s[0:3], 0 offset:308
	buffer_load_dword v79, off, s[0:3], 0 offset:324
	buffer_load_dword v78, off, s[0:3], 0 offset:320
	buffer_load_dword v77, off, s[0:3], 0 offset:356
	buffer_load_dword v76, off, s[0:3], 0 offset:352
	buffer_load_dword v75, off, s[0:3], 0 offset:388
	buffer_load_dword v74, off, s[0:3], 0 offset:384
	buffer_load_dword v66, off, s[0:3], 0 offset:400
	buffer_load_dword v60, off, s[0:3], 0 offset:256
	buffer_load_dword v61, off, s[0:3], 0 offset:260
	buffer_load_dword v58, off, s[0:3], 0 offset:264
	buffer_load_dword v59, off, s[0:3], 0 offset:268
	ds_read_b128 v[38:41], v1 offset:992
	ds_read_b128 v[34:37], v1 offset:1008
	;; [unrolled: 1-line block ×10, first 2 shown]
	buffer_load_dword v83, off, s[0:3], 0 offset:444
	buffer_load_dword v82, off, s[0:3], 0 offset:440
	;; [unrolled: 1-line block ×8, first 2 shown]
	v_cmp_lt_u32_e32 vcc, 14, v254
	s_waitcnt vmcnt(44) lgkmcnt(9)
	v_mul_f64 v[90:91], v[38:39], v[50:51]
	v_fmac_f64_e32 v[90:91], v[40:41], v[48:49]
	v_add_f64 v[90:91], v[90:91], 0
	v_mul_f64 v[40:41], v[40:41], v[50:51]
	s_waitcnt vmcnt(40) lgkmcnt(8)
	v_mul_f64 v[92:93], v[34:35], v[44:45]
	v_fmac_f64_e32 v[92:93], v[36:37], v[42:43]
	s_waitcnt vmcnt(38) lgkmcnt(7)
	v_mul_f64 v[94:95], v[30:31], v[46:47]
	v_add_f64 v[90:91], v[90:91], v[92:93]
	s_waitcnt vmcnt(36) lgkmcnt(5)
	v_mul_f64 v[98:99], v[22:23], v[52:53]
	v_mul_f64 v[36:37], v[36:37], v[44:45]
	s_waitcnt vmcnt(34)
	v_fmac_f64_e32 v[98:99], v[24:25], v[54:55]
	v_fma_f64 v[34:35], v[34:35], v[42:43], -v[36:37]
	s_waitcnt vmcnt(32)
	v_mul_f64 v[96:97], v[26:27], v[56:57]
	v_mul_f64 v[24:25], v[24:25], v[52:53]
	s_waitcnt vmcnt(30) lgkmcnt(4)
	v_mul_f64 v[100:101], v[18:19], v[62:63]
	v_fma_f64 v[22:23], v[22:23], v[54:55], -v[24:25]
	s_waitcnt vmcnt(28) lgkmcnt(1)
	v_mul_f64 v[122:123], v[2:3], v[64:65]
	s_waitcnt vmcnt(25)
	v_mul_f64 v[104:105], v[6:7], v[68:69]
	s_waitcnt vmcnt(23)
	;; [unrolled: 2-line block ×3, first 2 shown]
	v_fmac_f64_e32 v[102:103], v[12:13], v[72:73]
	v_mul_f64 v[12:13], v[12:13], v[70:71]
	s_waitcnt vmcnt(19)
	v_fmac_f64_e32 v[94:95], v[32:33], v[80:81]
	v_add_f64 v[90:91], v[90:91], v[94:95]
	s_waitcnt vmcnt(17)
	v_fmac_f64_e32 v[96:97], v[28:29], v[78:79]
	v_add_f64 v[90:91], v[90:91], v[96:97]
	;; [unrolled: 3-line block ×3, first 2 shown]
	v_add_f64 v[90:91], v[90:91], v[100:101]
	s_waitcnt vmcnt(13)
	v_fmac_f64_e32 v[104:105], v[8:9], v[74:75]
	v_add_f64 v[90:91], v[90:91], v[102:103]
	v_add_f64 v[124:125], v[90:91], v[104:105]
	buffer_load_dword v91, off, s[0:3], 0 offset:476
	buffer_load_dword v90, off, s[0:3], 0 offset:472
	buffer_load_dword v93, off, s[0:3], 0 offset:468
	buffer_load_dword v92, off, s[0:3], 0 offset:464
	buffer_load_dword v95, off, s[0:3], 0 offset:460
	buffer_load_dword v94, off, s[0:3], 0 offset:456
	buffer_load_dword v97, off, s[0:3], 0 offset:452
	buffer_load_dword v96, off, s[0:3], 0 offset:448
	buffer_load_dword v99, off, s[0:3], 0 offset:508
	buffer_load_dword v98, off, s[0:3], 0 offset:504
	buffer_load_dword v101, off, s[0:3], 0 offset:500
	buffer_load_dword v100, off, s[0:3], 0 offset:496
	buffer_load_dword v103, off, s[0:3], 0 offset:492
	buffer_load_dword v102, off, s[0:3], 0 offset:488
	buffer_load_dword v105, off, s[0:3], 0 offset:484
	buffer_load_dword v104, off, s[0:3], 0 offset:480
	buffer_load_dword v107, off, s[0:3], 0 offset:540
	buffer_load_dword v106, off, s[0:3], 0 offset:536
	buffer_load_dword v109, off, s[0:3], 0 offset:532
	buffer_load_dword v108, off, s[0:3], 0 offset:528
	buffer_load_dword v111, off, s[0:3], 0 offset:524
	buffer_load_dword v110, off, s[0:3], 0 offset:520
	buffer_load_dword v113, off, s[0:3], 0 offset:516
	buffer_load_dword v112, off, s[0:3], 0 offset:512
	buffer_load_dword v115, off, s[0:3], 0 offset:572
	buffer_load_dword v114, off, s[0:3], 0 offset:568
	buffer_load_dword v117, off, s[0:3], 0 offset:564
	buffer_load_dword v116, off, s[0:3], 0 offset:560
	buffer_load_dword v119, off, s[0:3], 0 offset:556
	buffer_load_dword v118, off, s[0:3], 0 offset:552
	buffer_load_dword v121, off, s[0:3], 0 offset:548
	buffer_load_dword v120, off, s[0:3], 0 offset:544
	buffer_load_dword v127, off, s[0:3], 0 offset:604
	buffer_load_dword v126, off, s[0:3], 0 offset:600
	buffer_load_dword v129, off, s[0:3], 0 offset:596
	buffer_load_dword v128, off, s[0:3], 0 offset:592
	buffer_load_dword v131, off, s[0:3], 0 offset:588
	buffer_load_dword v130, off, s[0:3], 0 offset:584
	buffer_load_dword v133, off, s[0:3], 0 offset:580
	buffer_load_dword v132, off, s[0:3], 0 offset:576
	buffer_load_dword v135, off, s[0:3], 0 offset:636
	buffer_load_dword v134, off, s[0:3], 0 offset:632
	buffer_load_dword v137, off, s[0:3], 0 offset:628
	buffer_load_dword v136, off, s[0:3], 0 offset:624
	buffer_load_dword v139, off, s[0:3], 0 offset:620
	buffer_load_dword v138, off, s[0:3], 0 offset:616
	buffer_load_dword v141, off, s[0:3], 0 offset:612
	buffer_load_dword v140, off, s[0:3], 0 offset:608
	buffer_load_dword v143, off, s[0:3], 0 offset:668
	buffer_load_dword v142, off, s[0:3], 0 offset:664
	buffer_load_dword v145, off, s[0:3], 0 offset:660
	buffer_load_dword v144, off, s[0:3], 0 offset:656
	buffer_load_dword v147, off, s[0:3], 0 offset:652
	buffer_load_dword v146, off, s[0:3], 0 offset:648
	buffer_load_dword v149, off, s[0:3], 0 offset:644
	buffer_load_dword v148, off, s[0:3], 0 offset:640
	buffer_load_dword v191, off, s[0:3], 0 offset:700
	buffer_load_dword v190, off, s[0:3], 0 offset:696
	buffer_load_dword v193, off, s[0:3], 0 offset:692
	buffer_load_dword v192, off, s[0:3], 0 offset:688
	buffer_load_dword v203, off, s[0:3], 0 offset:684
	buffer_load_dword v202, off, s[0:3], 0 offset:680
	buffer_load_dword v205, off, s[0:3], 0 offset:676
	buffer_load_dword v204, off, s[0:3], 0 offset:672
	buffer_load_dword v207, off, s[0:3], 0 offset:732
	buffer_load_dword v206, off, s[0:3], 0 offset:728
	buffer_load_dword v209, off, s[0:3], 0 offset:724
	buffer_load_dword v208, off, s[0:3], 0 offset:720
	buffer_load_dword v231, off, s[0:3], 0 offset:716
	buffer_load_dword v230, off, s[0:3], 0 offset:712
	buffer_load_dword v233, off, s[0:3], 0 offset:708
	buffer_load_dword v232, off, s[0:3], 0 offset:704
	s_waitcnt vmcnt(62)
	v_fmac_f64_e32 v[122:123], v[4:5], v[66:67]
	v_add_f64 v[150:151], v[124:125], v[122:123]
	ds_read_b128 v[122:125], v1 offset:1152
	s_waitcnt lgkmcnt(1)
	v_mul_f64 v[152:153], v[14:15], v[86:87]
	v_fmac_f64_e32 v[152:153], v[16:17], v[88:89]
	buffer_load_dword v235, off, s[0:3], 0 offset:748
	buffer_load_dword v234, off, s[0:3], 0 offset:744
	;; [unrolled: 1-line block ×4, first 2 shown]
	v_add_f64 v[154:155], v[150:151], v[152:153]
	s_waitcnt lgkmcnt(0)
	v_mul_f64 v[156:157], v[122:123], v[82:83]
	ds_read_b128 v[150:153], v1 offset:1168
	v_fmac_f64_e32 v[156:157], v[124:125], v[84:85]
	v_add_f64 v[158:159], v[154:155], v[156:157]
	ds_read_b128 v[154:157], v1 offset:1184
	v_mul_f64 v[32:33], v[32:33], v[46:47]
	s_waitcnt lgkmcnt(1)
	v_mul_f64 v[160:161], v[150:151], v[94:95]
	v_fma_f64 v[30:31], v[30:31], v[80:81], -v[32:33]
	v_fmac_f64_e32 v[160:161], v[152:153], v[96:97]
	s_waitcnt lgkmcnt(0)
	v_mul_f64 v[164:165], v[154:155], v[90:91]
	v_add_f64 v[162:163], v[158:159], v[160:161]
	ds_read_b128 v[158:161], v1 offset:1200
	v_fmac_f64_e32 v[164:165], v[156:157], v[92:93]
	v_add_f64 v[166:167], v[162:163], v[164:165]
	ds_read_b128 v[162:165], v1 offset:1216
	v_mul_f64 v[28:29], v[28:29], v[56:57]
	s_waitcnt vmcnt(62) lgkmcnt(1)
	v_mul_f64 v[168:169], v[158:159], v[102:103]
	s_waitcnt vmcnt(60)
	v_fmac_f64_e32 v[168:169], v[160:161], v[104:105]
	v_add_f64 v[170:171], v[166:167], v[168:169]
	s_waitcnt lgkmcnt(0)
	v_mul_f64 v[172:173], v[162:163], v[98:99]
	ds_read_b128 v[166:169], v1 offset:1232
	v_fmac_f64_e32 v[172:173], v[164:165], v[100:101]
	v_add_f64 v[174:175], v[170:171], v[172:173]
	ds_read_b128 v[170:173], v1 offset:1248
	v_fma_f64 v[26:27], v[26:27], v[78:79], -v[28:29]
	s_waitcnt vmcnt(54) lgkmcnt(1)
	v_mul_f64 v[176:177], v[166:167], v[110:111]
	s_waitcnt vmcnt(52)
	v_fmac_f64_e32 v[176:177], v[168:169], v[112:113]
	v_add_f64 v[178:179], v[174:175], v[176:177]
	s_waitcnt lgkmcnt(0)
	v_mul_f64 v[180:181], v[170:171], v[106:107]
	ds_read_b128 v[174:177], v1 offset:1264
	v_fmac_f64_e32 v[180:181], v[172:173], v[108:109]
	v_add_f64 v[182:183], v[178:179], v[180:181]
	ds_read_b128 v[178:181], v1 offset:1280
	v_mul_f64 v[20:21], v[20:21], v[62:63]
	s_waitcnt vmcnt(46) lgkmcnt(1)
	v_mul_f64 v[184:185], v[174:175], v[118:119]
	s_waitcnt vmcnt(44)
	v_fmac_f64_e32 v[184:185], v[176:177], v[120:121]
	v_add_f64 v[186:187], v[182:183], v[184:185]
	s_waitcnt lgkmcnt(0)
	v_mul_f64 v[188:189], v[178:179], v[114:115]
	ds_read_b128 v[182:185], v1 offset:1296
	v_fmac_f64_e32 v[188:189], v[180:181], v[116:117]
	v_add_f64 v[194:195], v[186:187], v[188:189]
	ds_read_b128 v[186:189], v1 offset:1312
	v_fma_f64 v[18:19], v[18:19], v[76:77], -v[20:21]
	s_waitcnt vmcnt(38) lgkmcnt(1)
	v_mul_f64 v[196:197], v[182:183], v[130:131]
	s_waitcnt vmcnt(36)
	v_fmac_f64_e32 v[196:197], v[184:185], v[132:133]
	v_add_f64 v[198:199], v[194:195], v[196:197]
	s_waitcnt lgkmcnt(0)
	v_mul_f64 v[200:201], v[186:187], v[126:127]
	ds_read_b128 v[194:197], v1 offset:1328
	v_fmac_f64_e32 v[200:201], v[188:189], v[128:129]
	v_add_f64 v[210:211], v[198:199], v[200:201]
	ds_read_b128 v[198:201], v1 offset:1344
	v_fma_f64 v[10:11], v[10:11], v[72:73], -v[12:13]
	s_waitcnt vmcnt(30) lgkmcnt(1)
	v_mul_f64 v[212:213], v[194:195], v[138:139]
	s_waitcnt vmcnt(28)
	v_fmac_f64_e32 v[212:213], v[196:197], v[140:141]
	v_add_f64 v[214:215], v[210:211], v[212:213]
	s_waitcnt lgkmcnt(0)
	v_mul_f64 v[216:217], v[198:199], v[134:135]
	ds_read_b128 v[210:213], v1 offset:1360
	v_fmac_f64_e32 v[216:217], v[200:201], v[136:137]
	v_add_f64 v[218:219], v[214:215], v[216:217]
	ds_read_b128 v[214:217], v1 offset:1376
	v_mul_f64 v[8:9], v[8:9], v[68:69]
	s_waitcnt vmcnt(22) lgkmcnt(1)
	v_mul_f64 v[220:221], v[210:211], v[146:147]
	s_waitcnt vmcnt(20)
	v_fmac_f64_e32 v[220:221], v[212:213], v[148:149]
	v_add_f64 v[222:223], v[218:219], v[220:221]
	s_waitcnt lgkmcnt(0)
	v_mul_f64 v[224:225], v[214:215], v[142:143]
	ds_read_b128 v[218:221], v1 offset:1392
	v_fmac_f64_e32 v[224:225], v[216:217], v[144:145]
	v_add_f64 v[226:227], v[222:223], v[224:225]
	ds_read_b128 v[222:225], v1 offset:1408
	v_fma_f64 v[6:7], v[6:7], v[74:75], -v[8:9]
	s_waitcnt vmcnt(14) lgkmcnt(1)
	v_mul_f64 v[228:229], v[218:219], v[202:203]
	s_waitcnt vmcnt(12)
	v_fmac_f64_e32 v[228:229], v[220:221], v[204:205]
	v_add_f64 v[238:239], v[226:227], v[228:229]
	s_waitcnt lgkmcnt(0)
	v_mul_f64 v[240:241], v[222:223], v[190:191]
	v_fmac_f64_e32 v[240:241], v[224:225], v[192:193]
	v_add_f64 v[238:239], v[238:239], v[240:241]
	v_fma_f64 v[240:241], v[38:39], v[48:49], -v[40:41]
	v_add_f64 v[240:241], v[240:241], 0
	v_add_f64 v[34:35], v[240:241], v[34:35]
	;; [unrolled: 1-line block ×7, first 2 shown]
	v_mul_f64 v[4:5], v[4:5], v[64:65]
	v_add_f64 v[6:7], v[10:11], v[6:7]
	v_fma_f64 v[2:3], v[2:3], v[66:67], -v[4:5]
	v_mul_f64 v[4:5], v[16:17], v[86:87]
	v_add_f64 v[2:3], v[6:7], v[2:3]
	v_fma_f64 v[4:5], v[14:15], v[88:89], -v[4:5]
	v_add_f64 v[2:3], v[2:3], v[4:5]
	v_mul_f64 v[4:5], v[124:125], v[82:83]
	v_fma_f64 v[4:5], v[122:123], v[84:85], -v[4:5]
	v_add_f64 v[2:3], v[2:3], v[4:5]
	v_mul_f64 v[4:5], v[152:153], v[94:95]
	;; [unrolled: 3-line block ×15, first 2 shown]
	ds_read_b128 v[226:229], v1 offset:1424
	ds_read_b128 v[38:41], v1 offset:1440
	v_fma_f64 v[4:5], v[214:215], v[144:145], -v[4:5]
	v_add_f64 v[2:3], v[2:3], v[4:5]
	v_mul_f64 v[4:5], v[220:221], v[202:203]
	v_fma_f64 v[4:5], v[218:219], v[204:205], -v[4:5]
	v_add_f64 v[2:3], v[2:3], v[4:5]
	v_mul_f64 v[4:5], v[224:225], v[190:191]
	ds_read_b128 v[48:51], v1 offset:1456
	v_fma_f64 v[4:5], v[222:223], v[192:193], -v[4:5]
	v_add_f64 v[2:3], v[2:3], v[4:5]
	s_waitcnt vmcnt(6) lgkmcnt(2)
	v_mul_f64 v[4:5], v[228:229], v[230:231]
	v_mul_f64 v[242:243], v[226:227], v[230:231]
	s_waitcnt vmcnt(4)
	v_fma_f64 v[4:5], v[226:227], v[232:233], -v[4:5]
	v_fmac_f64_e32 v[242:243], v[228:229], v[232:233]
	v_add_f64 v[2:3], v[2:3], v[4:5]
	s_waitcnt lgkmcnt(1)
	v_mul_f64 v[4:5], v[40:41], v[206:207]
	v_add_f64 v[238:239], v[238:239], v[242:243]
	v_mul_f64 v[242:243], v[38:39], v[206:207]
	v_fma_f64 v[4:5], v[38:39], v[208:209], -v[4:5]
	v_fmac_f64_e32 v[242:243], v[40:41], v[208:209]
	v_add_f64 v[2:3], v[2:3], v[4:5]
	s_waitcnt vmcnt(2) lgkmcnt(0)
	v_mul_f64 v[4:5], v[50:51], v[234:235]
	v_add_f64 v[238:239], v[238:239], v[242:243]
	v_mul_f64 v[242:243], v[48:49], v[234:235]
	s_waitcnt vmcnt(0)
	v_fma_f64 v[4:5], v[48:49], v[236:237], -v[4:5]
	v_fmac_f64_e32 v[242:243], v[50:51], v[236:237]
	v_add_f64 v[2:3], v[2:3], v[4:5]
	v_add_f64 v[238:239], v[238:239], v[242:243]
	v_add_f64 v[2:3], v[60:61], -v[2:3]
	v_add_f64 v[4:5], v[58:59], -v[238:239]
	buffer_store_dword v3, off, s[0:3], 0 offset:260
	buffer_store_dword v2, off, s[0:3], 0 offset:256
	;; [unrolled: 1-line block ×4, first 2 shown]
	s_and_saveexec_b64 s[4:5], vcc
	s_cbranch_execz .LBB45_261
; %bb.260:
	v_accvgpr_read_b32 v0, a123
	buffer_load_dword v2, v0, s[0:3], 0 offen
	buffer_load_dword v3, v0, s[0:3], 0 offen offset:4
	buffer_load_dword v4, v0, s[0:3], 0 offen offset:8
	;; [unrolled: 1-line block ×3, first 2 shown]
	v_mov_b32_e32 v0, 0
	v_accvgpr_read_b32 v1, a138
	buffer_store_dword v0, off, s[0:3], 0 offset:240
	buffer_store_dword v0, off, s[0:3], 0 offset:244
	;; [unrolled: 1-line block ×4, first 2 shown]
	s_waitcnt vmcnt(4)
	ds_write_b128 v1, v[2:5]
.LBB45_261:
	s_or_b64 exec, exec, s[4:5]
	s_waitcnt lgkmcnt(0)
	; wave barrier
	s_waitcnt lgkmcnt(0)
	buffer_load_dword v106, off, s[0:3], 0 offset:256
	buffer_load_dword v107, off, s[0:3], 0 offset:260
	;; [unrolled: 1-line block ×49, first 2 shown]
	v_mov_b32_e32 v1, 0
	ds_read_b128 v[110:113], v1 offset:976
	ds_read_b128 v[250:253], v1 offset:992
	;; [unrolled: 1-line block ×10, first 2 shown]
	buffer_load_dword v158, off, s[0:3], 0 offset:448
	buffer_load_dword v173, off, s[0:3], 0 offset:444
	;; [unrolled: 1-line block ×69, first 2 shown]
	v_accvgpr_write_b32 a137, v254
	v_cmp_lt_u32_e32 vcc, 13, v254
	s_waitcnt vmcnt(62) lgkmcnt(9)
	v_mul_f64 v[34:35], v[110:111], v[108:109]
	v_fmac_f64_e32 v[34:35], v[112:113], v[106:107]
	v_add_f64 v[34:35], v[34:35], 0
	v_mul_f64 v[108:109], v[112:113], v[108:109]
	s_waitcnt lgkmcnt(8)
	v_mul_f64 v[36:37], v[250:251], v[116:117]
	v_fmac_f64_e32 v[36:37], v[252:253], v[114:115]
	s_waitcnt lgkmcnt(7)
	v_mul_f64 v[38:39], v[30:31], v[118:119]
	v_add_f64 v[34:35], v[34:35], v[36:37]
	s_waitcnt lgkmcnt(5)
	v_mul_f64 v[42:43], v[22:23], v[120:121]
	v_mul_f64 v[116:117], v[252:253], v[116:117]
	v_fmac_f64_e32 v[42:43], v[24:25], v[122:123]
	v_fma_f64 v[248:249], v[110:111], v[106:107], -v[108:109]
	v_mul_f64 v[40:41], v[26:27], v[124:125]
	v_fma_f64 v[250:251], v[250:251], v[114:115], -v[116:117]
	s_waitcnt lgkmcnt(3)
	v_mul_f64 v[46:47], v[14:15], v[126:127]
	v_mul_f64 v[24:25], v[24:25], v[120:121]
	v_fmac_f64_e32 v[46:47], v[16:17], v[128:129]
	v_fma_f64 v[22:23], v[22:23], v[122:123], -v[24:25]
	v_mul_f64 v[44:45], v[18:19], v[130:131]
	v_mul_f64 v[16:17], v[16:17], v[126:127]
	s_waitcnt lgkmcnt(1)
	v_mul_f64 v[50:51], v[6:7], v[132:133]
	v_fma_f64 v[14:15], v[14:15], v[128:129], -v[16:17]
	v_fmac_f64_e32 v[50:51], v[8:9], v[134:135]
	v_mul_f64 v[8:9], v[8:9], v[132:133]
	v_mul_f64 v[48:49], v[10:11], v[140:141]
	v_fma_f64 v[6:7], v[6:7], v[134:135], -v[8:9]
	s_waitcnt lgkmcnt(0)
	v_mul_f64 v[52:53], v[2:3], v[136:137]
	v_fmac_f64_e32 v[38:39], v[32:33], v[152:153]
	v_add_f64 v[34:35], v[34:35], v[38:39]
	v_fmac_f64_e32 v[40:41], v[28:29], v[150:151]
	v_add_f64 v[34:35], v[34:35], v[40:41]
	;; [unrolled: 2-line block ×3, first 2 shown]
	v_add_f64 v[34:35], v[34:35], v[44:45]
	v_fmac_f64_e32 v[48:49], v[12:13], v[146:147]
	v_add_f64 v[34:35], v[34:35], v[46:47]
	v_add_f64 v[34:35], v[34:35], v[48:49]
	v_fmac_f64_e32 v[52:53], v[4:5], v[144:145]
	v_add_f64 v[34:35], v[34:35], v[50:51]
	v_add_f64 v[42:43], v[34:35], v[52:53]
	ds_read_b128 v[38:41], v1 offset:1136
	ds_read_b128 v[34:37], v1 offset:1152
	buffer_load_dword v231, off, s[0:3], 0 offset:748
	buffer_load_dword v230, off, s[0:3], 0 offset:744
	;; [unrolled: 1-line block ×8, first 2 shown]
	ds_read_b128 v[110:113], v1 offset:1424
	ds_read_b128 v[106:109], v1 offset:1440
	s_waitcnt lgkmcnt(3)
	v_mul_f64 v[44:45], v[38:39], v[142:143]
	v_fmac_f64_e32 v[44:45], v[40:41], v[154:155]
	v_add_f64 v[46:47], v[42:43], v[44:45]
	ds_read_b128 v[42:45], v1 offset:1168
	s_waitcnt lgkmcnt(3)
	v_mul_f64 v[48:49], v[34:35], v[172:173]
	v_fmac_f64_e32 v[48:49], v[36:37], v[176:177]
	v_add_f64 v[50:51], v[46:47], v[48:49]
	;; [unrolled: 5-line block ×3, first 2 shown]
	ds_read_b128 v[50:53], v1 offset:1200
	s_waitcnt vmcnt(62) lgkmcnt(1)
	v_mul_f64 v[56:57], v[46:47], v[180:181]
	v_fmac_f64_e32 v[56:57], v[48:49], v[184:185]
	v_add_f64 v[58:59], v[54:55], v[56:57]
	ds_read_b128 v[54:57], v1 offset:1216
	s_waitcnt lgkmcnt(1)
	v_mul_f64 v[60:61], v[50:51], v[160:161]
	v_fmac_f64_e32 v[60:61], v[52:53], v[162:163]
	v_add_f64 v[62:63], v[58:59], v[60:61]
	ds_read_b128 v[58:61], v1 offset:1232
	s_waitcnt vmcnt(58) lgkmcnt(1)
	v_mul_f64 v[64:65], v[54:55], v[188:189]
	s_waitcnt vmcnt(56)
	v_fmac_f64_e32 v[64:65], v[56:57], v[194:195]
	v_add_f64 v[66:67], v[62:63], v[64:65]
	ds_read_b128 v[62:65], v1 offset:1248
	s_waitcnt lgkmcnt(1)
	v_mul_f64 v[68:69], v[58:59], v[164:165]
	v_fmac_f64_e32 v[68:69], v[60:61], v[166:167]
	v_add_f64 v[70:71], v[66:67], v[68:69]
	ds_read_b128 v[66:69], v1 offset:1264
	s_waitcnt vmcnt(50) lgkmcnt(1)
	v_mul_f64 v[72:73], v[62:63], v[198:199]
	s_waitcnt vmcnt(48)
	v_fmac_f64_e32 v[72:73], v[64:65], v[210:211]
	v_add_f64 v[74:75], v[70:71], v[72:73]
	ds_read_b128 v[70:73], v1 offset:1280
	s_waitcnt lgkmcnt(1)
	v_mul_f64 v[76:77], v[66:67], v[168:169]
	v_fmac_f64_e32 v[76:77], v[68:69], v[170:171]
	v_add_f64 v[78:79], v[74:75], v[76:77]
	ds_read_b128 v[74:77], v1 offset:1296
	s_waitcnt vmcnt(42) lgkmcnt(1)
	v_mul_f64 v[80:81], v[70:71], v[214:215]
	s_waitcnt vmcnt(40)
	v_fmac_f64_e32 v[80:81], v[72:73], v[218:219]
	v_add_f64 v[82:83], v[78:79], v[80:81]
	ds_read_b128 v[78:81], v1 offset:1312
	s_waitcnt lgkmcnt(1)
	v_mul_f64 v[84:85], v[74:75], v[174:175]
	v_fmac_f64_e32 v[84:85], v[76:77], v[178:179]
	v_add_f64 v[86:87], v[82:83], v[84:85]
	ds_read_b128 v[82:85], v1 offset:1328
	s_waitcnt vmcnt(34) lgkmcnt(1)
	v_mul_f64 v[88:89], v[78:79], v[222:223]
	s_waitcnt vmcnt(32)
	v_fmac_f64_e32 v[88:89], v[80:81], v[224:225]
	v_add_f64 v[90:91], v[86:87], v[88:89]
	ds_read_b128 v[86:89], v1 offset:1344
	s_waitcnt lgkmcnt(1)
	v_mul_f64 v[92:93], v[82:83], v[182:183]
	v_fmac_f64_e32 v[92:93], v[84:85], v[186:187]
	v_add_f64 v[94:95], v[90:91], v[92:93]
	ds_read_b128 v[90:93], v1 offset:1360
	s_waitcnt vmcnt(26) lgkmcnt(1)
	v_mul_f64 v[96:97], v[86:87], v[226:227]
	s_waitcnt vmcnt(24)
	v_fmac_f64_e32 v[96:97], v[88:89], v[228:229]
	v_add_f64 v[98:99], v[94:95], v[96:97]
	ds_read_b128 v[94:97], v1 offset:1376
	s_waitcnt lgkmcnt(1)
	v_mul_f64 v[100:101], v[90:91], v[190:191]
	v_fmac_f64_e32 v[100:101], v[92:93], v[196:197]
	v_add_f64 v[192:193], v[98:99], v[100:101]
	ds_read_b128 v[98:101], v1 offset:1392
	ds_read_b128 v[102:105], v1 offset:1408
	;; [unrolled: 1-line block ×3, first 2 shown]
	buffer_load_dword v252, off, s[0:3], 0 offset:248
	buffer_load_dword v253, off, s[0:3], 0 offset:252
	s_waitcnt vmcnt(20) lgkmcnt(3)
	v_mul_f64 v[202:203], v[94:95], v[232:233]
	s_waitcnt vmcnt(18)
	v_fmac_f64_e32 v[202:203], v[96:97], v[236:237]
	v_add_f64 v[192:193], v[192:193], v[202:203]
	s_waitcnt lgkmcnt(2)
	v_mul_f64 v[202:203], v[98:99], v[200:201]
	v_fmac_f64_e32 v[202:203], v[100:101], v[212:213]
	v_add_f64 v[192:193], v[192:193], v[202:203]
	s_waitcnt vmcnt(12) lgkmcnt(1)
	v_mul_f64 v[202:203], v[102:103], v[238:239]
	s_waitcnt vmcnt(10)
	v_fmac_f64_e32 v[202:203], v[104:105], v[240:241]
	v_add_f64 v[192:193], v[192:193], v[202:203]
	v_mul_f64 v[202:203], v[110:111], v[216:217]
	v_fmac_f64_e32 v[202:203], v[112:113], v[220:221]
	v_add_f64 v[192:193], v[192:193], v[202:203]
	s_waitcnt vmcnt(4)
	v_mul_f64 v[202:203], v[106:107], v[242:243]
	v_mul_f64 v[32:33], v[32:33], v[118:119]
	s_waitcnt vmcnt(2)
	v_fmac_f64_e32 v[202:203], v[108:109], v[244:245]
	v_add_f64 v[192:193], v[192:193], v[202:203]
	s_waitcnt lgkmcnt(0)
	v_mul_f64 v[202:203], v[114:115], v[230:231]
	v_fmac_f64_e32 v[202:203], v[116:117], v[234:235]
	v_add_f64 v[246:247], v[192:193], v[202:203]
	v_add_f64 v[192:193], v[248:249], 0
	;; [unrolled: 1-line block ×3, first 2 shown]
	v_fma_f64 v[30:31], v[30:31], v[152:153], -v[32:33]
	v_mul_f64 v[28:29], v[28:29], v[124:125]
	v_add_f64 v[30:31], v[192:193], v[30:31]
	v_fma_f64 v[26:27], v[26:27], v[150:151], -v[28:29]
	v_add_f64 v[26:27], v[30:31], v[26:27]
	v_mul_f64 v[20:21], v[20:21], v[130:131]
	v_add_f64 v[22:23], v[26:27], v[22:23]
	v_fma_f64 v[18:19], v[18:19], v[148:149], -v[20:21]
	v_add_f64 v[18:19], v[22:23], v[18:19]
	;; [unrolled: 4-line block ×3, first 2 shown]
	v_mul_f64 v[4:5], v[4:5], v[136:137]
	v_add_f64 v[6:7], v[10:11], v[6:7]
	v_fma_f64 v[2:3], v[2:3], v[144:145], -v[4:5]
	v_mul_f64 v[4:5], v[40:41], v[142:143]
	v_add_f64 v[2:3], v[6:7], v[2:3]
	v_fma_f64 v[4:5], v[38:39], v[154:155], -v[4:5]
	v_add_f64 v[2:3], v[2:3], v[4:5]
	v_mul_f64 v[4:5], v[36:37], v[172:173]
	v_fma_f64 v[4:5], v[34:35], v[176:177], -v[4:5]
	v_add_f64 v[2:3], v[2:3], v[4:5]
	v_mul_f64 v[4:5], v[44:45], v[156:157]
	;; [unrolled: 3-line block ×20, first 2 shown]
	v_fma_f64 v[4:5], v[114:115], v[234:235], -v[4:5]
	v_add_f64 v[2:3], v[2:3], v[4:5]
	v_add_f64 v[2:3], v[138:139], -v[2:3]
	s_waitcnt vmcnt(0)
	v_add_f64 v[4:5], v[252:253], -v[246:247]
	buffer_store_dword v3, off, s[0:3], 0 offset:244
	buffer_store_dword v2, off, s[0:3], 0 offset:240
	;; [unrolled: 1-line block ×4, first 2 shown]
	s_and_saveexec_b64 s[4:5], vcc
	s_cbranch_execz .LBB45_263
; %bb.262:
	v_accvgpr_read_b32 v0, a124
	buffer_load_dword v2, v0, s[0:3], 0 offen
	buffer_load_dword v3, v0, s[0:3], 0 offen offset:4
	buffer_load_dword v4, v0, s[0:3], 0 offen offset:8
	;; [unrolled: 1-line block ×3, first 2 shown]
	v_accvgpr_read_b32 v0, a138
	buffer_store_dword v1, off, s[0:3], 0 offset:224
	buffer_store_dword v1, off, s[0:3], 0 offset:228
	;; [unrolled: 1-line block ×4, first 2 shown]
	s_waitcnt vmcnt(4)
	ds_write_b128 v0, v[2:5]
.LBB45_263:
	s_or_b64 exec, exec, s[4:5]
	s_waitcnt lgkmcnt(0)
	; wave barrier
	s_waitcnt lgkmcnt(0)
	buffer_load_dword v112, off, s[0:3], 0 offset:240
	buffer_load_dword v113, off, s[0:3], 0 offset:244
	;; [unrolled: 1-line block ×36, first 2 shown]
	ds_read_b128 v[102:105], v1 offset:960
	ds_read_b128 v[106:109], v1 offset:976
	;; [unrolled: 1-line block ×9, first 2 shown]
	buffer_load_dword v143, off, s[0:3], 0 offset:412
	buffer_load_dword v142, off, s[0:3], 0 offset:408
	;; [unrolled: 1-line block ×78, first 2 shown]
	v_accvgpr_read_b32 v208, a137
	v_cmp_lt_u32_e32 vcc, 12, v208
	s_waitcnt vmcnt(62) lgkmcnt(8)
	v_mul_f64 v[26:27], v[102:103], v[246:247]
	v_fmac_f64_e32 v[26:27], v[104:105], v[112:113]
	v_add_f64 v[26:27], v[26:27], 0
	v_mul_f64 v[104:105], v[104:105], v[246:247]
	s_waitcnt lgkmcnt(7)
	v_mul_f64 v[28:29], v[106:107], v[248:249]
	v_fmac_f64_e32 v[28:29], v[108:109], v[110:111]
	s_waitcnt lgkmcnt(6)
	v_mul_f64 v[30:31], v[114:115], v[244:245]
	v_add_f64 v[26:27], v[26:27], v[28:29]
	s_waitcnt lgkmcnt(4)
	v_mul_f64 v[34:35], v[18:19], v[118:119]
	v_fma_f64 v[246:247], v[102:103], v[112:113], -v[104:105]
	v_fmac_f64_e32 v[34:35], v[20:21], v[120:121]
	v_mul_f64 v[108:109], v[108:109], v[248:249]
	v_mul_f64 v[32:33], v[22:23], v[122:123]
	v_fma_f64 v[248:249], v[106:107], v[110:111], -v[108:109]
	s_waitcnt lgkmcnt(2)
	v_mul_f64 v[38:39], v[10:11], v[124:125]
	v_mul_f64 v[20:21], v[20:21], v[118:119]
	v_fmac_f64_e32 v[38:39], v[12:13], v[126:127]
	v_fma_f64 v[18:19], v[18:19], v[120:121], -v[20:21]
	v_mul_f64 v[36:37], v[14:15], v[130:131]
	v_mul_f64 v[12:13], v[12:13], v[124:125]
	s_waitcnt lgkmcnt(1)
	v_mul_f64 v[40:41], v[6:7], v[128:129]
	v_fma_f64 v[10:11], v[10:11], v[126:127], -v[12:13]
	v_fmac_f64_e32 v[30:31], v[116:117], v[250:251]
	v_add_f64 v[26:27], v[26:27], v[30:31]
	v_fmac_f64_e32 v[32:33], v[24:25], v[138:139]
	v_add_f64 v[26:27], v[26:27], v[32:33]
	;; [unrolled: 2-line block ×3, first 2 shown]
	v_add_f64 v[26:27], v[26:27], v[36:37]
	v_fmac_f64_e32 v[40:41], v[8:9], v[134:135]
	v_add_f64 v[30:31], v[26:27], v[38:39]
	v_add_f64 v[30:31], v[30:31], v[40:41]
	s_waitcnt lgkmcnt(0)
	v_mul_f64 v[32:33], v[2:3], v[132:133]
	v_fmac_f64_e32 v[32:33], v[4:5], v[140:141]
	ds_read_b128 v[26:29], v1 offset:1104
	v_add_f64 v[34:35], v[30:31], v[32:33]
	ds_read_b128 v[30:33], v1 offset:1120
	buffer_load_dword v231, off, s[0:3], 0 offset:676
	buffer_load_dword v230, off, s[0:3], 0 offset:672
	v_mul_f64 v[116:117], v[116:117], v[244:245]
	s_waitcnt lgkmcnt(1)
	v_mul_f64 v[36:37], v[26:27], v[146:147]
	v_fmac_f64_e32 v[36:37], v[28:29], v[148:149]
	v_add_f64 v[38:39], v[34:35], v[36:37]
	ds_read_b128 v[34:37], v1 offset:1136
	s_waitcnt lgkmcnt(1)
	v_mul_f64 v[40:41], v[30:31], v[142:143]
	v_fmac_f64_e32 v[40:41], v[32:33], v[144:145]
	v_add_f64 v[42:43], v[38:39], v[40:41]
	ds_read_b128 v[38:41], v1 offset:1152
	;; [unrolled: 5-line block ×4, first 2 shown]
	buffer_load_dword v233, off, s[0:3], 0 offset:732
	buffer_load_dword v235, off, s[0:3], 0 offset:716
	;; [unrolled: 1-line block ×12, first 2 shown]
	s_waitcnt vmcnt(62) lgkmcnt(1)
	v_mul_f64 v[52:53], v[42:43], v[174:175]
	v_fmac_f64_e32 v[52:53], v[44:45], v[178:179]
	v_add_f64 v[54:55], v[50:51], v[52:53]
	ds_read_b128 v[50:53], v1 offset:1200
	s_waitcnt lgkmcnt(1)
	v_mul_f64 v[56:57], v[46:47], v[154:155]
	v_fmac_f64_e32 v[56:57], v[48:49], v[156:157]
	v_add_f64 v[58:59], v[54:55], v[56:57]
	ds_read_b128 v[54:57], v1 offset:1216
	s_waitcnt lgkmcnt(1)
	v_mul_f64 v[60:61], v[50:51], v[182:183]
	s_waitcnt vmcnt(60)
	v_fmac_f64_e32 v[60:61], v[52:53], v[186:187]
	v_add_f64 v[62:63], v[58:59], v[60:61]
	ds_read_b128 v[58:61], v1 offset:1232
	s_waitcnt lgkmcnt(1)
	v_mul_f64 v[64:65], v[54:55], v[162:163]
	v_fmac_f64_e32 v[64:65], v[56:57], v[164:165]
	v_add_f64 v[66:67], v[62:63], v[64:65]
	ds_read_b128 v[62:65], v1 offset:1248
	s_waitcnt vmcnt(54) lgkmcnt(1)
	v_mul_f64 v[68:69], v[58:59], v[190:191]
	s_waitcnt vmcnt(52)
	v_fmac_f64_e32 v[68:69], v[60:61], v[196:197]
	v_add_f64 v[70:71], v[66:67], v[68:69]
	ds_read_b128 v[66:69], v1 offset:1264
	s_waitcnt lgkmcnt(1)
	v_mul_f64 v[72:73], v[62:63], v[166:167]
	v_fmac_f64_e32 v[72:73], v[64:65], v[168:169]
	v_add_f64 v[74:75], v[70:71], v[72:73]
	ds_read_b128 v[70:73], v1 offset:1280
	s_waitcnt vmcnt(46) lgkmcnt(1)
	;; [unrolled: 11-line block ×4, first 2 shown]
	v_mul_f64 v[92:93], v[82:83], v[220:221]
	s_waitcnt vmcnt(28)
	v_fmac_f64_e32 v[92:93], v[84:85], v[222:223]
	v_add_f64 v[98:99], v[90:91], v[92:93]
	ds_read_b128 v[90:93], v1 offset:1360
	ds_read_b128 v[94:97], v1 offset:1376
	s_waitcnt lgkmcnt(2)
	v_mul_f64 v[100:101], v[86:87], v[184:185]
	v_fmac_f64_e32 v[100:101], v[88:89], v[188:189]
	v_add_f64 v[98:99], v[98:99], v[100:101]
	s_waitcnt vmcnt(22) lgkmcnt(1)
	v_mul_f64 v[100:101], v[90:91], v[224:225]
	s_waitcnt vmcnt(20)
	v_fmac_f64_e32 v[100:101], v[92:93], v[226:227]
	v_add_f64 v[98:99], v[98:99], v[100:101]
	s_waitcnt lgkmcnt(0)
	v_mul_f64 v[100:101], v[94:95], v[194:195]
	v_fmac_f64_e32 v[100:101], v[96:97], v[198:199]
	v_add_f64 v[192:193], v[98:99], v[100:101]
	ds_read_b128 v[98:101], v1 offset:1392
	ds_read_b128 v[102:105], v1 offset:1408
	;; [unrolled: 1-line block ×3, first 2 shown]
	v_fma_f64 v[250:251], v[114:115], v[250:251], -v[116:117]
	ds_read_b128 v[114:117], v1 offset:1456
	s_waitcnt vmcnt(14) lgkmcnt(3)
	v_mul_f64 v[112:113], v[98:99], v[228:229]
	s_waitcnt lgkmcnt(2)
	v_mul_f64 v[110:111], v[102:103], v[210:211]
	s_waitcnt vmcnt(12)
	v_fmac_f64_e32 v[112:113], v[100:101], v[230:231]
	v_add_f64 v[112:113], v[192:193], v[112:113]
	v_fmac_f64_e32 v[110:111], v[104:105], v[214:215]
	v_add_f64 v[192:193], v[112:113], v[110:111]
	ds_read_b128 v[110:113], v1 offset:1440
	buffer_load_dword v254, off, s[0:3], 0 offset:224
	buffer_load_dword v255, off, s[0:3], 0 offset:228
	;; [unrolled: 1-line block ×4, first 2 shown]
	v_mul_f64 v[24:25], v[24:25], v[122:123]
	v_fma_f64 v[22:23], v[22:23], v[138:139], -v[24:25]
	v_mul_f64 v[16:17], v[16:17], v[130:131]
	s_waitcnt vmcnt(13) lgkmcnt(2)
	v_mul_f64 v[202:203], v[106:107], v[234:235]
	v_fma_f64 v[14:15], v[14:15], v[136:137], -v[16:17]
	s_waitcnt vmcnt(11)
	v_fmac_f64_e32 v[202:203], v[108:109], v[240:241]
	v_add_f64 v[192:193], v[192:193], v[202:203]
	s_waitcnt vmcnt(10) lgkmcnt(0)
	v_mul_f64 v[202:203], v[110:111], v[232:233]
	s_waitcnt vmcnt(8)
	v_fmac_f64_e32 v[202:203], v[112:113], v[238:239]
	v_add_f64 v[192:193], v[192:193], v[202:203]
	s_waitcnt vmcnt(6)
	v_mul_f64 v[202:203], v[114:115], v[236:237]
	v_mul_f64 v[8:9], v[8:9], v[128:129]
	s_waitcnt vmcnt(4)
	v_fmac_f64_e32 v[202:203], v[116:117], v[242:243]
	v_add_f64 v[244:245], v[192:193], v[202:203]
	v_add_f64 v[192:193], v[246:247], 0
	;; [unrolled: 1-line block ×8, first 2 shown]
	v_fma_f64 v[6:7], v[6:7], v[134:135], -v[8:9]
	v_mul_f64 v[4:5], v[4:5], v[132:133]
	v_add_f64 v[6:7], v[10:11], v[6:7]
	v_fma_f64 v[2:3], v[2:3], v[140:141], -v[4:5]
	v_mul_f64 v[4:5], v[28:29], v[146:147]
	v_add_f64 v[2:3], v[6:7], v[2:3]
	v_fma_f64 v[4:5], v[26:27], v[148:149], -v[4:5]
	v_add_f64 v[2:3], v[2:3], v[4:5]
	v_mul_f64 v[4:5], v[32:33], v[142:143]
	v_fma_f64 v[4:5], v[30:31], v[144:145], -v[4:5]
	v_add_f64 v[2:3], v[2:3], v[4:5]
	v_mul_f64 v[4:5], v[36:37], v[158:159]
	;; [unrolled: 3-line block ×22, first 2 shown]
	v_fma_f64 v[4:5], v[114:115], v[242:243], -v[4:5]
	v_add_f64 v[2:3], v[2:3], v[4:5]
	s_waitcnt vmcnt(2)
	v_add_f64 v[2:3], v[254:255], -v[2:3]
	s_waitcnt vmcnt(0)
	v_add_f64 v[4:5], v[252:253], -v[244:245]
	buffer_store_dword v3, off, s[0:3], 0 offset:228
	buffer_store_dword v2, off, s[0:3], 0 offset:224
	;; [unrolled: 1-line block ×4, first 2 shown]
	s_and_saveexec_b64 s[4:5], vcc
	s_cbranch_execz .LBB45_265
; %bb.264:
	v_accvgpr_read_b32 v0, a125
	buffer_load_dword v2, v0, s[0:3], 0 offen
	buffer_load_dword v3, v0, s[0:3], 0 offen offset:4
	buffer_load_dword v4, v0, s[0:3], 0 offen offset:8
	;; [unrolled: 1-line block ×3, first 2 shown]
	v_mov_b32_e32 v0, 0
	v_accvgpr_read_b32 v1, a138
	buffer_store_dword v0, off, s[0:3], 0 offset:208
	buffer_store_dword v0, off, s[0:3], 0 offset:212
	;; [unrolled: 1-line block ×4, first 2 shown]
	s_waitcnt vmcnt(4)
	ds_write_b128 v1, v[2:5]
.LBB45_265:
	s_or_b64 exec, exec, s[4:5]
	s_waitcnt lgkmcnt(0)
	; wave barrier
	s_waitcnt lgkmcnt(0)
	buffer_load_dword v94, off, s[0:3], 0 offset:224
	buffer_load_dword v95, off, s[0:3], 0 offset:228
	;; [unrolled: 1-line block ×52, first 2 shown]
	v_mov_b32_e32 v1, 0
	ds_read_b128 v[102:105], v1 offset:944
	ds_read_b128 v[114:117], v1 offset:960
	;; [unrolled: 1-line block ×10, first 2 shown]
	v_cmp_lt_u32_e32 vcc, 11, v208
	s_waitcnt vmcnt(48) lgkmcnt(9)
	v_mul_f64 v[26:27], v[102:103], v[96:97]
	v_fmac_f64_e32 v[26:27], v[104:105], v[94:95]
	v_add_f64 v[26:27], v[26:27], 0
	v_mul_f64 v[96:97], v[104:105], v[96:97]
	s_waitcnt vmcnt(44) lgkmcnt(8)
	v_mul_f64 v[28:29], v[114:115], v[100:101]
	v_fmac_f64_e32 v[28:29], v[116:117], v[98:99]
	s_waitcnt vmcnt(42) lgkmcnt(7)
	v_mul_f64 v[30:31], v[244:245], v[106:107]
	v_add_f64 v[26:27], v[26:27], v[28:29]
	s_waitcnt vmcnt(40) lgkmcnt(5)
	v_mul_f64 v[34:35], v[22:23], v[120:121]
	v_fma_f64 v[202:203], v[102:103], v[94:95], -v[96:97]
	s_waitcnt vmcnt(38)
	v_fmac_f64_e32 v[34:35], v[24:25], v[124:125]
	v_mul_f64 v[100:101], v[116:117], v[100:101]
	s_waitcnt vmcnt(36)
	v_mul_f64 v[32:33], v[250:251], v[110:111]
	v_fma_f64 v[204:205], v[114:115], v[98:99], -v[100:101]
	s_waitcnt vmcnt(34) lgkmcnt(3)
	v_mul_f64 v[38:39], v[14:15], v[118:119]
	v_mul_f64 v[106:107], v[246:247], v[106:107]
	s_waitcnt vmcnt(32)
	v_fmac_f64_e32 v[38:39], v[16:17], v[122:123]
	v_mul_f64 v[110:111], v[252:253], v[110:111]
	s_waitcnt vmcnt(30)
	v_mul_f64 v[36:37], v[18:19], v[130:131]
	v_mul_f64 v[24:25], v[24:25], v[120:121]
	v_fma_f64 v[22:23], v[22:23], v[124:125], -v[24:25]
	s_waitcnt vmcnt(27) lgkmcnt(2)
	v_mul_f64 v[40:41], v[10:11], v[128:129]
	s_waitcnt vmcnt(26) lgkmcnt(1)
	v_mul_f64 v[42:43], v[6:7], v[126:127]
	v_mul_f64 v[16:17], v[16:17], v[118:119]
	s_waitcnt vmcnt(24)
	v_fmac_f64_e32 v[30:31], v[246:247], v[108:109]
	v_add_f64 v[26:27], v[26:27], v[30:31]
	s_waitcnt vmcnt(22)
	v_fmac_f64_e32 v[32:33], v[252:253], v[112:113]
	v_add_f64 v[26:27], v[26:27], v[32:33]
	;; [unrolled: 3-line block ×3, first 2 shown]
	v_add_f64 v[26:27], v[26:27], v[36:37]
	s_waitcnt vmcnt(18)
	v_fmac_f64_e32 v[40:41], v[12:13], v[132:133]
	v_add_f64 v[26:27], v[26:27], v[38:39]
	v_add_f64 v[26:27], v[26:27], v[40:41]
	s_waitcnt vmcnt(16)
	v_fmac_f64_e32 v[42:43], v[8:9], v[138:139]
	v_add_f64 v[34:35], v[26:27], v[42:43]
	ds_read_b128 v[26:29], v1 offset:1104
	ds_read_b128 v[30:33], v1 offset:1120
	buffer_load_dword v155, off, s[0:3], 0 offset:460
	buffer_load_dword v154, off, s[0:3], 0 offset:456
	;; [unrolled: 1-line block ×56, first 2 shown]
	s_waitcnt vmcnt(62) lgkmcnt(2)
	v_mul_f64 v[36:37], v[2:3], v[142:143]
	v_fmac_f64_e32 v[36:37], v[4:5], v[144:145]
	v_add_f64 v[34:35], v[34:35], v[36:37]
	s_waitcnt lgkmcnt(1)
	v_mul_f64 v[36:37], v[26:27], v[136:137]
	v_fmac_f64_e32 v[36:37], v[28:29], v[140:141]
	v_add_f64 v[34:35], v[34:35], v[36:37]
	s_waitcnt lgkmcnt(0)
	v_mul_f64 v[36:37], v[30:31], v[146:147]
	s_waitcnt vmcnt(60)
	v_fmac_f64_e32 v[36:37], v[32:33], v[150:151]
	v_add_f64 v[42:43], v[34:35], v[36:37]
	ds_read_b128 v[34:37], v1 offset:1136
	buffer_load_dword v201, off, s[0:3], 0 offset:684
	buffer_load_dword v200, off, s[0:3], 0 offset:680
	buffer_load_dword v213, off, s[0:3], 0 offset:676
	buffer_load_dword v212, off, s[0:3], 0 offset:672
	buffer_load_dword v229, off, s[0:3], 0 offset:668
	buffer_load_dword v228, off, s[0:3], 0 offset:664
	buffer_load_dword v233, off, s[0:3], 0 offset:660
	buffer_load_dword v232, off, s[0:3], 0 offset:656
	buffer_load_dword v217, off, s[0:3], 0 offset:716
	buffer_load_dword v216, off, s[0:3], 0 offset:712
	buffer_load_dword v221, off, s[0:3], 0 offset:708
	buffer_load_dword v220, off, s[0:3], 0 offset:704
	buffer_load_dword v237, off, s[0:3], 0 offset:700
	buffer_load_dword v236, off, s[0:3], 0 offset:696
	buffer_load_dword v239, off, s[0:3], 0 offset:692
	buffer_load_dword v238, off, s[0:3], 0 offset:688
	ds_read_b128 v[38:41], v1 offset:1152
	buffer_load_dword v231, off, s[0:3], 0 offset:748
	buffer_load_dword v230, off, s[0:3], 0 offset:744
	;; [unrolled: 1-line block ×8, first 2 shown]
	ds_read_b128 v[98:101], v1 offset:1392
	s_waitcnt vmcnt(62) lgkmcnt(2)
	v_mul_f64 v[44:45], v[34:35], v[148:149]
	v_fmac_f64_e32 v[44:45], v[36:37], v[152:153]
	v_add_f64 v[46:47], v[42:43], v[44:45]
	ds_read_b128 v[42:45], v1 offset:1168
	v_fma_f64 v[248:249], v[244:245], v[108:109], -v[106:107]
	ds_read_b128 v[106:109], v1 offset:1424
	v_fma_f64 v[246:247], v[250:251], v[112:113], -v[110:111]
	v_mul_f64 v[20:21], v[20:21], v[130:131]
	v_fma_f64 v[18:19], v[18:19], v[134:135], -v[20:21]
	v_fma_f64 v[14:15], v[14:15], v[122:123], -v[16:17]
	v_mul_f64 v[12:13], v[12:13], v[128:129]
	v_fma_f64 v[10:11], v[10:11], v[132:133], -v[12:13]
	v_mul_f64 v[8:9], v[8:9], v[126:127]
	;; [unrolled: 2-line block ×3, first 2 shown]
	s_waitcnt lgkmcnt(3)
	v_mul_f64 v[48:49], v[38:39], v[170:171]
	v_fma_f64 v[2:3], v[2:3], v[144:145], -v[4:5]
	v_fmac_f64_e32 v[48:49], v[40:41], v[174:175]
	v_add_f64 v[50:51], v[46:47], v[48:49]
	ds_read_b128 v[46:49], v1 offset:1184
	s_waitcnt lgkmcnt(2)
	v_mul_f64 v[52:53], v[42:43], v[154:155]
	v_fmac_f64_e32 v[52:53], v[44:45], v[156:157]
	v_add_f64 v[54:55], v[50:51], v[52:53]
	ds_read_b128 v[50:53], v1 offset:1200
	s_waitcnt lgkmcnt(1)
	v_mul_f64 v[56:57], v[46:47], v[178:179]
	;; [unrolled: 5-line block ×3, first 2 shown]
	v_fmac_f64_e32 v[60:61], v[52:53], v[160:161]
	v_add_f64 v[62:63], v[58:59], v[60:61]
	ds_read_b128 v[58:61], v1 offset:1232
	s_waitcnt vmcnt(58) lgkmcnt(1)
	v_mul_f64 v[64:65], v[54:55], v[186:187]
	s_waitcnt vmcnt(56)
	v_fmac_f64_e32 v[64:65], v[56:57], v[190:191]
	v_add_f64 v[66:67], v[62:63], v[64:65]
	ds_read_b128 v[62:65], v1 offset:1248
	s_waitcnt lgkmcnt(1)
	v_mul_f64 v[68:69], v[58:59], v[162:163]
	v_fmac_f64_e32 v[68:69], v[60:61], v[164:165]
	v_add_f64 v[70:71], v[66:67], v[68:69]
	ds_read_b128 v[66:69], v1 offset:1264
	s_waitcnt vmcnt(50) lgkmcnt(1)
	v_mul_f64 v[72:73], v[62:63], v[196:197]
	s_waitcnt vmcnt(48)
	v_fmac_f64_e32 v[72:73], v[64:65], v[198:199]
	v_add_f64 v[74:75], v[70:71], v[72:73]
	ds_read_b128 v[70:73], v1 offset:1280
	s_waitcnt lgkmcnt(1)
	v_mul_f64 v[76:77], v[66:67], v[166:167]
	;; [unrolled: 11-line block ×3, first 2 shown]
	v_fmac_f64_e32 v[84:85], v[76:77], v[176:177]
	v_add_f64 v[90:91], v[82:83], v[84:85]
	ds_read_b128 v[82:85], v1 offset:1328
	ds_read_b128 v[86:89], v1 offset:1344
	s_waitcnt vmcnt(34) lgkmcnt(2)
	v_mul_f64 v[92:93], v[78:79], v[218:219]
	s_waitcnt vmcnt(32)
	v_fmac_f64_e32 v[92:93], v[80:81], v[224:225]
	v_add_f64 v[90:91], v[90:91], v[92:93]
	s_waitcnt lgkmcnt(1)
	v_mul_f64 v[92:93], v[82:83], v[180:181]
	v_fmac_f64_e32 v[92:93], v[84:85], v[184:185]
	v_add_f64 v[90:91], v[90:91], v[92:93]
	s_waitcnt vmcnt(27) lgkmcnt(0)
	v_mul_f64 v[92:93], v[86:87], v[222:223]
	s_waitcnt vmcnt(25)
	v_fmac_f64_e32 v[92:93], v[88:89], v[226:227]
	v_add_f64 v[192:193], v[90:91], v[92:93]
	ds_read_b128 v[90:93], v1 offset:1360
	ds_read_b128 v[94:97], v1 offset:1376
	;; [unrolled: 1-line block ×3, first 2 shown]
	v_mul_f64 v[4:5], v[28:29], v[136:137]
	v_fma_f64 v[4:5], v[26:27], v[140:141], -v[4:5]
	s_waitcnt lgkmcnt(2)
	v_mul_f64 v[102:103], v[90:91], v[188:189]
	s_waitcnt vmcnt(24)
	v_fmac_f64_e32 v[102:103], v[92:93], v[194:195]
	s_waitcnt vmcnt(18) lgkmcnt(1)
	v_mul_f64 v[104:105], v[94:95], v[228:229]
	v_add_f64 v[102:103], v[192:193], v[102:103]
	s_waitcnt vmcnt(16)
	v_fmac_f64_e32 v[104:105], v[96:97], v[232:233]
	v_add_f64 v[102:103], v[102:103], v[104:105]
	v_mul_f64 v[104:105], v[98:99], v[200:201]
	v_fmac_f64_e32 v[104:105], v[100:101], v[212:213]
	v_add_f64 v[114:115], v[102:103], v[104:105]
	ds_read_b128 v[102:105], v1 offset:1408
	s_waitcnt vmcnt(10) lgkmcnt(0)
	v_mul_f64 v[116:117], v[102:103], v[236:237]
	s_waitcnt vmcnt(8)
	v_fmac_f64_e32 v[116:117], v[104:105], v[238:239]
	v_add_f64 v[114:115], v[114:115], v[116:117]
	v_mul_f64 v[116:117], v[106:107], v[216:217]
	v_fmac_f64_e32 v[116:117], v[108:109], v[220:221]
	v_add_f64 v[114:115], v[114:115], v[116:117]
	s_waitcnt vmcnt(2)
	v_mul_f64 v[116:117], v[110:111], v[240:241]
	s_waitcnt vmcnt(0)
	v_fmac_f64_e32 v[116:117], v[112:113], v[242:243]
	v_add_f64 v[192:193], v[114:115], v[116:117]
	ds_read_b128 v[114:117], v1 offset:1456
	buffer_load_dword v252, off, s[0:3], 0 offset:208
	buffer_load_dword v253, off, s[0:3], 0 offset:212
	s_waitcnt lgkmcnt(0)
	v_mul_f64 v[206:207], v[114:115], v[230:231]
	v_fmac_f64_e32 v[206:207], v[116:117], v[234:235]
	v_add_f64 v[244:245], v[192:193], v[206:207]
	v_add_f64 v[192:193], v[202:203], 0
	v_add_f64 v[250:251], v[192:193], v[204:205]
	v_add_f64 v[192:193], v[250:251], v[248:249]
	buffer_load_dword v248, off, s[0:3], 0 offset:216
	buffer_load_dword v249, off, s[0:3], 0 offset:220
	v_add_f64 v[192:193], v[192:193], v[246:247]
	v_add_f64 v[22:23], v[192:193], v[22:23]
	;; [unrolled: 1-line block ×8, first 2 shown]
	v_mul_f64 v[4:5], v[32:33], v[146:147]
	v_fma_f64 v[4:5], v[30:31], v[150:151], -v[4:5]
	v_add_f64 v[2:3], v[2:3], v[4:5]
	v_mul_f64 v[4:5], v[36:37], v[148:149]
	v_fma_f64 v[4:5], v[34:35], v[152:153], -v[4:5]
	v_add_f64 v[2:3], v[2:3], v[4:5]
	;; [unrolled: 3-line block ×22, first 2 shown]
	s_waitcnt vmcnt(2)
	v_add_f64 v[2:3], v[252:253], -v[2:3]
	s_waitcnt vmcnt(0)
	v_add_f64 v[4:5], v[248:249], -v[244:245]
	buffer_store_dword v3, off, s[0:3], 0 offset:212
	buffer_store_dword v2, off, s[0:3], 0 offset:208
	;; [unrolled: 1-line block ×4, first 2 shown]
	s_and_saveexec_b64 s[4:5], vcc
	s_cbranch_execz .LBB45_267
; %bb.266:
	v_accvgpr_read_b32 v0, a126
	buffer_load_dword v2, v0, s[0:3], 0 offen
	buffer_load_dword v3, v0, s[0:3], 0 offen offset:4
	buffer_load_dword v4, v0, s[0:3], 0 offen offset:8
	buffer_load_dword v5, v0, s[0:3], 0 offen offset:12
	v_accvgpr_read_b32 v0, a138
	buffer_store_dword v1, off, s[0:3], 0 offset:192
	buffer_store_dword v1, off, s[0:3], 0 offset:196
	;; [unrolled: 1-line block ×4, first 2 shown]
	s_waitcnt vmcnt(4)
	ds_write_b128 v0, v[2:5]
.LBB45_267:
	s_or_b64 exec, exec, s[4:5]
	s_waitcnt lgkmcnt(0)
	; wave barrier
	s_waitcnt lgkmcnt(0)
	buffer_load_dword v86, off, s[0:3], 0 offset:208
	buffer_load_dword v87, off, s[0:3], 0 offset:212
	buffer_load_dword v88, off, s[0:3], 0 offset:216
	buffer_load_dword v89, off, s[0:3], 0 offset:220
	buffer_load_dword v90, off, s[0:3], 0 offset:224
	buffer_load_dword v91, off, s[0:3], 0 offset:228
	buffer_load_dword v92, off, s[0:3], 0 offset:232
	buffer_load_dword v93, off, s[0:3], 0 offset:236
	buffer_load_dword v98, off, s[0:3], 0 offset:248
	buffer_load_dword v99, off, s[0:3], 0 offset:252
	buffer_load_dword v111, off, s[0:3], 0 offset:284
	buffer_load_dword v110, off, s[0:3], 0 offset:280
	buffer_load_dword v113, off, s[0:3], 0 offset:276
	buffer_load_dword v112, off, s[0:3], 0 offset:272
	buffer_load_dword v103, off, s[0:3], 0 offset:268
	buffer_load_dword v102, off, s[0:3], 0 offset:264
	buffer_load_dword v119, off, s[0:3], 0 offset:316
	buffer_load_dword v118, off, s[0:3], 0 offset:312
	buffer_load_dword v121, off, s[0:3], 0 offset:308
	buffer_load_dword v120, off, s[0:3], 0 offset:304
	buffer_load_dword v123, off, s[0:3], 0 offset:300
	buffer_load_dword v122, off, s[0:3], 0 offset:296
	buffer_load_dword v125, off, s[0:3], 0 offset:348
	buffer_load_dword v124, off, s[0:3], 0 offset:344
	buffer_load_dword v126, off, s[0:3], 0 offset:336
	buffer_load_dword v131, off, s[0:3], 0 offset:332
	buffer_load_dword v130, off, s[0:3], 0 offset:328
	buffer_load_dword v129, off, s[0:3], 0 offset:364
	buffer_load_dword v128, off, s[0:3], 0 offset:360
	buffer_load_dword v100, off, s[0:3], 0 offset:240
	buffer_load_dword v101, off, s[0:3], 0 offset:244
	buffer_load_dword v105, off, s[0:3], 0 offset:260
	buffer_load_dword v104, off, s[0:3], 0 offset:256
	buffer_load_dword v135, off, s[0:3], 0 offset:292
	buffer_load_dword v134, off, s[0:3], 0 offset:288
	buffer_load_dword v133, off, s[0:3], 0 offset:324
	buffer_load_dword v132, off, s[0:3], 0 offset:320
	buffer_load_dword v127, off, s[0:3], 0 offset:340
	buffer_load_dword v136, off, s[0:3], 0 offset:376
	buffer_load_dword v138, off, s[0:3], 0 offset:368
	buffer_load_dword v139, off, s[0:3], 0 offset:372
	buffer_load_dword v137, off, s[0:3], 0 offset:380
	ds_read_b128 v[94:97], v1 offset:928
	ds_read_b128 v[106:109], v1 offset:944
	;; [unrolled: 1-line block ×10, first 2 shown]
	buffer_load_dword v145, off, s[0:3], 0 offset:356
	buffer_load_dword v144, off, s[0:3], 0 offset:352
	ds_read_b128 v[6:9], v1 offset:1088
	buffer_load_dword v141, off, s[0:3], 0 offset:412
	buffer_load_dword v140, off, s[0:3], 0 offset:408
	;; [unrolled: 1-line block ×80, first 2 shown]
	s_waitcnt vmcnt(62) lgkmcnt(10)
	v_mul_f64 v[26:27], v[94:95], v[88:89]
	v_fmac_f64_e32 v[26:27], v[96:97], v[86:87]
	v_add_f64 v[26:27], v[26:27], 0
	v_mul_f64 v[88:89], v[96:97], v[88:89]
	s_waitcnt lgkmcnt(9)
	v_mul_f64 v[28:29], v[106:107], v[92:93]
	v_fmac_f64_e32 v[28:29], v[108:109], v[90:91]
	s_waitcnt lgkmcnt(8)
	v_mul_f64 v[30:31], v[114:115], v[98:99]
	v_add_f64 v[26:27], v[26:27], v[28:29]
	s_waitcnt lgkmcnt(6)
	v_mul_f64 v[34:35], v[248:249], v[110:111]
	v_fma_f64 v[202:203], v[94:95], v[86:87], -v[88:89]
	v_fmac_f64_e32 v[34:35], v[250:251], v[112:113]
	v_mul_f64 v[92:93], v[108:109], v[92:93]
	v_mul_f64 v[32:33], v[244:245], v[102:103]
	;; [unrolled: 1-line block ×3, first 2 shown]
	s_waitcnt lgkmcnt(4)
	v_mul_f64 v[38:39], v[18:19], v[118:119]
	v_mul_f64 v[102:103], v[246:247], v[102:103]
	v_fmac_f64_e32 v[38:39], v[20:21], v[120:121]
	v_mul_f64 v[110:111], v[250:251], v[110:111]
	v_mul_f64 v[36:37], v[22:23], v[122:123]
	v_fma_f64 v[248:249], v[248:249], v[112:113], -v[110:111]
	s_waitcnt lgkmcnt(2)
	v_mul_f64 v[42:43], v[10:11], v[124:125]
	v_add_f64 v[202:203], v[202:203], 0
	v_mul_f64 v[20:21], v[20:21], v[118:119]
	v_mul_f64 v[40:41], v[14:15], v[130:131]
	v_fma_f64 v[18:19], v[18:19], v[120:121], -v[20:21]
	s_waitcnt lgkmcnt(1)
	v_mul_f64 v[44:45], v[2:3], v[128:129]
	v_fmac_f64_e32 v[30:31], v[116:117], v[100:101]
	v_add_f64 v[26:27], v[26:27], v[30:31]
	v_fmac_f64_e32 v[32:33], v[246:247], v[104:105]
	v_add_f64 v[26:27], v[26:27], v[32:33]
	;; [unrolled: 2-line block ×3, first 2 shown]
	v_add_f64 v[26:27], v[26:27], v[36:37]
	v_fmac_f64_e32 v[40:41], v[16:17], v[132:133]
	v_add_f64 v[26:27], v[26:27], v[38:39]
	v_fmac_f64_e32 v[42:43], v[12:13], v[126:127]
	v_add_f64 v[26:27], v[26:27], v[40:41]
	v_add_f64 v[26:27], v[26:27], v[42:43]
	s_waitcnt lgkmcnt(0)
	v_mul_f64 v[32:33], v[6:7], v[136:137]
	v_fmac_f64_e32 v[44:45], v[4:5], v[144:145]
	v_add_f64 v[30:31], v[26:27], v[44:45]
	ds_read_b128 v[26:29], v1 offset:1104
	v_fmac_f64_e32 v[32:33], v[8:9], v[138:139]
	v_add_f64 v[34:35], v[30:31], v[32:33]
	ds_read_b128 v[30:33], v1 offset:1120
	v_fma_f64 v[204:205], v[114:115], v[100:101], -v[98:99]
	s_waitcnt lgkmcnt(1)
	v_mul_f64 v[36:37], v[26:27], v[146:147]
	v_fmac_f64_e32 v[36:37], v[28:29], v[162:163]
	v_add_f64 v[38:39], v[34:35], v[36:37]
	ds_read_b128 v[34:37], v1 offset:1136
	s_waitcnt lgkmcnt(1)
	v_mul_f64 v[40:41], v[30:31], v[140:141]
	v_fmac_f64_e32 v[40:41], v[32:33], v[142:143]
	v_add_f64 v[42:43], v[38:39], v[40:41]
	ds_read_b128 v[38:41], v1 offset:1152
	;; [unrolled: 5-line block ×4, first 2 shown]
	s_waitcnt vmcnt(58) lgkmcnt(1)
	v_mul_f64 v[52:53], v[42:43], v[174:175]
	s_waitcnt vmcnt(56)
	v_fmac_f64_e32 v[52:53], v[44:45], v[178:179]
	v_add_f64 v[54:55], v[50:51], v[52:53]
	ds_read_b128 v[50:53], v1 offset:1200
	buffer_load_dword v232, off, s[0:3], 0 offset:728
	buffer_load_dword v237, off, s[0:3], 0 offset:716
	;; [unrolled: 1-line block ×8, first 2 shown]
	s_waitcnt lgkmcnt(1)
	v_mul_f64 v[56:57], v[46:47], v[152:153]
	v_fmac_f64_e32 v[56:57], v[48:49], v[154:155]
	v_add_f64 v[58:59], v[54:55], v[56:57]
	ds_read_b128 v[54:57], v1 offset:1216
	s_waitcnt vmcnt(58) lgkmcnt(1)
	v_mul_f64 v[60:61], v[50:51], v[182:183]
	s_waitcnt vmcnt(56)
	v_fmac_f64_e32 v[60:61], v[52:53], v[186:187]
	buffer_load_dword v241, off, s[0:3], 0 offset:748
	buffer_load_dword v240, off, s[0:3], 0 offset:744
	buffer_load_dword v243, off, s[0:3], 0 offset:740
	buffer_load_dword v242, off, s[0:3], 0 offset:736
	v_add_f64 v[62:63], v[58:59], v[60:61]
	ds_read_b128 v[58:61], v1 offset:1232
	s_waitcnt lgkmcnt(1)
	v_mul_f64 v[64:65], v[54:55], v[156:157]
	v_fmac_f64_e32 v[64:65], v[56:57], v[158:159]
	v_add_f64 v[66:67], v[62:63], v[64:65]
	ds_read_b128 v[62:65], v1 offset:1248
	s_waitcnt vmcnt(54) lgkmcnt(1)
	v_mul_f64 v[68:69], v[58:59], v[190:191]
	s_waitcnt vmcnt(52)
	v_fmac_f64_e32 v[68:69], v[60:61], v[196:197]
	v_add_f64 v[70:71], v[66:67], v[68:69]
	ds_read_b128 v[66:69], v1 offset:1264
	s_waitcnt lgkmcnt(1)
	v_mul_f64 v[72:73], v[62:63], v[160:161]
	v_fmac_f64_e32 v[72:73], v[64:65], v[164:165]
	v_add_f64 v[74:75], v[70:71], v[72:73]
	ds_read_b128 v[70:73], v1 offset:1280
	s_waitcnt vmcnt(46) lgkmcnt(1)
	v_mul_f64 v[76:77], v[66:67], v[200:201]
	s_waitcnt vmcnt(44)
	v_fmac_f64_e32 v[76:77], v[68:69], v[212:213]
	v_add_f64 v[82:83], v[74:75], v[76:77]
	ds_read_b128 v[74:77], v1 offset:1296
	ds_read_b128 v[78:81], v1 offset:1312
	s_waitcnt lgkmcnt(2)
	v_mul_f64 v[84:85], v[70:71], v[168:169]
	v_fmac_f64_e32 v[84:85], v[72:73], v[172:173]
	v_add_f64 v[82:83], v[82:83], v[84:85]
	s_waitcnt vmcnt(38) lgkmcnt(1)
	v_mul_f64 v[84:85], v[74:75], v[216:217]
	s_waitcnt vmcnt(36)
	v_fmac_f64_e32 v[84:85], v[76:77], v[218:219]
	v_add_f64 v[82:83], v[82:83], v[84:85]
	s_waitcnt lgkmcnt(0)
	v_mul_f64 v[84:85], v[78:79], v[176:177]
	v_fmac_f64_e32 v[84:85], v[80:81], v[180:181]
	v_add_f64 v[192:193], v[82:83], v[84:85]
	ds_read_b128 v[82:85], v1 offset:1328
	ds_read_b128 v[86:89], v1 offset:1344
	;; [unrolled: 1-line block ×3, first 2 shown]
	v_fma_f64 v[246:247], v[244:245], v[104:105], -v[102:103]
	ds_read_b128 v[102:105], v1 offset:1424
	ds_read_b128 v[110:113], v1 offset:1440
	s_waitcnt vmcnt(30) lgkmcnt(4)
	v_mul_f64 v[94:95], v[82:83], v[220:221]
	s_waitcnt vmcnt(28)
	v_fmac_f64_e32 v[94:95], v[84:85], v[222:223]
	v_add_f64 v[94:95], v[192:193], v[94:95]
	v_fma_f64 v[192:193], v[106:107], v[90:91], -v[92:93]
	ds_read_b128 v[90:93], v1 offset:1360
	s_waitcnt lgkmcnt(4)
	v_mul_f64 v[96:97], v[86:87], v[184:185]
	v_fmac_f64_e32 v[96:97], v[88:89], v[188:189]
	v_add_f64 v[106:107], v[94:95], v[96:97]
	ds_read_b128 v[94:97], v1 offset:1376
	s_waitcnt vmcnt(22) lgkmcnt(1)
	v_mul_f64 v[108:109], v[90:91], v[224:225]
	s_waitcnt vmcnt(20)
	v_fmac_f64_e32 v[108:109], v[92:93], v[226:227]
	v_add_f64 v[106:107], v[106:107], v[108:109]
	v_add_f64 v[192:193], v[202:203], v[192:193]
	s_waitcnt lgkmcnt(0)
	v_mul_f64 v[108:109], v[94:95], v[194:195]
	v_fmac_f64_e32 v[108:109], v[96:97], v[198:199]
	v_add_f64 v[114:115], v[106:107], v[108:109]
	ds_read_b128 v[106:109], v1 offset:1408
	s_waitcnt vmcnt(14)
	v_mul_f64 v[116:117], v[98:99], v[228:229]
	s_waitcnt vmcnt(12)
	v_fmac_f64_e32 v[116:117], v[100:101], v[230:231]
	v_add_f64 v[114:115], v[114:115], v[116:117]
	v_add_f64 v[250:251], v[192:193], v[204:205]
	s_waitcnt lgkmcnt(0)
	v_mul_f64 v[116:117], v[106:107], v[210:211]
	v_fmac_f64_e32 v[116:117], v[108:109], v[214:215]
	v_add_f64 v[114:115], v[114:115], v[116:117]
	v_add_f64 v[192:193], v[250:251], v[246:247]
	v_mul_f64 v[24:25], v[24:25], v[122:123]
	v_add_f64 v[192:193], v[192:193], v[248:249]
	v_fma_f64 v[22:23], v[22:23], v[134:135], -v[24:25]
	v_add_f64 v[22:23], v[192:193], v[22:23]
	v_mul_f64 v[16:17], v[16:17], v[130:131]
	v_add_f64 v[18:19], v[22:23], v[18:19]
	v_fma_f64 v[14:15], v[14:15], v[132:133], -v[16:17]
	v_mul_f64 v[12:13], v[12:13], v[124:125]
	s_waitcnt vmcnt(9)
	v_mul_f64 v[116:117], v[102:103], v[236:237]
	v_add_f64 v[14:15], v[18:19], v[14:15]
	s_waitcnt vmcnt(7)
	v_fmac_f64_e32 v[116:117], v[104:105], v[238:239]
	v_add_f64 v[114:115], v[114:115], v[116:117]
	s_waitcnt vmcnt(5)
	v_mul_f64 v[116:117], v[110:111], v[232:233]
	s_waitcnt vmcnt(4)
	v_fmac_f64_e32 v[116:117], v[112:113], v[234:235]
	v_add_f64 v[206:207], v[114:115], v[116:117]
	ds_read_b128 v[114:117], v1 offset:1456
	buffer_load_dword v254, off, s[0:3], 0 offset:192
	buffer_load_dword v255, off, s[0:3], 0 offset:196
	;; [unrolled: 1-line block ×4, first 2 shown]
	v_fma_f64 v[10:11], v[10:11], v[126:127], -v[12:13]
	v_mul_f64 v[4:5], v[4:5], v[128:129]
	v_add_f64 v[10:11], v[14:15], v[10:11]
	v_fma_f64 v[2:3], v[2:3], v[144:145], -v[4:5]
	v_mul_f64 v[4:5], v[8:9], v[136:137]
	v_add_f64 v[2:3], v[10:11], v[2:3]
	v_fma_f64 v[4:5], v[6:7], v[138:139], -v[4:5]
	v_add_f64 v[2:3], v[2:3], v[4:5]
	v_mul_f64 v[4:5], v[28:29], v[146:147]
	v_fma_f64 v[4:5], v[26:27], v[162:163], -v[4:5]
	v_add_f64 v[2:3], v[2:3], v[4:5]
	v_mul_f64 v[4:5], v[32:33], v[140:141]
	;; [unrolled: 3-line block ×22, first 2 shown]
	v_fma_f64 v[4:5], v[110:111], v[234:235], -v[4:5]
	v_add_f64 v[2:3], v[2:3], v[4:5]
	s_waitcnt vmcnt(6) lgkmcnt(0)
	v_mul_f64 v[4:5], v[116:117], v[240:241]
	s_waitcnt vmcnt(4)
	v_fma_f64 v[4:5], v[114:115], v[242:243], -v[4:5]
	v_mul_f64 v[208:209], v[114:115], v[240:241]
	v_add_f64 v[2:3], v[2:3], v[4:5]
	v_fmac_f64_e32 v[208:209], v[116:117], v[242:243]
	s_waitcnt vmcnt(2)
	v_add_f64 v[2:3], v[254:255], -v[2:3]
	v_accvgpr_read_b32 v254, a137
	v_add_f64 v[244:245], v[206:207], v[208:209]
	v_cmp_lt_u32_e32 vcc, 10, v254
	s_waitcnt vmcnt(0)
	v_add_f64 v[4:5], v[252:253], -v[244:245]
	buffer_store_dword v3, off, s[0:3], 0 offset:196
	buffer_store_dword v2, off, s[0:3], 0 offset:192
	;; [unrolled: 1-line block ×4, first 2 shown]
	s_and_saveexec_b64 s[4:5], vcc
	s_cbranch_execz .LBB45_269
; %bb.268:
	v_accvgpr_read_b32 v0, a127
	buffer_load_dword v2, v0, s[0:3], 0 offen
	buffer_load_dword v3, v0, s[0:3], 0 offen offset:4
	buffer_load_dword v4, v0, s[0:3], 0 offen offset:8
	buffer_load_dword v5, v0, s[0:3], 0 offen offset:12
	v_mov_b32_e32 v0, 0
	v_accvgpr_read_b32 v1, a138
	buffer_store_dword v0, off, s[0:3], 0 offset:176
	buffer_store_dword v0, off, s[0:3], 0 offset:180
	;; [unrolled: 1-line block ×4, first 2 shown]
	s_waitcnt vmcnt(4)
	ds_write_b128 v1, v[2:5]
.LBB45_269:
	s_or_b64 exec, exec, s[4:5]
	s_waitcnt lgkmcnt(0)
	; wave barrier
	s_waitcnt lgkmcnt(0)
	buffer_load_dword v82, off, s[0:3], 0 offset:192
	buffer_load_dword v83, off, s[0:3], 0 offset:196
	;; [unrolled: 1-line block ×54, first 2 shown]
	v_mov_b32_e32 v1, 0
	ds_read_b128 v[90:93], v1 offset:912
	ds_read_b128 v[106:109], v1 offset:928
	;; [unrolled: 1-line block ×9, first 2 shown]
	buffer_load_dword v149, off, s[0:3], 0 offset:420
	buffer_load_dword v148, off, s[0:3], 0 offset:416
	;; [unrolled: 1-line block ×62, first 2 shown]
	v_cmp_lt_u32_e32 vcc, 9, v254
	s_waitcnt vmcnt(62) lgkmcnt(8)
	v_mul_f64 v[14:15], v[90:91], v[84:85]
	v_fmac_f64_e32 v[14:15], v[92:93], v[82:83]
	v_add_f64 v[14:15], v[14:15], 0
	v_mul_f64 v[84:85], v[92:93], v[84:85]
	s_waitcnt lgkmcnt(7)
	v_mul_f64 v[16:17], v[106:107], v[88:89]
	v_fmac_f64_e32 v[16:17], v[108:109], v[86:87]
	s_waitcnt lgkmcnt(6)
	v_mul_f64 v[18:19], v[114:115], v[94:95]
	v_add_f64 v[14:15], v[14:15], v[16:17]
	s_waitcnt lgkmcnt(4)
	v_mul_f64 v[22:23], v[246:247], v[102:103]
	v_fma_f64 v[202:203], v[90:91], v[82:83], -v[84:85]
	v_fmac_f64_e32 v[22:23], v[248:249], v[104:105]
	v_mul_f64 v[88:89], v[108:109], v[88:89]
	v_mul_f64 v[20:21], v[242:243], v[98:99]
	v_fma_f64 v[204:205], v[106:107], v[86:87], -v[88:89]
	s_waitcnt lgkmcnt(2)
	v_mul_f64 v[26:27], v[10:11], v[118:119]
	v_mul_f64 v[94:95], v[116:117], v[94:95]
	v_fmac_f64_e32 v[26:27], v[12:13], v[120:121]
	v_mul_f64 v[98:99], v[244:245], v[98:99]
	v_mul_f64 v[24:25], v[250:251], v[110:111]
	;; [unrolled: 1-line block ×3, first 2 shown]
	s_waitcnt lgkmcnt(1)
	v_mul_f64 v[28:29], v[6:7], v[122:123]
	v_mul_f64 v[110:111], v[252:253], v[110:111]
	v_fmac_f64_e32 v[18:19], v[116:117], v[96:97]
	v_add_f64 v[14:15], v[14:15], v[18:19]
	v_fmac_f64_e32 v[20:21], v[244:245], v[100:101]
	v_add_f64 v[14:15], v[14:15], v[20:21]
	v_fmac_f64_e32 v[24:25], v[252:253], v[112:113]
	v_add_f64 v[14:15], v[14:15], v[22:23]
	v_add_f64 v[14:15], v[14:15], v[24:25]
	v_fmac_f64_e32 v[28:29], v[8:9], v[126:127]
	v_add_f64 v[14:15], v[14:15], v[26:27]
	v_add_f64 v[18:19], v[14:15], v[28:29]
	ds_read_b128 v[14:17], v1 offset:1056
	s_waitcnt lgkmcnt(1)
	v_mul_f64 v[20:21], v[2:3], v[124:125]
	v_fmac_f64_e32 v[20:21], v[4:5], v[128:129]
	v_add_f64 v[22:23], v[18:19], v[20:21]
	ds_read_b128 v[18:21], v1 offset:1072
	s_waitcnt lgkmcnt(1)
	v_mul_f64 v[24:25], v[14:15], v[134:135]
	v_fmac_f64_e32 v[24:25], v[16:17], v[136:137]
	;; [unrolled: 5-line block ×5, first 2 shown]
	v_add_f64 v[38:39], v[34:35], v[36:37]
	ds_read_b128 v[34:37], v1 offset:1136
	s_waitcnt vmcnt(58) lgkmcnt(1)
	v_mul_f64 v[40:41], v[30:31], v[162:163]
	s_waitcnt vmcnt(56)
	v_fmac_f64_e32 v[40:41], v[32:33], v[166:167]
	v_add_f64 v[42:43], v[38:39], v[40:41]
	ds_read_b128 v[38:41], v1 offset:1152
	s_waitcnt lgkmcnt(1)
	v_mul_f64 v[44:45], v[34:35], v[142:143]
	v_fmac_f64_e32 v[44:45], v[36:37], v[148:149]
	v_add_f64 v[46:47], v[42:43], v[44:45]
	ds_read_b128 v[42:45], v1 offset:1168
	s_waitcnt vmcnt(50) lgkmcnt(1)
	v_mul_f64 v[48:49], v[38:39], v[170:171]
	s_waitcnt vmcnt(48)
	v_fmac_f64_e32 v[48:49], v[40:41], v[174:175]
	v_add_f64 v[50:51], v[46:47], v[48:49]
	ds_read_b128 v[46:49], v1 offset:1184
	buffer_load_dword v221, off, s[0:3], 0 offset:668
	buffer_load_dword v220, off, s[0:3], 0 offset:664
	;; [unrolled: 1-line block ×8, first 2 shown]
	s_waitcnt lgkmcnt(1)
	v_mul_f64 v[52:53], v[42:43], v[150:151]
	v_fmac_f64_e32 v[52:53], v[44:45], v[152:153]
	v_add_f64 v[54:55], v[50:51], v[52:53]
	ds_read_b128 v[50:53], v1 offset:1200
	s_waitcnt vmcnt(50) lgkmcnt(1)
	v_mul_f64 v[56:57], v[46:47], v[178:179]
	s_waitcnt vmcnt(48)
	v_fmac_f64_e32 v[56:57], v[48:49], v[182:183]
	buffer_load_dword v225, off, s[0:3], 0 offset:716
	buffer_load_dword v231, off, s[0:3], 0 offset:700
	;; [unrolled: 1-line block ×12, first 2 shown]
	v_add_f64 v[58:59], v[54:55], v[56:57]
	ds_read_b128 v[54:57], v1 offset:1216
	s_waitcnt lgkmcnt(1)
	v_mul_f64 v[60:61], v[50:51], v[154:155]
	v_fmac_f64_e32 v[60:61], v[52:53], v[156:157]
	v_add_f64 v[62:63], v[58:59], v[60:61]
	ds_read_b128 v[58:61], v1 offset:1232
	s_waitcnt vmcnt(54) lgkmcnt(1)
	v_mul_f64 v[64:65], v[54:55], v[186:187]
	s_waitcnt vmcnt(52)
	v_fmac_f64_e32 v[64:65], v[56:57], v[190:191]
	v_add_f64 v[66:67], v[62:63], v[64:65]
	ds_read_b128 v[62:65], v1 offset:1248
	s_waitcnt lgkmcnt(1)
	v_mul_f64 v[68:69], v[58:59], v[158:159]
	v_fmac_f64_e32 v[68:69], v[60:61], v[160:161]
	v_add_f64 v[70:71], v[66:67], v[68:69]
	ds_read_b128 v[66:69], v1 offset:1264
	s_waitcnt vmcnt(46) lgkmcnt(1)
	v_mul_f64 v[72:73], v[62:63], v[196:197]
	s_waitcnt vmcnt(44)
	v_fmac_f64_e32 v[72:73], v[64:65], v[198:199]
	v_add_f64 v[78:79], v[70:71], v[72:73]
	ds_read_b128 v[70:73], v1 offset:1280
	ds_read_b128 v[74:77], v1 offset:1296
	s_waitcnt lgkmcnt(2)
	v_mul_f64 v[80:81], v[66:67], v[164:165]
	v_fmac_f64_e32 v[80:81], v[68:69], v[168:169]
	v_add_f64 v[78:79], v[78:79], v[80:81]
	s_waitcnt vmcnt(38) lgkmcnt(1)
	v_mul_f64 v[80:81], v[70:71], v[200:201]
	s_waitcnt vmcnt(36)
	v_fmac_f64_e32 v[80:81], v[72:73], v[210:211]
	v_add_f64 v[78:79], v[78:79], v[80:81]
	s_waitcnt lgkmcnt(0)
	v_mul_f64 v[80:81], v[74:75], v[172:173]
	v_fmac_f64_e32 v[80:81], v[76:77], v[176:177]
	v_add_f64 v[192:193], v[78:79], v[80:81]
	ds_read_b128 v[78:81], v1 offset:1312
	ds_read_b128 v[82:85], v1 offset:1328
	;; [unrolled: 1-line block ×3, first 2 shown]
	v_fma_f64 v[206:207], v[242:243], v[100:101], -v[98:99]
	ds_read_b128 v[98:101], v1 offset:1392
	s_waitcnt vmcnt(30) lgkmcnt(3)
	v_mul_f64 v[90:91], v[78:79], v[212:213]
	s_waitcnt vmcnt(28)
	v_fmac_f64_e32 v[90:91], v[80:81], v[214:215]
	s_waitcnt lgkmcnt(2)
	v_mul_f64 v[92:93], v[82:83], v[180:181]
	v_add_f64 v[90:91], v[192:193], v[90:91]
	v_fmac_f64_e32 v[92:93], v[84:85], v[184:185]
	v_add_f64 v[90:91], v[90:91], v[92:93]
	v_fma_f64 v[192:193], v[114:115], v[96:97], -v[94:95]
	ds_read_b128 v[94:97], v1 offset:1376
	s_waitcnt vmcnt(22) lgkmcnt(2)
	v_mul_f64 v[92:93], v[86:87], v[216:217]
	s_waitcnt vmcnt(20)
	v_fmac_f64_e32 v[92:93], v[88:89], v[218:219]
	v_add_f64 v[106:107], v[90:91], v[92:93]
	ds_read_b128 v[90:93], v1 offset:1360
	buffer_load_dword v240, off, s[0:3], 0 offset:744
	v_fma_f64 v[208:209], v[246:247], v[104:105], -v[102:103]
	ds_read_b128 v[102:105], v1 offset:1408
	v_fma_f64 v[250:251], v[250:251], v[112:113], -v[110:111]
	s_waitcnt lgkmcnt(1)
	v_mul_f64 v[108:109], v[90:91], v[188:189]
	v_fmac_f64_e32 v[108:109], v[92:93], v[194:195]
	v_add_f64 v[106:107], v[106:107], v[108:109]
	ds_read_b128 v[110:113], v1 offset:1440
	v_add_f64 v[202:203], v[202:203], 0
	v_add_f64 v[202:203], v[202:203], v[204:205]
	;; [unrolled: 1-line block ×5, first 2 shown]
	v_mul_f64 v[12:13], v[12:13], v[118:119]
	v_add_f64 v[192:193], v[252:253], v[250:251]
	v_fma_f64 v[10:11], v[10:11], v[120:121], -v[12:13]
	v_mul_f64 v[8:9], v[8:9], v[122:123]
	v_add_f64 v[10:11], v[192:193], v[10:11]
	v_fma_f64 v[6:7], v[6:7], v[126:127], -v[8:9]
	;; [unrolled: 3-line block ×3, first 2 shown]
	v_mul_f64 v[4:5], v[16:17], v[134:135]
	v_add_f64 v[2:3], v[6:7], v[2:3]
	s_waitcnt vmcnt(19)
	v_mul_f64 v[108:109], v[94:95], v[220:221]
	v_fma_f64 v[4:5], v[14:15], v[136:137], -v[4:5]
	s_waitcnt vmcnt(17)
	v_fmac_f64_e32 v[108:109], v[96:97], v[222:223]
	v_add_f64 v[106:107], v[106:107], v[108:109]
	s_waitcnt vmcnt(15)
	v_mul_f64 v[108:109], v[98:99], v[226:227]
	s_waitcnt vmcnt(13)
	v_fmac_f64_e32 v[108:109], v[100:101], v[228:229]
	v_add_f64 v[114:115], v[106:107], v[108:109]
	ds_read_b128 v[106:109], v1 offset:1424
	buffer_load_dword v244, off, s[0:3], 0 offset:736
	buffer_load_dword v241, off, s[0:3], 0 offset:748
	;; [unrolled: 1-line block ×3, first 2 shown]
	s_waitcnt vmcnt(13) lgkmcnt(2)
	v_mul_f64 v[116:117], v[102:103], v[230:231]
	s_waitcnt vmcnt(11)
	v_fmac_f64_e32 v[116:117], v[104:105], v[236:237]
	v_add_f64 v[114:115], v[114:115], v[116:117]
	s_waitcnt vmcnt(10) lgkmcnt(0)
	v_mul_f64 v[116:117], v[106:107], v[224:225]
	s_waitcnt vmcnt(8)
	v_fmac_f64_e32 v[116:117], v[108:109], v[234:235]
	v_add_f64 v[114:115], v[114:115], v[116:117]
	s_waitcnt vmcnt(6)
	v_mul_f64 v[116:117], v[110:111], v[232:233]
	s_waitcnt vmcnt(4)
	v_fmac_f64_e32 v[116:117], v[112:113], v[238:239]
	v_add_f64 v[242:243], v[114:115], v[116:117]
	ds_read_b128 v[114:117], v1 offset:1456
	buffer_load_dword v248, off, s[0:3], 0 offset:176
	buffer_load_dword v249, off, s[0:3], 0 offset:180
	v_add_f64 v[2:3], v[2:3], v[4:5]
	v_mul_f64 v[4:5], v[20:21], v[130:131]
	v_fma_f64 v[4:5], v[18:19], v[132:133], -v[4:5]
	v_add_f64 v[2:3], v[2:3], v[4:5]
	v_mul_f64 v[4:5], v[24:25], v[144:145]
	v_fma_f64 v[4:5], v[22:23], v[146:147], -v[4:5]
	;; [unrolled: 3-line block ×22, first 2 shown]
	v_add_f64 v[2:3], v[2:3], v[4:5]
	s_waitcnt vmcnt(3) lgkmcnt(0)
	v_mul_f64 v[246:247], v[114:115], v[240:241]
	s_waitcnt vmcnt(2)
	v_fmac_f64_e32 v[246:247], v[116:117], v[244:245]
	v_add_f64 v[242:243], v[242:243], v[246:247]
	buffer_load_dword v246, off, s[0:3], 0 offset:184
	buffer_load_dword v247, off, s[0:3], 0 offset:188
	v_mul_f64 v[4:5], v[108:109], v[224:225]
	v_fma_f64 v[4:5], v[106:107], v[234:235], -v[4:5]
	v_add_f64 v[2:3], v[2:3], v[4:5]
	v_mul_f64 v[4:5], v[112:113], v[232:233]
	v_fma_f64 v[4:5], v[110:111], v[238:239], -v[4:5]
	v_add_f64 v[2:3], v[2:3], v[4:5]
	v_mul_f64 v[4:5], v[116:117], v[240:241]
	v_fma_f64 v[4:5], v[114:115], v[244:245], -v[4:5]
	v_add_f64 v[2:3], v[2:3], v[4:5]
	s_waitcnt vmcnt(2)
	v_add_f64 v[2:3], v[248:249], -v[2:3]
	s_waitcnt vmcnt(0)
	v_add_f64 v[4:5], v[246:247], -v[242:243]
	buffer_store_dword v3, off, s[0:3], 0 offset:180
	buffer_store_dword v2, off, s[0:3], 0 offset:176
	;; [unrolled: 1-line block ×4, first 2 shown]
	s_and_saveexec_b64 s[4:5], vcc
	s_cbranch_execz .LBB45_271
; %bb.270:
	v_accvgpr_read_b32 v0, a128
	buffer_load_dword v2, v0, s[0:3], 0 offen
	buffer_load_dword v3, v0, s[0:3], 0 offen offset:4
	buffer_load_dword v4, v0, s[0:3], 0 offen offset:8
	;; [unrolled: 1-line block ×3, first 2 shown]
	v_accvgpr_read_b32 v0, a138
	buffer_store_dword v1, off, s[0:3], 0 offset:160
	buffer_store_dword v1, off, s[0:3], 0 offset:164
	;; [unrolled: 1-line block ×4, first 2 shown]
	s_waitcnt vmcnt(4)
	ds_write_b128 v0, v[2:5]
.LBB45_271:
	s_or_b64 exec, exec, s[4:5]
	s_waitcnt lgkmcnt(0)
	; wave barrier
	s_waitcnt lgkmcnt(0)
	buffer_load_dword v84, off, s[0:3], 0 offset:176
	buffer_load_dword v85, off, s[0:3], 0 offset:180
	;; [unrolled: 1-line block ×34, first 2 shown]
	ds_read_b128 v[74:77], v1 offset:896
	ds_read_b128 v[78:81], v1 offset:912
	;; [unrolled: 1-line block ×8, first 2 shown]
	buffer_load_dword v125, off, s[0:3], 0 offset:292
	buffer_load_dword v124, off, s[0:3], 0 offset:288
	ds_read_b128 v[6:9], v1 offset:1024
	buffer_load_dword v127, off, s[0:3], 0 offset:348
	buffer_load_dword v126, off, s[0:3], 0 offset:344
	;; [unrolled: 1-line block ×80, first 2 shown]
	s_waitcnt vmcnt(62) lgkmcnt(8)
	v_mul_f64 v[10:11], v[74:75], v[106:107]
	v_fmac_f64_e32 v[10:11], v[76:77], v[84:85]
	v_add_f64 v[10:11], v[10:11], 0
	v_mul_f64 v[76:77], v[76:77], v[106:107]
	s_waitcnt lgkmcnt(7)
	v_mul_f64 v[12:13], v[78:79], v[96:97]
	v_fmac_f64_e32 v[12:13], v[80:81], v[82:83]
	s_waitcnt lgkmcnt(6)
	v_mul_f64 v[14:15], v[86:87], v[94:95]
	v_add_f64 v[10:11], v[10:11], v[12:13]
	s_waitcnt lgkmcnt(4)
	v_mul_f64 v[18:19], v[98:99], v[108:109]
	v_fma_f64 v[202:203], v[74:75], v[84:85], -v[76:77]
	v_fmac_f64_e32 v[18:19], v[100:101], v[114:115]
	v_mul_f64 v[80:81], v[80:81], v[96:97]
	v_mul_f64 v[16:17], v[90:91], v[116:117]
	v_fma_f64 v[204:205], v[78:79], v[82:83], -v[80:81]
	s_waitcnt lgkmcnt(2)
	v_mul_f64 v[22:23], v[110:111], v[240:241]
	v_mul_f64 v[100:101], v[100:101], v[108:109]
	v_fma_f64 v[208:209], v[98:99], v[114:115], -v[100:101]
	v_mul_f64 v[20:21], v[102:103], v[244:245]
	v_add_f64 v[202:203], v[202:203], 0
	s_waitcnt lgkmcnt(1)
	v_mul_f64 v[24:25], v[2:3], v[118:119]
	v_add_f64 v[202:203], v[202:203], v[204:205]
	v_fmac_f64_e32 v[14:15], v[88:89], v[250:251]
	v_add_f64 v[10:11], v[10:11], v[14:15]
	v_fmac_f64_e32 v[16:17], v[92:93], v[248:249]
	;; [unrolled: 2-line block ×4, first 2 shown]
	v_add_f64 v[10:11], v[10:11], v[20:21]
	v_add_f64 v[10:11], v[10:11], v[22:23]
	s_waitcnt lgkmcnt(0)
	v_mul_f64 v[16:17], v[6:7], v[120:121]
	v_fmac_f64_e32 v[16:17], v[8:9], v[122:123]
	v_fmac_f64_e32 v[24:25], v[4:5], v[124:125]
	v_add_f64 v[14:15], v[10:11], v[24:25]
	ds_read_b128 v[10:13], v1 offset:1040
	v_add_f64 v[18:19], v[14:15], v[16:17]
	ds_read_b128 v[14:17], v1 offset:1056
	v_mul_f64 v[88:89], v[88:89], v[94:95]
	v_mul_f64 v[92:93], v[92:93], v[116:117]
	s_waitcnt lgkmcnt(1)
	v_mul_f64 v[20:21], v[10:11], v[130:131]
	v_fmac_f64_e32 v[20:21], v[12:13], v[132:133]
	s_waitcnt lgkmcnt(0)
	v_mul_f64 v[24:25], v[14:15], v[126:127]
	v_add_f64 v[22:23], v[18:19], v[20:21]
	ds_read_b128 v[18:21], v1 offset:1072
	v_fmac_f64_e32 v[24:25], v[16:17], v[128:129]
	v_add_f64 v[26:27], v[22:23], v[24:25]
	ds_read_b128 v[22:25], v1 offset:1088
	v_fma_f64 v[206:207], v[90:91], v[248:249], -v[92:93]
	s_waitcnt lgkmcnt(1)
	v_mul_f64 v[28:29], v[18:19], v[142:143]
	v_fmac_f64_e32 v[28:29], v[20:21], v[144:145]
	v_add_f64 v[30:31], v[26:27], v[28:29]
	s_waitcnt lgkmcnt(0)
	v_mul_f64 v[32:33], v[22:23], v[134:135]
	ds_read_b128 v[26:29], v1 offset:1104
	v_fmac_f64_e32 v[32:33], v[24:25], v[136:137]
	v_add_f64 v[34:35], v[30:31], v[32:33]
	ds_read_b128 v[30:33], v1 offset:1120
	v_mul_f64 v[104:105], v[104:105], v[244:245]
	s_waitcnt vmcnt(58) lgkmcnt(1)
	v_mul_f64 v[36:37], v[26:27], v[158:159]
	s_waitcnt vmcnt(56)
	v_fmac_f64_e32 v[36:37], v[28:29], v[162:163]
	v_add_f64 v[38:39], v[34:35], v[36:37]
	s_waitcnt lgkmcnt(0)
	v_mul_f64 v[40:41], v[30:31], v[138:139]
	ds_read_b128 v[34:37], v1 offset:1136
	v_fmac_f64_e32 v[40:41], v[32:33], v[140:141]
	v_add_f64 v[42:43], v[38:39], v[40:41]
	ds_read_b128 v[38:41], v1 offset:1152
	v_mul_f64 v[112:113], v[112:113], v[240:241]
	s_waitcnt vmcnt(50) lgkmcnt(1)
	v_mul_f64 v[44:45], v[34:35], v[166:167]
	s_waitcnt vmcnt(48)
	v_fmac_f64_e32 v[44:45], v[36:37], v[170:171]
	v_add_f64 v[46:47], v[42:43], v[44:45]
	s_waitcnt lgkmcnt(0)
	v_mul_f64 v[48:49], v[38:39], v[146:147]
	v_fmac_f64_e32 v[48:49], v[40:41], v[148:149]
	ds_read_b128 v[42:45], v1 offset:1168
	v_add_f64 v[50:51], v[46:47], v[48:49]
	ds_read_b128 v[46:49], v1 offset:1184
	buffer_load_dword v217, off, s[0:3], 0 offset:668
	buffer_load_dword v219, off, s[0:3], 0 offset:652
	;; [unrolled: 1-line block ×12, first 2 shown]
	v_fma_f64 v[252:253], v[110:111], v[242:243], -v[112:113]
	s_waitcnt vmcnt(54) lgkmcnt(1)
	v_mul_f64 v[52:53], v[42:43], v[174:175]
	s_waitcnt vmcnt(52)
	v_fmac_f64_e32 v[52:53], v[44:45], v[178:179]
	v_add_f64 v[54:55], v[50:51], v[52:53]
	ds_read_b128 v[50:53], v1 offset:1200
	s_waitcnt lgkmcnt(1)
	v_mul_f64 v[56:57], v[46:47], v[150:151]
	v_fmac_f64_e32 v[56:57], v[48:49], v[152:153]
	buffer_load_dword v231, off, s[0:3], 0 offset:700
	buffer_load_dword v230, off, s[0:3], 0 offset:696
	;; [unrolled: 1-line block ×12, first 2 shown]
	v_add_f64 v[58:59], v[54:55], v[56:57]
	ds_read_b128 v[54:57], v1 offset:1216
	s_waitcnt vmcnt(58) lgkmcnt(1)
	v_mul_f64 v[60:61], v[50:51], v[182:183]
	s_waitcnt vmcnt(56)
	v_fmac_f64_e32 v[60:61], v[52:53], v[186:187]
	v_add_f64 v[62:63], v[58:59], v[60:61]
	ds_read_b128 v[58:61], v1 offset:1232
	s_waitcnt lgkmcnt(1)
	v_mul_f64 v[64:65], v[54:55], v[154:155]
	v_fmac_f64_e32 v[64:65], v[56:57], v[156:157]
	v_add_f64 v[70:71], v[62:63], v[64:65]
	ds_read_b128 v[62:65], v1 offset:1248
	ds_read_b128 v[66:69], v1 offset:1264
	s_waitcnt vmcnt(50) lgkmcnt(2)
	v_mul_f64 v[72:73], v[58:59], v[190:191]
	s_waitcnt vmcnt(48)
	v_fmac_f64_e32 v[72:73], v[60:61], v[194:195]
	v_add_f64 v[70:71], v[70:71], v[72:73]
	s_waitcnt lgkmcnt(1)
	v_mul_f64 v[72:73], v[62:63], v[160:161]
	v_fmac_f64_e32 v[72:73], v[64:65], v[164:165]
	v_add_f64 v[70:71], v[70:71], v[72:73]
	s_waitcnt vmcnt(42) lgkmcnt(0)
	v_mul_f64 v[72:73], v[66:67], v[196:197]
	s_waitcnt vmcnt(40)
	v_fmac_f64_e32 v[72:73], v[68:69], v[198:199]
	v_add_f64 v[192:193], v[70:71], v[72:73]
	ds_read_b128 v[70:73], v1 offset:1280
	ds_read_b128 v[74:77], v1 offset:1296
	;; [unrolled: 1-line block ×5, first 2 shown]
	s_waitcnt lgkmcnt(4)
	v_mul_f64 v[84:85], v[70:71], v[168:169]
	v_fmac_f64_e32 v[84:85], v[72:73], v[172:173]
	v_add_f64 v[82:83], v[192:193], v[84:85]
	s_waitcnt vmcnt(34) lgkmcnt(3)
	v_mul_f64 v[84:85], v[74:75], v[200:201]
	s_waitcnt vmcnt(32)
	v_fmac_f64_e32 v[84:85], v[76:77], v[210:211]
	v_add_f64 v[82:83], v[82:83], v[84:85]
	v_fma_f64 v[192:193], v[86:87], v[250:251], -v[88:89]
	ds_read_b128 v[86:89], v1 offset:1344
	s_waitcnt lgkmcnt(3)
	v_mul_f64 v[84:85], v[78:79], v[176:177]
	v_fmac_f64_e32 v[84:85], v[80:81], v[180:181]
	v_add_f64 v[96:97], v[82:83], v[84:85]
	ds_read_b128 v[82:85], v1 offset:1328
	v_fma_f64 v[250:251], v[102:103], v[246:247], -v[104:105]
	ds_read_b128 v[110:113], v1 offset:1440
	v_add_f64 v[192:193], v[202:203], v[192:193]
	v_add_f64 v[192:193], v[192:193], v[206:207]
	s_waitcnt vmcnt(26) lgkmcnt(1)
	v_mul_f64 v[94:95], v[82:83], v[212:213]
	s_waitcnt vmcnt(24)
	v_fmac_f64_e32 v[94:95], v[84:85], v[214:215]
	v_add_f64 v[94:95], v[96:97], v[94:95]
	v_mul_f64 v[96:97], v[86:87], v[184:185]
	v_fmac_f64_e32 v[96:97], v[88:89], v[188:189]
	v_add_f64 v[106:107], v[94:95], v[96:97]
	ds_read_b128 v[94:97], v1 offset:1376
	v_add_f64 v[254:255], v[192:193], v[208:209]
	v_add_f64 v[192:193], v[254:255], v[250:251]
	v_mul_f64 v[4:5], v[4:5], v[118:119]
	v_add_f64 v[192:193], v[192:193], v[252:253]
	ds_read_b128 v[102:105], v1 offset:1424
	v_fma_f64 v[2:3], v[2:3], v[124:125], -v[4:5]
	v_mul_f64 v[4:5], v[8:9], v[120:121]
	v_add_f64 v[2:3], v[192:193], v[2:3]
	v_fma_f64 v[4:5], v[6:7], v[122:123], -v[4:5]
	v_add_f64 v[2:3], v[2:3], v[4:5]
	v_mul_f64 v[4:5], v[12:13], v[130:131]
	v_fma_f64 v[4:5], v[10:11], v[132:133], -v[4:5]
	v_add_f64 v[2:3], v[2:3], v[4:5]
	v_mul_f64 v[4:5], v[16:17], v[126:127]
	s_waitcnt vmcnt(21)
	v_mul_f64 v[108:109], v[90:91], v[218:219]
	v_fma_f64 v[4:5], v[14:15], v[128:129], -v[4:5]
	s_waitcnt vmcnt(19)
	v_fmac_f64_e32 v[108:109], v[92:93], v[224:225]
	v_add_f64 v[106:107], v[106:107], v[108:109]
	s_waitcnt vmcnt(18) lgkmcnt(1)
	v_mul_f64 v[108:109], v[94:95], v[216:217]
	s_waitcnt vmcnt(16)
	v_fmac_f64_e32 v[108:109], v[96:97], v[222:223]
	v_add_f64 v[114:115], v[106:107], v[108:109]
	ds_read_b128 v[106:109], v1 offset:1408
	buffer_load_dword v243, off, s[0:3], 0 offset:748
	buffer_load_dword v242, off, s[0:3], 0 offset:744
	;; [unrolled: 1-line block ×4, first 2 shown]
	s_waitcnt vmcnt(18)
	v_mul_f64 v[116:117], v[98:99], v[220:221]
	s_waitcnt vmcnt(16)
	v_fmac_f64_e32 v[116:117], v[100:101], v[226:227]
	v_add_f64 v[114:115], v[114:115], v[116:117]
	s_waitcnt vmcnt(14) lgkmcnt(0)
	v_mul_f64 v[116:117], v[106:107], v[230:231]
	s_waitcnt vmcnt(12)
	v_fmac_f64_e32 v[116:117], v[108:109], v[232:233]
	v_add_f64 v[114:115], v[114:115], v[116:117]
	s_waitcnt vmcnt(9)
	v_mul_f64 v[116:117], v[102:103], v[236:237]
	s_waitcnt vmcnt(7)
	v_fmac_f64_e32 v[116:117], v[104:105], v[238:239]
	v_add_f64 v[114:115], v[114:115], v[116:117]
	s_waitcnt vmcnt(5)
	v_mul_f64 v[116:117], v[110:111], v[228:229]
	s_waitcnt vmcnt(4)
	v_fmac_f64_e32 v[116:117], v[112:113], v[234:235]
	v_add_f64 v[240:241], v[114:115], v[116:117]
	ds_read_b128 v[114:117], v1 offset:1456
	v_add_f64 v[2:3], v[2:3], v[4:5]
	v_mul_f64 v[4:5], v[20:21], v[142:143]
	v_fma_f64 v[4:5], v[18:19], v[144:145], -v[4:5]
	v_add_f64 v[2:3], v[2:3], v[4:5]
	v_mul_f64 v[4:5], v[24:25], v[134:135]
	v_fma_f64 v[4:5], v[22:23], v[136:137], -v[4:5]
	;; [unrolled: 3-line block ×21, first 2 shown]
	v_add_f64 v[2:3], v[2:3], v[4:5]
	s_waitcnt vmcnt(2) lgkmcnt(0)
	v_mul_f64 v[246:247], v[114:115], v[242:243]
	v_mul_f64 v[4:5], v[108:109], v[230:231]
	s_waitcnt vmcnt(0)
	v_fmac_f64_e32 v[246:247], v[116:117], v[244:245]
	v_add_f64 v[240:241], v[240:241], v[246:247]
	buffer_load_dword v248, off, s[0:3], 0 offset:160
	buffer_load_dword v249, off, s[0:3], 0 offset:164
	;; [unrolled: 1-line block ×4, first 2 shown]
	v_fma_f64 v[4:5], v[106:107], v[232:233], -v[4:5]
	v_add_f64 v[2:3], v[2:3], v[4:5]
	v_mul_f64 v[4:5], v[104:105], v[236:237]
	v_fma_f64 v[4:5], v[102:103], v[238:239], -v[4:5]
	v_add_f64 v[2:3], v[2:3], v[4:5]
	v_mul_f64 v[4:5], v[112:113], v[228:229]
	;; [unrolled: 3-line block ×3, first 2 shown]
	v_fma_f64 v[4:5], v[114:115], v[244:245], -v[4:5]
	v_add_f64 v[2:3], v[2:3], v[4:5]
	v_accvgpr_read_b32 v254, a137
	v_cmp_lt_u32_e32 vcc, 8, v254
	s_waitcnt vmcnt(2)
	v_add_f64 v[2:3], v[248:249], -v[2:3]
	s_waitcnt vmcnt(0)
	v_add_f64 v[4:5], v[246:247], -v[240:241]
	buffer_store_dword v3, off, s[0:3], 0 offset:164
	buffer_store_dword v2, off, s[0:3], 0 offset:160
	;; [unrolled: 1-line block ×4, first 2 shown]
	s_and_saveexec_b64 s[4:5], vcc
	s_cbranch_execz .LBB45_273
; %bb.272:
	v_accvgpr_read_b32 v0, a129
	buffer_load_dword v2, v0, s[0:3], 0 offen
	buffer_load_dword v3, v0, s[0:3], 0 offen offset:4
	buffer_load_dword v4, v0, s[0:3], 0 offen offset:8
	;; [unrolled: 1-line block ×3, first 2 shown]
	v_mov_b32_e32 v0, 0
	v_accvgpr_read_b32 v1, a138
	buffer_store_dword v0, off, s[0:3], 0 offset:144
	buffer_store_dword v0, off, s[0:3], 0 offset:148
	;; [unrolled: 1-line block ×4, first 2 shown]
	s_waitcnt vmcnt(4)
	ds_write_b128 v1, v[2:5]
.LBB45_273:
	s_or_b64 exec, exec, s[4:5]
	s_waitcnt lgkmcnt(0)
	; wave barrier
	s_waitcnt lgkmcnt(0)
	buffer_load_dword v66, off, s[0:3], 0 offset:160
	buffer_load_dword v67, off, s[0:3], 0 offset:164
	buffer_load_dword v68, off, s[0:3], 0 offset:168
	buffer_load_dword v69, off, s[0:3], 0 offset:172
	buffer_load_dword v70, off, s[0:3], 0 offset:176
	buffer_load_dword v71, off, s[0:3], 0 offset:180
	buffer_load_dword v72, off, s[0:3], 0 offset:184
	buffer_load_dword v73, off, s[0:3], 0 offset:188
	buffer_load_dword v78, off, s[0:3], 0 offset:200
	buffer_load_dword v79, off, s[0:3], 0 offset:204
	buffer_load_dword v91, off, s[0:3], 0 offset:236
	buffer_load_dword v90, off, s[0:3], 0 offset:232
	buffer_load_dword v93, off, s[0:3], 0 offset:228
	buffer_load_dword v92, off, s[0:3], 0 offset:224
	buffer_load_dword v83, off, s[0:3], 0 offset:220
	buffer_load_dword v82, off, s[0:3], 0 offset:216
	buffer_load_dword v103, off, s[0:3], 0 offset:268
	buffer_load_dword v102, off, s[0:3], 0 offset:264
	buffer_load_dword v104, off, s[0:3], 0 offset:256
	buffer_load_dword v95, off, s[0:3], 0 offset:252
	buffer_load_dword v94, off, s[0:3], 0 offset:248
	buffer_load_dword v107, off, s[0:3], 0 offset:284
	buffer_load_dword v106, off, s[0:3], 0 offset:280
	buffer_load_dword v80, off, s[0:3], 0 offset:192
	buffer_load_dword v81, off, s[0:3], 0 offset:196
	buffer_load_dword v85, off, s[0:3], 0 offset:212
	buffer_load_dword v84, off, s[0:3], 0 offset:208
	buffer_load_dword v97, off, s[0:3], 0 offset:244
	buffer_load_dword v96, off, s[0:3], 0 offset:240
	buffer_load_dword v105, off, s[0:3], 0 offset:260
	buffer_load_dword v118, off, s[0:3], 0 offset:296
	buffer_load_dword v120, off, s[0:3], 0 offset:288
	buffer_load_dword v121, off, s[0:3], 0 offset:292
	buffer_load_dword v119, off, s[0:3], 0 offset:300
	buffer_load_dword v109, off, s[0:3], 0 offset:276
	buffer_load_dword v108, off, s[0:3], 0 offset:272
	buffer_load_dword v123, off, s[0:3], 0 offset:332
	buffer_load_dword v122, off, s[0:3], 0 offset:328
	buffer_load_dword v125, off, s[0:3], 0 offset:324
	buffer_load_dword v124, off, s[0:3], 0 offset:320
	buffer_load_dword v127, off, s[0:3], 0 offset:316
	buffer_load_dword v126, off, s[0:3], 0 offset:312
	buffer_load_dword v129, off, s[0:3], 0 offset:308
	buffer_load_dword v128, off, s[0:3], 0 offset:304
	buffer_load_dword v131, off, s[0:3], 0 offset:364
	buffer_load_dword v130, off, s[0:3], 0 offset:360
	buffer_load_dword v133, off, s[0:3], 0 offset:356
	buffer_load_dword v132, off, s[0:3], 0 offset:352
	buffer_load_dword v139, off, s[0:3], 0 offset:348
	buffer_load_dword v138, off, s[0:3], 0 offset:344
	buffer_load_dword v141, off, s[0:3], 0 offset:340
	buffer_load_dword v140, off, s[0:3], 0 offset:336
	buffer_load_dword v135, off, s[0:3], 0 offset:396
	buffer_load_dword v134, off, s[0:3], 0 offset:392
	buffer_load_dword v137, off, s[0:3], 0 offset:388
	v_mov_b32_e32 v1, 0
	ds_read_b128 v[74:77], v1 offset:880
	ds_read_b128 v[86:89], v1 offset:896
	;; [unrolled: 1-line block ×9, first 2 shown]
	buffer_load_dword v136, off, s[0:3], 0 offset:384
	buffer_load_dword v155, off, s[0:3], 0 offset:380
	;; [unrolled: 1-line block ×61, first 2 shown]
	v_cmp_lt_u32_e32 vcc, 7, v254
	s_waitcnt vmcnt(62) lgkmcnt(8)
	v_mul_f64 v[6:7], v[74:75], v[68:69]
	v_fmac_f64_e32 v[6:7], v[76:77], v[66:67]
	v_add_f64 v[6:7], v[6:7], 0
	v_mul_f64 v[68:69], v[76:77], v[68:69]
	s_waitcnt lgkmcnt(7)
	v_mul_f64 v[8:9], v[86:87], v[72:73]
	v_fmac_f64_e32 v[8:9], v[88:89], v[70:71]
	s_waitcnt lgkmcnt(6)
	v_mul_f64 v[10:11], v[98:99], v[78:79]
	v_add_f64 v[6:7], v[6:7], v[8:9]
	s_waitcnt lgkmcnt(4)
	v_mul_f64 v[14:15], v[114:115], v[90:91]
	v_fma_f64 v[202:203], v[74:75], v[66:67], -v[68:69]
	v_fmac_f64_e32 v[14:15], v[116:117], v[92:93]
	v_mul_f64 v[72:73], v[88:89], v[72:73]
	v_mul_f64 v[12:13], v[110:111], v[82:83]
	;; [unrolled: 1-line block ×3, first 2 shown]
	s_waitcnt lgkmcnt(2)
	v_mul_f64 v[18:19], v[244:245], v[102:103]
	v_mul_f64 v[82:83], v[112:113], v[82:83]
	;; [unrolled: 1-line block ×4, first 2 shown]
	v_fma_f64 v[208:209], v[114:115], v[92:93], -v[90:91]
	s_waitcnt lgkmcnt(1)
	v_mul_f64 v[20:21], v[248:249], v[106:107]
	v_fmac_f64_e32 v[20:21], v[250:251], v[108:109]
	v_fmac_f64_e32 v[10:11], v[100:101], v[80:81]
	v_add_f64 v[6:7], v[6:7], v[10:11]
	v_fmac_f64_e32 v[12:13], v[112:113], v[84:85]
	v_add_f64 v[6:7], v[6:7], v[12:13]
	v_fmac_f64_e32 v[16:17], v[242:243], v[96:97]
	v_add_f64 v[6:7], v[6:7], v[14:15]
	v_fmac_f64_e32 v[18:19], v[246:247], v[104:105]
	v_add_f64 v[6:7], v[6:7], v[16:17]
	v_add_f64 v[6:7], v[6:7], v[18:19]
	v_add_f64 v[10:11], v[6:7], v[20:21]
	ds_read_b128 v[6:9], v1 offset:1024
	s_waitcnt lgkmcnt(1)
	v_mul_f64 v[12:13], v[2:3], v[118:119]
	v_fmac_f64_e32 v[12:13], v[4:5], v[120:121]
	v_add_f64 v[14:15], v[10:11], v[12:13]
	ds_read_b128 v[10:13], v1 offset:1040
	s_waitcnt lgkmcnt(1)
	v_mul_f64 v[16:17], v[6:7], v[126:127]
	v_fmac_f64_e32 v[16:17], v[8:9], v[128:129]
	;; [unrolled: 5-line block ×5, first 2 shown]
	v_add_f64 v[30:31], v[26:27], v[28:29]
	ds_read_b128 v[26:29], v1 offset:1104
	s_waitcnt vmcnt(58) lgkmcnt(1)
	v_mul_f64 v[32:33], v[22:23], v[154:155]
	s_waitcnt vmcnt(56)
	v_fmac_f64_e32 v[32:33], v[24:25], v[158:159]
	v_add_f64 v[34:35], v[30:31], v[32:33]
	ds_read_b128 v[30:33], v1 offset:1120
	s_waitcnt lgkmcnt(1)
	v_mul_f64 v[36:37], v[26:27], v[134:135]
	v_fmac_f64_e32 v[36:37], v[28:29], v[136:137]
	v_add_f64 v[38:39], v[34:35], v[36:37]
	ds_read_b128 v[34:37], v1 offset:1136
	s_waitcnt vmcnt(50) lgkmcnt(1)
	v_mul_f64 v[40:41], v[30:31], v[162:163]
	s_waitcnt vmcnt(48)
	v_fmac_f64_e32 v[40:41], v[32:33], v[166:167]
	v_add_f64 v[42:43], v[38:39], v[40:41]
	ds_read_b128 v[38:41], v1 offset:1152
	s_waitcnt lgkmcnt(1)
	v_mul_f64 v[44:45], v[34:35], v[142:143]
	v_fmac_f64_e32 v[44:45], v[36:37], v[144:145]
	v_add_f64 v[46:47], v[42:43], v[44:45]
	ds_read_b128 v[42:45], v1 offset:1168
	s_waitcnt vmcnt(42) lgkmcnt(1)
	v_mul_f64 v[48:49], v[38:39], v[170:171]
	s_waitcnt vmcnt(40)
	v_fmac_f64_e32 v[48:49], v[40:41], v[174:175]
	v_add_f64 v[50:51], v[46:47], v[48:49]
	ds_read_b128 v[46:49], v1 offset:1184
	buffer_load_dword v213, off, s[0:3], 0 offset:636
	buffer_load_dword v212, off, s[0:3], 0 offset:632
	buffer_load_dword v215, off, s[0:3], 0 offset:628
	buffer_load_dword v214, off, s[0:3], 0 offset:624
	s_waitcnt lgkmcnt(1)
	v_mul_f64 v[52:53], v[42:43], v[146:147]
	v_fmac_f64_e32 v[52:53], v[44:45], v[148:149]
	v_add_f64 v[54:55], v[50:51], v[52:53]
	ds_read_b128 v[50:53], v1 offset:1200
	buffer_load_dword v217, off, s[0:3], 0 offset:652
	buffer_load_dword v216, off, s[0:3], 0 offset:648
	;; [unrolled: 1-line block ×8, first 2 shown]
	s_waitcnt vmcnt(46) lgkmcnt(1)
	v_mul_f64 v[56:57], v[46:47], v[178:179]
	s_waitcnt vmcnt(44)
	v_fmac_f64_e32 v[56:57], v[48:49], v[182:183]
	v_add_f64 v[58:59], v[54:55], v[56:57]
	ds_read_b128 v[54:57], v1 offset:1216
	buffer_load_dword v227, off, s[0:3], 0 offset:684
	buffer_load_dword v226, off, s[0:3], 0 offset:680
	;; [unrolled: 1-line block ×12, first 2 shown]
	s_waitcnt lgkmcnt(1)
	v_mul_f64 v[60:61], v[50:51], v[150:151]
	v_fmac_f64_e32 v[60:61], v[52:53], v[152:153]
	v_add_f64 v[62:63], v[58:59], v[60:61]
	ds_read_b128 v[58:61], v1 offset:1232
	s_waitcnt vmcnt(50) lgkmcnt(1)
	v_mul_f64 v[64:65], v[54:55], v[186:187]
	s_waitcnt vmcnt(48)
	v_fmac_f64_e32 v[64:65], v[56:57], v[188:189]
	v_add_f64 v[62:63], v[62:63], v[64:65]
	buffer_load_dword v237, off, s[0:3], 0 offset:732
	buffer_load_dword v236, off, s[0:3], 0 offset:728
	;; [unrolled: 1-line block ×4, first 2 shown]
	s_waitcnt lgkmcnt(0)
	v_mul_f64 v[64:65], v[58:59], v[156:157]
	v_fmac_f64_e32 v[64:65], v[60:61], v[160:161]
	v_add_f64 v[192:193], v[62:63], v[64:65]
	ds_read_b128 v[62:65], v1 offset:1248
	ds_read_b128 v[66:69], v1 offset:1264
	v_fma_f64 v[204:205], v[98:99], v[80:81], -v[78:79]
	ds_read_b128 v[78:81], v1 offset:1312
	v_fma_f64 v[206:207], v[110:111], v[84:85], -v[82:83]
	ds_read_b128 v[82:85], v1 offset:1328
	s_waitcnt vmcnt(46) lgkmcnt(3)
	v_mul_f64 v[74:75], v[62:63], v[190:191]
	s_waitcnt vmcnt(44)
	v_fmac_f64_e32 v[74:75], v[64:65], v[194:195]
	v_add_f64 v[74:75], v[192:193], v[74:75]
	v_fma_f64 v[192:193], v[86:87], v[70:71], -v[72:73]
	ds_read_b128 v[70:73], v1 offset:1280
	s_waitcnt lgkmcnt(3)
	v_mul_f64 v[76:77], v[66:67], v[164:165]
	v_fmac_f64_e32 v[76:77], v[68:69], v[168:169]
	v_add_f64 v[86:87], v[74:75], v[76:77]
	ds_read_b128 v[74:77], v1 offset:1296
	s_waitcnt vmcnt(38) lgkmcnt(1)
	v_mul_f64 v[88:89], v[70:71], v[196:197]
	s_waitcnt vmcnt(36)
	v_fmac_f64_e32 v[88:89], v[72:73], v[198:199]
	v_add_f64 v[86:87], v[86:87], v[88:89]
	ds_read_b128 v[90:93], v1 offset:1360
	s_waitcnt lgkmcnt(1)
	v_mul_f64 v[88:89], v[74:75], v[172:173]
	v_fmac_f64_e32 v[88:89], v[76:77], v[176:177]
	v_add_f64 v[86:87], v[86:87], v[88:89]
	s_waitcnt vmcnt(30)
	v_mul_f64 v[88:89], v[78:79], v[200:201]
	s_waitcnt vmcnt(28)
	v_fmac_f64_e32 v[88:89], v[80:81], v[210:211]
	v_add_f64 v[86:87], v[86:87], v[88:89]
	v_mul_f64 v[88:89], v[82:83], v[180:181]
	v_fmac_f64_e32 v[88:89], v[84:85], v[184:185]
	v_add_f64 v[98:99], v[86:87], v[88:89]
	ds_read_b128 v[86:89], v1 offset:1344
	v_mul_f64 v[94:95], v[242:243], v[94:95]
	v_fma_f64 v[252:253], v[240:241], v[96:97], -v[94:95]
	ds_read_b128 v[94:97], v1 offset:1376
	v_mul_f64 v[102:103], v[246:247], v[102:103]
	v_fma_f64 v[246:247], v[244:245], v[104:105], -v[102:103]
	;; [unrolled: 3-line block ×3, first 2 shown]
	v_add_f64 v[202:203], v[202:203], 0
	v_add_f64 v[192:193], v[202:203], v[192:193]
	;; [unrolled: 1-line block ×7, first 2 shown]
	v_mul_f64 v[4:5], v[4:5], v[118:119]
	v_add_f64 v[192:193], v[252:253], v[250:251]
	v_fma_f64 v[2:3], v[2:3], v[120:121], -v[4:5]
	v_mul_f64 v[4:5], v[8:9], v[126:127]
	v_add_f64 v[2:3], v[192:193], v[2:3]
	v_fma_f64 v[4:5], v[6:7], v[128:129], -v[4:5]
	v_add_f64 v[2:3], v[2:3], v[4:5]
	ds_read_b128 v[106:109], v1 offset:1424
	v_mul_f64 v[4:5], v[12:13], v[122:123]
	v_fma_f64 v[4:5], v[10:11], v[124:125], -v[4:5]
	v_add_f64 v[2:3], v[2:3], v[4:5]
	s_waitcnt vmcnt(26) lgkmcnt(3)
	v_mul_f64 v[100:101], v[86:87], v[212:213]
	v_mul_f64 v[4:5], v[16:17], v[138:139]
	s_waitcnt vmcnt(24)
	v_fmac_f64_e32 v[100:101], v[88:89], v[214:215]
	v_add_f64 v[98:99], v[98:99], v[100:101]
	s_waitcnt vmcnt(22)
	v_mul_f64 v[100:101], v[90:91], v[216:217]
	s_waitcnt vmcnt(20)
	v_fmac_f64_e32 v[100:101], v[92:93], v[220:221]
	v_add_f64 v[98:99], v[98:99], v[100:101]
	s_waitcnt vmcnt(18) lgkmcnt(2)
	v_mul_f64 v[100:101], v[94:95], v[218:219]
	s_waitcnt vmcnt(16)
	v_fmac_f64_e32 v[100:101], v[96:97], v[222:223]
	v_add_f64 v[110:111], v[98:99], v[100:101]
	ds_read_b128 v[98:101], v1 offset:1392
	v_fma_f64 v[4:5], v[14:15], v[140:141], -v[4:5]
	v_add_f64 v[2:3], v[2:3], v[4:5]
	v_mul_f64 v[4:5], v[20:21], v[130:131]
	v_fma_f64 v[4:5], v[18:19], v[132:133], -v[4:5]
	s_waitcnt vmcnt(14) lgkmcnt(0)
	v_mul_f64 v[112:113], v[98:99], v[226:227]
	s_waitcnt vmcnt(12)
	v_fmac_f64_e32 v[112:113], v[100:101], v[228:229]
	v_add_f64 v[110:111], v[110:111], v[112:113]
	s_waitcnt vmcnt(9)
	v_mul_f64 v[112:113], v[102:103], v[232:233]
	s_waitcnt vmcnt(7)
	v_fmac_f64_e32 v[112:113], v[104:105], v[234:235]
	v_add_f64 v[110:111], v[110:111], v[112:113]
	s_waitcnt vmcnt(5)
	v_mul_f64 v[112:113], v[106:107], v[224:225]
	s_waitcnt vmcnt(4)
	v_fmac_f64_e32 v[112:113], v[108:109], v[230:231]
	v_add_f64 v[114:115], v[110:111], v[112:113]
	ds_read_b128 v[110:113], v1 offset:1440
	buffer_load_dword v242, off, s[0:3], 0 offset:744
	buffer_load_dword v243, off, s[0:3], 0 offset:748
	;; [unrolled: 1-line block ×4, first 2 shown]
	v_add_f64 v[2:3], v[2:3], v[4:5]
	v_mul_f64 v[4:5], v[24:25], v[154:155]
	v_fma_f64 v[4:5], v[22:23], v[158:159], -v[4:5]
	s_waitcnt vmcnt(6) lgkmcnt(0)
	v_mul_f64 v[116:117], v[110:111], v[236:237]
	s_waitcnt vmcnt(4)
	v_fmac_f64_e32 v[116:117], v[112:113], v[238:239]
	v_add_f64 v[240:241], v[114:115], v[116:117]
	ds_read_b128 v[114:117], v1 offset:1456
	v_add_f64 v[2:3], v[2:3], v[4:5]
	v_mul_f64 v[4:5], v[28:29], v[134:135]
	v_fma_f64 v[4:5], v[26:27], v[136:137], -v[4:5]
	v_add_f64 v[2:3], v[2:3], v[4:5]
	v_mul_f64 v[4:5], v[32:33], v[162:163]
	v_fma_f64 v[4:5], v[30:31], v[166:167], -v[4:5]
	;; [unrolled: 3-line block ×22, first 2 shown]
	v_add_f64 v[2:3], v[2:3], v[4:5]
	s_waitcnt vmcnt(2) lgkmcnt(0)
	v_mul_f64 v[248:249], v[114:115], v[242:243]
	v_mul_f64 v[4:5], v[116:117], v[242:243]
	s_waitcnt vmcnt(0)
	v_fmac_f64_e32 v[248:249], v[116:117], v[244:245]
	v_add_f64 v[240:241], v[240:241], v[248:249]
	buffer_load_dword v248, off, s[0:3], 0 offset:144
	buffer_load_dword v249, off, s[0:3], 0 offset:148
	;; [unrolled: 1-line block ×4, first 2 shown]
	v_fma_f64 v[4:5], v[114:115], v[244:245], -v[4:5]
	v_add_f64 v[2:3], v[2:3], v[4:5]
	s_waitcnt vmcnt(2)
	v_add_f64 v[2:3], v[248:249], -v[2:3]
	s_waitcnt vmcnt(0)
	v_add_f64 v[4:5], v[246:247], -v[240:241]
	buffer_store_dword v3, off, s[0:3], 0 offset:148
	buffer_store_dword v2, off, s[0:3], 0 offset:144
	;; [unrolled: 1-line block ×4, first 2 shown]
	s_and_saveexec_b64 s[4:5], vcc
	s_cbranch_execz .LBB45_275
; %bb.274:
	v_accvgpr_read_b32 v0, a130
	buffer_load_dword v2, v0, s[0:3], 0 offen
	buffer_load_dword v3, v0, s[0:3], 0 offen offset:4
	buffer_load_dword v4, v0, s[0:3], 0 offen offset:8
	;; [unrolled: 1-line block ×3, first 2 shown]
	v_accvgpr_read_b32 v0, a138
	buffer_store_dword v1, off, s[0:3], 0 offset:128
	buffer_store_dword v1, off, s[0:3], 0 offset:132
	;; [unrolled: 1-line block ×4, first 2 shown]
	s_waitcnt vmcnt(4)
	ds_write_b128 v0, v[2:5]
.LBB45_275:
	s_or_b64 exec, exec, s[4:5]
	s_waitcnt lgkmcnt(0)
	; wave barrier
	s_waitcnt lgkmcnt(0)
	buffer_load_dword v66, off, s[0:3], 0 offset:144
	buffer_load_dword v67, off, s[0:3], 0 offset:148
	;; [unrolled: 1-line block ×42, first 2 shown]
	ds_read_b128 v[78:81], v1 offset:864
	ds_read_b128 v[90:93], v1 offset:880
	;; [unrolled: 1-line block ×10, first 2 shown]
	buffer_load_dword v129, off, s[0:3], 0 offset:292
	buffer_load_dword v128, off, s[0:3], 0 offset:288
	ds_read_b128 v[6:9], v1 offset:1024
	buffer_load_dword v125, off, s[0:3], 0 offset:348
	buffer_load_dword v124, off, s[0:3], 0 offset:344
	;; [unrolled: 1-line block ×80, first 2 shown]
	s_waitcnt vmcnt(62) lgkmcnt(10)
	v_mul_f64 v[10:11], v[78:79], v[68:69]
	v_fmac_f64_e32 v[10:11], v[80:81], v[66:67]
	v_add_f64 v[10:11], v[10:11], 0
	v_mul_f64 v[68:69], v[80:81], v[68:69]
	s_waitcnt lgkmcnt(9)
	v_mul_f64 v[12:13], v[90:91], v[64:65]
	v_fmac_f64_e32 v[12:13], v[92:93], v[62:63]
	s_waitcnt lgkmcnt(8)
	v_mul_f64 v[14:15], v[102:103], v[70:71]
	v_add_f64 v[10:11], v[10:11], v[12:13]
	s_waitcnt lgkmcnt(6)
	v_mul_f64 v[18:19], v[114:115], v[82:83]
	v_mul_f64 v[64:65], v[92:93], v[64:65]
	v_fmac_f64_e32 v[18:19], v[116:117], v[84:85]
	v_fma_f64 v[204:205], v[90:91], v[62:63], -v[64:65]
	v_mul_f64 v[16:17], v[110:111], v[74:75]
	v_fma_f64 v[202:203], v[78:79], v[66:67], -v[68:69]
	s_waitcnt lgkmcnt(4)
	v_mul_f64 v[22:23], v[244:245], v[94:95]
	v_mul_f64 v[70:71], v[104:105], v[70:71]
	v_fmac_f64_e32 v[22:23], v[246:247], v[96:97]
	v_mul_f64 v[74:75], v[112:113], v[74:75]
	v_mul_f64 v[20:21], v[240:241], v[86:87]
	;; [unrolled: 1-line block ×3, first 2 shown]
	s_waitcnt lgkmcnt(2)
	v_mul_f64 v[26:27], v[252:253], v[106:107]
	v_fma_f64 v[208:209], v[114:115], v[84:85], -v[82:83]
	v_mul_f64 v[86:87], v[242:243], v[86:87]
	v_mul_f64 v[24:25], v[248:249], v[98:99]
	;; [unrolled: 1-line block ×3, first 2 shown]
	s_waitcnt lgkmcnt(1)
	v_mul_f64 v[28:29], v[118:119], v[4:5]
	v_fma_f64 v[246:247], v[244:245], v[96:97], -v[94:95]
	v_fmac_f64_e32 v[14:15], v[104:105], v[72:73]
	v_add_f64 v[10:11], v[10:11], v[14:15]
	v_fmac_f64_e32 v[16:17], v[112:113], v[76:77]
	v_add_f64 v[10:11], v[10:11], v[16:17]
	;; [unrolled: 2-line block ×3, first 2 shown]
	v_add_f64 v[10:11], v[10:11], v[20:21]
	v_fmac_f64_e32 v[24:25], v[250:251], v[100:101]
	v_add_f64 v[10:11], v[10:11], v[22:23]
	v_fmac_f64_e32 v[26:27], v[254:255], v[108:109]
	v_add_f64 v[10:11], v[10:11], v[24:25]
	v_add_f64 v[10:11], v[10:11], v[26:27]
	s_waitcnt lgkmcnt(0)
	v_mul_f64 v[16:17], v[6:7], v[2:3]
	v_fmac_f64_e32 v[28:29], v[120:121], v[128:129]
	v_add_f64 v[14:15], v[10:11], v[28:29]
	ds_read_b128 v[10:13], v1 offset:1040
	v_fmac_f64_e32 v[16:17], v[8:9], v[122:123]
	v_add_f64 v[18:19], v[14:15], v[16:17]
	ds_read_b128 v[14:17], v1 offset:1056
	v_fma_f64 v[206:207], v[110:111], v[76:77], -v[74:75]
	s_waitcnt lgkmcnt(1)
	v_mul_f64 v[20:21], v[10:11], v[130:131]
	v_fmac_f64_e32 v[20:21], v[12:13], v[146:147]
	v_add_f64 v[22:23], v[18:19], v[20:21]
	ds_read_b128 v[18:21], v1 offset:1072
	s_waitcnt lgkmcnt(1)
	v_mul_f64 v[24:25], v[14:15], v[124:125]
	v_fmac_f64_e32 v[24:25], v[16:17], v[126:127]
	v_add_f64 v[26:27], v[22:23], v[24:25]
	ds_read_b128 v[22:25], v1 offset:1088
	s_waitcnt lgkmcnt(1)
	v_mul_f64 v[28:29], v[18:19], v[150:151]
	v_fmac_f64_e32 v[28:29], v[20:21], v[154:155]
	v_add_f64 v[30:31], v[26:27], v[28:29]
	ds_read_b128 v[26:29], v1 offset:1104
	s_waitcnt lgkmcnt(1)
	v_mul_f64 v[32:33], v[22:23], v[132:133]
	v_fmac_f64_e32 v[32:33], v[24:25], v[134:135]
	v_add_f64 v[34:35], v[30:31], v[32:33]
	ds_read_b128 v[30:33], v1 offset:1120
	s_waitcnt vmcnt(58) lgkmcnt(1)
	v_mul_f64 v[36:37], v[26:27], v[158:159]
	s_waitcnt vmcnt(56)
	v_fmac_f64_e32 v[36:37], v[28:29], v[162:163]
	v_add_f64 v[38:39], v[34:35], v[36:37]
	ds_read_b128 v[34:37], v1 offset:1136
	s_waitcnt lgkmcnt(1)
	v_mul_f64 v[40:41], v[30:31], v[136:137]
	v_fmac_f64_e32 v[40:41], v[32:33], v[138:139]
	v_add_f64 v[42:43], v[38:39], v[40:41]
	ds_read_b128 v[38:41], v1 offset:1152
	s_waitcnt vmcnt(50) lgkmcnt(1)
	v_mul_f64 v[44:45], v[34:35], v[166:167]
	s_waitcnt vmcnt(48)
	v_fmac_f64_e32 v[44:45], v[36:37], v[170:171]
	v_add_f64 v[46:47], v[42:43], v[44:45]
	ds_read_b128 v[42:45], v1 offset:1168
	s_waitcnt lgkmcnt(1)
	v_mul_f64 v[48:49], v[38:39], v[140:141]
	v_fmac_f64_e32 v[48:49], v[40:41], v[142:143]
	v_add_f64 v[50:51], v[46:47], v[48:49]
	ds_read_b128 v[46:49], v1 offset:1184
	s_waitcnt vmcnt(42) lgkmcnt(1)
	v_mul_f64 v[52:53], v[42:43], v[174:175]
	s_waitcnt vmcnt(40)
	v_fmac_f64_e32 v[52:53], v[44:45], v[178:179]
	v_add_f64 v[54:55], v[50:51], v[52:53]
	ds_read_b128 v[50:53], v1 offset:1200
	s_waitcnt lgkmcnt(1)
	v_mul_f64 v[56:57], v[46:47], v[144:145]
	buffer_load_dword v217, off, s[0:3], 0 offset:652
	buffer_load_dword v216, off, s[0:3], 0 offset:648
	;; [unrolled: 1-line block ×4, first 2 shown]
	v_fmac_f64_e32 v[56:57], v[48:49], v[148:149]
	v_add_f64 v[58:59], v[54:55], v[56:57]
	ds_read_b128 v[54:57], v1 offset:1216
	buffer_load_dword v222, off, s[0:3], 0 offset:664
	buffer_load_dword v224, off, s[0:3], 0 offset:656
	;; [unrolled: 1-line block ×16, first 2 shown]
	s_waitcnt vmcnt(54) lgkmcnt(1)
	v_mul_f64 v[60:61], v[50:51], v[182:183]
	s_waitcnt vmcnt(52)
	v_fmac_f64_e32 v[60:61], v[52:53], v[186:187]
	v_add_f64 v[192:193], v[58:59], v[60:61]
	ds_read_b128 v[58:61], v1 offset:1232
	buffer_load_dword v236, off, s[0:3], 0 offset:728
	buffer_load_dword v238, off, s[0:3], 0 offset:720
	;; [unrolled: 1-line block ×4, first 2 shown]
	ds_read_b128 v[62:65], v1 offset:1248
	s_waitcnt lgkmcnt(2)
	v_mul_f64 v[66:67], v[54:55], v[152:153]
	v_fmac_f64_e32 v[66:67], v[56:57], v[156:157]
	s_waitcnt vmcnt(50) lgkmcnt(1)
	v_mul_f64 v[68:69], v[58:59], v[190:191]
	v_add_f64 v[66:67], v[192:193], v[66:67]
	s_waitcnt vmcnt(48)
	v_fmac_f64_e32 v[68:69], v[60:61], v[194:195]
	v_add_f64 v[66:67], v[66:67], v[68:69]
	v_fma_f64 v[192:193], v[102:103], v[72:73], -v[70:71]
	ds_read_b128 v[70:73], v1 offset:1280
	s_waitcnt lgkmcnt(1)
	v_mul_f64 v[68:69], v[62:63], v[160:161]
	v_fmac_f64_e32 v[68:69], v[64:65], v[164:165]
	v_add_f64 v[78:79], v[66:67], v[68:69]
	ds_read_b128 v[66:69], v1 offset:1264
	ds_read_b128 v[74:77], v1 offset:1296
	;; [unrolled: 1-line block ×3, first 2 shown]
	v_accvgpr_write_b32 a141, v3
	v_accvgpr_write_b32 a140, v2
	s_waitcnt vmcnt(42) lgkmcnt(2)
	v_mul_f64 v[80:81], v[66:67], v[196:197]
	s_waitcnt vmcnt(40)
	v_fmac_f64_e32 v[80:81], v[68:69], v[198:199]
	v_add_f64 v[78:79], v[78:79], v[80:81]
	v_mul_f64 v[80:81], v[70:71], v[168:169]
	v_fmac_f64_e32 v[80:81], v[72:73], v[172:173]
	v_add_f64 v[90:91], v[78:79], v[80:81]
	ds_read_b128 v[78:81], v1 offset:1312
	s_waitcnt vmcnt(34) lgkmcnt(2)
	v_mul_f64 v[92:93], v[74:75], v[200:201]
	s_waitcnt vmcnt(32)
	v_fmac_f64_e32 v[92:93], v[76:77], v[210:211]
	v_fma_f64 v[2:3], v[240:241], v[88:89], -v[86:87]
	ds_read_b128 v[86:89], v1 offset:1344
	ds_read_b128 v[94:97], v1 offset:1376
	v_add_f64 v[90:91], v[90:91], v[92:93]
	s_waitcnt lgkmcnt(2)
	v_mul_f64 v[92:93], v[78:79], v[176:177]
	v_fmac_f64_e32 v[92:93], v[80:81], v[180:181]
	v_add_f64 v[90:91], v[90:91], v[92:93]
	s_waitcnt vmcnt(26)
	v_mul_f64 v[92:93], v[82:83], v[212:213]
	s_waitcnt vmcnt(24)
	v_fmac_f64_e32 v[92:93], v[84:85], v[214:215]
	v_add_f64 v[90:91], v[90:91], v[92:93]
	s_waitcnt lgkmcnt(1)
	v_mul_f64 v[92:93], v[86:87], v[184:185]
	v_fmac_f64_e32 v[92:93], v[88:89], v[188:189]
	v_add_f64 v[102:103], v[90:91], v[92:93]
	ds_read_b128 v[90:93], v1 offset:1360
	v_mul_f64 v[98:99], v[250:251], v[98:99]
	v_fma_f64 v[250:251], v[248:249], v[100:101], -v[98:99]
	ds_read_b128 v[98:101], v1 offset:1392
	v_mul_f64 v[106:107], v[254:255], v[106:107]
	v_fma_f64 v[252:253], v[252:253], v[108:109], -v[106:107]
	v_add_f64 v[202:203], v[202:203], 0
	v_add_f64 v[202:203], v[202:203], v[204:205]
	;; [unrolled: 1-line block ×8, first 2 shown]
	v_mul_f64 v[4:5], v[120:121], v[4:5]
	v_add_f64 v[2:3], v[2:3], v[252:253]
	v_fma_f64 v[4:5], v[118:119], v[128:129], -v[4:5]
	v_add_f64 v[2:3], v[2:3], v[4:5]
	ds_read_b128 v[106:109], v1 offset:1424
	s_waitcnt vmcnt(13) lgkmcnt(1)
	v_mul_f64 v[112:113], v[98:99], v[226:227]
	v_mul_f64 v[104:105], v[90:91], v[216:217]
	s_waitcnt vmcnt(11)
	v_fmac_f64_e32 v[112:113], v[100:101], v[232:233]
	v_fmac_f64_e32 v[104:105], v[92:93], v[218:219]
	v_add_f64 v[102:103], v[102:103], v[104:105]
	v_mul_f64 v[104:105], v[94:95], v[222:223]
	v_fmac_f64_e32 v[104:105], v[96:97], v[224:225]
	v_add_f64 v[110:111], v[102:103], v[104:105]
	ds_read_b128 v[102:105], v1 offset:1408
	v_add_f64 v[110:111], v[110:111], v[112:113]
	s_waitcnt vmcnt(10) lgkmcnt(0)
	v_mul_f64 v[112:113], v[102:103], v[220:221]
	s_waitcnt vmcnt(8)
	v_fmac_f64_e32 v[112:113], v[104:105], v[230:231]
	v_add_f64 v[110:111], v[110:111], v[112:113]
	s_waitcnt vmcnt(6)
	v_mul_f64 v[112:113], v[106:107], v[228:229]
	s_waitcnt vmcnt(4)
	v_fmac_f64_e32 v[112:113], v[108:109], v[234:235]
	v_add_f64 v[114:115], v[110:111], v[112:113]
	ds_read_b128 v[110:113], v1 offset:1440
	buffer_load_dword v243, off, s[0:3], 0 offset:748
	buffer_load_dword v242, off, s[0:3], 0 offset:744
	;; [unrolled: 1-line block ×4, first 2 shown]
	s_waitcnt vmcnt(5) lgkmcnt(0)
	v_mul_f64 v[116:117], v[110:111], v[236:237]
	s_waitcnt vmcnt(4)
	v_fmac_f64_e32 v[116:117], v[112:113], v[238:239]
	v_add_f64 v[240:241], v[114:115], v[116:117]
	ds_read_b128 v[114:117], v1 offset:1456
	v_accvgpr_read_b32 v0, a140
	v_accvgpr_read_b32 v1, a141
	v_mul_f64 v[4:5], v[8:9], v[0:1]
	v_fma_f64 v[4:5], v[6:7], v[122:123], -v[4:5]
	v_add_f64 v[2:3], v[2:3], v[4:5]
	v_mul_f64 v[4:5], v[12:13], v[130:131]
	v_fma_f64 v[4:5], v[10:11], v[146:147], -v[4:5]
	v_add_f64 v[2:3], v[2:3], v[4:5]
	;; [unrolled: 3-line block ×22, first 2 shown]
	v_mul_f64 v[4:5], v[96:97], v[222:223]
	v_fma_f64 v[4:5], v[94:95], v[224:225], -v[4:5]
	s_waitcnt vmcnt(2) lgkmcnt(0)
	v_mul_f64 v[248:249], v[114:115], v[242:243]
	v_add_f64 v[2:3], v[2:3], v[4:5]
	s_waitcnt vmcnt(0)
	v_fmac_f64_e32 v[248:249], v[116:117], v[244:245]
	v_add_f64 v[240:241], v[240:241], v[248:249]
	buffer_load_dword v248, off, s[0:3], 0 offset:128
	buffer_load_dword v249, off, s[0:3], 0 offset:132
	buffer_load_dword v246, off, s[0:3], 0 offset:136
	buffer_load_dword v247, off, s[0:3], 0 offset:140
	v_mul_f64 v[4:5], v[100:101], v[226:227]
	v_fma_f64 v[4:5], v[98:99], v[232:233], -v[4:5]
	v_add_f64 v[2:3], v[2:3], v[4:5]
	v_mul_f64 v[4:5], v[104:105], v[220:221]
	v_fma_f64 v[4:5], v[102:103], v[230:231], -v[4:5]
	v_add_f64 v[2:3], v[2:3], v[4:5]
	;; [unrolled: 3-line block ×5, first 2 shown]
	v_accvgpr_read_b32 v0, a137
	v_cmp_lt_u32_e32 vcc, 6, v0
	s_waitcnt vmcnt(2)
	v_add_f64 v[2:3], v[248:249], -v[2:3]
	s_waitcnt vmcnt(0)
	v_add_f64 v[4:5], v[246:247], -v[240:241]
	buffer_store_dword v3, off, s[0:3], 0 offset:132
	buffer_store_dword v2, off, s[0:3], 0 offset:128
	;; [unrolled: 1-line block ×4, first 2 shown]
	s_and_saveexec_b64 s[4:5], vcc
	s_cbranch_execz .LBB45_277
; %bb.276:
	v_accvgpr_read_b32 v0, a131
	buffer_load_dword v2, v0, s[0:3], 0 offen
	buffer_load_dword v3, v0, s[0:3], 0 offen offset:4
	buffer_load_dword v4, v0, s[0:3], 0 offen offset:8
	;; [unrolled: 1-line block ×3, first 2 shown]
	v_mov_b32_e32 v0, 0
	v_accvgpr_read_b32 v1, a138
	buffer_store_dword v0, off, s[0:3], 0 offset:112
	buffer_store_dword v0, off, s[0:3], 0 offset:116
	;; [unrolled: 1-line block ×4, first 2 shown]
	s_waitcnt vmcnt(4)
	ds_write_b128 v1, v[2:5]
.LBB45_277:
	s_or_b64 exec, exec, s[4:5]
	s_waitcnt lgkmcnt(0)
	; wave barrier
	s_waitcnt lgkmcnt(0)
	buffer_load_dword v54, off, s[0:3], 0 offset:128
	buffer_load_dword v55, off, s[0:3], 0 offset:132
	;; [unrolled: 1-line block ×49, first 2 shown]
	s_waitcnt vmcnt(8)
	v_accvgpr_write_b32 a141, v3
	s_waitcnt vmcnt(7)
	v_pk_mov_b32 v[4:5], v[0:1], v[0:1] op_sel:[0,1]
	v_mov_b32_e32 v1, 0
	ds_read_b128 v[62:65], v1 offset:848
	ds_read_b128 v[74:77], v1 offset:864
	;; [unrolled: 1-line block ×11, first 2 shown]
	s_waitcnt lgkmcnt(10)
	v_mul_f64 v[6:7], v[62:63], v[56:57]
	s_waitcnt lgkmcnt(9)
	v_mul_f64 v[8:9], v[74:75], v[60:61]
	v_fmac_f64_e32 v[6:7], v[64:65], v[54:55]
	s_waitcnt lgkmcnt(8)
	v_mul_f64 v[10:11], v[86:87], v[66:67]
	v_fmac_f64_e32 v[8:9], v[76:77], v[58:59]
	v_add_f64 v[6:7], v[6:7], 0
	s_waitcnt lgkmcnt(7)
	v_mul_f64 v[12:13], v[98:99], v[70:71]
	v_fmac_f64_e32 v[10:11], v[88:89], v[68:69]
	v_add_f64 v[6:7], v[6:7], v[8:9]
	;; [unrolled: 4-line block ×4, first 2 shown]
	buffer_load_dword v126, off, s[0:3], 0 offset:312
	buffer_load_dword v143, off, s[0:3], 0 offset:308
	buffer_load_dword v142, off, s[0:3], 0 offset:304
	buffer_load_dword v129, off, s[0:3], 0 offset:364
	buffer_load_dword v128, off, s[0:3], 0 offset:360
	buffer_load_dword v131, off, s[0:3], 0 offset:356
	buffer_load_dword v130, off, s[0:3], 0 offset:352
	buffer_load_dword v147, off, s[0:3], 0 offset:348
	buffer_load_dword v146, off, s[0:3], 0 offset:344
	buffer_load_dword v151, off, s[0:3], 0 offset:340
	buffer_load_dword v150, off, s[0:3], 0 offset:336
	buffer_load_dword v133, off, s[0:3], 0 offset:396
	buffer_load_dword v132, off, s[0:3], 0 offset:392
	buffer_load_dword v135, off, s[0:3], 0 offset:388
	buffer_load_dword v134, off, s[0:3], 0 offset:384
	buffer_load_dword v155, off, s[0:3], 0 offset:380
	buffer_load_dword v154, off, s[0:3], 0 offset:376
	buffer_load_dword v159, off, s[0:3], 0 offset:372
	buffer_load_dword v158, off, s[0:3], 0 offset:368
	buffer_load_dword v137, off, s[0:3], 0 offset:428
	buffer_load_dword v136, off, s[0:3], 0 offset:424
	buffer_load_dword v139, off, s[0:3], 0 offset:420
	buffer_load_dword v138, off, s[0:3], 0 offset:416
	buffer_load_dword v163, off, s[0:3], 0 offset:412
	buffer_load_dword v162, off, s[0:3], 0 offset:408
	buffer_load_dword v167, off, s[0:3], 0 offset:404
	buffer_load_dword v166, off, s[0:3], 0 offset:400
	buffer_load_dword v141, off, s[0:3], 0 offset:460
	buffer_load_dword v140, off, s[0:3], 0 offset:456
	buffer_load_dword v145, off, s[0:3], 0 offset:452
	buffer_load_dword v144, off, s[0:3], 0 offset:448
	buffer_load_dword v171, off, s[0:3], 0 offset:444
	buffer_load_dword v170, off, s[0:3], 0 offset:440
	buffer_load_dword v175, off, s[0:3], 0 offset:436
	buffer_load_dword v174, off, s[0:3], 0 offset:432
	buffer_load_dword v149, off, s[0:3], 0 offset:492
	buffer_load_dword v148, off, s[0:3], 0 offset:488
	buffer_load_dword v153, off, s[0:3], 0 offset:484
	buffer_load_dword v152, off, s[0:3], 0 offset:480
	buffer_load_dword v179, off, s[0:3], 0 offset:476
	buffer_load_dword v178, off, s[0:3], 0 offset:472
	buffer_load_dword v183, off, s[0:3], 0 offset:468
	buffer_load_dword v182, off, s[0:3], 0 offset:464
	buffer_load_dword v157, off, s[0:3], 0 offset:524
	buffer_load_dword v156, off, s[0:3], 0 offset:520
	buffer_load_dword v161, off, s[0:3], 0 offset:516
	buffer_load_dword v160, off, s[0:3], 0 offset:512
	buffer_load_dword v187, off, s[0:3], 0 offset:508
	buffer_load_dword v186, off, s[0:3], 0 offset:504
	buffer_load_dword v189, off, s[0:3], 0 offset:500
	buffer_load_dword v188, off, s[0:3], 0 offset:496
	buffer_load_dword v165, off, s[0:3], 0 offset:556
	buffer_load_dword v164, off, s[0:3], 0 offset:552
	buffer_load_dword v169, off, s[0:3], 0 offset:548
	buffer_load_dword v168, off, s[0:3], 0 offset:544
	buffer_load_dword v191, off, s[0:3], 0 offset:540
	buffer_load_dword v190, off, s[0:3], 0 offset:536
	buffer_load_dword v195, off, s[0:3], 0 offset:532
	buffer_load_dword v194, off, s[0:3], 0 offset:528
	buffer_load_dword v173, off, s[0:3], 0 offset:588
	buffer_load_dword v172, off, s[0:3], 0 offset:584
	buffer_load_dword v177, off, s[0:3], 0 offset:580
	buffer_load_dword v176, off, s[0:3], 0 offset:576
	buffer_load_dword v197, off, s[0:3], 0 offset:572
	buffer_load_dword v196, off, s[0:3], 0 offset:568
	buffer_load_dword v211, off, s[0:3], 0 offset:564
	buffer_load_dword v210, off, s[0:3], 0 offset:560
	buffer_load_dword v181, off, s[0:3], 0 offset:620
	buffer_load_dword v180, off, s[0:3], 0 offset:616
	buffer_load_dword v185, off, s[0:3], 0 offset:612
	buffer_load_dword v184, off, s[0:3], 0 offset:608
	buffer_load_dword v213, off, s[0:3], 0 offset:604
	buffer_load_dword v212, off, s[0:3], 0 offset:600
	buffer_load_dword v215, off, s[0:3], 0 offset:596
	buffer_load_dword v214, off, s[0:3], 0 offset:592
	s_waitcnt lgkmcnt(4)
	v_mul_f64 v[18:19], v[238:239], v[90:91]
	v_fmac_f64_e32 v[16:17], v[116:117], v[84:85]
	v_add_f64 v[6:7], v[6:7], v[14:15]
	s_waitcnt lgkmcnt(3)
	v_mul_f64 v[20:21], v[242:243], v[94:95]
	v_fmac_f64_e32 v[18:19], v[240:241], v[92:93]
	v_add_f64 v[6:7], v[6:7], v[16:17]
	;; [unrolled: 4-line block ×4, first 2 shown]
	v_add_f64 v[6:7], v[6:7], v[22:23]
	s_waitcnt vmcnt(62)
	v_fmac_f64_e32 v[24:25], v[252:253], v[108:109]
	v_add_f64 v[10:11], v[6:7], v[24:25]
	ds_read_b128 v[6:9], v1 offset:1024
	s_waitcnt lgkmcnt(1)
	v_mul_f64 v[12:13], v[118:119], v[4:5]
	v_fmac_f64_e32 v[12:13], v[120:121], v[2:3]
	v_add_f64 v[14:15], v[10:11], v[12:13]
	ds_read_b128 v[10:13], v1 offset:1040
	s_waitcnt lgkmcnt(1)
	v_mul_f64 v[16:17], v[6:7], v[126:127]
	;; [unrolled: 5-line block ×5, first 2 shown]
	v_fmac_f64_e32 v[28:29], v[20:21], v[130:131]
	v_add_f64 v[30:31], v[26:27], v[28:29]
	ds_read_b128 v[26:29], v1 offset:1104
	s_waitcnt vmcnt(58) lgkmcnt(1)
	v_mul_f64 v[32:33], v[22:23], v[154:155]
	s_waitcnt vmcnt(56)
	v_fmac_f64_e32 v[32:33], v[24:25], v[158:159]
	v_add_f64 v[34:35], v[30:31], v[32:33]
	ds_read_b128 v[30:33], v1 offset:1120
	s_waitcnt lgkmcnt(1)
	v_mul_f64 v[36:37], v[26:27], v[132:133]
	v_fmac_f64_e32 v[36:37], v[28:29], v[134:135]
	v_add_f64 v[38:39], v[34:35], v[36:37]
	ds_read_b128 v[34:37], v1 offset:1136
	s_waitcnt vmcnt(50) lgkmcnt(1)
	v_mul_f64 v[40:41], v[30:31], v[162:163]
	s_waitcnt vmcnt(48)
	v_fmac_f64_e32 v[40:41], v[32:33], v[166:167]
	v_add_f64 v[42:43], v[38:39], v[40:41]
	ds_read_b128 v[38:41], v1 offset:1152
	s_waitcnt lgkmcnt(1)
	v_mul_f64 v[44:45], v[34:35], v[136:137]
	;; [unrolled: 11-line block ×3, first 2 shown]
	buffer_load_dword v199, off, s[0:3], 0 offset:636
	buffer_load_dword v198, off, s[0:3], 0 offset:632
	;; [unrolled: 1-line block ×4, first 2 shown]
	v_fmac_f64_e32 v[52:53], v[44:45], v[144:145]
	v_add_f64 v[192:193], v[50:51], v[52:53]
	ds_read_b128 v[50:53], v1 offset:1200
	buffer_load_dword v218, off, s[0:3], 0 offset:648
	buffer_load_dword v220, off, s[0:3], 0 offset:640
	;; [unrolled: 1-line block ×20, first 2 shown]
	v_mul_f64 v[56:57], v[64:65], v[56:57]
	v_fma_f64 v[202:203], v[62:63], v[54:55], -v[56:57]
	ds_read_b128 v[54:57], v1 offset:1216
	v_mul_f64 v[60:61], v[76:77], v[60:61]
	v_fma_f64 v[204:205], v[74:75], v[58:59], -v[60:61]
	ds_read_b128 v[58:61], v1 offset:1232
	s_waitcnt vmcnt(58) lgkmcnt(3)
	v_mul_f64 v[200:201], v[46:47], v[178:179]
	s_waitcnt vmcnt(56)
	v_fmac_f64_e32 v[200:201], v[48:49], v[182:183]
	s_waitcnt lgkmcnt(2)
	v_mul_f64 v[62:63], v[50:51], v[148:149]
	v_add_f64 v[192:193], v[192:193], v[200:201]
	v_fmac_f64_e32 v[62:63], v[52:53], v[152:153]
	s_waitcnt vmcnt(50) lgkmcnt(1)
	v_mul_f64 v[64:65], v[54:55], v[186:187]
	v_add_f64 v[62:63], v[192:193], v[62:63]
	s_waitcnt vmcnt(48)
	v_fmac_f64_e32 v[64:65], v[56:57], v[188:189]
	v_add_f64 v[62:63], v[62:63], v[64:65]
	s_waitcnt lgkmcnt(0)
	v_mul_f64 v[64:65], v[58:59], v[156:157]
	v_fmac_f64_e32 v[64:65], v[60:61], v[160:161]
	v_add_f64 v[74:75], v[62:63], v[64:65]
	ds_read_b128 v[62:65], v1 offset:1248
	v_mul_f64 v[66:67], v[88:89], v[66:67]
	v_fma_f64 v[192:193], v[86:87], v[68:69], -v[66:67]
	ds_read_b128 v[66:69], v1 offset:1264
	v_mul_f64 v[70:71], v[100:101], v[70:71]
	s_waitcnt vmcnt(42) lgkmcnt(1)
	v_mul_f64 v[76:77], v[62:63], v[190:191]
	s_waitcnt vmcnt(40)
	v_fmac_f64_e32 v[76:77], v[64:65], v[194:195]
	v_add_f64 v[74:75], v[74:75], v[76:77]
	v_fma_f64 v[206:207], v[98:99], v[72:73], -v[70:71]
	ds_read_b128 v[70:73], v1 offset:1280
	s_waitcnt lgkmcnt(1)
	v_mul_f64 v[76:77], v[66:67], v[164:165]
	v_fmac_f64_e32 v[76:77], v[68:69], v[168:169]
	v_add_f64 v[86:87], v[74:75], v[76:77]
	ds_read_b128 v[74:77], v1 offset:1296
	v_mul_f64 v[78:79], v[112:113], v[78:79]
	v_fma_f64 v[208:209], v[110:111], v[80:81], -v[78:79]
	ds_read_b128 v[78:81], v1 offset:1312
	s_waitcnt vmcnt(34) lgkmcnt(2)
	v_mul_f64 v[88:89], v[70:71], v[196:197]
	v_mul_f64 v[82:83], v[116:117], v[82:83]
	s_waitcnt vmcnt(32)
	v_fmac_f64_e32 v[88:89], v[72:73], v[210:211]
	v_fma_f64 v[254:255], v[114:115], v[84:85], -v[82:83]
	ds_read_b128 v[82:85], v1 offset:1328
	v_add_f64 v[86:87], v[86:87], v[88:89]
	s_waitcnt lgkmcnt(2)
	v_mul_f64 v[88:89], v[74:75], v[172:173]
	v_fmac_f64_e32 v[88:89], v[76:77], v[176:177]
	v_add_f64 v[86:87], v[86:87], v[88:89]
	s_waitcnt vmcnt(26) lgkmcnt(1)
	v_mul_f64 v[88:89], v[78:79], v[212:213]
	s_waitcnt vmcnt(24)
	v_fmac_f64_e32 v[88:89], v[80:81], v[214:215]
	v_add_f64 v[86:87], v[86:87], v[88:89]
	s_waitcnt lgkmcnt(0)
	v_mul_f64 v[88:89], v[82:83], v[180:181]
	v_fmac_f64_e32 v[88:89], v[84:85], v[184:185]
	v_add_f64 v[98:99], v[86:87], v[88:89]
	ds_read_b128 v[86:89], v1 offset:1344
	v_accvgpr_write_b32 a143, v5
	v_mul_f64 v[90:91], v[240:241], v[90:91]
	v_accvgpr_write_b32 a142, v4
	v_fma_f64 v[4:5], v[238:239], v[92:93], -v[90:91]
	ds_read_b128 v[90:93], v1 offset:1360
	v_mul_f64 v[94:95], v[244:245], v[94:95]
	v_accvgpr_write_b32 a140, v2
	v_fma_f64 v[2:3], v[242:243], v[96:97], -v[94:95]
	ds_read_b128 v[94:97], v1 offset:1376
	v_mul_f64 v[102:103], v[248:249], v[102:103]
	v_fma_f64 v[246:247], v[246:247], v[104:105], -v[102:103]
	ds_read_b128 v[102:105], v1 offset:1408
	v_mul_f64 v[106:107], v[252:253], v[106:107]
	v_fma_f64 v[250:251], v[250:251], v[108:109], -v[106:107]
	ds_read_b128 v[106:109], v1 offset:1424
	v_add_f64 v[202:203], v[202:203], 0
	v_add_f64 v[202:203], v[202:203], v[204:205]
	;; [unrolled: 1-line block ×5, first 2 shown]
	s_waitcnt vmcnt(22) lgkmcnt(4)
	v_mul_f64 v[100:101], v[86:87], v[198:199]
	v_add_f64 v[192:193], v[192:193], v[254:255]
	s_waitcnt vmcnt(20)
	v_fmac_f64_e32 v[100:101], v[88:89], v[216:217]
	v_add_f64 v[98:99], v[98:99], v[100:101]
	v_add_f64 v[4:5], v[192:193], v[4:5]
	s_waitcnt vmcnt(17) lgkmcnt(3)
	v_mul_f64 v[100:101], v[90:91], v[218:219]
	s_waitcnt vmcnt(16)
	v_fmac_f64_e32 v[100:101], v[92:93], v[220:221]
	v_add_f64 v[110:111], v[98:99], v[100:101]
	ds_read_b128 v[98:101], v1 offset:1392
	s_waitcnt vmcnt(14) lgkmcnt(3)
	v_mul_f64 v[112:113], v[94:95], v[224:225]
	s_waitcnt vmcnt(12)
	v_fmac_f64_e32 v[112:113], v[96:97], v[228:229]
	buffer_load_dword v201, off, s[0:3], 0 offset:732
	buffer_load_dword v200, off, s[0:3], 0 offset:728
	;; [unrolled: 1-line block ×4, first 2 shown]
	v_add_f64 v[110:111], v[110:111], v[112:113]
	s_waitcnt vmcnt(14) lgkmcnt(0)
	v_mul_f64 v[112:113], v[98:99], v[226:227]
	s_waitcnt vmcnt(12)
	v_fmac_f64_e32 v[112:113], v[100:101], v[230:231]
	v_add_f64 v[110:111], v[110:111], v[112:113]
	s_waitcnt vmcnt(9)
	v_mul_f64 v[112:113], v[102:103], v[234:235]
	s_waitcnt vmcnt(7)
	v_fmac_f64_e32 v[112:113], v[104:105], v[236:237]
	v_add_f64 v[110:111], v[110:111], v[112:113]
	s_waitcnt vmcnt(5)
	v_mul_f64 v[112:113], v[106:107], v[222:223]
	s_waitcnt vmcnt(4)
	v_fmac_f64_e32 v[112:113], v[108:109], v[232:233]
	v_add_f64 v[114:115], v[110:111], v[112:113]
	ds_read_b128 v[110:113], v1 offset:1440
	buffer_load_dword v242, off, s[0:3], 0 offset:744
	buffer_load_dword v243, off, s[0:3], 0 offset:748
	;; [unrolled: 1-line block ×4, first 2 shown]
	v_add_f64 v[2:3], v[4:5], v[2:3]
	v_add_f64 v[252:253], v[2:3], v[246:247]
	v_accvgpr_read_b32 v4, a142
	v_accvgpr_read_b32 v5, a143
	v_mul_f64 v[4:5], v[120:121], v[4:5]
	v_accvgpr_read_b32 v120, a140
	v_accvgpr_read_b32 v121, a141
	v_add_f64 v[2:3], v[252:253], v[250:251]
	v_fma_f64 v[4:5], v[118:119], v[120:121], -v[4:5]
	v_add_f64 v[2:3], v[2:3], v[4:5]
	v_mul_f64 v[4:5], v[8:9], v[126:127]
	v_fma_f64 v[4:5], v[6:7], v[142:143], -v[4:5]
	v_add_f64 v[2:3], v[2:3], v[4:5]
	v_mul_f64 v[4:5], v[12:13], v[122:123]
	v_fma_f64 v[4:5], v[10:11], v[124:125], -v[4:5]
	v_add_f64 v[2:3], v[2:3], v[4:5]
	v_mul_f64 v[4:5], v[16:17], v[146:147]
	v_fma_f64 v[4:5], v[14:15], v[150:151], -v[4:5]
	v_add_f64 v[2:3], v[2:3], v[4:5]
	v_mul_f64 v[4:5], v[20:21], v[128:129]
	v_fma_f64 v[4:5], v[18:19], v[130:131], -v[4:5]
	v_add_f64 v[2:3], v[2:3], v[4:5]
	v_mul_f64 v[4:5], v[24:25], v[154:155]
	v_fma_f64 v[4:5], v[22:23], v[158:159], -v[4:5]
	v_add_f64 v[2:3], v[2:3], v[4:5]
	v_mul_f64 v[4:5], v[28:29], v[132:133]
	v_fma_f64 v[4:5], v[26:27], v[134:135], -v[4:5]
	v_add_f64 v[2:3], v[2:3], v[4:5]
	v_mul_f64 v[4:5], v[32:33], v[162:163]
	v_fma_f64 v[4:5], v[30:31], v[166:167], -v[4:5]
	v_add_f64 v[2:3], v[2:3], v[4:5]
	v_mul_f64 v[4:5], v[36:37], v[136:137]
	v_fma_f64 v[4:5], v[34:35], v[138:139], -v[4:5]
	v_add_f64 v[2:3], v[2:3], v[4:5]
	v_mul_f64 v[4:5], v[40:41], v[170:171]
	v_fma_f64 v[4:5], v[38:39], v[174:175], -v[4:5]
	v_add_f64 v[2:3], v[2:3], v[4:5]
	v_mul_f64 v[4:5], v[44:45], v[140:141]
	v_fma_f64 v[4:5], v[42:43], v[144:145], -v[4:5]
	v_add_f64 v[2:3], v[2:3], v[4:5]
	v_mul_f64 v[4:5], v[48:49], v[178:179]
	v_fma_f64 v[4:5], v[46:47], v[182:183], -v[4:5]
	v_add_f64 v[2:3], v[2:3], v[4:5]
	v_mul_f64 v[4:5], v[52:53], v[148:149]
	v_fma_f64 v[4:5], v[50:51], v[152:153], -v[4:5]
	v_add_f64 v[2:3], v[2:3], v[4:5]
	v_mul_f64 v[4:5], v[56:57], v[186:187]
	v_fma_f64 v[4:5], v[54:55], v[188:189], -v[4:5]
	v_add_f64 v[2:3], v[2:3], v[4:5]
	v_mul_f64 v[4:5], v[60:61], v[156:157]
	v_fma_f64 v[4:5], v[58:59], v[160:161], -v[4:5]
	v_add_f64 v[2:3], v[2:3], v[4:5]
	v_mul_f64 v[4:5], v[64:65], v[190:191]
	v_fma_f64 v[4:5], v[62:63], v[194:195], -v[4:5]
	v_add_f64 v[2:3], v[2:3], v[4:5]
	v_mul_f64 v[4:5], v[68:69], v[164:165]
	v_fma_f64 v[4:5], v[66:67], v[168:169], -v[4:5]
	v_add_f64 v[2:3], v[2:3], v[4:5]
	v_mul_f64 v[4:5], v[72:73], v[196:197]
	v_fma_f64 v[4:5], v[70:71], v[210:211], -v[4:5]
	v_add_f64 v[2:3], v[2:3], v[4:5]
	v_mul_f64 v[4:5], v[76:77], v[172:173]
	v_fma_f64 v[4:5], v[74:75], v[176:177], -v[4:5]
	v_add_f64 v[2:3], v[2:3], v[4:5]
	v_mul_f64 v[4:5], v[80:81], v[212:213]
	s_waitcnt vmcnt(6) lgkmcnt(0)
	v_mul_f64 v[116:117], v[110:111], v[200:201]
	v_fma_f64 v[4:5], v[78:79], v[214:215], -v[4:5]
	s_waitcnt vmcnt(4)
	v_fmac_f64_e32 v[116:117], v[112:113], v[238:239]
	v_add_f64 v[240:241], v[114:115], v[116:117]
	ds_read_b128 v[114:117], v1 offset:1456
	v_add_f64 v[2:3], v[2:3], v[4:5]
	v_mul_f64 v[4:5], v[84:85], v[180:181]
	v_fma_f64 v[4:5], v[82:83], v[184:185], -v[4:5]
	v_add_f64 v[2:3], v[2:3], v[4:5]
	v_mul_f64 v[4:5], v[88:89], v[198:199]
	v_fma_f64 v[4:5], v[86:87], v[216:217], -v[4:5]
	v_add_f64 v[2:3], v[2:3], v[4:5]
	s_waitcnt vmcnt(2) lgkmcnt(0)
	v_mul_f64 v[248:249], v[114:115], v[242:243]
	v_mul_f64 v[4:5], v[92:93], v[218:219]
	s_waitcnt vmcnt(0)
	v_fmac_f64_e32 v[248:249], v[116:117], v[244:245]
	v_add_f64 v[240:241], v[240:241], v[248:249]
	buffer_load_dword v248, off, s[0:3], 0 offset:112
	buffer_load_dword v249, off, s[0:3], 0 offset:116
	;; [unrolled: 1-line block ×4, first 2 shown]
	v_fma_f64 v[4:5], v[90:91], v[220:221], -v[4:5]
	v_add_f64 v[2:3], v[2:3], v[4:5]
	v_mul_f64 v[4:5], v[96:97], v[224:225]
	v_fma_f64 v[4:5], v[94:95], v[228:229], -v[4:5]
	v_add_f64 v[2:3], v[2:3], v[4:5]
	v_mul_f64 v[4:5], v[100:101], v[226:227]
	;; [unrolled: 3-line block ×6, first 2 shown]
	v_fma_f64 v[4:5], v[114:115], v[244:245], -v[4:5]
	v_add_f64 v[2:3], v[2:3], v[4:5]
	v_accvgpr_read_b32 v0, a137
	v_cmp_lt_u32_e32 vcc, 5, v0
	s_waitcnt vmcnt(2)
	v_add_f64 v[2:3], v[248:249], -v[2:3]
	s_waitcnt vmcnt(0)
	v_add_f64 v[4:5], v[246:247], -v[240:241]
	buffer_store_dword v3, off, s[0:3], 0 offset:116
	buffer_store_dword v2, off, s[0:3], 0 offset:112
	;; [unrolled: 1-line block ×4, first 2 shown]
	s_and_saveexec_b64 s[4:5], vcc
	s_cbranch_execz .LBB45_279
; %bb.278:
	v_accvgpr_read_b32 v0, a132
	buffer_load_dword v2, v0, s[0:3], 0 offen
	buffer_load_dword v3, v0, s[0:3], 0 offen offset:4
	buffer_load_dword v4, v0, s[0:3], 0 offen offset:8
	;; [unrolled: 1-line block ×3, first 2 shown]
	v_accvgpr_read_b32 v0, a138
	buffer_store_dword v1, off, s[0:3], 0 offset:96
	buffer_store_dword v1, off, s[0:3], 0 offset:100
	;; [unrolled: 1-line block ×4, first 2 shown]
	s_waitcnt vmcnt(4)
	ds_write_b128 v0, v[2:5]
.LBB45_279:
	s_or_b64 exec, exec, s[4:5]
	s_waitcnt lgkmcnt(0)
	; wave barrier
	s_waitcnt lgkmcnt(0)
	buffer_load_dword v56, off, s[0:3], 0 offset:112
	buffer_load_dword v57, off, s[0:3], 0 offset:116
	;; [unrolled: 1-line block ×42, first 2 shown]
	ds_read_b128 v[78:81], v1 offset:832
	ds_read_b128 v[90:93], v1 offset:848
	;; [unrolled: 1-line block ×10, first 2 shown]
	buffer_load_dword v105, off, s[0:3], 0 offset:260
	buffer_load_dword v104, off, s[0:3], 0 offset:256
	ds_read_b128 v[106:109], v1 offset:992
	buffer_load_dword v3, off, s[0:3], 0 offset:316
	buffer_load_dword v2, off, s[0:3], 0 offset:312
	s_waitcnt vmcnt(38) lgkmcnt(9)
	v_mul_f64 v[4:5], v[90:91], v[62:63]
	v_fmac_f64_e32 v[4:5], v[92:93], v[54:55]
	s_waitcnt vmcnt(36) lgkmcnt(8)
	v_mul_f64 v[6:7], v[114:115], v[58:59]
	v_mul_f64 v[58:59], v[116:117], v[58:59]
	s_waitcnt vmcnt(34) lgkmcnt(6)
	v_mul_f64 v[10:11], v[242:243], v[70:71]
	v_mul_f64 v[70:71], v[244:245], v[70:71]
	s_waitcnt vmcnt(32)
	v_fmac_f64_e32 v[10:11], v[244:245], v[72:73]
	s_waitcnt vmcnt(30)
	v_mul_f64 v[8:9], v[238:239], v[64:65]
	s_waitcnt vmcnt(28) lgkmcnt(4)
	v_mul_f64 v[14:15], v[250:251], v[82:83]
	v_mul_f64 v[82:83], v[252:253], v[82:83]
	s_waitcnt vmcnt(26)
	v_fmac_f64_e32 v[14:15], v[252:253], v[84:85]
	s_waitcnt vmcnt(24)
	v_mul_f64 v[12:13], v[246:247], v[74:75]
	v_mul_f64 v[74:75], v[248:249], v[74:75]
	s_waitcnt vmcnt(22) lgkmcnt(2)
	v_mul_f64 v[18:19], v[204:205], v[94:95]
	v_mul_f64 v[94:95], v[206:207], v[94:95]
	s_waitcnt vmcnt(19)
	v_mul_f64 v[16:17], v[200:201], v[86:87]
	v_mul_f64 v[86:87], v[202:203], v[86:87]
	s_waitcnt vmcnt(17) lgkmcnt(1)
	v_mul_f64 v[20:21], v[98:99], v[102:103]
	s_waitcnt vmcnt(15)
	v_fmac_f64_e32 v[6:7], v[116:117], v[68:69]
	s_waitcnt vmcnt(13)
	v_fmac_f64_e32 v[8:9], v[240:241], v[66:67]
	;; [unrolled: 2-line block ×3, first 2 shown]
	v_fma_f64 v[246:247], v[246:247], v[76:77], -v[74:75]
	s_waitcnt vmcnt(9)
	v_fmac_f64_e32 v[16:17], v[202:203], v[88:89]
	s_waitcnt vmcnt(8)
	v_fmac_f64_e32 v[18:19], v[206:207], v[96:97]
	v_fma_f64 v[248:249], v[250:251], v[84:85], -v[82:83]
	v_fma_f64 v[202:203], v[200:201], v[88:89], -v[86:87]
	;; [unrolled: 1-line block ×3, first 2 shown]
	s_waitcnt vmcnt(2)
	v_fmac_f64_e32 v[20:21], v[100:101], v[104:105]
	v_mul_f64 v[100:101], v[100:101], v[102:103]
	s_waitcnt vmcnt(0)
	v_pk_mov_b32 v[22:23], v[2:3], v[2:3] op_sel:[0,1]
	buffer_load_dword v3, off, s[0:3], 0 offset:308
	buffer_load_dword v2, off, s[0:3], 0 offset:304
	buffer_load_dword v123, off, s[0:3], 0 offset:300
	buffer_load_dword v122, off, s[0:3], 0 offset:296
	buffer_load_dword v139, off, s[0:3], 0 offset:292
	buffer_load_dword v138, off, s[0:3], 0 offset:288
	buffer_load_dword v125, off, s[0:3], 0 offset:348
	buffer_load_dword v124, off, s[0:3], 0 offset:344
	buffer_load_dword v127, off, s[0:3], 0 offset:340
	buffer_load_dword v126, off, s[0:3], 0 offset:336
	buffer_load_dword v143, off, s[0:3], 0 offset:332
	buffer_load_dword v142, off, s[0:3], 0 offset:328
	buffer_load_dword v147, off, s[0:3], 0 offset:324
	buffer_load_dword v146, off, s[0:3], 0 offset:320
	buffer_load_dword v129, off, s[0:3], 0 offset:380
	buffer_load_dword v128, off, s[0:3], 0 offset:376
	buffer_load_dword v131, off, s[0:3], 0 offset:372
	buffer_load_dword v130, off, s[0:3], 0 offset:368
	buffer_load_dword v151, off, s[0:3], 0 offset:364
	buffer_load_dword v150, off, s[0:3], 0 offset:360
	buffer_load_dword v155, off, s[0:3], 0 offset:356
	buffer_load_dword v154, off, s[0:3], 0 offset:352
	buffer_load_dword v133, off, s[0:3], 0 offset:412
	buffer_load_dword v132, off, s[0:3], 0 offset:408
	buffer_load_dword v135, off, s[0:3], 0 offset:404
	buffer_load_dword v134, off, s[0:3], 0 offset:400
	buffer_load_dword v159, off, s[0:3], 0 offset:396
	buffer_load_dword v158, off, s[0:3], 0 offset:392
	buffer_load_dword v163, off, s[0:3], 0 offset:388
	buffer_load_dword v162, off, s[0:3], 0 offset:384
	buffer_load_dword v137, off, s[0:3], 0 offset:444
	buffer_load_dword v136, off, s[0:3], 0 offset:440
	buffer_load_dword v141, off, s[0:3], 0 offset:436
	buffer_load_dword v140, off, s[0:3], 0 offset:432
	buffer_load_dword v167, off, s[0:3], 0 offset:428
	buffer_load_dword v166, off, s[0:3], 0 offset:424
	buffer_load_dword v171, off, s[0:3], 0 offset:420
	buffer_load_dword v170, off, s[0:3], 0 offset:416
	buffer_load_dword v145, off, s[0:3], 0 offset:476
	buffer_load_dword v144, off, s[0:3], 0 offset:472
	buffer_load_dword v149, off, s[0:3], 0 offset:468
	buffer_load_dword v148, off, s[0:3], 0 offset:464
	buffer_load_dword v175, off, s[0:3], 0 offset:460
	buffer_load_dword v174, off, s[0:3], 0 offset:456
	buffer_load_dword v179, off, s[0:3], 0 offset:452
	buffer_load_dword v178, off, s[0:3], 0 offset:448
	buffer_load_dword v153, off, s[0:3], 0 offset:508
	buffer_load_dword v152, off, s[0:3], 0 offset:504
	buffer_load_dword v157, off, s[0:3], 0 offset:500
	buffer_load_dword v156, off, s[0:3], 0 offset:496
	buffer_load_dword v183, off, s[0:3], 0 offset:492
	buffer_load_dword v182, off, s[0:3], 0 offset:488
	buffer_load_dword v185, off, s[0:3], 0 offset:484
	buffer_load_dword v184, off, s[0:3], 0 offset:480
	buffer_load_dword v161, off, s[0:3], 0 offset:540
	buffer_load_dword v160, off, s[0:3], 0 offset:536
	buffer_load_dword v165, off, s[0:3], 0 offset:532
	buffer_load_dword v164, off, s[0:3], 0 offset:528
	buffer_load_dword v187, off, s[0:3], 0 offset:524
	buffer_load_dword v186, off, s[0:3], 0 offset:520
	buffer_load_dword v189, off, s[0:3], 0 offset:516
	buffer_load_dword v188, off, s[0:3], 0 offset:512
	buffer_load_dword v169, off, s[0:3], 0 offset:572
	buffer_load_dword v168, off, s[0:3], 0 offset:568
	buffer_load_dword v173, off, s[0:3], 0 offset:564
	buffer_load_dword v172, off, s[0:3], 0 offset:560
	buffer_load_dword v191, off, s[0:3], 0 offset:556
	buffer_load_dword v190, off, s[0:3], 0 offset:552
	buffer_load_dword v195, off, s[0:3], 0 offset:548
	buffer_load_dword v194, off, s[0:3], 0 offset:544
	buffer_load_dword v177, off, s[0:3], 0 offset:604
	buffer_load_dword v176, off, s[0:3], 0 offset:600
	buffer_load_dword v181, off, s[0:3], 0 offset:596
	buffer_load_dword v180, off, s[0:3], 0 offset:592
	buffer_load_dword v197, off, s[0:3], 0 offset:588
	buffer_load_dword v196, off, s[0:3], 0 offset:584
	buffer_load_dword v211, off, s[0:3], 0 offset:580
	buffer_load_dword v210, off, s[0:3], 0 offset:576
	ds_read_b128 v[118:121], v1 offset:1008
	v_accvgpr_write_b32 a141, v23
	v_accvgpr_write_b32 a140, v22
	v_fma_f64 v[250:251], v[98:99], v[104:105], -v[100:101]
	s_waitcnt vmcnt(62)
	v_pk_mov_b32 v[24:25], v[2:3], v[2:3] op_sel:[0,1]
	v_mul_f64 v[2:3], v[78:79], v[60:61]
	v_fmac_f64_e32 v[2:3], v[80:81], v[56:57]
	v_add_f64 v[2:3], v[2:3], 0
	v_add_f64 v[2:3], v[2:3], v[4:5]
	;; [unrolled: 1-line block ×9, first 2 shown]
	s_waitcnt lgkmcnt(1)
	v_mul_f64 v[8:9], v[106:107], v[110:111]
	v_add_f64 v[6:7], v[2:3], v[20:21]
	v_fmac_f64_e32 v[8:9], v[108:109], v[112:113]
	v_add_f64 v[10:11], v[6:7], v[8:9]
	ds_read_b128 v[6:9], v1 offset:1024
	s_waitcnt lgkmcnt(1)
	v_mul_f64 v[12:13], v[118:119], v[122:123]
	v_fmac_f64_e32 v[12:13], v[120:121], v[138:139]
	v_add_f64 v[14:15], v[10:11], v[12:13]
	ds_read_b128 v[10:13], v1 offset:1040
	s_waitcnt lgkmcnt(1)
	v_mul_f64 v[16:17], v[6:7], v[22:23]
	;; [unrolled: 5-line block ×3, first 2 shown]
	v_fmac_f64_e32 v[20:21], v[12:13], v[146:147]
	v_add_f64 v[22:23], v[18:19], v[20:21]
	ds_read_b128 v[18:21], v1 offset:1072
	v_accvgpr_write_b32 a143, v25
	v_accvgpr_write_b32 a142, v24
	s_waitcnt lgkmcnt(1)
	v_mul_f64 v[24:25], v[14:15], v[124:125]
	v_fmac_f64_e32 v[24:25], v[16:17], v[126:127]
	v_add_f64 v[26:27], v[22:23], v[24:25]
	ds_read_b128 v[22:25], v1 offset:1088
	s_waitcnt vmcnt(58) lgkmcnt(1)
	v_mul_f64 v[28:29], v[18:19], v[150:151]
	s_waitcnt vmcnt(56)
	v_fmac_f64_e32 v[28:29], v[20:21], v[154:155]
	v_add_f64 v[30:31], v[26:27], v[28:29]
	ds_read_b128 v[26:29], v1 offset:1104
	s_waitcnt lgkmcnt(1)
	v_mul_f64 v[32:33], v[22:23], v[128:129]
	v_fmac_f64_e32 v[32:33], v[24:25], v[130:131]
	v_add_f64 v[34:35], v[30:31], v[32:33]
	ds_read_b128 v[30:33], v1 offset:1120
	s_waitcnt vmcnt(50) lgkmcnt(1)
	v_mul_f64 v[36:37], v[26:27], v[158:159]
	s_waitcnt vmcnt(48)
	v_fmac_f64_e32 v[36:37], v[28:29], v[162:163]
	v_add_f64 v[38:39], v[34:35], v[36:37]
	ds_read_b128 v[34:37], v1 offset:1136
	s_waitcnt lgkmcnt(1)
	v_mul_f64 v[40:41], v[30:31], v[132:133]
	v_fmac_f64_e32 v[40:41], v[32:33], v[134:135]
	v_add_f64 v[42:43], v[38:39], v[40:41]
	ds_read_b128 v[38:41], v1 offset:1152
	s_waitcnt vmcnt(42) lgkmcnt(1)
	v_mul_f64 v[44:45], v[34:35], v[166:167]
	s_waitcnt vmcnt(40)
	v_fmac_f64_e32 v[44:45], v[36:37], v[170:171]
	v_add_f64 v[46:47], v[42:43], v[44:45]
	ds_read_b128 v[42:45], v1 offset:1168
	s_waitcnt lgkmcnt(1)
	v_mul_f64 v[48:49], v[38:39], v[136:137]
	v_fmac_f64_e32 v[48:49], v[40:41], v[140:141]
	v_add_f64 v[50:51], v[46:47], v[48:49]
	ds_read_b128 v[46:49], v1 offset:1184
	s_waitcnt vmcnt(34) lgkmcnt(1)
	v_mul_f64 v[52:53], v[42:43], v[174:175]
	s_waitcnt vmcnt(32)
	v_fmac_f64_e32 v[52:53], v[44:45], v[178:179]
	v_add_f64 v[192:193], v[50:51], v[52:53]
	ds_read_b128 v[50:53], v1 offset:1200
	buffer_load_dword v198, off, s[0:3], 0 offset:632
	buffer_load_dword v215, off, s[0:3], 0 offset:620
	;; [unrolled: 1-line block ×28, first 2 shown]
	s_waitcnt lgkmcnt(1)
	v_mul_f64 v[208:209], v[46:47], v[144:145]
	v_fmac_f64_e32 v[208:209], v[48:49], v[148:149]
	v_mul_f64 v[60:61], v[80:81], v[60:61]
	v_add_f64 v[192:193], v[192:193], v[208:209]
	s_waitcnt vmcnt(54) lgkmcnt(0)
	v_mul_f64 v[208:209], v[50:51], v[182:183]
	v_fma_f64 v[254:255], v[78:79], v[56:57], -v[60:61]
	v_mul_f64 v[56:57], v[92:93], v[62:63]
	v_fma_f64 v[2:3], v[90:91], v[54:55], -v[56:57]
	s_waitcnt vmcnt(52)
	v_fmac_f64_e32 v[208:209], v[52:53], v[184:185]
	ds_read_b128 v[54:57], v1 offset:1216
	v_add_f64 v[4:5], v[192:193], v[208:209]
	v_fma_f64 v[192:193], v[114:115], v[68:69], -v[58:59]
	ds_read_b128 v[58:61], v1 offset:1232
	v_mul_f64 v[62:63], v[240:241], v[64:65]
	v_fma_f64 v[208:209], v[238:239], v[66:67], -v[62:63]
	ds_read_b128 v[62:65], v1 offset:1248
	s_waitcnt lgkmcnt(2)
	v_mul_f64 v[68:69], v[54:55], v[152:153]
	v_fmac_f64_e32 v[68:69], v[56:57], v[156:157]
	s_waitcnt vmcnt(46) lgkmcnt(1)
	v_mul_f64 v[66:67], v[58:59], v[186:187]
	v_add_f64 v[4:5], v[4:5], v[68:69]
	s_waitcnt vmcnt(44)
	v_fmac_f64_e32 v[66:67], v[60:61], v[188:189]
	v_add_f64 v[4:5], v[4:5], v[66:67]
	v_fma_f64 v[240:241], v[242:243], v[72:73], -v[70:71]
	ds_read_b128 v[70:73], v1 offset:1280
	s_waitcnt lgkmcnt(1)
	v_mul_f64 v[66:67], v[62:63], v[160:161]
	v_fmac_f64_e32 v[66:67], v[64:65], v[164:165]
	v_add_f64 v[4:5], v[4:5], v[66:67]
	ds_read_b128 v[66:69], v1 offset:1264
	ds_read_b128 v[74:77], v1 offset:1296
	ds_read_b128 v[82:85], v1 offset:1328
	ds_read_b128 v[86:89], v1 offset:1344
	ds_read_b128 v[94:97], v1 offset:1376
	s_waitcnt vmcnt(38) lgkmcnt(4)
	v_mul_f64 v[78:79], v[66:67], v[190:191]
	s_waitcnt vmcnt(36)
	v_fmac_f64_e32 v[78:79], v[68:69], v[194:195]
	v_add_f64 v[4:5], v[4:5], v[78:79]
	v_mul_f64 v[78:79], v[70:71], v[168:169]
	v_fmac_f64_e32 v[78:79], v[72:73], v[172:173]
	v_add_f64 v[4:5], v[4:5], v[78:79]
	s_waitcnt vmcnt(30) lgkmcnt(3)
	v_mul_f64 v[78:79], v[74:75], v[196:197]
	s_waitcnt vmcnt(28)
	v_fmac_f64_e32 v[78:79], v[76:77], v[210:211]
	v_add_f64 v[4:5], v[4:5], v[78:79]
	ds_read_b128 v[78:81], v1 offset:1312
	v_mul_f64 v[108:109], v[108:109], v[110:111]
	v_fma_f64 v[252:253], v[106:107], v[112:113], -v[108:109]
	v_mul_f64 v[120:121], v[120:121], v[122:123]
	v_fma_f64 v[118:119], v[118:119], v[138:139], -v[120:121]
	s_waitcnt lgkmcnt(0)
	v_mul_f64 v[90:91], v[78:79], v[176:177]
	v_fmac_f64_e32 v[90:91], v[80:81], v[180:181]
	v_add_f64 v[4:5], v[4:5], v[90:91]
	ds_read_b128 v[98:101], v1 offset:1392
	ds_read_b128 v[106:109], v1 offset:1424
	s_waitcnt vmcnt(9) lgkmcnt(1)
	v_mul_f64 v[110:111], v[98:99], v[230:231]
	v_mul_f64 v[90:91], v[82:83], v[214:215]
	s_waitcnt vmcnt(7)
	v_fmac_f64_e32 v[110:111], v[100:101], v[234:235]
	v_fmac_f64_e32 v[90:91], v[84:85], v[216:217]
	v_add_f64 v[4:5], v[4:5], v[90:91]
	v_mul_f64 v[90:91], v[86:87], v[198:199]
	v_fmac_f64_e32 v[90:91], v[88:89], v[212:213]
	v_add_f64 v[4:5], v[4:5], v[90:91]
	ds_read_b128 v[90:93], v1 offset:1360
	v_mul_f64 v[102:103], v[94:95], v[224:225]
	v_fmac_f64_e32 v[102:103], v[96:97], v[226:227]
	s_waitcnt lgkmcnt(0)
	v_mul_f64 v[114:115], v[90:91], v[218:219]
	v_fmac_f64_e32 v[114:115], v[92:93], v[220:221]
	v_add_f64 v[4:5], v[4:5], v[114:115]
	v_add_f64 v[4:5], v[4:5], v[102:103]
	ds_read_b128 v[102:105], v1 offset:1408
	buffer_load_dword v200, off, s[0:3], 0 offset:728
	buffer_load_dword v201, off, s[0:3], 0 offset:732
	;; [unrolled: 1-line block ×4, first 2 shown]
	v_add_f64 v[4:5], v[4:5], v[110:111]
	s_waitcnt vmcnt(9) lgkmcnt(0)
	v_mul_f64 v[110:111], v[102:103], v[222:223]
	s_waitcnt vmcnt(8)
	v_fmac_f64_e32 v[110:111], v[104:105], v[228:229]
	v_add_f64 v[4:5], v[4:5], v[110:111]
	s_waitcnt vmcnt(6)
	v_mul_f64 v[110:111], v[106:107], v[232:233]
	s_waitcnt vmcnt(4)
	v_fmac_f64_e32 v[110:111], v[108:109], v[236:237]
	v_add_f64 v[4:5], v[4:5], v[110:111]
	ds_read_b128 v[110:113], v1 offset:1440
	buffer_load_dword v243, off, s[0:3], 0 offset:748
	buffer_load_dword v242, off, s[0:3], 0 offset:744
	;; [unrolled: 1-line block ×4, first 2 shown]
	s_waitcnt vmcnt(6) lgkmcnt(0)
	v_mul_f64 v[114:115], v[110:111], v[200:201]
	s_waitcnt vmcnt(4)
	v_fmac_f64_e32 v[114:115], v[112:113], v[238:239]
	v_add_f64 v[4:5], v[4:5], v[114:115]
	ds_read_b128 v[114:117], v1 offset:1456
	v_accvgpr_read_b32 v0, a140
	v_accvgpr_read_b32 v1, a141
	v_mul_f64 v[8:9], v[8:9], v[0:1]
	v_accvgpr_read_b32 v0, a142
	v_accvgpr_read_b32 v1, a143
	v_fma_f64 v[6:7], v[6:7], v[0:1], -v[8:9]
	s_waitcnt vmcnt(2) lgkmcnt(0)
	v_mul_f64 v[206:207], v[114:115], v[242:243]
	v_accvgpr_read_b32 v0, a137
	s_waitcnt vmcnt(0)
	v_fmac_f64_e32 v[206:207], v[116:117], v[244:245]
	v_add_f64 v[4:5], v[4:5], v[206:207]
	v_add_f64 v[206:207], v[254:255], 0
	;; [unrolled: 1-line block ×8, first 2 shown]
	buffer_load_dword v248, off, s[0:3], 0 offset:96
	buffer_load_dword v249, off, s[0:3], 0 offset:100
	;; [unrolled: 1-line block ×4, first 2 shown]
	v_add_f64 v[2:3], v[2:3], v[202:203]
	v_add_f64 v[254:255], v[2:3], v[204:205]
	;; [unrolled: 1-line block ×6, first 2 shown]
	v_mul_f64 v[6:7], v[12:13], v[142:143]
	v_fma_f64 v[6:7], v[10:11], v[146:147], -v[6:7]
	v_add_f64 v[2:3], v[2:3], v[6:7]
	v_mul_f64 v[6:7], v[16:17], v[124:125]
	v_fma_f64 v[6:7], v[14:15], v[126:127], -v[6:7]
	v_add_f64 v[2:3], v[2:3], v[6:7]
	;; [unrolled: 3-line block ×27, first 2 shown]
	s_waitcnt vmcnt(2)
	v_add_f64 v[2:3], v[248:249], -v[2:3]
	v_cmp_lt_u32_e32 vcc, 4, v0
	s_waitcnt vmcnt(0)
	v_add_f64 v[4:5], v[246:247], -v[4:5]
	buffer_store_dword v3, off, s[0:3], 0 offset:100
	buffer_store_dword v2, off, s[0:3], 0 offset:96
	;; [unrolled: 1-line block ×4, first 2 shown]
	s_and_saveexec_b64 s[4:5], vcc
	s_cbranch_execz .LBB45_281
; %bb.280:
	v_accvgpr_read_b32 v0, a133
	buffer_load_dword v2, v0, s[0:3], 0 offen
	buffer_load_dword v3, v0, s[0:3], 0 offen offset:4
	buffer_load_dword v4, v0, s[0:3], 0 offen offset:8
	;; [unrolled: 1-line block ×3, first 2 shown]
	v_mov_b32_e32 v0, 0
	v_accvgpr_read_b32 v1, a138
	buffer_store_dword v0, off, s[0:3], 0 offset:80
	buffer_store_dword v0, off, s[0:3], 0 offset:84
	;; [unrolled: 1-line block ×4, first 2 shown]
	s_waitcnt vmcnt(4)
	ds_write_b128 v1, v[2:5]
.LBB45_281:
	s_or_b64 exec, exec, s[4:5]
	s_waitcnt lgkmcnt(0)
	; wave barrier
	s_waitcnt lgkmcnt(0)
	buffer_load_dword v54, off, s[0:3], 0 offset:96
	buffer_load_dword v55, off, s[0:3], 0 offset:100
	buffer_load_dword v56, off, s[0:3], 0 offset:104
	buffer_load_dword v57, off, s[0:3], 0 offset:108
	buffer_load_dword v58, off, s[0:3], 0 offset:112
	buffer_load_dword v59, off, s[0:3], 0 offset:116
	buffer_load_dword v62, off, s[0:3], 0 offset:120
	buffer_load_dword v63, off, s[0:3], 0 offset:124
	buffer_load_dword v60, off, s[0:3], 0 offset:136
	buffer_load_dword v61, off, s[0:3], 0 offset:140
	buffer_load_dword v65, off, s[0:3], 0 offset:172
	buffer_load_dword v64, off, s[0:3], 0 offset:168
	buffer_load_dword v117, off, s[0:3], 0 offset:164
	buffer_load_dword v116, off, s[0:3], 0 offset:160
	buffer_load_dword v241, off, s[0:3], 0 offset:156
	buffer_load_dword v240, off, s[0:3], 0 offset:152
	buffer_load_dword v75, off, s[0:3], 0 offset:204
	buffer_load_dword v74, off, s[0:3], 0 offset:200
	buffer_load_dword v77, off, s[0:3], 0 offset:196
	buffer_load_dword v76, off, s[0:3], 0 offset:192
	buffer_load_dword v71, off, s[0:3], 0 offset:188
	buffer_load_dword v70, off, s[0:3], 0 offset:184
	buffer_load_dword v87, off, s[0:3], 0 offset:236
	buffer_load_dword v86, off, s[0:3], 0 offset:232
	buffer_load_dword v88, off, s[0:3], 0 offset:224
	buffer_load_dword v79, off, s[0:3], 0 offset:220
	buffer_load_dword v78, off, s[0:3], 0 offset:216
	buffer_load_dword v91, off, s[0:3], 0 offset:252
	buffer_load_dword v90, off, s[0:3], 0 offset:248
	buffer_load_dword v84, off, s[0:3], 0 offset:128
	buffer_load_dword v85, off, s[0:3], 0 offset:132
	buffer_load_dword v83, off, s[0:3], 0 offset:148
	buffer_load_dword v82, off, s[0:3], 0 offset:144
	buffer_load_dword v73, off, s[0:3], 0 offset:180
	buffer_load_dword v72, off, s[0:3], 0 offset:176
	buffer_load_dword v81, off, s[0:3], 0 offset:212
	buffer_load_dword v80, off, s[0:3], 0 offset:208
	buffer_load_dword v89, off, s[0:3], 0 offset:228
	buffer_load_dword v102, off, s[0:3], 0 offset:264
	buffer_load_dword v104, off, s[0:3], 0 offset:256
	buffer_load_dword v105, off, s[0:3], 0 offset:260
	buffer_load_dword v103, off, s[0:3], 0 offset:268
	buffer_load_dword v93, off, s[0:3], 0 offset:244
	buffer_load_dword v92, off, s[0:3], 0 offset:240
	buffer_load_dword v3, off, s[0:3], 0 offset:300
	buffer_load_dword v2, off, s[0:3], 0 offset:296
	v_mov_b32_e32 v1, 0
	v_accvgpr_read_b32 v0, a137
	v_cmp_lt_u32_e32 vcc, 3, v0
	s_waitcnt vmcnt(0)
	v_pk_mov_b32 v[22:23], v[2:3], v[2:3] op_sel:[0,1]
	buffer_load_dword v3, off, s[0:3], 0 offset:292
	buffer_load_dword v2, off, s[0:3], 0 offset:288
	buffer_load_dword v107, off, s[0:3], 0 offset:284
	ds_read_b128 v[94:97], v1 offset:816
	ds_read_b128 v[108:111], v1 offset:832
	;; [unrolled: 1-line block ×11, first 2 shown]
	buffer_load_dword v106, off, s[0:3], 0 offset:280
	buffer_load_dword v193, off, s[0:3], 0 offset:276
	;; [unrolled: 1-line block ×75, first 2 shown]
	s_waitcnt lgkmcnt(9)
	v_mul_f64 v[4:5], v[108:109], v[62:63]
	s_waitcnt lgkmcnt(8)
	v_mul_f64 v[6:7], v[112:113], v[60:61]
	v_fmac_f64_e32 v[4:5], v[110:111], v[58:59]
	s_waitcnt lgkmcnt(7)
	v_mul_f64 v[8:9], v[194:195], v[240:241]
	v_fmac_f64_e32 v[6:7], v[114:115], v[84:85]
	s_waitcnt lgkmcnt(6)
	v_mul_f64 v[10:11], v[198:199], v[64:65]
	v_fmac_f64_e32 v[8:9], v[196:197], v[82:83]
	s_waitcnt lgkmcnt(5)
	v_mul_f64 v[12:13], v[202:203], v[70:71]
	v_fmac_f64_e32 v[10:11], v[200:201], v[116:117]
	s_waitcnt lgkmcnt(4)
	v_mul_f64 v[14:15], v[244:245], v[74:75]
	v_fmac_f64_e32 v[12:13], v[204:205], v[72:73]
	ds_read_b128 v[66:69], v1 offset:992
	ds_read_b128 v[118:121], v1 offset:1008
	s_waitcnt lgkmcnt(5)
	v_mul_f64 v[16:17], v[248:249], v[78:79]
	v_fmac_f64_e32 v[14:15], v[246:247], v[76:77]
	s_waitcnt lgkmcnt(4)
	v_mul_f64 v[18:19], v[252:253], v[86:87]
	v_fmac_f64_e32 v[16:17], v[250:251], v[80:81]
	;; [unrolled: 3-line block ×3, first 2 shown]
	v_fmac_f64_e32 v[20:21], v[208:209], v[92:93]
	v_accvgpr_write_b32 a141, v23
	v_accvgpr_write_b32 a140, v22
	v_mul_f64 v[62:63], v[110:111], v[62:63]
	v_mul_f64 v[70:71], v[204:205], v[70:71]
	;; [unrolled: 1-line block ×3, first 2 shown]
	v_fma_f64 v[244:245], v[244:245], v[76:77], -v[74:75]
	v_mul_f64 v[78:79], v[250:251], v[78:79]
	v_fma_f64 v[250:251], v[248:249], v[80:81], -v[78:79]
	v_mul_f64 v[86:87], v[254:255], v[86:87]
	;; [unrolled: 2-line block ×3, first 2 shown]
	v_fma_f64 v[254:255], v[206:207], v[92:93], -v[90:91]
	s_waitcnt vmcnt(62)
	v_pk_mov_b32 v[24:25], v[2:3], v[2:3] op_sel:[0,1]
	v_mul_f64 v[2:3], v[94:95], v[56:57]
	v_fmac_f64_e32 v[2:3], v[96:97], v[54:55]
	v_add_f64 v[2:3], v[2:3], 0
	v_add_f64 v[2:3], v[2:3], v[4:5]
	;; [unrolled: 1-line block ×9, first 2 shown]
	s_waitcnt lgkmcnt(2)
	v_mul_f64 v[4:5], v[98:99], v[102:103]
	v_add_f64 v[2:3], v[2:3], v[20:21]
	v_fmac_f64_e32 v[4:5], v[100:101], v[104:105]
	s_waitcnt lgkmcnt(1)
	v_mul_f64 v[8:9], v[66:67], v[106:107]
	v_add_f64 v[6:7], v[2:3], v[4:5]
	v_fmac_f64_e32 v[8:9], v[68:69], v[192:193]
	s_waitcnt lgkmcnt(0)
	v_mul_f64 v[12:13], v[118:119], v[22:23]
	v_add_f64 v[10:11], v[6:7], v[8:9]
	ds_read_b128 v[6:9], v1 offset:1024
	v_fmac_f64_e32 v[12:13], v[120:121], v[24:25]
	v_add_f64 v[14:15], v[10:11], v[12:13]
	ds_read_b128 v[10:13], v1 offset:1040
	v_accvgpr_write_b32 a143, v25
	s_waitcnt lgkmcnt(1)
	v_mul_f64 v[16:17], v[6:7], v[138:139]
	v_fmac_f64_e32 v[16:17], v[8:9], v[142:143]
	v_add_f64 v[18:19], v[14:15], v[16:17]
	s_waitcnt lgkmcnt(0)
	v_mul_f64 v[20:21], v[10:11], v[122:123]
	ds_read_b128 v[14:17], v1 offset:1056
	v_fmac_f64_e32 v[20:21], v[12:13], v[124:125]
	v_add_f64 v[22:23], v[18:19], v[20:21]
	ds_read_b128 v[18:21], v1 offset:1072
	v_accvgpr_write_b32 a142, v24
	s_waitcnt vmcnt(58) lgkmcnt(1)
	v_mul_f64 v[24:25], v[14:15], v[146:147]
	s_waitcnt vmcnt(56)
	v_fmac_f64_e32 v[24:25], v[16:17], v[150:151]
	v_add_f64 v[26:27], v[22:23], v[24:25]
	s_waitcnt lgkmcnt(0)
	v_mul_f64 v[28:29], v[18:19], v[126:127]
	ds_read_b128 v[22:25], v1 offset:1088
	v_fmac_f64_e32 v[28:29], v[20:21], v[128:129]
	v_add_f64 v[30:31], v[26:27], v[28:29]
	ds_read_b128 v[26:29], v1 offset:1104
	v_mul_f64 v[56:57], v[96:97], v[56:57]
	s_waitcnt vmcnt(50) lgkmcnt(1)
	v_mul_f64 v[32:33], v[22:23], v[154:155]
	s_waitcnt vmcnt(48)
	v_fmac_f64_e32 v[32:33], v[24:25], v[158:159]
	v_add_f64 v[34:35], v[30:31], v[32:33]
	s_waitcnt lgkmcnt(0)
	v_mul_f64 v[36:37], v[26:27], v[130:131]
	ds_read_b128 v[30:33], v1 offset:1120
	v_fmac_f64_e32 v[36:37], v[28:29], v[132:133]
	v_add_f64 v[38:39], v[34:35], v[36:37]
	ds_read_b128 v[34:37], v1 offset:1136
	v_fma_f64 v[2:3], v[94:95], v[54:55], -v[56:57]
	s_waitcnt vmcnt(42) lgkmcnt(1)
	v_mul_f64 v[40:41], v[30:31], v[162:163]
	s_waitcnt vmcnt(40)
	v_fmac_f64_e32 v[40:41], v[32:33], v[166:167]
	v_add_f64 v[42:43], v[38:39], v[40:41]
	s_waitcnt lgkmcnt(0)
	v_mul_f64 v[44:45], v[34:35], v[134:135]
	ds_read_b128 v[38:41], v1 offset:1152
	v_fmac_f64_e32 v[44:45], v[36:37], v[136:137]
	v_add_f64 v[46:47], v[42:43], v[44:45]
	ds_read_b128 v[42:45], v1 offset:1168
	v_fma_f64 v[94:95], v[108:109], v[58:59], -v[62:63]
	s_waitcnt vmcnt(34) lgkmcnt(1)
	v_mul_f64 v[48:49], v[38:39], v[170:171]
	s_waitcnt vmcnt(32)
	v_fmac_f64_e32 v[48:49], v[40:41], v[210:211]
	v_add_f64 v[50:51], v[46:47], v[48:49]
	s_waitcnt lgkmcnt(0)
	v_mul_f64 v[52:53], v[42:43], v[140:141]
	v_fmac_f64_e32 v[52:53], v[44:45], v[144:145]
	ds_read_b128 v[46:49], v1 offset:1184
	v_add_f64 v[178:179], v[50:51], v[52:53]
	ds_read_b128 v[50:53], v1 offset:1200
	buffer_load_dword v175, off, s[0:3], 0 offset:604
	buffer_load_dword v174, off, s[0:3], 0 offset:600
	;; [unrolled: 1-line block ×4, first 2 shown]
	v_mul_f64 v[58:59], v[114:115], v[60:61]
	s_waitcnt vmcnt(30) lgkmcnt(1)
	v_mul_f64 v[180:181], v[46:47], v[214:215]
	s_waitcnt vmcnt(28)
	v_fmac_f64_e32 v[180:181], v[48:49], v[216:217]
	v_add_f64 v[242:243], v[178:179], v[180:181]
	buffer_load_dword v180, off, s[0:3], 0 offset:616
	buffer_load_dword v182, off, s[0:3], 0 offset:608
	;; [unrolled: 1-line block ×12, first 2 shown]
	ds_read_b128 v[54:57], v1 offset:1216
	buffer_load_dword v191, off, s[0:3], 0 offset:668
	buffer_load_dword v190, off, s[0:3], 0 offset:664
	;; [unrolled: 1-line block ×12, first 2 shown]
	s_waitcnt lgkmcnt(1)
	v_mul_f64 v[4:5], v[50:51], v[148:149]
	v_fma_f64 v[96:97], v[112:113], v[84:85], -v[58:59]
	v_mul_f64 v[58:59], v[196:197], v[240:241]
	v_fmac_f64_e32 v[4:5], v[52:53], v[152:153]
	v_fma_f64 v[108:109], v[194:195], v[82:83], -v[58:59]
	s_waitcnt vmcnt(46) lgkmcnt(0)
	v_mul_f64 v[58:59], v[54:55], v[218:219]
	v_add_f64 v[4:5], v[242:243], v[4:5]
	s_waitcnt vmcnt(44)
	v_fmac_f64_e32 v[58:59], v[56:57], v[220:221]
	buffer_load_dword v240, off, s[0:3], 0 offset:712
	buffer_load_dword v242, off, s[0:3], 0 offset:704
	;; [unrolled: 1-line block ×4, first 2 shown]
	v_add_f64 v[4:5], v[4:5], v[58:59]
	ds_read_b128 v[58:61], v1 offset:1232
	v_mul_f64 v[62:63], v[200:201], v[64:65]
	v_fma_f64 v[198:199], v[198:199], v[116:117], -v[62:63]
	ds_read_b128 v[62:65], v1 offset:1248
	v_fma_f64 v[200:201], v[202:203], v[72:73], -v[70:71]
	ds_read_b128 v[202:205], v1 offset:1264
	ds_read_b128 v[74:77], v1 offset:1296
	s_waitcnt lgkmcnt(3)
	v_mul_f64 v[82:83], v[58:59], v[156:157]
	v_fmac_f64_e32 v[82:83], v[60:61], v[160:161]
	s_waitcnt vmcnt(42) lgkmcnt(2)
	v_mul_f64 v[70:71], v[62:63], v[222:223]
	v_add_f64 v[4:5], v[4:5], v[82:83]
	s_waitcnt vmcnt(40)
	v_fmac_f64_e32 v[70:71], v[64:65], v[224:225]
	v_add_f64 v[4:5], v[4:5], v[70:71]
	s_waitcnt lgkmcnt(1)
	v_mul_f64 v[70:71], v[202:203], v[164:165]
	v_fmac_f64_e32 v[70:71], v[204:205], v[168:169]
	v_add_f64 v[4:5], v[4:5], v[70:71]
	ds_read_b128 v[70:73], v1 offset:1280
	ds_read_b128 v[78:81], v1 offset:1312
	;; [unrolled: 1-line block ×4, first 2 shown]
	v_mul_f64 v[68:69], v[68:69], v[106:107]
	s_waitcnt vmcnt(34) lgkmcnt(3)
	v_mul_f64 v[82:83], v[70:71], v[226:227]
	s_waitcnt vmcnt(32)
	v_fmac_f64_e32 v[82:83], v[72:73], v[228:229]
	v_add_f64 v[4:5], v[4:5], v[82:83]
	v_mul_f64 v[82:83], v[74:75], v[172:173]
	v_fmac_f64_e32 v[82:83], v[76:77], v[212:213]
	v_add_f64 v[4:5], v[4:5], v[82:83]
	v_fma_f64 v[66:67], v[66:67], v[192:193], -v[68:69]
	v_accvgpr_write_b32 a145, v67
	v_accvgpr_write_b32 a144, v66
	v_add_f64 v[2:3], v[2:3], 0
	v_add_f64 v[2:3], v[2:3], v[94:95]
	;; [unrolled: 1-line block ×7, first 2 shown]
	ds_read_b128 v[86:89], v1 offset:1344
	v_add_f64 v[2:3], v[2:3], v[250:251]
	v_add_f64 v[2:3], v[2:3], v[252:253]
	;; [unrolled: 1-line block ×3, first 2 shown]
	v_accvgpr_read_b32 v94, a142
	v_accvgpr_read_b32 v95, a143
	s_waitcnt vmcnt(30) lgkmcnt(3)
	v_mul_f64 v[82:83], v[78:79], v[174:175]
	s_waitcnt vmcnt(28)
	v_fmac_f64_e32 v[82:83], v[80:81], v[176:177]
	v_add_f64 v[4:5], v[4:5], v[82:83]
	ds_read_b128 v[82:85], v1 offset:1328
	s_waitcnt vmcnt(14) lgkmcnt(2)
	v_mul_f64 v[112:113], v[206:207], v[190:191]
	s_waitcnt lgkmcnt(0)
	v_mul_f64 v[110:111], v[82:83], v[180:181]
	v_fmac_f64_e32 v[110:111], v[84:85], v[182:183]
	v_add_f64 v[4:5], v[4:5], v[110:111]
	v_mul_f64 v[110:111], v[86:87], v[184:185]
	v_fmac_f64_e32 v[110:111], v[88:89], v[188:189]
	v_add_f64 v[4:5], v[4:5], v[110:111]
	;; [unrolled: 3-line block ×3, first 2 shown]
	v_mul_f64 v[4:5], v[100:101], v[102:103]
	v_fma_f64 v[4:5], v[98:99], v[104:105], -v[4:5]
	ds_read_b128 v[98:101], v1 offset:1392
	ds_read_b128 v[102:105], v1 offset:1408
	s_waitcnt vmcnt(12)
	v_fmac_f64_e32 v[112:113], v[208:209], v[230:231]
	v_add_f64 v[66:67], v[110:111], v[112:113]
	v_add_f64 v[252:253], v[2:3], v[4:5]
	s_waitcnt vmcnt(9) lgkmcnt(1)
	v_mul_f64 v[68:69], v[98:99], v[232:233]
	s_waitcnt vmcnt(8)
	v_fmac_f64_e32 v[68:69], v[100:101], v[234:235]
	v_add_f64 v[66:67], v[66:67], v[68:69]
	s_waitcnt vmcnt(6) lgkmcnt(0)
	v_mul_f64 v[68:69], v[102:103], v[236:237]
	s_waitcnt vmcnt(4)
	v_fmac_f64_e32 v[68:69], v[104:105], v[238:239]
	v_add_f64 v[106:107], v[66:67], v[68:69]
	ds_read_b128 v[66:69], v1 offset:1424
	buffer_load_dword v195, off, s[0:3], 0 offset:732
	buffer_load_dword v194, off, s[0:3], 0 offset:728
	;; [unrolled: 1-line block ×4, first 2 shown]
	v_accvgpr_read_b32 v4, a140
	v_accvgpr_read_b32 v2, a144
	;; [unrolled: 1-line block ×3, first 2 shown]
	s_waitcnt vmcnt(5) lgkmcnt(0)
	v_mul_f64 v[110:111], v[66:67], v[240:241]
	s_waitcnt vmcnt(4)
	v_fmac_f64_e32 v[110:111], v[68:69], v[242:243]
	v_add_f64 v[106:107], v[106:107], v[110:111]
	ds_read_b128 v[110:113], v1 offset:1440
	buffer_load_dword v246, off, s[0:3], 0 offset:744
	buffer_load_dword v247, off, s[0:3], 0 offset:748
	buffer_load_dword v248, off, s[0:3], 0 offset:736
	buffer_load_dword v249, off, s[0:3], 0 offset:740
	v_accvgpr_read_b32 v3, a145
	v_mul_f64 v[4:5], v[120:121], v[4:5]
	v_add_f64 v[2:3], v[252:253], v[2:3]
	v_fma_f64 v[4:5], v[118:119], v[94:95], -v[4:5]
	v_add_f64 v[2:3], v[2:3], v[4:5]
	v_mul_f64 v[4:5], v[8:9], v[138:139]
	v_fma_f64 v[4:5], v[6:7], v[142:143], -v[4:5]
	v_add_f64 v[2:3], v[2:3], v[4:5]
	v_mul_f64 v[4:5], v[12:13], v[122:123]
	;; [unrolled: 3-line block ×22, first 2 shown]
	s_waitcnt vmcnt(6) lgkmcnt(0)
	v_mul_f64 v[114:115], v[110:111], v[194:195]
	v_fma_f64 v[4:5], v[90:91], v[186:187], -v[4:5]
	s_waitcnt vmcnt(4)
	v_fmac_f64_e32 v[114:115], v[112:113], v[196:197]
	v_add_f64 v[106:107], v[106:107], v[114:115]
	ds_read_b128 v[114:117], v1 offset:1456
	buffer_load_dword v250, off, s[0:3], 0 offset:80
	buffer_load_dword v251, off, s[0:3], 0 offset:84
	;; [unrolled: 1-line block ×4, first 2 shown]
	v_add_f64 v[2:3], v[2:3], v[4:5]
	v_mul_f64 v[4:5], v[208:209], v[190:191]
	v_fma_f64 v[4:5], v[206:207], v[230:231], -v[4:5]
	v_add_f64 v[2:3], v[2:3], v[4:5]
	v_mul_f64 v[4:5], v[100:101], v[232:233]
	v_fma_f64 v[4:5], v[98:99], v[234:235], -v[4:5]
	;; [unrolled: 3-line block ×5, first 2 shown]
	v_add_f64 v[2:3], v[2:3], v[4:5]
	s_waitcnt vmcnt(6) lgkmcnt(0)
	v_mul_f64 v[4:5], v[116:117], v[246:247]
	v_mul_f64 v[192:193], v[114:115], v[246:247]
	s_waitcnt vmcnt(4)
	v_fma_f64 v[4:5], v[114:115], v[248:249], -v[4:5]
	v_fmac_f64_e32 v[192:193], v[116:117], v[248:249]
	v_add_f64 v[2:3], v[2:3], v[4:5]
	v_add_f64 v[106:107], v[106:107], v[192:193]
	s_waitcnt vmcnt(2)
	v_add_f64 v[2:3], v[250:251], -v[2:3]
	s_waitcnt vmcnt(0)
	v_add_f64 v[4:5], v[198:199], -v[106:107]
	buffer_store_dword v3, off, s[0:3], 0 offset:84
	buffer_store_dword v2, off, s[0:3], 0 offset:80
	;; [unrolled: 1-line block ×4, first 2 shown]
	s_and_saveexec_b64 s[4:5], vcc
	s_cbranch_execz .LBB45_283
; %bb.282:
	v_accvgpr_read_b32 v0, a134
	buffer_load_dword v2, v0, s[0:3], 0 offen
	buffer_load_dword v3, v0, s[0:3], 0 offen offset:4
	buffer_load_dword v4, v0, s[0:3], 0 offen offset:8
	;; [unrolled: 1-line block ×3, first 2 shown]
	v_accvgpr_read_b32 v0, a138
	buffer_store_dword v1, off, s[0:3], 0 offset:64
	buffer_store_dword v1, off, s[0:3], 0 offset:68
	;; [unrolled: 1-line block ×4, first 2 shown]
	s_waitcnt vmcnt(4)
	ds_write_b128 v0, v[2:5]
.LBB45_283:
	s_or_b64 exec, exec, s[4:5]
	s_waitcnt lgkmcnt(0)
	; wave barrier
	s_waitcnt lgkmcnt(0)
	buffer_load_dword v178, off, s[0:3], 0 offset:80
	buffer_load_dword v179, off, s[0:3], 0 offset:84
	;; [unrolled: 1-line block ×42, first 2 shown]
	ds_read_b128 v[110:113], v1 offset:800
	ds_read_b128 v[114:117], v1 offset:816
	;; [unrolled: 1-line block ×10, first 2 shown]
	buffer_load_dword v193, off, s[0:3], 0 offset:228
	buffer_load_dword v192, off, s[0:3], 0 offset:224
	ds_read_b128 v[90:93], v1 offset:960
	buffer_load_dword v105, off, s[0:3], 0 offset:284
	buffer_load_dword v104, off, s[0:3], 0 offset:280
	;; [unrolled: 1-line block ×6, first 2 shown]
	s_waitcnt vmcnt(46) lgkmcnt(10)
	v_mul_f64 v[2:3], v[110:111], v[180:181]
	v_fmac_f64_e32 v[2:3], v[112:113], v[178:179]
	v_add_f64 v[2:3], v[2:3], 0
	v_mul_f64 v[112:113], v[112:113], v[180:181]
	s_waitcnt vmcnt(42) lgkmcnt(9)
	v_mul_f64 v[4:5], v[114:115], v[62:63]
	v_fmac_f64_e32 v[4:5], v[116:117], v[56:57]
	v_add_f64 v[2:3], v[2:3], v[4:5]
	buffer_load_dword v99, off, s[0:3], 0 offset:260
	buffer_load_dword v98, off, s[0:3], 0 offset:256
	buffer_load_dword v5, off, s[0:3], 0 offset:316
	buffer_load_dword v4, off, s[0:3], 0 offset:312
	s_waitcnt vmcnt(44) lgkmcnt(8)
	v_mul_f64 v[6:7], v[194:195], v[54:55]
	s_waitcnt vmcnt(42) lgkmcnt(6)
	v_mul_f64 v[10:11], v[202:203], v[64:65]
	s_waitcnt vmcnt(40)
	v_fmac_f64_e32 v[10:11], v[204:205], v[66:67]
	v_mul_f64 v[62:63], v[116:117], v[62:63]
	s_waitcnt vmcnt(38)
	v_mul_f64 v[8:9], v[198:199], v[68:69]
	v_fma_f64 v[56:57], v[114:115], v[56:57], -v[62:63]
	s_waitcnt vmcnt(36) lgkmcnt(4)
	v_mul_f64 v[14:15], v[244:245], v[70:71]
	v_mul_f64 v[62:63], v[200:201], v[68:69]
	s_waitcnt vmcnt(34)
	v_fmac_f64_e32 v[14:15], v[246:247], v[72:73]
	v_mul_f64 v[54:55], v[196:197], v[54:55]
	s_waitcnt vmcnt(32)
	v_mul_f64 v[12:13], v[206:207], v[74:75]
	s_waitcnt vmcnt(30) lgkmcnt(2)
	v_mul_f64 v[18:19], v[252:253], v[78:79]
	v_mul_f64 v[78:79], v[254:255], v[78:79]
	s_waitcnt vmcnt(27)
	v_mul_f64 v[16:17], v[248:249], v[76:77]
	s_waitcnt vmcnt(25) lgkmcnt(1)
	v_mul_f64 v[20:21], v[82:83], v[86:87]
	s_waitcnt vmcnt(23)
	v_fmac_f64_e32 v[6:7], v[196:197], v[100:101]
	v_add_f64 v[2:3], v[2:3], v[6:7]
	s_waitcnt vmcnt(21)
	v_fmac_f64_e32 v[8:9], v[200:201], v[228:229]
	v_add_f64 v[2:3], v[2:3], v[8:9]
	;; [unrolled: 3-line block ×3, first 2 shown]
	v_add_f64 v[2:3], v[2:3], v[12:13]
	s_waitcnt vmcnt(17)
	v_fmac_f64_e32 v[16:17], v[250:251], v[88:89]
	v_add_f64 v[2:3], v[2:3], v[14:15]
	s_waitcnt vmcnt(16)
	v_fmac_f64_e32 v[18:19], v[254:255], v[80:81]
	v_add_f64 v[2:3], v[2:3], v[16:17]
	v_add_f64 v[2:3], v[2:3], v[18:19]
	v_fma_f64 v[198:199], v[198:199], v[228:229], -v[62:63]
	s_waitcnt vmcnt(10)
	v_fmac_f64_e32 v[20:21], v[84:85], v[192:193]
	v_add_f64 v[2:3], v[2:3], v[20:21]
	v_mul_f64 v[84:85], v[84:85], v[86:87]
	v_fma_f64 v[254:255], v[82:83], v[192:193], -v[84:85]
	v_fma_f64 v[54:55], v[194:195], v[100:101], -v[54:55]
	s_waitcnt vmcnt(0)
	v_pk_mov_b32 v[18:19], v[4:5], v[4:5] op_sel:[0,1]
	buffer_load_dword v5, off, s[0:3], 0 offset:308
	buffer_load_dword v4, off, s[0:3], 0 offset:304
	v_accvgpr_write_b32 a141, v19
	v_accvgpr_write_b32 a140, v18
	s_waitcnt vmcnt(0)
	v_pk_mov_b32 v[22:23], v[4:5], v[4:5] op_sel:[0,1]
	buffer_load_dword v135, off, s[0:3], 0 offset:300
	buffer_load_dword v134, off, s[0:3], 0 offset:296
	;; [unrolled: 1-line block ×6, first 2 shown]
	v_accvgpr_write_b32 a143, v23
	v_accvgpr_write_b32 a142, v22
	s_waitcnt vmcnt(0)
	v_pk_mov_b32 v[26:27], v[4:5], v[4:5] op_sel:[0,1]
	buffer_load_dword v5, off, s[0:3], 0 offset:340
	buffer_load_dword v4, off, s[0:3], 0 offset:336
	v_accvgpr_write_b32 a145, v27
	v_accvgpr_write_b32 a144, v26
	s_waitcnt vmcnt(0)
	v_pk_mov_b32 v[28:29], v[4:5], v[4:5] op_sel:[0,1]
	buffer_load_dword v143, off, s[0:3], 0 offset:332
	buffer_load_dword v142, off, s[0:3], 0 offset:328
	;; [unrolled: 1-line block ×60, first 2 shown]
	ds_read_b128 v[240:243], v1 offset:976
	ds_read_b128 v[58:61], v1 offset:992
	;; [unrolled: 1-line block ×5, first 2 shown]
	v_accvgpr_write_b32 a147, v29
	s_waitcnt lgkmcnt(3)
	v_mul_f64 v[8:9], v[58:59], v[104:105]
	v_fmac_f64_e32 v[8:9], v[60:61], v[106:107]
	s_waitcnt lgkmcnt(2)
	v_mul_f64 v[12:13], v[122:123], v[134:135]
	v_fmac_f64_e32 v[12:13], v[124:125], v[138:139]
	;; [unrolled: 3-line block ×3, first 2 shown]
	v_accvgpr_write_b32 a146, v28
	v_mul_f64 v[60:61], v[60:61], v[104:105]
	s_waitcnt vmcnt(54)
	v_pk_mov_b32 v[34:35], v[4:5], v[4:5] op_sel:[0,1]
	v_mul_f64 v[4:5], v[90:91], v[96:97]
	v_fmac_f64_e32 v[4:5], v[92:93], v[102:103]
	v_add_f64 v[2:3], v[2:3], v[4:5]
	v_mul_f64 v[4:5], v[240:241], v[108:109]
	v_fmac_f64_e32 v[4:5], v[242:243], v[98:99]
	v_add_f64 v[6:7], v[2:3], v[4:5]
	v_add_f64 v[10:11], v[6:7], v[8:9]
	;; [unrolled: 1-line block ×4, first 2 shown]
	ds_read_b128 v[14:17], v1 offset:1056
	s_waitcnt lgkmcnt(1)
	v_mul_f64 v[20:21], v[118:119], v[142:143]
	v_fmac_f64_e32 v[20:21], v[120:121], v[146:147]
	v_add_f64 v[22:23], v[18:19], v[20:21]
	ds_read_b128 v[18:21], v1 offset:1072
	s_waitcnt lgkmcnt(1)
	v_mul_f64 v[24:25], v[14:15], v[26:27]
	v_fmac_f64_e32 v[24:25], v[16:17], v[28:29]
	v_add_f64 v[26:27], v[22:23], v[24:25]
	ds_read_b128 v[22:25], v1 offset:1088
	s_waitcnt vmcnt(50) lgkmcnt(1)
	v_mul_f64 v[28:29], v[18:19], v[150:151]
	s_waitcnt vmcnt(48)
	v_fmac_f64_e32 v[28:29], v[20:21], v[154:155]
	v_add_f64 v[30:31], v[26:27], v[28:29]
	ds_read_b128 v[26:29], v1 offset:1104
	s_waitcnt lgkmcnt(1)
	v_mul_f64 v[32:33], v[22:23], v[34:35]
	v_accvgpr_write_b32 a149, v35
	v_fmac_f64_e32 v[32:33], v[24:25], v[128:129]
	v_accvgpr_write_b32 a148, v34
	v_add_f64 v[34:35], v[30:31], v[32:33]
	ds_read_b128 v[30:33], v1 offset:1120
	s_waitcnt vmcnt(42) lgkmcnt(1)
	v_mul_f64 v[36:37], v[26:27], v[158:159]
	s_waitcnt vmcnt(40)
	v_fmac_f64_e32 v[36:37], v[28:29], v[162:163]
	v_add_f64 v[38:39], v[34:35], v[36:37]
	ds_read_b128 v[34:37], v1 offset:1136
	s_waitcnt lgkmcnt(1)
	v_mul_f64 v[40:41], v[30:31], v[130:131]
	v_fmac_f64_e32 v[40:41], v[32:33], v[132:133]
	v_add_f64 v[42:43], v[38:39], v[40:41]
	ds_read_b128 v[38:41], v1 offset:1152
	s_waitcnt vmcnt(34) lgkmcnt(1)
	v_mul_f64 v[44:45], v[34:35], v[166:167]
	s_waitcnt vmcnt(32)
	v_fmac_f64_e32 v[44:45], v[36:37], v[170:171]
	v_add_f64 v[46:47], v[42:43], v[44:45]
	ds_read_b128 v[42:45], v1 offset:1168
	s_waitcnt lgkmcnt(1)
	v_mul_f64 v[48:49], v[38:39], v[136:137]
	v_fmac_f64_e32 v[48:49], v[40:41], v[140:141]
	v_add_f64 v[50:51], v[46:47], v[48:49]
	ds_read_b128 v[46:49], v1 offset:1184
	s_waitcnt vmcnt(26) lgkmcnt(1)
	v_mul_f64 v[52:53], v[42:43], v[210:211]
	s_waitcnt vmcnt(24)
	v_fmac_f64_e32 v[52:53], v[44:45], v[212:213]
	v_add_f64 v[2:3], v[50:51], v[52:53]
	ds_read_b128 v[50:53], v1 offset:1200
	buffer_load_dword v13, off, s[0:3], 0 offset:588
	buffer_load_dword v12, off, s[0:3], 0 offset:584
	;; [unrolled: 1-line block ×8, first 2 shown]
	v_fma_f64 v[6:7], v[110:111], v[178:179], -v[112:113]
	buffer_load_dword v179, off, s[0:3], 0 offset:636
	buffer_load_dword v185, off, s[0:3], 0 offset:620
	;; [unrolled: 1-line block ×12, first 2 shown]
	s_waitcnt lgkmcnt(1)
	v_mul_f64 v[4:5], v[46:47], v[144:145]
	v_fmac_f64_e32 v[4:5], v[48:49], v[148:149]
	v_add_f64 v[62:63], v[2:3], v[4:5]
	v_mul_f64 v[2:3], v[204:205], v[64:65]
	buffer_load_dword v230, off, s[0:3], 0 offset:664
	buffer_load_dword v232, off, s[0:3], 0 offset:656
	;; [unrolled: 1-line block ×12, first 2 shown]
	v_fma_f64 v[200:201], v[202:203], v[66:67], -v[2:3]
	buffer_load_dword v203, off, s[0:3], 0 offset:716
	buffer_load_dword v202, off, s[0:3], 0 offset:712
	;; [unrolled: 1-line block ×4, first 2 shown]
	ds_read_b128 v[8:11], v1 offset:1216
	s_waitcnt vmcnt(54) lgkmcnt(1)
	v_mul_f64 v[64:65], v[50:51], v[214:215]
	s_waitcnt vmcnt(52)
	v_fmac_f64_e32 v[64:65], v[52:53], v[216:217]
	v_add_f64 v[62:63], v[62:63], v[64:65]
	v_mul_f64 v[64:65], v[208:209], v[74:75]
	v_fma_f64 v[2:3], v[206:207], v[94:95], -v[64:65]
	ds_read_b128 v[206:209], v1 offset:1232
	s_waitcnt lgkmcnt(1)
	v_mul_f64 v[4:5], v[8:9], v[152:153]
	v_fmac_f64_e32 v[4:5], v[10:11], v[156:157]
	v_add_f64 v[4:5], v[62:63], v[4:5]
	ds_read_b128 v[62:65], v1 offset:1248
	v_mul_f64 v[66:67], v[246:247], v[70:71]
	s_waitcnt vmcnt(46) lgkmcnt(1)
	v_mul_f64 v[70:71], v[206:207], v[218:219]
	v_fma_f64 v[94:95], v[244:245], v[72:73], -v[66:67]
	ds_read_b128 v[66:69], v1 offset:1264
	s_waitcnt vmcnt(44)
	v_fmac_f64_e32 v[70:71], v[208:209], v[220:221]
	v_add_f64 v[4:5], v[4:5], v[70:71]
	v_mul_f64 v[70:71], v[250:251], v[76:77]
	v_fma_f64 v[248:249], v[248:249], v[88:89], -v[70:71]
	ds_read_b128 v[70:73], v1 offset:1280
	s_waitcnt lgkmcnt(2)
	v_mul_f64 v[74:75], v[62:63], v[160:161]
	v_fmac_f64_e32 v[74:75], v[64:65], v[164:165]
	v_add_f64 v[4:5], v[4:5], v[74:75]
	s_waitcnt vmcnt(38) lgkmcnt(1)
	v_mul_f64 v[74:75], v[66:67], v[222:223]
	s_waitcnt vmcnt(36)
	v_fmac_f64_e32 v[74:75], v[68:69], v[224:225]
	v_add_f64 v[4:5], v[4:5], v[74:75]
	v_fma_f64 v[250:251], v[252:253], v[80:81], -v[78:79]
	ds_read_b128 v[78:81], v1 offset:1312
	s_waitcnt lgkmcnt(1)
	v_mul_f64 v[74:75], v[70:71], v[168:169]
	v_fmac_f64_e32 v[74:75], v[72:73], v[172:173]
	v_add_f64 v[4:5], v[4:5], v[74:75]
	ds_read_b128 v[74:77], v1 offset:1296
	ds_read_b128 v[82:85], v1 offset:1328
	v_mul_f64 v[92:93], v[92:93], v[96:97]
	v_fma_f64 v[96:97], v[90:91], v[102:103], -v[92:93]
	v_fma_f64 v[252:253], v[58:59], v[106:107], -v[60:61]
	ds_read_b128 v[90:93], v1 offset:1360
	s_waitcnt vmcnt(25) lgkmcnt(1)
	v_mul_f64 v[100:101], v[82:83], v[184:185]
	s_waitcnt vmcnt(23)
	v_fmac_f64_e32 v[100:101], v[84:85], v[190:191]
	v_mul_f64 v[88:89], v[74:75], v[12:13]
	v_fmac_f64_e32 v[88:89], v[76:77], v[126:127]
	v_mul_f64 v[86:87], v[78:79], v[180:181]
	v_add_f64 v[4:5], v[4:5], v[88:89]
	v_fmac_f64_e32 v[86:87], v[80:81], v[182:183]
	v_add_f64 v[4:5], v[4:5], v[86:87]
	ds_read_b128 v[86:89], v1 offset:1344
	v_add_f64 v[4:5], v[4:5], v[100:101]
	s_waitcnt vmcnt(18) lgkmcnt(1)
	v_mul_f64 v[102:103], v[90:91], v[186:187]
	s_waitcnt vmcnt(16)
	v_fmac_f64_e32 v[102:103], v[92:93], v[226:227]
	s_waitcnt lgkmcnt(0)
	v_mul_f64 v[100:101], v[86:87], v[178:179]
	v_fmac_f64_e32 v[100:101], v[88:89], v[188:189]
	v_add_f64 v[4:5], v[4:5], v[100:101]
	v_mul_f64 v[100:101], v[242:243], v[108:109]
	v_fma_f64 v[192:193], v[240:241], v[98:99], -v[100:101]
	ds_read_b128 v[98:101], v1 offset:1376
	ds_read_b128 v[240:243], v1 offset:1392
	v_add_f64 v[4:5], v[4:5], v[102:103]
	ds_read_b128 v[102:105], v1 offset:1408
	ds_read_b128 v[106:109], v1 offset:1424
	buffer_load_dword v194, off, s[0:3], 0 offset:728
	buffer_load_dword v195, off, s[0:3], 0 offset:732
	;; [unrolled: 1-line block ×4, first 2 shown]
	ds_read_b128 v[110:113], v1 offset:1440
	buffer_load_dword v245, off, s[0:3], 0 offset:748
	buffer_load_dword v244, off, s[0:3], 0 offset:744
	buffer_load_dword v247, off, s[0:3], 0 offset:740
	buffer_load_dword v246, off, s[0:3], 0 offset:736
	s_waitcnt vmcnt(21) lgkmcnt(4)
	v_mul_f64 v[58:59], v[98:99], v[230:231]
	s_waitcnt vmcnt(20)
	v_fmac_f64_e32 v[58:59], v[100:101], v[232:233]
	v_add_f64 v[4:5], v[4:5], v[58:59]
	s_waitcnt vmcnt(17) lgkmcnt(3)
	v_mul_f64 v[58:59], v[240:241], v[236:237]
	s_waitcnt vmcnt(15)
	v_fmac_f64_e32 v[58:59], v[242:243], v[238:239]
	v_add_f64 v[4:5], v[4:5], v[58:59]
	s_waitcnt vmcnt(13) lgkmcnt(2)
	v_mul_f64 v[58:59], v[102:103], v[228:229]
	s_waitcnt vmcnt(12)
	v_fmac_f64_e32 v[58:59], v[104:105], v[234:235]
	ds_read_b128 v[114:117], v1 offset:1456
	v_add_f64 v[4:5], v[4:5], v[58:59]
	s_waitcnt vmcnt(10) lgkmcnt(2)
	v_mul_f64 v[58:59], v[106:107], v[202:203]
	s_waitcnt vmcnt(8)
	v_fmac_f64_e32 v[58:59], v[108:109], v[204:205]
	v_add_f64 v[4:5], v[4:5], v[58:59]
	v_accvgpr_read_b32 v0, a140
	v_accvgpr_read_b32 v1, a141
	s_waitcnt vmcnt(6) lgkmcnt(1)
	v_mul_f64 v[58:59], v[110:111], v[194:195]
	s_waitcnt vmcnt(4)
	v_fmac_f64_e32 v[58:59], v[112:113], v[196:197]
	v_add_f64 v[4:5], v[4:5], v[58:59]
	s_waitcnt vmcnt(2) lgkmcnt(0)
	v_mul_f64 v[58:59], v[114:115], v[244:245]
	s_waitcnt vmcnt(0)
	v_fmac_f64_e32 v[58:59], v[116:117], v[246:247]
	v_add_f64 v[58:59], v[4:5], v[58:59]
	v_add_f64 v[4:5], v[6:7], 0
	;; [unrolled: 1-line block ×10, first 2 shown]
	buffer_load_dword v250, off, s[0:3], 0 offset:64
	buffer_load_dword v251, off, s[0:3], 0 offset:68
	buffer_load_dword v248, off, s[0:3], 0 offset:72
	buffer_load_dword v249, off, s[0:3], 0 offset:76
	v_add_f64 v[2:3], v[2:3], v[254:255]
	v_add_f64 v[254:255], v[2:3], v[96:97]
	;; [unrolled: 1-line block ×3, first 2 shown]
	v_mul_f64 v[4:5], v[124:125], v[134:135]
	v_add_f64 v[2:3], v[2:3], v[252:253]
	v_fma_f64 v[4:5], v[122:123], v[138:139], -v[4:5]
	v_add_f64 v[2:3], v[2:3], v[4:5]
	v_mul_f64 v[4:5], v[176:177], v[0:1]
	v_accvgpr_read_b32 v0, a142
	v_accvgpr_read_b32 v1, a143
	v_fma_f64 v[4:5], v[174:175], v[0:1], -v[4:5]
	v_add_f64 v[2:3], v[2:3], v[4:5]
	v_mul_f64 v[4:5], v[120:121], v[142:143]
	v_accvgpr_read_b32 v0, a144
	v_fma_f64 v[4:5], v[118:119], v[146:147], -v[4:5]
	v_accvgpr_read_b32 v1, a145
	v_add_f64 v[2:3], v[2:3], v[4:5]
	v_mul_f64 v[4:5], v[16:17], v[0:1]
	v_accvgpr_read_b32 v0, a146
	v_accvgpr_read_b32 v1, a147
	v_fma_f64 v[4:5], v[14:15], v[0:1], -v[4:5]
	v_add_f64 v[2:3], v[2:3], v[4:5]
	v_mul_f64 v[4:5], v[20:21], v[150:151]
	v_accvgpr_read_b32 v0, a148
	v_fma_f64 v[4:5], v[18:19], v[154:155], -v[4:5]
	v_accvgpr_read_b32 v1, a149
	v_add_f64 v[2:3], v[2:3], v[4:5]
	v_mul_f64 v[4:5], v[24:25], v[0:1]
	v_fma_f64 v[4:5], v[22:23], v[128:129], -v[4:5]
	v_add_f64 v[2:3], v[2:3], v[4:5]
	v_mul_f64 v[4:5], v[28:29], v[158:159]
	v_fma_f64 v[4:5], v[26:27], v[162:163], -v[4:5]
	;; [unrolled: 3-line block ×24, first 2 shown]
	v_add_f64 v[2:3], v[2:3], v[4:5]
	v_accvgpr_read_b32 v0, a137
	s_waitcnt vmcnt(2)
	v_add_f64 v[2:3], v[250:251], -v[2:3]
	v_cmp_lt_u32_e32 vcc, 2, v0
	s_waitcnt vmcnt(0)
	v_add_f64 v[4:5], v[248:249], -v[58:59]
	buffer_store_dword v3, off, s[0:3], 0 offset:68
	buffer_store_dword v2, off, s[0:3], 0 offset:64
	;; [unrolled: 1-line block ×4, first 2 shown]
	s_and_saveexec_b64 s[4:5], vcc
	s_cbranch_execz .LBB45_285
; %bb.284:
	v_accvgpr_read_b32 v0, a135
	buffer_load_dword v2, v0, s[0:3], 0 offen
	buffer_load_dword v3, v0, s[0:3], 0 offen offset:4
	buffer_load_dword v4, v0, s[0:3], 0 offen offset:8
	;; [unrolled: 1-line block ×3, first 2 shown]
	v_mov_b32_e32 v0, 0
	v_accvgpr_read_b32 v1, a138
	buffer_store_dword v0, off, s[0:3], 0 offset:48
	buffer_store_dword v0, off, s[0:3], 0 offset:52
	;; [unrolled: 1-line block ×4, first 2 shown]
	s_waitcnt vmcnt(4)
	ds_write_b128 v1, v[2:5]
.LBB45_285:
	s_or_b64 exec, exec, s[4:5]
	s_waitcnt lgkmcnt(0)
	; wave barrier
	s_waitcnt lgkmcnt(0)
	buffer_load_dword v50, off, s[0:3], 0 offset:64
	buffer_load_dword v51, off, s[0:3], 0 offset:68
	;; [unrolled: 1-line block ×54, first 2 shown]
	v_mov_b32_e32 v122, 0
	ds_read_b128 v[102:105], v122 offset:784
	ds_read_b128 v[106:109], v122 offset:800
	;; [unrolled: 1-line block ×9, first 2 shown]
	s_waitcnt vmcnt(50) lgkmcnt(8)
	v_mul_f64 v[2:3], v[102:103], v[56:57]
	v_fmac_f64_e32 v[2:3], v[104:105], v[50:51]
	v_add_f64 v[2:3], v[2:3], 0
	s_waitcnt vmcnt(46) lgkmcnt(7)
	v_mul_f64 v[4:5], v[106:107], v[58:59]
	v_fmac_f64_e32 v[4:5], v[108:109], v[52:53]
	s_waitcnt vmcnt(44) lgkmcnt(6)
	v_mul_f64 v[6:7], v[110:111], v[54:55]
	v_add_f64 v[2:3], v[2:3], v[4:5]
	s_waitcnt vmcnt(42) lgkmcnt(4)
	v_mul_f64 v[10:11], v[234:235], v[62:63]
	s_waitcnt vmcnt(40)
	v_fmac_f64_e32 v[10:11], v[236:237], v[60:61]
	s_waitcnt vmcnt(38)
	v_mul_f64 v[8:9], v[114:115], v[64:65]
	s_waitcnt vmcnt(36) lgkmcnt(2)
	v_mul_f64 v[14:15], v[198:199], v[66:67]
	s_waitcnt vmcnt(34)
	v_fmac_f64_e32 v[14:15], v[200:201], v[70:71]
	s_waitcnt vmcnt(32)
	v_mul_f64 v[12:13], v[194:195], v[76:77]
	s_waitcnt vmcnt(30) lgkmcnt(1)
	v_mul_f64 v[16:17], v[202:203], v[68:69]
	s_waitcnt vmcnt(28)
	v_fmac_f64_e32 v[6:7], v[112:113], v[184:185]
	v_add_f64 v[2:3], v[2:3], v[6:7]
	s_waitcnt vmcnt(26)
	v_fmac_f64_e32 v[8:9], v[116:117], v[228:229]
	v_add_f64 v[2:3], v[2:3], v[8:9]
	;; [unrolled: 3-line block ×3, first 2 shown]
	v_add_f64 v[2:3], v[2:3], v[12:13]
	v_add_f64 v[2:3], v[2:3], v[14:15]
	s_waitcnt vmcnt(22)
	v_fmac_f64_e32 v[16:17], v[204:205], v[72:73]
	v_add_f64 v[2:3], v[2:3], v[16:17]
	s_waitcnt vmcnt(0)
	v_pk_mov_b32 v[18:19], v[0:1], v[0:1] op_sel:[0,1]
	buffer_load_dword v1, off, s[0:3], 0 offset:292
	buffer_load_dword v0, off, s[0:3], 0 offset:288
	v_accvgpr_write_b32 a141, v19
	v_accvgpr_write_b32 a140, v18
	s_waitcnt vmcnt(0)
	v_pk_mov_b32 v[14:15], v[0:1], v[0:1] op_sel:[0,1]
	buffer_load_dword v193, off, s[0:3], 0 offset:284
	buffer_load_dword v192, off, s[0:3], 0 offset:280
	buffer_load_dword v1, off, s[0:3], 0 offset:276
	buffer_load_dword v0, off, s[0:3], 0 offset:272
	buffer_load_dword v5, off, s[0:3], 0 offset:332
	buffer_load_dword v4, off, s[0:3], 0 offset:328
	v_accvgpr_write_b32 a143, v15
	v_accvgpr_write_b32 a142, v14
	s_waitcnt vmcnt(0)
	v_pk_mov_b32 v[22:23], v[4:5], v[4:5] op_sel:[0,1]
	buffer_load_dword v5, off, s[0:3], 0 offset:324
	buffer_load_dword v4, off, s[0:3], 0 offset:320
	v_accvgpr_write_b32 a145, v23
	v_accvgpr_write_b32 a144, v22
	s_waitcnt vmcnt(0)
	v_pk_mov_b32 v[24:25], v[4:5], v[4:5] op_sel:[0,1]
	buffer_load_dword v139, off, s[0:3], 0 offset:316
	buffer_load_dword v138, off, s[0:3], 0 offset:312
	;; [unrolled: 1-line block ×52, first 2 shown]
	ds_read_b128 v[244:247], v122 offset:928
	ds_read_b128 v[248:251], v122 offset:944
	;; [unrolled: 1-line block ×7, first 2 shown]
	v_accvgpr_write_b32 a147, v25
	v_accvgpr_write_b32 a146, v24
	s_waitcnt lgkmcnt(2)
	v_mul_f64 v[8:9], v[188:189], v[192:193]
	v_fmac_f64_e32 v[8:9], v[190:191], v[0:1]
	s_waitcnt lgkmcnt(1)
	v_mul_f64 v[12:13], v[124:125], v[18:19]
	v_fmac_f64_e32 v[12:13], v[126:127], v[14:15]
	s_waitcnt vmcnt(46)
	v_pk_mov_b32 v[30:31], v[4:5], v[4:5] op_sel:[0,1]
	v_mul_f64 v[4:5], v[206:207], v[74:75]
	v_fmac_f64_e32 v[4:5], v[208:209], v[84:85]
	v_add_f64 v[2:3], v[2:3], v[4:5]
	v_mul_f64 v[4:5], v[244:245], v[90:91]
	v_fmac_f64_e32 v[4:5], v[246:247], v[92:93]
	v_add_f64 v[2:3], v[2:3], v[4:5]
	;; [unrolled: 3-line block ×5, first 2 shown]
	v_add_f64 v[10:11], v[6:7], v[8:9]
	v_add_f64 v[14:15], v[10:11], v[12:13]
	ds_read_b128 v[10:13], v122 offset:1040
	s_waitcnt lgkmcnt(1)
	v_mul_f64 v[16:17], v[118:119], v[138:139]
	v_fmac_f64_e32 v[16:17], v[120:121], v[142:143]
	v_add_f64 v[18:19], v[14:15], v[16:17]
	ds_read_b128 v[14:17], v122 offset:1056
	s_waitcnt lgkmcnt(1)
	v_mul_f64 v[20:21], v[10:11], v[22:23]
	v_fmac_f64_e32 v[20:21], v[12:13], v[24:25]
	v_add_f64 v[22:23], v[18:19], v[20:21]
	ds_read_b128 v[18:21], v122 offset:1072
	s_waitcnt vmcnt(42) lgkmcnt(1)
	v_mul_f64 v[24:25], v[14:15], v[146:147]
	s_waitcnt vmcnt(40)
	v_fmac_f64_e32 v[24:25], v[16:17], v[150:151]
	v_add_f64 v[26:27], v[22:23], v[24:25]
	ds_read_b128 v[22:25], v122 offset:1088
	s_waitcnt lgkmcnt(1)
	v_mul_f64 v[28:29], v[18:19], v[30:31]
	v_accvgpr_write_b32 a149, v31
	v_fmac_f64_e32 v[28:29], v[20:21], v[128:129]
	v_accvgpr_write_b32 a148, v30
	v_add_f64 v[30:31], v[26:27], v[28:29]
	ds_read_b128 v[26:29], v122 offset:1104
	s_waitcnt vmcnt(34) lgkmcnt(1)
	v_mul_f64 v[32:33], v[22:23], v[154:155]
	s_waitcnt vmcnt(32)
	v_fmac_f64_e32 v[32:33], v[24:25], v[158:159]
	v_add_f64 v[34:35], v[30:31], v[32:33]
	ds_read_b128 v[30:33], v122 offset:1120
	s_waitcnt lgkmcnt(1)
	v_mul_f64 v[36:37], v[26:27], v[130:131]
	v_fmac_f64_e32 v[36:37], v[28:29], v[132:133]
	v_add_f64 v[38:39], v[34:35], v[36:37]
	ds_read_b128 v[34:37], v122 offset:1136
	s_waitcnt vmcnt(26) lgkmcnt(1)
	v_mul_f64 v[40:41], v[30:31], v[162:163]
	s_waitcnt vmcnt(24)
	v_fmac_f64_e32 v[40:41], v[32:33], v[164:165]
	v_add_f64 v[42:43], v[38:39], v[40:41]
	ds_read_b128 v[38:41], v122 offset:1152
	s_waitcnt lgkmcnt(1)
	v_mul_f64 v[44:45], v[34:35], v[134:135]
	v_fmac_f64_e32 v[44:45], v[36:37], v[136:137]
	v_add_f64 v[46:47], v[42:43], v[44:45]
	ds_read_b128 v[42:45], v122 offset:1168
	buffer_load_dword v175, off, s[0:3], 0 offset:556
	buffer_load_dword v215, off, s[0:3], 0 offset:540
	;; [unrolled: 1-line block ×8, first 2 shown]
	s_waitcnt vmcnt(26) lgkmcnt(1)
	v_mul_f64 v[48:49], v[38:39], v[166:167]
	s_waitcnt vmcnt(24)
	v_fmac_f64_e32 v[48:49], v[40:41], v[168:169]
	v_add_f64 v[178:179], v[46:47], v[48:49]
	ds_read_b128 v[46:49], v122 offset:1184
	buffer_load_dword v177, off, s[0:3], 0 offset:572
	buffer_load_dword v176, off, s[0:3], 0 offset:568
	;; [unrolled: 1-line block ×4, first 2 shown]
	s_waitcnt lgkmcnt(1)
	v_mul_f64 v[180:181], v[42:43], v[140:141]
	v_fmac_f64_e32 v[180:181], v[44:45], v[144:145]
	v_add_f64 v[2:3], v[178:179], v[180:181]
	buffer_load_dword v223, off, s[0:3], 0 offset:588
	buffer_load_dword v222, off, s[0:3], 0 offset:584
	;; [unrolled: 1-line block ×8, first 2 shown]
	v_mul_f64 v[4:5], v[104:105], v[56:57]
	v_fma_f64 v[6:7], v[102:103], v[50:51], -v[4:5]
	buffer_load_dword v180, off, s[0:3], 0 offset:616
	v_mul_f64 v[50:51], v[108:109], v[58:59]
	v_fma_f64 v[102:103], v[106:107], v[52:53], -v[50:51]
	buffer_load_dword v182, off, s[0:3], 0 offset:608
	buffer_load_dword v181, off, s[0:3], 0 offset:620
	;; [unrolled: 1-line block ×3, first 2 shown]
	v_mul_f64 v[50:51], v[112:113], v[54:55]
	v_fma_f64 v[104:105], v[110:111], v[184:185], -v[50:51]
	buffer_load_dword v185, off, s[0:3], 0 offset:636
	buffer_load_dword v184, off, s[0:3], 0 offset:632
	;; [unrolled: 1-line block ×8, first 2 shown]
	v_mul_f64 v[50:51], v[116:117], v[64:65]
	v_fma_f64 v[106:107], v[114:115], v[228:229], -v[50:51]
	v_mul_f64 v[50:51], v[236:237], v[62:63]
	v_fma_f64 v[108:109], v[234:235], v[60:61], -v[50:51]
	buffer_load_dword v229, off, s[0:3], 0 offset:684
	buffer_load_dword v235, off, s[0:3], 0 offset:668
	buffer_load_dword v234, off, s[0:3], 0 offset:664
	buffer_load_dword v241, off, s[0:3], 0 offset:660
	buffer_load_dword v240, off, s[0:3], 0 offset:656
	buffer_load_dword v228, off, s[0:3], 0 offset:680
	buffer_load_dword v239, off, s[0:3], 0 offset:676
	buffer_load_dword v238, off, s[0:3], 0 offset:672
	buffer_load_dword v237, off, s[0:3], 0 offset:700
	buffer_load_dword v236, off, s[0:3], 0 offset:696
	buffer_load_dword v243, off, s[0:3], 0 offset:692
	buffer_load_dword v242, off, s[0:3], 0 offset:688
	ds_read_b128 v[50:53], v122 offset:1200
	v_mul_f64 v[54:55], v[196:197], v[76:77]
	v_fma_f64 v[78:79], v[194:195], v[78:79], -v[54:55]
	ds_read_b128 v[54:57], v122 offset:1216
	s_waitcnt vmcnt(54) lgkmcnt(2)
	v_mul_f64 v[58:59], v[46:47], v[170:171]
	s_waitcnt vmcnt(52)
	v_fmac_f64_e32 v[58:59], v[48:49], v[172:173]
	v_add_f64 v[2:3], v[2:3], v[58:59]
	s_waitcnt lgkmcnt(1)
	v_mul_f64 v[58:59], v[50:51], v[148:149]
	v_fmac_f64_e32 v[58:59], v[52:53], v[152:153]
	v_add_f64 v[2:3], v[2:3], v[58:59]
	s_waitcnt vmcnt(46) lgkmcnt(0)
	v_mul_f64 v[58:59], v[54:55], v[210:211]
	s_waitcnt vmcnt(44)
	v_fmac_f64_e32 v[58:59], v[56:57], v[212:213]
	v_add_f64 v[2:3], v[2:3], v[58:59]
	ds_read_b128 v[58:61], v122 offset:1232
	v_mul_f64 v[62:63], v[200:201], v[66:67]
	v_fma_f64 v[198:199], v[198:199], v[70:71], -v[62:63]
	ds_read_b128 v[62:65], v122 offset:1248
	v_mul_f64 v[66:67], v[204:205], v[68:69]
	v_fma_f64 v[200:201], v[202:203], v[72:73], -v[66:67]
	ds_read_b128 v[66:69], v122 offset:1264
	s_waitcnt lgkmcnt(2)
	v_mul_f64 v[70:71], v[58:59], v[156:157]
	v_fmac_f64_e32 v[70:71], v[60:61], v[160:161]
	v_add_f64 v[2:3], v[2:3], v[70:71]
	v_mul_f64 v[74:75], v[208:209], v[74:75]
	v_fma_f64 v[194:195], v[206:207], v[84:85], -v[74:75]
	ds_read_b128 v[74:77], v122 offset:1296
	v_mul_f64 v[90:91], v[246:247], v[90:91]
	ds_read_b128 v[206:209], v122 offset:1328
	v_fma_f64 v[244:245], v[244:245], v[92:93], -v[90:91]
	v_mul_f64 v[90:91], v[254:255], v[98:99]
	v_fma_f64 v[254:255], v[252:253], v[100:101], -v[90:91]
	ds_read_b128 v[90:93], v122 offset:1360
	v_mul_f64 v[82:83], v[82:83], v[94:95]
	v_fma_f64 v[4:5], v[80:81], v[96:97], -v[82:83]
	ds_read_b128 v[94:97], v122 offset:1376
	v_add_f64 v[6:7], v[6:7], 0
	ds_read_b128 v[202:205], v122 offset:1312
	v_add_f64 v[6:7], v[6:7], v[102:103]
	v_add_f64 v[6:7], v[6:7], v[104:105]
	;; [unrolled: 1-line block ×9, first 2 shown]
	s_waitcnt vmcnt(41) lgkmcnt(6)
	v_mul_f64 v[70:71], v[62:63], v[214:215]
	s_waitcnt vmcnt(39)
	v_fmac_f64_e32 v[70:71], v[64:65], v[218:219]
	v_add_f64 v[2:3], v[2:3], v[70:71]
	s_waitcnt vmcnt(38) lgkmcnt(5)
	v_mul_f64 v[70:71], v[66:67], v[174:175]
	s_waitcnt vmcnt(36)
	v_fmac_f64_e32 v[70:71], v[68:69], v[216:217]
	v_add_f64 v[2:3], v[2:3], v[70:71]
	ds_read_b128 v[70:73], v122 offset:1280
	s_waitcnt vmcnt(34) lgkmcnt(0)
	v_mul_f64 v[84:85], v[70:71], v[176:177]
	s_waitcnt vmcnt(32)
	v_fmac_f64_e32 v[84:85], v[72:73], v[220:221]
	v_add_f64 v[2:3], v[2:3], v[84:85]
	s_waitcnt vmcnt(30)
	v_mul_f64 v[84:85], v[74:75], v[222:223]
	s_waitcnt vmcnt(28)
	v_fmac_f64_e32 v[84:85], v[76:77], v[226:227]
	v_add_f64 v[2:3], v[2:3], v[84:85]
	s_waitcnt vmcnt(26)
	v_mul_f64 v[84:85], v[202:203], v[224:225]
	s_waitcnt vmcnt(24)
	v_fmac_f64_e32 v[84:85], v[204:205], v[178:179]
	v_add_f64 v[2:3], v[2:3], v[84:85]
	v_mul_f64 v[84:85], v[250:251], v[86:87]
	v_fma_f64 v[250:251], v[248:249], v[88:89], -v[84:85]
	ds_read_b128 v[86:89], v122 offset:1344
	s_waitcnt vmcnt(21)
	v_mul_f64 v[84:85], v[206:207], v[180:181]
	s_waitcnt vmcnt(20)
	v_fmac_f64_e32 v[84:85], v[208:209], v[182:183]
	v_add_f64 v[2:3], v[2:3], v[84:85]
	s_waitcnt vmcnt(14)
	v_mul_f64 v[8:9], v[90:91], v[230:231]
	s_waitcnt lgkmcnt(0)
	v_mul_f64 v[98:99], v[86:87], v[184:185]
	v_fmac_f64_e32 v[98:99], v[88:89], v[186:187]
	v_add_f64 v[2:3], v[2:3], v[98:99]
	s_waitcnt vmcnt(12)
	v_fmac_f64_e32 v[8:9], v[92:93], v[232:233]
	buffer_load_dword v84, off, s[0:3], 0 offset:712
	v_add_f64 v[8:9], v[2:3], v[8:9]
	v_mul_f64 v[2:3], v[190:191], v[192:193]
	ds_read_b128 v[98:101], v122 offset:1392
	v_fma_f64 v[252:253], v[188:189], v[0:1], -v[2:3]
	ds_read_b128 v[0:3], v122 offset:1408
	buffer_load_dword v190, off, s[0:3], 0 offset:704
	buffer_load_dword v85, off, s[0:3], 0 offset:716
	buffer_load_dword v191, off, s[0:3], 0 offset:708
	s_waitcnt vmcnt(13)
	v_mul_f64 v[80:81], v[94:95], v[234:235]
	s_waitcnt vmcnt(11)
	v_fmac_f64_e32 v[80:81], v[96:97], v[240:241]
	v_add_f64 v[8:9], v[8:9], v[80:81]
	s_waitcnt vmcnt(10) lgkmcnt(1)
	v_mul_f64 v[80:81], v[98:99], v[228:229]
	s_waitcnt vmcnt(8)
	v_fmac_f64_e32 v[80:81], v[100:101], v[238:239]
	v_add_f64 v[8:9], v[8:9], v[80:81]
	s_waitcnt vmcnt(6) lgkmcnt(0)
	v_mul_f64 v[80:81], v[0:1], v[236:237]
	s_waitcnt vmcnt(4)
	v_fmac_f64_e32 v[80:81], v[2:3], v[242:243]
	v_add_f64 v[8:9], v[8:9], v[80:81]
	ds_read_b128 v[80:83], v122 offset:1424
	buffer_load_dword v189, off, s[0:3], 0 offset:732
	buffer_load_dword v188, off, s[0:3], 0 offset:728
	;; [unrolled: 1-line block ×4, first 2 shown]
	v_add_f64 v[6:7], v[6:7], v[250:251]
	v_add_f64 v[6:7], v[6:7], v[254:255]
	;; [unrolled: 1-line block ×3, first 2 shown]
	v_accvgpr_read_b32 v6, a140
	v_accvgpr_read_b32 v7, a141
	v_mul_f64 v[6:7], v[126:127], v[6:7]
	v_add_f64 v[4:5], v[200:201], v[252:253]
	v_mul_f64 v[2:3], v[2:3], v[236:237]
	v_fma_f64 v[0:1], v[0:1], v[242:243], -v[2:3]
	s_waitcnt vmcnt(5) lgkmcnt(0)
	v_mul_f64 v[110:111], v[80:81], v[84:85]
	s_waitcnt vmcnt(4)
	v_fmac_f64_e32 v[110:111], v[82:83], v[190:191]
	v_add_f64 v[8:9], v[8:9], v[110:111]
	ds_read_b128 v[110:113], v122 offset:1440
	buffer_load_dword v246, off, s[0:3], 0 offset:744
	buffer_load_dword v247, off, s[0:3], 0 offset:748
	;; [unrolled: 1-line block ×4, first 2 shown]
	v_mul_f64 v[2:3], v[82:83], v[84:85]
	v_fma_f64 v[2:3], v[80:81], v[190:191], -v[2:3]
	s_waitcnt vmcnt(6) lgkmcnt(0)
	v_mul_f64 v[114:115], v[110:111], v[188:189]
	s_waitcnt vmcnt(4)
	v_fmac_f64_e32 v[114:115], v[112:113], v[196:197]
	v_add_f64 v[8:9], v[8:9], v[114:115]
	ds_read_b128 v[114:117], v122 offset:1456
	buffer_load_dword v250, off, s[0:3], 0 offset:48
	buffer_load_dword v251, off, s[0:3], 0 offset:52
	;; [unrolled: 1-line block ×4, first 2 shown]
	s_waitcnt vmcnt(6) lgkmcnt(0)
	v_mul_f64 v[192:193], v[114:115], v[246:247]
	s_waitcnt vmcnt(4)
	v_fmac_f64_e32 v[192:193], v[116:117], v[248:249]
	v_add_f64 v[192:193], v[8:9], v[192:193]
	v_accvgpr_read_b32 v8, a142
	v_accvgpr_read_b32 v9, a143
	v_fma_f64 v[6:7], v[124:125], v[8:9], -v[6:7]
	v_add_f64 v[4:5], v[4:5], v[6:7]
	v_mul_f64 v[6:7], v[120:121], v[138:139]
	v_fma_f64 v[6:7], v[118:119], v[142:143], -v[6:7]
	v_add_f64 v[4:5], v[4:5], v[6:7]
	v_accvgpr_read_b32 v6, a144
	v_accvgpr_read_b32 v7, a145
	;; [unrolled: 1-line block ×3, first 2 shown]
	v_mul_f64 v[6:7], v[12:13], v[6:7]
	v_accvgpr_read_b32 v9, a147
	v_fma_f64 v[6:7], v[10:11], v[8:9], -v[6:7]
	v_add_f64 v[4:5], v[4:5], v[6:7]
	v_mul_f64 v[6:7], v[16:17], v[146:147]
	v_fma_f64 v[6:7], v[14:15], v[150:151], -v[6:7]
	v_add_f64 v[4:5], v[4:5], v[6:7]
	v_accvgpr_read_b32 v6, a148
	v_accvgpr_read_b32 v7, a149
	v_mul_f64 v[6:7], v[20:21], v[6:7]
	v_fma_f64 v[6:7], v[18:19], v[128:129], -v[6:7]
	v_add_f64 v[4:5], v[4:5], v[6:7]
	v_mul_f64 v[6:7], v[24:25], v[154:155]
	v_fma_f64 v[6:7], v[22:23], v[158:159], -v[6:7]
	v_add_f64 v[4:5], v[4:5], v[6:7]
	;; [unrolled: 3-line block ×21, first 2 shown]
	v_add_f64 v[0:1], v[4:5], v[0:1]
	v_add_f64 v[0:1], v[0:1], v[2:3]
	v_mul_f64 v[2:3], v[112:113], v[188:189]
	v_fma_f64 v[2:3], v[110:111], v[196:197], -v[2:3]
	v_add_f64 v[0:1], v[0:1], v[2:3]
	v_mul_f64 v[2:3], v[116:117], v[246:247]
	v_fma_f64 v[2:3], v[114:115], v[248:249], -v[2:3]
	v_add_f64 v[0:1], v[0:1], v[2:3]
	s_waitcnt vmcnt(2)
	v_add_f64 v[0:1], v[250:251], -v[0:1]
	s_waitcnt vmcnt(0)
	v_add_f64 v[2:3], v[198:199], -v[192:193]
	buffer_store_dword v1, off, s[0:3], 0 offset:52
	buffer_store_dword v0, off, s[0:3], 0 offset:48
	;; [unrolled: 1-line block ×4, first 2 shown]
	v_accvgpr_read_b32 v0, a137
	v_cmp_lt_u32_e32 vcc, 1, v0
	s_and_saveexec_b64 s[4:5], vcc
	s_cbranch_execz .LBB45_287
; %bb.286:
	v_accvgpr_read_b32 v0, a136
	buffer_load_dword v2, v0, s[0:3], 0 offen
	buffer_load_dword v3, v0, s[0:3], 0 offen offset:4
	buffer_load_dword v4, v0, s[0:3], 0 offen offset:8
	buffer_load_dword v5, v0, s[0:3], 0 offen offset:12
	v_accvgpr_read_b32 v0, a138
	buffer_store_dword v122, off, s[0:3], 0 offset:32
	buffer_store_dword v122, off, s[0:3], 0 offset:36
	;; [unrolled: 1-line block ×4, first 2 shown]
	s_waitcnt vmcnt(4)
	ds_write_b128 v0, v[2:5]
.LBB45_287:
	s_or_b64 exec, exec, s[4:5]
	s_waitcnt lgkmcnt(0)
	; wave barrier
	s_waitcnt lgkmcnt(0)
	buffer_load_dword v138, off, s[0:3], 0 offset:48
	buffer_load_dword v139, off, s[0:3], 0 offset:52
	;; [unrolled: 1-line block ×36, first 2 shown]
	ds_read_b128 v[82:85], v122 offset:768
	ds_read_b128 v[78:81], v122 offset:784
	;; [unrolled: 1-line block ×9, first 2 shown]
	buffer_load_dword v179, off, s[0:3], 0 offset:220
	buffer_load_dword v178, off, s[0:3], 0 offset:216
	;; [unrolled: 1-line block ×19, first 2 shown]
	s_waitcnt vmcnt(51) lgkmcnt(8)
	v_mul_f64 v[0:1], v[82:83], v[146:147]
	v_fmac_f64_e32 v[0:1], v[84:85], v[138:139]
	v_add_f64 v[0:1], v[0:1], 0
	s_waitcnt vmcnt(47) lgkmcnt(7)
	v_mul_f64 v[2:3], v[78:79], v[150:151]
	v_fmac_f64_e32 v[2:3], v[80:81], v[148:149]
	s_waitcnt vmcnt(45) lgkmcnt(6)
	v_mul_f64 v[4:5], v[74:75], v[154:155]
	v_add_f64 v[0:1], v[0:1], v[2:3]
	s_waitcnt vmcnt(43) lgkmcnt(4)
	v_mul_f64 v[8:9], v[62:63], v[164:165]
	v_mul_f64 v[80:81], v[80:81], v[150:151]
	s_waitcnt vmcnt(41)
	v_fmac_f64_e32 v[8:9], v[64:65], v[166:167]
	v_fma_f64 v[78:79], v[78:79], v[148:149], -v[80:81]
	s_waitcnt vmcnt(39)
	v_mul_f64 v[6:7], v[70:71], v[100:101]
	v_mul_f64 v[64:65], v[64:65], v[164:165]
	s_waitcnt vmcnt(37) lgkmcnt(2)
	v_mul_f64 v[12:13], v[54:55], v[104:105]
	s_waitcnt vmcnt(35)
	v_fmac_f64_e32 v[12:13], v[56:57], v[108:109]
	v_mul_f64 v[56:57], v[56:57], v[104:105]
	s_waitcnt vmcnt(33)
	v_mul_f64 v[10:11], v[50:51], v[112:113]
	s_waitcnt vmcnt(31) lgkmcnt(1)
	v_mul_f64 v[14:15], v[58:59], v[106:107]
	s_waitcnt vmcnt(29)
	v_fmac_f64_e32 v[4:5], v[76:77], v[152:153]
	v_add_f64 v[0:1], v[0:1], v[4:5]
	s_waitcnt vmcnt(27)
	v_fmac_f64_e32 v[6:7], v[72:73], v[116:117]
	v_add_f64 v[0:1], v[0:1], v[6:7]
	;; [unrolled: 3-line block ×3, first 2 shown]
	v_add_f64 v[0:1], v[0:1], v[10:11]
	v_add_f64 v[2:3], v[0:1], v[12:13]
	buffer_load_dword v188, off, s[0:3], 0 offset:272
	buffer_load_dword v1, off, s[0:3], 0 offset:268
	;; [unrolled: 1-line block ×7, first 2 shown]
	s_waitcnt vmcnt(30)
	v_fmac_f64_e32 v[14:15], v[60:61], v[110:111]
	v_add_f64 v[2:3], v[2:3], v[14:15]
	v_mul_f64 v[76:77], v[76:77], v[154:155]
	v_fma_f64 v[80:81], v[74:75], v[152:153], -v[76:77]
	v_mul_f64 v[52:53], v[52:53], v[112:113]
	v_fma_f64 v[114:115], v[50:51], v[114:115], -v[52:53]
	;; [unrolled: 2-line block ×3, first 2 shown]
	v_fma_f64 v[116:117], v[62:63], v[166:167], -v[64:65]
	v_mul_f64 v[60:61], v[60:61], v[106:107]
	s_waitcnt vmcnt(0)
	v_pk_mov_b32 v[18:19], v[4:5], v[4:5] op_sel:[0,1]
	buffer_load_dword v5, off, s[0:3], 0 offset:308
	buffer_load_dword v4, off, s[0:3], 0 offset:304
	v_accvgpr_write_b32 a141, v19
	v_accvgpr_write_b32 a140, v18
	s_waitcnt vmcnt(0)
	v_pk_mov_b32 v[20:21], v[4:5], v[4:5] op_sel:[0,1]
	buffer_load_dword v223, off, s[0:3], 0 offset:300
	buffer_load_dword v222, off, s[0:3], 0 offset:296
	;; [unrolled: 1-line block ×6, first 2 shown]
	v_accvgpr_write_b32 a143, v21
	v_accvgpr_write_b32 a142, v20
	s_waitcnt vmcnt(0)
	v_pk_mov_b32 v[26:27], v[4:5], v[4:5] op_sel:[0,1]
	buffer_load_dword v5, off, s[0:3], 0 offset:340
	buffer_load_dword v4, off, s[0:3], 0 offset:336
	v_accvgpr_write_b32 a145, v27
	v_accvgpr_write_b32 a144, v26
	s_waitcnt vmcnt(0)
	v_pk_mov_b32 v[28:29], v[4:5], v[4:5] op_sel:[0,1]
	buffer_load_dword v231, off, s[0:3], 0 offset:332
	buffer_load_dword v230, off, s[0:3], 0 offset:328
	;; [unrolled: 1-line block ×6, first 2 shown]
	v_accvgpr_write_b32 a147, v29
	v_accvgpr_write_b32 a146, v28
	s_waitcnt vmcnt(0)
	v_pk_mov_b32 v[34:35], v[4:5], v[4:5] op_sel:[0,1]
	buffer_load_dword v5, off, s[0:3], 0 offset:372
	buffer_load_dword v4, off, s[0:3], 0 offset:368
	v_accvgpr_write_b32 a149, v35
	v_accvgpr_write_b32 a148, v34
	s_waitcnt vmcnt(0)
	v_pk_mov_b32 v[36:37], v[4:5], v[4:5] op_sel:[0,1]
	buffer_load_dword v239, off, s[0:3], 0 offset:364
	buffer_load_dword v238, off, s[0:3], 0 offset:360
	;; [unrolled: 1-line block ×36, first 2 shown]
	ds_read_b128 v[200:203], v122 offset:912
	ds_read_b128 v[204:207], v122 offset:928
	;; [unrolled: 1-line block ×9, first 2 shown]
	v_accvgpr_write_b32 a151, v37
	s_waitcnt lgkmcnt(3)
	v_mul_f64 v[8:9], v[94:95], v[186:187]
	v_fmac_f64_e32 v[8:9], v[96:97], v[188:189]
	s_waitcnt lgkmcnt(2)
	v_mul_f64 v[12:13], v[212:213], v[222:223]
	v_fmac_f64_e32 v[12:13], v[214:215], v[226:227]
	;; [unrolled: 3-line block ×3, first 2 shown]
	v_accvgpr_write_b32 a150, v36
	v_mul_f64 v[70:71], v[202:203], v[182:183]
	v_mul_f64 v[96:97], v[96:97], v[186:187]
	s_waitcnt vmcnt(30)
	v_pk_mov_b32 v[42:43], v[4:5], v[4:5] op_sel:[0,1]
	v_mul_f64 v[4:5], v[66:67], v[102:103]
	v_fmac_f64_e32 v[4:5], v[68:69], v[176:177]
	v_add_f64 v[2:3], v[2:3], v[4:5]
	v_mul_f64 v[4:5], v[200:201], v[182:183]
	v_fmac_f64_e32 v[4:5], v[202:203], v[184:185]
	v_add_f64 v[2:3], v[2:3], v[4:5]
	;; [unrolled: 3-line block ×6, first 2 shown]
	v_add_f64 v[10:11], v[6:7], v[8:9]
	v_add_f64 v[14:15], v[10:11], v[12:13]
	;; [unrolled: 1-line block ×3, first 2 shown]
	ds_read_b128 v[14:17], v122 offset:1056
	s_waitcnt lgkmcnt(1)
	v_mul_f64 v[20:21], v[124:125], v[230:231]
	v_fmac_f64_e32 v[20:21], v[126:127], v[234:235]
	v_add_f64 v[22:23], v[18:19], v[20:21]
	ds_read_b128 v[18:21], v122 offset:1072
	s_waitcnt lgkmcnt(1)
	v_mul_f64 v[24:25], v[14:15], v[26:27]
	v_fmac_f64_e32 v[24:25], v[16:17], v[28:29]
	v_add_f64 v[26:27], v[22:23], v[24:25]
	;; [unrolled: 5-line block ×4, first 2 shown]
	ds_read_b128 v[30:33], v122 offset:1120
	s_waitcnt vmcnt(26) lgkmcnt(1)
	v_mul_f64 v[36:37], v[26:27], v[246:247]
	s_waitcnt vmcnt(24)
	v_fmac_f64_e32 v[36:37], v[28:29], v[248:249]
	v_add_f64 v[38:39], v[34:35], v[36:37]
	ds_read_b128 v[34:37], v122 offset:1136
	s_waitcnt lgkmcnt(1)
	v_mul_f64 v[40:41], v[30:31], v[42:43]
	v_accvgpr_write_b32 a153, v43
	v_fmac_f64_e32 v[40:41], v[32:33], v[220:221]
	v_accvgpr_write_b32 a152, v42
	v_add_f64 v[42:43], v[38:39], v[40:41]
	ds_read_b128 v[38:41], v122 offset:1152
	s_waitcnt vmcnt(18) lgkmcnt(1)
	v_mul_f64 v[44:45], v[34:35], v[250:251]
	s_waitcnt vmcnt(16)
	v_fmac_f64_e32 v[44:45], v[36:37], v[252:253]
	v_add_f64 v[46:47], v[42:43], v[44:45]
	ds_read_b128 v[42:45], v122 offset:1168
	buffer_load_dword v129, off, s[0:3], 0 offset:524
	buffer_load_dword v128, off, s[0:3], 0 offset:520
	;; [unrolled: 1-line block ×4, first 2 shown]
	s_waitcnt lgkmcnt(1)
	v_mul_f64 v[48:49], v[38:39], v[224:225]
	v_fmac_f64_e32 v[48:49], v[40:41], v[228:229]
	v_add_f64 v[132:133], v[46:47], v[48:49]
	ds_read_b128 v[46:49], v122 offset:1184
	buffer_load_dword v135, off, s[0:3], 0 offset:540
	buffer_load_dword v134, off, s[0:3], 0 offset:536
	buffer_load_dword v137, off, s[0:3], 0 offset:532
	buffer_load_dword v136, off, s[0:3], 0 offset:528
	s_waitcnt vmcnt(18) lgkmcnt(1)
	v_mul_f64 v[140:141], v[42:43], v[254:255]
	s_waitcnt vmcnt(16)
	v_fmac_f64_e32 v[140:141], v[44:45], v[216:217]
	v_add_f64 v[2:3], v[132:133], v[140:141]
	buffer_load_dword v133, off, s[0:3], 0 offset:572
	buffer_load_dword v141, off, s[0:3], 0 offset:556
	;; [unrolled: 1-line block ×8, first 2 shown]
	v_mul_f64 v[4:5], v[84:85], v[146:147]
	v_fma_f64 v[10:11], v[82:83], v[138:139], -v[4:5]
	buffer_load_dword v138, off, s[0:3], 0 offset:600
	buffer_load_dword v147, off, s[0:3], 0 offset:588
	;; [unrolled: 1-line block ×20, first 2 shown]
	s_waitcnt lgkmcnt(0)
	v_mul_f64 v[50:51], v[46:47], v[232:233]
	v_fmac_f64_e32 v[50:51], v[48:49], v[236:237]
	buffer_load_dword v167, off, s[0:3], 0 offset:668
	buffer_load_dword v166, off, s[0:3], 0 offset:664
	;; [unrolled: 1-line block ×12, first 2 shown]
	v_add_f64 v[2:3], v[2:3], v[50:51]
	ds_read_b128 v[50:53], v122 offset:1200
	v_fma_f64 v[6:7], v[54:55], v[108:109], -v[56:57]
	ds_read_b128 v[54:57], v122 offset:1216
	v_fma_f64 v[4:5], v[58:59], v[110:111], -v[60:61]
	ds_read_b128 v[58:61], v122 offset:1232
	ds_read_b128 v[62:65], v122 offset:1248
	s_waitcnt vmcnt(50) lgkmcnt(3)
	v_mul_f64 v[8:9], v[50:51], v[218:219]
	s_waitcnt vmcnt(48)
	v_fmac_f64_e32 v[8:9], v[52:53], v[192:193]
	v_add_f64 v[2:3], v[2:3], v[8:9]
	s_waitcnt lgkmcnt(2)
	v_mul_f64 v[8:9], v[54:55], v[240:241]
	v_fmac_f64_e32 v[8:9], v[56:57], v[244:245]
	v_add_f64 v[2:3], v[2:3], v[8:9]
	v_fma_f64 v[200:201], v[200:201], v[184:185], -v[70:71]
	ds_read_b128 v[74:77], v122 offset:1296
	v_mul_f64 v[88:89], v[88:89], v[190:191]
	v_fma_f64 v[190:191], v[86:87], v[194:195], -v[88:89]
	ds_read_b128 v[86:89], v122 offset:1360
	v_mul_f64 v[0:1], v[92:93], v[0:1]
	v_add_f64 v[10:11], v[10:11], 0
	v_add_f64 v[10:11], v[10:11], v[78:79]
	;; [unrolled: 1-line block ×8, first 2 shown]
	v_mul_f64 v[6:7], v[214:215], v[222:223]
	v_fma_f64 v[6:7], v[212:213], v[226:227], -v[6:7]
	ds_read_b128 v[70:73], v122 offset:1280
	s_waitcnt vmcnt(46) lgkmcnt(4)
	v_mul_f64 v[8:9], v[58:59], v[128:129]
	s_waitcnt vmcnt(44)
	v_fmac_f64_e32 v[8:9], v[60:61], v[130:131]
	v_add_f64 v[2:3], v[2:3], v[8:9]
	v_mul_f64 v[8:9], v[68:69], v[102:103]
	v_fma_f64 v[8:9], v[66:67], v[176:177], -v[8:9]
	ds_read_b128 v[66:69], v122 offset:1264
	s_waitcnt vmcnt(42) lgkmcnt(4)
	v_mul_f64 v[12:13], v[62:63], v[134:135]
	s_waitcnt vmcnt(40)
	v_fmac_f64_e32 v[12:13], v[64:65], v[136:137]
	v_add_f64 v[2:3], v[2:3], v[12:13]
	v_add_f64 v[4:5], v[4:5], v[8:9]
	s_waitcnt vmcnt(37) lgkmcnt(0)
	v_mul_f64 v[12:13], v[66:67], v[140:141]
	s_waitcnt vmcnt(35)
	v_fmac_f64_e32 v[12:13], v[68:69], v[144:145]
	v_add_f64 v[2:3], v[2:3], v[12:13]
	s_waitcnt vmcnt(34)
	v_mul_f64 v[12:13], v[70:71], v[132:133]
	s_waitcnt vmcnt(32)
	v_fmac_f64_e32 v[12:13], v[72:73], v[142:143]
	v_add_f64 v[2:3], v[2:3], v[12:13]
	v_mul_f64 v[12:13], v[206:207], v[178:179]
	v_fma_f64 v[12:13], v[204:205], v[180:181], -v[12:13]
	ds_read_b128 v[202:205], v122 offset:1312
	s_waitcnt vmcnt(29)
	v_mul_f64 v[82:83], v[74:75], v[146:147]
	s_waitcnt vmcnt(27)
	v_fmac_f64_e32 v[82:83], v[76:77], v[150:151]
	v_add_f64 v[2:3], v[2:3], v[82:83]
	v_mul_f64 v[82:83], v[120:121], v[196:197]
	v_fma_f64 v[206:207], v[118:119], v[198:199], -v[82:83]
	ds_read_b128 v[82:85], v122 offset:1328
	ds_read_b128 v[118:121], v122 offset:1344
	s_waitcnt vmcnt(25) lgkmcnt(2)
	v_mul_f64 v[102:103], v[202:203], v[138:139]
	s_waitcnt vmcnt(24)
	v_fmac_f64_e32 v[102:103], v[204:205], v[148:149]
	v_add_f64 v[2:3], v[2:3], v[102:103]
	s_waitcnt vmcnt(21) lgkmcnt(1)
	v_mul_f64 v[102:103], v[82:83], v[154:155]
	s_waitcnt vmcnt(19)
	v_fmac_f64_e32 v[102:103], v[84:85], v[160:161]
	v_add_f64 v[2:3], v[2:3], v[102:103]
	;; [unrolled: 5-line block ×3, first 2 shown]
	v_fma_f64 v[196:197], v[90:91], v[98:99], -v[0:1]
	ds_read_b128 v[0:3], v122 offset:1376
	s_waitcnt vmcnt(14)
	v_mul_f64 v[104:105], v[86:87], v[156:157]
	s_waitcnt vmcnt(12)
	v_fmac_f64_e32 v[104:105], v[88:89], v[162:163]
	v_add_f64 v[98:99], v[102:103], v[104:105]
	ds_read_b128 v[90:93], v122 offset:1392
	ds_read_b128 v[102:105], v122 offset:1408
	buffer_load_dword v177, off, s[0:3], 0 offset:716
	buffer_load_dword v176, off, s[0:3], 0 offset:712
	;; [unrolled: 1-line block ×4, first 2 shown]
	ds_read_b128 v[106:109], v122 offset:1424
	buffer_load_dword v180, off, s[0:3], 0 offset:728
	buffer_load_dword v181, off, s[0:3], 0 offset:732
	;; [unrolled: 1-line block ×4, first 2 shown]
	v_fma_f64 v[198:199], v[94:95], v[188:189], -v[96:97]
	s_waitcnt vmcnt(18) lgkmcnt(3)
	v_mul_f64 v[94:95], v[0:1], v[166:167]
	s_waitcnt vmcnt(16)
	v_fmac_f64_e32 v[94:95], v[2:3], v[168:169]
	s_waitcnt vmcnt(13) lgkmcnt(2)
	v_mul_f64 v[96:97], v[90:91], v[172:173]
	v_add_f64 v[94:95], v[98:99], v[94:95]
	s_waitcnt vmcnt(11)
	v_fmac_f64_e32 v[96:97], v[92:93], v[174:175]
	ds_read_b128 v[110:113], v122 offset:1440
	v_add_f64 v[94:95], v[94:95], v[96:97]
	s_waitcnt vmcnt(9) lgkmcnt(2)
	v_mul_f64 v[96:97], v[102:103], v[164:165]
	s_waitcnt vmcnt(8)
	v_fmac_f64_e32 v[96:97], v[104:105], v[170:171]
	v_add_f64 v[94:95], v[94:95], v[96:97]
	buffer_load_dword v187, off, s[0:3], 0 offset:748
	buffer_load_dword v186, off, s[0:3], 0 offset:744
	;; [unrolled: 1-line block ×4, first 2 shown]
	v_add_f64 v[4:5], v[4:5], v[200:201]
	v_add_f64 v[4:5], v[4:5], v[12:13]
	;; [unrolled: 1-line block ×7, first 2 shown]
	v_accvgpr_read_b32 v6, a140
	v_accvgpr_read_b32 v7, a141
	v_accvgpr_read_b32 v8, a142
	v_mul_f64 v[6:7], v[210:211], v[6:7]
	v_accvgpr_read_b32 v9, a143
	v_fma_f64 v[6:7], v[208:209], v[8:9], -v[6:7]
	v_add_f64 v[4:5], v[4:5], v[6:7]
	v_mul_f64 v[6:7], v[126:127], v[230:231]
	v_fma_f64 v[6:7], v[124:125], v[234:235], -v[6:7]
	v_add_f64 v[4:5], v[4:5], v[6:7]
	v_accvgpr_read_b32 v6, a144
	v_accvgpr_read_b32 v7, a145
	v_accvgpr_read_b32 v8, a146
	v_mul_f64 v[6:7], v[16:17], v[6:7]
	v_accvgpr_read_b32 v9, a147
	v_fma_f64 v[6:7], v[14:15], v[8:9], -v[6:7]
	v_add_f64 v[4:5], v[4:5], v[6:7]
	v_mul_f64 v[6:7], v[20:21], v[238:239]
	v_fma_f64 v[6:7], v[18:19], v[242:243], -v[6:7]
	v_add_f64 v[4:5], v[4:5], v[6:7]
	;; [unrolled: 10-line block ×3, first 2 shown]
	v_accvgpr_read_b32 v6, a152
	v_accvgpr_read_b32 v7, a153
	v_mul_f64 v[6:7], v[32:33], v[6:7]
	v_fma_f64 v[6:7], v[30:31], v[220:221], -v[6:7]
	v_add_f64 v[4:5], v[4:5], v[6:7]
	v_mul_f64 v[6:7], v[36:37], v[250:251]
	v_fma_f64 v[6:7], v[34:35], v[252:253], -v[6:7]
	v_add_f64 v[4:5], v[4:5], v[6:7]
	;; [unrolled: 3-line block ×8, first 2 shown]
	s_waitcnt vmcnt(10) lgkmcnt(1)
	v_mul_f64 v[96:97], v[106:107], v[176:177]
	v_mul_f64 v[6:7], v[64:65], v[134:135]
	s_waitcnt vmcnt(8)
	v_fmac_f64_e32 v[96:97], v[108:109], v[178:179]
	v_add_f64 v[94:95], v[94:95], v[96:97]
	s_waitcnt vmcnt(6) lgkmcnt(0)
	v_mul_f64 v[96:97], v[110:111], v[180:181]
	s_waitcnt vmcnt(4)
	v_fmac_f64_e32 v[96:97], v[112:113], v[182:183]
	v_add_f64 v[98:99], v[94:95], v[96:97]
	ds_read_b128 v[94:97], v122 offset:1456
	buffer_load_dword v194, off, s[0:3], 0 offset:32
	buffer_load_dword v195, off, s[0:3], 0 offset:36
	;; [unrolled: 1-line block ×4, first 2 shown]
	v_fma_f64 v[6:7], v[62:63], v[136:137], -v[6:7]
	v_add_f64 v[4:5], v[4:5], v[6:7]
	v_mul_f64 v[6:7], v[68:69], v[140:141]
	v_fma_f64 v[6:7], v[66:67], v[144:145], -v[6:7]
	v_add_f64 v[4:5], v[4:5], v[6:7]
	v_mul_f64 v[6:7], v[72:73], v[132:133]
	;; [unrolled: 3-line block ×7, first 2 shown]
	v_fma_f64 v[6:7], v[86:87], v[162:163], -v[6:7]
	v_mul_f64 v[2:3], v[2:3], v[166:167]
	v_add_f64 v[4:5], v[4:5], v[6:7]
	v_fma_f64 v[0:1], v[0:1], v[168:169], -v[2:3]
	v_mul_f64 v[2:3], v[92:93], v[172:173]
	v_add_f64 v[0:1], v[4:5], v[0:1]
	v_fma_f64 v[2:3], v[90:91], v[174:175], -v[2:3]
	v_add_f64 v[0:1], v[0:1], v[2:3]
	v_mul_f64 v[2:3], v[104:105], v[164:165]
	v_fma_f64 v[2:3], v[102:103], v[170:171], -v[2:3]
	v_add_f64 v[0:1], v[0:1], v[2:3]
	v_mul_f64 v[2:3], v[108:109], v[176:177]
	;; [unrolled: 3-line block ×3, first 2 shown]
	v_fma_f64 v[2:3], v[110:111], v[182:183], -v[2:3]
	v_add_f64 v[0:1], v[0:1], v[2:3]
	s_waitcnt vmcnt(6) lgkmcnt(0)
	v_mul_f64 v[2:3], v[96:97], v[186:187]
	v_mul_f64 v[122:123], v[94:95], v[186:187]
	s_waitcnt vmcnt(4)
	v_fma_f64 v[2:3], v[94:95], v[188:189], -v[2:3]
	v_fmac_f64_e32 v[122:123], v[96:97], v[188:189]
	v_add_f64 v[0:1], v[0:1], v[2:3]
	v_add_f64 v[184:185], v[98:99], v[122:123]
	s_waitcnt vmcnt(2)
	v_add_f64 v[0:1], v[194:195], -v[0:1]
	s_waitcnt vmcnt(0)
	v_add_f64 v[2:3], v[190:191], -v[184:185]
	buffer_store_dword v1, off, s[0:3], 0 offset:36
	buffer_store_dword v0, off, s[0:3], 0 offset:32
	;; [unrolled: 1-line block ×4, first 2 shown]
	v_accvgpr_read_b32 v0, a137
	v_cmp_ne_u32_e32 vcc, 0, v0
	s_and_saveexec_b64 s[4:5], vcc
	s_cbranch_execz .LBB45_289
; %bb.288:
	buffer_load_dword v0, off, s[0:3], 0 offset:16
	buffer_load_dword v1, off, s[0:3], 0 offset:20
	;; [unrolled: 1-line block ×4, first 2 shown]
	v_mov_b32_e32 v4, 0
	v_accvgpr_read_b32 v5, a138
	buffer_store_dword v4, off, s[0:3], 0 offset:16
	buffer_store_dword v4, off, s[0:3], 0 offset:20
	buffer_store_dword v4, off, s[0:3], 0 offset:24
	buffer_store_dword v4, off, s[0:3], 0 offset:28
	s_waitcnt vmcnt(4)
	ds_write_b128 v5, v[0:3]
.LBB45_289:
	s_or_b64 exec, exec, s[4:5]
	s_waitcnt lgkmcnt(0)
	; wave barrier
	s_waitcnt lgkmcnt(0)
	buffer_load_dword v54, off, s[0:3], 0 offset:32
	buffer_load_dword v55, off, s[0:3], 0 offset:36
	;; [unrolled: 1-line block ×36, first 2 shown]
	v_mov_b32_e32 v16, 0
	buffer_load_dword v85, off, s[0:3], 0 offset:204
	buffer_load_dword v84, off, s[0:3], 0 offset:200
	;; [unrolled: 1-line block ×18, first 2 shown]
	ds_read_b128 v[108:111], v16 offset:752
	ds_read_b128 v[112:115], v16 offset:768
	;; [unrolled: 1-line block ×9, first 2 shown]
	s_and_b64 vcc, exec, s[20:21]
	s_waitcnt vmcnt(50) lgkmcnt(8)
	v_mul_f64 v[0:1], v[108:109], v[56:57]
	v_fmac_f64_e32 v[0:1], v[110:111], v[54:55]
	v_add_f64 v[0:1], v[0:1], 0
	s_waitcnt vmcnt(46) lgkmcnt(7)
	v_mul_f64 v[2:3], v[112:113], v[52:53]
	v_fmac_f64_e32 v[2:3], v[114:115], v[48:49]
	s_waitcnt vmcnt(44) lgkmcnt(6)
	v_mul_f64 v[4:5], v[146:147], v[50:51]
	v_add_f64 v[0:1], v[0:1], v[2:3]
	s_waitcnt vmcnt(42) lgkmcnt(4)
	v_mul_f64 v[8:9], v[158:159], v[58:59]
	v_mul_f64 v[52:53], v[114:115], v[52:53]
	s_waitcnt vmcnt(40)
	v_fmac_f64_e32 v[8:9], v[160:161], v[60:61]
	s_waitcnt vmcnt(38)
	v_mul_f64 v[6:7], v[154:155], v[62:63]
	s_waitcnt vmcnt(36) lgkmcnt(2)
	v_mul_f64 v[12:13], v[166:167], v[72:73]
	s_waitcnt vmcnt(34)
	v_fmac_f64_e32 v[12:13], v[168:169], v[70:71]
	s_waitcnt vmcnt(32)
	v_mul_f64 v[10:11], v[162:163], v[74:75]
	s_waitcnt vmcnt(30) lgkmcnt(1)
	v_mul_f64 v[14:15], v[174:175], v[64:65]
	s_waitcnt vmcnt(28)
	v_fmac_f64_e32 v[4:5], v[148:149], v[80:81]
	v_add_f64 v[0:1], v[0:1], v[4:5]
	s_waitcnt vmcnt(26)
	v_fmac_f64_e32 v[6:7], v[156:157], v[78:79]
	v_add_f64 v[0:1], v[0:1], v[6:7]
	s_waitcnt vmcnt(24)
	v_fmac_f64_e32 v[10:11], v[164:165], v[76:77]
	v_add_f64 v[0:1], v[0:1], v[8:9]
	v_add_f64 v[0:1], v[0:1], v[10:11]
	v_add_f64 v[4:5], v[0:1], v[12:13]
	buffer_load_dword v103, off, s[0:3], 0 offset:260
	buffer_load_dword v102, off, s[0:3], 0 offset:256
	;; [unrolled: 1-line block ×8, first 2 shown]
	s_waitcnt vmcnt(30)
	v_fmac_f64_e32 v[14:15], v[176:177], v[68:69]
	v_add_f64 v[4:5], v[4:5], v[14:15]
	s_waitcnt vmcnt(0)
	v_pk_mov_b32 v[12:13], v[6:7], v[6:7] op_sel:[0,1]
	buffer_load_dword v7, off, s[0:3], 0 offset:292
	buffer_load_dword v6, off, s[0:3], 0 offset:288
	v_accvgpr_write_b32 a139, v13
	v_accvgpr_write_b32 a138, v12
	s_waitcnt vmcnt(0)
	v_pk_mov_b32 v[18:19], v[6:7], v[6:7] op_sel:[0,1]
	buffer_load_dword v105, off, s[0:3], 0 offset:284
	buffer_load_dword v104, off, s[0:3], 0 offset:280
	buffer_load_dword v107, off, s[0:3], 0 offset:276
	buffer_load_dword v106, off, s[0:3], 0 offset:272
	buffer_load_dword v7, off, s[0:3], 0 offset:332
	buffer_load_dword v6, off, s[0:3], 0 offset:328
	v_accvgpr_write_b32 a141, v19
	v_accvgpr_write_b32 a140, v18
	s_waitcnt vmcnt(0)
	v_pk_mov_b32 v[20:21], v[6:7], v[6:7] op_sel:[0,1]
	buffer_load_dword v7, off, s[0:3], 0 offset:324
	buffer_load_dword v6, off, s[0:3], 0 offset:320
	v_accvgpr_write_b32 a143, v21
	v_accvgpr_write_b32 a142, v20
	s_waitcnt vmcnt(0)
	v_pk_mov_b32 v[22:23], v[6:7], v[6:7] op_sel:[0,1]
	buffer_load_dword v229, off, s[0:3], 0 offset:316
	buffer_load_dword v228, off, s[0:3], 0 offset:312
	buffer_load_dword v233, off, s[0:3], 0 offset:308
	buffer_load_dword v232, off, s[0:3], 0 offset:304
	buffer_load_dword v7, off, s[0:3], 0 offset:364
	buffer_load_dword v6, off, s[0:3], 0 offset:360
	v_accvgpr_write_b32 a145, v23
	v_accvgpr_write_b32 a144, v22
	;; [unrolled: 16-line block ×3, first 2 shown]
	s_waitcnt vmcnt(0)
	v_pk_mov_b32 v[36:37], v[6:7], v[6:7] op_sel:[0,1]
	buffer_load_dword v7, off, s[0:3], 0 offset:388
	buffer_load_dword v6, off, s[0:3], 0 offset:384
	;; [unrolled: 1-line block ×30, first 2 shown]
	ds_read_b128 v[182:185], v16 offset:896
	ds_read_b128 v[186:189], v16 offset:912
	;; [unrolled: 1-line block ×11, first 2 shown]
	s_waitcnt lgkmcnt(3)
	v_mul_f64 v[10:11], v[218:219], v[12:13]
	v_fmac_f64_e32 v[10:11], v[220:221], v[18:19]
	s_waitcnt lgkmcnt(2)
	v_mul_f64 v[14:15], v[214:215], v[228:229]
	v_fmac_f64_e32 v[14:15], v[216:217], v[232:233]
	;; [unrolled: 3-line block ×3, first 2 shown]
	s_waitcnt vmcnt(28)
	v_pk_mov_b32 v[38:39], v[6:7], v[6:7] op_sel:[0,1]
	v_mul_f64 v[6:7], v[178:179], v[66:67]
	v_fmac_f64_e32 v[6:7], v[180:181], v[82:83]
	v_add_f64 v[4:5], v[4:5], v[6:7]
	v_mul_f64 v[6:7], v[182:183], v[88:89]
	v_fmac_f64_e32 v[6:7], v[184:185], v[90:91]
	v_add_f64 v[4:5], v[4:5], v[6:7]
	;; [unrolled: 3-line block ×8, first 2 shown]
	v_add_f64 v[12:13], v[8:9], v[10:11]
	v_add_f64 v[4:5], v[12:13], v[14:15]
	ds_read_b128 v[12:15], v16 offset:1072
	s_waitcnt lgkmcnt(1)
	v_mul_f64 v[22:23], v[116:117], v[236:237]
	v_add_f64 v[20:21], v[4:5], v[18:19]
	v_fmac_f64_e32 v[22:23], v[118:119], v[240:241]
	v_add_f64 v[24:25], v[20:21], v[22:23]
	ds_read_b128 v[20:23], v16 offset:1088
	s_waitcnt lgkmcnt(1)
	v_mul_f64 v[26:27], v[12:13], v[28:29]
	v_fmac_f64_e32 v[26:27], v[14:15], v[30:31]
	v_add_f64 v[28:29], v[24:25], v[26:27]
	ds_read_b128 v[24:27], v16 offset:1104
	s_waitcnt vmcnt(26) lgkmcnt(1)
	v_mul_f64 v[30:31], v[20:21], v[244:245]
	s_waitcnt vmcnt(24)
	v_fmac_f64_e32 v[30:31], v[22:23], v[246:247]
	v_add_f64 v[32:33], v[28:29], v[30:31]
	ds_read_b128 v[28:31], v16 offset:1120
	s_waitcnt lgkmcnt(1)
	v_mul_f64 v[34:35], v[24:25], v[36:37]
	v_fmac_f64_e32 v[34:35], v[26:27], v[38:39]
	v_accvgpr_write_b32 a151, v39
	v_pk_mov_b32 v[18:19], v[36:37], v[36:37] op_sel:[0,1]
	v_accvgpr_write_b32 a150, v38
	v_add_f64 v[36:37], v[32:33], v[34:35]
	ds_read_b128 v[32:35], v16 offset:1136
	s_waitcnt vmcnt(18) lgkmcnt(1)
	v_mul_f64 v[38:39], v[28:29], v[248:249]
	s_waitcnt vmcnt(16)
	v_fmac_f64_e32 v[38:39], v[30:31], v[250:251]
	v_add_f64 v[40:41], v[36:37], v[38:39]
	ds_read_b128 v[36:39], v16 offset:1152
	s_waitcnt lgkmcnt(1)
	v_mul_f64 v[42:43], v[32:33], v[224:225]
	v_fmac_f64_e32 v[42:43], v[34:35], v[226:227]
	v_add_f64 v[44:45], v[40:41], v[42:43]
	ds_read_b128 v[40:43], v16 offset:1168
	s_waitcnt vmcnt(10) lgkmcnt(1)
	v_mul_f64 v[46:47], v[36:37], v[252:253]
	s_waitcnt vmcnt(8)
	v_fmac_f64_e32 v[46:47], v[38:39], v[254:255]
	v_add_f64 v[126:127], v[44:45], v[46:47]
	ds_read_b128 v[44:47], v16 offset:1184
	buffer_load_dword v123, off, s[0:3], 0 offset:524
	buffer_load_dword v125, off, s[0:3], 0 offset:508
	;; [unrolled: 1-line block ×8, first 2 shown]
	s_waitcnt lgkmcnt(1)
	v_mul_f64 v[132:133], v[40:41], v[230:231]
	v_fmac_f64_e32 v[132:133], v[42:43], v[234:235]
	v_add_f64 v[4:5], v[126:127], v[132:133]
	buffer_load_dword v127, off, s[0:3], 0 offset:556
	buffer_load_dword v133, off, s[0:3], 0 offset:540
	;; [unrolled: 1-line block ×16, first 2 shown]
	v_mul_f64 v[6:7], v[110:111], v[56:57]
	v_fma_f64 v[8:9], v[108:109], v[54:55], -v[6:7]
	v_fma_f64 v[108:109], v[112:113], v[48:49], -v[52:53]
	v_mul_f64 v[48:49], v[148:149], v[50:51]
	v_fma_f64 v[110:111], v[146:147], v[80:81], -v[48:49]
	buffer_load_dword v147, off, s[0:3], 0 offset:620
	buffer_load_dword v149, off, s[0:3], 0 offset:604
	;; [unrolled: 1-line block ×8, first 2 shown]
	v_mul_f64 v[48:49], v[156:157], v[62:63]
	v_fma_f64 v[112:113], v[154:155], v[78:79], -v[48:49]
	buffer_load_dword v155, off, s[0:3], 0 offset:636
	buffer_load_dword v154, off, s[0:3], 0 offset:632
	;; [unrolled: 1-line block ×4, first 2 shown]
	v_mul_f64 v[50:51], v[160:161], v[58:59]
	v_fma_f64 v[114:115], v[158:159], v[60:61], -v[50:51]
	v_mul_f64 v[50:51], v[164:165], v[74:75]
	v_fma_f64 v[6:7], v[162:163], v[76:77], -v[50:51]
	buffer_load_dword v161, off, s[0:3], 0 offset:652
	buffer_load_dword v160, off, s[0:3], 0 offset:648
	;; [unrolled: 1-line block ×4, first 2 shown]
	s_waitcnt vmcnt(42) lgkmcnt(0)
	v_mul_f64 v[48:49], v[44:45], v[222:223]
	v_mul_f64 v[10:11], v[168:169], v[72:73]
	s_waitcnt vmcnt(40)
	v_fmac_f64_e32 v[48:49], v[46:47], v[120:121]
	v_fma_f64 v[10:11], v[166:167], v[70:71], -v[10:11]
	buffer_load_dword v158, off, s[0:3], 0 offset:680
	buffer_load_dword v167, off, s[0:3], 0 offset:668
	;; [unrolled: 1-line block ×12, first 2 shown]
	v_add_f64 v[4:5], v[4:5], v[48:49]
	ds_read_b128 v[48:51], v16 offset:1200
	v_mul_f64 v[52:53], v[176:177], v[64:65]
	v_fma_f64 v[174:175], v[174:175], v[68:69], -v[52:53]
	ds_read_b128 v[52:55], v16 offset:1216
	v_mul_f64 v[56:57], v[180:181], v[66:67]
	v_fma_f64 v[176:177], v[178:179], v[82:83], -v[56:57]
	ds_read_b128 v[56:59], v16 offset:1232
	s_waitcnt lgkmcnt(2)
	v_mul_f64 v[60:61], v[48:49], v[238:239]
	v_fmac_f64_e32 v[60:61], v[50:51], v[242:243]
	v_add_f64 v[4:5], v[4:5], v[60:61]
	v_mul_f64 v[64:65], v[184:185], v[88:89]
	v_fma_f64 v[182:183], v[182:183], v[90:91], -v[64:65]
	ds_read_b128 v[64:67], v16 offset:1264
	v_mul_f64 v[68:69], v[188:189], v[84:85]
	v_fma_f64 v[188:189], v[186:187], v[86:87], -v[68:69]
	v_mul_f64 v[76:77], v[192:193], v[98:99]
	v_fma_f64 v[190:191], v[190:191], v[100:101], -v[76:77]
	;; [unrolled: 2-line block ×3, first 2 shown]
	ds_read_b128 v[80:83], v16 offset:1328
	ds_read_b128 v[88:91], v16 offset:1360
	v_mul_f64 v[2:3], v[200:201], v[2:3]
	v_fma_f64 v[198:199], v[198:199], v[0:1], -v[2:3]
	v_mul_f64 v[2:3], v[204:205], v[92:93]
	ds_read_b128 v[68:71], v16 offset:1280
	v_fma_f64 v[194:195], v[202:203], v[102:103], -v[2:3]
	ds_read_b128 v[96:99], v16 offset:1392
	ds_read_b128 v[100:103], v16 offset:1408
	v_add_f64 v[8:9], v[8:9], 0
	v_add_f64 v[8:9], v[8:9], v[108:109]
	;; [unrolled: 1-line block ×7, first 2 shown]
	ds_read_b128 v[76:79], v16 offset:1312
	v_add_f64 v[6:7], v[6:7], v[174:175]
	v_add_f64 v[6:7], v[6:7], v[176:177]
	;; [unrolled: 1-line block ×6, first 2 shown]
	v_accvgpr_read_b32 v8, a138
	v_add_f64 v[198:199], v[6:7], v[198:199]
	v_accvgpr_read_b32 v9, a139
	v_accvgpr_read_b32 v10, a140
	ds_read_b128 v[92:95], v16 offset:1376
	v_add_f64 v[6:7], v[198:199], v[194:195]
	s_waitcnt vmcnt(49) lgkmcnt(9)
	v_mul_f64 v[60:61], v[52:53], v[124:125]
	v_mul_f64 v[8:9], v[220:221], v[8:9]
	s_waitcnt vmcnt(47)
	v_fmac_f64_e32 v[60:61], v[54:55], v[130:131]
	v_add_f64 v[4:5], v[4:5], v[60:61]
	s_waitcnt vmcnt(46) lgkmcnt(8)
	v_mul_f64 v[60:61], v[56:57], v[122:123]
	s_waitcnt vmcnt(44)
	v_fmac_f64_e32 v[60:61], v[58:59], v[128:129]
	v_add_f64 v[4:5], v[4:5], v[60:61]
	ds_read_b128 v[60:63], v16 offset:1248
	v_accvgpr_read_b32 v11, a141
	v_fma_f64 v[8:9], v[218:219], v[10:11], -v[8:9]
	v_accvgpr_read_b32 v10, a144
	v_accvgpr_read_b32 v11, a145
	s_waitcnt vmcnt(41) lgkmcnt(0)
	v_mul_f64 v[72:73], v[60:61], v[132:133]
	s_waitcnt vmcnt(39)
	v_fmac_f64_e32 v[72:73], v[62:63], v[134:135]
	v_add_f64 v[4:5], v[4:5], v[72:73]
	s_waitcnt vmcnt(38)
	v_mul_f64 v[72:73], v[64:65], v[126:127]
	s_waitcnt vmcnt(36)
	v_fmac_f64_e32 v[72:73], v[66:67], v[138:139]
	v_add_f64 v[4:5], v[4:5], v[72:73]
	s_waitcnt vmcnt(34)
	v_mul_f64 v[72:73], v[68:69], v[136:137]
	s_waitcnt vmcnt(32)
	v_fmac_f64_e32 v[72:73], v[70:71], v[140:141]
	v_add_f64 v[4:5], v[4:5], v[72:73]
	ds_read_b128 v[72:75], v16 offset:1296
	s_waitcnt vmcnt(14)
	v_mul_f64 v[2:3], v[88:89], v[160:161]
	s_waitcnt vmcnt(12)
	v_fmac_f64_e32 v[2:3], v[90:91], v[162:163]
	s_waitcnt lgkmcnt(0)
	v_mul_f64 v[84:85], v[72:73], v[142:143]
	v_fmac_f64_e32 v[84:85], v[74:75], v[144:145]
	v_add_f64 v[4:5], v[4:5], v[84:85]
	v_mul_f64 v[84:85], v[76:77], v[148:149]
	v_fmac_f64_e32 v[84:85], v[78:79], v[152:153]
	v_add_f64 v[4:5], v[4:5], v[84:85]
	;; [unrolled: 3-line block ×3, first 2 shown]
	ds_read_b128 v[84:87], v16 offset:1344
	s_waitcnt lgkmcnt(0)
	v_mul_f64 v[0:1], v[84:85], v[154:155]
	v_fmac_f64_e32 v[0:1], v[86:87], v[156:157]
	v_add_f64 v[0:1], v[4:5], v[0:1]
	buffer_load_dword v4, off, s[0:3], 0 offset:712
	buffer_load_dword v5, off, s[0:3], 0 offset:716
	;; [unrolled: 1-line block ×4, first 2 shown]
	v_add_f64 v[0:1], v[0:1], v[2:3]
	v_mul_f64 v[2:3], v[208:209], v[104:105]
	v_fma_f64 v[206:207], v[206:207], v[106:107], -v[2:3]
	ds_read_b128 v[104:107], v16 offset:1424
	buffer_load_dword v179, off, s[0:3], 0 offset:732
	buffer_load_dword v178, off, s[0:3], 0 offset:728
	;; [unrolled: 1-line block ×4, first 2 shown]
	s_waitcnt vmcnt(17)
	v_mul_f64 v[2:3], v[92:93], v[166:167]
	s_waitcnt vmcnt(15)
	v_fmac_f64_e32 v[2:3], v[94:95], v[170:171]
	v_add_f64 v[0:1], v[0:1], v[2:3]
	s_waitcnt vmcnt(13)
	v_mul_f64 v[2:3], v[96:97], v[158:159]
	s_waitcnt vmcnt(12)
	v_fmac_f64_e32 v[2:3], v[98:99], v[164:165]
	v_add_f64 v[0:1], v[0:1], v[2:3]
	;; [unrolled: 5-line block ×3, first 2 shown]
	v_add_f64 v[6:7], v[6:7], v[206:207]
	v_add_f64 v[6:7], v[6:7], v[8:9]
	v_mul_f64 v[8:9], v[216:217], v[228:229]
	v_fma_f64 v[8:9], v[214:215], v[232:233], -v[8:9]
	v_add_f64 v[6:7], v[6:7], v[8:9]
	v_accvgpr_read_b32 v8, a142
	v_accvgpr_read_b32 v9, a143
	v_mul_f64 v[8:9], v[212:213], v[8:9]
	v_fma_f64 v[8:9], v[210:211], v[10:11], -v[8:9]
	v_add_f64 v[6:7], v[6:7], v[8:9]
	v_mul_f64 v[8:9], v[118:119], v[236:237]
	v_fma_f64 v[8:9], v[116:117], v[240:241], -v[8:9]
	v_add_f64 v[6:7], v[6:7], v[8:9]
	v_accvgpr_read_b32 v8, a146
	v_accvgpr_read_b32 v9, a147
	;; [unrolled: 1-line block ×3, first 2 shown]
	v_mul_f64 v[8:9], v[14:15], v[8:9]
	v_accvgpr_read_b32 v11, a149
	v_fma_f64 v[8:9], v[12:13], v[10:11], -v[8:9]
	v_add_f64 v[6:7], v[6:7], v[8:9]
	v_mul_f64 v[8:9], v[22:23], v[244:245]
	v_fma_f64 v[8:9], v[20:21], v[246:247], -v[8:9]
	v_accvgpr_read_b32 v10, a150
	v_add_f64 v[6:7], v[6:7], v[8:9]
	v_mul_f64 v[8:9], v[26:27], v[18:19]
	v_accvgpr_read_b32 v11, a151
	v_fma_f64 v[8:9], v[24:25], v[10:11], -v[8:9]
	v_add_f64 v[6:7], v[6:7], v[8:9]
	v_mul_f64 v[8:9], v[30:31], v[248:249]
	v_fma_f64 v[8:9], v[28:29], v[250:251], -v[8:9]
	v_add_f64 v[6:7], v[6:7], v[8:9]
	v_mul_f64 v[8:9], v[34:35], v[224:225]
	;; [unrolled: 3-line block ×12, first 2 shown]
	v_fma_f64 v[8:9], v[72:73], v[144:145], -v[8:9]
	s_waitcnt vmcnt(6) lgkmcnt(0)
	v_mul_f64 v[2:3], v[104:105], v[4:5]
	v_add_f64 v[6:7], v[6:7], v[8:9]
	s_waitcnt vmcnt(4)
	v_fmac_f64_e32 v[2:3], v[106:107], v[192:193]
	v_add_f64 v[184:185], v[0:1], v[2:3]
	ds_read_b128 v[0:3], v16 offset:1440
	v_mul_f64 v[8:9], v[78:79], v[148:149]
	v_fma_f64 v[8:9], v[76:77], v[152:153], -v[8:9]
	v_add_f64 v[6:7], v[6:7], v[8:9]
	v_mul_f64 v[8:9], v[82:83], v[146:147]
	s_waitcnt vmcnt(2) lgkmcnt(0)
	v_mul_f64 v[186:187], v[0:1], v[178:179]
	s_waitcnt vmcnt(0)
	v_fmac_f64_e32 v[186:187], v[2:3], v[180:181]
	v_add_f64 v[204:205], v[184:185], v[186:187]
	buffer_load_dword v184, off, s[0:3], 0 offset:744
	buffer_load_dword v185, off, s[0:3], 0 offset:748
	;; [unrolled: 1-line block ×4, first 2 shown]
	ds_read_b128 v[200:203], v16 offset:1456
	buffer_load_dword v190, off, s[0:3], 0 offset:16
	buffer_load_dword v191, off, s[0:3], 0 offset:20
	;; [unrolled: 1-line block ×4, first 2 shown]
	v_fma_f64 v[8:9], v[80:81], v[150:151], -v[8:9]
	v_add_f64 v[6:7], v[6:7], v[8:9]
	v_mul_f64 v[8:9], v[86:87], v[154:155]
	v_fma_f64 v[8:9], v[84:85], v[156:157], -v[8:9]
	v_add_f64 v[6:7], v[6:7], v[8:9]
	v_mul_f64 v[8:9], v[90:91], v[160:161]
	;; [unrolled: 3-line block ×5, first 2 shown]
	v_fma_f64 v[8:9], v[100:101], v[172:173], -v[8:9]
	v_mul_f64 v[4:5], v[106:107], v[4:5]
	v_add_f64 v[6:7], v[6:7], v[8:9]
	v_fma_f64 v[4:5], v[104:105], v[192:193], -v[4:5]
	v_mul_f64 v[2:3], v[2:3], v[178:179]
	v_add_f64 v[4:5], v[6:7], v[4:5]
	v_fma_f64 v[0:1], v[0:1], v[180:181], -v[2:3]
	v_add_f64 v[0:1], v[4:5], v[0:1]
	s_waitcnt vmcnt(6) lgkmcnt(0)
	v_mul_f64 v[2:3], v[202:203], v[184:185]
	v_mul_f64 v[208:209], v[200:201], v[184:185]
	s_waitcnt vmcnt(4)
	v_fma_f64 v[2:3], v[200:201], v[186:187], -v[2:3]
	v_fmac_f64_e32 v[208:209], v[202:203], v[186:187]
	v_add_f64 v[0:1], v[0:1], v[2:3]
	v_add_f64 v[204:205], v[204:205], v[208:209]
	s_waitcnt vmcnt(2)
	v_add_f64 v[0:1], v[190:191], -v[0:1]
	s_waitcnt vmcnt(0)
	v_add_f64 v[2:3], v[188:189], -v[204:205]
	buffer_store_dword v1, off, s[0:3], 0 offset:20
	buffer_store_dword v0, off, s[0:3], 0 offset:16
	buffer_store_dword v3, off, s[0:3], 0 offset:28
	buffer_store_dword v2, off, s[0:3], 0 offset:24
	s_cbranch_vccz .LBB45_381
; %bb.290:
	v_pk_mov_b32 v[0:1], s[10:11], s[10:11] op_sel:[0,1]
	flat_load_dword v0, v[0:1] offset:176
	s_waitcnt vmcnt(0) lgkmcnt(0)
	v_add_u32_e32 v0, -1, v0
	v_cmp_ne_u32_e32 vcc, 44, v0
	s_and_saveexec_b64 s[4:5], vcc
	s_cbranch_execz .LBB45_292
; %bb.291:
	v_mov_b32_e32 v1, 16
	v_accvgpr_read_b32 v9, a93
	v_lshl_add_u32 v0, v0, 4, v1
	buffer_load_dword v1, v9, s[0:3], 0 offen offset:4
	buffer_load_dword v2, v9, s[0:3], 0 offen offset:8
	buffer_load_dword v3, v9, s[0:3], 0 offen offset:12
	buffer_load_dword v4, v0, s[0:3], 0 offen
	buffer_load_dword v5, v0, s[0:3], 0 offen offset:4
	buffer_load_dword v6, v0, s[0:3], 0 offen offset:8
	buffer_load_dword v7, v0, s[0:3], 0 offen offset:12
	buffer_load_dword v8, v9, s[0:3], 0 offen
	s_waitcnt vmcnt(4)
	buffer_store_dword v4, v9, s[0:3], 0 offen
	s_waitcnt vmcnt(4)
	buffer_store_dword v5, v9, s[0:3], 0 offen offset:4
	s_waitcnt vmcnt(4)
	buffer_store_dword v6, v9, s[0:3], 0 offen offset:8
	s_waitcnt vmcnt(4)
	buffer_store_dword v7, v9, s[0:3], 0 offen offset:12
	buffer_store_dword v3, v0, s[0:3], 0 offen offset:12
	buffer_store_dword v2, v0, s[0:3], 0 offen offset:8
	buffer_store_dword v1, v0, s[0:3], 0 offen offset:4
	s_waitcnt vmcnt(7)
	buffer_store_dword v8, v0, s[0:3], 0 offen
.LBB45_292:
	s_or_b64 exec, exec, s[4:5]
	v_pk_mov_b32 v[0:1], s[10:11], s[10:11] op_sel:[0,1]
	flat_load_dword v0, v[0:1] offset:172
	s_waitcnt vmcnt(0) lgkmcnt(0)
	v_add_u32_e32 v0, -1, v0
	v_cmp_ne_u32_e32 vcc, 43, v0
	s_and_saveexec_b64 s[4:5], vcc
	s_cbranch_execz .LBB45_294
; %bb.293:
	v_mov_b32_e32 v1, 16
	v_accvgpr_read_b32 v9, a94
	v_lshl_add_u32 v0, v0, 4, v1
	buffer_load_dword v1, v9, s[0:3], 0 offen offset:4
	buffer_load_dword v2, v9, s[0:3], 0 offen offset:8
	buffer_load_dword v3, v9, s[0:3], 0 offen offset:12
	buffer_load_dword v4, v0, s[0:3], 0 offen
	buffer_load_dword v5, v0, s[0:3], 0 offen offset:4
	buffer_load_dword v6, v0, s[0:3], 0 offen offset:8
	buffer_load_dword v7, v0, s[0:3], 0 offen offset:12
	buffer_load_dword v8, v9, s[0:3], 0 offen
	s_waitcnt vmcnt(4)
	buffer_store_dword v4, v9, s[0:3], 0 offen
	s_waitcnt vmcnt(4)
	buffer_store_dword v5, v9, s[0:3], 0 offen offset:4
	s_waitcnt vmcnt(4)
	buffer_store_dword v6, v9, s[0:3], 0 offen offset:8
	s_waitcnt vmcnt(4)
	buffer_store_dword v7, v9, s[0:3], 0 offen offset:12
	buffer_store_dword v3, v0, s[0:3], 0 offen offset:12
	buffer_store_dword v2, v0, s[0:3], 0 offen offset:8
	buffer_store_dword v1, v0, s[0:3], 0 offen offset:4
	s_waitcnt vmcnt(7)
	buffer_store_dword v8, v0, s[0:3], 0 offen
.LBB45_294:
	s_or_b64 exec, exec, s[4:5]
	;; [unrolled: 34-line block ×44, first 2 shown]
	v_pk_mov_b32 v[0:1], s[10:11], s[10:11] op_sel:[0,1]
	flat_load_dword v0, v[0:1]
	s_waitcnt vmcnt(0) lgkmcnt(0)
	v_add_u32_e32 v0, -1, v0
	v_cmp_ne_u32_e32 vcc, 0, v0
	s_and_saveexec_b64 s[4:5], vcc
	s_cbranch_execz .LBB45_380
; %bb.379:
	v_mov_b32_e32 v1, 16
	v_lshl_add_u32 v0, v0, 4, v1
	buffer_load_dword v1, v0, s[0:3], 0 offen
	buffer_load_dword v2, v0, s[0:3], 0 offen offset:4
	buffer_load_dword v3, v0, s[0:3], 0 offen offset:8
	;; [unrolled: 1-line block ×3, first 2 shown]
	buffer_load_dword v5, off, s[0:3], 0 offset:28
	buffer_load_dword v6, off, s[0:3], 0 offset:24
	;; [unrolled: 1-line block ×4, first 2 shown]
	s_waitcnt vmcnt(7)
	buffer_store_dword v1, off, s[0:3], 0 offset:16
	s_waitcnt vmcnt(7)
	buffer_store_dword v2, off, s[0:3], 0 offset:20
	s_waitcnt vmcnt(7)
	buffer_store_dword v3, off, s[0:3], 0 offset:24
	s_waitcnt vmcnt(7)
	buffer_store_dword v4, off, s[0:3], 0 offset:28
	s_waitcnt vmcnt(7)
	buffer_store_dword v5, v0, s[0:3], 0 offen offset:12
	s_waitcnt vmcnt(7)
	buffer_store_dword v6, v0, s[0:3], 0 offen offset:8
	;; [unrolled: 2-line block ×3, first 2 shown]
	s_waitcnt vmcnt(7)
	buffer_store_dword v8, v0, s[0:3], 0 offen
.LBB45_380:
	s_or_b64 exec, exec, s[4:5]
.LBB45_381:
	buffer_load_dword v0, off, s[0:3], 0 offset:16
	buffer_load_dword v1, off, s[0:3], 0 offset:20
	;; [unrolled: 1-line block ×4, first 2 shown]
	v_accvgpr_read_b32 v4, a74
	v_accvgpr_read_b32 v5, a75
	s_waitcnt vmcnt(0)
	global_store_dwordx4 v[4:5], v[0:3], off
	s_nop 0
	v_accvgpr_read_b32 v3, a136
	buffer_load_dword v0, v3, s[0:3], 0 offen
	buffer_load_dword v1, v3, s[0:3], 0 offen offset:4
	buffer_load_dword v2, v3, s[0:3], 0 offen offset:8
	s_nop 0
	buffer_load_dword v3, v3, s[0:3], 0 offen offset:12
	v_accvgpr_read_b32 v4, a68
	v_accvgpr_read_b32 v5, a69
	s_waitcnt vmcnt(0)
	global_store_dwordx4 v[4:5], v[0:3], off
	s_nop 0
	v_accvgpr_read_b32 v3, a135
	buffer_load_dword v0, v3, s[0:3], 0 offen
	buffer_load_dword v1, v3, s[0:3], 0 offen offset:4
	buffer_load_dword v2, v3, s[0:3], 0 offen offset:8
	s_nop 0
	buffer_load_dword v3, v3, s[0:3], 0 offen offset:12
	;; [unrolled: 11-line block ×4, first 2 shown]
	v_accvgpr_read_b32 v4, a48
	v_accvgpr_read_b32 v5, a49
	s_waitcnt vmcnt(0)
	global_store_dwordx4 v[4:5], v[0:3], off
	v_accvgpr_read_b32 v4, a132
	buffer_load_dword v0, v4, s[0:3], 0 offen
	buffer_load_dword v1, v4, s[0:3], 0 offen offset:4
	buffer_load_dword v2, v4, s[0:3], 0 offen offset:8
	buffer_load_dword v3, v4, s[0:3], 0 offen offset:12
	v_accvgpr_read_b32 v4, a90
	v_accvgpr_read_b32 v5, a91
	s_waitcnt vmcnt(0)
	global_store_dwordx4 v[4:5], v[0:3], off
	v_accvgpr_read_b32 v4, a131
	buffer_load_dword v0, v4, s[0:3], 0 offen
	buffer_load_dword v1, v4, s[0:3], 0 offen offset:4
	buffer_load_dword v2, v4, s[0:3], 0 offen offset:8
	buffer_load_dword v3, v4, s[0:3], 0 offen offset:12
	;; [unrolled: 9-line block ×41, first 2 shown]
	v_accvgpr_read_b32 v5, a1
	v_accvgpr_read_b32 v4, a0
	s_waitcnt vmcnt(0)
	global_store_dwordx4 v[4:5], v[0:3], off
	s_endpgm
	.section	.rodata,"a",@progbits
	.p2align	6, 0x0
	.amdhsa_kernel _ZN9rocsolver6v33100L18getri_kernel_smallILi46E19rocblas_complex_numIdEPS3_EEvT1_iilPiilS6_bb
		.amdhsa_group_segment_fixed_size 1480
		.amdhsa_private_segment_fixed_size 768
		.amdhsa_kernarg_size 60
		.amdhsa_user_sgpr_count 8
		.amdhsa_user_sgpr_private_segment_buffer 1
		.amdhsa_user_sgpr_dispatch_ptr 0
		.amdhsa_user_sgpr_queue_ptr 0
		.amdhsa_user_sgpr_kernarg_segment_ptr 1
		.amdhsa_user_sgpr_dispatch_id 0
		.amdhsa_user_sgpr_flat_scratch_init 1
		.amdhsa_user_sgpr_kernarg_preload_length 0
		.amdhsa_user_sgpr_kernarg_preload_offset 0
		.amdhsa_user_sgpr_private_segment_size 0
		.amdhsa_uses_dynamic_stack 0
		.amdhsa_system_sgpr_private_segment_wavefront_offset 1
		.amdhsa_system_sgpr_workgroup_id_x 1
		.amdhsa_system_sgpr_workgroup_id_y 0
		.amdhsa_system_sgpr_workgroup_id_z 0
		.amdhsa_system_sgpr_workgroup_info 0
		.amdhsa_system_vgpr_workitem_id 0
		.amdhsa_next_free_vgpr 410
		.amdhsa_next_free_sgpr 23
		.amdhsa_accum_offset 256
		.amdhsa_reserve_vcc 1
		.amdhsa_reserve_flat_scratch 1
		.amdhsa_float_round_mode_32 0
		.amdhsa_float_round_mode_16_64 0
		.amdhsa_float_denorm_mode_32 3
		.amdhsa_float_denorm_mode_16_64 3
		.amdhsa_dx10_clamp 1
		.amdhsa_ieee_mode 1
		.amdhsa_fp16_overflow 0
		.amdhsa_tg_split 0
		.amdhsa_exception_fp_ieee_invalid_op 0
		.amdhsa_exception_fp_denorm_src 0
		.amdhsa_exception_fp_ieee_div_zero 0
		.amdhsa_exception_fp_ieee_overflow 0
		.amdhsa_exception_fp_ieee_underflow 0
		.amdhsa_exception_fp_ieee_inexact 0
		.amdhsa_exception_int_div_zero 0
	.end_amdhsa_kernel
	.section	.text._ZN9rocsolver6v33100L18getri_kernel_smallILi46E19rocblas_complex_numIdEPS3_EEvT1_iilPiilS6_bb,"axG",@progbits,_ZN9rocsolver6v33100L18getri_kernel_smallILi46E19rocblas_complex_numIdEPS3_EEvT1_iilPiilS6_bb,comdat
.Lfunc_end45:
	.size	_ZN9rocsolver6v33100L18getri_kernel_smallILi46E19rocblas_complex_numIdEPS3_EEvT1_iilPiilS6_bb, .Lfunc_end45-_ZN9rocsolver6v33100L18getri_kernel_smallILi46E19rocblas_complex_numIdEPS3_EEvT1_iilPiilS6_bb
                                        ; -- End function
	.section	.AMDGPU.csdata,"",@progbits
; Kernel info:
; codeLenInByte = 136040
; NumSgprs: 29
; NumVgprs: 256
; NumAgprs: 154
; TotalNumVgprs: 410
; ScratchSize: 768
; MemoryBound: 0
; FloatMode: 240
; IeeeMode: 1
; LDSByteSize: 1480 bytes/workgroup (compile time only)
; SGPRBlocks: 3
; VGPRBlocks: 51
; NumSGPRsForWavesPerEU: 29
; NumVGPRsForWavesPerEU: 410
; AccumOffset: 256
; Occupancy: 1
; WaveLimiterHint : 1
; COMPUTE_PGM_RSRC2:SCRATCH_EN: 1
; COMPUTE_PGM_RSRC2:USER_SGPR: 8
; COMPUTE_PGM_RSRC2:TRAP_HANDLER: 0
; COMPUTE_PGM_RSRC2:TGID_X_EN: 1
; COMPUTE_PGM_RSRC2:TGID_Y_EN: 0
; COMPUTE_PGM_RSRC2:TGID_Z_EN: 0
; COMPUTE_PGM_RSRC2:TIDIG_COMP_CNT: 0
; COMPUTE_PGM_RSRC3_GFX90A:ACCUM_OFFSET: 63
; COMPUTE_PGM_RSRC3_GFX90A:TG_SPLIT: 0
	.section	.text._ZN9rocsolver6v33100L18getri_kernel_smallILi47E19rocblas_complex_numIdEPS3_EEvT1_iilPiilS6_bb,"axG",@progbits,_ZN9rocsolver6v33100L18getri_kernel_smallILi47E19rocblas_complex_numIdEPS3_EEvT1_iilPiilS6_bb,comdat
	.globl	_ZN9rocsolver6v33100L18getri_kernel_smallILi47E19rocblas_complex_numIdEPS3_EEvT1_iilPiilS6_bb ; -- Begin function _ZN9rocsolver6v33100L18getri_kernel_smallILi47E19rocblas_complex_numIdEPS3_EEvT1_iilPiilS6_bb
	.p2align	8
	.type	_ZN9rocsolver6v33100L18getri_kernel_smallILi47E19rocblas_complex_numIdEPS3_EEvT1_iilPiilS6_bb,@function
_ZN9rocsolver6v33100L18getri_kernel_smallILi47E19rocblas_complex_numIdEPS3_EEvT1_iilPiilS6_bb: ; @_ZN9rocsolver6v33100L18getri_kernel_smallILi47E19rocblas_complex_numIdEPS3_EEvT1_iilPiilS6_bb
; %bb.0:
	s_add_u32 flat_scratch_lo, s6, s9
	s_addc_u32 flat_scratch_hi, s7, 0
	s_add_u32 s0, s0, s9
	v_mov_b32_e32 v254, v0
	s_addc_u32 s1, s1, 0
	v_cmp_gt_u32_e32 vcc, 47, v254
	s_and_saveexec_b64 s[6:7], vcc
	s_cbranch_execz .LBB46_202
; %bb.1:
	s_load_dword s22, s[4:5], 0x38
	s_load_dwordx4 s[16:19], s[4:5], 0x10
	s_load_dwordx4 s[12:15], s[4:5], 0x28
                                        ; implicit-def: $sgpr10_sgpr11
	s_waitcnt lgkmcnt(0)
	s_bitcmp1_b32 s22, 8
	s_cselect_b64 s[20:21], -1, 0
	s_ashr_i32 s9, s8, 31
	s_bfe_u32 s6, s22, 0x10008
	s_cmp_eq_u32 s6, 0
	s_cbranch_scc1 .LBB46_3
; %bb.2:
	s_load_dword s6, s[4:5], 0x20
	s_mul_i32 s7, s8, s13
	s_mul_hi_u32 s10, s8, s12
	s_mul_i32 s11, s9, s12
	s_add_i32 s10, s10, s7
	s_add_i32 s11, s10, s11
	s_mul_i32 s10, s8, s12
	s_waitcnt lgkmcnt(0)
	s_ashr_i32 s7, s6, 31
	s_lshl_b64 s[10:11], s[10:11], 2
	s_add_u32 s10, s18, s10
	s_addc_u32 s11, s19, s11
	s_lshl_b64 s[6:7], s[6:7], 2
	s_add_u32 s10, s10, s6
	s_addc_u32 s11, s11, s7
.LBB46_3:
	s_load_dwordx4 s[4:7], s[4:5], 0x0
	s_mul_i32 s12, s8, s17
	s_mul_hi_u32 s13, s8, s16
	s_add_i32 s17, s13, s12
	v_lshlrev_b32_e32 v1, 4, v254
	s_waitcnt lgkmcnt(0)
	s_ashr_i32 s13, s6, 31
	s_mov_b32 s12, s6
	s_mul_i32 s6, s9, s16
	s_add_i32 s17, s17, s6
	s_mul_i32 s16, s8, s16
	s_lshl_b64 s[16:17], s[16:17], 4
	s_add_u32 s6, s4, s16
	s_addc_u32 s16, s5, s17
	s_lshl_b64 s[4:5], s[12:13], 4
	s_add_u32 s4, s6, s4
	s_addc_u32 s5, s16, s5
	v_mov_b32_e32 v0, s5
	v_add_co_u32_e32 v6, vcc, s4, v1
	global_load_dwordx4 v[2:5], v1, s[4:5]
	s_ashr_i32 s13, s7, 31
	s_mov_b32 s12, s7
	v_addc_co_u32_e32 v7, vcc, 0, v0, vcc
	s_lshl_b64 s[12:13], s[12:13], 4
	v_mov_b32_e32 v0, s13
	v_add_co_u32_e32 v10, vcc, s12, v6
	v_accvgpr_write_b32 a0, v6
	s_add_i32 s6, s7, s7
	v_accvgpr_write_b32 a1, v7
	v_addc_co_u32_e32 v11, vcc, v7, v0, vcc
	v_add_u32_e32 v6, s6, v254
	v_accvgpr_write_b32 a2, v10
	v_ashrrev_i32_e32 v7, 31, v6
	v_accvgpr_write_b32 a3, v11
	global_load_dwordx4 v[10:13], v[10:11], off
	v_lshlrev_b64 v[8:9], 4, v[6:7]
	v_mov_b32_e32 v0, s5
	v_add_co_u32_e32 v8, vcc, s4, v8
	v_addc_co_u32_e32 v9, vcc, v0, v9, vcc
	v_add_u32_e32 v6, s7, v6
	v_accvgpr_write_b32 a4, v8
	global_load_dwordx4 v[14:17], v[8:9], off
	v_ashrrev_i32_e32 v7, 31, v6
	v_accvgpr_write_b32 a5, v9
	v_lshlrev_b64 v[8:9], 4, v[6:7]
	v_add_co_u32_e32 v8, vcc, s4, v8
	v_addc_co_u32_e32 v9, vcc, v0, v9, vcc
	global_load_dwordx4 v[18:21], v[8:9], off
	v_add_u32_e32 v6, s7, v6
	v_accvgpr_write_b32 a6, v8
	v_ashrrev_i32_e32 v7, 31, v6
	v_accvgpr_write_b32 a7, v9
	v_add_u32_e32 v8, s7, v6
	v_lshlrev_b64 v[6:7], 4, v[6:7]
	v_add_co_u32_e32 v24, vcc, s4, v6
	v_addc_co_u32_e32 v25, vcc, v0, v7, vcc
	v_ashrrev_i32_e32 v9, 31, v8
	global_load_dwordx4 v[26:29], v[24:25], off
	v_lshlrev_b64 v[6:7], 4, v[8:9]
	v_mov_b32_e32 v22, s5
	v_add_co_u32_e32 v6, vcc, s4, v6
	v_addc_co_u32_e32 v7, vcc, v22, v7, vcc
	global_load_dwordx4 v[30:33], v[6:7], off
	v_add_u32_e32 v22, s7, v8
	v_accvgpr_write_b32 a13, v7
	v_ashrrev_i32_e32 v23, 31, v22
	v_accvgpr_write_b32 a12, v6
	v_lshlrev_b64 v[6:7], 4, v[22:23]
	v_add_co_u32_e32 v6, vcc, s4, v6
	v_add_u32_e32 v22, s7, v22
	v_accvgpr_write_b32 a8, v24
	v_addc_co_u32_e32 v7, vcc, v0, v7, vcc
	v_ashrrev_i32_e32 v23, 31, v22
	v_accvgpr_write_b32 a9, v25
	v_accvgpr_write_b32 a11, v7
	v_lshlrev_b64 v[24:25], 4, v[22:23]
	v_accvgpr_write_b32 a10, v6
	global_load_dwordx4 v[6:9], v[6:7], off
	s_bitcmp0_b32 s22, 0
	s_waitcnt vmcnt(6)
	buffer_store_dword v5, off, s[0:3], 0 offset:28
	buffer_store_dword v4, off, s[0:3], 0 offset:24
	buffer_store_dword v3, off, s[0:3], 0 offset:20
	buffer_store_dword v2, off, s[0:3], 0 offset:16
	s_waitcnt vmcnt(9)
	buffer_store_dword v13, off, s[0:3], 0 offset:44
	buffer_store_dword v12, off, s[0:3], 0 offset:40
	buffer_store_dword v11, off, s[0:3], 0 offset:36
	buffer_store_dword v10, off, s[0:3], 0 offset:32
	;; [unrolled: 5-line block ×4, first 2 shown]
	v_add_co_u32_e32 v10, vcc, s4, v24
	v_addc_co_u32_e32 v11, vcc, v0, v25, vcc
	v_add_u32_e32 v2, s7, v22
	v_accvgpr_write_b32 a15, v11
	v_ashrrev_i32_e32 v3, 31, v2
	v_accvgpr_write_b32 a14, v10
	global_load_dwordx4 v[10:13], v[10:11], off
	v_lshlrev_b64 v[4:5], 4, v[2:3]
	v_add_co_u32_e32 v4, vcc, s4, v4
	v_addc_co_u32_e32 v5, vcc, v0, v5, vcc
	global_load_dwordx4 v[14:17], v[4:5], off
	v_add_u32_e32 v2, s7, v2
	v_accvgpr_write_b32 a17, v5
	v_ashrrev_i32_e32 v3, 31, v2
	v_accvgpr_write_b32 a16, v4
	v_lshlrev_b64 v[4:5], 4, v[2:3]
	v_add_co_u32_e32 v18, vcc, s4, v4
	v_addc_co_u32_e32 v19, vcc, v0, v5, vcc
	v_add_u32_e32 v2, s7, v2
	v_accvgpr_write_b32 a18, v18
	v_ashrrev_i32_e32 v3, 31, v2
	v_accvgpr_write_b32 a19, v19
	global_load_dwordx4 v[18:21], v[18:19], off
	v_lshlrev_b64 v[4:5], 4, v[2:3]
	v_add_co_u32_e32 v4, vcc, s4, v4
	v_addc_co_u32_e32 v5, vcc, v0, v5, vcc
	global_load_dwordx4 v[22:25], v[4:5], off
	v_add_u32_e32 v2, s7, v2
	v_accvgpr_write_b32 a21, v5
	v_ashrrev_i32_e32 v3, 31, v2
	v_accvgpr_write_b32 a20, v4
	v_lshlrev_b64 v[4:5], 4, v[2:3]
	v_add_co_u32_e32 v34, vcc, s4, v4
	v_addc_co_u32_e32 v35, vcc, v0, v5, vcc
	s_waitcnt vmcnt(22)
	buffer_store_dword v29, off, s[0:3], 0 offset:92
	buffer_store_dword v28, off, s[0:3], 0 offset:88
	;; [unrolled: 1-line block ×4, first 2 shown]
	s_waitcnt vmcnt(25)
	buffer_store_dword v33, off, s[0:3], 0 offset:108
	buffer_store_dword v32, off, s[0:3], 0 offset:104
	;; [unrolled: 1-line block ×4, first 2 shown]
	v_add_u32_e32 v2, s7, v2
	v_ashrrev_i32_e32 v3, 31, v2
	global_load_dwordx4 v[26:29], v[34:35], off
	v_lshlrev_b64 v[4:5], 4, v[2:3]
	v_add_co_u32_e32 v4, vcc, s4, v4
	v_addc_co_u32_e32 v5, vcc, v0, v5, vcc
	global_load_dwordx4 v[30:33], v[4:5], off
	v_add_u32_e32 v2, s7, v2
	v_accvgpr_write_b32 a25, v5
	v_ashrrev_i32_e32 v3, 31, v2
	v_accvgpr_write_b32 a22, v34
	v_accvgpr_write_b32 a24, v4
	v_lshlrev_b64 v[4:5], 4, v[2:3]
	v_accvgpr_write_b32 a23, v35
	v_add_co_u32_e32 v34, vcc, s4, v4
	v_addc_co_u32_e32 v35, vcc, v0, v5, vcc
	v_add_u32_e32 v2, s7, v2
	v_accvgpr_write_b32 a26, v34
	v_ashrrev_i32_e32 v3, 31, v2
	v_accvgpr_write_b32 a27, v35
	global_load_dwordx4 v[34:37], v[34:35], off
	v_lshlrev_b64 v[4:5], 4, v[2:3]
	v_add_co_u32_e32 v4, vcc, s4, v4
	v_addc_co_u32_e32 v5, vcc, v0, v5, vcc
	v_add_u32_e32 v2, s7, v2
	v_accvgpr_write_b32 a29, v5
	global_load_dwordx4 v[38:41], v[4:5], off
	v_ashrrev_i32_e32 v3, 31, v2
	v_accvgpr_write_b32 a28, v4
	v_lshlrev_b64 v[4:5], 4, v[2:3]
	v_add_co_u32_e32 v42, vcc, s4, v4
	v_addc_co_u32_e32 v43, vcc, v0, v5, vcc
	v_add_u32_e32 v2, s7, v2
	v_accvgpr_write_b32 a30, v42
	v_ashrrev_i32_e32 v3, 31, v2
	v_accvgpr_write_b32 a31, v43
	global_load_dwordx4 v[42:45], v[42:43], off
	v_lshlrev_b64 v[4:5], 4, v[2:3]
	v_add_co_u32_e32 v4, vcc, s4, v4
	v_addc_co_u32_e32 v5, vcc, v0, v5, vcc
	global_load_dwordx4 v[46:49], v[4:5], off
	v_add_u32_e32 v2, s7, v2
	v_accvgpr_write_b32 a33, v5
	v_ashrrev_i32_e32 v3, 31, v2
	v_accvgpr_write_b32 a32, v4
	v_lshlrev_b64 v[4:5], 4, v[2:3]
	v_add_co_u32_e32 v50, vcc, s4, v4
	v_addc_co_u32_e32 v51, vcc, v0, v5, vcc
	v_add_u32_e32 v2, s7, v2
	v_accvgpr_write_b32 a34, v50
	v_ashrrev_i32_e32 v3, 31, v2
	v_accvgpr_write_b32 a35, v51
	global_load_dwordx4 v[50:53], v[50:51], off
	v_lshlrev_b64 v[4:5], 4, v[2:3]
	v_add_co_u32_e32 v4, vcc, s4, v4
	v_addc_co_u32_e32 v5, vcc, v0, v5, vcc
	global_load_dwordx4 v[54:57], v[4:5], off
	v_add_u32_e32 v2, s7, v2
	v_accvgpr_write_b32 a37, v5
	;; [unrolled: 16-line block ×5, first 2 shown]
	v_ashrrev_i32_e32 v3, 31, v2
	v_accvgpr_write_b32 a48, v4
	v_lshlrev_b64 v[4:5], 4, v[2:3]
	v_add_co_u32_e32 v4, vcc, s4, v4
	v_add_u32_e32 v86, s7, v2
	v_addc_co_u32_e32 v5, vcc, v0, v5, vcc
	v_ashrrev_i32_e32 v87, 31, v86
	v_lshlrev_b64 v[2:3], 4, v[86:87]
	global_load_dwordx4 v[82:85], v[4:5], off
	v_add_co_u32_e32 v2, vcc, s4, v2
	v_addc_co_u32_e32 v3, vcc, v0, v3, vcc
	v_accvgpr_write_b32 a51, v5
	v_accvgpr_write_b32 a53, v3
	;; [unrolled: 1-line block ×4, first 2 shown]
	global_load_dwordx4 v[2:5], v[2:3], off
	s_waitcnt vmcnt(44)
	buffer_store_dword v9, off, s[0:3], 0 offset:124
	buffer_store_dword v8, off, s[0:3], 0 offset:120
	buffer_store_dword v7, off, s[0:3], 0 offset:116
	buffer_store_dword v6, off, s[0:3], 0 offset:112
	s_waitcnt vmcnt(31)
	buffer_store_dword v13, off, s[0:3], 0 offset:140
	buffer_store_dword v12, off, s[0:3], 0 offset:136
	buffer_store_dword v11, off, s[0:3], 0 offset:132
	buffer_store_dword v10, off, s[0:3], 0 offset:128
	;; [unrolled: 5-line block ×16, first 2 shown]
	buffer_store_dword v73, off, s[0:3], 0 offset:380
	buffer_store_dword v72, off, s[0:3], 0 offset:376
	;; [unrolled: 1-line block ×12, first 2 shown]
	s_waitcnt vmcnt(62)
	buffer_store_dword v85, off, s[0:3], 0 offset:428
	buffer_store_dword v84, off, s[0:3], 0 offset:424
	;; [unrolled: 1-line block ×5, first 2 shown]
	v_add_u32_e32 v6, s7, v86
	v_ashrrev_i32_e32 v7, 31, v6
	v_lshlrev_b64 v[8:9], 4, v[6:7]
	v_add_u32_e32 v14, s7, v6
	v_add_co_u32_e32 v8, vcc, s4, v8
	v_ashrrev_i32_e32 v15, 31, v14
	v_addc_co_u32_e32 v9, vcc, v0, v9, vcc
	v_lshlrev_b64 v[6:7], 4, v[14:15]
	v_add_co_u32_e32 v10, vcc, s4, v6
	v_accvgpr_write_b32 a57, v9
	v_addc_co_u32_e32 v11, vcc, v0, v7, vcc
	v_accvgpr_write_b32 a56, v8
	global_load_dwordx4 v[6:9], v[8:9], off
	v_add_u32_e32 v14, s7, v14
	v_accvgpr_write_b32 a59, v11
	v_ashrrev_i32_e32 v15, 31, v14
	v_accvgpr_write_b32 a58, v10
	global_load_dwordx4 v[10:13], v[10:11], off
	v_lshlrev_b64 v[16:17], 4, v[14:15]
	v_add_u32_e32 v22, s7, v14
	v_add_co_u32_e32 v16, vcc, s4, v16
	v_ashrrev_i32_e32 v23, 31, v22
	v_addc_co_u32_e32 v17, vcc, v0, v17, vcc
	v_lshlrev_b64 v[14:15], 4, v[22:23]
	v_add_co_u32_e32 v18, vcc, s4, v14
	v_accvgpr_write_b32 a61, v17
	v_addc_co_u32_e32 v19, vcc, v0, v15, vcc
	v_accvgpr_write_b32 a60, v16
	global_load_dwordx4 v[14:17], v[16:17], off
	v_add_u32_e32 v22, s7, v22
	v_accvgpr_write_b32 a63, v19
	v_ashrrev_i32_e32 v23, 31, v22
	v_accvgpr_write_b32 a62, v18
	global_load_dwordx4 v[18:21], v[18:19], off
	;; [unrolled: 16-line block ×9, first 2 shown]
	v_lshlrev_b64 v[80:81], 4, v[78:79]
	v_add_co_u32_e32 v80, vcc, s4, v80
	v_addc_co_u32_e32 v81, vcc, v0, v81, vcc
	v_add_u32_e32 v78, s7, v78
	v_ashrrev_i32_e32 v79, 31, v78
	v_accvgpr_write_b32 a93, v81
	v_lshlrev_b64 v[82:83], 4, v[78:79]
	v_accvgpr_write_b32 a92, v80
	global_load_dwordx4 v[78:81], v[80:81], off
	v_add_co_u32_e32 v82, vcc, s4, v82
	v_addc_co_u32_e32 v83, vcc, v0, v83, vcc
	v_accvgpr_write_b32 a54, v82
	v_accvgpr_write_b32 a55, v83
	global_load_dwordx4 v[82:85], v[82:83], off
	v_mov_b32_e32 v0, 16
	buffer_store_dword v4, off, s[0:3], 0 offset:440
	buffer_store_dword v3, off, s[0:3], 0 offset:436
	buffer_store_dword v2, off, s[0:3], 0 offset:432
	s_waitcnt vmcnt(22)
	buffer_store_dword v9, off, s[0:3], 0 offset:460
	buffer_store_dword v8, off, s[0:3], 0 offset:456
	buffer_store_dword v7, off, s[0:3], 0 offset:452
	buffer_store_dword v6, off, s[0:3], 0 offset:448
	s_waitcnt vmcnt(25)
	buffer_store_dword v13, off, s[0:3], 0 offset:476
	;; [unrolled: 5-line block ×15, first 2 shown]
	buffer_store_dword v64, off, s[0:3], 0 offset:680
	buffer_store_dword v63, off, s[0:3], 0 offset:676
	buffer_store_dword v62, off, s[0:3], 0 offset:672
	buffer_store_dword v69, off, s[0:3], 0 offset:700
	buffer_store_dword v68, off, s[0:3], 0 offset:696
	buffer_store_dword v67, off, s[0:3], 0 offset:692
	buffer_store_dword v66, off, s[0:3], 0 offset:688
	buffer_store_dword v73, off, s[0:3], 0 offset:716
	buffer_store_dword v72, off, s[0:3], 0 offset:712
	buffer_store_dword v71, off, s[0:3], 0 offset:708
	buffer_store_dword v70, off, s[0:3], 0 offset:704
	s_waitcnt vmcnt(62)
	buffer_store_dword v77, off, s[0:3], 0 offset:732
	buffer_store_dword v76, off, s[0:3], 0 offset:728
	;; [unrolled: 1-line block ×12, first 2 shown]
	v_add_u32_e32 v2, 16, v0
	v_accvgpr_write_b32 a139, v2
	v_add_u32_e32 v2, 32, v0
	v_accvgpr_write_b32 a138, v2
	;; [unrolled: 2-line block ×44, first 2 shown]
	v_add_u32_e32 v2, 0x2d0, v0
	v_add_u32_e32 v0, 0x2e0, v0
	v_accvgpr_write_b32 a95, v2
	v_accvgpr_write_b32 a94, v0
	s_mov_b64 s[6:7], -1
	s_cbranch_scc1 .LBB46_200
; %bb.4:
	v_cmp_eq_u32_e64 s[4:5], 0, v254
	s_and_saveexec_b64 s[6:7], s[4:5]
	s_cbranch_execz .LBB46_6
; %bb.5:
	v_mov_b32_e32 v0, 0
	ds_write_b32 v0, v0 offset:1504
.LBB46_6:
	s_or_b64 exec, exec, s[6:7]
	v_mov_b32_e32 v0, 16
	v_lshl_add_u32 v12, v254, 4, v0
	s_waitcnt lgkmcnt(0)
	; wave barrier
	s_waitcnt lgkmcnt(0)
	buffer_load_dword v2, v12, s[0:3], 0 offen
	buffer_load_dword v3, v12, s[0:3], 0 offen offset:4
	buffer_load_dword v4, v12, s[0:3], 0 offen offset:8
	;; [unrolled: 1-line block ×3, first 2 shown]
	s_waitcnt vmcnt(2)
	v_cmp_eq_f64_e32 vcc, 0, v[2:3]
	s_waitcnt vmcnt(0)
	v_cmp_eq_f64_e64 s[6:7], 0, v[4:5]
	s_and_b64 s[6:7], vcc, s[6:7]
	s_and_saveexec_b64 s[12:13], s[6:7]
	s_cbranch_execz .LBB46_10
; %bb.7:
	v_mov_b32_e32 v2, 0
	ds_read_b32 v0, v2 offset:1504
	v_add_u32_e32 v3, 1, v254
	s_waitcnt lgkmcnt(0)
	v_readfirstlane_b32 s6, v0
	s_cmp_eq_u32 s6, 0
	s_cselect_b64 s[16:17], -1, 0
	v_cmp_gt_i32_e32 vcc, s6, v3
	s_or_b64 s[16:17], s[16:17], vcc
	s_and_b64 exec, exec, s[16:17]
	s_cbranch_execz .LBB46_10
; %bb.8:
	s_mov_b64 s[16:17], 0
	v_mov_b32_e32 v4, s6
.LBB46_9:                               ; =>This Inner Loop Header: Depth=1
	ds_cmpst_rtn_b32 v4, v2, v4, v3 offset:1504
	s_waitcnt lgkmcnt(0)
	v_cmp_ne_u32_e32 vcc, 0, v4
	v_cmp_le_i32_e64 s[6:7], v4, v3
	s_and_b64 s[6:7], vcc, s[6:7]
	s_and_b64 s[6:7], exec, s[6:7]
	s_or_b64 s[16:17], s[6:7], s[16:17]
	s_andn2_b64 exec, exec, s[16:17]
	s_cbranch_execnz .LBB46_9
.LBB46_10:
	s_or_b64 exec, exec, s[12:13]
	v_mov_b32_e32 v3, 0
	s_waitcnt lgkmcnt(0)
	; wave barrier
	ds_read_b32 v2, v3 offset:1504
	s_and_saveexec_b64 s[6:7], s[4:5]
	s_cbranch_execz .LBB46_12
; %bb.11:
	s_lshl_b64 s[12:13], s[8:9], 2
	s_add_u32 s12, s14, s12
	s_addc_u32 s13, s15, s13
	s_waitcnt lgkmcnt(0)
	global_store_dword v3, v2, s[12:13]
.LBB46_12:
	s_or_b64 exec, exec, s[6:7]
	s_waitcnt lgkmcnt(0)
	v_cmp_ne_u32_e32 vcc, 0, v2
	s_mov_b64 s[6:7], 0
	s_cbranch_vccnz .LBB46_200
; %bb.13:
	buffer_load_dword v7, v12, s[0:3], 0 offen offset:4
	buffer_load_dword v6, v12, s[0:3], 0 offen
	buffer_load_dword v9, v12, s[0:3], 0 offen offset:12
	buffer_load_dword v8, v12, s[0:3], 0 offen offset:8
                                        ; implicit-def: $vgpr10_vgpr11
	s_waitcnt vmcnt(3)
	v_xor_b32_e32 v0, 0x80000000, v7
	s_waitcnt vmcnt(2)
	v_cmp_gt_f64_e32 vcc, 0, v[6:7]
	s_waitcnt vmcnt(1)
	v_xor_b32_e32 v4, 0x80000000, v9
	v_cndmask_b32_e32 v3, v7, v0, vcc
	s_waitcnt vmcnt(0)
	v_cmp_gt_f64_e32 vcc, 0, v[8:9]
	v_mov_b32_e32 v2, v6
	v_cndmask_b32_e32 v5, v9, v4, vcc
	v_mov_b32_e32 v4, v8
	v_cmp_ngt_f64_e32 vcc, v[2:3], v[4:5]
                                        ; implicit-def: $vgpr4_vgpr5
	s_and_saveexec_b64 s[6:7], vcc
	s_xor_b64 s[6:7], exec, s[6:7]
	s_cbranch_execz .LBB46_15
; %bb.14:
	v_div_scale_f64 v[2:3], s[12:13], v[8:9], v[8:9], v[6:7]
	v_rcp_f64_e32 v[4:5], v[2:3]
	v_div_scale_f64 v[10:11], vcc, v[6:7], v[8:9], v[6:7]
	v_fma_f64 v[14:15], -v[2:3], v[4:5], 1.0
	v_fmac_f64_e32 v[4:5], v[4:5], v[14:15]
	v_fma_f64 v[14:15], -v[2:3], v[4:5], 1.0
	v_fmac_f64_e32 v[4:5], v[4:5], v[14:15]
	v_mul_f64 v[14:15], v[10:11], v[4:5]
	v_fma_f64 v[2:3], -v[2:3], v[14:15], v[10:11]
	v_div_fmas_f64 v[2:3], v[2:3], v[4:5], v[14:15]
	v_div_fixup_f64 v[2:3], v[2:3], v[8:9], v[6:7]
	v_fmac_f64_e32 v[8:9], v[6:7], v[2:3]
	v_div_scale_f64 v[4:5], s[12:13], v[8:9], v[8:9], 1.0
	v_rcp_f64_e32 v[6:7], v[4:5]
	v_fma_f64 v[10:11], -v[4:5], v[6:7], 1.0
	v_fmac_f64_e32 v[6:7], v[6:7], v[10:11]
	v_fma_f64 v[10:11], -v[4:5], v[6:7], 1.0
	v_fmac_f64_e32 v[6:7], v[6:7], v[10:11]
	v_div_scale_f64 v[10:11], vcc, 1.0, v[8:9], 1.0
	v_mul_f64 v[14:15], v[10:11], v[6:7]
	v_fma_f64 v[4:5], -v[4:5], v[14:15], v[10:11]
	s_nop 1
	v_div_fmas_f64 v[4:5], v[4:5], v[6:7], v[14:15]
	v_div_fixup_f64 v[4:5], v[4:5], v[8:9], 1.0
	v_mul_f64 v[10:11], v[2:3], v[4:5]
	v_xor_b32_e32 v5, 0x80000000, v5
	v_xor_b32_e32 v3, 0x80000000, v11
	v_mov_b32_e32 v2, v10
                                        ; implicit-def: $vgpr6_vgpr7
                                        ; implicit-def: $vgpr8_vgpr9
.LBB46_15:
	s_andn2_saveexec_b64 s[6:7], s[6:7]
	s_cbranch_execz .LBB46_17
; %bb.16:
	v_div_scale_f64 v[2:3], s[12:13], v[6:7], v[6:7], v[8:9]
	v_rcp_f64_e32 v[4:5], v[2:3]
	v_div_scale_f64 v[10:11], vcc, v[8:9], v[6:7], v[8:9]
	v_fma_f64 v[14:15], -v[2:3], v[4:5], 1.0
	v_fmac_f64_e32 v[4:5], v[4:5], v[14:15]
	v_fma_f64 v[14:15], -v[2:3], v[4:5], 1.0
	v_fmac_f64_e32 v[4:5], v[4:5], v[14:15]
	v_mul_f64 v[14:15], v[10:11], v[4:5]
	v_fma_f64 v[2:3], -v[2:3], v[14:15], v[10:11]
	v_div_fmas_f64 v[2:3], v[2:3], v[4:5], v[14:15]
	v_div_fixup_f64 v[4:5], v[2:3], v[6:7], v[8:9]
	v_fmac_f64_e32 v[6:7], v[8:9], v[4:5]
	v_div_scale_f64 v[2:3], s[12:13], v[6:7], v[6:7], 1.0
	v_rcp_f64_e32 v[8:9], v[2:3]
	v_fma_f64 v[10:11], -v[2:3], v[8:9], 1.0
	v_fmac_f64_e32 v[8:9], v[8:9], v[10:11]
	v_fma_f64 v[10:11], -v[2:3], v[8:9], 1.0
	v_fmac_f64_e32 v[8:9], v[8:9], v[10:11]
	v_div_scale_f64 v[10:11], vcc, 1.0, v[6:7], 1.0
	v_mul_f64 v[14:15], v[10:11], v[8:9]
	v_fma_f64 v[2:3], -v[2:3], v[14:15], v[10:11]
	s_nop 1
	v_div_fmas_f64 v[2:3], v[2:3], v[8:9], v[14:15]
	v_div_fixup_f64 v[10:11], v[2:3], v[6:7], 1.0
	v_xor_b32_e32 v3, 0x80000000, v11
	v_mov_b32_e32 v2, v10
	v_mul_f64 v[4:5], v[4:5], -v[10:11]
.LBB46_17:
	s_or_b64 exec, exec, s[6:7]
	buffer_store_dword v11, v12, s[0:3], 0 offen offset:4
	buffer_store_dword v10, v12, s[0:3], 0 offen
	buffer_store_dword v5, v12, s[0:3], 0 offen offset:12
	buffer_store_dword v4, v12, s[0:3], 0 offen offset:8
	v_accvgpr_read_b32 v0, a139
	buffer_load_dword v11, v0, s[0:3], 0 offen offset:12
	buffer_load_dword v10, v0, s[0:3], 0 offen offset:8
	;; [unrolled: 1-line block ×3, first 2 shown]
	buffer_load_dword v8, v0, s[0:3], 0 offen
	v_xor_b32_e32 v5, 0x80000000, v5
	v_add_u32_e32 v6, 0x2f0, v1
	ds_write_b128 v1, v[2:5]
	s_waitcnt vmcnt(0)
	ds_write_b128 v1, v[8:11] offset:752
	s_waitcnt lgkmcnt(0)
	; wave barrier
	s_waitcnt lgkmcnt(0)
	s_and_saveexec_b64 s[6:7], s[4:5]
	s_cbranch_execz .LBB46_19
; %bb.18:
	buffer_load_dword v14, v12, s[0:3], 0 offen offset:8
	buffer_load_dword v15, v12, s[0:3], 0 offen offset:12
	buffer_load_dword v16, v12, s[0:3], 0 offen
	buffer_load_dword v17, v12, s[0:3], 0 offen offset:4
	ds_read_b128 v[2:5], v6
	v_mov_b32_e32 v0, 0
	ds_read_b128 v[8:11], v0 offset:16
	s_waitcnt vmcnt(2) lgkmcnt(1)
	v_mul_f64 v[18:19], v[4:5], v[14:15]
	v_mul_f64 v[14:15], v[2:3], v[14:15]
	s_waitcnt vmcnt(0)
	v_fmac_f64_e32 v[14:15], v[4:5], v[16:17]
	v_fma_f64 v[2:3], v[2:3], v[16:17], -v[18:19]
	v_add_f64 v[4:5], v[14:15], 0
	v_add_f64 v[2:3], v[2:3], 0
	s_waitcnt lgkmcnt(0)
	v_mul_f64 v[14:15], v[4:5], v[10:11]
	v_mul_f64 v[10:11], v[2:3], v[10:11]
	v_fma_f64 v[2:3], v[2:3], v[8:9], -v[14:15]
	v_fmac_f64_e32 v[10:11], v[4:5], v[8:9]
	buffer_store_dword v2, off, s[0:3], 0 offset:32
	buffer_store_dword v3, off, s[0:3], 0 offset:36
	;; [unrolled: 1-line block ×4, first 2 shown]
.LBB46_19:
	s_or_b64 exec, exec, s[6:7]
	v_accvgpr_read_b32 v0, a138
	s_waitcnt lgkmcnt(0)
	; wave barrier
	buffer_load_dword v2, v0, s[0:3], 0 offen
	buffer_load_dword v3, v0, s[0:3], 0 offen offset:4
	buffer_load_dword v4, v0, s[0:3], 0 offen offset:8
	;; [unrolled: 1-line block ×3, first 2 shown]
	v_cmp_gt_u32_e32 vcc, 2, v254
	s_waitcnt vmcnt(0)
	ds_write_b128 v6, v[2:5]
	s_waitcnt lgkmcnt(0)
	; wave barrier
	s_waitcnt lgkmcnt(0)
	s_and_saveexec_b64 s[6:7], vcc
	s_cbranch_execz .LBB46_23
; %bb.20:
	buffer_load_dword v8, v12, s[0:3], 0 offen offset:8
	buffer_load_dword v9, v12, s[0:3], 0 offen offset:12
	buffer_load_dword v10, v12, s[0:3], 0 offen
	buffer_load_dword v11, v12, s[0:3], 0 offen offset:4
	ds_read_b128 v[2:5], v6
	s_waitcnt vmcnt(2) lgkmcnt(0)
	v_mul_f64 v[12:13], v[4:5], v[8:9]
	v_mul_f64 v[8:9], v[2:3], v[8:9]
	s_waitcnt vmcnt(0)
	v_fma_f64 v[2:3], v[2:3], v[10:11], -v[12:13]
	v_fmac_f64_e32 v[8:9], v[4:5], v[10:11]
	v_add_f64 v[4:5], v[2:3], 0
	v_add_f64 v[2:3], v[8:9], 0
	s_and_saveexec_b64 s[12:13], s[4:5]
	s_cbranch_execz .LBB46_22
; %bb.21:
	buffer_load_dword v12, off, s[0:3], 0 offset:40
	buffer_load_dword v13, off, s[0:3], 0 offset:44
	;; [unrolled: 1-line block ×4, first 2 shown]
	v_mov_b32_e32 v0, 0
	ds_read_b128 v[8:11], v0 offset:768
	s_waitcnt vmcnt(2) lgkmcnt(0)
	v_mul_f64 v[16:17], v[8:9], v[12:13]
	v_mul_f64 v[12:13], v[10:11], v[12:13]
	s_waitcnt vmcnt(0)
	v_fmac_f64_e32 v[16:17], v[10:11], v[14:15]
	v_fma_f64 v[8:9], v[8:9], v[14:15], -v[12:13]
	v_add_f64 v[2:3], v[2:3], v[16:17]
	v_add_f64 v[4:5], v[4:5], v[8:9]
.LBB46_22:
	s_or_b64 exec, exec, s[12:13]
	v_mov_b32_e32 v0, 0
	ds_read_b128 v[8:11], v0 offset:32
	s_waitcnt lgkmcnt(0)
	v_mul_f64 v[12:13], v[2:3], v[10:11]
	v_mul_f64 v[10:11], v[4:5], v[10:11]
	v_fma_f64 v[4:5], v[4:5], v[8:9], -v[12:13]
	v_fmac_f64_e32 v[10:11], v[2:3], v[8:9]
	buffer_store_dword v5, off, s[0:3], 0 offset:52
	buffer_store_dword v4, off, s[0:3], 0 offset:48
	;; [unrolled: 1-line block ×4, first 2 shown]
.LBB46_23:
	s_or_b64 exec, exec, s[6:7]
	v_accvgpr_read_b32 v0, a137
	s_waitcnt lgkmcnt(0)
	; wave barrier
	buffer_load_dword v2, v0, s[0:3], 0 offen
	buffer_load_dword v3, v0, s[0:3], 0 offen offset:4
	buffer_load_dword v4, v0, s[0:3], 0 offen offset:8
	;; [unrolled: 1-line block ×3, first 2 shown]
	v_cmp_gt_u32_e32 vcc, 3, v254
	v_add_u32_e32 v7, -1, v254
	s_waitcnt vmcnt(0)
	ds_write_b128 v6, v[2:5]
	s_waitcnt lgkmcnt(0)
	; wave barrier
	s_waitcnt lgkmcnt(0)
	s_and_saveexec_b64 s[4:5], vcc
	s_cbranch_execz .LBB46_27
; %bb.24:
	v_pk_mov_b32 v[2:3], 0, 0
	v_add_u32_e32 v8, -1, v254
	v_add_u32_e32 v9, 0x2f0, v1
	v_add_u32_e32 v10, 16, v1
	s_mov_b64 s[6:7], 0
	v_pk_mov_b32 v[4:5], v[2:3], v[2:3] op_sel:[0,1]
.LBB46_25:                              ; =>This Inner Loop Header: Depth=1
	buffer_load_dword v16, v10, s[0:3], 0 offen offset:8
	buffer_load_dword v17, v10, s[0:3], 0 offen offset:12
	buffer_load_dword v18, v10, s[0:3], 0 offen
	buffer_load_dword v19, v10, s[0:3], 0 offen offset:4
	ds_read_b128 v[12:15], v9
	v_add_u32_e32 v8, 1, v8
	v_cmp_lt_u32_e32 vcc, 1, v8
	v_add_u32_e32 v9, 16, v9
	v_add_u32_e32 v10, 16, v10
	s_or_b64 s[6:7], vcc, s[6:7]
	s_waitcnt vmcnt(2) lgkmcnt(0)
	v_mul_f64 v[20:21], v[14:15], v[16:17]
	v_mul_f64 v[16:17], v[12:13], v[16:17]
	s_waitcnt vmcnt(0)
	v_fma_f64 v[12:13], v[12:13], v[18:19], -v[20:21]
	v_fmac_f64_e32 v[16:17], v[14:15], v[18:19]
	v_add_f64 v[4:5], v[4:5], v[12:13]
	v_add_f64 v[2:3], v[2:3], v[16:17]
	s_andn2_b64 exec, exec, s[6:7]
	s_cbranch_execnz .LBB46_25
; %bb.26:
	s_or_b64 exec, exec, s[6:7]
	v_mov_b32_e32 v0, 0
	ds_read_b128 v[8:11], v0 offset:48
	s_waitcnt lgkmcnt(0)
	v_mul_f64 v[12:13], v[2:3], v[10:11]
	v_mul_f64 v[10:11], v[4:5], v[10:11]
	v_fma_f64 v[4:5], v[4:5], v[8:9], -v[12:13]
	v_fmac_f64_e32 v[10:11], v[2:3], v[8:9]
	buffer_store_dword v5, off, s[0:3], 0 offset:68
	buffer_store_dword v4, off, s[0:3], 0 offset:64
	buffer_store_dword v11, off, s[0:3], 0 offset:76
	buffer_store_dword v10, off, s[0:3], 0 offset:72
.LBB46_27:
	s_or_b64 exec, exec, s[4:5]
	v_accvgpr_read_b32 v0, a136
	s_waitcnt lgkmcnt(0)
	; wave barrier
	buffer_load_dword v2, v0, s[0:3], 0 offen
	buffer_load_dword v3, v0, s[0:3], 0 offen offset:4
	buffer_load_dword v4, v0, s[0:3], 0 offen offset:8
	buffer_load_dword v5, v0, s[0:3], 0 offen offset:12
	v_cmp_gt_u32_e32 vcc, 4, v254
	s_waitcnt vmcnt(0)
	ds_write_b128 v6, v[2:5]
	s_waitcnt lgkmcnt(0)
	; wave barrier
	s_waitcnt lgkmcnt(0)
	s_and_saveexec_b64 s[4:5], vcc
	s_cbranch_execz .LBB46_31
; %bb.28:
	v_pk_mov_b32 v[2:3], 0, 0
	v_add_u32_e32 v8, -1, v254
	v_add_u32_e32 v9, 0x2f0, v1
	v_add_u32_e32 v10, 16, v1
	s_mov_b64 s[6:7], 0
	v_pk_mov_b32 v[4:5], v[2:3], v[2:3] op_sel:[0,1]
.LBB46_29:                              ; =>This Inner Loop Header: Depth=1
	buffer_load_dword v16, v10, s[0:3], 0 offen offset:8
	buffer_load_dword v17, v10, s[0:3], 0 offen offset:12
	buffer_load_dword v18, v10, s[0:3], 0 offen
	buffer_load_dword v19, v10, s[0:3], 0 offen offset:4
	ds_read_b128 v[12:15], v9
	v_add_u32_e32 v8, 1, v8
	v_cmp_lt_u32_e32 vcc, 2, v8
	v_add_u32_e32 v9, 16, v9
	v_add_u32_e32 v10, 16, v10
	s_or_b64 s[6:7], vcc, s[6:7]
	s_waitcnt vmcnt(2) lgkmcnt(0)
	v_mul_f64 v[20:21], v[14:15], v[16:17]
	v_mul_f64 v[16:17], v[12:13], v[16:17]
	s_waitcnt vmcnt(0)
	v_fma_f64 v[12:13], v[12:13], v[18:19], -v[20:21]
	v_fmac_f64_e32 v[16:17], v[14:15], v[18:19]
	v_add_f64 v[4:5], v[4:5], v[12:13]
	v_add_f64 v[2:3], v[2:3], v[16:17]
	s_andn2_b64 exec, exec, s[6:7]
	s_cbranch_execnz .LBB46_29
; %bb.30:
	s_or_b64 exec, exec, s[6:7]
	v_mov_b32_e32 v0, 0
	ds_read_b128 v[8:11], v0 offset:64
	s_waitcnt lgkmcnt(0)
	v_mul_f64 v[12:13], v[2:3], v[10:11]
	v_mul_f64 v[10:11], v[4:5], v[10:11]
	v_fma_f64 v[4:5], v[4:5], v[8:9], -v[12:13]
	v_fmac_f64_e32 v[10:11], v[2:3], v[8:9]
	buffer_store_dword v5, off, s[0:3], 0 offset:84
	buffer_store_dword v4, off, s[0:3], 0 offset:80
	buffer_store_dword v11, off, s[0:3], 0 offset:92
	buffer_store_dword v10, off, s[0:3], 0 offset:88
.LBB46_31:
	s_or_b64 exec, exec, s[4:5]
	v_accvgpr_read_b32 v0, a135
	s_waitcnt lgkmcnt(0)
	; wave barrier
	buffer_load_dword v2, v0, s[0:3], 0 offen
	buffer_load_dword v3, v0, s[0:3], 0 offen offset:4
	buffer_load_dword v4, v0, s[0:3], 0 offen offset:8
	buffer_load_dword v5, v0, s[0:3], 0 offen offset:12
	v_cmp_gt_u32_e32 vcc, 5, v254
	;; [unrolled: 58-line block ×19, first 2 shown]
	s_waitcnt vmcnt(0)
	ds_write_b128 v6, v[2:5]
	s_waitcnt lgkmcnt(0)
	; wave barrier
	s_waitcnt lgkmcnt(0)
	s_and_saveexec_b64 s[4:5], vcc
	s_cbranch_execz .LBB46_103
; %bb.100:
	v_pk_mov_b32 v[2:3], 0, 0
	v_add_u32_e32 v8, -1, v254
	v_add_u32_e32 v9, 0x2f0, v1
	v_add_u32_e32 v10, 16, v1
	s_mov_b64 s[6:7], 0
	v_pk_mov_b32 v[4:5], v[2:3], v[2:3] op_sel:[0,1]
.LBB46_101:                             ; =>This Inner Loop Header: Depth=1
	buffer_load_dword v16, v10, s[0:3], 0 offen offset:8
	buffer_load_dword v17, v10, s[0:3], 0 offen offset:12
	buffer_load_dword v18, v10, s[0:3], 0 offen
	buffer_load_dword v19, v10, s[0:3], 0 offen offset:4
	ds_read_b128 v[12:15], v9
	v_add_u32_e32 v8, 1, v8
	v_cmp_lt_u32_e32 vcc, 20, v8
	v_add_u32_e32 v9, 16, v9
	v_add_u32_e32 v10, 16, v10
	s_or_b64 s[6:7], vcc, s[6:7]
	s_waitcnt vmcnt(2) lgkmcnt(0)
	v_mul_f64 v[20:21], v[14:15], v[16:17]
	v_mul_f64 v[16:17], v[12:13], v[16:17]
	s_waitcnt vmcnt(0)
	v_fma_f64 v[12:13], v[12:13], v[18:19], -v[20:21]
	v_fmac_f64_e32 v[16:17], v[14:15], v[18:19]
	v_add_f64 v[4:5], v[4:5], v[12:13]
	v_add_f64 v[2:3], v[2:3], v[16:17]
	s_andn2_b64 exec, exec, s[6:7]
	s_cbranch_execnz .LBB46_101
; %bb.102:
	s_or_b64 exec, exec, s[6:7]
	v_mov_b32_e32 v0, 0
	ds_read_b128 v[8:11], v0 offset:352
	s_waitcnt lgkmcnt(0)
	v_mul_f64 v[12:13], v[2:3], v[10:11]
	v_mul_f64 v[10:11], v[4:5], v[10:11]
	v_fma_f64 v[4:5], v[4:5], v[8:9], -v[12:13]
	v_fmac_f64_e32 v[10:11], v[2:3], v[8:9]
	buffer_store_dword v5, off, s[0:3], 0 offset:372
	buffer_store_dword v4, off, s[0:3], 0 offset:368
	buffer_store_dword v11, off, s[0:3], 0 offset:380
	buffer_store_dword v10, off, s[0:3], 0 offset:376
.LBB46_103:
	s_or_b64 exec, exec, s[4:5]
	v_accvgpr_read_b32 v0, a117
	s_waitcnt lgkmcnt(0)
	; wave barrier
	buffer_load_dword v2, v0, s[0:3], 0 offen
	buffer_load_dword v3, v0, s[0:3], 0 offen offset:4
	buffer_load_dword v4, v0, s[0:3], 0 offen offset:8
	buffer_load_dword v5, v0, s[0:3], 0 offen offset:12
	v_cmp_gt_u32_e32 vcc, 23, v254
	s_waitcnt vmcnt(0)
	ds_write_b128 v6, v[2:5]
	s_waitcnt lgkmcnt(0)
	; wave barrier
	s_waitcnt lgkmcnt(0)
	s_and_saveexec_b64 s[4:5], vcc
	s_cbranch_execz .LBB46_107
; %bb.104:
	v_pk_mov_b32 v[2:3], 0, 0
	v_add_u32_e32 v8, -1, v254
	v_add_u32_e32 v9, 0x2f0, v1
	v_add_u32_e32 v10, 16, v1
	s_mov_b64 s[6:7], 0
	v_pk_mov_b32 v[4:5], v[2:3], v[2:3] op_sel:[0,1]
.LBB46_105:                             ; =>This Inner Loop Header: Depth=1
	buffer_load_dword v16, v10, s[0:3], 0 offen offset:8
	buffer_load_dword v17, v10, s[0:3], 0 offen offset:12
	buffer_load_dword v18, v10, s[0:3], 0 offen
	buffer_load_dword v19, v10, s[0:3], 0 offen offset:4
	ds_read_b128 v[12:15], v9
	v_add_u32_e32 v8, 1, v8
	v_cmp_lt_u32_e32 vcc, 21, v8
	v_add_u32_e32 v9, 16, v9
	v_add_u32_e32 v10, 16, v10
	s_or_b64 s[6:7], vcc, s[6:7]
	s_waitcnt vmcnt(2) lgkmcnt(0)
	v_mul_f64 v[20:21], v[14:15], v[16:17]
	v_mul_f64 v[16:17], v[12:13], v[16:17]
	s_waitcnt vmcnt(0)
	v_fma_f64 v[12:13], v[12:13], v[18:19], -v[20:21]
	v_fmac_f64_e32 v[16:17], v[14:15], v[18:19]
	v_add_f64 v[4:5], v[4:5], v[12:13]
	v_add_f64 v[2:3], v[2:3], v[16:17]
	s_andn2_b64 exec, exec, s[6:7]
	s_cbranch_execnz .LBB46_105
; %bb.106:
	s_or_b64 exec, exec, s[6:7]
	v_mov_b32_e32 v0, 0
	ds_read_b128 v[8:11], v0 offset:368
	s_waitcnt lgkmcnt(0)
	v_mul_f64 v[12:13], v[2:3], v[10:11]
	v_mul_f64 v[10:11], v[4:5], v[10:11]
	v_fma_f64 v[4:5], v[4:5], v[8:9], -v[12:13]
	v_fmac_f64_e32 v[10:11], v[2:3], v[8:9]
	buffer_store_dword v5, off, s[0:3], 0 offset:388
	buffer_store_dword v4, off, s[0:3], 0 offset:384
	buffer_store_dword v11, off, s[0:3], 0 offset:396
	buffer_store_dword v10, off, s[0:3], 0 offset:392
.LBB46_107:
	s_or_b64 exec, exec, s[4:5]
	v_accvgpr_read_b32 v0, a116
	s_waitcnt lgkmcnt(0)
	; wave barrier
	buffer_load_dword v2, v0, s[0:3], 0 offen
	buffer_load_dword v3, v0, s[0:3], 0 offen offset:4
	buffer_load_dword v4, v0, s[0:3], 0 offen offset:8
	buffer_load_dword v5, v0, s[0:3], 0 offen offset:12
	v_cmp_gt_u32_e32 vcc, 24, v254
	;; [unrolled: 58-line block ×23, first 2 shown]
	s_waitcnt vmcnt(0)
	ds_write_b128 v6, v[2:5]
	s_waitcnt lgkmcnt(0)
	; wave barrier
	s_waitcnt lgkmcnt(0)
	s_and_saveexec_b64 s[4:5], vcc
	s_cbranch_execz .LBB46_195
; %bb.192:
	v_pk_mov_b32 v[2:3], 0, 0
	v_add_u32_e32 v8, -1, v254
	v_add_u32_e32 v9, 0x2f0, v1
	v_add_u32_e32 v10, 16, v1
	s_mov_b64 s[6:7], 0
	v_pk_mov_b32 v[4:5], v[2:3], v[2:3] op_sel:[0,1]
.LBB46_193:                             ; =>This Inner Loop Header: Depth=1
	buffer_load_dword v16, v10, s[0:3], 0 offen offset:8
	buffer_load_dword v17, v10, s[0:3], 0 offen offset:12
	buffer_load_dword v18, v10, s[0:3], 0 offen
	buffer_load_dword v19, v10, s[0:3], 0 offen offset:4
	ds_read_b128 v[12:15], v9
	v_add_u32_e32 v8, 1, v8
	v_cmp_lt_u32_e32 vcc, 43, v8
	v_add_u32_e32 v9, 16, v9
	v_add_u32_e32 v10, 16, v10
	s_or_b64 s[6:7], vcc, s[6:7]
	s_waitcnt vmcnt(2) lgkmcnt(0)
	v_mul_f64 v[20:21], v[14:15], v[16:17]
	v_mul_f64 v[16:17], v[12:13], v[16:17]
	s_waitcnt vmcnt(0)
	v_fma_f64 v[12:13], v[12:13], v[18:19], -v[20:21]
	v_fmac_f64_e32 v[16:17], v[14:15], v[18:19]
	v_add_f64 v[4:5], v[4:5], v[12:13]
	v_add_f64 v[2:3], v[2:3], v[16:17]
	s_andn2_b64 exec, exec, s[6:7]
	s_cbranch_execnz .LBB46_193
; %bb.194:
	s_or_b64 exec, exec, s[6:7]
	v_mov_b32_e32 v0, 0
	ds_read_b128 v[8:11], v0 offset:720
	s_waitcnt lgkmcnt(0)
	v_mul_f64 v[12:13], v[2:3], v[10:11]
	v_mul_f64 v[10:11], v[4:5], v[10:11]
	v_fma_f64 v[4:5], v[4:5], v[8:9], -v[12:13]
	v_fmac_f64_e32 v[10:11], v[2:3], v[8:9]
	buffer_store_dword v5, off, s[0:3], 0 offset:740
	buffer_store_dword v4, off, s[0:3], 0 offset:736
	;; [unrolled: 1-line block ×4, first 2 shown]
.LBB46_195:
	s_or_b64 exec, exec, s[4:5]
	v_accvgpr_read_b32 v0, a94
	s_waitcnt lgkmcnt(0)
	; wave barrier
	buffer_load_dword v2, v0, s[0:3], 0 offen
	buffer_load_dword v3, v0, s[0:3], 0 offen offset:4
	buffer_load_dword v4, v0, s[0:3], 0 offen offset:8
	;; [unrolled: 1-line block ×3, first 2 shown]
	v_cmp_ne_u32_e32 vcc, 46, v254
	s_waitcnt vmcnt(0)
	ds_write_b128 v6, v[2:5]
	s_waitcnt lgkmcnt(0)
	; wave barrier
	s_waitcnt lgkmcnt(0)
	s_and_saveexec_b64 s[4:5], vcc
	s_cbranch_execz .LBB46_199
; %bb.196:
	v_pk_mov_b32 v[2:3], 0, 0
	v_add_u32_e32 v6, 0x2f0, v1
	v_add_u32_e32 v1, 16, v1
	s_mov_b64 s[6:7], 0
	v_pk_mov_b32 v[4:5], v[2:3], v[2:3] op_sel:[0,1]
.LBB46_197:                             ; =>This Inner Loop Header: Depth=1
	buffer_load_dword v12, v1, s[0:3], 0 offen offset:8
	buffer_load_dword v13, v1, s[0:3], 0 offen offset:12
	buffer_load_dword v14, v1, s[0:3], 0 offen
	buffer_load_dword v15, v1, s[0:3], 0 offen offset:4
	ds_read_b128 v[8:11], v6
	v_add_u32_e32 v7, 1, v7
	v_cmp_lt_u32_e32 vcc, 44, v7
	v_add_u32_e32 v6, 16, v6
	v_add_u32_e32 v1, 16, v1
	s_or_b64 s[6:7], vcc, s[6:7]
	s_waitcnt vmcnt(2) lgkmcnt(0)
	v_mul_f64 v[16:17], v[10:11], v[12:13]
	v_mul_f64 v[12:13], v[8:9], v[12:13]
	s_waitcnt vmcnt(0)
	v_fma_f64 v[8:9], v[8:9], v[14:15], -v[16:17]
	v_fmac_f64_e32 v[12:13], v[10:11], v[14:15]
	v_add_f64 v[4:5], v[4:5], v[8:9]
	v_add_f64 v[2:3], v[2:3], v[12:13]
	s_andn2_b64 exec, exec, s[6:7]
	s_cbranch_execnz .LBB46_197
; %bb.198:
	s_or_b64 exec, exec, s[6:7]
	v_mov_b32_e32 v0, 0
	ds_read_b128 v[6:9], v0 offset:736
	s_waitcnt lgkmcnt(0)
	v_mul_f64 v[10:11], v[2:3], v[8:9]
	v_mul_f64 v[8:9], v[4:5], v[8:9]
	v_fma_f64 v[4:5], v[4:5], v[6:7], -v[10:11]
	v_fmac_f64_e32 v[8:9], v[2:3], v[6:7]
	buffer_store_dword v5, off, s[0:3], 0 offset:756
	buffer_store_dword v4, off, s[0:3], 0 offset:752
	;; [unrolled: 1-line block ×4, first 2 shown]
.LBB46_199:
	s_or_b64 exec, exec, s[4:5]
	s_mov_b64 s[6:7], -1
	s_waitcnt lgkmcnt(0)
	; wave barrier
.LBB46_200:
	s_and_b64 vcc, exec, s[6:7]
	s_cbranch_vccz .LBB46_202
; %bb.201:
	s_lshl_b64 s[4:5], s[8:9], 2
	s_add_u32 s4, s14, s4
	s_addc_u32 s5, s15, s5
	v_mov_b32_e32 v0, 0
	global_load_dword v0, v0, s[4:5]
	s_waitcnt vmcnt(0)
	v_cmp_ne_u32_e32 vcc, 0, v0
	s_cbranch_vccz .LBB46_203
.LBB46_202:
	s_endpgm
.LBB46_203:
	v_mov_b32_e32 v0, 0x2f0
	v_lshl_add_u32 v0, v254, 4, v0
	v_accvgpr_write_b32 a141, v0
	v_cmp_eq_u32_e32 vcc, 46, v254
	s_and_saveexec_b64 s[4:5], vcc
	s_cbranch_execz .LBB46_205
; %bb.204:
	v_accvgpr_read_b32 v0, a95
	buffer_load_dword v2, v0, s[0:3], 0 offen
	buffer_load_dword v3, v0, s[0:3], 0 offen offset:4
	buffer_load_dword v4, v0, s[0:3], 0 offen offset:8
	;; [unrolled: 1-line block ×3, first 2 shown]
	v_mov_b32_e32 v0, 0
	v_accvgpr_read_b32 v1, a141
	buffer_store_dword v0, off, s[0:3], 0 offset:736
	buffer_store_dword v0, off, s[0:3], 0 offset:740
	;; [unrolled: 1-line block ×4, first 2 shown]
	s_waitcnt vmcnt(4)
	ds_write_b128 v1, v[2:5]
.LBB46_205:
	s_or_b64 exec, exec, s[4:5]
	s_waitcnt lgkmcnt(0)
	; wave barrier
	s_waitcnt lgkmcnt(0)
	buffer_load_dword v6, off, s[0:3], 0 offset:760
	buffer_load_dword v7, off, s[0:3], 0 offset:764
	;; [unrolled: 1-line block ×8, first 2 shown]
	v_mov_b32_e32 v1, 0
	ds_read_b128 v[2:5], v1 offset:1488
	v_cmp_lt_u32_e32 vcc, 44, v254
	s_waitcnt vmcnt(6) lgkmcnt(0)
	v_mul_f64 v[14:15], v[2:3], v[6:7]
	v_mul_f64 v[6:7], v[4:5], v[6:7]
	s_waitcnt vmcnt(4)
	v_fma_f64 v[2:3], v[2:3], v[8:9], -v[6:7]
	v_fmac_f64_e32 v[14:15], v[4:5], v[8:9]
	v_add_f64 v[2:3], v[2:3], 0
	v_add_f64 v[4:5], v[14:15], 0
	s_waitcnt vmcnt(2)
	v_add_f64 v[2:3], v[10:11], -v[2:3]
	s_waitcnt vmcnt(0)
	v_add_f64 v[4:5], v[12:13], -v[4:5]
	buffer_store_dword v2, off, s[0:3], 0 offset:736
	buffer_store_dword v3, off, s[0:3], 0 offset:740
	;; [unrolled: 1-line block ×4, first 2 shown]
	s_and_saveexec_b64 s[4:5], vcc
	s_cbranch_execz .LBB46_207
; %bb.206:
	v_accvgpr_read_b32 v0, a96
	buffer_load_dword v2, v0, s[0:3], 0 offen
	buffer_load_dword v3, v0, s[0:3], 0 offen offset:4
	buffer_load_dword v4, v0, s[0:3], 0 offen offset:8
	;; [unrolled: 1-line block ×3, first 2 shown]
	v_accvgpr_read_b32 v0, a141
	buffer_store_dword v1, off, s[0:3], 0 offset:720
	buffer_store_dword v1, off, s[0:3], 0 offset:724
	;; [unrolled: 1-line block ×4, first 2 shown]
	s_waitcnt vmcnt(4)
	ds_write_b128 v0, v[2:5]
.LBB46_207:
	s_or_b64 exec, exec, s[4:5]
	s_waitcnt lgkmcnt(0)
	; wave barrier
	s_waitcnt lgkmcnt(0)
	buffer_load_dword v10, off, s[0:3], 0 offset:744
	buffer_load_dword v11, off, s[0:3], 0 offset:748
	;; [unrolled: 1-line block ×12, first 2 shown]
	ds_read_b128 v[2:5], v1 offset:1472
	ds_read_b128 v[6:9], v1 offset:1488
	v_cmp_lt_u32_e32 vcc, 43, v254
	s_waitcnt vmcnt(10) lgkmcnt(1)
	v_mul_f64 v[22:23], v[2:3], v[10:11]
	v_mul_f64 v[10:11], v[4:5], v[10:11]
	s_waitcnt vmcnt(8) lgkmcnt(0)
	v_mul_f64 v[24:25], v[6:7], v[12:13]
	v_mul_f64 v[12:13], v[8:9], v[12:13]
	s_waitcnt vmcnt(6)
	v_fma_f64 v[2:3], v[2:3], v[14:15], -v[10:11]
	v_fmac_f64_e32 v[22:23], v[4:5], v[14:15]
	s_waitcnt vmcnt(4)
	v_fma_f64 v[4:5], v[6:7], v[16:17], -v[12:13]
	v_add_f64 v[2:3], v[2:3], 0
	v_fmac_f64_e32 v[24:25], v[8:9], v[16:17]
	v_add_f64 v[6:7], v[22:23], 0
	v_add_f64 v[2:3], v[2:3], v[4:5]
	;; [unrolled: 1-line block ×3, first 2 shown]
	s_waitcnt vmcnt(2)
	v_add_f64 v[2:3], v[18:19], -v[2:3]
	s_waitcnt vmcnt(0)
	v_add_f64 v[4:5], v[20:21], -v[6:7]
	buffer_store_dword v2, off, s[0:3], 0 offset:720
	buffer_store_dword v3, off, s[0:3], 0 offset:724
	;; [unrolled: 1-line block ×4, first 2 shown]
	s_and_saveexec_b64 s[4:5], vcc
	s_cbranch_execz .LBB46_209
; %bb.208:
	v_accvgpr_read_b32 v0, a97
	buffer_load_dword v2, v0, s[0:3], 0 offen
	buffer_load_dword v3, v0, s[0:3], 0 offen offset:4
	buffer_load_dword v4, v0, s[0:3], 0 offen offset:8
	;; [unrolled: 1-line block ×3, first 2 shown]
	v_mov_b32_e32 v0, 0
	v_accvgpr_read_b32 v1, a141
	buffer_store_dword v0, off, s[0:3], 0 offset:704
	buffer_store_dword v0, off, s[0:3], 0 offset:708
	;; [unrolled: 1-line block ×4, first 2 shown]
	s_waitcnt vmcnt(4)
	ds_write_b128 v1, v[2:5]
.LBB46_209:
	s_or_b64 exec, exec, s[4:5]
	s_waitcnt lgkmcnt(0)
	; wave barrier
	s_waitcnt lgkmcnt(0)
	buffer_load_dword v14, off, s[0:3], 0 offset:728
	buffer_load_dword v15, off, s[0:3], 0 offset:732
	;; [unrolled: 1-line block ×16, first 2 shown]
	v_mov_b32_e32 v1, 0
	ds_read_b128 v[2:5], v1 offset:1456
	ds_read_b128 v[6:9], v1 offset:1472
	;; [unrolled: 1-line block ×3, first 2 shown]
	v_cmp_lt_u32_e32 vcc, 42, v254
	s_waitcnt vmcnt(14) lgkmcnt(2)
	v_mul_f64 v[30:31], v[2:3], v[14:15]
	v_mul_f64 v[14:15], v[4:5], v[14:15]
	s_waitcnt vmcnt(12) lgkmcnt(1)
	v_mul_f64 v[32:33], v[6:7], v[16:17]
	v_mul_f64 v[16:17], v[8:9], v[16:17]
	;; [unrolled: 3-line block ×3, first 2 shown]
	s_waitcnt vmcnt(8)
	v_fma_f64 v[2:3], v[2:3], v[20:21], -v[14:15]
	v_fmac_f64_e32 v[30:31], v[4:5], v[20:21]
	s_waitcnt vmcnt(6)
	v_fma_f64 v[4:5], v[6:7], v[22:23], -v[16:17]
	v_add_f64 v[2:3], v[2:3], 0
	v_fmac_f64_e32 v[32:33], v[8:9], v[22:23]
	s_waitcnt vmcnt(4)
	v_fma_f64 v[6:7], v[10:11], v[24:25], -v[18:19]
	v_add_f64 v[8:9], v[30:31], 0
	v_add_f64 v[2:3], v[2:3], v[4:5]
	v_fmac_f64_e32 v[34:35], v[12:13], v[24:25]
	v_add_f64 v[8:9], v[8:9], v[32:33]
	v_add_f64 v[2:3], v[2:3], v[6:7]
	v_add_f64 v[4:5], v[8:9], v[34:35]
	s_waitcnt vmcnt(2)
	v_add_f64 v[2:3], v[26:27], -v[2:3]
	s_waitcnt vmcnt(0)
	v_add_f64 v[4:5], v[28:29], -v[4:5]
	buffer_store_dword v2, off, s[0:3], 0 offset:704
	buffer_store_dword v3, off, s[0:3], 0 offset:708
	buffer_store_dword v4, off, s[0:3], 0 offset:712
	buffer_store_dword v5, off, s[0:3], 0 offset:716
	s_and_saveexec_b64 s[4:5], vcc
	s_cbranch_execz .LBB46_211
; %bb.210:
	v_accvgpr_read_b32 v0, a98
	buffer_load_dword v2, v0, s[0:3], 0 offen
	buffer_load_dword v3, v0, s[0:3], 0 offen offset:4
	buffer_load_dword v4, v0, s[0:3], 0 offen offset:8
	;; [unrolled: 1-line block ×3, first 2 shown]
	v_accvgpr_read_b32 v0, a141
	buffer_store_dword v1, off, s[0:3], 0 offset:688
	buffer_store_dword v1, off, s[0:3], 0 offset:692
	buffer_store_dword v1, off, s[0:3], 0 offset:696
	buffer_store_dword v1, off, s[0:3], 0 offset:700
	s_waitcnt vmcnt(4)
	ds_write_b128 v0, v[2:5]
.LBB46_211:
	s_or_b64 exec, exec, s[4:5]
	s_waitcnt lgkmcnt(0)
	; wave barrier
	s_waitcnt lgkmcnt(0)
	buffer_load_dword v18, off, s[0:3], 0 offset:712
	buffer_load_dword v19, off, s[0:3], 0 offset:716
	;; [unrolled: 1-line block ×20, first 2 shown]
	ds_read_b128 v[2:5], v1 offset:1440
	ds_read_b128 v[6:9], v1 offset:1456
	;; [unrolled: 1-line block ×4, first 2 shown]
	v_cmp_lt_u32_e32 vcc, 41, v254
	s_waitcnt vmcnt(18) lgkmcnt(3)
	v_mul_f64 v[38:39], v[2:3], v[18:19]
	v_mul_f64 v[18:19], v[4:5], v[18:19]
	s_waitcnt vmcnt(16) lgkmcnt(2)
	v_mul_f64 v[40:41], v[6:7], v[20:21]
	v_mul_f64 v[20:21], v[8:9], v[20:21]
	;; [unrolled: 3-line block ×4, first 2 shown]
	s_waitcnt vmcnt(10)
	v_fma_f64 v[2:3], v[2:3], v[26:27], -v[18:19]
	v_fmac_f64_e32 v[38:39], v[4:5], v[26:27]
	s_waitcnt vmcnt(8)
	v_fma_f64 v[4:5], v[6:7], v[28:29], -v[20:21]
	v_add_f64 v[2:3], v[2:3], 0
	v_fmac_f64_e32 v[40:41], v[8:9], v[28:29]
	s_waitcnt vmcnt(6)
	v_fma_f64 v[6:7], v[10:11], v[30:31], -v[22:23]
	v_add_f64 v[10:11], v[38:39], 0
	v_add_f64 v[2:3], v[2:3], v[4:5]
	v_fmac_f64_e32 v[42:43], v[12:13], v[30:31]
	s_waitcnt vmcnt(4)
	v_fma_f64 v[8:9], v[14:15], v[32:33], -v[24:25]
	v_add_f64 v[10:11], v[10:11], v[40:41]
	v_add_f64 v[2:3], v[2:3], v[6:7]
	v_fmac_f64_e32 v[44:45], v[16:17], v[32:33]
	v_add_f64 v[4:5], v[10:11], v[42:43]
	v_add_f64 v[2:3], v[2:3], v[8:9]
	;; [unrolled: 1-line block ×3, first 2 shown]
	s_waitcnt vmcnt(2)
	v_add_f64 v[2:3], v[34:35], -v[2:3]
	s_waitcnt vmcnt(0)
	v_add_f64 v[4:5], v[36:37], -v[4:5]
	buffer_store_dword v2, off, s[0:3], 0 offset:688
	buffer_store_dword v3, off, s[0:3], 0 offset:692
	;; [unrolled: 1-line block ×4, first 2 shown]
	s_and_saveexec_b64 s[4:5], vcc
	s_cbranch_execz .LBB46_213
; %bb.212:
	v_accvgpr_read_b32 v0, a99
	buffer_load_dword v2, v0, s[0:3], 0 offen
	buffer_load_dword v3, v0, s[0:3], 0 offen offset:4
	buffer_load_dword v4, v0, s[0:3], 0 offen offset:8
	;; [unrolled: 1-line block ×3, first 2 shown]
	v_mov_b32_e32 v0, 0
	v_accvgpr_read_b32 v1, a141
	buffer_store_dword v0, off, s[0:3], 0 offset:672
	buffer_store_dword v0, off, s[0:3], 0 offset:676
	;; [unrolled: 1-line block ×4, first 2 shown]
	s_waitcnt vmcnt(4)
	ds_write_b128 v1, v[2:5]
.LBB46_213:
	s_or_b64 exec, exec, s[4:5]
	s_waitcnt lgkmcnt(0)
	; wave barrier
	s_waitcnt lgkmcnt(0)
	buffer_load_dword v22, off, s[0:3], 0 offset:696
	buffer_load_dword v23, off, s[0:3], 0 offset:700
	;; [unrolled: 1-line block ×24, first 2 shown]
	v_mov_b32_e32 v1, 0
	ds_read_b128 v[2:5], v1 offset:1424
	ds_read_b128 v[6:9], v1 offset:1440
	;; [unrolled: 1-line block ×5, first 2 shown]
	v_cmp_lt_u32_e32 vcc, 40, v254
	s_waitcnt vmcnt(22) lgkmcnt(4)
	v_mul_f64 v[46:47], v[2:3], v[22:23]
	v_mul_f64 v[22:23], v[4:5], v[22:23]
	s_waitcnt vmcnt(20) lgkmcnt(3)
	v_mul_f64 v[48:49], v[6:7], v[24:25]
	v_mul_f64 v[24:25], v[8:9], v[24:25]
	;; [unrolled: 3-line block ×4, first 2 shown]
	s_waitcnt vmcnt(13) lgkmcnt(0)
	v_mul_f64 v[54:55], v[18:19], v[28:29]
	s_waitcnt vmcnt(11)
	v_fma_f64 v[2:3], v[2:3], v[34:35], -v[22:23]
	v_fmac_f64_e32 v[46:47], v[4:5], v[34:35]
	s_waitcnt vmcnt(9)
	v_fma_f64 v[4:5], v[6:7], v[36:37], -v[24:25]
	v_add_f64 v[2:3], v[2:3], 0
	v_fmac_f64_e32 v[48:49], v[8:9], v[36:37]
	s_waitcnt vmcnt(7)
	v_fmac_f64_e32 v[50:51], v[12:13], v[38:39]
	v_fma_f64 v[6:7], v[10:11], v[38:39], -v[26:27]
	v_add_f64 v[12:13], v[46:47], 0
	v_add_f64 v[2:3], v[2:3], v[4:5]
	v_mul_f64 v[28:29], v[20:21], v[28:29]
	s_waitcnt vmcnt(5)
	v_fma_f64 v[8:9], v[14:15], v[40:41], -v[32:33]
	v_add_f64 v[12:13], v[12:13], v[48:49]
	v_add_f64 v[2:3], v[2:3], v[6:7]
	v_fmac_f64_e32 v[52:53], v[16:17], v[40:41]
	s_waitcnt vmcnt(4)
	v_fma_f64 v[10:11], v[18:19], v[30:31], -v[28:29]
	v_add_f64 v[4:5], v[12:13], v[50:51]
	v_add_f64 v[2:3], v[2:3], v[8:9]
	v_fmac_f64_e32 v[54:55], v[20:21], v[30:31]
	v_add_f64 v[4:5], v[4:5], v[52:53]
	v_add_f64 v[2:3], v[2:3], v[10:11]
	;; [unrolled: 1-line block ×3, first 2 shown]
	s_waitcnt vmcnt(2)
	v_add_f64 v[2:3], v[42:43], -v[2:3]
	s_waitcnt vmcnt(0)
	v_add_f64 v[4:5], v[44:45], -v[4:5]
	buffer_store_dword v3, off, s[0:3], 0 offset:676
	buffer_store_dword v2, off, s[0:3], 0 offset:672
	;; [unrolled: 1-line block ×4, first 2 shown]
	s_and_saveexec_b64 s[4:5], vcc
	s_cbranch_execz .LBB46_215
; %bb.214:
	v_accvgpr_read_b32 v0, a100
	buffer_load_dword v2, v0, s[0:3], 0 offen
	buffer_load_dword v3, v0, s[0:3], 0 offen offset:4
	buffer_load_dword v4, v0, s[0:3], 0 offen offset:8
	;; [unrolled: 1-line block ×3, first 2 shown]
	v_accvgpr_read_b32 v0, a141
	buffer_store_dword v1, off, s[0:3], 0 offset:656
	buffer_store_dword v1, off, s[0:3], 0 offset:660
	;; [unrolled: 1-line block ×4, first 2 shown]
	s_waitcnt vmcnt(4)
	ds_write_b128 v0, v[2:5]
.LBB46_215:
	s_or_b64 exec, exec, s[4:5]
	s_waitcnt lgkmcnt(0)
	; wave barrier
	s_waitcnt lgkmcnt(0)
	buffer_load_dword v26, off, s[0:3], 0 offset:680
	buffer_load_dword v27, off, s[0:3], 0 offset:684
	;; [unrolled: 1-line block ×28, first 2 shown]
	ds_read_b128 v[2:5], v1 offset:1408
	ds_read_b128 v[6:9], v1 offset:1424
	;; [unrolled: 1-line block ×6, first 2 shown]
	v_cmp_lt_u32_e32 vcc, 39, v254
	s_waitcnt vmcnt(26) lgkmcnt(5)
	v_mul_f64 v[54:55], v[2:3], v[26:27]
	v_mul_f64 v[26:27], v[4:5], v[26:27]
	s_waitcnt vmcnt(24) lgkmcnt(4)
	v_mul_f64 v[56:57], v[6:7], v[28:29]
	v_mul_f64 v[28:29], v[8:9], v[28:29]
	;; [unrolled: 3-line block ×4, first 2 shown]
	s_waitcnt vmcnt(17)
	v_mul_f64 v[60:61], v[14:15], v[36:37]
	v_mul_f64 v[36:37], v[16:17], v[36:37]
	s_waitcnt vmcnt(15) lgkmcnt(0)
	v_mul_f64 v[64:65], v[22:23], v[38:39]
	v_mul_f64 v[38:39], v[24:25], v[38:39]
	s_waitcnt vmcnt(14)
	v_fmac_f64_e32 v[62:63], v[20:21], v[34:35]
	s_waitcnt vmcnt(12)
	v_fma_f64 v[2:3], v[2:3], v[40:41], -v[26:27]
	v_fmac_f64_e32 v[54:55], v[4:5], v[40:41]
	s_waitcnt vmcnt(10)
	v_fma_f64 v[4:5], v[6:7], v[42:43], -v[28:29]
	v_add_f64 v[2:3], v[2:3], 0
	v_fmac_f64_e32 v[56:57], v[8:9], v[42:43]
	s_waitcnt vmcnt(8)
	v_fma_f64 v[6:7], v[10:11], v[44:45], -v[30:31]
	s_waitcnt vmcnt(6)
	v_fma_f64 v[8:9], v[14:15], v[46:47], -v[36:37]
	v_add_f64 v[14:15], v[54:55], 0
	v_add_f64 v[2:3], v[2:3], v[4:5]
	v_fmac_f64_e32 v[58:59], v[12:13], v[44:45]
	v_add_f64 v[14:15], v[14:15], v[56:57]
	v_add_f64 v[2:3], v[2:3], v[6:7]
	v_fmac_f64_e32 v[60:61], v[16:17], v[46:47]
	v_fma_f64 v[10:11], v[18:19], v[34:35], -v[32:33]
	v_add_f64 v[4:5], v[14:15], v[58:59]
	v_add_f64 v[2:3], v[2:3], v[8:9]
	s_waitcnt vmcnt(4)
	v_fma_f64 v[12:13], v[22:23], v[48:49], -v[38:39]
	v_add_f64 v[4:5], v[4:5], v[60:61]
	v_add_f64 v[2:3], v[2:3], v[10:11]
	v_fmac_f64_e32 v[64:65], v[24:25], v[48:49]
	v_add_f64 v[4:5], v[4:5], v[62:63]
	v_add_f64 v[2:3], v[2:3], v[12:13]
	v_add_f64 v[4:5], v[4:5], v[64:65]
	s_waitcnt vmcnt(2)
	v_add_f64 v[2:3], v[50:51], -v[2:3]
	s_waitcnt vmcnt(0)
	v_add_f64 v[4:5], v[52:53], -v[4:5]
	buffer_store_dword v3, off, s[0:3], 0 offset:660
	buffer_store_dword v2, off, s[0:3], 0 offset:656
	;; [unrolled: 1-line block ×4, first 2 shown]
	s_and_saveexec_b64 s[4:5], vcc
	s_cbranch_execz .LBB46_217
; %bb.216:
	v_accvgpr_read_b32 v0, a101
	buffer_load_dword v2, v0, s[0:3], 0 offen
	buffer_load_dword v3, v0, s[0:3], 0 offen offset:4
	buffer_load_dword v4, v0, s[0:3], 0 offen offset:8
	;; [unrolled: 1-line block ×3, first 2 shown]
	v_mov_b32_e32 v0, 0
	v_accvgpr_read_b32 v1, a141
	buffer_store_dword v0, off, s[0:3], 0 offset:640
	buffer_store_dword v0, off, s[0:3], 0 offset:644
	;; [unrolled: 1-line block ×4, first 2 shown]
	s_waitcnt vmcnt(4)
	ds_write_b128 v1, v[2:5]
.LBB46_217:
	s_or_b64 exec, exec, s[4:5]
	s_waitcnt lgkmcnt(0)
	; wave barrier
	s_waitcnt lgkmcnt(0)
	buffer_load_dword v30, off, s[0:3], 0 offset:664
	buffer_load_dword v31, off, s[0:3], 0 offset:668
	;; [unrolled: 1-line block ×32, first 2 shown]
	v_mov_b32_e32 v1, 0
	ds_read_b128 v[2:5], v1 offset:1392
	ds_read_b128 v[6:9], v1 offset:1408
	;; [unrolled: 1-line block ×7, first 2 shown]
	v_cmp_lt_u32_e32 vcc, 38, v254
	s_waitcnt vmcnt(30) lgkmcnt(6)
	v_mul_f64 v[62:63], v[2:3], v[30:31]
	v_mul_f64 v[30:31], v[4:5], v[30:31]
	s_waitcnt vmcnt(28) lgkmcnt(5)
	v_mul_f64 v[64:65], v[6:7], v[32:33]
	v_mul_f64 v[32:33], v[8:9], v[32:33]
	;; [unrolled: 3-line block ×4, first 2 shown]
	s_waitcnt vmcnt(21)
	v_mul_f64 v[68:69], v[14:15], v[40:41]
	v_mul_f64 v[40:41], v[16:17], v[40:41]
	s_waitcnt vmcnt(17) lgkmcnt(1)
	v_mul_f64 v[72:73], v[22:23], v[46:47]
	v_mul_f64 v[46:47], v[24:25], v[46:47]
	s_waitcnt vmcnt(16) lgkmcnt(0)
	v_mul_f64 v[74:75], v[26:27], v[42:43]
	v_mul_f64 v[42:43], v[28:29], v[42:43]
	s_waitcnt vmcnt(13)
	v_fma_f64 v[2:3], v[2:3], v[48:49], -v[30:31]
	v_fmac_f64_e32 v[62:63], v[4:5], v[48:49]
	s_waitcnt vmcnt(11)
	v_fma_f64 v[4:5], v[6:7], v[50:51], -v[32:33]
	v_add_f64 v[2:3], v[2:3], 0
	v_fmac_f64_e32 v[64:65], v[8:9], v[50:51]
	s_waitcnt vmcnt(9)
	v_fma_f64 v[6:7], v[10:11], v[52:53], -v[34:35]
	s_waitcnt vmcnt(7)
	v_fmac_f64_e32 v[68:69], v[16:17], v[54:55]
	v_add_f64 v[16:17], v[62:63], 0
	v_add_f64 v[2:3], v[2:3], v[4:5]
	v_fmac_f64_e32 v[66:67], v[12:13], v[52:53]
	v_fma_f64 v[8:9], v[14:15], v[54:55], -v[40:41]
	v_add_f64 v[16:17], v[16:17], v[64:65]
	v_add_f64 v[2:3], v[2:3], v[6:7]
	v_fma_f64 v[10:11], v[18:19], v[38:39], -v[36:37]
	v_add_f64 v[4:5], v[16:17], v[66:67]
	v_add_f64 v[2:3], v[2:3], v[8:9]
	v_fmac_f64_e32 v[70:71], v[20:21], v[38:39]
	s_waitcnt vmcnt(5)
	v_fma_f64 v[12:13], v[22:23], v[56:57], -v[46:47]
	v_add_f64 v[4:5], v[4:5], v[68:69]
	v_add_f64 v[2:3], v[2:3], v[10:11]
	v_fmac_f64_e32 v[72:73], v[24:25], v[56:57]
	s_waitcnt vmcnt(4)
	v_fma_f64 v[14:15], v[26:27], v[44:45], -v[42:43]
	v_add_f64 v[4:5], v[4:5], v[70:71]
	v_add_f64 v[2:3], v[2:3], v[12:13]
	v_fmac_f64_e32 v[74:75], v[28:29], v[44:45]
	v_add_f64 v[4:5], v[4:5], v[72:73]
	v_add_f64 v[2:3], v[2:3], v[14:15]
	;; [unrolled: 1-line block ×3, first 2 shown]
	s_waitcnt vmcnt(2)
	v_add_f64 v[2:3], v[58:59], -v[2:3]
	s_waitcnt vmcnt(0)
	v_add_f64 v[4:5], v[60:61], -v[4:5]
	buffer_store_dword v3, off, s[0:3], 0 offset:644
	buffer_store_dword v2, off, s[0:3], 0 offset:640
	buffer_store_dword v5, off, s[0:3], 0 offset:652
	buffer_store_dword v4, off, s[0:3], 0 offset:648
	s_and_saveexec_b64 s[4:5], vcc
	s_cbranch_execz .LBB46_219
; %bb.218:
	v_accvgpr_read_b32 v0, a102
	buffer_load_dword v2, v0, s[0:3], 0 offen
	buffer_load_dword v3, v0, s[0:3], 0 offen offset:4
	buffer_load_dword v4, v0, s[0:3], 0 offen offset:8
	;; [unrolled: 1-line block ×3, first 2 shown]
	v_accvgpr_read_b32 v0, a141
	buffer_store_dword v1, off, s[0:3], 0 offset:624
	buffer_store_dword v1, off, s[0:3], 0 offset:628
	;; [unrolled: 1-line block ×4, first 2 shown]
	s_waitcnt vmcnt(4)
	ds_write_b128 v0, v[2:5]
.LBB46_219:
	s_or_b64 exec, exec, s[4:5]
	s_waitcnt lgkmcnt(0)
	; wave barrier
	s_waitcnt lgkmcnt(0)
	buffer_load_dword v34, off, s[0:3], 0 offset:648
	buffer_load_dword v35, off, s[0:3], 0 offset:652
	;; [unrolled: 1-line block ×36, first 2 shown]
	ds_read_b128 v[2:5], v1 offset:1376
	ds_read_b128 v[6:9], v1 offset:1392
	;; [unrolled: 1-line block ×8, first 2 shown]
	v_cmp_lt_u32_e32 vcc, 37, v254
	s_waitcnt vmcnt(34) lgkmcnt(7)
	v_mul_f64 v[70:71], v[2:3], v[34:35]
	v_mul_f64 v[34:35], v[4:5], v[34:35]
	s_waitcnt vmcnt(32) lgkmcnt(6)
	v_mul_f64 v[72:73], v[6:7], v[36:37]
	v_mul_f64 v[36:37], v[8:9], v[36:37]
	;; [unrolled: 3-line block ×4, first 2 shown]
	s_waitcnt vmcnt(25)
	v_mul_f64 v[76:77], v[14:15], v[44:45]
	v_mul_f64 v[44:45], v[16:17], v[44:45]
	s_waitcnt vmcnt(23) lgkmcnt(1)
	v_mul_f64 v[82:83], v[26:27], v[46:47]
	v_mul_f64 v[46:47], v[28:29], v[46:47]
	s_waitcnt vmcnt(20)
	v_mul_f64 v[80:81], v[22:23], v[50:51]
	v_mul_f64 v[50:51], v[24:25], v[50:51]
	s_waitcnt vmcnt(18) lgkmcnt(0)
	v_mul_f64 v[84:85], v[30:31], v[52:53]
	s_waitcnt vmcnt(17)
	v_fmac_f64_e32 v[78:79], v[20:21], v[42:43]
	s_waitcnt vmcnt(16)
	v_fmac_f64_e32 v[82:83], v[28:29], v[48:49]
	s_waitcnt vmcnt(14)
	v_fma_f64 v[2:3], v[2:3], v[54:55], -v[34:35]
	v_fmac_f64_e32 v[70:71], v[4:5], v[54:55]
	s_waitcnt vmcnt(12)
	v_fma_f64 v[4:5], v[6:7], v[56:57], -v[36:37]
	v_add_f64 v[2:3], v[2:3], 0
	v_fmac_f64_e32 v[72:73], v[8:9], v[56:57]
	s_waitcnt vmcnt(10)
	v_fma_f64 v[6:7], v[10:11], v[58:59], -v[38:39]
	s_waitcnt vmcnt(8)
	v_fmac_f64_e32 v[76:77], v[16:17], v[60:61]
	v_add_f64 v[16:17], v[70:71], 0
	v_add_f64 v[2:3], v[2:3], v[4:5]
	v_fmac_f64_e32 v[74:75], v[12:13], v[58:59]
	v_fma_f64 v[8:9], v[14:15], v[60:61], -v[44:45]
	v_add_f64 v[16:17], v[16:17], v[72:73]
	v_add_f64 v[2:3], v[2:3], v[6:7]
	v_fma_f64 v[10:11], v[18:19], v[42:43], -v[40:41]
	v_add_f64 v[4:5], v[16:17], v[74:75]
	v_add_f64 v[2:3], v[2:3], v[8:9]
	s_waitcnt vmcnt(6)
	v_fma_f64 v[12:13], v[22:23], v[62:63], -v[50:51]
	v_add_f64 v[4:5], v[4:5], v[76:77]
	v_add_f64 v[2:3], v[2:3], v[10:11]
	v_fmac_f64_e32 v[80:81], v[24:25], v[62:63]
	v_fma_f64 v[14:15], v[26:27], v[48:49], -v[46:47]
	v_add_f64 v[4:5], v[4:5], v[78:79]
	v_add_f64 v[2:3], v[2:3], v[12:13]
	v_mul_f64 v[6:7], v[32:33], v[52:53]
	v_add_f64 v[4:5], v[4:5], v[80:81]
	v_add_f64 v[2:3], v[2:3], v[14:15]
	s_waitcnt vmcnt(4)
	v_fma_f64 v[6:7], v[30:31], v[64:65], -v[6:7]
	v_fmac_f64_e32 v[84:85], v[32:33], v[64:65]
	v_add_f64 v[4:5], v[4:5], v[82:83]
	v_add_f64 v[2:3], v[2:3], v[6:7]
	;; [unrolled: 1-line block ×3, first 2 shown]
	s_waitcnt vmcnt(2)
	v_add_f64 v[2:3], v[66:67], -v[2:3]
	s_waitcnt vmcnt(0)
	v_add_f64 v[4:5], v[68:69], -v[4:5]
	buffer_store_dword v3, off, s[0:3], 0 offset:628
	buffer_store_dword v2, off, s[0:3], 0 offset:624
	;; [unrolled: 1-line block ×4, first 2 shown]
	s_and_saveexec_b64 s[4:5], vcc
	s_cbranch_execz .LBB46_221
; %bb.220:
	v_accvgpr_read_b32 v0, a103
	buffer_load_dword v2, v0, s[0:3], 0 offen
	buffer_load_dword v3, v0, s[0:3], 0 offen offset:4
	buffer_load_dword v4, v0, s[0:3], 0 offen offset:8
	;; [unrolled: 1-line block ×3, first 2 shown]
	v_mov_b32_e32 v0, 0
	v_accvgpr_read_b32 v1, a141
	buffer_store_dword v0, off, s[0:3], 0 offset:608
	buffer_store_dword v0, off, s[0:3], 0 offset:612
	;; [unrolled: 1-line block ×4, first 2 shown]
	s_waitcnt vmcnt(4)
	ds_write_b128 v1, v[2:5]
.LBB46_221:
	s_or_b64 exec, exec, s[4:5]
	s_waitcnt lgkmcnt(0)
	; wave barrier
	s_waitcnt lgkmcnt(0)
	buffer_load_dword v38, off, s[0:3], 0 offset:632
	buffer_load_dword v39, off, s[0:3], 0 offset:636
	;; [unrolled: 1-line block ×40, first 2 shown]
	v_mov_b32_e32 v1, 0
	ds_read_b128 v[2:5], v1 offset:1360
	ds_read_b128 v[6:9], v1 offset:1376
	;; [unrolled: 1-line block ×9, first 2 shown]
	v_cmp_lt_u32_e32 vcc, 36, v254
	s_waitcnt vmcnt(38) lgkmcnt(8)
	v_mul_f64 v[78:79], v[2:3], v[38:39]
	v_mul_f64 v[38:39], v[4:5], v[38:39]
	s_waitcnt vmcnt(36) lgkmcnt(7)
	v_mul_f64 v[80:81], v[6:7], v[40:41]
	v_mul_f64 v[40:41], v[8:9], v[40:41]
	;; [unrolled: 3-line block ×3, first 2 shown]
	s_waitcnt vmcnt(32) lgkmcnt(4)
	v_mul_f64 v[86:87], v[18:19], v[44:45]
	s_waitcnt vmcnt(30)
	v_fmac_f64_e32 v[86:87], v[20:21], v[46:47]
	s_waitcnt vmcnt(28)
	v_mul_f64 v[84:85], v[14:15], v[48:49]
	v_mul_f64 v[48:49], v[16:17], v[48:49]
	s_waitcnt vmcnt(26) lgkmcnt(2)
	v_mul_f64 v[90:91], v[26:27], v[50:51]
	s_waitcnt vmcnt(24)
	v_fmac_f64_e32 v[90:91], v[28:29], v[52:53]
	s_waitcnt vmcnt(22)
	v_mul_f64 v[88:89], v[22:23], v[54:55]
	s_waitcnt vmcnt(18) lgkmcnt(1)
	v_mul_f64 v[92:93], v[30:31], v[60:61]
	s_waitcnt vmcnt(17) lgkmcnt(0)
	v_mul_f64 v[94:95], v[34:35], v[56:57]
	s_waitcnt vmcnt(15)
	v_fma_f64 v[2:3], v[2:3], v[62:63], -v[38:39]
	v_fmac_f64_e32 v[78:79], v[4:5], v[62:63]
	s_waitcnt vmcnt(13)
	v_fma_f64 v[4:5], v[6:7], v[64:65], -v[40:41]
	v_add_f64 v[2:3], v[2:3], 0
	s_waitcnt vmcnt(11)
	v_fma_f64 v[6:7], v[10:11], v[66:67], -v[42:43]
	v_add_f64 v[2:3], v[2:3], v[4:5]
	v_fmac_f64_e32 v[80:81], v[8:9], v[64:65]
	s_waitcnt vmcnt(9)
	v_fma_f64 v[8:9], v[14:15], v[68:69], -v[48:49]
	v_add_f64 v[2:3], v[2:3], v[6:7]
	v_mul_f64 v[6:7], v[20:21], v[44:45]
	v_add_f64 v[2:3], v[2:3], v[8:9]
	v_fma_f64 v[6:7], v[18:19], v[46:47], -v[6:7]
	v_add_f64 v[2:3], v[2:3], v[6:7]
	v_mul_f64 v[6:7], v[24:25], v[54:55]
	v_add_f64 v[10:11], v[78:79], 0
	s_waitcnt vmcnt(7)
	v_fma_f64 v[6:7], v[22:23], v[70:71], -v[6:7]
	v_fmac_f64_e32 v[82:83], v[12:13], v[66:67]
	v_add_f64 v[10:11], v[10:11], v[80:81]
	v_add_f64 v[2:3], v[2:3], v[6:7]
	v_mul_f64 v[6:7], v[28:29], v[50:51]
	v_fmac_f64_e32 v[84:85], v[16:17], v[68:69]
	v_add_f64 v[4:5], v[10:11], v[82:83]
	v_fma_f64 v[6:7], v[26:27], v[52:53], -v[6:7]
	v_add_f64 v[4:5], v[4:5], v[84:85]
	v_add_f64 v[2:3], v[2:3], v[6:7]
	v_mul_f64 v[6:7], v[32:33], v[60:61]
	v_fmac_f64_e32 v[88:89], v[24:25], v[70:71]
	v_add_f64 v[4:5], v[4:5], v[86:87]
	s_waitcnt vmcnt(5)
	v_fma_f64 v[6:7], v[30:31], v[72:73], -v[6:7]
	v_add_f64 v[4:5], v[4:5], v[88:89]
	v_add_f64 v[2:3], v[2:3], v[6:7]
	v_mul_f64 v[6:7], v[36:37], v[56:57]
	v_fmac_f64_e32 v[92:93], v[32:33], v[72:73]
	v_add_f64 v[4:5], v[4:5], v[90:91]
	s_waitcnt vmcnt(4)
	v_fma_f64 v[6:7], v[34:35], v[58:59], -v[6:7]
	v_fmac_f64_e32 v[94:95], v[36:37], v[58:59]
	v_add_f64 v[4:5], v[4:5], v[92:93]
	v_add_f64 v[2:3], v[2:3], v[6:7]
	;; [unrolled: 1-line block ×3, first 2 shown]
	s_waitcnt vmcnt(2)
	v_add_f64 v[2:3], v[74:75], -v[2:3]
	s_waitcnt vmcnt(0)
	v_add_f64 v[4:5], v[76:77], -v[4:5]
	buffer_store_dword v3, off, s[0:3], 0 offset:612
	buffer_store_dword v2, off, s[0:3], 0 offset:608
	buffer_store_dword v5, off, s[0:3], 0 offset:620
	buffer_store_dword v4, off, s[0:3], 0 offset:616
	s_and_saveexec_b64 s[4:5], vcc
	s_cbranch_execz .LBB46_223
; %bb.222:
	v_accvgpr_read_b32 v0, a104
	buffer_load_dword v2, v0, s[0:3], 0 offen
	buffer_load_dword v3, v0, s[0:3], 0 offen offset:4
	buffer_load_dword v4, v0, s[0:3], 0 offen offset:8
	;; [unrolled: 1-line block ×3, first 2 shown]
	v_accvgpr_read_b32 v0, a141
	buffer_store_dword v1, off, s[0:3], 0 offset:592
	buffer_store_dword v1, off, s[0:3], 0 offset:596
	;; [unrolled: 1-line block ×4, first 2 shown]
	s_waitcnt vmcnt(4)
	ds_write_b128 v0, v[2:5]
.LBB46_223:
	s_or_b64 exec, exec, s[4:5]
	s_waitcnt lgkmcnt(0)
	; wave barrier
	s_waitcnt lgkmcnt(0)
	buffer_load_dword v4, off, s[0:3], 0 offset:608
	buffer_load_dword v5, off, s[0:3], 0 offset:612
	;; [unrolled: 1-line block ×44, first 2 shown]
	ds_read_b128 v[6:9], v1 offset:1344
	ds_read_b128 v[10:13], v1 offset:1360
	;; [unrolled: 1-line block ×10, first 2 shown]
	v_cmp_lt_u32_e32 vcc, 35, v254
	s_waitcnt vmcnt(40) lgkmcnt(9)
	v_mul_f64 v[86:87], v[6:7], v[46:47]
	v_mul_f64 v[46:47], v[8:9], v[46:47]
	s_waitcnt vmcnt(38) lgkmcnt(8)
	v_mul_f64 v[88:89], v[10:11], v[48:49]
	v_mul_f64 v[48:49], v[12:13], v[48:49]
	v_fmac_f64_e32 v[86:87], v[8:9], v[4:5]
	v_fma_f64 v[4:5], v[6:7], v[4:5], -v[46:47]
	s_waitcnt vmcnt(36) lgkmcnt(7)
	v_mul_f64 v[90:91], v[14:15], v[2:3]
	v_add_f64 v[4:5], v[4:5], 0
	v_mul_f64 v[2:3], v[16:17], v[2:3]
	v_add_f64 v[8:9], v[86:87], 0
	s_waitcnt vmcnt(30) lgkmcnt(6)
	v_mul_f64 v[92:93], v[18:19], v[54:55]
	s_waitcnt lgkmcnt(5)
	v_mul_f64 v[94:95], v[22:23], v[50:51]
	v_fmac_f64_e32 v[94:95], v[24:25], v[52:53]
	s_waitcnt vmcnt(28) lgkmcnt(3)
	v_mul_f64 v[98:99], v[30:31], v[56:57]
	s_waitcnt vmcnt(26)
	v_fmac_f64_e32 v[98:99], v[32:33], v[58:59]
	s_waitcnt vmcnt(24)
	v_mul_f64 v[96:97], v[26:27], v[60:61]
	s_waitcnt vmcnt(22) lgkmcnt(1)
	v_mul_f64 v[102:103], v[38:39], v[62:63]
	s_waitcnt vmcnt(20)
	v_fmac_f64_e32 v[102:103], v[40:41], v[64:65]
	s_waitcnt vmcnt(18)
	v_mul_f64 v[100:101], v[34:35], v[66:67]
	s_waitcnt vmcnt(16) lgkmcnt(0)
	v_mul_f64 v[104:105], v[42:43], v[68:69]
	s_waitcnt vmcnt(14)
	v_fma_f64 v[6:7], v[10:11], v[70:71], -v[48:49]
	v_add_f64 v[4:5], v[4:5], v[6:7]
	s_waitcnt vmcnt(12)
	v_fma_f64 v[2:3], v[14:15], v[72:73], -v[2:3]
	v_add_f64 v[2:3], v[4:5], v[2:3]
	v_mul_f64 v[4:5], v[20:21], v[54:55]
	s_waitcnt vmcnt(10)
	v_fma_f64 v[4:5], v[18:19], v[74:75], -v[4:5]
	v_add_f64 v[2:3], v[2:3], v[4:5]
	v_mul_f64 v[4:5], v[24:25], v[50:51]
	v_fma_f64 v[4:5], v[22:23], v[52:53], -v[4:5]
	v_add_f64 v[2:3], v[2:3], v[4:5]
	v_mul_f64 v[4:5], v[28:29], v[60:61]
	s_waitcnt vmcnt(8)
	v_fma_f64 v[4:5], v[26:27], v[76:77], -v[4:5]
	v_fmac_f64_e32 v[88:89], v[12:13], v[70:71]
	v_add_f64 v[2:3], v[2:3], v[4:5]
	v_mul_f64 v[4:5], v[32:33], v[56:57]
	v_fmac_f64_e32 v[90:91], v[16:17], v[72:73]
	v_add_f64 v[8:9], v[8:9], v[88:89]
	v_fma_f64 v[4:5], v[30:31], v[58:59], -v[4:5]
	v_fmac_f64_e32 v[92:93], v[20:21], v[74:75]
	v_add_f64 v[6:7], v[8:9], v[90:91]
	v_add_f64 v[2:3], v[2:3], v[4:5]
	v_mul_f64 v[4:5], v[36:37], v[66:67]
	v_add_f64 v[6:7], v[6:7], v[92:93]
	s_waitcnt vmcnt(6)
	v_fma_f64 v[4:5], v[34:35], v[78:79], -v[4:5]
	v_fmac_f64_e32 v[96:97], v[28:29], v[76:77]
	v_add_f64 v[6:7], v[6:7], v[94:95]
	v_add_f64 v[2:3], v[2:3], v[4:5]
	v_mul_f64 v[4:5], v[40:41], v[62:63]
	v_add_f64 v[6:7], v[6:7], v[96:97]
	v_fma_f64 v[4:5], v[38:39], v[64:65], -v[4:5]
	v_fmac_f64_e32 v[100:101], v[36:37], v[78:79]
	v_add_f64 v[6:7], v[6:7], v[98:99]
	v_add_f64 v[2:3], v[2:3], v[4:5]
	v_mul_f64 v[4:5], v[44:45], v[68:69]
	v_add_f64 v[6:7], v[6:7], v[100:101]
	s_waitcnt vmcnt(4)
	v_fma_f64 v[4:5], v[42:43], v[80:81], -v[4:5]
	v_fmac_f64_e32 v[104:105], v[44:45], v[80:81]
	v_add_f64 v[6:7], v[6:7], v[102:103]
	v_add_f64 v[2:3], v[2:3], v[4:5]
	;; [unrolled: 1-line block ×3, first 2 shown]
	s_waitcnt vmcnt(2)
	v_add_f64 v[2:3], v[82:83], -v[2:3]
	s_waitcnt vmcnt(0)
	v_add_f64 v[4:5], v[84:85], -v[6:7]
	buffer_store_dword v3, off, s[0:3], 0 offset:596
	buffer_store_dword v2, off, s[0:3], 0 offset:592
	;; [unrolled: 1-line block ×4, first 2 shown]
	s_and_saveexec_b64 s[4:5], vcc
	s_cbranch_execz .LBB46_225
; %bb.224:
	v_accvgpr_read_b32 v0, a105
	buffer_load_dword v2, v0, s[0:3], 0 offen
	buffer_load_dword v3, v0, s[0:3], 0 offen offset:4
	buffer_load_dword v4, v0, s[0:3], 0 offen offset:8
	;; [unrolled: 1-line block ×3, first 2 shown]
	v_mov_b32_e32 v0, 0
	v_accvgpr_read_b32 v1, a141
	buffer_store_dword v0, off, s[0:3], 0 offset:576
	buffer_store_dword v0, off, s[0:3], 0 offset:580
	;; [unrolled: 1-line block ×4, first 2 shown]
	s_waitcnt vmcnt(4)
	ds_write_b128 v1, v[2:5]
.LBB46_225:
	s_or_b64 exec, exec, s[4:5]
	v_mov_b32_e32 v1, 0
	s_waitcnt lgkmcnt(0)
	; wave barrier
	s_waitcnt lgkmcnt(0)
	ds_read_b128 v[14:17], v1 offset:1328
	ds_read_b128 v[10:13], v1 offset:1344
	;; [unrolled: 1-line block ×4, first 2 shown]
	buffer_load_dword v48, off, s[0:3], 0 offset:576
	buffer_load_dword v49, off, s[0:3], 0 offset:580
	;; [unrolled: 1-line block ×20, first 2 shown]
	v_cmp_lt_u32_e32 vcc, 34, v254
	s_waitcnt vmcnt(12) lgkmcnt(3)
	v_mul_f64 v[18:19], v[14:15], v[56:57]
	v_fmac_f64_e32 v[18:19], v[16:17], v[50:51]
	v_add_f64 v[18:19], v[18:19], 0
	v_mul_f64 v[16:17], v[16:17], v[56:57]
	s_waitcnt vmcnt(8) lgkmcnt(2)
	v_mul_f64 v[20:21], v[10:11], v[58:59]
	v_fmac_f64_e32 v[20:21], v[12:13], v[52:53]
	v_add_f64 v[18:19], v[18:19], v[20:21]
	v_fma_f64 v[14:15], v[14:15], v[50:51], -v[16:17]
	s_waitcnt vmcnt(4) lgkmcnt(1)
	v_mul_f64 v[20:21], v[6:7], v[60:61]
	v_fmac_f64_e32 v[20:21], v[8:9], v[54:55]
	v_add_f64 v[18:19], v[18:19], v[20:21]
	s_waitcnt vmcnt(0) lgkmcnt(0)
	v_mul_f64 v[20:21], v[2:3], v[64:65]
	v_fmac_f64_e32 v[20:21], v[4:5], v[62:63]
	v_add_f64 v[22:23], v[18:19], v[20:21]
	ds_read_b128 v[18:21], v1 offset:1392
	buffer_load_dword v67, off, s[0:3], 0 offset:660
	buffer_load_dword v66, off, s[0:3], 0 offset:656
	;; [unrolled: 1-line block ×4, first 2 shown]
	v_mul_f64 v[12:13], v[12:13], v[58:59]
	v_add_f64 v[14:15], v[14:15], 0
	v_fma_f64 v[10:11], v[10:11], v[52:53], -v[12:13]
	v_mul_f64 v[8:9], v[8:9], v[60:61]
	v_add_f64 v[10:11], v[14:15], v[10:11]
	v_fma_f64 v[6:7], v[6:7], v[54:55], -v[8:9]
	;; [unrolled: 3-line block ×3, first 2 shown]
	v_add_f64 v[2:3], v[6:7], v[2:3]
	s_waitcnt vmcnt(0) lgkmcnt(0)
	v_mul_f64 v[24:25], v[18:19], v[68:69]
	v_fmac_f64_e32 v[24:25], v[20:21], v[66:67]
	v_add_f64 v[26:27], v[22:23], v[24:25]
	ds_read_b128 v[22:25], v1 offset:1408
	buffer_load_dword v71, off, s[0:3], 0 offset:676
	buffer_load_dword v70, off, s[0:3], 0 offset:672
	buffer_load_dword v73, off, s[0:3], 0 offset:684
	buffer_load_dword v72, off, s[0:3], 0 offset:680
	v_mul_f64 v[4:5], v[20:21], v[68:69]
	v_fma_f64 v[4:5], v[18:19], v[66:67], -v[4:5]
	v_add_f64 v[2:3], v[2:3], v[4:5]
	s_waitcnt vmcnt(0) lgkmcnt(0)
	v_mul_f64 v[28:29], v[22:23], v[72:73]
	v_fmac_f64_e32 v[28:29], v[24:25], v[70:71]
	v_add_f64 v[30:31], v[26:27], v[28:29]
	ds_read_b128 v[26:29], v1 offset:1424
	buffer_load_dword v75, off, s[0:3], 0 offset:692
	buffer_load_dword v74, off, s[0:3], 0 offset:688
	buffer_load_dword v77, off, s[0:3], 0 offset:700
	buffer_load_dword v76, off, s[0:3], 0 offset:696
	v_mul_f64 v[4:5], v[24:25], v[72:73]
	v_fma_f64 v[4:5], v[22:23], v[70:71], -v[4:5]
	;; [unrolled: 12-line block ×6, first 2 shown]
	v_add_f64 v[2:3], v[2:3], v[4:5]
	s_waitcnt vmcnt(0) lgkmcnt(0)
	v_mul_f64 v[4:5], v[44:45], v[92:93]
	v_mul_f64 v[96:97], v[42:43], v[92:93]
	v_fma_f64 v[4:5], v[42:43], v[90:91], -v[4:5]
	v_fmac_f64_e32 v[96:97], v[44:45], v[90:91]
	v_add_f64 v[2:3], v[2:3], v[4:5]
	v_add_f64 v[94:95], v[94:95], v[96:97]
	v_add_f64 v[2:3], v[48:49], -v[2:3]
	v_add_f64 v[4:5], v[46:47], -v[94:95]
	buffer_store_dword v3, off, s[0:3], 0 offset:580
	buffer_store_dword v2, off, s[0:3], 0 offset:576
	;; [unrolled: 1-line block ×4, first 2 shown]
	s_and_saveexec_b64 s[4:5], vcc
	s_cbranch_execz .LBB46_227
; %bb.226:
	v_accvgpr_read_b32 v0, a106
	buffer_load_dword v2, v0, s[0:3], 0 offen
	buffer_load_dword v3, v0, s[0:3], 0 offen offset:4
	buffer_load_dword v4, v0, s[0:3], 0 offen offset:8
	buffer_load_dword v5, v0, s[0:3], 0 offen offset:12
	v_accvgpr_read_b32 v0, a141
	buffer_store_dword v1, off, s[0:3], 0 offset:560
	buffer_store_dword v1, off, s[0:3], 0 offset:564
	;; [unrolled: 1-line block ×4, first 2 shown]
	s_waitcnt vmcnt(4)
	ds_write_b128 v0, v[2:5]
.LBB46_227:
	s_or_b64 exec, exec, s[4:5]
	s_waitcnt lgkmcnt(0)
	; wave barrier
	s_waitcnt lgkmcnt(0)
	buffer_load_dword v2, off, s[0:3], 0 offset:576
	buffer_load_dword v3, off, s[0:3], 0 offset:580
	;; [unrolled: 1-line block ×52, first 2 shown]
	ds_read_b128 v[12:15], v1 offset:1312
	ds_read_b128 v[16:19], v1 offset:1328
	;; [unrolled: 1-line block ×10, first 2 shown]
	v_cmp_lt_u32_e32 vcc, 33, v254
	s_waitcnt vmcnt(48) lgkmcnt(9)
	v_mul_f64 v[52:53], v[12:13], v[6:7]
	v_mul_f64 v[6:7], v[14:15], v[6:7]
	v_fmac_f64_e32 v[52:53], v[14:15], v[2:3]
	v_fma_f64 v[2:3], v[12:13], v[2:3], -v[6:7]
	s_waitcnt vmcnt(44) lgkmcnt(8)
	v_mul_f64 v[54:55], v[16:17], v[8:9]
	v_mul_f64 v[6:7], v[18:19], v[8:9]
	v_fmac_f64_e32 v[54:55], v[18:19], v[4:5]
	v_add_f64 v[2:3], v[2:3], 0
	v_fma_f64 v[4:5], v[16:17], v[4:5], -v[6:7]
	v_add_f64 v[2:3], v[2:3], v[4:5]
	s_waitcnt vmcnt(42) lgkmcnt(7)
	v_mul_f64 v[4:5], v[22:23], v[10:11]
	v_mul_f64 v[56:57], v[20:21], v[10:11]
	v_add_f64 v[52:53], v[52:53], 0
	s_waitcnt vmcnt(36) lgkmcnt(6)
	v_mul_f64 v[58:59], v[24:25], v[64:65]
	v_add_f64 v[52:53], v[52:53], v[54:55]
	s_waitcnt lgkmcnt(5)
	v_mul_f64 v[102:103], v[28:29], v[60:61]
	v_fmac_f64_e32 v[102:103], v[30:31], v[62:63]
	s_waitcnt vmcnt(34) lgkmcnt(3)
	v_mul_f64 v[106:107], v[36:37], v[66:67]
	s_waitcnt vmcnt(30)
	v_mul_f64 v[104:105], v[32:33], v[70:71]
	v_fmac_f64_e32 v[106:107], v[38:39], v[68:69]
	s_waitcnt vmcnt(26) lgkmcnt(2)
	v_mul_f64 v[108:109], v[40:41], v[76:77]
	s_waitcnt vmcnt(25) lgkmcnt(1)
	v_mul_f64 v[110:111], v[44:45], v[72:73]
	s_waitcnt vmcnt(23)
	v_fma_f64 v[4:5], v[20:21], v[78:79], -v[4:5]
	v_add_f64 v[2:3], v[2:3], v[4:5]
	v_mul_f64 v[4:5], v[26:27], v[64:65]
	s_waitcnt vmcnt(21)
	v_fma_f64 v[4:5], v[24:25], v[80:81], -v[4:5]
	v_fmac_f64_e32 v[56:57], v[22:23], v[78:79]
	v_add_f64 v[2:3], v[2:3], v[4:5]
	v_mul_f64 v[4:5], v[30:31], v[60:61]
	v_fmac_f64_e32 v[58:59], v[26:27], v[80:81]
	v_add_f64 v[52:53], v[52:53], v[56:57]
	v_fma_f64 v[4:5], v[28:29], v[62:63], -v[4:5]
	v_add_f64 v[52:53], v[52:53], v[58:59]
	v_add_f64 v[2:3], v[2:3], v[4:5]
	v_mul_f64 v[4:5], v[34:35], v[70:71]
	s_waitcnt vmcnt(19)
	v_fmac_f64_e32 v[104:105], v[34:35], v[82:83]
	v_add_f64 v[52:53], v[52:53], v[102:103]
	v_fma_f64 v[4:5], v[32:33], v[82:83], -v[4:5]
	v_add_f64 v[52:53], v[52:53], v[104:105]
	v_add_f64 v[2:3], v[2:3], v[4:5]
	v_mul_f64 v[4:5], v[38:39], v[66:67]
	s_waitcnt vmcnt(17)
	v_fmac_f64_e32 v[108:109], v[42:43], v[84:85]
	v_add_f64 v[52:53], v[52:53], v[106:107]
	v_fma_f64 v[4:5], v[36:37], v[68:69], -v[4:5]
	s_waitcnt vmcnt(16)
	v_fmac_f64_e32 v[110:111], v[46:47], v[74:75]
	v_add_f64 v[52:53], v[52:53], v[108:109]
	v_add_f64 v[2:3], v[2:3], v[4:5]
	v_mul_f64 v[4:5], v[42:43], v[76:77]
	v_add_f64 v[102:103], v[52:53], v[110:111]
	ds_read_b128 v[52:55], v1 offset:1472
	ds_read_b128 v[56:59], v1 offset:1488
	v_fma_f64 v[4:5], v[40:41], v[84:85], -v[4:5]
	v_add_f64 v[2:3], v[2:3], v[4:5]
	v_mul_f64 v[4:5], v[46:47], v[72:73]
	v_fma_f64 v[4:5], v[44:45], v[74:75], -v[4:5]
	v_add_f64 v[2:3], v[2:3], v[4:5]
	s_waitcnt vmcnt(12) lgkmcnt(2)
	v_mul_f64 v[4:5], v[50:51], v[90:91]
	v_mul_f64 v[104:105], v[48:49], v[90:91]
	s_waitcnt vmcnt(10)
	v_fma_f64 v[4:5], v[48:49], v[92:93], -v[4:5]
	v_fmac_f64_e32 v[104:105], v[50:51], v[92:93]
	v_add_f64 v[2:3], v[2:3], v[4:5]
	s_waitcnt vmcnt(8) lgkmcnt(1)
	v_mul_f64 v[4:5], v[54:55], v[86:87]
	v_add_f64 v[102:103], v[102:103], v[104:105]
	v_mul_f64 v[104:105], v[52:53], v[86:87]
	v_fma_f64 v[4:5], v[52:53], v[88:89], -v[4:5]
	v_fmac_f64_e32 v[104:105], v[54:55], v[88:89]
	v_add_f64 v[2:3], v[2:3], v[4:5]
	s_waitcnt vmcnt(6) lgkmcnt(0)
	v_mul_f64 v[4:5], v[58:59], v[94:95]
	v_add_f64 v[102:103], v[102:103], v[104:105]
	v_mul_f64 v[104:105], v[56:57], v[94:95]
	s_waitcnt vmcnt(4)
	v_fma_f64 v[4:5], v[56:57], v[96:97], -v[4:5]
	v_fmac_f64_e32 v[104:105], v[58:59], v[96:97]
	v_add_f64 v[2:3], v[2:3], v[4:5]
	v_add_f64 v[102:103], v[102:103], v[104:105]
	s_waitcnt vmcnt(2)
	v_add_f64 v[2:3], v[98:99], -v[2:3]
	s_waitcnt vmcnt(0)
	v_add_f64 v[4:5], v[100:101], -v[102:103]
	buffer_store_dword v3, off, s[0:3], 0 offset:564
	buffer_store_dword v2, off, s[0:3], 0 offset:560
	;; [unrolled: 1-line block ×4, first 2 shown]
	s_and_saveexec_b64 s[4:5], vcc
	s_cbranch_execz .LBB46_229
; %bb.228:
	v_accvgpr_read_b32 v0, a107
	buffer_load_dword v2, v0, s[0:3], 0 offen
	buffer_load_dword v3, v0, s[0:3], 0 offen offset:4
	buffer_load_dword v4, v0, s[0:3], 0 offen offset:8
	;; [unrolled: 1-line block ×3, first 2 shown]
	v_mov_b32_e32 v0, 0
	v_accvgpr_read_b32 v1, a141
	buffer_store_dword v0, off, s[0:3], 0 offset:544
	buffer_store_dword v0, off, s[0:3], 0 offset:548
	;; [unrolled: 1-line block ×4, first 2 shown]
	s_waitcnt vmcnt(4)
	ds_write_b128 v1, v[2:5]
.LBB46_229:
	s_or_b64 exec, exec, s[4:5]
	s_waitcnt lgkmcnt(0)
	; wave barrier
	s_waitcnt lgkmcnt(0)
	buffer_load_dword v2, off, s[0:3], 0 offset:560
	buffer_load_dword v3, off, s[0:3], 0 offset:564
	;; [unrolled: 1-line block ×56, first 2 shown]
	v_mov_b32_e32 v1, 0
	ds_read_b128 v[30:33], v1 offset:1296
	ds_read_b128 v[34:37], v1 offset:1312
	;; [unrolled: 1-line block ×9, first 2 shown]
	v_cmp_lt_u32_e32 vcc, 32, v254
	s_waitcnt vmcnt(52) lgkmcnt(8)
	v_mul_f64 v[62:63], v[30:31], v[6:7]
	v_fmac_f64_e32 v[62:63], v[32:33], v[2:3]
	v_mul_f64 v[6:7], v[32:33], v[6:7]
	v_add_f64 v[62:63], v[62:63], 0
	s_waitcnt vmcnt(48) lgkmcnt(7)
	v_mul_f64 v[64:65], v[34:35], v[8:9]
	v_fmac_f64_e32 v[64:65], v[36:37], v[4:5]
	s_waitcnt vmcnt(46) lgkmcnt(6)
	v_mul_f64 v[66:67], v[38:39], v[10:11]
	v_fma_f64 v[2:3], v[30:31], v[2:3], -v[6:7]
	v_mul_f64 v[6:7], v[36:37], v[8:9]
	s_waitcnt vmcnt(44) lgkmcnt(5)
	v_mul_f64 v[68:69], v[42:43], v[12:13]
	v_add_f64 v[62:63], v[62:63], v[64:65]
	v_add_f64 v[2:3], v[2:3], 0
	v_fma_f64 v[4:5], v[34:35], v[4:5], -v[6:7]
	v_add_f64 v[2:3], v[2:3], v[4:5]
	v_mul_f64 v[4:5], v[40:41], v[10:11]
	s_waitcnt vmcnt(37) lgkmcnt(4)
	v_mul_f64 v[70:71], v[46:47], v[20:21]
	s_waitcnt lgkmcnt(3)
	v_mul_f64 v[72:73], v[50:51], v[18:19]
	s_waitcnt vmcnt(35)
	v_fmac_f64_e32 v[70:71], v[48:49], v[22:23]
	s_waitcnt lgkmcnt(2)
	v_mul_f64 v[74:75], v[54:55], v[14:15]
	s_waitcnt vmcnt(33)
	v_fmac_f64_e32 v[66:67], v[40:41], v[28:29]
	v_add_f64 v[62:63], v[62:63], v[66:67]
	s_waitcnt vmcnt(31)
	v_fmac_f64_e32 v[68:69], v[44:45], v[26:27]
	v_add_f64 v[62:63], v[62:63], v[68:69]
	v_fma_f64 v[4:5], v[38:39], v[28:29], -v[4:5]
	s_waitcnt vmcnt(29)
	v_fmac_f64_e32 v[72:73], v[52:53], v[24:25]
	v_add_f64 v[62:63], v[62:63], v[70:71]
	v_add_f64 v[2:3], v[2:3], v[4:5]
	v_mul_f64 v[4:5], v[44:45], v[12:13]
	s_waitcnt vmcnt(28)
	v_fmac_f64_e32 v[74:75], v[56:57], v[16:17]
	v_add_f64 v[62:63], v[62:63], v[72:73]
	v_fma_f64 v[4:5], v[42:43], v[26:27], -v[4:5]
	v_add_f64 v[66:67], v[62:63], v[74:75]
	ds_read_b128 v[62:65], v1 offset:1424
	s_waitcnt vmcnt(24) lgkmcnt(2)
	v_mul_f64 v[68:69], v[58:59], v[86:87]
	v_add_f64 v[2:3], v[2:3], v[4:5]
	v_mul_f64 v[4:5], v[48:49], v[20:21]
	s_waitcnt vmcnt(22)
	v_fmac_f64_e32 v[68:69], v[60:61], v[88:89]
	v_fma_f64 v[4:5], v[46:47], v[22:23], -v[4:5]
	v_add_f64 v[70:71], v[66:67], v[68:69]
	ds_read_b128 v[66:69], v1 offset:1440
	v_add_f64 v[2:3], v[2:3], v[4:5]
	v_mul_f64 v[4:5], v[52:53], v[18:19]
	v_fma_f64 v[4:5], v[50:51], v[24:25], -v[4:5]
	v_add_f64 v[2:3], v[2:3], v[4:5]
	v_mul_f64 v[4:5], v[56:57], v[14:15]
	s_waitcnt vmcnt(21) lgkmcnt(1)
	v_mul_f64 v[72:73], v[62:63], v[82:83]
	v_fma_f64 v[4:5], v[54:55], v[16:17], -v[4:5]
	s_waitcnt vmcnt(20)
	v_fmac_f64_e32 v[72:73], v[64:65], v[84:85]
	v_add_f64 v[2:3], v[2:3], v[4:5]
	v_mul_f64 v[4:5], v[60:61], v[86:87]
	v_add_f64 v[74:75], v[70:71], v[72:73]
	ds_read_b128 v[70:73], v1 offset:1456
	s_waitcnt vmcnt(16) lgkmcnt(1)
	v_mul_f64 v[76:77], v[66:67], v[94:95]
	v_fma_f64 v[4:5], v[58:59], v[88:89], -v[4:5]
	s_waitcnt vmcnt(14)
	v_fmac_f64_e32 v[76:77], v[68:69], v[96:97]
	v_add_f64 v[2:3], v[2:3], v[4:5]
	v_mul_f64 v[4:5], v[64:65], v[82:83]
	v_add_f64 v[110:111], v[74:75], v[76:77]
	ds_read_b128 v[74:77], v1 offset:1472
	v_fma_f64 v[4:5], v[62:63], v[84:85], -v[4:5]
	v_add_f64 v[2:3], v[2:3], v[4:5]
	v_mul_f64 v[4:5], v[68:69], v[94:95]
	v_fma_f64 v[4:5], v[66:67], v[96:97], -v[4:5]
	v_add_f64 v[2:3], v[2:3], v[4:5]
	s_waitcnt vmcnt(13) lgkmcnt(1)
	v_mul_f64 v[4:5], v[72:73], v[90:91]
	v_mul_f64 v[112:113], v[70:71], v[90:91]
	s_waitcnt vmcnt(12)
	v_fma_f64 v[4:5], v[70:71], v[92:93], -v[4:5]
	v_fmac_f64_e32 v[112:113], v[72:73], v[92:93]
	v_add_f64 v[2:3], v[2:3], v[4:5]
	s_waitcnt vmcnt(8) lgkmcnt(0)
	v_mul_f64 v[4:5], v[76:77], v[102:103]
	v_add_f64 v[110:111], v[110:111], v[112:113]
	v_mul_f64 v[112:113], v[74:75], v[102:103]
	s_waitcnt vmcnt(6)
	v_fma_f64 v[4:5], v[74:75], v[104:105], -v[4:5]
	v_fmac_f64_e32 v[112:113], v[76:77], v[104:105]
	v_add_f64 v[2:3], v[2:3], v[4:5]
	s_waitcnt vmcnt(5)
	v_mul_f64 v[4:5], v[80:81], v[98:99]
	v_add_f64 v[110:111], v[110:111], v[112:113]
	v_mul_f64 v[112:113], v[78:79], v[98:99]
	s_waitcnt vmcnt(4)
	v_fma_f64 v[4:5], v[78:79], v[100:101], -v[4:5]
	v_fmac_f64_e32 v[112:113], v[80:81], v[100:101]
	v_add_f64 v[2:3], v[2:3], v[4:5]
	v_add_f64 v[110:111], v[110:111], v[112:113]
	s_waitcnt vmcnt(2)
	v_add_f64 v[2:3], v[106:107], -v[2:3]
	s_waitcnt vmcnt(0)
	v_add_f64 v[4:5], v[108:109], -v[110:111]
	buffer_store_dword v3, off, s[0:3], 0 offset:548
	buffer_store_dword v2, off, s[0:3], 0 offset:544
	;; [unrolled: 1-line block ×4, first 2 shown]
	s_and_saveexec_b64 s[4:5], vcc
	s_cbranch_execz .LBB46_231
; %bb.230:
	v_accvgpr_read_b32 v0, a108
	buffer_load_dword v2, v0, s[0:3], 0 offen
	buffer_load_dword v3, v0, s[0:3], 0 offen offset:4
	buffer_load_dword v4, v0, s[0:3], 0 offen offset:8
	;; [unrolled: 1-line block ×3, first 2 shown]
	v_accvgpr_read_b32 v0, a141
	buffer_store_dword v1, off, s[0:3], 0 offset:528
	buffer_store_dword v1, off, s[0:3], 0 offset:532
	;; [unrolled: 1-line block ×4, first 2 shown]
	s_waitcnt vmcnt(4)
	ds_write_b128 v0, v[2:5]
.LBB46_231:
	s_or_b64 exec, exec, s[4:5]
	s_waitcnt lgkmcnt(0)
	; wave barrier
	s_waitcnt lgkmcnt(0)
	buffer_load_dword v2, off, s[0:3], 0 offset:544
	buffer_load_dword v3, off, s[0:3], 0 offset:548
	;; [unrolled: 1-line block ×60, first 2 shown]
	ds_read_b128 v[30:33], v1 offset:1280
	ds_read_b128 v[34:37], v1 offset:1296
	;; [unrolled: 1-line block ×8, first 2 shown]
	v_cmp_lt_u32_e32 vcc, 31, v254
	ds_read_b128 v[82:85], v1 offset:1488
	s_waitcnt vmcnt(56) lgkmcnt(8)
	v_mul_f64 v[62:63], v[30:31], v[6:7]
	v_fmac_f64_e32 v[62:63], v[32:33], v[2:3]
	v_add_f64 v[62:63], v[62:63], 0
	v_mul_f64 v[6:7], v[32:33], v[6:7]
	s_waitcnt vmcnt(52) lgkmcnt(7)
	v_mul_f64 v[64:65], v[34:35], v[8:9]
	v_fmac_f64_e32 v[64:65], v[36:37], v[4:5]
	s_waitcnt vmcnt(50) lgkmcnt(6)
	v_mul_f64 v[66:67], v[38:39], v[10:11]
	v_add_f64 v[62:63], v[62:63], v[64:65]
	s_waitcnt vmcnt(48) lgkmcnt(4)
	v_mul_f64 v[70:71], v[46:47], v[12:13]
	v_fma_f64 v[2:3], v[30:31], v[2:3], -v[6:7]
	s_waitcnt vmcnt(46)
	v_fmac_f64_e32 v[70:71], v[48:49], v[14:15]
	v_mul_f64 v[6:7], v[36:37], v[8:9]
	s_waitcnt vmcnt(44)
	v_mul_f64 v[68:69], v[42:43], v[16:17]
	v_add_f64 v[2:3], v[2:3], 0
	v_fma_f64 v[4:5], v[34:35], v[4:5], -v[6:7]
	v_add_f64 v[2:3], v[2:3], v[4:5]
	s_waitcnt vmcnt(40) lgkmcnt(3)
	v_mul_f64 v[72:73], v[50:51], v[22:23]
	v_mul_f64 v[4:5], v[40:41], v[10:11]
	s_waitcnt vmcnt(38)
	v_fmac_f64_e32 v[66:67], v[40:41], v[28:29]
	v_add_f64 v[62:63], v[62:63], v[66:67]
	s_waitcnt vmcnt(36)
	v_fmac_f64_e32 v[68:69], v[44:45], v[26:27]
	v_add_f64 v[62:63], v[62:63], v[68:69]
	;; [unrolled: 3-line block ×3, first 2 shown]
	s_waitcnt vmcnt(33) lgkmcnt(2)
	v_mul_f64 v[64:65], v[54:55], v[18:19]
	v_add_f64 v[62:63], v[62:63], v[72:73]
	s_waitcnt vmcnt(32)
	v_fmac_f64_e32 v[64:65], v[56:57], v[20:21]
	v_add_f64 v[66:67], v[62:63], v[64:65]
	ds_read_b128 v[62:65], v1 offset:1408
	v_fma_f64 v[4:5], v[38:39], v[28:29], -v[4:5]
	v_add_f64 v[2:3], v[2:3], v[4:5]
	v_mul_f64 v[4:5], v[44:45], v[16:17]
	v_fma_f64 v[4:5], v[42:43], v[26:27], -v[4:5]
	s_waitcnt vmcnt(28) lgkmcnt(2)
	v_mul_f64 v[68:69], v[58:59], v[90:91]
	v_add_f64 v[2:3], v[2:3], v[4:5]
	v_mul_f64 v[4:5], v[48:49], v[12:13]
	s_waitcnt vmcnt(26)
	v_fmac_f64_e32 v[68:69], v[60:61], v[92:93]
	v_fma_f64 v[4:5], v[46:47], v[14:15], -v[4:5]
	v_add_f64 v[70:71], v[66:67], v[68:69]
	ds_read_b128 v[66:69], v1 offset:1424
	s_waitcnt vmcnt(25) lgkmcnt(1)
	v_mul_f64 v[72:73], v[62:63], v[86:87]
	v_add_f64 v[2:3], v[2:3], v[4:5]
	v_mul_f64 v[4:5], v[52:53], v[22:23]
	s_waitcnt vmcnt(24)
	v_fmac_f64_e32 v[72:73], v[64:65], v[88:89]
	v_fma_f64 v[4:5], v[50:51], v[24:25], -v[4:5]
	v_add_f64 v[74:75], v[70:71], v[72:73]
	ds_read_b128 v[70:73], v1 offset:1440
	v_add_f64 v[2:3], v[2:3], v[4:5]
	v_mul_f64 v[4:5], v[56:57], v[18:19]
	v_fma_f64 v[4:5], v[54:55], v[20:21], -v[4:5]
	v_add_f64 v[2:3], v[2:3], v[4:5]
	v_mul_f64 v[4:5], v[60:61], v[90:91]
	s_waitcnt vmcnt(20) lgkmcnt(1)
	v_mul_f64 v[76:77], v[66:67], v[98:99]
	v_fma_f64 v[4:5], v[58:59], v[92:93], -v[4:5]
	s_waitcnt vmcnt(18)
	v_fmac_f64_e32 v[76:77], v[68:69], v[100:101]
	v_add_f64 v[2:3], v[2:3], v[4:5]
	v_mul_f64 v[4:5], v[64:65], v[86:87]
	v_add_f64 v[78:79], v[74:75], v[76:77]
	ds_read_b128 v[74:77], v1 offset:1456
	s_waitcnt vmcnt(17) lgkmcnt(1)
	v_mul_f64 v[80:81], v[70:71], v[94:95]
	v_fma_f64 v[4:5], v[62:63], v[88:89], -v[4:5]
	s_waitcnt vmcnt(16)
	v_fmac_f64_e32 v[80:81], v[72:73], v[96:97]
	v_add_f64 v[2:3], v[2:3], v[4:5]
	v_mul_f64 v[4:5], v[68:69], v[98:99]
	v_add_f64 v[118:119], v[78:79], v[80:81]
	ds_read_b128 v[78:81], v1 offset:1472
	v_fma_f64 v[4:5], v[66:67], v[100:101], -v[4:5]
	v_add_f64 v[2:3], v[2:3], v[4:5]
	v_mul_f64 v[4:5], v[72:73], v[94:95]
	v_fma_f64 v[4:5], v[70:71], v[96:97], -v[4:5]
	v_add_f64 v[2:3], v[2:3], v[4:5]
	s_waitcnt vmcnt(12) lgkmcnt(1)
	v_mul_f64 v[4:5], v[76:77], v[106:107]
	v_mul_f64 v[120:121], v[74:75], v[106:107]
	s_waitcnt vmcnt(10)
	v_fma_f64 v[4:5], v[74:75], v[108:109], -v[4:5]
	v_fmac_f64_e32 v[120:121], v[76:77], v[108:109]
	v_add_f64 v[2:3], v[2:3], v[4:5]
	s_waitcnt vmcnt(9) lgkmcnt(0)
	v_mul_f64 v[4:5], v[80:81], v[102:103]
	v_add_f64 v[118:119], v[118:119], v[120:121]
	v_mul_f64 v[120:121], v[78:79], v[102:103]
	s_waitcnt vmcnt(8)
	v_fma_f64 v[4:5], v[78:79], v[104:105], -v[4:5]
	v_fmac_f64_e32 v[120:121], v[80:81], v[104:105]
	v_add_f64 v[2:3], v[2:3], v[4:5]
	s_waitcnt vmcnt(6)
	v_mul_f64 v[4:5], v[84:85], v[110:111]
	v_add_f64 v[118:119], v[118:119], v[120:121]
	v_mul_f64 v[120:121], v[82:83], v[110:111]
	s_waitcnt vmcnt(4)
	v_fma_f64 v[4:5], v[82:83], v[112:113], -v[4:5]
	v_fmac_f64_e32 v[120:121], v[84:85], v[112:113]
	v_add_f64 v[2:3], v[2:3], v[4:5]
	v_add_f64 v[118:119], v[118:119], v[120:121]
	s_waitcnt vmcnt(2)
	v_add_f64 v[2:3], v[114:115], -v[2:3]
	s_waitcnt vmcnt(0)
	v_add_f64 v[4:5], v[116:117], -v[118:119]
	buffer_store_dword v3, off, s[0:3], 0 offset:532
	buffer_store_dword v2, off, s[0:3], 0 offset:528
	;; [unrolled: 1-line block ×4, first 2 shown]
	s_and_saveexec_b64 s[4:5], vcc
	s_cbranch_execz .LBB46_233
; %bb.232:
	v_accvgpr_read_b32 v0, a109
	buffer_load_dword v2, v0, s[0:3], 0 offen
	buffer_load_dword v3, v0, s[0:3], 0 offen offset:4
	buffer_load_dword v4, v0, s[0:3], 0 offen offset:8
	;; [unrolled: 1-line block ×3, first 2 shown]
	v_mov_b32_e32 v0, 0
	v_accvgpr_read_b32 v1, a141
	buffer_store_dword v0, off, s[0:3], 0 offset:512
	buffer_store_dword v0, off, s[0:3], 0 offset:516
	;; [unrolled: 1-line block ×4, first 2 shown]
	s_waitcnt vmcnt(4)
	ds_write_b128 v1, v[2:5]
.LBB46_233:
	s_or_b64 exec, exec, s[4:5]
	s_waitcnt lgkmcnt(0)
	; wave barrier
	s_waitcnt lgkmcnt(0)
	buffer_load_dword v2, off, s[0:3], 0 offset:528
	buffer_load_dword v3, off, s[0:3], 0 offset:532
	;; [unrolled: 1-line block ×64, first 2 shown]
	v_mov_b32_e32 v1, 0
	ds_read_b128 v[38:41], v1 offset:1264
	ds_read_b128 v[42:45], v1 offset:1280
	;; [unrolled: 1-line block ×7, first 2 shown]
	v_cmp_lt_u32_e32 vcc, 30, v254
	s_waitcnt vmcnt(60) lgkmcnt(6)
	v_mul_f64 v[62:63], v[38:39], v[4:5]
	v_fmac_f64_e32 v[62:63], v[40:41], v[2:3]
	s_waitcnt vmcnt(58) lgkmcnt(5)
	v_mul_f64 v[64:65], v[42:43], v[6:7]
	v_add_f64 v[62:63], v[62:63], 0
	s_waitcnt vmcnt(56) lgkmcnt(4)
	v_mul_f64 v[66:67], v[46:47], v[8:9]
	v_mul_f64 v[4:5], v[40:41], v[4:5]
	s_waitcnt vmcnt(54) lgkmcnt(2)
	v_mul_f64 v[70:71], v[54:55], v[10:11]
	v_fma_f64 v[2:3], v[38:39], v[2:3], -v[4:5]
	v_mul_f64 v[4:5], v[44:45], v[6:7]
	s_waitcnt vmcnt(51)
	v_mul_f64 v[68:69], v[50:51], v[14:15]
	v_add_f64 v[2:3], v[2:3], 0
	s_waitcnt vmcnt(49)
	v_fmac_f64_e32 v[64:65], v[44:45], v[20:21]
	v_add_f64 v[62:63], v[62:63], v[64:65]
	s_waitcnt vmcnt(47)
	v_fmac_f64_e32 v[66:67], v[48:49], v[18:19]
	;; [unrolled: 3-line block ×4, first 2 shown]
	v_add_f64 v[66:67], v[62:63], v[70:71]
	ds_read_b128 v[62:65], v1 offset:1360
	s_waitcnt vmcnt(40) lgkmcnt(2)
	v_mul_f64 v[68:69], v[58:59], v[26:27]
	v_fma_f64 v[4:5], v[42:43], v[20:21], -v[4:5]
	s_waitcnt vmcnt(38)
	v_fmac_f64_e32 v[68:69], v[60:61], v[28:29]
	v_add_f64 v[70:71], v[66:67], v[68:69]
	ds_read_b128 v[66:69], v1 offset:1376
	s_waitcnt vmcnt(37) lgkmcnt(1)
	v_mul_f64 v[72:73], v[62:63], v[22:23]
	s_waitcnt vmcnt(36)
	v_fmac_f64_e32 v[72:73], v[64:65], v[24:25]
	v_add_f64 v[2:3], v[2:3], v[4:5]
	v_mul_f64 v[4:5], v[48:49], v[8:9]
	v_add_f64 v[74:75], v[70:71], v[72:73]
	ds_read_b128 v[70:73], v1 offset:1392
	s_waitcnt vmcnt(32) lgkmcnt(1)
	v_mul_f64 v[76:77], v[66:67], v[34:35]
	v_fma_f64 v[4:5], v[46:47], v[18:19], -v[4:5]
	s_waitcnt vmcnt(30)
	v_fmac_f64_e32 v[76:77], v[68:69], v[36:37]
	v_add_f64 v[2:3], v[2:3], v[4:5]
	v_mul_f64 v[4:5], v[52:53], v[14:15]
	v_add_f64 v[78:79], v[74:75], v[76:77]
	ds_read_b128 v[74:77], v1 offset:1408
	v_fma_f64 v[4:5], v[50:51], v[16:17], -v[4:5]
	v_add_f64 v[2:3], v[2:3], v[4:5]
	v_mul_f64 v[4:5], v[56:57], v[10:11]
	v_fma_f64 v[4:5], v[54:55], v[12:13], -v[4:5]
	s_waitcnt vmcnt(29) lgkmcnt(1)
	v_mul_f64 v[80:81], v[70:71], v[30:31]
	v_add_f64 v[2:3], v[2:3], v[4:5]
	v_mul_f64 v[4:5], v[60:61], v[26:27]
	s_waitcnt vmcnt(28)
	v_fmac_f64_e32 v[80:81], v[72:73], v[32:33]
	v_fma_f64 v[4:5], v[58:59], v[28:29], -v[4:5]
	v_add_f64 v[82:83], v[78:79], v[80:81]
	ds_read_b128 v[78:81], v1 offset:1424
	s_waitcnt vmcnt(24) lgkmcnt(1)
	v_mul_f64 v[84:85], v[74:75], v[102:103]
	v_add_f64 v[2:3], v[2:3], v[4:5]
	v_mul_f64 v[4:5], v[64:65], v[22:23]
	s_waitcnt vmcnt(22)
	v_fmac_f64_e32 v[84:85], v[76:77], v[104:105]
	v_fma_f64 v[4:5], v[62:63], v[24:25], -v[4:5]
	v_add_f64 v[86:87], v[82:83], v[84:85]
	ds_read_b128 v[82:85], v1 offset:1440
	v_add_f64 v[2:3], v[2:3], v[4:5]
	v_mul_f64 v[4:5], v[68:69], v[34:35]
	v_fma_f64 v[4:5], v[66:67], v[36:37], -v[4:5]
	v_add_f64 v[2:3], v[2:3], v[4:5]
	v_mul_f64 v[4:5], v[72:73], v[30:31]
	s_waitcnt vmcnt(21) lgkmcnt(1)
	v_mul_f64 v[88:89], v[78:79], v[98:99]
	v_fma_f64 v[4:5], v[70:71], v[32:33], -v[4:5]
	s_waitcnt vmcnt(20)
	v_fmac_f64_e32 v[88:89], v[80:81], v[100:101]
	v_add_f64 v[2:3], v[2:3], v[4:5]
	v_mul_f64 v[4:5], v[76:77], v[102:103]
	v_add_f64 v[90:91], v[86:87], v[88:89]
	ds_read_b128 v[86:89], v1 offset:1456
	s_waitcnt vmcnt(16) lgkmcnt(1)
	v_mul_f64 v[92:93], v[82:83], v[110:111]
	v_fma_f64 v[4:5], v[74:75], v[104:105], -v[4:5]
	s_waitcnt vmcnt(14)
	v_fmac_f64_e32 v[92:93], v[84:85], v[112:113]
	v_add_f64 v[2:3], v[2:3], v[4:5]
	v_mul_f64 v[4:5], v[80:81], v[98:99]
	v_add_f64 v[126:127], v[90:91], v[92:93]
	ds_read_b128 v[90:93], v1 offset:1472
	v_fma_f64 v[4:5], v[78:79], v[100:101], -v[4:5]
	v_add_f64 v[2:3], v[2:3], v[4:5]
	v_mul_f64 v[4:5], v[84:85], v[110:111]
	v_fma_f64 v[4:5], v[82:83], v[112:113], -v[4:5]
	v_add_f64 v[2:3], v[2:3], v[4:5]
	s_waitcnt vmcnt(13) lgkmcnt(1)
	v_mul_f64 v[4:5], v[88:89], v[106:107]
	v_mul_f64 v[128:129], v[86:87], v[106:107]
	s_waitcnt vmcnt(12)
	v_fma_f64 v[4:5], v[86:87], v[108:109], -v[4:5]
	v_fmac_f64_e32 v[128:129], v[88:89], v[108:109]
	v_add_f64 v[2:3], v[2:3], v[4:5]
	s_waitcnt vmcnt(8) lgkmcnt(0)
	v_mul_f64 v[4:5], v[92:93], v[118:119]
	v_add_f64 v[126:127], v[126:127], v[128:129]
	v_mul_f64 v[128:129], v[90:91], v[118:119]
	s_waitcnt vmcnt(6)
	v_fma_f64 v[4:5], v[90:91], v[120:121], -v[4:5]
	v_fmac_f64_e32 v[128:129], v[92:93], v[120:121]
	v_add_f64 v[2:3], v[2:3], v[4:5]
	s_waitcnt vmcnt(5)
	v_mul_f64 v[4:5], v[96:97], v[114:115]
	v_add_f64 v[126:127], v[126:127], v[128:129]
	v_mul_f64 v[128:129], v[94:95], v[114:115]
	s_waitcnt vmcnt(4)
	v_fma_f64 v[4:5], v[94:95], v[116:117], -v[4:5]
	v_fmac_f64_e32 v[128:129], v[96:97], v[116:117]
	v_add_f64 v[2:3], v[2:3], v[4:5]
	v_add_f64 v[126:127], v[126:127], v[128:129]
	s_waitcnt vmcnt(2)
	v_add_f64 v[2:3], v[122:123], -v[2:3]
	s_waitcnt vmcnt(0)
	v_add_f64 v[4:5], v[124:125], -v[126:127]
	buffer_store_dword v3, off, s[0:3], 0 offset:516
	buffer_store_dword v2, off, s[0:3], 0 offset:512
	;; [unrolled: 1-line block ×4, first 2 shown]
	s_and_saveexec_b64 s[4:5], vcc
	s_cbranch_execz .LBB46_235
; %bb.234:
	v_accvgpr_read_b32 v0, a110
	buffer_load_dword v2, v0, s[0:3], 0 offen
	buffer_load_dword v3, v0, s[0:3], 0 offen offset:4
	buffer_load_dword v4, v0, s[0:3], 0 offen offset:8
	;; [unrolled: 1-line block ×3, first 2 shown]
	v_accvgpr_read_b32 v0, a141
	buffer_store_dword v1, off, s[0:3], 0 offset:496
	buffer_store_dword v1, off, s[0:3], 0 offset:500
	;; [unrolled: 1-line block ×4, first 2 shown]
	s_waitcnt vmcnt(4)
	ds_write_b128 v0, v[2:5]
.LBB46_235:
	s_or_b64 exec, exec, s[4:5]
	s_waitcnt lgkmcnt(0)
	; wave barrier
	s_waitcnt lgkmcnt(0)
	buffer_load_dword v2, off, s[0:3], 0 offset:512
	buffer_load_dword v3, off, s[0:3], 0 offset:516
	;; [unrolled: 1-line block ×64, first 2 shown]
	ds_read_b128 v[46:49], v1 offset:1248
	ds_read_b128 v[50:53], v1 offset:1264
	;; [unrolled: 1-line block ×4, first 2 shown]
	buffer_load_dword v130, off, s[0:3], 0 offset:496
	buffer_load_dword v131, off, s[0:3], 0 offset:500
	;; [unrolled: 1-line block ×4, first 2 shown]
	v_cmp_lt_u32_e32 vcc, 29, v254
	ds_read_b128 v[106:109], v1 offset:1488
	s_waitcnt vmcnt(62) lgkmcnt(4)
	v_mul_f64 v[62:63], v[46:47], v[4:5]
	v_fmac_f64_e32 v[62:63], v[48:49], v[2:3]
	v_add_f64 v[62:63], v[62:63], 0
	s_waitcnt lgkmcnt(2)
	v_mul_f64 v[66:67], v[54:55], v[6:7]
	v_mul_f64 v[4:5], v[48:49], v[4:5]
	v_fma_f64 v[2:3], v[46:47], v[2:3], -v[4:5]
	s_waitcnt vmcnt(58) lgkmcnt(1)
	v_mul_f64 v[68:69], v[58:59], v[12:13]
	v_add_f64 v[2:3], v[2:3], 0
	s_waitcnt vmcnt(56)
	v_mul_f64 v[64:65], v[50:51], v[18:19]
	v_mul_f64 v[4:5], v[52:53], v[18:19]
	s_waitcnt vmcnt(53)
	v_fmac_f64_e32 v[66:67], v[56:57], v[16:17]
	s_waitcnt vmcnt(52)
	v_fmac_f64_e32 v[64:65], v[52:53], v[20:21]
	v_add_f64 v[70:71], v[62:63], v[64:65]
	ds_read_b128 v[62:65], v1 offset:1312
	v_add_f64 v[66:67], v[70:71], v[66:67]
	s_waitcnt vmcnt(50)
	v_fmac_f64_e32 v[68:69], v[60:61], v[14:15]
	v_add_f64 v[70:71], v[66:67], v[68:69]
	ds_read_b128 v[66:69], v1 offset:1328
	s_waitcnt vmcnt(49) lgkmcnt(1)
	v_mul_f64 v[72:73], v[62:63], v[8:9]
	s_waitcnt vmcnt(48)
	v_fmac_f64_e32 v[72:73], v[64:65], v[10:11]
	v_add_f64 v[74:75], v[70:71], v[72:73]
	ds_read_b128 v[70:73], v1 offset:1344
	s_waitcnt vmcnt(44) lgkmcnt(1)
	v_mul_f64 v[76:77], v[66:67], v[26:27]
	;; [unrolled: 6-line block ×3, first 2 shown]
	s_waitcnt vmcnt(40)
	v_fmac_f64_e32 v[80:81], v[72:73], v[24:25]
	v_add_f64 v[82:83], v[78:79], v[80:81]
	ds_read_b128 v[78:81], v1 offset:1376
	v_fma_f64 v[4:5], v[50:51], v[20:21], -v[4:5]
	v_add_f64 v[2:3], v[2:3], v[4:5]
	v_mul_f64 v[4:5], v[56:57], v[6:7]
	s_waitcnt vmcnt(36) lgkmcnt(1)
	v_mul_f64 v[84:85], v[74:75], v[34:35]
	v_fma_f64 v[4:5], v[54:55], v[16:17], -v[4:5]
	s_waitcnt vmcnt(34)
	v_fmac_f64_e32 v[84:85], v[76:77], v[36:37]
	v_add_f64 v[2:3], v[2:3], v[4:5]
	v_mul_f64 v[4:5], v[60:61], v[12:13]
	v_add_f64 v[86:87], v[82:83], v[84:85]
	ds_read_b128 v[82:85], v1 offset:1392
	s_waitcnt vmcnt(33) lgkmcnt(1)
	v_mul_f64 v[88:89], v[78:79], v[30:31]
	v_fma_f64 v[4:5], v[58:59], v[14:15], -v[4:5]
	s_waitcnt vmcnt(32)
	v_fmac_f64_e32 v[88:89], v[80:81], v[32:33]
	v_add_f64 v[2:3], v[2:3], v[4:5]
	v_mul_f64 v[4:5], v[64:65], v[8:9]
	v_add_f64 v[90:91], v[86:87], v[88:89]
	ds_read_b128 v[86:89], v1 offset:1408
	v_fma_f64 v[4:5], v[62:63], v[10:11], -v[4:5]
	v_add_f64 v[2:3], v[2:3], v[4:5]
	v_mul_f64 v[4:5], v[68:69], v[26:27]
	v_fma_f64 v[4:5], v[66:67], v[28:29], -v[4:5]
	s_waitcnt vmcnt(28) lgkmcnt(1)
	v_mul_f64 v[92:93], v[82:83], v[42:43]
	v_add_f64 v[2:3], v[2:3], v[4:5]
	v_mul_f64 v[4:5], v[72:73], v[22:23]
	s_waitcnt vmcnt(26)
	v_fmac_f64_e32 v[92:93], v[84:85], v[44:45]
	v_fma_f64 v[4:5], v[70:71], v[24:25], -v[4:5]
	v_add_f64 v[94:95], v[90:91], v[92:93]
	ds_read_b128 v[90:93], v1 offset:1424
	s_waitcnt vmcnt(25) lgkmcnt(1)
	v_mul_f64 v[96:97], v[86:87], v[38:39]
	v_add_f64 v[2:3], v[2:3], v[4:5]
	v_mul_f64 v[4:5], v[76:77], v[34:35]
	s_waitcnt vmcnt(24)
	v_fmac_f64_e32 v[96:97], v[88:89], v[40:41]
	v_fma_f64 v[4:5], v[74:75], v[36:37], -v[4:5]
	v_add_f64 v[98:99], v[94:95], v[96:97]
	ds_read_b128 v[94:97], v1 offset:1440
	v_add_f64 v[2:3], v[2:3], v[4:5]
	v_mul_f64 v[4:5], v[80:81], v[30:31]
	v_fma_f64 v[4:5], v[78:79], v[32:33], -v[4:5]
	v_add_f64 v[2:3], v[2:3], v[4:5]
	v_mul_f64 v[4:5], v[84:85], v[42:43]
	s_waitcnt vmcnt(20) lgkmcnt(1)
	v_mul_f64 v[100:101], v[90:91], v[114:115]
	v_fma_f64 v[4:5], v[82:83], v[44:45], -v[4:5]
	s_waitcnt vmcnt(18)
	v_fmac_f64_e32 v[100:101], v[92:93], v[116:117]
	v_add_f64 v[2:3], v[2:3], v[4:5]
	v_mul_f64 v[4:5], v[88:89], v[38:39]
	v_add_f64 v[102:103], v[98:99], v[100:101]
	ds_read_b128 v[98:101], v1 offset:1456
	s_waitcnt vmcnt(17) lgkmcnt(1)
	v_mul_f64 v[104:105], v[94:95], v[110:111]
	v_fma_f64 v[4:5], v[86:87], v[40:41], -v[4:5]
	s_waitcnt vmcnt(16)
	v_fmac_f64_e32 v[104:105], v[96:97], v[112:113]
	v_add_f64 v[2:3], v[2:3], v[4:5]
	v_mul_f64 v[4:5], v[92:93], v[114:115]
	v_add_f64 v[134:135], v[102:103], v[104:105]
	ds_read_b128 v[102:105], v1 offset:1472
	v_fma_f64 v[4:5], v[90:91], v[116:117], -v[4:5]
	v_add_f64 v[2:3], v[2:3], v[4:5]
	v_mul_f64 v[4:5], v[96:97], v[110:111]
	v_fma_f64 v[4:5], v[94:95], v[112:113], -v[4:5]
	v_add_f64 v[2:3], v[2:3], v[4:5]
	s_waitcnt vmcnt(12) lgkmcnt(1)
	v_mul_f64 v[4:5], v[100:101], v[122:123]
	v_mul_f64 v[136:137], v[98:99], v[122:123]
	s_waitcnt vmcnt(10)
	v_fma_f64 v[4:5], v[98:99], v[124:125], -v[4:5]
	v_fmac_f64_e32 v[136:137], v[100:101], v[124:125]
	v_add_f64 v[2:3], v[2:3], v[4:5]
	s_waitcnt vmcnt(9) lgkmcnt(0)
	v_mul_f64 v[4:5], v[104:105], v[118:119]
	v_add_f64 v[134:135], v[134:135], v[136:137]
	v_mul_f64 v[136:137], v[102:103], v[118:119]
	s_waitcnt vmcnt(8)
	v_fma_f64 v[4:5], v[102:103], v[120:121], -v[4:5]
	v_fmac_f64_e32 v[136:137], v[104:105], v[120:121]
	v_add_f64 v[2:3], v[2:3], v[4:5]
	s_waitcnt vmcnt(6)
	v_mul_f64 v[4:5], v[108:109], v[126:127]
	v_add_f64 v[134:135], v[134:135], v[136:137]
	v_mul_f64 v[136:137], v[106:107], v[126:127]
	s_waitcnt vmcnt(4)
	v_fma_f64 v[4:5], v[106:107], v[128:129], -v[4:5]
	v_fmac_f64_e32 v[136:137], v[108:109], v[128:129]
	v_add_f64 v[2:3], v[2:3], v[4:5]
	v_add_f64 v[134:135], v[134:135], v[136:137]
	s_waitcnt vmcnt(2)
	v_add_f64 v[2:3], v[130:131], -v[2:3]
	s_waitcnt vmcnt(0)
	v_add_f64 v[4:5], v[132:133], -v[134:135]
	buffer_store_dword v3, off, s[0:3], 0 offset:500
	buffer_store_dword v2, off, s[0:3], 0 offset:496
	;; [unrolled: 1-line block ×4, first 2 shown]
	s_and_saveexec_b64 s[4:5], vcc
	s_cbranch_execz .LBB46_237
; %bb.236:
	v_accvgpr_read_b32 v0, a111
	buffer_load_dword v2, v0, s[0:3], 0 offen
	buffer_load_dword v3, v0, s[0:3], 0 offen offset:4
	buffer_load_dword v4, v0, s[0:3], 0 offen offset:8
	;; [unrolled: 1-line block ×3, first 2 shown]
	v_mov_b32_e32 v0, 0
	v_accvgpr_read_b32 v1, a141
	buffer_store_dword v0, off, s[0:3], 0 offset:480
	buffer_store_dword v0, off, s[0:3], 0 offset:484
	;; [unrolled: 1-line block ×4, first 2 shown]
	s_waitcnt vmcnt(4)
	ds_write_b128 v1, v[2:5]
.LBB46_237:
	s_or_b64 exec, exec, s[4:5]
	s_waitcnt lgkmcnt(0)
	; wave barrier
	s_waitcnt lgkmcnt(0)
	buffer_load_dword v2, off, s[0:3], 0 offset:496
	buffer_load_dword v3, off, s[0:3], 0 offset:500
	;; [unrolled: 1-line block ×68, first 2 shown]
	v_mov_b32_e32 v1, 0
	buffer_load_dword v138, off, s[0:3], 0 offset:480
	buffer_load_dword v139, off, s[0:3], 0 offset:484
	;; [unrolled: 1-line block ×3, first 2 shown]
	ds_read_b128 v[46:49], v1 offset:1232
	ds_read_b128 v[50:53], v1 offset:1248
	buffer_load_dword v141, off, s[0:3], 0 offset:492
	ds_read_b128 v[54:57], v1 offset:1264
	ds_read_b128 v[58:61], v1 offset:1280
	ds_read_b128 v[110:113], v1 offset:1488
	v_cmp_lt_u32_e32 vcc, 28, v254
	s_waitcnt vmcnt(62) lgkmcnt(4)
	v_mul_f64 v[62:63], v[46:47], v[6:7]
	v_fmac_f64_e32 v[62:63], v[48:49], v[2:3]
	v_add_f64 v[62:63], v[62:63], 0
	v_mul_f64 v[6:7], v[48:49], v[6:7]
	s_waitcnt lgkmcnt(3)
	v_mul_f64 v[64:65], v[50:51], v[10:11]
	v_fmac_f64_e32 v[64:65], v[52:53], v[4:5]
	v_add_f64 v[62:63], v[62:63], v[64:65]
	v_fma_f64 v[2:3], v[46:47], v[2:3], -v[6:7]
	s_waitcnt vmcnt(60) lgkmcnt(2)
	v_mul_f64 v[64:65], v[54:55], v[12:13]
	v_fmac_f64_e32 v[64:65], v[56:57], v[8:9]
	v_add_f64 v[66:67], v[62:63], v[64:65]
	ds_read_b128 v[62:65], v1 offset:1296
	s_waitcnt vmcnt(56) lgkmcnt(2)
	v_mul_f64 v[68:69], v[58:59], v[18:19]
	v_mul_f64 v[6:7], v[52:53], v[10:11]
	s_waitcnt vmcnt(54)
	v_fmac_f64_e32 v[68:69], v[60:61], v[20:21]
	v_add_f64 v[70:71], v[66:67], v[68:69]
	ds_read_b128 v[66:69], v1 offset:1312
	s_waitcnt vmcnt(53) lgkmcnt(1)
	v_mul_f64 v[72:73], v[62:63], v[14:15]
	s_waitcnt vmcnt(52)
	v_fmac_f64_e32 v[72:73], v[64:65], v[16:17]
	v_add_f64 v[74:75], v[70:71], v[72:73]
	ds_read_b128 v[70:73], v1 offset:1328
	s_waitcnt vmcnt(48) lgkmcnt(1)
	v_mul_f64 v[76:77], v[66:67], v[26:27]
	s_waitcnt vmcnt(46)
	v_fmac_f64_e32 v[76:77], v[68:69], v[28:29]
	v_add_f64 v[78:79], v[74:75], v[76:77]
	ds_read_b128 v[74:77], v1 offset:1344
	s_waitcnt vmcnt(45) lgkmcnt(1)
	v_mul_f64 v[80:81], v[70:71], v[22:23]
	s_waitcnt vmcnt(44)
	v_fmac_f64_e32 v[80:81], v[72:73], v[24:25]
	v_add_f64 v[82:83], v[78:79], v[80:81]
	ds_read_b128 v[78:81], v1 offset:1360
	s_waitcnt vmcnt(40) lgkmcnt(1)
	v_mul_f64 v[84:85], v[74:75], v[34:35]
	s_waitcnt vmcnt(38)
	v_fmac_f64_e32 v[84:85], v[76:77], v[36:37]
	v_add_f64 v[2:3], v[2:3], 0
	v_fma_f64 v[4:5], v[50:51], v[4:5], -v[6:7]
	v_add_f64 v[86:87], v[82:83], v[84:85]
	ds_read_b128 v[82:85], v1 offset:1376
	v_add_f64 v[2:3], v[2:3], v[4:5]
	v_mul_f64 v[4:5], v[56:57], v[12:13]
	v_fma_f64 v[4:5], v[54:55], v[8:9], -v[4:5]
	v_add_f64 v[2:3], v[2:3], v[4:5]
	v_mul_f64 v[4:5], v[60:61], v[18:19]
	s_waitcnt vmcnt(37) lgkmcnt(1)
	v_mul_f64 v[88:89], v[78:79], v[30:31]
	v_fma_f64 v[4:5], v[58:59], v[20:21], -v[4:5]
	s_waitcnt vmcnt(36)
	v_fmac_f64_e32 v[88:89], v[80:81], v[32:33]
	v_add_f64 v[2:3], v[2:3], v[4:5]
	v_mul_f64 v[4:5], v[64:65], v[14:15]
	v_add_f64 v[90:91], v[86:87], v[88:89]
	ds_read_b128 v[86:89], v1 offset:1392
	s_waitcnt vmcnt(32) lgkmcnt(1)
	v_mul_f64 v[92:93], v[82:83], v[42:43]
	v_fma_f64 v[4:5], v[62:63], v[16:17], -v[4:5]
	s_waitcnt vmcnt(30)
	v_fmac_f64_e32 v[92:93], v[84:85], v[44:45]
	v_add_f64 v[2:3], v[2:3], v[4:5]
	v_mul_f64 v[4:5], v[68:69], v[26:27]
	v_add_f64 v[94:95], v[90:91], v[92:93]
	ds_read_b128 v[90:93], v1 offset:1408
	v_fma_f64 v[4:5], v[66:67], v[28:29], -v[4:5]
	v_add_f64 v[2:3], v[2:3], v[4:5]
	v_mul_f64 v[4:5], v[72:73], v[22:23]
	v_fma_f64 v[4:5], v[70:71], v[24:25], -v[4:5]
	s_waitcnt vmcnt(29) lgkmcnt(1)
	v_mul_f64 v[96:97], v[86:87], v[38:39]
	v_add_f64 v[2:3], v[2:3], v[4:5]
	v_mul_f64 v[4:5], v[76:77], v[34:35]
	s_waitcnt vmcnt(28)
	v_fmac_f64_e32 v[96:97], v[88:89], v[40:41]
	v_fma_f64 v[4:5], v[74:75], v[36:37], -v[4:5]
	v_add_f64 v[98:99], v[94:95], v[96:97]
	ds_read_b128 v[94:97], v1 offset:1424
	s_waitcnt vmcnt(24) lgkmcnt(1)
	v_mul_f64 v[100:101], v[90:91], v[118:119]
	v_add_f64 v[2:3], v[2:3], v[4:5]
	v_mul_f64 v[4:5], v[80:81], v[30:31]
	s_waitcnt vmcnt(22)
	v_fmac_f64_e32 v[100:101], v[92:93], v[120:121]
	v_fma_f64 v[4:5], v[78:79], v[32:33], -v[4:5]
	v_add_f64 v[102:103], v[98:99], v[100:101]
	ds_read_b128 v[98:101], v1 offset:1440
	v_add_f64 v[2:3], v[2:3], v[4:5]
	v_mul_f64 v[4:5], v[84:85], v[42:43]
	v_fma_f64 v[4:5], v[82:83], v[44:45], -v[4:5]
	v_add_f64 v[2:3], v[2:3], v[4:5]
	v_mul_f64 v[4:5], v[88:89], v[38:39]
	s_waitcnt vmcnt(21) lgkmcnt(1)
	v_mul_f64 v[104:105], v[94:95], v[114:115]
	v_fma_f64 v[4:5], v[86:87], v[40:41], -v[4:5]
	s_waitcnt vmcnt(20)
	v_fmac_f64_e32 v[104:105], v[96:97], v[116:117]
	v_add_f64 v[2:3], v[2:3], v[4:5]
	v_mul_f64 v[4:5], v[92:93], v[118:119]
	v_add_f64 v[106:107], v[102:103], v[104:105]
	ds_read_b128 v[102:105], v1 offset:1456
	s_waitcnt vmcnt(16) lgkmcnt(1)
	v_mul_f64 v[108:109], v[98:99], v[126:127]
	v_fma_f64 v[4:5], v[90:91], v[120:121], -v[4:5]
	s_waitcnt vmcnt(14)
	v_fmac_f64_e32 v[108:109], v[100:101], v[128:129]
	v_add_f64 v[2:3], v[2:3], v[4:5]
	v_mul_f64 v[4:5], v[96:97], v[114:115]
	v_add_f64 v[142:143], v[106:107], v[108:109]
	ds_read_b128 v[106:109], v1 offset:1472
	v_fma_f64 v[4:5], v[94:95], v[116:117], -v[4:5]
	v_add_f64 v[2:3], v[2:3], v[4:5]
	v_mul_f64 v[4:5], v[100:101], v[126:127]
	v_fma_f64 v[4:5], v[98:99], v[128:129], -v[4:5]
	v_add_f64 v[2:3], v[2:3], v[4:5]
	s_waitcnt vmcnt(13) lgkmcnt(1)
	v_mul_f64 v[4:5], v[104:105], v[122:123]
	v_mul_f64 v[144:145], v[102:103], v[122:123]
	s_waitcnt vmcnt(12)
	v_fma_f64 v[4:5], v[102:103], v[124:125], -v[4:5]
	v_fmac_f64_e32 v[144:145], v[104:105], v[124:125]
	v_add_f64 v[2:3], v[2:3], v[4:5]
	s_waitcnt vmcnt(8) lgkmcnt(0)
	v_mul_f64 v[4:5], v[108:109], v[134:135]
	v_add_f64 v[142:143], v[142:143], v[144:145]
	v_mul_f64 v[144:145], v[106:107], v[134:135]
	s_waitcnt vmcnt(6)
	v_fma_f64 v[4:5], v[106:107], v[136:137], -v[4:5]
	v_fmac_f64_e32 v[144:145], v[108:109], v[136:137]
	v_add_f64 v[2:3], v[2:3], v[4:5]
	s_waitcnt vmcnt(5)
	v_mul_f64 v[4:5], v[112:113], v[130:131]
	v_add_f64 v[142:143], v[142:143], v[144:145]
	v_mul_f64 v[144:145], v[110:111], v[130:131]
	s_waitcnt vmcnt(4)
	v_fma_f64 v[4:5], v[110:111], v[132:133], -v[4:5]
	v_fmac_f64_e32 v[144:145], v[112:113], v[132:133]
	v_add_f64 v[2:3], v[2:3], v[4:5]
	v_add_f64 v[142:143], v[142:143], v[144:145]
	s_waitcnt vmcnt(2)
	v_add_f64 v[2:3], v[138:139], -v[2:3]
	s_waitcnt vmcnt(0)
	v_add_f64 v[4:5], v[140:141], -v[142:143]
	buffer_store_dword v3, off, s[0:3], 0 offset:484
	buffer_store_dword v2, off, s[0:3], 0 offset:480
	;; [unrolled: 1-line block ×4, first 2 shown]
	s_and_saveexec_b64 s[4:5], vcc
	s_cbranch_execz .LBB46_239
; %bb.238:
	v_accvgpr_read_b32 v0, a112
	buffer_load_dword v2, v0, s[0:3], 0 offen
	buffer_load_dword v3, v0, s[0:3], 0 offen offset:4
	buffer_load_dword v4, v0, s[0:3], 0 offen offset:8
	;; [unrolled: 1-line block ×3, first 2 shown]
	v_accvgpr_read_b32 v0, a141
	buffer_store_dword v1, off, s[0:3], 0 offset:464
	buffer_store_dword v1, off, s[0:3], 0 offset:468
	;; [unrolled: 1-line block ×4, first 2 shown]
	s_waitcnt vmcnt(4)
	ds_write_b128 v0, v[2:5]
.LBB46_239:
	s_or_b64 exec, exec, s[4:5]
	s_waitcnt lgkmcnt(0)
	; wave barrier
	s_waitcnt lgkmcnt(0)
	buffer_load_dword v2, off, s[0:3], 0 offset:480
	buffer_load_dword v3, off, s[0:3], 0 offset:484
	;; [unrolled: 1-line block ×72, first 2 shown]
	ds_read_b128 v[52:55], v1 offset:1216
	buffer_load_dword v146, off, s[0:3], 0 offset:464
	buffer_load_dword v147, off, s[0:3], 0 offset:468
	;; [unrolled: 1-line block ×4, first 2 shown]
	ds_read_b128 v[56:59], v1 offset:1232
	ds_read_b128 v[60:63], v1 offset:1248
	;; [unrolled: 1-line block ×3, first 2 shown]
	v_cmp_lt_u32_e32 vcc, 27, v254
	ds_read_b128 v[124:127], v1 offset:1488
	s_waitcnt vmcnt(62) lgkmcnt(4)
	v_mul_f64 v[68:69], v[52:53], v[8:9]
	v_fmac_f64_e32 v[68:69], v[54:55], v[2:3]
	v_add_f64 v[68:69], v[68:69], 0
	v_mul_f64 v[8:9], v[54:55], v[8:9]
	s_waitcnt lgkmcnt(3)
	v_mul_f64 v[70:71], v[56:57], v[10:11]
	v_fmac_f64_e32 v[70:71], v[58:59], v[4:5]
	v_add_f64 v[68:69], v[68:69], v[70:71]
	v_fma_f64 v[2:3], v[52:53], v[2:3], -v[8:9]
	s_waitcnt lgkmcnt(2)
	v_mul_f64 v[70:71], v[60:61], v[12:13]
	v_fmac_f64_e32 v[70:71], v[62:63], v[6:7]
	v_add_f64 v[72:73], v[68:69], v[70:71]
	ds_read_b128 v[68:71], v1 offset:1280
	s_waitcnt vmcnt(60) lgkmcnt(2)
	v_mul_f64 v[74:75], v[64:65], v[18:19]
	v_mul_f64 v[8:9], v[58:59], v[10:11]
	s_waitcnt vmcnt(58)
	v_fmac_f64_e32 v[74:75], v[66:67], v[20:21]
	v_add_f64 v[76:77], v[72:73], v[74:75]
	ds_read_b128 v[72:75], v1 offset:1296
	s_waitcnt vmcnt(57) lgkmcnt(1)
	v_mul_f64 v[78:79], v[68:69], v[14:15]
	s_waitcnt vmcnt(56)
	v_fmac_f64_e32 v[78:79], v[70:71], v[16:17]
	v_add_f64 v[80:81], v[76:77], v[78:79]
	ds_read_b128 v[76:79], v1 offset:1312
	s_waitcnt vmcnt(52) lgkmcnt(1)
	;; [unrolled: 6-line block ×4, first 2 shown]
	v_mul_f64 v[90:91], v[80:81], v[34:35]
	s_waitcnt vmcnt(42)
	v_fmac_f64_e32 v[90:91], v[82:83], v[36:37]
	v_add_f64 v[2:3], v[2:3], 0
	v_fma_f64 v[4:5], v[56:57], v[4:5], -v[8:9]
	v_add_f64 v[92:93], v[88:89], v[90:91]
	ds_read_b128 v[88:91], v1 offset:1360
	s_waitcnt vmcnt(41) lgkmcnt(1)
	v_mul_f64 v[94:95], v[84:85], v[30:31]
	v_add_f64 v[2:3], v[2:3], v[4:5]
	v_mul_f64 v[4:5], v[62:63], v[12:13]
	s_waitcnt vmcnt(40)
	v_fmac_f64_e32 v[94:95], v[86:87], v[32:33]
	v_fma_f64 v[4:5], v[60:61], v[6:7], -v[4:5]
	v_add_f64 v[96:97], v[92:93], v[94:95]
	ds_read_b128 v[92:95], v1 offset:1376
	v_add_f64 v[2:3], v[2:3], v[4:5]
	v_mul_f64 v[4:5], v[66:67], v[18:19]
	v_fma_f64 v[4:5], v[64:65], v[20:21], -v[4:5]
	v_add_f64 v[2:3], v[2:3], v[4:5]
	v_mul_f64 v[4:5], v[70:71], v[14:15]
	s_waitcnt vmcnt(36) lgkmcnt(1)
	v_mul_f64 v[98:99], v[88:89], v[42:43]
	v_fma_f64 v[4:5], v[68:69], v[16:17], -v[4:5]
	s_waitcnt vmcnt(34)
	v_fmac_f64_e32 v[98:99], v[90:91], v[44:45]
	v_add_f64 v[2:3], v[2:3], v[4:5]
	v_mul_f64 v[4:5], v[74:75], v[26:27]
	v_add_f64 v[100:101], v[96:97], v[98:99]
	ds_read_b128 v[96:99], v1 offset:1392
	s_waitcnt vmcnt(33) lgkmcnt(1)
	v_mul_f64 v[102:103], v[92:93], v[38:39]
	v_fma_f64 v[4:5], v[72:73], v[28:29], -v[4:5]
	s_waitcnt vmcnt(32)
	v_fmac_f64_e32 v[102:103], v[94:95], v[40:41]
	v_add_f64 v[2:3], v[2:3], v[4:5]
	v_mul_f64 v[4:5], v[78:79], v[22:23]
	v_add_f64 v[104:105], v[100:101], v[102:103]
	ds_read_b128 v[100:103], v1 offset:1408
	v_fma_f64 v[4:5], v[76:77], v[24:25], -v[4:5]
	v_add_f64 v[2:3], v[2:3], v[4:5]
	v_mul_f64 v[4:5], v[82:83], v[34:35]
	v_fma_f64 v[4:5], v[80:81], v[36:37], -v[4:5]
	s_waitcnt vmcnt(28) lgkmcnt(1)
	v_mul_f64 v[106:107], v[96:97], v[50:51]
	v_add_f64 v[2:3], v[2:3], v[4:5]
	v_mul_f64 v[4:5], v[86:87], v[30:31]
	s_waitcnt vmcnt(26)
	v_fmac_f64_e32 v[106:107], v[98:99], v[116:117]
	v_fma_f64 v[4:5], v[84:85], v[32:33], -v[4:5]
	v_add_f64 v[108:109], v[104:105], v[106:107]
	ds_read_b128 v[104:107], v1 offset:1424
	s_waitcnt vmcnt(25) lgkmcnt(1)
	v_mul_f64 v[110:111], v[100:101], v[46:47]
	v_add_f64 v[2:3], v[2:3], v[4:5]
	v_mul_f64 v[4:5], v[90:91], v[42:43]
	s_waitcnt vmcnt(24)
	v_fmac_f64_e32 v[110:111], v[102:103], v[48:49]
	v_fma_f64 v[4:5], v[88:89], v[44:45], -v[4:5]
	v_add_f64 v[112:113], v[108:109], v[110:111]
	ds_read_b128 v[108:111], v1 offset:1440
	v_add_f64 v[2:3], v[2:3], v[4:5]
	v_mul_f64 v[4:5], v[94:95], v[38:39]
	v_fma_f64 v[4:5], v[92:93], v[40:41], -v[4:5]
	v_add_f64 v[2:3], v[2:3], v[4:5]
	v_mul_f64 v[4:5], v[98:99], v[50:51]
	s_waitcnt vmcnt(20) lgkmcnt(1)
	v_mul_f64 v[114:115], v[104:105], v[130:131]
	v_fma_f64 v[4:5], v[96:97], v[116:117], -v[4:5]
	s_waitcnt vmcnt(18)
	v_fmac_f64_e32 v[114:115], v[106:107], v[132:133]
	v_add_f64 v[2:3], v[2:3], v[4:5]
	v_mul_f64 v[4:5], v[102:103], v[46:47]
	v_add_f64 v[120:121], v[112:113], v[114:115]
	ds_read_b128 v[112:115], v1 offset:1456
	s_waitcnt vmcnt(17) lgkmcnt(1)
	v_mul_f64 v[122:123], v[108:109], v[118:119]
	v_fma_f64 v[4:5], v[100:101], v[48:49], -v[4:5]
	s_waitcnt vmcnt(16)
	v_fmac_f64_e32 v[122:123], v[110:111], v[128:129]
	v_add_f64 v[2:3], v[2:3], v[4:5]
	v_mul_f64 v[4:5], v[106:107], v[130:131]
	v_add_f64 v[150:151], v[120:121], v[122:123]
	ds_read_b128 v[120:123], v1 offset:1472
	v_fma_f64 v[4:5], v[104:105], v[132:133], -v[4:5]
	v_add_f64 v[2:3], v[2:3], v[4:5]
	v_mul_f64 v[4:5], v[110:111], v[118:119]
	v_fma_f64 v[4:5], v[108:109], v[128:129], -v[4:5]
	v_add_f64 v[2:3], v[2:3], v[4:5]
	s_waitcnt vmcnt(12) lgkmcnt(1)
	v_mul_f64 v[4:5], v[114:115], v[138:139]
	v_mul_f64 v[152:153], v[112:113], v[138:139]
	s_waitcnt vmcnt(10)
	v_fma_f64 v[4:5], v[112:113], v[140:141], -v[4:5]
	v_fmac_f64_e32 v[152:153], v[114:115], v[140:141]
	v_add_f64 v[2:3], v[2:3], v[4:5]
	s_waitcnt vmcnt(9) lgkmcnt(0)
	v_mul_f64 v[4:5], v[122:123], v[134:135]
	v_add_f64 v[150:151], v[150:151], v[152:153]
	v_mul_f64 v[152:153], v[120:121], v[134:135]
	s_waitcnt vmcnt(8)
	v_fma_f64 v[4:5], v[120:121], v[136:137], -v[4:5]
	v_fmac_f64_e32 v[152:153], v[122:123], v[136:137]
	v_add_f64 v[2:3], v[2:3], v[4:5]
	s_waitcnt vmcnt(6)
	v_mul_f64 v[4:5], v[126:127], v[142:143]
	v_add_f64 v[150:151], v[150:151], v[152:153]
	v_mul_f64 v[152:153], v[124:125], v[142:143]
	s_waitcnt vmcnt(4)
	v_fma_f64 v[4:5], v[124:125], v[144:145], -v[4:5]
	v_fmac_f64_e32 v[152:153], v[126:127], v[144:145]
	v_add_f64 v[2:3], v[2:3], v[4:5]
	v_add_f64 v[150:151], v[150:151], v[152:153]
	s_waitcnt vmcnt(2)
	v_add_f64 v[2:3], v[146:147], -v[2:3]
	s_waitcnt vmcnt(0)
	v_add_f64 v[4:5], v[148:149], -v[150:151]
	buffer_store_dword v3, off, s[0:3], 0 offset:468
	buffer_store_dword v2, off, s[0:3], 0 offset:464
	;; [unrolled: 1-line block ×4, first 2 shown]
	s_and_saveexec_b64 s[4:5], vcc
	s_cbranch_execz .LBB46_241
; %bb.240:
	v_accvgpr_read_b32 v0, a113
	buffer_load_dword v2, v0, s[0:3], 0 offen
	buffer_load_dword v3, v0, s[0:3], 0 offen offset:4
	buffer_load_dword v4, v0, s[0:3], 0 offen offset:8
	;; [unrolled: 1-line block ×3, first 2 shown]
	v_mov_b32_e32 v0, 0
	v_accvgpr_read_b32 v1, a141
	buffer_store_dword v0, off, s[0:3], 0 offset:448
	buffer_store_dword v0, off, s[0:3], 0 offset:452
	;; [unrolled: 1-line block ×4, first 2 shown]
	s_waitcnt vmcnt(4)
	ds_write_b128 v1, v[2:5]
.LBB46_241:
	s_or_b64 exec, exec, s[4:5]
	s_waitcnt lgkmcnt(0)
	; wave barrier
	s_waitcnt lgkmcnt(0)
	buffer_load_dword v2, off, s[0:3], 0 offset:464
	buffer_load_dword v3, off, s[0:3], 0 offset:468
	;; [unrolled: 1-line block ×76, first 2 shown]
	v_mov_b32_e32 v1, 0
	ds_read_b128 v[54:57], v1 offset:1200
	buffer_load_dword v154, off, s[0:3], 0 offset:448
	buffer_load_dword v155, off, s[0:3], 0 offset:452
	;; [unrolled: 1-line block ×4, first 2 shown]
	ds_read_b128 v[58:61], v1 offset:1216
	ds_read_b128 v[62:65], v1 offset:1232
	;; [unrolled: 1-line block ×4, first 2 shown]
	v_cmp_lt_u32_e32 vcc, 26, v254
	s_waitcnt vmcnt(62) lgkmcnt(4)
	v_mul_f64 v[70:71], v[54:55], v[8:9]
	v_fmac_f64_e32 v[70:71], v[56:57], v[2:3]
	v_add_f64 v[70:71], v[70:71], 0
	v_mul_f64 v[8:9], v[56:57], v[8:9]
	s_waitcnt lgkmcnt(3)
	v_mul_f64 v[72:73], v[58:59], v[10:11]
	v_fmac_f64_e32 v[72:73], v[60:61], v[4:5]
	v_add_f64 v[70:71], v[70:71], v[72:73]
	v_fma_f64 v[2:3], v[54:55], v[2:3], -v[8:9]
	s_waitcnt lgkmcnt(2)
	v_mul_f64 v[72:73], v[62:63], v[12:13]
	v_fmac_f64_e32 v[72:73], v[64:65], v[6:7]
	v_add_f64 v[74:75], v[70:71], v[72:73]
	ds_read_b128 v[70:73], v1 offset:1264
	s_waitcnt lgkmcnt(2)
	v_mul_f64 v[76:77], v[66:67], v[18:19]
	v_mul_f64 v[8:9], v[60:61], v[10:11]
	v_fmac_f64_e32 v[76:77], v[68:69], v[20:21]
	v_add_f64 v[78:79], v[74:75], v[76:77]
	ds_read_b128 v[74:77], v1 offset:1280
	s_waitcnt vmcnt(61) lgkmcnt(1)
	v_mul_f64 v[80:81], v[70:71], v[14:15]
	s_waitcnt vmcnt(60)
	v_fmac_f64_e32 v[80:81], v[72:73], v[16:17]
	v_add_f64 v[82:83], v[78:79], v[80:81]
	ds_read_b128 v[78:81], v1 offset:1296
	s_waitcnt vmcnt(56) lgkmcnt(1)
	v_mul_f64 v[84:85], v[74:75], v[26:27]
	s_waitcnt vmcnt(54)
	;; [unrolled: 6-line block ×4, first 2 shown]
	v_fmac_f64_e32 v[92:93], v[84:85], v[36:37]
	v_add_f64 v[94:95], v[90:91], v[92:93]
	ds_read_b128 v[90:93], v1 offset:1344
	v_add_f64 v[2:3], v[2:3], 0
	v_fma_f64 v[4:5], v[58:59], v[4:5], -v[8:9]
	s_waitcnt vmcnt(45) lgkmcnt(1)
	v_mul_f64 v[96:97], v[86:87], v[30:31]
	v_add_f64 v[2:3], v[2:3], v[4:5]
	v_mul_f64 v[4:5], v[64:65], v[12:13]
	s_waitcnt vmcnt(44)
	v_fmac_f64_e32 v[96:97], v[88:89], v[32:33]
	v_fma_f64 v[4:5], v[62:63], v[6:7], -v[4:5]
	v_add_f64 v[98:99], v[94:95], v[96:97]
	ds_read_b128 v[94:97], v1 offset:1360
	s_waitcnt vmcnt(40) lgkmcnt(1)
	v_mul_f64 v[100:101], v[90:91], v[42:43]
	v_add_f64 v[2:3], v[2:3], v[4:5]
	v_mul_f64 v[4:5], v[68:69], v[18:19]
	s_waitcnt vmcnt(38)
	v_fmac_f64_e32 v[100:101], v[92:93], v[44:45]
	v_fma_f64 v[4:5], v[66:67], v[20:21], -v[4:5]
	v_add_f64 v[102:103], v[98:99], v[100:101]
	ds_read_b128 v[98:101], v1 offset:1376
	v_add_f64 v[2:3], v[2:3], v[4:5]
	v_mul_f64 v[4:5], v[72:73], v[14:15]
	v_fma_f64 v[4:5], v[70:71], v[16:17], -v[4:5]
	v_add_f64 v[2:3], v[2:3], v[4:5]
	v_mul_f64 v[4:5], v[76:77], v[26:27]
	s_waitcnt vmcnt(37) lgkmcnt(1)
	v_mul_f64 v[104:105], v[94:95], v[38:39]
	v_fma_f64 v[4:5], v[74:75], v[28:29], -v[4:5]
	s_waitcnt vmcnt(36)
	v_fmac_f64_e32 v[104:105], v[96:97], v[40:41]
	v_add_f64 v[2:3], v[2:3], v[4:5]
	v_mul_f64 v[4:5], v[80:81], v[22:23]
	v_add_f64 v[106:107], v[102:103], v[104:105]
	ds_read_b128 v[102:105], v1 offset:1392
	s_waitcnt vmcnt(32) lgkmcnt(1)
	v_mul_f64 v[108:109], v[98:99], v[50:51]
	v_fma_f64 v[4:5], v[78:79], v[24:25], -v[4:5]
	s_waitcnt vmcnt(30)
	v_fmac_f64_e32 v[108:109], v[100:101], v[52:53]
	v_add_f64 v[2:3], v[2:3], v[4:5]
	v_mul_f64 v[4:5], v[84:85], v[34:35]
	v_add_f64 v[110:111], v[106:107], v[108:109]
	ds_read_b128 v[106:109], v1 offset:1408
	v_fma_f64 v[4:5], v[82:83], v[36:37], -v[4:5]
	v_add_f64 v[2:3], v[2:3], v[4:5]
	v_mul_f64 v[4:5], v[88:89], v[30:31]
	v_fma_f64 v[4:5], v[86:87], v[32:33], -v[4:5]
	s_waitcnt vmcnt(29) lgkmcnt(1)
	v_mul_f64 v[112:113], v[102:103], v[46:47]
	v_add_f64 v[2:3], v[2:3], v[4:5]
	v_mul_f64 v[4:5], v[92:93], v[42:43]
	s_waitcnt vmcnt(28)
	v_fmac_f64_e32 v[112:113], v[104:105], v[48:49]
	v_fma_f64 v[4:5], v[90:91], v[44:45], -v[4:5]
	v_add_f64 v[114:115], v[110:111], v[112:113]
	ds_read_b128 v[110:113], v1 offset:1424
	s_waitcnt vmcnt(24) lgkmcnt(1)
	v_mul_f64 v[116:117], v[106:107], v[134:135]
	v_add_f64 v[2:3], v[2:3], v[4:5]
	v_mul_f64 v[4:5], v[96:97], v[38:39]
	s_waitcnt vmcnt(22)
	v_fmac_f64_e32 v[116:117], v[108:109], v[136:137]
	v_fma_f64 v[4:5], v[94:95], v[40:41], -v[4:5]
	v_add_f64 v[120:121], v[114:115], v[116:117]
	ds_read_b128 v[114:117], v1 offset:1440
	v_add_f64 v[2:3], v[2:3], v[4:5]
	v_mul_f64 v[4:5], v[100:101], v[50:51]
	v_fma_f64 v[4:5], v[98:99], v[52:53], -v[4:5]
	v_add_f64 v[2:3], v[2:3], v[4:5]
	v_mul_f64 v[4:5], v[104:105], v[46:47]
	s_waitcnt vmcnt(21) lgkmcnt(1)
	v_mul_f64 v[122:123], v[110:111], v[118:119]
	v_fma_f64 v[4:5], v[102:103], v[48:49], -v[4:5]
	s_waitcnt vmcnt(20)
	v_fmac_f64_e32 v[122:123], v[112:113], v[132:133]
	v_add_f64 v[2:3], v[2:3], v[4:5]
	v_mul_f64 v[4:5], v[108:109], v[134:135]
	v_add_f64 v[124:125], v[120:121], v[122:123]
	ds_read_b128 v[120:123], v1 offset:1456
	s_waitcnt vmcnt(16) lgkmcnt(1)
	v_mul_f64 v[126:127], v[114:115], v[142:143]
	v_fma_f64 v[4:5], v[106:107], v[136:137], -v[4:5]
	s_waitcnt vmcnt(14)
	v_fmac_f64_e32 v[126:127], v[116:117], v[144:145]
	v_add_f64 v[2:3], v[2:3], v[4:5]
	v_mul_f64 v[4:5], v[112:113], v[118:119]
	v_add_f64 v[158:159], v[124:125], v[126:127]
	ds_read_b128 v[124:127], v1 offset:1472
	v_fma_f64 v[4:5], v[110:111], v[132:133], -v[4:5]
	v_add_f64 v[2:3], v[2:3], v[4:5]
	v_mul_f64 v[4:5], v[116:117], v[142:143]
	v_fma_f64 v[4:5], v[114:115], v[144:145], -v[4:5]
	v_add_f64 v[2:3], v[2:3], v[4:5]
	s_waitcnt vmcnt(13) lgkmcnt(1)
	v_mul_f64 v[4:5], v[122:123], v[138:139]
	v_mul_f64 v[160:161], v[120:121], v[138:139]
	s_waitcnt vmcnt(12)
	v_fma_f64 v[4:5], v[120:121], v[140:141], -v[4:5]
	v_fmac_f64_e32 v[160:161], v[122:123], v[140:141]
	v_add_f64 v[2:3], v[2:3], v[4:5]
	s_waitcnt vmcnt(8) lgkmcnt(0)
	v_mul_f64 v[4:5], v[126:127], v[150:151]
	v_add_f64 v[158:159], v[158:159], v[160:161]
	v_mul_f64 v[160:161], v[124:125], v[150:151]
	s_waitcnt vmcnt(6)
	v_fma_f64 v[4:5], v[124:125], v[152:153], -v[4:5]
	v_fmac_f64_e32 v[160:161], v[126:127], v[152:153]
	v_add_f64 v[2:3], v[2:3], v[4:5]
	s_waitcnt vmcnt(5)
	v_mul_f64 v[4:5], v[130:131], v[146:147]
	v_add_f64 v[158:159], v[158:159], v[160:161]
	v_mul_f64 v[160:161], v[128:129], v[146:147]
	s_waitcnt vmcnt(4)
	v_fma_f64 v[4:5], v[128:129], v[148:149], -v[4:5]
	v_fmac_f64_e32 v[160:161], v[130:131], v[148:149]
	v_add_f64 v[2:3], v[2:3], v[4:5]
	v_add_f64 v[158:159], v[158:159], v[160:161]
	s_waitcnt vmcnt(2)
	v_add_f64 v[2:3], v[154:155], -v[2:3]
	s_waitcnt vmcnt(0)
	v_add_f64 v[4:5], v[156:157], -v[158:159]
	buffer_store_dword v3, off, s[0:3], 0 offset:452
	buffer_store_dword v2, off, s[0:3], 0 offset:448
	buffer_store_dword v5, off, s[0:3], 0 offset:460
	buffer_store_dword v4, off, s[0:3], 0 offset:456
	s_and_saveexec_b64 s[4:5], vcc
	s_cbranch_execz .LBB46_243
; %bb.242:
	v_accvgpr_read_b32 v0, a114
	buffer_load_dword v2, v0, s[0:3], 0 offen
	buffer_load_dword v3, v0, s[0:3], 0 offen offset:4
	buffer_load_dword v4, v0, s[0:3], 0 offen offset:8
	buffer_load_dword v5, v0, s[0:3], 0 offen offset:12
	v_accvgpr_read_b32 v0, a141
	buffer_store_dword v1, off, s[0:3], 0 offset:432
	buffer_store_dword v1, off, s[0:3], 0 offset:436
	;; [unrolled: 1-line block ×4, first 2 shown]
	s_waitcnt vmcnt(4)
	ds_write_b128 v0, v[2:5]
.LBB46_243:
	s_or_b64 exec, exec, s[4:5]
	s_waitcnt lgkmcnt(0)
	; wave barrier
	s_waitcnt lgkmcnt(0)
	buffer_load_dword v2, off, s[0:3], 0 offset:448
	buffer_load_dword v3, off, s[0:3], 0 offset:452
	buffer_load_dword v8, off, s[0:3], 0 offset:456
	buffer_load_dword v9, off, s[0:3], 0 offset:460
	buffer_load_dword v4, off, s[0:3], 0 offset:464
	buffer_load_dword v5, off, s[0:3], 0 offset:468
	buffer_load_dword v10, off, s[0:3], 0 offset:472
	buffer_load_dword v11, off, s[0:3], 0 offset:476
	buffer_load_dword v6, off, s[0:3], 0 offset:480
	buffer_load_dword v7, off, s[0:3], 0 offset:484
	buffer_load_dword v12, off, s[0:3], 0 offset:488
	buffer_load_dword v13, off, s[0:3], 0 offset:492
	buffer_load_dword v15, off, s[0:3], 0 offset:524
	buffer_load_dword v14, off, s[0:3], 0 offset:520
	buffer_load_dword v17, off, s[0:3], 0 offset:516
	buffer_load_dword v16, off, s[0:3], 0 offset:512
	buffer_load_dword v19, off, s[0:3], 0 offset:508
	buffer_load_dword v18, off, s[0:3], 0 offset:504
	buffer_load_dword v21, off, s[0:3], 0 offset:500
	buffer_load_dword v20, off, s[0:3], 0 offset:496
	buffer_load_dword v23, off, s[0:3], 0 offset:556
	buffer_load_dword v22, off, s[0:3], 0 offset:552
	buffer_load_dword v25, off, s[0:3], 0 offset:548
	buffer_load_dword v24, off, s[0:3], 0 offset:544
	buffer_load_dword v27, off, s[0:3], 0 offset:540
	buffer_load_dword v26, off, s[0:3], 0 offset:536
	buffer_load_dword v29, off, s[0:3], 0 offset:532
	buffer_load_dword v28, off, s[0:3], 0 offset:528
	buffer_load_dword v31, off, s[0:3], 0 offset:588
	buffer_load_dword v30, off, s[0:3], 0 offset:584
	buffer_load_dword v33, off, s[0:3], 0 offset:580
	buffer_load_dword v32, off, s[0:3], 0 offset:576
	buffer_load_dword v35, off, s[0:3], 0 offset:572
	buffer_load_dword v34, off, s[0:3], 0 offset:568
	buffer_load_dword v37, off, s[0:3], 0 offset:564
	buffer_load_dword v36, off, s[0:3], 0 offset:560
	buffer_load_dword v39, off, s[0:3], 0 offset:620
	buffer_load_dword v38, off, s[0:3], 0 offset:616
	buffer_load_dword v41, off, s[0:3], 0 offset:612
	buffer_load_dword v40, off, s[0:3], 0 offset:608
	buffer_load_dword v43, off, s[0:3], 0 offset:604
	buffer_load_dword v42, off, s[0:3], 0 offset:600
	buffer_load_dword v45, off, s[0:3], 0 offset:596
	buffer_load_dword v44, off, s[0:3], 0 offset:592
	buffer_load_dword v47, off, s[0:3], 0 offset:652
	buffer_load_dword v46, off, s[0:3], 0 offset:648
	buffer_load_dword v49, off, s[0:3], 0 offset:644
	buffer_load_dword v48, off, s[0:3], 0 offset:640
	buffer_load_dword v51, off, s[0:3], 0 offset:636
	buffer_load_dword v50, off, s[0:3], 0 offset:632
	buffer_load_dword v53, off, s[0:3], 0 offset:628
	buffer_load_dword v52, off, s[0:3], 0 offset:624
	buffer_load_dword v119, off, s[0:3], 0 offset:684
	buffer_load_dword v118, off, s[0:3], 0 offset:680
	buffer_load_dword v137, off, s[0:3], 0 offset:676
	buffer_load_dword v136, off, s[0:3], 0 offset:672
	buffer_load_dword v139, off, s[0:3], 0 offset:668
	buffer_load_dword v138, off, s[0:3], 0 offset:664
	buffer_load_dword v141, off, s[0:3], 0 offset:660
	buffer_load_dword v140, off, s[0:3], 0 offset:656
	buffer_load_dword v143, off, s[0:3], 0 offset:716
	buffer_load_dword v142, off, s[0:3], 0 offset:712
	buffer_load_dword v145, off, s[0:3], 0 offset:708
	buffer_load_dword v144, off, s[0:3], 0 offset:704
	buffer_load_dword v147, off, s[0:3], 0 offset:700
	buffer_load_dword v146, off, s[0:3], 0 offset:696
	buffer_load_dword v149, off, s[0:3], 0 offset:692
	buffer_load_dword v148, off, s[0:3], 0 offset:688
	buffer_load_dword v151, off, s[0:3], 0 offset:748
	buffer_load_dword v150, off, s[0:3], 0 offset:744
	buffer_load_dword v153, off, s[0:3], 0 offset:740
	buffer_load_dword v152, off, s[0:3], 0 offset:736
	buffer_load_dword v155, off, s[0:3], 0 offset:732
	buffer_load_dword v154, off, s[0:3], 0 offset:728
	buffer_load_dword v157, off, s[0:3], 0 offset:724
	buffer_load_dword v156, off, s[0:3], 0 offset:720
	ds_read_b128 v[54:57], v1 offset:1184
	buffer_load_dword v159, off, s[0:3], 0 offset:764
	buffer_load_dword v158, off, s[0:3], 0 offset:760
	;; [unrolled: 1-line block ×8, first 2 shown]
	ds_read_b128 v[58:61], v1 offset:1200
	ds_read_b128 v[62:65], v1 offset:1216
	;; [unrolled: 1-line block ×3, first 2 shown]
	v_cmp_lt_u32_e32 vcc, 25, v254
	ds_read_b128 v[132:135], v1 offset:1488
	s_waitcnt vmcnt(62) lgkmcnt(4)
	v_mul_f64 v[70:71], v[54:55], v[8:9]
	v_fmac_f64_e32 v[70:71], v[56:57], v[2:3]
	v_add_f64 v[70:71], v[70:71], 0
	v_mul_f64 v[8:9], v[56:57], v[8:9]
	s_waitcnt lgkmcnt(3)
	v_mul_f64 v[72:73], v[58:59], v[10:11]
	v_fmac_f64_e32 v[72:73], v[60:61], v[4:5]
	v_add_f64 v[70:71], v[70:71], v[72:73]
	v_fma_f64 v[2:3], v[54:55], v[2:3], -v[8:9]
	s_waitcnt lgkmcnt(2)
	v_mul_f64 v[72:73], v[62:63], v[12:13]
	v_fmac_f64_e32 v[72:73], v[64:65], v[6:7]
	v_add_f64 v[74:75], v[70:71], v[72:73]
	ds_read_b128 v[70:73], v1 offset:1248
	v_mul_f64 v[8:9], v[60:61], v[10:11]
	v_add_f64 v[2:3], v[2:3], 0
	s_waitcnt lgkmcnt(2)
	v_mul_f64 v[76:77], v[66:67], v[18:19]
	v_fma_f64 v[4:5], v[58:59], v[4:5], -v[8:9]
	v_fmac_f64_e32 v[76:77], v[68:69], v[20:21]
	v_add_f64 v[78:79], v[74:75], v[76:77]
	ds_read_b128 v[74:77], v1 offset:1264
	s_waitcnt lgkmcnt(1)
	v_mul_f64 v[80:81], v[70:71], v[14:15]
	v_fmac_f64_e32 v[80:81], v[72:73], v[16:17]
	v_add_f64 v[82:83], v[78:79], v[80:81]
	ds_read_b128 v[78:81], v1 offset:1280
	s_waitcnt vmcnt(58) lgkmcnt(1)
	v_mul_f64 v[84:85], v[74:75], v[26:27]
	s_waitcnt vmcnt(56)
	v_fmac_f64_e32 v[84:85], v[76:77], v[28:29]
	v_add_f64 v[86:87], v[82:83], v[84:85]
	ds_read_b128 v[82:85], v1 offset:1296
	s_waitcnt lgkmcnt(1)
	v_mul_f64 v[88:89], v[78:79], v[22:23]
	v_fmac_f64_e32 v[88:89], v[80:81], v[24:25]
	v_add_f64 v[90:91], v[86:87], v[88:89]
	ds_read_b128 v[86:89], v1 offset:1312
	s_waitcnt vmcnt(50) lgkmcnt(1)
	v_mul_f64 v[92:93], v[82:83], v[34:35]
	s_waitcnt vmcnt(48)
	v_fmac_f64_e32 v[92:93], v[84:85], v[36:37]
	v_add_f64 v[94:95], v[90:91], v[92:93]
	ds_read_b128 v[90:93], v1 offset:1328
	s_waitcnt lgkmcnt(1)
	v_mul_f64 v[96:97], v[86:87], v[30:31]
	v_fmac_f64_e32 v[96:97], v[88:89], v[32:33]
	v_add_f64 v[98:99], v[94:95], v[96:97]
	ds_read_b128 v[94:97], v1 offset:1344
	v_add_f64 v[2:3], v[2:3], v[4:5]
	v_mul_f64 v[4:5], v[64:65], v[12:13]
	v_fma_f64 v[4:5], v[62:63], v[6:7], -v[4:5]
	s_waitcnt vmcnt(42) lgkmcnt(1)
	v_mul_f64 v[100:101], v[90:91], v[42:43]
	v_add_f64 v[2:3], v[2:3], v[4:5]
	v_mul_f64 v[4:5], v[68:69], v[18:19]
	s_waitcnt vmcnt(40)
	v_fmac_f64_e32 v[100:101], v[92:93], v[44:45]
	v_fma_f64 v[4:5], v[66:67], v[20:21], -v[4:5]
	v_add_f64 v[102:103], v[98:99], v[100:101]
	ds_read_b128 v[98:101], v1 offset:1360
	s_waitcnt lgkmcnt(1)
	v_mul_f64 v[104:105], v[94:95], v[38:39]
	v_add_f64 v[2:3], v[2:3], v[4:5]
	v_mul_f64 v[4:5], v[72:73], v[14:15]
	v_fmac_f64_e32 v[104:105], v[96:97], v[40:41]
	v_fma_f64 v[4:5], v[70:71], v[16:17], -v[4:5]
	v_add_f64 v[106:107], v[102:103], v[104:105]
	ds_read_b128 v[102:105], v1 offset:1376
	v_add_f64 v[2:3], v[2:3], v[4:5]
	v_mul_f64 v[4:5], v[76:77], v[26:27]
	v_fma_f64 v[4:5], v[74:75], v[28:29], -v[4:5]
	v_add_f64 v[2:3], v[2:3], v[4:5]
	v_mul_f64 v[4:5], v[80:81], v[22:23]
	s_waitcnt vmcnt(34) lgkmcnt(1)
	v_mul_f64 v[108:109], v[98:99], v[50:51]
	v_fma_f64 v[4:5], v[78:79], v[24:25], -v[4:5]
	s_waitcnt vmcnt(32)
	v_fmac_f64_e32 v[108:109], v[100:101], v[52:53]
	v_add_f64 v[2:3], v[2:3], v[4:5]
	v_mul_f64 v[4:5], v[84:85], v[34:35]
	v_add_f64 v[110:111], v[106:107], v[108:109]
	ds_read_b128 v[106:109], v1 offset:1392
	s_waitcnt lgkmcnt(1)
	v_mul_f64 v[112:113], v[102:103], v[46:47]
	v_fma_f64 v[4:5], v[82:83], v[36:37], -v[4:5]
	v_fmac_f64_e32 v[112:113], v[104:105], v[48:49]
	v_add_f64 v[2:3], v[2:3], v[4:5]
	v_mul_f64 v[4:5], v[88:89], v[30:31]
	v_add_f64 v[114:115], v[110:111], v[112:113]
	ds_read_b128 v[110:113], v1 offset:1408
	v_fma_f64 v[4:5], v[86:87], v[32:33], -v[4:5]
	v_add_f64 v[2:3], v[2:3], v[4:5]
	v_mul_f64 v[4:5], v[92:93], v[42:43]
	v_fma_f64 v[4:5], v[90:91], v[44:45], -v[4:5]
	s_waitcnt vmcnt(26) lgkmcnt(1)
	v_mul_f64 v[116:117], v[106:107], v[138:139]
	v_add_f64 v[2:3], v[2:3], v[4:5]
	v_mul_f64 v[4:5], v[96:97], v[38:39]
	s_waitcnt vmcnt(24)
	v_fmac_f64_e32 v[116:117], v[108:109], v[140:141]
	v_fma_f64 v[4:5], v[94:95], v[40:41], -v[4:5]
	v_add_f64 v[120:121], v[114:115], v[116:117]
	ds_read_b128 v[114:117], v1 offset:1424
	s_waitcnt lgkmcnt(1)
	v_mul_f64 v[122:123], v[110:111], v[118:119]
	v_add_f64 v[2:3], v[2:3], v[4:5]
	v_mul_f64 v[4:5], v[100:101], v[50:51]
	v_fmac_f64_e32 v[122:123], v[112:113], v[136:137]
	v_fma_f64 v[4:5], v[98:99], v[52:53], -v[4:5]
	v_add_f64 v[124:125], v[120:121], v[122:123]
	ds_read_b128 v[120:123], v1 offset:1440
	v_add_f64 v[2:3], v[2:3], v[4:5]
	v_mul_f64 v[4:5], v[104:105], v[46:47]
	v_fma_f64 v[4:5], v[102:103], v[48:49], -v[4:5]
	v_add_f64 v[2:3], v[2:3], v[4:5]
	v_mul_f64 v[4:5], v[108:109], v[138:139]
	s_waitcnt vmcnt(18) lgkmcnt(1)
	v_mul_f64 v[126:127], v[114:115], v[146:147]
	v_fma_f64 v[4:5], v[106:107], v[140:141], -v[4:5]
	s_waitcnt vmcnt(16)
	v_fmac_f64_e32 v[126:127], v[116:117], v[148:149]
	v_add_f64 v[2:3], v[2:3], v[4:5]
	v_mul_f64 v[4:5], v[112:113], v[118:119]
	v_add_f64 v[128:129], v[124:125], v[126:127]
	ds_read_b128 v[124:127], v1 offset:1456
	s_waitcnt lgkmcnt(1)
	v_mul_f64 v[130:131], v[120:121], v[142:143]
	v_fma_f64 v[4:5], v[110:111], v[136:137], -v[4:5]
	v_fmac_f64_e32 v[130:131], v[122:123], v[144:145]
	v_add_f64 v[2:3], v[2:3], v[4:5]
	v_mul_f64 v[4:5], v[116:117], v[146:147]
	v_add_f64 v[166:167], v[128:129], v[130:131]
	ds_read_b128 v[128:131], v1 offset:1472
	v_fma_f64 v[4:5], v[114:115], v[148:149], -v[4:5]
	v_add_f64 v[2:3], v[2:3], v[4:5]
	v_mul_f64 v[4:5], v[122:123], v[142:143]
	v_fma_f64 v[4:5], v[120:121], v[144:145], -v[4:5]
	v_add_f64 v[2:3], v[2:3], v[4:5]
	s_waitcnt vmcnt(10) lgkmcnt(1)
	v_mul_f64 v[4:5], v[126:127], v[154:155]
	v_mul_f64 v[168:169], v[124:125], v[154:155]
	s_waitcnt vmcnt(8)
	v_fma_f64 v[4:5], v[124:125], v[156:157], -v[4:5]
	v_fmac_f64_e32 v[168:169], v[126:127], v[156:157]
	v_add_f64 v[2:3], v[2:3], v[4:5]
	s_waitcnt lgkmcnt(0)
	v_mul_f64 v[4:5], v[130:131], v[150:151]
	v_add_f64 v[166:167], v[166:167], v[168:169]
	v_mul_f64 v[168:169], v[128:129], v[150:151]
	v_fma_f64 v[4:5], v[128:129], v[152:153], -v[4:5]
	v_fmac_f64_e32 v[168:169], v[130:131], v[152:153]
	v_add_f64 v[2:3], v[2:3], v[4:5]
	s_waitcnt vmcnt(6)
	v_mul_f64 v[4:5], v[134:135], v[158:159]
	v_add_f64 v[166:167], v[166:167], v[168:169]
	v_mul_f64 v[168:169], v[132:133], v[158:159]
	s_waitcnt vmcnt(4)
	v_fma_f64 v[4:5], v[132:133], v[160:161], -v[4:5]
	v_fmac_f64_e32 v[168:169], v[134:135], v[160:161]
	v_add_f64 v[2:3], v[2:3], v[4:5]
	v_add_f64 v[166:167], v[166:167], v[168:169]
	s_waitcnt vmcnt(2)
	v_add_f64 v[2:3], v[162:163], -v[2:3]
	s_waitcnt vmcnt(0)
	v_add_f64 v[4:5], v[164:165], -v[166:167]
	buffer_store_dword v3, off, s[0:3], 0 offset:436
	buffer_store_dword v2, off, s[0:3], 0 offset:432
	;; [unrolled: 1-line block ×4, first 2 shown]
	s_and_saveexec_b64 s[4:5], vcc
	s_cbranch_execz .LBB46_245
; %bb.244:
	v_accvgpr_read_b32 v0, a115
	buffer_load_dword v2, v0, s[0:3], 0 offen
	buffer_load_dword v3, v0, s[0:3], 0 offen offset:4
	buffer_load_dword v4, v0, s[0:3], 0 offen offset:8
	;; [unrolled: 1-line block ×3, first 2 shown]
	v_mov_b32_e32 v0, 0
	v_accvgpr_read_b32 v1, a141
	buffer_store_dword v0, off, s[0:3], 0 offset:416
	buffer_store_dword v0, off, s[0:3], 0 offset:420
	;; [unrolled: 1-line block ×4, first 2 shown]
	s_waitcnt vmcnt(4)
	ds_write_b128 v1, v[2:5]
.LBB46_245:
	s_or_b64 exec, exec, s[4:5]
	s_waitcnt lgkmcnt(0)
	; wave barrier
	s_waitcnt lgkmcnt(0)
	buffer_load_dword v4, off, s[0:3], 0 offset:416
	buffer_load_dword v5, off, s[0:3], 0 offset:420
	buffer_load_dword v2, off, s[0:3], 0 offset:424
	buffer_load_dword v3, off, s[0:3], 0 offset:428
	buffer_load_dword v6, off, s[0:3], 0 offset:432
	buffer_load_dword v7, off, s[0:3], 0 offset:436
	buffer_load_dword v12, off, s[0:3], 0 offset:440
	buffer_load_dword v13, off, s[0:3], 0 offset:444
	buffer_load_dword v8, off, s[0:3], 0 offset:448
	buffer_load_dword v9, off, s[0:3], 0 offset:452
	buffer_load_dword v14, off, s[0:3], 0 offset:456
	buffer_load_dword v15, off, s[0:3], 0 offset:460
	buffer_load_dword v10, off, s[0:3], 0 offset:464
	buffer_load_dword v11, off, s[0:3], 0 offset:468
	buffer_load_dword v16, off, s[0:3], 0 offset:472
	buffer_load_dword v17, off, s[0:3], 0 offset:476
	buffer_load_dword v19, off, s[0:3], 0 offset:508
	buffer_load_dword v18, off, s[0:3], 0 offset:504
	buffer_load_dword v21, off, s[0:3], 0 offset:500
	buffer_load_dword v20, off, s[0:3], 0 offset:496
	buffer_load_dword v23, off, s[0:3], 0 offset:492
	buffer_load_dword v22, off, s[0:3], 0 offset:488
	buffer_load_dword v25, off, s[0:3], 0 offset:484
	buffer_load_dword v24, off, s[0:3], 0 offset:480
	buffer_load_dword v27, off, s[0:3], 0 offset:540
	buffer_load_dword v26, off, s[0:3], 0 offset:536
	buffer_load_dword v29, off, s[0:3], 0 offset:532
	buffer_load_dword v28, off, s[0:3], 0 offset:528
	buffer_load_dword v31, off, s[0:3], 0 offset:524
	buffer_load_dword v30, off, s[0:3], 0 offset:520
	buffer_load_dword v33, off, s[0:3], 0 offset:516
	buffer_load_dword v32, off, s[0:3], 0 offset:512
	buffer_load_dword v35, off, s[0:3], 0 offset:572
	buffer_load_dword v34, off, s[0:3], 0 offset:568
	buffer_load_dword v37, off, s[0:3], 0 offset:564
	buffer_load_dword v36, off, s[0:3], 0 offset:560
	buffer_load_dword v39, off, s[0:3], 0 offset:556
	buffer_load_dword v38, off, s[0:3], 0 offset:552
	buffer_load_dword v41, off, s[0:3], 0 offset:548
	buffer_load_dword v40, off, s[0:3], 0 offset:544
	buffer_load_dword v43, off, s[0:3], 0 offset:604
	buffer_load_dword v42, off, s[0:3], 0 offset:600
	buffer_load_dword v45, off, s[0:3], 0 offset:596
	buffer_load_dword v44, off, s[0:3], 0 offset:592
	buffer_load_dword v47, off, s[0:3], 0 offset:588
	buffer_load_dword v46, off, s[0:3], 0 offset:584
	buffer_load_dword v49, off, s[0:3], 0 offset:580
	buffer_load_dword v48, off, s[0:3], 0 offset:576
	buffer_load_dword v51, off, s[0:3], 0 offset:636
	buffer_load_dword v50, off, s[0:3], 0 offset:632
	buffer_load_dword v53, off, s[0:3], 0 offset:628
	buffer_load_dword v52, off, s[0:3], 0 offset:624
	buffer_load_dword v55, off, s[0:3], 0 offset:620
	buffer_load_dword v54, off, s[0:3], 0 offset:616
	buffer_load_dword v57, off, s[0:3], 0 offset:612
	buffer_load_dword v56, off, s[0:3], 0 offset:608
	buffer_load_dword v59, off, s[0:3], 0 offset:668
	buffer_load_dword v58, off, s[0:3], 0 offset:664
	buffer_load_dword v61, off, s[0:3], 0 offset:660
	buffer_load_dword v60, off, s[0:3], 0 offset:656
	buffer_load_dword v63, off, s[0:3], 0 offset:652
	buffer_load_dword v62, off, s[0:3], 0 offset:648
	buffer_load_dword v65, off, s[0:3], 0 offset:644
	buffer_load_dword v64, off, s[0:3], 0 offset:640
	buffer_load_dword v119, off, s[0:3], 0 offset:700
	buffer_load_dword v118, off, s[0:3], 0 offset:696
	buffer_load_dword v153, off, s[0:3], 0 offset:692
	buffer_load_dword v152, off, s[0:3], 0 offset:688
	buffer_load_dword v155, off, s[0:3], 0 offset:684
	buffer_load_dword v154, off, s[0:3], 0 offset:680
	buffer_load_dword v157, off, s[0:3], 0 offset:676
	buffer_load_dword v156, off, s[0:3], 0 offset:672
	buffer_load_dword v159, off, s[0:3], 0 offset:732
	buffer_load_dword v158, off, s[0:3], 0 offset:728
	buffer_load_dword v161, off, s[0:3], 0 offset:724
	buffer_load_dword v160, off, s[0:3], 0 offset:720
	buffer_load_dword v163, off, s[0:3], 0 offset:716
	buffer_load_dword v162, off, s[0:3], 0 offset:712
	buffer_load_dword v165, off, s[0:3], 0 offset:708
	buffer_load_dword v164, off, s[0:3], 0 offset:704
	buffer_load_dword v167, off, s[0:3], 0 offset:748
	buffer_load_dword v166, off, s[0:3], 0 offset:744
	buffer_load_dword v169, off, s[0:3], 0 offset:740
	buffer_load_dword v168, off, s[0:3], 0 offset:736
	v_mov_b32_e32 v1, 0
	ds_read_b128 v[66:69], v1 offset:1168
	buffer_load_dword v171, off, s[0:3], 0 offset:764
	buffer_load_dword v170, off, s[0:3], 0 offset:760
	;; [unrolled: 1-line block ×4, first 2 shown]
	ds_read_b128 v[70:73], v1 offset:1184
	ds_read_b128 v[74:77], v1 offset:1200
	ds_read_b128 v[78:81], v1 offset:1216
	ds_read_b128 v[148:151], v1 offset:1488
	v_cmp_lt_u32_e32 vcc, 24, v254
	s_waitcnt vmcnt(62) lgkmcnt(4)
	v_mul_f64 v[82:83], v[66:67], v[12:13]
	v_fmac_f64_e32 v[82:83], v[68:69], v[6:7]
	s_waitcnt lgkmcnt(3)
	v_mul_f64 v[84:85], v[70:71], v[14:15]
	v_add_f64 v[82:83], v[82:83], 0
	v_fmac_f64_e32 v[84:85], v[72:73], v[8:9]
	v_add_f64 v[82:83], v[82:83], v[84:85]
	s_waitcnt lgkmcnt(2)
	v_mul_f64 v[84:85], v[74:75], v[16:17]
	v_fmac_f64_e32 v[84:85], v[76:77], v[10:11]
	v_add_f64 v[86:87], v[82:83], v[84:85]
	ds_read_b128 v[82:85], v1 offset:1232
	v_mul_f64 v[12:13], v[68:69], v[12:13]
	s_waitcnt lgkmcnt(2)
	v_mul_f64 v[88:89], v[78:79], v[22:23]
	v_fma_f64 v[6:7], v[66:67], v[6:7], -v[12:13]
	v_fmac_f64_e32 v[88:89], v[80:81], v[24:25]
	v_add_f64 v[90:91], v[86:87], v[88:89]
	ds_read_b128 v[86:89], v1 offset:1248
	s_waitcnt lgkmcnt(1)
	v_mul_f64 v[92:93], v[82:83], v[18:19]
	v_fmac_f64_e32 v[92:93], v[84:85], v[20:21]
	v_add_f64 v[94:95], v[90:91], v[92:93]
	ds_read_b128 v[90:93], v1 offset:1264
	s_waitcnt vmcnt(58) lgkmcnt(1)
	v_mul_f64 v[96:97], v[86:87], v[30:31]
	s_waitcnt vmcnt(56)
	v_fmac_f64_e32 v[96:97], v[88:89], v[32:33]
	v_add_f64 v[98:99], v[94:95], v[96:97]
	ds_read_b128 v[94:97], v1 offset:1280
	s_waitcnt lgkmcnt(1)
	v_mul_f64 v[100:101], v[90:91], v[26:27]
	v_fmac_f64_e32 v[100:101], v[92:93], v[28:29]
	v_add_f64 v[102:103], v[98:99], v[100:101]
	ds_read_b128 v[98:101], v1 offset:1296
	s_waitcnt vmcnt(50) lgkmcnt(1)
	v_mul_f64 v[104:105], v[94:95], v[38:39]
	s_waitcnt vmcnt(48)
	v_fmac_f64_e32 v[104:105], v[96:97], v[40:41]
	v_add_f64 v[106:107], v[102:103], v[104:105]
	ds_read_b128 v[102:105], v1 offset:1312
	s_waitcnt lgkmcnt(1)
	v_mul_f64 v[108:109], v[98:99], v[34:35]
	v_fmac_f64_e32 v[108:109], v[100:101], v[36:37]
	v_mul_f64 v[12:13], v[72:73], v[14:15]
	v_add_f64 v[110:111], v[106:107], v[108:109]
	ds_read_b128 v[106:109], v1 offset:1328
	s_waitcnt vmcnt(42) lgkmcnt(1)
	v_mul_f64 v[112:113], v[102:103], v[46:47]
	v_add_f64 v[6:7], v[6:7], 0
	v_fma_f64 v[8:9], v[70:71], v[8:9], -v[12:13]
	s_waitcnt vmcnt(40)
	v_fmac_f64_e32 v[112:113], v[104:105], v[48:49]
	v_add_f64 v[6:7], v[6:7], v[8:9]
	v_mul_f64 v[8:9], v[76:77], v[16:17]
	v_add_f64 v[114:115], v[110:111], v[112:113]
	ds_read_b128 v[110:113], v1 offset:1344
	v_fma_f64 v[8:9], v[74:75], v[10:11], -v[8:9]
	v_add_f64 v[6:7], v[6:7], v[8:9]
	v_mul_f64 v[8:9], v[80:81], v[22:23]
	v_fma_f64 v[8:9], v[78:79], v[24:25], -v[8:9]
	s_waitcnt lgkmcnt(1)
	v_mul_f64 v[116:117], v[106:107], v[42:43]
	v_add_f64 v[6:7], v[6:7], v[8:9]
	v_mul_f64 v[8:9], v[84:85], v[18:19]
	v_fmac_f64_e32 v[116:117], v[108:109], v[44:45]
	v_fma_f64 v[8:9], v[82:83], v[20:21], -v[8:9]
	v_add_f64 v[120:121], v[114:115], v[116:117]
	ds_read_b128 v[114:117], v1 offset:1360
	s_waitcnt vmcnt(34) lgkmcnt(1)
	v_mul_f64 v[122:123], v[110:111], v[54:55]
	v_add_f64 v[6:7], v[6:7], v[8:9]
	v_mul_f64 v[8:9], v[88:89], v[30:31]
	s_waitcnt vmcnt(32)
	v_fmac_f64_e32 v[122:123], v[112:113], v[56:57]
	v_fma_f64 v[8:9], v[86:87], v[32:33], -v[8:9]
	v_add_f64 v[124:125], v[120:121], v[122:123]
	ds_read_b128 v[120:123], v1 offset:1376
	v_add_f64 v[6:7], v[6:7], v[8:9]
	v_mul_f64 v[8:9], v[92:93], v[26:27]
	v_fma_f64 v[8:9], v[90:91], v[28:29], -v[8:9]
	v_add_f64 v[6:7], v[6:7], v[8:9]
	v_mul_f64 v[8:9], v[96:97], v[38:39]
	s_waitcnt lgkmcnt(1)
	v_mul_f64 v[126:127], v[114:115], v[50:51]
	v_fma_f64 v[8:9], v[94:95], v[40:41], -v[8:9]
	v_fmac_f64_e32 v[126:127], v[116:117], v[52:53]
	v_add_f64 v[6:7], v[6:7], v[8:9]
	v_mul_f64 v[8:9], v[100:101], v[34:35]
	v_add_f64 v[128:129], v[124:125], v[126:127]
	ds_read_b128 v[124:127], v1 offset:1392
	s_waitcnt vmcnt(26) lgkmcnt(1)
	v_mul_f64 v[130:131], v[120:121], v[62:63]
	v_fma_f64 v[8:9], v[98:99], v[36:37], -v[8:9]
	s_waitcnt vmcnt(24)
	v_fmac_f64_e32 v[130:131], v[122:123], v[64:65]
	v_add_f64 v[6:7], v[6:7], v[8:9]
	v_mul_f64 v[8:9], v[104:105], v[46:47]
	v_add_f64 v[132:133], v[128:129], v[130:131]
	ds_read_b128 v[128:131], v1 offset:1408
	v_fma_f64 v[8:9], v[102:103], v[48:49], -v[8:9]
	v_add_f64 v[6:7], v[6:7], v[8:9]
	v_mul_f64 v[8:9], v[108:109], v[42:43]
	v_fma_f64 v[8:9], v[106:107], v[44:45], -v[8:9]
	s_waitcnt lgkmcnt(1)
	v_mul_f64 v[134:135], v[124:125], v[58:59]
	v_add_f64 v[6:7], v[6:7], v[8:9]
	v_mul_f64 v[8:9], v[112:113], v[54:55]
	v_fmac_f64_e32 v[134:135], v[126:127], v[60:61]
	v_fma_f64 v[8:9], v[110:111], v[56:57], -v[8:9]
	v_add_f64 v[136:137], v[132:133], v[134:135]
	ds_read_b128 v[132:135], v1 offset:1424
	s_waitcnt vmcnt(18) lgkmcnt(1)
	v_mul_f64 v[138:139], v[128:129], v[154:155]
	v_add_f64 v[6:7], v[6:7], v[8:9]
	v_mul_f64 v[8:9], v[116:117], v[50:51]
	s_waitcnt vmcnt(16)
	v_fmac_f64_e32 v[138:139], v[130:131], v[156:157]
	v_fma_f64 v[8:9], v[114:115], v[52:53], -v[8:9]
	v_add_f64 v[140:141], v[136:137], v[138:139]
	ds_read_b128 v[136:139], v1 offset:1440
	v_add_f64 v[6:7], v[6:7], v[8:9]
	v_mul_f64 v[8:9], v[122:123], v[62:63]
	v_fma_f64 v[8:9], v[120:121], v[64:65], -v[8:9]
	v_add_f64 v[6:7], v[6:7], v[8:9]
	v_mul_f64 v[8:9], v[126:127], v[58:59]
	s_waitcnt lgkmcnt(1)
	v_mul_f64 v[142:143], v[132:133], v[118:119]
	v_fma_f64 v[8:9], v[124:125], v[60:61], -v[8:9]
	v_fmac_f64_e32 v[142:143], v[134:135], v[152:153]
	v_add_f64 v[6:7], v[6:7], v[8:9]
	v_mul_f64 v[8:9], v[130:131], v[154:155]
	v_add_f64 v[144:145], v[140:141], v[142:143]
	ds_read_b128 v[140:143], v1 offset:1456
	s_waitcnt vmcnt(10) lgkmcnt(1)
	v_mul_f64 v[146:147], v[136:137], v[162:163]
	v_fma_f64 v[8:9], v[128:129], v[156:157], -v[8:9]
	s_waitcnt vmcnt(8)
	v_fmac_f64_e32 v[146:147], v[138:139], v[164:165]
	v_add_f64 v[6:7], v[6:7], v[8:9]
	v_mul_f64 v[8:9], v[134:135], v[118:119]
	v_add_f64 v[174:175], v[144:145], v[146:147]
	ds_read_b128 v[144:147], v1 offset:1472
	v_fma_f64 v[8:9], v[132:133], v[152:153], -v[8:9]
	v_add_f64 v[6:7], v[6:7], v[8:9]
	v_mul_f64 v[8:9], v[138:139], v[162:163]
	v_fma_f64 v[8:9], v[136:137], v[164:165], -v[8:9]
	v_add_f64 v[6:7], v[6:7], v[8:9]
	s_waitcnt lgkmcnt(1)
	v_mul_f64 v[8:9], v[142:143], v[158:159]
	v_mul_f64 v[176:177], v[140:141], v[158:159]
	v_fma_f64 v[8:9], v[140:141], v[160:161], -v[8:9]
	v_fmac_f64_e32 v[176:177], v[142:143], v[160:161]
	v_add_f64 v[6:7], v[6:7], v[8:9]
	s_waitcnt vmcnt(6) lgkmcnt(0)
	v_mul_f64 v[8:9], v[146:147], v[166:167]
	v_add_f64 v[174:175], v[174:175], v[176:177]
	v_mul_f64 v[176:177], v[144:145], v[166:167]
	s_waitcnt vmcnt(4)
	v_fma_f64 v[8:9], v[144:145], v[168:169], -v[8:9]
	v_fmac_f64_e32 v[176:177], v[146:147], v[168:169]
	v_add_f64 v[6:7], v[6:7], v[8:9]
	s_waitcnt vmcnt(2)
	v_mul_f64 v[8:9], v[150:151], v[170:171]
	v_add_f64 v[174:175], v[174:175], v[176:177]
	v_mul_f64 v[176:177], v[148:149], v[170:171]
	s_waitcnt vmcnt(0)
	v_fma_f64 v[8:9], v[148:149], v[172:173], -v[8:9]
	v_fmac_f64_e32 v[176:177], v[150:151], v[172:173]
	v_add_f64 v[6:7], v[6:7], v[8:9]
	v_add_f64 v[174:175], v[174:175], v[176:177]
	v_add_f64 v[4:5], v[4:5], -v[6:7]
	v_add_f64 v[2:3], v[2:3], -v[174:175]
	buffer_store_dword v5, off, s[0:3], 0 offset:420
	buffer_store_dword v4, off, s[0:3], 0 offset:416
	;; [unrolled: 1-line block ×4, first 2 shown]
	s_and_saveexec_b64 s[4:5], vcc
	s_cbranch_execz .LBB46_247
; %bb.246:
	v_accvgpr_read_b32 v0, a116
	buffer_load_dword v2, v0, s[0:3], 0 offen
	buffer_load_dword v3, v0, s[0:3], 0 offen offset:4
	buffer_load_dword v4, v0, s[0:3], 0 offen offset:8
	buffer_load_dword v5, v0, s[0:3], 0 offen offset:12
	v_accvgpr_read_b32 v0, a141
	buffer_store_dword v1, off, s[0:3], 0 offset:400
	buffer_store_dword v1, off, s[0:3], 0 offset:404
	buffer_store_dword v1, off, s[0:3], 0 offset:408
	buffer_store_dword v1, off, s[0:3], 0 offset:412
	s_waitcnt vmcnt(4)
	ds_write_b128 v0, v[2:5]
.LBB46_247:
	s_or_b64 exec, exec, s[4:5]
	s_waitcnt lgkmcnt(0)
	; wave barrier
	s_waitcnt lgkmcnt(0)
	ds_read_b128 v[14:17], v1 offset:1152
	ds_read_b128 v[10:13], v1 offset:1168
	;; [unrolled: 1-line block ×4, first 2 shown]
	buffer_load_dword v20, off, s[0:3], 0 offset:400
	buffer_load_dword v21, off, s[0:3], 0 offset:404
	buffer_load_dword v18, off, s[0:3], 0 offset:408
	buffer_load_dword v19, off, s[0:3], 0 offset:412
	buffer_load_dword v22, off, s[0:3], 0 offset:416
	buffer_load_dword v23, off, s[0:3], 0 offset:420
	buffer_load_dword v28, off, s[0:3], 0 offset:424
	buffer_load_dword v29, off, s[0:3], 0 offset:428
	buffer_load_dword v24, off, s[0:3], 0 offset:432
	buffer_load_dword v25, off, s[0:3], 0 offset:436
	buffer_load_dword v30, off, s[0:3], 0 offset:440
	buffer_load_dword v31, off, s[0:3], 0 offset:444
	buffer_load_dword v26, off, s[0:3], 0 offset:448
	buffer_load_dword v27, off, s[0:3], 0 offset:452
	buffer_load_dword v32, off, s[0:3], 0 offset:456
	buffer_load_dword v33, off, s[0:3], 0 offset:460
	buffer_load_dword v35, off, s[0:3], 0 offset:492
	buffer_load_dword v34, off, s[0:3], 0 offset:488
	buffer_load_dword v37, off, s[0:3], 0 offset:484
	buffer_load_dword v36, off, s[0:3], 0 offset:480
	buffer_load_dword v39, off, s[0:3], 0 offset:476
	buffer_load_dword v38, off, s[0:3], 0 offset:472
	buffer_load_dword v41, off, s[0:3], 0 offset:468
	buffer_load_dword v40, off, s[0:3], 0 offset:464
	buffer_load_dword v43, off, s[0:3], 0 offset:524
	buffer_load_dword v42, off, s[0:3], 0 offset:520
	buffer_load_dword v45, off, s[0:3], 0 offset:516
	buffer_load_dword v44, off, s[0:3], 0 offset:512
	buffer_load_dword v47, off, s[0:3], 0 offset:508
	buffer_load_dword v46, off, s[0:3], 0 offset:504
	buffer_load_dword v49, off, s[0:3], 0 offset:500
	buffer_load_dword v48, off, s[0:3], 0 offset:496
	buffer_load_dword v51, off, s[0:3], 0 offset:556
	buffer_load_dword v50, off, s[0:3], 0 offset:552
	buffer_load_dword v53, off, s[0:3], 0 offset:548
	buffer_load_dword v52, off, s[0:3], 0 offset:544
	buffer_load_dword v55, off, s[0:3], 0 offset:540
	buffer_load_dword v54, off, s[0:3], 0 offset:536
	buffer_load_dword v57, off, s[0:3], 0 offset:532
	buffer_load_dword v56, off, s[0:3], 0 offset:528
	buffer_load_dword v59, off, s[0:3], 0 offset:588
	buffer_load_dword v58, off, s[0:3], 0 offset:584
	buffer_load_dword v61, off, s[0:3], 0 offset:580
	buffer_load_dword v60, off, s[0:3], 0 offset:576
	buffer_load_dword v63, off, s[0:3], 0 offset:572
	buffer_load_dword v62, off, s[0:3], 0 offset:568
	buffer_load_dword v65, off, s[0:3], 0 offset:564
	buffer_load_dword v64, off, s[0:3], 0 offset:560
	buffer_load_dword v67, off, s[0:3], 0 offset:620
	buffer_load_dword v66, off, s[0:3], 0 offset:616
	buffer_load_dword v69, off, s[0:3], 0 offset:612
	buffer_load_dword v68, off, s[0:3], 0 offset:608
	buffer_load_dword v71, off, s[0:3], 0 offset:604
	buffer_load_dword v70, off, s[0:3], 0 offset:600
	buffer_load_dword v73, off, s[0:3], 0 offset:596
	buffer_load_dword v72, off, s[0:3], 0 offset:592
	buffer_load_dword v75, off, s[0:3], 0 offset:652
	buffer_load_dword v74, off, s[0:3], 0 offset:648
	buffer_load_dword v77, off, s[0:3], 0 offset:644
	buffer_load_dword v76, off, s[0:3], 0 offset:640
	buffer_load_dword v79, off, s[0:3], 0 offset:636
	buffer_load_dword v78, off, s[0:3], 0 offset:632
	buffer_load_dword v81, off, s[0:3], 0 offset:628
	buffer_load_dword v80, off, s[0:3], 0 offset:624
	buffer_load_dword v83, off, s[0:3], 0 offset:684
	buffer_load_dword v82, off, s[0:3], 0 offset:680
	buffer_load_dword v85, off, s[0:3], 0 offset:676
	buffer_load_dword v84, off, s[0:3], 0 offset:672
	buffer_load_dword v119, off, s[0:3], 0 offset:668
	buffer_load_dword v118, off, s[0:3], 0 offset:664
	buffer_load_dword v161, off, s[0:3], 0 offset:660
	buffer_load_dword v160, off, s[0:3], 0 offset:656
	buffer_load_dword v163, off, s[0:3], 0 offset:716
	buffer_load_dword v162, off, s[0:3], 0 offset:712
	buffer_load_dword v165, off, s[0:3], 0 offset:708
	buffer_load_dword v164, off, s[0:3], 0 offset:704
	buffer_load_dword v167, off, s[0:3], 0 offset:700
	buffer_load_dword v166, off, s[0:3], 0 offset:696
	buffer_load_dword v169, off, s[0:3], 0 offset:692
	buffer_load_dword v168, off, s[0:3], 0 offset:688
	buffer_load_dword v171, off, s[0:3], 0 offset:748
	buffer_load_dword v170, off, s[0:3], 0 offset:744
	buffer_load_dword v173, off, s[0:3], 0 offset:740
	buffer_load_dword v172, off, s[0:3], 0 offset:736
	buffer_load_dword v175, off, s[0:3], 0 offset:732
	buffer_load_dword v174, off, s[0:3], 0 offset:728
	buffer_load_dword v177, off, s[0:3], 0 offset:724
	buffer_load_dword v176, off, s[0:3], 0 offset:720
	buffer_load_dword v179, off, s[0:3], 0 offset:764
	buffer_load_dword v178, off, s[0:3], 0 offset:760
	buffer_load_dword v181, off, s[0:3], 0 offset:756
	buffer_load_dword v180, off, s[0:3], 0 offset:752
	s_waitcnt vmcnt(62) lgkmcnt(3)
	v_mul_f64 v[86:87], v[14:15], v[28:29]
	v_fmac_f64_e32 v[86:87], v[16:17], v[22:23]
	s_waitcnt lgkmcnt(2)
	v_mul_f64 v[88:89], v[10:11], v[30:31]
	v_add_f64 v[86:87], v[86:87], 0
	v_fmac_f64_e32 v[88:89], v[12:13], v[24:25]
	v_add_f64 v[86:87], v[86:87], v[88:89]
	s_waitcnt lgkmcnt(1)
	v_mul_f64 v[88:89], v[6:7], v[32:33]
	v_fmac_f64_e32 v[88:89], v[8:9], v[26:27]
	v_add_f64 v[90:91], v[86:87], v[88:89]
	ds_read_b128 v[86:89], v1 offset:1216
	v_mul_f64 v[16:17], v[16:17], v[28:29]
	v_fma_f64 v[14:15], v[14:15], v[22:23], -v[16:17]
	s_waitcnt lgkmcnt(1)
	v_mul_f64 v[92:93], v[2:3], v[38:39]
	v_mul_f64 v[12:13], v[12:13], v[30:31]
	v_fmac_f64_e32 v[92:93], v[4:5], v[40:41]
	v_add_f64 v[94:95], v[90:91], v[92:93]
	ds_read_b128 v[90:93], v1 offset:1232
	s_waitcnt lgkmcnt(1)
	v_mul_f64 v[96:97], v[86:87], v[34:35]
	v_fmac_f64_e32 v[96:97], v[88:89], v[36:37]
	v_add_f64 v[98:99], v[94:95], v[96:97]
	ds_read_b128 v[94:97], v1 offset:1248
	s_waitcnt lgkmcnt(1)
	v_mul_f64 v[100:101], v[90:91], v[46:47]
	s_waitcnt vmcnt(60)
	v_fmac_f64_e32 v[100:101], v[92:93], v[48:49]
	v_add_f64 v[102:103], v[98:99], v[100:101]
	ds_read_b128 v[98:101], v1 offset:1264
	s_waitcnt lgkmcnt(1)
	v_mul_f64 v[104:105], v[94:95], v[42:43]
	v_fmac_f64_e32 v[104:105], v[96:97], v[44:45]
	v_add_f64 v[106:107], v[102:103], v[104:105]
	ds_read_b128 v[102:105], v1 offset:1280
	s_waitcnt vmcnt(54) lgkmcnt(1)
	v_mul_f64 v[108:109], v[98:99], v[54:55]
	s_waitcnt vmcnt(52)
	v_fmac_f64_e32 v[108:109], v[100:101], v[56:57]
	v_add_f64 v[110:111], v[106:107], v[108:109]
	ds_read_b128 v[106:109], v1 offset:1296
	s_waitcnt lgkmcnt(1)
	v_mul_f64 v[112:113], v[102:103], v[50:51]
	v_fmac_f64_e32 v[112:113], v[104:105], v[52:53]
	v_add_f64 v[114:115], v[110:111], v[112:113]
	ds_read_b128 v[110:113], v1 offset:1312
	s_waitcnt vmcnt(46) lgkmcnt(1)
	v_mul_f64 v[116:117], v[106:107], v[62:63]
	s_waitcnt vmcnt(44)
	v_fmac_f64_e32 v[116:117], v[108:109], v[64:65]
	v_add_f64 v[120:121], v[114:115], v[116:117]
	ds_read_b128 v[114:117], v1 offset:1328
	s_waitcnt lgkmcnt(1)
	v_mul_f64 v[122:123], v[110:111], v[58:59]
	v_fmac_f64_e32 v[122:123], v[112:113], v[60:61]
	v_add_f64 v[14:15], v[14:15], 0
	v_fma_f64 v[10:11], v[10:11], v[24:25], -v[12:13]
	v_mul_f64 v[8:9], v[8:9], v[32:33]
	v_add_f64 v[124:125], v[120:121], v[122:123]
	ds_read_b128 v[120:123], v1 offset:1344
	v_add_f64 v[10:11], v[14:15], v[10:11]
	v_fma_f64 v[6:7], v[6:7], v[26:27], -v[8:9]
	v_mul_f64 v[4:5], v[4:5], v[38:39]
	v_add_f64 v[6:7], v[10:11], v[6:7]
	v_fma_f64 v[2:3], v[2:3], v[40:41], -v[4:5]
	v_mul_f64 v[4:5], v[88:89], v[34:35]
	v_add_f64 v[2:3], v[6:7], v[2:3]
	v_fma_f64 v[4:5], v[86:87], v[36:37], -v[4:5]
	s_waitcnt vmcnt(38) lgkmcnt(1)
	v_mul_f64 v[126:127], v[114:115], v[70:71]
	v_add_f64 v[2:3], v[2:3], v[4:5]
	v_mul_f64 v[4:5], v[92:93], v[46:47]
	s_waitcnt vmcnt(36)
	v_fmac_f64_e32 v[126:127], v[116:117], v[72:73]
	v_fma_f64 v[4:5], v[90:91], v[48:49], -v[4:5]
	v_add_f64 v[128:129], v[124:125], v[126:127]
	ds_read_b128 v[124:127], v1 offset:1360
	s_waitcnt lgkmcnt(1)
	v_mul_f64 v[130:131], v[120:121], v[66:67]
	v_add_f64 v[2:3], v[2:3], v[4:5]
	v_mul_f64 v[4:5], v[96:97], v[42:43]
	v_fmac_f64_e32 v[130:131], v[122:123], v[68:69]
	v_fma_f64 v[4:5], v[94:95], v[44:45], -v[4:5]
	v_add_f64 v[132:133], v[128:129], v[130:131]
	ds_read_b128 v[128:131], v1 offset:1376
	v_add_f64 v[2:3], v[2:3], v[4:5]
	v_mul_f64 v[4:5], v[100:101], v[54:55]
	v_fma_f64 v[4:5], v[98:99], v[56:57], -v[4:5]
	v_add_f64 v[2:3], v[2:3], v[4:5]
	v_mul_f64 v[4:5], v[104:105], v[50:51]
	s_waitcnt vmcnt(30) lgkmcnt(1)
	v_mul_f64 v[134:135], v[124:125], v[78:79]
	v_fma_f64 v[4:5], v[102:103], v[52:53], -v[4:5]
	s_waitcnt vmcnt(28)
	v_fmac_f64_e32 v[134:135], v[126:127], v[80:81]
	v_add_f64 v[2:3], v[2:3], v[4:5]
	v_mul_f64 v[4:5], v[108:109], v[62:63]
	v_add_f64 v[136:137], v[132:133], v[134:135]
	ds_read_b128 v[132:135], v1 offset:1392
	s_waitcnt lgkmcnt(1)
	v_mul_f64 v[138:139], v[128:129], v[74:75]
	v_fma_f64 v[4:5], v[106:107], v[64:65], -v[4:5]
	v_fmac_f64_e32 v[138:139], v[130:131], v[76:77]
	v_add_f64 v[2:3], v[2:3], v[4:5]
	v_mul_f64 v[4:5], v[112:113], v[58:59]
	v_add_f64 v[140:141], v[136:137], v[138:139]
	ds_read_b128 v[136:139], v1 offset:1408
	v_fma_f64 v[4:5], v[110:111], v[60:61], -v[4:5]
	v_add_f64 v[2:3], v[2:3], v[4:5]
	v_mul_f64 v[4:5], v[116:117], v[70:71]
	v_fma_f64 v[4:5], v[114:115], v[72:73], -v[4:5]
	s_waitcnt vmcnt(22) lgkmcnt(1)
	v_mul_f64 v[142:143], v[132:133], v[118:119]
	v_add_f64 v[2:3], v[2:3], v[4:5]
	v_mul_f64 v[4:5], v[122:123], v[66:67]
	s_waitcnt vmcnt(20)
	v_fmac_f64_e32 v[142:143], v[134:135], v[160:161]
	v_fma_f64 v[4:5], v[120:121], v[68:69], -v[4:5]
	v_add_f64 v[144:145], v[140:141], v[142:143]
	ds_read_b128 v[140:143], v1 offset:1424
	s_waitcnt lgkmcnt(1)
	v_mul_f64 v[146:147], v[136:137], v[82:83]
	v_add_f64 v[2:3], v[2:3], v[4:5]
	v_mul_f64 v[4:5], v[126:127], v[78:79]
	v_fmac_f64_e32 v[146:147], v[138:139], v[84:85]
	v_fma_f64 v[4:5], v[124:125], v[80:81], -v[4:5]
	v_add_f64 v[148:149], v[144:145], v[146:147]
	ds_read_b128 v[144:147], v1 offset:1440
	v_add_f64 v[2:3], v[2:3], v[4:5]
	v_mul_f64 v[4:5], v[130:131], v[74:75]
	v_fma_f64 v[4:5], v[128:129], v[76:77], -v[4:5]
	v_add_f64 v[2:3], v[2:3], v[4:5]
	v_mul_f64 v[4:5], v[134:135], v[118:119]
	s_waitcnt vmcnt(14) lgkmcnt(1)
	v_mul_f64 v[150:151], v[140:141], v[166:167]
	v_fma_f64 v[4:5], v[132:133], v[160:161], -v[4:5]
	s_waitcnt vmcnt(12)
	v_fmac_f64_e32 v[150:151], v[142:143], v[168:169]
	v_add_f64 v[2:3], v[2:3], v[4:5]
	v_mul_f64 v[4:5], v[138:139], v[82:83]
	v_add_f64 v[152:153], v[148:149], v[150:151]
	ds_read_b128 v[148:151], v1 offset:1456
	s_waitcnt lgkmcnt(1)
	v_mul_f64 v[154:155], v[144:145], v[162:163]
	v_fma_f64 v[4:5], v[136:137], v[84:85], -v[4:5]
	v_fmac_f64_e32 v[154:155], v[146:147], v[164:165]
	v_add_f64 v[2:3], v[2:3], v[4:5]
	v_mul_f64 v[4:5], v[142:143], v[166:167]
	v_add_f64 v[182:183], v[152:153], v[154:155]
	ds_read_b128 v[152:155], v1 offset:1472
	ds_read_b128 v[156:159], v1 offset:1488
	v_fma_f64 v[4:5], v[140:141], v[168:169], -v[4:5]
	v_add_f64 v[2:3], v[2:3], v[4:5]
	v_mul_f64 v[4:5], v[146:147], v[162:163]
	v_fma_f64 v[4:5], v[144:145], v[164:165], -v[4:5]
	v_add_f64 v[2:3], v[2:3], v[4:5]
	s_waitcnt vmcnt(6) lgkmcnt(2)
	v_mul_f64 v[4:5], v[150:151], v[174:175]
	v_mul_f64 v[184:185], v[148:149], v[174:175]
	s_waitcnt vmcnt(4)
	v_fma_f64 v[4:5], v[148:149], v[176:177], -v[4:5]
	v_fmac_f64_e32 v[184:185], v[150:151], v[176:177]
	v_add_f64 v[2:3], v[2:3], v[4:5]
	s_waitcnt lgkmcnt(1)
	v_mul_f64 v[4:5], v[154:155], v[170:171]
	v_add_f64 v[182:183], v[182:183], v[184:185]
	v_mul_f64 v[184:185], v[152:153], v[170:171]
	v_fma_f64 v[4:5], v[152:153], v[172:173], -v[4:5]
	v_fmac_f64_e32 v[184:185], v[154:155], v[172:173]
	v_add_f64 v[2:3], v[2:3], v[4:5]
	s_waitcnt vmcnt(2) lgkmcnt(0)
	v_mul_f64 v[4:5], v[158:159], v[178:179]
	v_add_f64 v[182:183], v[182:183], v[184:185]
	v_mul_f64 v[184:185], v[156:157], v[178:179]
	s_waitcnt vmcnt(0)
	v_fma_f64 v[4:5], v[156:157], v[180:181], -v[4:5]
	v_fmac_f64_e32 v[184:185], v[158:159], v[180:181]
	v_add_f64 v[2:3], v[2:3], v[4:5]
	v_add_f64 v[182:183], v[182:183], v[184:185]
	v_add_f64 v[2:3], v[20:21], -v[2:3]
	v_cmp_lt_u32_e32 vcc, 23, v254
	v_add_f64 v[4:5], v[18:19], -v[182:183]
	buffer_store_dword v3, off, s[0:3], 0 offset:404
	buffer_store_dword v2, off, s[0:3], 0 offset:400
	;; [unrolled: 1-line block ×4, first 2 shown]
	s_and_saveexec_b64 s[4:5], vcc
	s_cbranch_execz .LBB46_249
; %bb.248:
	v_accvgpr_read_b32 v0, a117
	buffer_load_dword v2, v0, s[0:3], 0 offen
	buffer_load_dword v3, v0, s[0:3], 0 offen offset:4
	buffer_load_dword v4, v0, s[0:3], 0 offen offset:8
	;; [unrolled: 1-line block ×3, first 2 shown]
	v_mov_b32_e32 v0, 0
	v_accvgpr_read_b32 v1, a141
	buffer_store_dword v0, off, s[0:3], 0 offset:384
	buffer_store_dword v0, off, s[0:3], 0 offset:388
	;; [unrolled: 1-line block ×4, first 2 shown]
	s_waitcnt vmcnt(4)
	ds_write_b128 v1, v[2:5]
.LBB46_249:
	s_or_b64 exec, exec, s[4:5]
	s_waitcnt lgkmcnt(0)
	; wave barrier
	s_waitcnt lgkmcnt(0)
	buffer_load_dword v9, off, s[0:3], 0 offset:412
	buffer_load_dword v6, off, s[0:3], 0 offset:424
	;; [unrolled: 1-line block ×64, first 2 shown]
	v_mov_b32_e32 v1, 0
	ds_read_b128 v[74:77], v1 offset:1136
	ds_read_b128 v[78:81], v1 offset:1152
	buffer_load_dword v67, off, s[0:3], 0 offset:668
	buffer_load_dword v66, off, s[0:3], 0 offset:664
	;; [unrolled: 1-line block ×8, first 2 shown]
	ds_read_b128 v[82:85], v1 offset:1168
	ds_read_b128 v[86:89], v1 offset:1184
	buffer_load_dword v119, off, s[0:3], 0 offset:700
	buffer_load_dword v118, off, s[0:3], 0 offset:696
	;; [unrolled: 1-line block ×24, first 2 shown]
	ds_read_b128 v[164:167], v1 offset:1488
	v_cmp_lt_u32_e32 vcc, 22, v254
	s_waitcnt vmcnt(62) lgkmcnt(1)
	v_mul_f64 v[96:97], v[86:87], v[22:23]
	v_fmac_f64_e32 v[96:97], v[88:89], v[24:25]
	v_mul_f64 v[92:93], v[78:79], v[6:7]
	v_mul_f64 v[90:91], v[74:75], v[8:9]
	v_mul_f64 v[8:9], v[76:77], v[8:9]
	v_fmac_f64_e32 v[90:91], v[76:77], v[10:11]
	v_add_f64 v[90:91], v[90:91], 0
	v_fma_f64 v[8:9], v[74:75], v[10:11], -v[8:9]
	v_mul_f64 v[6:7], v[80:81], v[6:7]
	v_add_f64 v[8:9], v[8:9], 0
	v_fmac_f64_e32 v[92:93], v[80:81], v[14:15]
	v_add_f64 v[90:91], v[90:91], v[92:93]
	v_mul_f64 v[92:93], v[82:83], v[16:17]
	v_fmac_f64_e32 v[92:93], v[84:85], v[12:13]
	v_add_f64 v[94:95], v[90:91], v[92:93]
	ds_read_b128 v[90:93], v1 offset:1200
	v_add_f64 v[98:99], v[94:95], v[96:97]
	ds_read_b128 v[94:97], v1 offset:1216
	v_fma_f64 v[6:7], v[78:79], v[14:15], -v[6:7]
	v_add_f64 v[6:7], v[8:9], v[6:7]
	s_waitcnt lgkmcnt(1)
	v_mul_f64 v[100:101], v[90:91], v[18:19]
	v_fmac_f64_e32 v[100:101], v[92:93], v[20:21]
	v_add_f64 v[102:103], v[98:99], v[100:101]
	ds_read_b128 v[98:101], v1 offset:1232
	s_waitcnt lgkmcnt(1)
	v_mul_f64 v[104:105], v[94:95], v[30:31]
	v_fmac_f64_e32 v[104:105], v[96:97], v[32:33]
	v_add_f64 v[106:107], v[102:103], v[104:105]
	ds_read_b128 v[102:105], v1 offset:1248
	;; [unrolled: 5-line block ×3, first 2 shown]
	s_waitcnt vmcnt(58) lgkmcnt(1)
	v_mul_f64 v[112:113], v[102:103], v[38:39]
	s_waitcnt vmcnt(56)
	v_fmac_f64_e32 v[112:113], v[104:105], v[40:41]
	v_add_f64 v[114:115], v[110:111], v[112:113]
	ds_read_b128 v[110:113], v1 offset:1280
	s_waitcnt lgkmcnt(1)
	v_mul_f64 v[116:117], v[106:107], v[34:35]
	v_fmac_f64_e32 v[116:117], v[108:109], v[36:37]
	v_add_f64 v[120:121], v[114:115], v[116:117]
	ds_read_b128 v[114:117], v1 offset:1296
	s_waitcnt vmcnt(50) lgkmcnt(1)
	v_mul_f64 v[122:123], v[110:111], v[46:47]
	s_waitcnt vmcnt(48)
	v_fmac_f64_e32 v[122:123], v[112:113], v[48:49]
	v_add_f64 v[124:125], v[120:121], v[122:123]
	ds_read_b128 v[120:123], v1 offset:1312
	v_mul_f64 v[8:9], v[84:85], v[16:17]
	s_waitcnt lgkmcnt(1)
	v_mul_f64 v[126:127], v[114:115], v[42:43]
	v_fma_f64 v[8:9], v[82:83], v[12:13], -v[8:9]
	v_fmac_f64_e32 v[126:127], v[116:117], v[44:45]
	v_add_f64 v[6:7], v[6:7], v[8:9]
	v_mul_f64 v[8:9], v[88:89], v[22:23]
	v_add_f64 v[128:129], v[124:125], v[126:127]
	ds_read_b128 v[124:127], v1 offset:1328
	s_waitcnt vmcnt(42) lgkmcnt(1)
	v_mul_f64 v[130:131], v[120:121], v[54:55]
	v_fma_f64 v[8:9], v[86:87], v[24:25], -v[8:9]
	s_waitcnt vmcnt(40)
	v_fmac_f64_e32 v[130:131], v[122:123], v[56:57]
	v_add_f64 v[6:7], v[6:7], v[8:9]
	v_mul_f64 v[8:9], v[92:93], v[18:19]
	v_add_f64 v[132:133], v[128:129], v[130:131]
	ds_read_b128 v[128:131], v1 offset:1344
	v_fma_f64 v[8:9], v[90:91], v[20:21], -v[8:9]
	v_add_f64 v[6:7], v[6:7], v[8:9]
	v_mul_f64 v[8:9], v[96:97], v[30:31]
	v_fma_f64 v[8:9], v[94:95], v[32:33], -v[8:9]
	s_waitcnt lgkmcnt(1)
	v_mul_f64 v[134:135], v[124:125], v[50:51]
	v_add_f64 v[6:7], v[6:7], v[8:9]
	v_mul_f64 v[8:9], v[100:101], v[26:27]
	v_fmac_f64_e32 v[134:135], v[126:127], v[52:53]
	v_fma_f64 v[8:9], v[98:99], v[28:29], -v[8:9]
	v_add_f64 v[136:137], v[132:133], v[134:135]
	ds_read_b128 v[132:135], v1 offset:1360
	s_waitcnt vmcnt(34) lgkmcnt(1)
	v_mul_f64 v[138:139], v[128:129], v[62:63]
	v_add_f64 v[6:7], v[6:7], v[8:9]
	v_mul_f64 v[8:9], v[104:105], v[38:39]
	s_waitcnt vmcnt(32)
	v_fmac_f64_e32 v[138:139], v[130:131], v[64:65]
	v_fma_f64 v[8:9], v[102:103], v[40:41], -v[8:9]
	v_add_f64 v[140:141], v[136:137], v[138:139]
	ds_read_b128 v[136:139], v1 offset:1376
	v_add_f64 v[6:7], v[6:7], v[8:9]
	v_mul_f64 v[8:9], v[108:109], v[34:35]
	v_fma_f64 v[8:9], v[106:107], v[36:37], -v[8:9]
	v_add_f64 v[6:7], v[6:7], v[8:9]
	v_mul_f64 v[8:9], v[112:113], v[46:47]
	s_waitcnt lgkmcnt(1)
	v_mul_f64 v[142:143], v[132:133], v[58:59]
	v_fma_f64 v[8:9], v[110:111], v[48:49], -v[8:9]
	v_fmac_f64_e32 v[142:143], v[134:135], v[60:61]
	v_add_f64 v[6:7], v[6:7], v[8:9]
	v_mul_f64 v[8:9], v[116:117], v[42:43]
	v_add_f64 v[144:145], v[140:141], v[142:143]
	ds_read_b128 v[140:143], v1 offset:1392
	s_waitcnt vmcnt(26) lgkmcnt(1)
	v_mul_f64 v[146:147], v[136:137], v[70:71]
	v_fma_f64 v[8:9], v[114:115], v[44:45], -v[8:9]
	s_waitcnt vmcnt(24)
	v_fmac_f64_e32 v[146:147], v[138:139], v[72:73]
	v_add_f64 v[6:7], v[6:7], v[8:9]
	v_mul_f64 v[8:9], v[122:123], v[54:55]
	v_add_f64 v[148:149], v[144:145], v[146:147]
	ds_read_b128 v[144:147], v1 offset:1408
	v_fma_f64 v[8:9], v[120:121], v[56:57], -v[8:9]
	v_add_f64 v[6:7], v[6:7], v[8:9]
	v_mul_f64 v[8:9], v[126:127], v[50:51]
	v_fma_f64 v[8:9], v[124:125], v[52:53], -v[8:9]
	s_waitcnt lgkmcnt(1)
	v_mul_f64 v[150:151], v[140:141], v[66:67]
	v_add_f64 v[6:7], v[6:7], v[8:9]
	v_mul_f64 v[8:9], v[130:131], v[62:63]
	v_fmac_f64_e32 v[150:151], v[142:143], v[68:69]
	v_fma_f64 v[8:9], v[128:129], v[64:65], -v[8:9]
	v_add_f64 v[152:153], v[148:149], v[150:151]
	ds_read_b128 v[148:151], v1 offset:1424
	s_waitcnt vmcnt(18) lgkmcnt(1)
	v_mul_f64 v[154:155], v[144:145], v[170:171]
	v_add_f64 v[6:7], v[6:7], v[8:9]
	v_mul_f64 v[8:9], v[134:135], v[58:59]
	s_waitcnt vmcnt(16)
	v_fmac_f64_e32 v[154:155], v[146:147], v[172:173]
	v_fma_f64 v[8:9], v[132:133], v[60:61], -v[8:9]
	v_add_f64 v[156:157], v[152:153], v[154:155]
	ds_read_b128 v[152:155], v1 offset:1440
	v_add_f64 v[6:7], v[6:7], v[8:9]
	v_mul_f64 v[8:9], v[138:139], v[70:71]
	v_fma_f64 v[8:9], v[136:137], v[72:73], -v[8:9]
	v_add_f64 v[6:7], v[6:7], v[8:9]
	v_mul_f64 v[8:9], v[142:143], v[66:67]
	s_waitcnt lgkmcnt(1)
	v_mul_f64 v[158:159], v[148:149], v[118:119]
	v_fma_f64 v[8:9], v[140:141], v[68:69], -v[8:9]
	v_fmac_f64_e32 v[158:159], v[150:151], v[168:169]
	v_add_f64 v[6:7], v[6:7], v[8:9]
	v_mul_f64 v[8:9], v[146:147], v[170:171]
	v_add_f64 v[160:161], v[156:157], v[158:159]
	ds_read_b128 v[156:159], v1 offset:1456
	s_waitcnt vmcnt(10) lgkmcnt(1)
	v_mul_f64 v[162:163], v[152:153], v[178:179]
	v_fma_f64 v[8:9], v[144:145], v[172:173], -v[8:9]
	s_waitcnt vmcnt(8)
	v_fmac_f64_e32 v[162:163], v[154:155], v[180:181]
	v_add_f64 v[6:7], v[6:7], v[8:9]
	v_mul_f64 v[8:9], v[150:151], v[118:119]
	v_add_f64 v[190:191], v[160:161], v[162:163]
	ds_read_b128 v[160:163], v1 offset:1472
	v_fma_f64 v[8:9], v[148:149], v[168:169], -v[8:9]
	v_add_f64 v[6:7], v[6:7], v[8:9]
	v_mul_f64 v[8:9], v[154:155], v[178:179]
	v_fma_f64 v[8:9], v[152:153], v[180:181], -v[8:9]
	v_add_f64 v[6:7], v[6:7], v[8:9]
	s_waitcnt lgkmcnt(1)
	v_mul_f64 v[8:9], v[158:159], v[174:175]
	v_mul_f64 v[192:193], v[156:157], v[174:175]
	v_fma_f64 v[8:9], v[156:157], v[176:177], -v[8:9]
	v_fmac_f64_e32 v[192:193], v[158:159], v[176:177]
	v_add_f64 v[6:7], v[6:7], v[8:9]
	s_waitcnt vmcnt(2) lgkmcnt(0)
	v_mul_f64 v[8:9], v[162:163], v[186:187]
	v_add_f64 v[190:191], v[190:191], v[192:193]
	v_mul_f64 v[192:193], v[160:161], v[186:187]
	s_waitcnt vmcnt(0)
	v_fma_f64 v[8:9], v[160:161], v[188:189], -v[8:9]
	v_fmac_f64_e32 v[192:193], v[162:163], v[188:189]
	v_add_f64 v[6:7], v[6:7], v[8:9]
	v_mul_f64 v[8:9], v[166:167], v[182:183]
	v_add_f64 v[190:191], v[190:191], v[192:193]
	v_mul_f64 v[192:193], v[164:165], v[182:183]
	v_fma_f64 v[8:9], v[164:165], v[184:185], -v[8:9]
	v_fmac_f64_e32 v[192:193], v[166:167], v[184:185]
	v_add_f64 v[6:7], v[6:7], v[8:9]
	v_add_f64 v[190:191], v[190:191], v[192:193]
	v_add_f64 v[4:5], v[4:5], -v[6:7]
	v_add_f64 v[2:3], v[2:3], -v[190:191]
	buffer_store_dword v5, off, s[0:3], 0 offset:388
	buffer_store_dword v4, off, s[0:3], 0 offset:384
	;; [unrolled: 1-line block ×4, first 2 shown]
	s_and_saveexec_b64 s[4:5], vcc
	s_cbranch_execz .LBB46_251
; %bb.250:
	v_accvgpr_read_b32 v0, a118
	buffer_load_dword v2, v0, s[0:3], 0 offen
	buffer_load_dword v3, v0, s[0:3], 0 offen offset:4
	buffer_load_dword v4, v0, s[0:3], 0 offen offset:8
	buffer_load_dword v5, v0, s[0:3], 0 offen offset:12
	v_accvgpr_read_b32 v0, a141
	buffer_store_dword v1, off, s[0:3], 0 offset:368
	buffer_store_dword v1, off, s[0:3], 0 offset:372
	;; [unrolled: 1-line block ×4, first 2 shown]
	s_waitcnt vmcnt(4)
	ds_write_b128 v0, v[2:5]
.LBB46_251:
	s_or_b64 exec, exec, s[4:5]
	s_waitcnt lgkmcnt(0)
	; wave barrier
	s_waitcnt lgkmcnt(0)
	buffer_load_dword v22, off, s[0:3], 0 offset:384
	buffer_load_dword v23, off, s[0:3], 0 offset:388
	;; [unrolled: 1-line block ×16, first 2 shown]
	ds_read_b128 v[2:5], v1 offset:1120
	ds_read_b128 v[6:9], v1 offset:1136
	;; [unrolled: 1-line block ×4, first 2 shown]
	buffer_load_dword v35, off, s[0:3], 0 offset:460
	buffer_load_dword v34, off, s[0:3], 0 offset:456
	;; [unrolled: 1-line block ×48, first 2 shown]
	v_cmp_lt_u32_e32 vcc, 21, v254
	s_waitcnt vmcnt(42) lgkmcnt(0)
	v_mul_f64 v[104:105], v[14:15], v[38:39]
	s_waitcnt vmcnt(40)
	v_fmac_f64_e32 v[104:105], v[16:17], v[40:41]
	v_mul_f64 v[82:83], v[2:3], v[24:25]
	v_fmac_f64_e32 v[82:83], v[4:5], v[22:23]
	v_add_f64 v[82:83], v[82:83], 0
	v_mul_f64 v[4:5], v[4:5], v[24:25]
	v_mul_f64 v[84:85], v[6:7], v[32:33]
	v_fma_f64 v[2:3], v[2:3], v[22:23], -v[4:5]
	v_mul_f64 v[98:99], v[10:11], v[26:27]
	v_fmac_f64_e32 v[98:99], v[12:13], v[30:31]
	v_fmac_f64_e32 v[84:85], v[8:9], v[28:29]
	v_add_f64 v[100:101], v[82:83], v[84:85]
	buffer_load_dword v83, off, s[0:3], 0 offset:652
	buffer_load_dword v82, off, s[0:3], 0 offset:648
	;; [unrolled: 1-line block ×32, first 2 shown]
	v_add_f64 v[102:103], v[100:101], v[98:99]
	ds_read_b128 v[98:101], v1 offset:1184
	buffer_load_dword v195, off, s[0:3], 0 offset:764
	buffer_load_dword v194, off, s[0:3], 0 offset:760
	;; [unrolled: 1-line block ×4, first 2 shown]
	v_add_f64 v[106:107], v[102:103], v[104:105]
	ds_read_b128 v[102:105], v1 offset:1200
	v_mul_f64 v[4:5], v[8:9], v[32:33]
	s_waitcnt lgkmcnt(1)
	v_mul_f64 v[108:109], v[98:99], v[34:35]
	v_fmac_f64_e32 v[108:109], v[100:101], v[36:37]
	v_add_f64 v[110:111], v[106:107], v[108:109]
	ds_read_b128 v[106:109], v1 offset:1216
	s_waitcnt vmcnt(62) lgkmcnt(1)
	v_mul_f64 v[112:113], v[102:103], v[46:47]
	v_fmac_f64_e32 v[112:113], v[104:105], v[48:49]
	v_add_f64 v[114:115], v[110:111], v[112:113]
	ds_read_b128 v[110:113], v1 offset:1232
	s_waitcnt lgkmcnt(1)
	v_mul_f64 v[116:117], v[106:107], v[42:43]
	v_fmac_f64_e32 v[116:117], v[108:109], v[44:45]
	v_add_f64 v[120:121], v[114:115], v[116:117]
	ds_read_b128 v[114:117], v1 offset:1248
	s_waitcnt lgkmcnt(1)
	v_mul_f64 v[122:123], v[110:111], v[54:55]
	s_waitcnt vmcnt(60)
	v_fmac_f64_e32 v[122:123], v[112:113], v[56:57]
	v_add_f64 v[124:125], v[120:121], v[122:123]
	ds_read_b128 v[120:123], v1 offset:1264
	s_waitcnt lgkmcnt(1)
	v_mul_f64 v[126:127], v[114:115], v[50:51]
	v_fmac_f64_e32 v[126:127], v[116:117], v[52:53]
	v_add_f64 v[128:129], v[124:125], v[126:127]
	ds_read_b128 v[124:127], v1 offset:1280
	s_waitcnt vmcnt(54) lgkmcnt(1)
	v_mul_f64 v[130:131], v[120:121], v[62:63]
	s_waitcnt vmcnt(52)
	v_fmac_f64_e32 v[130:131], v[122:123], v[64:65]
	v_add_f64 v[132:133], v[128:129], v[130:131]
	ds_read_b128 v[128:131], v1 offset:1296
	s_waitcnt lgkmcnt(1)
	v_mul_f64 v[134:135], v[124:125], v[58:59]
	v_fmac_f64_e32 v[134:135], v[126:127], v[60:61]
	v_add_f64 v[2:3], v[2:3], 0
	v_fma_f64 v[4:5], v[6:7], v[28:29], -v[4:5]
	v_add_f64 v[136:137], v[132:133], v[134:135]
	ds_read_b128 v[132:135], v1 offset:1312
	v_add_f64 v[2:3], v[2:3], v[4:5]
	v_mul_f64 v[4:5], v[12:13], v[26:27]
	v_fma_f64 v[4:5], v[10:11], v[30:31], -v[4:5]
	v_add_f64 v[2:3], v[2:3], v[4:5]
	v_mul_f64 v[4:5], v[16:17], v[38:39]
	s_waitcnt vmcnt(46) lgkmcnt(1)
	v_mul_f64 v[138:139], v[128:129], v[70:71]
	v_fma_f64 v[4:5], v[14:15], v[40:41], -v[4:5]
	s_waitcnt vmcnt(44)
	v_fmac_f64_e32 v[138:139], v[130:131], v[72:73]
	v_add_f64 v[2:3], v[2:3], v[4:5]
	v_mul_f64 v[4:5], v[100:101], v[34:35]
	v_add_f64 v[140:141], v[136:137], v[138:139]
	ds_read_b128 v[136:139], v1 offset:1328
	s_waitcnt lgkmcnt(1)
	v_mul_f64 v[142:143], v[132:133], v[66:67]
	v_fma_f64 v[4:5], v[98:99], v[36:37], -v[4:5]
	v_fmac_f64_e32 v[142:143], v[134:135], v[68:69]
	v_add_f64 v[2:3], v[2:3], v[4:5]
	v_mul_f64 v[4:5], v[104:105], v[46:47]
	v_add_f64 v[144:145], v[140:141], v[142:143]
	ds_read_b128 v[140:143], v1 offset:1344
	v_fma_f64 v[4:5], v[102:103], v[48:49], -v[4:5]
	v_add_f64 v[2:3], v[2:3], v[4:5]
	v_mul_f64 v[4:5], v[108:109], v[42:43]
	v_fma_f64 v[4:5], v[106:107], v[44:45], -v[4:5]
	s_waitcnt vmcnt(38) lgkmcnt(1)
	v_mul_f64 v[146:147], v[136:137], v[78:79]
	v_add_f64 v[2:3], v[2:3], v[4:5]
	v_mul_f64 v[4:5], v[112:113], v[54:55]
	s_waitcnt vmcnt(36)
	v_fmac_f64_e32 v[146:147], v[138:139], v[80:81]
	v_fma_f64 v[4:5], v[110:111], v[56:57], -v[4:5]
	v_add_f64 v[148:149], v[144:145], v[146:147]
	ds_read_b128 v[144:147], v1 offset:1360
	s_waitcnt lgkmcnt(1)
	v_mul_f64 v[150:151], v[140:141], v[74:75]
	v_add_f64 v[2:3], v[2:3], v[4:5]
	v_mul_f64 v[4:5], v[116:117], v[50:51]
	v_fmac_f64_e32 v[150:151], v[142:143], v[76:77]
	v_fma_f64 v[4:5], v[114:115], v[52:53], -v[4:5]
	v_add_f64 v[152:153], v[148:149], v[150:151]
	ds_read_b128 v[148:151], v1 offset:1376
	v_add_f64 v[2:3], v[2:3], v[4:5]
	v_mul_f64 v[4:5], v[122:123], v[62:63]
	v_fma_f64 v[4:5], v[120:121], v[64:65], -v[4:5]
	v_add_f64 v[2:3], v[2:3], v[4:5]
	v_mul_f64 v[4:5], v[126:127], v[58:59]
	s_waitcnt vmcnt(30) lgkmcnt(1)
	v_mul_f64 v[154:155], v[144:145], v[86:87]
	v_fma_f64 v[4:5], v[124:125], v[60:61], -v[4:5]
	s_waitcnt vmcnt(28)
	v_fmac_f64_e32 v[154:155], v[146:147], v[88:89]
	v_add_f64 v[2:3], v[2:3], v[4:5]
	v_mul_f64 v[4:5], v[130:131], v[70:71]
	v_add_f64 v[156:157], v[152:153], v[154:155]
	ds_read_b128 v[152:155], v1 offset:1392
	s_waitcnt lgkmcnt(1)
	v_mul_f64 v[158:159], v[148:149], v[82:83]
	v_fma_f64 v[4:5], v[128:129], v[72:73], -v[4:5]
	v_fmac_f64_e32 v[158:159], v[150:151], v[84:85]
	v_add_f64 v[2:3], v[2:3], v[4:5]
	v_mul_f64 v[4:5], v[134:135], v[66:67]
	v_add_f64 v[160:161], v[156:157], v[158:159]
	ds_read_b128 v[156:159], v1 offset:1408
	v_fma_f64 v[4:5], v[132:133], v[68:69], -v[4:5]
	v_add_f64 v[2:3], v[2:3], v[4:5]
	v_mul_f64 v[4:5], v[138:139], v[78:79]
	v_fma_f64 v[4:5], v[136:137], v[80:81], -v[4:5]
	s_waitcnt vmcnt(22) lgkmcnt(1)
	v_mul_f64 v[162:163], v[152:153], v[94:95]
	v_add_f64 v[2:3], v[2:3], v[4:5]
	v_mul_f64 v[4:5], v[142:143], v[74:75]
	s_waitcnt vmcnt(20)
	v_fmac_f64_e32 v[162:163], v[154:155], v[96:97]
	v_fma_f64 v[4:5], v[140:141], v[76:77], -v[4:5]
	v_add_f64 v[164:165], v[160:161], v[162:163]
	ds_read_b128 v[160:163], v1 offset:1424
	s_waitcnt lgkmcnt(1)
	v_mul_f64 v[166:167], v[156:157], v[90:91]
	v_add_f64 v[2:3], v[2:3], v[4:5]
	v_mul_f64 v[4:5], v[146:147], v[86:87]
	v_fmac_f64_e32 v[166:167], v[158:159], v[92:93]
	v_fma_f64 v[4:5], v[144:145], v[88:89], -v[4:5]
	v_add_f64 v[168:169], v[164:165], v[166:167]
	ds_read_b128 v[164:167], v1 offset:1440
	v_add_f64 v[2:3], v[2:3], v[4:5]
	v_mul_f64 v[4:5], v[150:151], v[82:83]
	v_fma_f64 v[4:5], v[148:149], v[84:85], -v[4:5]
	v_add_f64 v[2:3], v[2:3], v[4:5]
	v_mul_f64 v[4:5], v[154:155], v[94:95]
	s_waitcnt vmcnt(14) lgkmcnt(1)
	v_mul_f64 v[170:171], v[160:161], v[182:183]
	v_fma_f64 v[4:5], v[152:153], v[96:97], -v[4:5]
	s_waitcnt vmcnt(12)
	v_fmac_f64_e32 v[170:171], v[162:163], v[184:185]
	v_add_f64 v[2:3], v[2:3], v[4:5]
	v_mul_f64 v[4:5], v[158:159], v[90:91]
	v_add_f64 v[172:173], v[168:169], v[170:171]
	ds_read_b128 v[168:171], v1 offset:1456
	s_waitcnt lgkmcnt(1)
	v_mul_f64 v[174:175], v[164:165], v[118:119]
	v_fma_f64 v[4:5], v[156:157], v[92:93], -v[4:5]
	v_fmac_f64_e32 v[174:175], v[166:167], v[180:181]
	v_add_f64 v[2:3], v[2:3], v[4:5]
	v_mul_f64 v[4:5], v[162:163], v[182:183]
	v_add_f64 v[198:199], v[172:173], v[174:175]
	ds_read_b128 v[172:175], v1 offset:1472
	v_fma_f64 v[4:5], v[160:161], v[184:185], -v[4:5]
	v_add_f64 v[2:3], v[2:3], v[4:5]
	v_mul_f64 v[4:5], v[166:167], v[118:119]
	ds_read_b128 v[176:179], v1 offset:1488
	v_fma_f64 v[4:5], v[164:165], v[180:181], -v[4:5]
	v_add_f64 v[2:3], v[2:3], v[4:5]
	s_waitcnt vmcnt(6) lgkmcnt(2)
	v_mul_f64 v[4:5], v[170:171], v[190:191]
	v_mul_f64 v[200:201], v[168:169], v[190:191]
	s_waitcnt vmcnt(4)
	v_fma_f64 v[4:5], v[168:169], v[192:193], -v[4:5]
	v_fmac_f64_e32 v[200:201], v[170:171], v[192:193]
	v_add_f64 v[2:3], v[2:3], v[4:5]
	s_waitcnt lgkmcnt(1)
	v_mul_f64 v[4:5], v[174:175], v[186:187]
	v_add_f64 v[198:199], v[198:199], v[200:201]
	v_mul_f64 v[200:201], v[172:173], v[186:187]
	v_fma_f64 v[4:5], v[172:173], v[188:189], -v[4:5]
	v_fmac_f64_e32 v[200:201], v[174:175], v[188:189]
	v_add_f64 v[2:3], v[2:3], v[4:5]
	s_waitcnt vmcnt(2) lgkmcnt(0)
	v_mul_f64 v[4:5], v[178:179], v[194:195]
	v_add_f64 v[198:199], v[198:199], v[200:201]
	v_mul_f64 v[200:201], v[176:177], v[194:195]
	s_waitcnt vmcnt(0)
	v_fma_f64 v[4:5], v[176:177], v[196:197], -v[4:5]
	v_fmac_f64_e32 v[200:201], v[178:179], v[196:197]
	v_add_f64 v[2:3], v[2:3], v[4:5]
	v_add_f64 v[198:199], v[198:199], v[200:201]
	v_add_f64 v[2:3], v[20:21], -v[2:3]
	v_add_f64 v[4:5], v[18:19], -v[198:199]
	buffer_store_dword v3, off, s[0:3], 0 offset:372
	buffer_store_dword v2, off, s[0:3], 0 offset:368
	;; [unrolled: 1-line block ×4, first 2 shown]
	s_and_saveexec_b64 s[4:5], vcc
	s_cbranch_execz .LBB46_253
; %bb.252:
	v_accvgpr_read_b32 v0, a119
	buffer_load_dword v2, v0, s[0:3], 0 offen
	buffer_load_dword v3, v0, s[0:3], 0 offen offset:4
	buffer_load_dword v4, v0, s[0:3], 0 offen offset:8
	;; [unrolled: 1-line block ×3, first 2 shown]
	v_mov_b32_e32 v0, 0
	v_accvgpr_read_b32 v1, a141
	buffer_store_dword v0, off, s[0:3], 0 offset:352
	buffer_store_dword v0, off, s[0:3], 0 offset:356
	;; [unrolled: 1-line block ×4, first 2 shown]
	s_waitcnt vmcnt(4)
	ds_write_b128 v1, v[2:5]
.LBB46_253:
	s_or_b64 exec, exec, s[4:5]
	s_waitcnt lgkmcnt(0)
	; wave barrier
	s_waitcnt lgkmcnt(0)
	buffer_load_dword v22, off, s[0:3], 0 offset:368
	buffer_load_dword v23, off, s[0:3], 0 offset:372
	;; [unrolled: 1-line block ×64, first 2 shown]
	v_mov_b32_e32 v1, 0
	ds_read_b128 v[18:21], v1 offset:1104
	ds_read_b128 v[14:17], v1 offset:1120
	;; [unrolled: 1-line block ×5, first 2 shown]
	v_cmp_lt_u32_e32 vcc, 20, v254
	s_waitcnt vmcnt(60) lgkmcnt(4)
	v_mul_f64 v[86:87], v[18:19], v[26:27]
	v_fmac_f64_e32 v[86:87], v[20:21], v[22:23]
	v_add_f64 v[86:87], v[86:87], 0
	v_mul_f64 v[20:21], v[20:21], v[26:27]
	s_waitcnt vmcnt(56) lgkmcnt(3)
	v_mul_f64 v[88:89], v[14:15], v[28:29]
	v_fmac_f64_e32 v[88:89], v[16:17], v[24:25]
	s_waitcnt vmcnt(54) lgkmcnt(2)
	v_mul_f64 v[90:91], v[10:11], v[30:31]
	v_add_f64 v[86:87], v[86:87], v[88:89]
	v_fma_f64 v[18:19], v[18:19], v[22:23], -v[20:21]
	v_mul_f64 v[16:17], v[16:17], v[28:29]
	s_waitcnt vmcnt(50) lgkmcnt(1)
	v_mul_f64 v[102:103], v[6:7], v[40:41]
	v_add_f64 v[18:19], v[18:19], 0
	s_waitcnt vmcnt(48)
	v_fmac_f64_e32 v[90:91], v[12:13], v[44:45]
	v_add_f64 v[104:105], v[86:87], v[90:91]
	buffer_load_dword v87, off, s[0:3], 0 offset:636
	buffer_load_dword v86, off, s[0:3], 0 offset:632
	;; [unrolled: 1-line block ×40, first 2 shown]
	s_waitcnt vmcnt(62)
	v_fmac_f64_e32 v[102:103], v[8:9], v[42:43]
	v_add_f64 v[106:107], v[104:105], v[102:103]
	ds_read_b128 v[102:105], v1 offset:1184
	s_waitcnt lgkmcnt(1)
	v_mul_f64 v[108:109], v[2:3], v[36:37]
	v_fmac_f64_e32 v[108:109], v[4:5], v[38:39]
	v_add_f64 v[110:111], v[106:107], v[108:109]
	ds_read_b128 v[106:109], v1 offset:1200
	s_waitcnt lgkmcnt(1)
	v_mul_f64 v[112:113], v[102:103], v[50:51]
	;; [unrolled: 5-line block ×5, first 2 shown]
	v_fmac_f64_e32 v[126:127], v[116:117], v[56:57]
	v_add_f64 v[128:129], v[124:125], v[126:127]
	ds_read_b128 v[124:127], v1 offset:1264
	s_waitcnt vmcnt(58) lgkmcnt(1)
	v_mul_f64 v[130:131], v[120:121], v[66:67]
	s_waitcnt vmcnt(56)
	v_fmac_f64_e32 v[130:131], v[122:123], v[68:69]
	v_add_f64 v[132:133], v[128:129], v[130:131]
	ds_read_b128 v[128:131], v1 offset:1280
	s_waitcnt lgkmcnt(1)
	v_mul_f64 v[134:135], v[124:125], v[62:63]
	v_fmac_f64_e32 v[134:135], v[126:127], v[64:65]
	v_add_f64 v[136:137], v[132:133], v[134:135]
	ds_read_b128 v[132:135], v1 offset:1296
	s_waitcnt vmcnt(50) lgkmcnt(1)
	v_mul_f64 v[138:139], v[128:129], v[74:75]
	s_waitcnt vmcnt(48)
	v_fmac_f64_e32 v[138:139], v[130:131], v[76:77]
	v_add_f64 v[140:141], v[136:137], v[138:139]
	ds_read_b128 v[136:139], v1 offset:1312
	v_fma_f64 v[14:15], v[14:15], v[24:25], -v[16:17]
	v_mul_f64 v[12:13], v[12:13], v[30:31]
	v_add_f64 v[14:15], v[18:19], v[14:15]
	v_fma_f64 v[10:11], v[10:11], v[44:45], -v[12:13]
	v_mul_f64 v[8:9], v[8:9], v[40:41]
	s_waitcnt lgkmcnt(1)
	v_mul_f64 v[142:143], v[132:133], v[70:71]
	v_add_f64 v[10:11], v[14:15], v[10:11]
	v_fma_f64 v[6:7], v[6:7], v[42:43], -v[8:9]
	v_mul_f64 v[4:5], v[4:5], v[36:37]
	v_fmac_f64_e32 v[142:143], v[134:135], v[72:73]
	v_add_f64 v[6:7], v[10:11], v[6:7]
	v_fma_f64 v[2:3], v[2:3], v[38:39], -v[4:5]
	v_mul_f64 v[4:5], v[104:105], v[50:51]
	v_add_f64 v[144:145], v[140:141], v[142:143]
	ds_read_b128 v[140:143], v1 offset:1328
	s_waitcnt vmcnt(42) lgkmcnt(1)
	v_mul_f64 v[146:147], v[136:137], v[82:83]
	v_add_f64 v[2:3], v[6:7], v[2:3]
	v_fma_f64 v[4:5], v[102:103], v[52:53], -v[4:5]
	s_waitcnt vmcnt(40)
	v_fmac_f64_e32 v[146:147], v[138:139], v[84:85]
	v_add_f64 v[2:3], v[2:3], v[4:5]
	v_mul_f64 v[4:5], v[108:109], v[46:47]
	v_add_f64 v[148:149], v[144:145], v[146:147]
	ds_read_b128 v[144:147], v1 offset:1344
	v_fma_f64 v[4:5], v[106:107], v[48:49], -v[4:5]
	v_add_f64 v[2:3], v[2:3], v[4:5]
	v_mul_f64 v[4:5], v[112:113], v[58:59]
	v_fma_f64 v[4:5], v[110:111], v[60:61], -v[4:5]
	s_waitcnt lgkmcnt(1)
	v_mul_f64 v[150:151], v[140:141], v[78:79]
	v_add_f64 v[2:3], v[2:3], v[4:5]
	v_mul_f64 v[4:5], v[116:117], v[54:55]
	v_fmac_f64_e32 v[150:151], v[142:143], v[80:81]
	v_fma_f64 v[4:5], v[114:115], v[56:57], -v[4:5]
	v_add_f64 v[152:153], v[148:149], v[150:151]
	ds_read_b128 v[148:151], v1 offset:1360
	s_waitcnt vmcnt(34) lgkmcnt(1)
	v_mul_f64 v[154:155], v[144:145], v[90:91]
	v_add_f64 v[2:3], v[2:3], v[4:5]
	v_mul_f64 v[4:5], v[122:123], v[66:67]
	s_waitcnt vmcnt(32)
	v_fmac_f64_e32 v[154:155], v[146:147], v[92:93]
	v_fma_f64 v[4:5], v[120:121], v[68:69], -v[4:5]
	v_add_f64 v[156:157], v[152:153], v[154:155]
	ds_read_b128 v[152:155], v1 offset:1376
	v_add_f64 v[2:3], v[2:3], v[4:5]
	v_mul_f64 v[4:5], v[126:127], v[62:63]
	v_fma_f64 v[4:5], v[124:125], v[64:65], -v[4:5]
	v_add_f64 v[2:3], v[2:3], v[4:5]
	v_mul_f64 v[4:5], v[130:131], v[74:75]
	s_waitcnt lgkmcnt(1)
	v_mul_f64 v[158:159], v[148:149], v[86:87]
	v_fma_f64 v[4:5], v[128:129], v[76:77], -v[4:5]
	v_fmac_f64_e32 v[158:159], v[150:151], v[88:89]
	v_add_f64 v[2:3], v[2:3], v[4:5]
	v_mul_f64 v[4:5], v[134:135], v[70:71]
	v_add_f64 v[160:161], v[156:157], v[158:159]
	ds_read_b128 v[156:159], v1 offset:1392
	s_waitcnt vmcnt(26) lgkmcnt(1)
	v_mul_f64 v[162:163], v[152:153], v[98:99]
	v_fma_f64 v[4:5], v[132:133], v[72:73], -v[4:5]
	s_waitcnt vmcnt(24)
	v_fmac_f64_e32 v[162:163], v[154:155], v[100:101]
	v_add_f64 v[2:3], v[2:3], v[4:5]
	v_mul_f64 v[4:5], v[138:139], v[82:83]
	v_add_f64 v[164:165], v[160:161], v[162:163]
	ds_read_b128 v[160:163], v1 offset:1408
	v_fma_f64 v[4:5], v[136:137], v[84:85], -v[4:5]
	v_add_f64 v[2:3], v[2:3], v[4:5]
	v_mul_f64 v[4:5], v[142:143], v[78:79]
	v_fma_f64 v[4:5], v[140:141], v[80:81], -v[4:5]
	s_waitcnt lgkmcnt(1)
	v_mul_f64 v[166:167], v[156:157], v[94:95]
	v_add_f64 v[2:3], v[2:3], v[4:5]
	v_mul_f64 v[4:5], v[146:147], v[90:91]
	v_fmac_f64_e32 v[166:167], v[158:159], v[96:97]
	v_fma_f64 v[4:5], v[144:145], v[92:93], -v[4:5]
	v_add_f64 v[168:169], v[164:165], v[166:167]
	ds_read_b128 v[164:167], v1 offset:1424
	s_waitcnt vmcnt(18) lgkmcnt(1)
	v_mul_f64 v[170:171], v[160:161], v[186:187]
	v_add_f64 v[2:3], v[2:3], v[4:5]
	v_mul_f64 v[4:5], v[150:151], v[86:87]
	s_waitcnt vmcnt(16)
	v_fmac_f64_e32 v[170:171], v[162:163], v[188:189]
	v_fma_f64 v[4:5], v[148:149], v[88:89], -v[4:5]
	v_add_f64 v[172:173], v[168:169], v[170:171]
	ds_read_b128 v[168:171], v1 offset:1440
	v_add_f64 v[2:3], v[2:3], v[4:5]
	v_mul_f64 v[4:5], v[154:155], v[98:99]
	v_fma_f64 v[4:5], v[152:153], v[100:101], -v[4:5]
	v_add_f64 v[2:3], v[2:3], v[4:5]
	v_mul_f64 v[4:5], v[158:159], v[94:95]
	s_waitcnt lgkmcnt(1)
	v_mul_f64 v[174:175], v[164:165], v[118:119]
	v_fma_f64 v[4:5], v[156:157], v[96:97], -v[4:5]
	v_fmac_f64_e32 v[174:175], v[166:167], v[184:185]
	v_add_f64 v[2:3], v[2:3], v[4:5]
	v_mul_f64 v[4:5], v[162:163], v[186:187]
	v_add_f64 v[176:177], v[172:173], v[174:175]
	ds_read_b128 v[172:175], v1 offset:1456
	s_waitcnt vmcnt(10) lgkmcnt(1)
	v_mul_f64 v[178:179], v[168:169], v[194:195]
	v_fma_f64 v[4:5], v[160:161], v[188:189], -v[4:5]
	s_waitcnt vmcnt(8)
	v_fmac_f64_e32 v[178:179], v[170:171], v[196:197]
	v_add_f64 v[2:3], v[2:3], v[4:5]
	v_mul_f64 v[4:5], v[166:167], v[118:119]
	v_add_f64 v[206:207], v[176:177], v[178:179]
	ds_read_b128 v[176:179], v1 offset:1472
	ds_read_b128 v[180:183], v1 offset:1488
	v_fma_f64 v[4:5], v[164:165], v[184:185], -v[4:5]
	v_add_f64 v[2:3], v[2:3], v[4:5]
	v_mul_f64 v[4:5], v[170:171], v[194:195]
	v_fma_f64 v[4:5], v[168:169], v[196:197], -v[4:5]
	v_add_f64 v[2:3], v[2:3], v[4:5]
	s_waitcnt lgkmcnt(2)
	v_mul_f64 v[4:5], v[174:175], v[190:191]
	v_mul_f64 v[208:209], v[172:173], v[190:191]
	v_fma_f64 v[4:5], v[172:173], v[192:193], -v[4:5]
	v_fmac_f64_e32 v[208:209], v[174:175], v[192:193]
	v_add_f64 v[2:3], v[2:3], v[4:5]
	s_waitcnt vmcnt(2) lgkmcnt(1)
	v_mul_f64 v[4:5], v[178:179], v[202:203]
	v_add_f64 v[206:207], v[206:207], v[208:209]
	v_mul_f64 v[208:209], v[176:177], v[202:203]
	s_waitcnt vmcnt(0)
	v_fma_f64 v[4:5], v[176:177], v[204:205], -v[4:5]
	v_fmac_f64_e32 v[208:209], v[178:179], v[204:205]
	v_add_f64 v[2:3], v[2:3], v[4:5]
	s_waitcnt lgkmcnt(0)
	v_mul_f64 v[4:5], v[182:183], v[198:199]
	v_add_f64 v[206:207], v[206:207], v[208:209]
	v_mul_f64 v[208:209], v[180:181], v[198:199]
	v_fma_f64 v[4:5], v[180:181], v[200:201], -v[4:5]
	v_fmac_f64_e32 v[208:209], v[182:183], v[200:201]
	v_add_f64 v[2:3], v[2:3], v[4:5]
	v_add_f64 v[206:207], v[206:207], v[208:209]
	v_add_f64 v[2:3], v[34:35], -v[2:3]
	v_add_f64 v[4:5], v[32:33], -v[206:207]
	buffer_store_dword v3, off, s[0:3], 0 offset:356
	buffer_store_dword v2, off, s[0:3], 0 offset:352
	;; [unrolled: 1-line block ×4, first 2 shown]
	s_and_saveexec_b64 s[4:5], vcc
	s_cbranch_execz .LBB46_255
; %bb.254:
	v_accvgpr_read_b32 v0, a120
	buffer_load_dword v2, v0, s[0:3], 0 offen
	buffer_load_dword v3, v0, s[0:3], 0 offen offset:4
	buffer_load_dword v4, v0, s[0:3], 0 offen offset:8
	;; [unrolled: 1-line block ×3, first 2 shown]
	v_accvgpr_read_b32 v0, a141
	buffer_store_dword v1, off, s[0:3], 0 offset:336
	buffer_store_dword v1, off, s[0:3], 0 offset:340
	;; [unrolled: 1-line block ×4, first 2 shown]
	s_waitcnt vmcnt(4)
	ds_write_b128 v0, v[2:5]
.LBB46_255:
	s_or_b64 exec, exec, s[4:5]
	s_waitcnt lgkmcnt(0)
	; wave barrier
	s_waitcnt lgkmcnt(0)
	buffer_load_dword v26, off, s[0:3], 0 offset:352
	buffer_load_dword v27, off, s[0:3], 0 offset:356
	buffer_load_dword v28, off, s[0:3], 0 offset:360
	buffer_load_dword v29, off, s[0:3], 0 offset:364
	buffer_load_dword v30, off, s[0:3], 0 offset:376
	buffer_load_dword v31, off, s[0:3], 0 offset:380
	buffer_load_dword v32, off, s[0:3], 0 offset:392
	buffer_load_dword v33, off, s[0:3], 0 offset:396
	buffer_load_dword v39, off, s[0:3], 0 offset:428
	buffer_load_dword v38, off, s[0:3], 0 offset:424
	buffer_load_dword v41, off, s[0:3], 0 offset:420
	buffer_load_dword v43, off, s[0:3], 0 offset:412
	buffer_load_dword v42, off, s[0:3], 0 offset:408
	buffer_load_dword v48, off, s[0:3], 0 offset:368
	buffer_load_dword v49, off, s[0:3], 0 offset:372
	buffer_load_dword v46, off, s[0:3], 0 offset:384
	buffer_load_dword v47, off, s[0:3], 0 offset:388
	buffer_load_dword v45, off, s[0:3], 0 offset:404
	buffer_load_dword v44, off, s[0:3], 0 offset:400
	buffer_load_dword v40, off, s[0:3], 0 offset:416
	buffer_load_dword v36, off, s[0:3], 0 offset:336
	buffer_load_dword v37, off, s[0:3], 0 offset:340
	buffer_load_dword v34, off, s[0:3], 0 offset:344
	buffer_load_dword v35, off, s[0:3], 0 offset:348
	ds_read_b128 v[22:25], v1 offset:1088
	ds_read_b128 v[18:21], v1 offset:1104
	;; [unrolled: 1-line block ×6, first 2 shown]
	buffer_load_dword v51, off, s[0:3], 0 offset:460
	buffer_load_dword v50, off, s[0:3], 0 offset:456
	;; [unrolled: 1-line block ×40, first 2 shown]
	v_cmp_lt_u32_e32 vcc, 19, v254
	s_waitcnt vmcnt(34) lgkmcnt(0)
	v_mul_f64 v[122:123], v[14:15], v[54:55]
	s_waitcnt vmcnt(32)
	v_fmac_f64_e32 v[122:123], v[16:17], v[56:57]
	v_mul_f64 v[90:91], v[22:23], v[28:29]
	v_fmac_f64_e32 v[90:91], v[24:25], v[26:27]
	v_mul_f64 v[92:93], v[18:19], v[30:31]
	v_add_f64 v[90:91], v[90:91], 0
	v_mul_f64 v[94:95], v[10:11], v[32:33]
	v_mul_f64 v[24:25], v[24:25], v[28:29]
	v_mul_f64 v[114:115], v[2:3], v[38:39]
	v_fma_f64 v[22:23], v[22:23], v[26:27], -v[24:25]
	v_add_f64 v[22:23], v[22:23], 0
	v_mul_f64 v[96:97], v[6:7], v[42:43]
	v_fmac_f64_e32 v[92:93], v[20:21], v[48:49]
	v_add_f64 v[90:91], v[90:91], v[92:93]
	v_fmac_f64_e32 v[94:95], v[12:13], v[46:47]
	v_add_f64 v[90:91], v[90:91], v[94:95]
	;; [unrolled: 2-line block ×3, first 2 shown]
	buffer_load_dword v91, off, s[0:3], 0 offset:620
	buffer_load_dword v90, off, s[0:3], 0 offset:616
	;; [unrolled: 1-line block ×40, first 2 shown]
	v_fmac_f64_e32 v[114:115], v[4:5], v[40:41]
	v_add_f64 v[120:121], v[116:117], v[114:115]
	ds_read_b128 v[114:117], v1 offset:1184
	buffer_load_dword v211, off, s[0:3], 0 offset:764
	buffer_load_dword v210, off, s[0:3], 0 offset:760
	;; [unrolled: 1-line block ×4, first 2 shown]
	v_add_f64 v[124:125], v[120:121], v[122:123]
	ds_read_b128 v[120:123], v1 offset:1200
	v_mul_f64 v[20:21], v[20:21], v[30:31]
	s_waitcnt lgkmcnt(1)
	v_mul_f64 v[126:127], v[114:115], v[50:51]
	v_fmac_f64_e32 v[126:127], v[116:117], v[52:53]
	v_add_f64 v[128:129], v[124:125], v[126:127]
	ds_read_b128 v[124:127], v1 offset:1216
	s_waitcnt vmcnt(62) lgkmcnt(1)
	v_mul_f64 v[130:131], v[120:121], v[62:63]
	v_fmac_f64_e32 v[130:131], v[122:123], v[64:65]
	v_add_f64 v[132:133], v[128:129], v[130:131]
	ds_read_b128 v[128:131], v1 offset:1232
	s_waitcnt lgkmcnt(1)
	v_mul_f64 v[134:135], v[124:125], v[58:59]
	v_fmac_f64_e32 v[134:135], v[126:127], v[60:61]
	v_add_f64 v[136:137], v[132:133], v[134:135]
	ds_read_b128 v[132:135], v1 offset:1248
	s_waitcnt lgkmcnt(1)
	v_mul_f64 v[138:139], v[128:129], v[70:71]
	s_waitcnt vmcnt(60)
	v_fmac_f64_e32 v[138:139], v[130:131], v[72:73]
	v_add_f64 v[140:141], v[136:137], v[138:139]
	ds_read_b128 v[136:139], v1 offset:1264
	s_waitcnt lgkmcnt(1)
	v_mul_f64 v[142:143], v[132:133], v[66:67]
	v_fmac_f64_e32 v[142:143], v[134:135], v[68:69]
	v_add_f64 v[144:145], v[140:141], v[142:143]
	ds_read_b128 v[140:143], v1 offset:1280
	s_waitcnt vmcnt(54) lgkmcnt(1)
	v_mul_f64 v[146:147], v[136:137], v[78:79]
	s_waitcnt vmcnt(52)
	v_fmac_f64_e32 v[146:147], v[138:139], v[80:81]
	v_add_f64 v[148:149], v[144:145], v[146:147]
	ds_read_b128 v[144:147], v1 offset:1296
	s_waitcnt lgkmcnt(1)
	v_mul_f64 v[150:151], v[140:141], v[74:75]
	v_fmac_f64_e32 v[150:151], v[142:143], v[76:77]
	v_fma_f64 v[18:19], v[18:19], v[48:49], -v[20:21]
	v_mul_f64 v[12:13], v[12:13], v[32:33]
	v_add_f64 v[152:153], v[148:149], v[150:151]
	ds_read_b128 v[148:151], v1 offset:1312
	v_add_f64 v[18:19], v[22:23], v[18:19]
	v_fma_f64 v[10:11], v[10:11], v[46:47], -v[12:13]
	v_mul_f64 v[8:9], v[8:9], v[42:43]
	v_add_f64 v[10:11], v[18:19], v[10:11]
	v_fma_f64 v[6:7], v[6:7], v[44:45], -v[8:9]
	v_mul_f64 v[4:5], v[4:5], v[38:39]
	;; [unrolled: 3-line block ×3, first 2 shown]
	s_waitcnt vmcnt(46) lgkmcnt(1)
	v_mul_f64 v[154:155], v[144:145], v[86:87]
	v_add_f64 v[2:3], v[6:7], v[2:3]
	v_fma_f64 v[4:5], v[14:15], v[56:57], -v[4:5]
	s_waitcnt vmcnt(44)
	v_fmac_f64_e32 v[154:155], v[146:147], v[88:89]
	v_add_f64 v[2:3], v[2:3], v[4:5]
	v_mul_f64 v[4:5], v[116:117], v[50:51]
	v_add_f64 v[156:157], v[152:153], v[154:155]
	ds_read_b128 v[152:155], v1 offset:1328
	s_waitcnt lgkmcnt(1)
	v_mul_f64 v[158:159], v[148:149], v[82:83]
	v_fma_f64 v[4:5], v[114:115], v[52:53], -v[4:5]
	v_fmac_f64_e32 v[158:159], v[150:151], v[84:85]
	v_add_f64 v[2:3], v[2:3], v[4:5]
	v_mul_f64 v[4:5], v[122:123], v[62:63]
	v_add_f64 v[160:161], v[156:157], v[158:159]
	ds_read_b128 v[156:159], v1 offset:1344
	v_fma_f64 v[4:5], v[120:121], v[64:65], -v[4:5]
	v_add_f64 v[2:3], v[2:3], v[4:5]
	v_mul_f64 v[4:5], v[126:127], v[58:59]
	v_fma_f64 v[4:5], v[124:125], v[60:61], -v[4:5]
	s_waitcnt vmcnt(38) lgkmcnt(1)
	v_mul_f64 v[162:163], v[152:153], v[94:95]
	v_add_f64 v[2:3], v[2:3], v[4:5]
	v_mul_f64 v[4:5], v[130:131], v[70:71]
	s_waitcnt vmcnt(36)
	v_fmac_f64_e32 v[162:163], v[154:155], v[96:97]
	v_fma_f64 v[4:5], v[128:129], v[72:73], -v[4:5]
	v_add_f64 v[164:165], v[160:161], v[162:163]
	ds_read_b128 v[160:163], v1 offset:1360
	s_waitcnt lgkmcnt(1)
	v_mul_f64 v[166:167], v[156:157], v[90:91]
	v_add_f64 v[2:3], v[2:3], v[4:5]
	v_mul_f64 v[4:5], v[134:135], v[66:67]
	v_fmac_f64_e32 v[166:167], v[158:159], v[92:93]
	v_fma_f64 v[4:5], v[132:133], v[68:69], -v[4:5]
	v_add_f64 v[168:169], v[164:165], v[166:167]
	ds_read_b128 v[164:167], v1 offset:1376
	v_add_f64 v[2:3], v[2:3], v[4:5]
	v_mul_f64 v[4:5], v[138:139], v[78:79]
	v_fma_f64 v[4:5], v[136:137], v[80:81], -v[4:5]
	v_add_f64 v[2:3], v[2:3], v[4:5]
	v_mul_f64 v[4:5], v[142:143], v[74:75]
	s_waitcnt vmcnt(30) lgkmcnt(1)
	v_mul_f64 v[170:171], v[160:161], v[102:103]
	v_fma_f64 v[4:5], v[140:141], v[76:77], -v[4:5]
	s_waitcnt vmcnt(28)
	v_fmac_f64_e32 v[170:171], v[162:163], v[104:105]
	v_add_f64 v[2:3], v[2:3], v[4:5]
	v_mul_f64 v[4:5], v[146:147], v[86:87]
	v_add_f64 v[172:173], v[168:169], v[170:171]
	ds_read_b128 v[168:171], v1 offset:1392
	s_waitcnt lgkmcnt(1)
	v_mul_f64 v[174:175], v[164:165], v[98:99]
	v_fma_f64 v[4:5], v[144:145], v[88:89], -v[4:5]
	v_fmac_f64_e32 v[174:175], v[166:167], v[100:101]
	v_add_f64 v[2:3], v[2:3], v[4:5]
	v_mul_f64 v[4:5], v[150:151], v[82:83]
	v_add_f64 v[176:177], v[172:173], v[174:175]
	ds_read_b128 v[172:175], v1 offset:1408
	v_fma_f64 v[4:5], v[148:149], v[84:85], -v[4:5]
	v_add_f64 v[2:3], v[2:3], v[4:5]
	v_mul_f64 v[4:5], v[154:155], v[94:95]
	v_fma_f64 v[4:5], v[152:153], v[96:97], -v[4:5]
	s_waitcnt vmcnt(22) lgkmcnt(1)
	v_mul_f64 v[178:179], v[168:169], v[110:111]
	v_add_f64 v[2:3], v[2:3], v[4:5]
	v_mul_f64 v[4:5], v[158:159], v[90:91]
	s_waitcnt vmcnt(20)
	v_fmac_f64_e32 v[178:179], v[170:171], v[112:113]
	v_fma_f64 v[4:5], v[156:157], v[92:93], -v[4:5]
	v_add_f64 v[180:181], v[176:177], v[178:179]
	ds_read_b128 v[176:179], v1 offset:1424
	s_waitcnt lgkmcnt(1)
	v_mul_f64 v[182:183], v[172:173], v[106:107]
	v_add_f64 v[2:3], v[2:3], v[4:5]
	v_mul_f64 v[4:5], v[162:163], v[102:103]
	v_fmac_f64_e32 v[182:183], v[174:175], v[108:109]
	v_fma_f64 v[4:5], v[160:161], v[104:105], -v[4:5]
	v_add_f64 v[184:185], v[180:181], v[182:183]
	ds_read_b128 v[180:183], v1 offset:1440
	v_add_f64 v[2:3], v[2:3], v[4:5]
	v_mul_f64 v[4:5], v[166:167], v[98:99]
	v_fma_f64 v[4:5], v[164:165], v[100:101], -v[4:5]
	v_add_f64 v[2:3], v[2:3], v[4:5]
	v_mul_f64 v[4:5], v[170:171], v[110:111]
	s_waitcnt vmcnt(14) lgkmcnt(1)
	v_mul_f64 v[186:187], v[176:177], v[198:199]
	v_fma_f64 v[4:5], v[168:169], v[112:113], -v[4:5]
	s_waitcnt vmcnt(12)
	v_fmac_f64_e32 v[186:187], v[178:179], v[200:201]
	v_add_f64 v[2:3], v[2:3], v[4:5]
	v_mul_f64 v[4:5], v[174:175], v[106:107]
	v_add_f64 v[188:189], v[184:185], v[186:187]
	ds_read_b128 v[184:187], v1 offset:1456
	s_waitcnt lgkmcnt(1)
	v_mul_f64 v[190:191], v[180:181], v[118:119]
	v_fma_f64 v[4:5], v[172:173], v[108:109], -v[4:5]
	v_fmac_f64_e32 v[190:191], v[182:183], v[196:197]
	v_add_f64 v[2:3], v[2:3], v[4:5]
	v_mul_f64 v[4:5], v[178:179], v[198:199]
	v_add_f64 v[214:215], v[188:189], v[190:191]
	ds_read_b128 v[188:191], v1 offset:1472
	v_fma_f64 v[4:5], v[176:177], v[200:201], -v[4:5]
	v_add_f64 v[2:3], v[2:3], v[4:5]
	v_mul_f64 v[4:5], v[182:183], v[118:119]
	ds_read_b128 v[192:195], v1 offset:1488
	v_fma_f64 v[4:5], v[180:181], v[196:197], -v[4:5]
	v_add_f64 v[2:3], v[2:3], v[4:5]
	s_waitcnt vmcnt(6) lgkmcnt(2)
	v_mul_f64 v[4:5], v[186:187], v[206:207]
	v_mul_f64 v[216:217], v[184:185], v[206:207]
	s_waitcnt vmcnt(4)
	v_fma_f64 v[4:5], v[184:185], v[208:209], -v[4:5]
	v_fmac_f64_e32 v[216:217], v[186:187], v[208:209]
	v_add_f64 v[2:3], v[2:3], v[4:5]
	s_waitcnt lgkmcnt(1)
	v_mul_f64 v[4:5], v[190:191], v[202:203]
	v_add_f64 v[214:215], v[214:215], v[216:217]
	v_mul_f64 v[216:217], v[188:189], v[202:203]
	v_fma_f64 v[4:5], v[188:189], v[204:205], -v[4:5]
	v_fmac_f64_e32 v[216:217], v[190:191], v[204:205]
	v_add_f64 v[2:3], v[2:3], v[4:5]
	s_waitcnt vmcnt(2) lgkmcnt(0)
	v_mul_f64 v[4:5], v[194:195], v[210:211]
	v_add_f64 v[214:215], v[214:215], v[216:217]
	v_mul_f64 v[216:217], v[192:193], v[210:211]
	s_waitcnt vmcnt(0)
	v_fma_f64 v[4:5], v[192:193], v[212:213], -v[4:5]
	v_fmac_f64_e32 v[216:217], v[194:195], v[212:213]
	v_add_f64 v[2:3], v[2:3], v[4:5]
	v_add_f64 v[214:215], v[214:215], v[216:217]
	v_add_f64 v[2:3], v[36:37], -v[2:3]
	v_add_f64 v[4:5], v[34:35], -v[214:215]
	buffer_store_dword v3, off, s[0:3], 0 offset:340
	buffer_store_dword v2, off, s[0:3], 0 offset:336
	;; [unrolled: 1-line block ×4, first 2 shown]
	s_and_saveexec_b64 s[4:5], vcc
	s_cbranch_execz .LBB46_257
; %bb.256:
	v_accvgpr_read_b32 v0, a121
	buffer_load_dword v2, v0, s[0:3], 0 offen
	buffer_load_dword v3, v0, s[0:3], 0 offen offset:4
	buffer_load_dword v4, v0, s[0:3], 0 offen offset:8
	;; [unrolled: 1-line block ×3, first 2 shown]
	v_mov_b32_e32 v0, 0
	v_accvgpr_read_b32 v1, a141
	buffer_store_dword v0, off, s[0:3], 0 offset:320
	buffer_store_dword v0, off, s[0:3], 0 offset:324
	;; [unrolled: 1-line block ×4, first 2 shown]
	s_waitcnt vmcnt(4)
	ds_write_b128 v1, v[2:5]
.LBB46_257:
	s_or_b64 exec, exec, s[4:5]
	s_waitcnt lgkmcnt(0)
	; wave barrier
	s_waitcnt lgkmcnt(0)
	buffer_load_dword v30, off, s[0:3], 0 offset:336
	buffer_load_dword v31, off, s[0:3], 0 offset:340
	;; [unrolled: 1-line block ×56, first 2 shown]
	v_mov_b32_e32 v1, 0
	ds_read_b128 v[26:29], v1 offset:1072
	ds_read_b128 v[22:25], v1 offset:1088
	;; [unrolled: 1-line block ×7, first 2 shown]
	v_cmp_lt_u32_e32 vcc, 18, v254
	s_waitcnt vmcnt(52) lgkmcnt(6)
	v_mul_f64 v[86:87], v[26:27], v[34:35]
	v_fmac_f64_e32 v[86:87], v[28:29], v[30:31]
	v_add_f64 v[86:87], v[86:87], 0
	v_mul_f64 v[28:29], v[28:29], v[34:35]
	s_waitcnt vmcnt(48) lgkmcnt(5)
	v_mul_f64 v[88:89], v[22:23], v[36:37]
	v_fmac_f64_e32 v[88:89], v[24:25], v[32:33]
	s_waitcnt vmcnt(46) lgkmcnt(4)
	v_mul_f64 v[90:91], v[18:19], v[38:39]
	v_add_f64 v[86:87], v[86:87], v[88:89]
	s_waitcnt vmcnt(44) lgkmcnt(2)
	v_mul_f64 v[94:95], v[10:11], v[40:41]
	v_fma_f64 v[26:27], v[26:27], v[30:31], -v[28:29]
	s_waitcnt vmcnt(42)
	v_fmac_f64_e32 v[94:95], v[12:13], v[42:43]
	v_mul_f64 v[24:25], v[24:25], v[36:37]
	s_waitcnt vmcnt(40)
	v_mul_f64 v[92:93], v[14:15], v[48:49]
	v_add_f64 v[26:27], v[26:27], 0
	v_fma_f64 v[22:23], v[22:23], v[32:33], -v[24:25]
	v_add_f64 v[22:23], v[26:27], v[22:23]
	s_waitcnt vmcnt(36) lgkmcnt(1)
	v_mul_f64 v[110:111], v[6:7], v[54:55]
	v_mul_f64 v[12:13], v[12:13], v[40:41]
	s_waitcnt vmcnt(34)
	v_fmac_f64_e32 v[90:91], v[20:21], v[60:61]
	v_add_f64 v[86:87], v[86:87], v[90:91]
	s_waitcnt vmcnt(32)
	v_fmac_f64_e32 v[92:93], v[16:17], v[58:59]
	v_add_f64 v[86:87], v[86:87], v[92:93]
	v_add_f64 v[116:117], v[86:87], v[94:95]
	buffer_load_dword v87, off, s[0:3], 0 offset:572
	buffer_load_dword v86, off, s[0:3], 0 offset:568
	;; [unrolled: 1-line block ×56, first 2 shown]
	ds_read_b128 v[126:129], v1 offset:1184
	ds_read_b128 v[130:133], v1 offset:1200
	v_mul_f64 v[20:21], v[20:21], v[38:39]
	v_fma_f64 v[18:19], v[18:19], v[60:61], -v[20:21]
	v_mul_f64 v[16:17], v[16:17], v[48:49]
	s_waitcnt vmcnt(62)
	v_fmac_f64_e32 v[110:111], v[8:9], v[56:57]
	v_add_f64 v[18:19], v[22:23], v[18:19]
	v_fma_f64 v[14:15], v[14:15], v[58:59], -v[16:17]
	v_add_f64 v[110:111], v[116:117], v[110:111]
	s_waitcnt lgkmcnt(2)
	v_mul_f64 v[116:117], v[2:3], v[50:51]
	v_add_f64 v[14:15], v[18:19], v[14:15]
	v_fma_f64 v[10:11], v[10:11], v[42:43], -v[12:13]
	v_mul_f64 v[8:9], v[8:9], v[54:55]
	v_fmac_f64_e32 v[116:117], v[4:5], v[52:53]
	ds_read_b128 v[134:137], v1 offset:1216
	ds_read_b128 v[138:141], v1 offset:1232
	v_add_f64 v[10:11], v[14:15], v[10:11]
	v_fma_f64 v[6:7], v[6:7], v[56:57], -v[8:9]
	v_mul_f64 v[4:5], v[4:5], v[50:51]
	v_add_f64 v[6:7], v[10:11], v[6:7]
	v_fma_f64 v[2:3], v[2:3], v[52:53], -v[4:5]
	s_waitcnt lgkmcnt(3)
	v_mul_f64 v[4:5], v[128:129], v[66:67]
	v_add_f64 v[110:111], v[110:111], v[116:117]
	v_mul_f64 v[116:117], v[126:127], v[66:67]
	v_add_f64 v[2:3], v[6:7], v[2:3]
	v_fma_f64 v[4:5], v[126:127], v[68:69], -v[4:5]
	v_fmac_f64_e32 v[116:117], v[128:129], v[68:69]
	v_add_f64 v[2:3], v[2:3], v[4:5]
	s_waitcnt lgkmcnt(2)
	v_mul_f64 v[4:5], v[132:133], v[62:63]
	v_add_f64 v[110:111], v[110:111], v[116:117]
	v_mul_f64 v[116:117], v[130:131], v[62:63]
	ds_read_b128 v[142:145], v1 offset:1248
	ds_read_b128 v[146:149], v1 offset:1264
	v_fma_f64 v[4:5], v[130:131], v[64:65], -v[4:5]
	v_fmac_f64_e32 v[116:117], v[132:133], v[64:65]
	v_add_f64 v[2:3], v[2:3], v[4:5]
	s_waitcnt lgkmcnt(3)
	v_mul_f64 v[4:5], v[136:137], v[74:75]
	v_add_f64 v[110:111], v[110:111], v[116:117]
	v_mul_f64 v[116:117], v[134:135], v[74:75]
	v_fma_f64 v[4:5], v[134:135], v[76:77], -v[4:5]
	v_fmac_f64_e32 v[116:117], v[136:137], v[76:77]
	v_add_f64 v[2:3], v[2:3], v[4:5]
	s_waitcnt lgkmcnt(2)
	v_mul_f64 v[4:5], v[140:141], v[70:71]
	v_add_f64 v[110:111], v[110:111], v[116:117]
	v_mul_f64 v[116:117], v[138:139], v[70:71]
	ds_read_b128 v[150:153], v1 offset:1280
	ds_read_b128 v[154:157], v1 offset:1296
	v_fma_f64 v[4:5], v[138:139], v[72:73], -v[4:5]
	v_fmac_f64_e32 v[116:117], v[140:141], v[72:73]
	v_add_f64 v[2:3], v[2:3], v[4:5]
	s_waitcnt vmcnt(58) lgkmcnt(3)
	v_mul_f64 v[4:5], v[144:145], v[82:83]
	v_add_f64 v[110:111], v[110:111], v[116:117]
	v_mul_f64 v[116:117], v[142:143], v[82:83]
	s_waitcnt vmcnt(56)
	v_fma_f64 v[4:5], v[142:143], v[84:85], -v[4:5]
	v_fmac_f64_e32 v[116:117], v[144:145], v[84:85]
	v_add_f64 v[2:3], v[2:3], v[4:5]
	s_waitcnt lgkmcnt(2)
	v_mul_f64 v[4:5], v[148:149], v[78:79]
	v_add_f64 v[110:111], v[110:111], v[116:117]
	v_mul_f64 v[116:117], v[146:147], v[78:79]
	ds_read_b128 v[158:161], v1 offset:1312
	ds_read_b128 v[162:165], v1 offset:1328
	v_fma_f64 v[4:5], v[146:147], v[80:81], -v[4:5]
	v_fmac_f64_e32 v[116:117], v[148:149], v[80:81]
	v_add_f64 v[2:3], v[2:3], v[4:5]
	s_waitcnt vmcnt(50) lgkmcnt(3)
	v_mul_f64 v[4:5], v[152:153], v[90:91]
	v_add_f64 v[110:111], v[110:111], v[116:117]
	v_mul_f64 v[116:117], v[150:151], v[90:91]
	s_waitcnt vmcnt(48)
	;; [unrolled: 17-line block ×7, first 2 shown]
	v_fma_f64 v[4:5], v[190:191], v[216:217], -v[4:5]
	v_fmac_f64_e32 v[116:117], v[192:193], v[216:217]
	v_add_f64 v[2:3], v[2:3], v[4:5]
	s_waitcnt lgkmcnt(2)
	v_mul_f64 v[4:5], v[196:197], v[206:207]
	v_add_f64 v[110:111], v[110:111], v[116:117]
	v_mul_f64 v[116:117], v[194:195], v[206:207]
	v_fma_f64 v[4:5], v[194:195], v[208:209], -v[4:5]
	v_fmac_f64_e32 v[116:117], v[196:197], v[208:209]
	v_add_f64 v[2:3], v[2:3], v[4:5]
	s_waitcnt vmcnt(2) lgkmcnt(1)
	v_mul_f64 v[4:5], v[200:201], v[222:223]
	v_add_f64 v[110:111], v[110:111], v[116:117]
	v_mul_f64 v[116:117], v[198:199], v[222:223]
	s_waitcnt vmcnt(0)
	v_fma_f64 v[4:5], v[198:199], v[224:225], -v[4:5]
	v_fmac_f64_e32 v[116:117], v[200:201], v[224:225]
	v_add_f64 v[2:3], v[2:3], v[4:5]
	s_waitcnt lgkmcnt(0)
	v_mul_f64 v[4:5], v[214:215], v[218:219]
	v_add_f64 v[110:111], v[110:111], v[116:117]
	v_mul_f64 v[116:117], v[212:213], v[218:219]
	v_fma_f64 v[4:5], v[212:213], v[220:221], -v[4:5]
	v_fmac_f64_e32 v[116:117], v[214:215], v[220:221]
	v_add_f64 v[2:3], v[2:3], v[4:5]
	v_add_f64 v[110:111], v[110:111], v[116:117]
	v_add_f64 v[2:3], v[46:47], -v[2:3]
	v_add_f64 v[4:5], v[44:45], -v[110:111]
	buffer_store_dword v3, off, s[0:3], 0 offset:324
	buffer_store_dword v2, off, s[0:3], 0 offset:320
	;; [unrolled: 1-line block ×4, first 2 shown]
	s_and_saveexec_b64 s[4:5], vcc
	s_cbranch_execz .LBB46_259
; %bb.258:
	v_accvgpr_read_b32 v0, a122
	buffer_load_dword v2, v0, s[0:3], 0 offen
	buffer_load_dword v3, v0, s[0:3], 0 offen offset:4
	buffer_load_dword v4, v0, s[0:3], 0 offen offset:8
	;; [unrolled: 1-line block ×3, first 2 shown]
	v_accvgpr_read_b32 v0, a141
	buffer_store_dword v1, off, s[0:3], 0 offset:304
	buffer_store_dword v1, off, s[0:3], 0 offset:308
	;; [unrolled: 1-line block ×4, first 2 shown]
	s_waitcnt vmcnt(4)
	ds_write_b128 v0, v[2:5]
.LBB46_259:
	s_or_b64 exec, exec, s[4:5]
	s_waitcnt lgkmcnt(0)
	; wave barrier
	s_waitcnt lgkmcnt(0)
	buffer_load_dword v34, off, s[0:3], 0 offset:320
	buffer_load_dword v35, off, s[0:3], 0 offset:324
	;; [unrolled: 1-line block ×32, first 2 shown]
	ds_read_b128 v[30:33], v1 offset:1056
	ds_read_b128 v[26:29], v1 offset:1072
	;; [unrolled: 1-line block ×8, first 2 shown]
	buffer_load_dword v67, off, s[0:3], 0 offset:460
	buffer_load_dword v66, off, s[0:3], 0 offset:456
	;; [unrolled: 1-line block ×24, first 2 shown]
	v_cmp_lt_u32_e32 vcc, 17, v254
	s_waitcnt vmcnt(52) lgkmcnt(7)
	v_mul_f64 v[90:91], v[30:31], v[38:39]
	v_fmac_f64_e32 v[90:91], v[32:33], v[34:35]
	v_add_f64 v[90:91], v[90:91], 0
	v_mul_f64 v[32:33], v[32:33], v[38:39]
	s_waitcnt vmcnt(48) lgkmcnt(6)
	v_mul_f64 v[92:93], v[26:27], v[40:41]
	v_fmac_f64_e32 v[92:93], v[28:29], v[36:37]
	s_waitcnt vmcnt(46) lgkmcnt(5)
	v_mul_f64 v[94:95], v[22:23], v[42:43]
	v_add_f64 v[90:91], v[90:91], v[92:93]
	s_waitcnt vmcnt(44) lgkmcnt(4)
	v_mul_f64 v[96:97], v[18:19], v[48:49]
	v_fma_f64 v[30:31], v[30:31], v[34:35], -v[32:33]
	s_waitcnt vmcnt(42) lgkmcnt(1)
	v_mul_f64 v[124:125], v[2:3], v[50:51]
	v_mul_f64 v[28:29], v[28:29], v[40:41]
	s_waitcnt vmcnt(18) lgkmcnt(0)
	v_mul_f64 v[138:139], v[14:15], v[70:71]
	v_mul_f64 v[100:101], v[6:7], v[54:55]
	s_waitcnt vmcnt(16)
	v_fmac_f64_e32 v[138:139], v[16:17], v[72:73]
	v_mul_f64 v[98:99], v[10:11], v[56:57]
	v_add_f64 v[30:31], v[30:31], 0
	v_fmac_f64_e32 v[98:99], v[12:13], v[58:59]
	v_fma_f64 v[26:27], v[26:27], v[36:37], -v[28:29]
	v_fmac_f64_e32 v[94:95], v[24:25], v[64:65]
	v_add_f64 v[90:91], v[90:91], v[94:95]
	v_fmac_f64_e32 v[96:97], v[20:21], v[62:63]
	v_add_f64 v[90:91], v[90:91], v[96:97]
	;; [unrolled: 2-line block ×3, first 2 shown]
	v_add_f64 v[126:127], v[90:91], v[100:101]
	buffer_load_dword v91, off, s[0:3], 0 offset:556
	buffer_load_dword v90, off, s[0:3], 0 offset:552
	;; [unrolled: 1-line block ×56, first 2 shown]
	v_fmac_f64_e32 v[124:125], v[4:5], v[52:53]
	v_add_f64 v[136:137], v[126:127], v[124:125]
	ds_read_b128 v[124:127], v1 offset:1184
	buffer_load_dword v227, off, s[0:3], 0 offset:764
	buffer_load_dword v226, off, s[0:3], 0 offset:760
	;; [unrolled: 1-line block ×4, first 2 shown]
	v_add_f64 v[140:141], v[136:137], v[138:139]
	ds_read_b128 v[136:139], v1 offset:1200
	v_mul_f64 v[24:25], v[24:25], v[42:43]
	s_waitcnt lgkmcnt(1)
	v_mul_f64 v[142:143], v[124:125], v[66:67]
	v_fmac_f64_e32 v[142:143], v[126:127], v[68:69]
	v_add_f64 v[144:145], v[140:141], v[142:143]
	ds_read_b128 v[140:143], v1 offset:1216
	s_waitcnt vmcnt(62) lgkmcnt(1)
	v_mul_f64 v[146:147], v[136:137], v[78:79]
	v_fmac_f64_e32 v[146:147], v[138:139], v[80:81]
	v_add_f64 v[148:149], v[144:145], v[146:147]
	ds_read_b128 v[144:147], v1 offset:1232
	s_waitcnt lgkmcnt(1)
	v_mul_f64 v[150:151], v[140:141], v[74:75]
	v_fmac_f64_e32 v[150:151], v[142:143], v[76:77]
	v_add_f64 v[152:153], v[148:149], v[150:151]
	ds_read_b128 v[148:151], v1 offset:1248
	s_waitcnt lgkmcnt(1)
	v_mul_f64 v[154:155], v[144:145], v[86:87]
	s_waitcnt vmcnt(60)
	v_fmac_f64_e32 v[154:155], v[146:147], v[88:89]
	v_add_f64 v[156:157], v[152:153], v[154:155]
	ds_read_b128 v[152:155], v1 offset:1264
	s_waitcnt lgkmcnt(1)
	v_mul_f64 v[158:159], v[148:149], v[82:83]
	v_fmac_f64_e32 v[158:159], v[150:151], v[84:85]
	v_add_f64 v[160:161], v[156:157], v[158:159]
	ds_read_b128 v[156:159], v1 offset:1280
	v_add_f64 v[26:27], v[30:31], v[26:27]
	v_fma_f64 v[22:23], v[22:23], v[64:65], -v[24:25]
	s_waitcnt vmcnt(54) lgkmcnt(1)
	v_mul_f64 v[162:163], v[152:153], v[94:95]
	v_mul_f64 v[20:21], v[20:21], v[48:49]
	s_waitcnt vmcnt(52)
	v_fmac_f64_e32 v[162:163], v[154:155], v[96:97]
	v_add_f64 v[164:165], v[160:161], v[162:163]
	ds_read_b128 v[160:163], v1 offset:1296
	s_waitcnt lgkmcnt(1)
	v_mul_f64 v[166:167], v[156:157], v[90:91]
	v_fmac_f64_e32 v[166:167], v[158:159], v[92:93]
	v_add_f64 v[22:23], v[26:27], v[22:23]
	v_fma_f64 v[18:19], v[18:19], v[62:63], -v[20:21]
	v_mul_f64 v[12:13], v[12:13], v[56:57]
	v_add_f64 v[168:169], v[164:165], v[166:167]
	ds_read_b128 v[164:167], v1 offset:1312
	v_add_f64 v[18:19], v[22:23], v[18:19]
	v_fma_f64 v[10:11], v[10:11], v[58:59], -v[12:13]
	v_mul_f64 v[8:9], v[8:9], v[54:55]
	v_add_f64 v[10:11], v[18:19], v[10:11]
	v_fma_f64 v[6:7], v[6:7], v[60:61], -v[8:9]
	v_mul_f64 v[4:5], v[4:5], v[50:51]
	;; [unrolled: 3-line block ×3, first 2 shown]
	s_waitcnt vmcnt(46) lgkmcnt(1)
	v_mul_f64 v[170:171], v[160:161], v[102:103]
	v_add_f64 v[2:3], v[6:7], v[2:3]
	v_fma_f64 v[4:5], v[14:15], v[72:73], -v[4:5]
	s_waitcnt vmcnt(44)
	v_fmac_f64_e32 v[170:171], v[162:163], v[104:105]
	v_add_f64 v[2:3], v[2:3], v[4:5]
	v_mul_f64 v[4:5], v[126:127], v[66:67]
	v_add_f64 v[172:173], v[168:169], v[170:171]
	ds_read_b128 v[168:171], v1 offset:1328
	s_waitcnt lgkmcnt(1)
	v_mul_f64 v[174:175], v[164:165], v[98:99]
	v_fma_f64 v[4:5], v[124:125], v[68:69], -v[4:5]
	v_fmac_f64_e32 v[174:175], v[166:167], v[100:101]
	v_add_f64 v[2:3], v[2:3], v[4:5]
	v_mul_f64 v[4:5], v[138:139], v[78:79]
	v_add_f64 v[176:177], v[172:173], v[174:175]
	ds_read_b128 v[172:175], v1 offset:1344
	v_fma_f64 v[4:5], v[136:137], v[80:81], -v[4:5]
	v_add_f64 v[2:3], v[2:3], v[4:5]
	v_mul_f64 v[4:5], v[142:143], v[74:75]
	v_fma_f64 v[4:5], v[140:141], v[76:77], -v[4:5]
	s_waitcnt vmcnt(38) lgkmcnt(1)
	v_mul_f64 v[178:179], v[168:169], v[110:111]
	v_add_f64 v[2:3], v[2:3], v[4:5]
	v_mul_f64 v[4:5], v[146:147], v[86:87]
	s_waitcnt vmcnt(36)
	v_fmac_f64_e32 v[178:179], v[170:171], v[112:113]
	v_fma_f64 v[4:5], v[144:145], v[88:89], -v[4:5]
	v_add_f64 v[180:181], v[176:177], v[178:179]
	ds_read_b128 v[176:179], v1 offset:1360
	s_waitcnt lgkmcnt(1)
	v_mul_f64 v[182:183], v[172:173], v[106:107]
	v_add_f64 v[2:3], v[2:3], v[4:5]
	v_mul_f64 v[4:5], v[150:151], v[82:83]
	v_fmac_f64_e32 v[182:183], v[174:175], v[108:109]
	v_fma_f64 v[4:5], v[148:149], v[84:85], -v[4:5]
	v_add_f64 v[184:185], v[180:181], v[182:183]
	ds_read_b128 v[180:183], v1 offset:1376
	v_add_f64 v[2:3], v[2:3], v[4:5]
	v_mul_f64 v[4:5], v[154:155], v[94:95]
	v_fma_f64 v[4:5], v[152:153], v[96:97], -v[4:5]
	v_add_f64 v[2:3], v[2:3], v[4:5]
	v_mul_f64 v[4:5], v[158:159], v[90:91]
	s_waitcnt vmcnt(30) lgkmcnt(1)
	v_mul_f64 v[186:187], v[176:177], v[120:121]
	v_fma_f64 v[4:5], v[156:157], v[92:93], -v[4:5]
	s_waitcnt vmcnt(28)
	v_fmac_f64_e32 v[186:187], v[178:179], v[122:123]
	v_add_f64 v[2:3], v[2:3], v[4:5]
	v_mul_f64 v[4:5], v[162:163], v[102:103]
	v_add_f64 v[188:189], v[184:185], v[186:187]
	ds_read_b128 v[184:187], v1 offset:1392
	s_waitcnt lgkmcnt(1)
	v_mul_f64 v[190:191], v[180:181], v[114:115]
	v_fma_f64 v[4:5], v[160:161], v[104:105], -v[4:5]
	v_fmac_f64_e32 v[190:191], v[182:183], v[116:117]
	v_add_f64 v[2:3], v[2:3], v[4:5]
	v_mul_f64 v[4:5], v[166:167], v[98:99]
	v_add_f64 v[192:193], v[188:189], v[190:191]
	ds_read_b128 v[188:191], v1 offset:1408
	v_fma_f64 v[4:5], v[164:165], v[100:101], -v[4:5]
	v_add_f64 v[2:3], v[2:3], v[4:5]
	v_mul_f64 v[4:5], v[170:171], v[110:111]
	v_fma_f64 v[4:5], v[168:169], v[112:113], -v[4:5]
	s_waitcnt vmcnt(22) lgkmcnt(1)
	v_mul_f64 v[194:195], v[184:185], v[132:133]
	v_add_f64 v[2:3], v[2:3], v[4:5]
	v_mul_f64 v[4:5], v[174:175], v[106:107]
	s_waitcnt vmcnt(20)
	v_fmac_f64_e32 v[194:195], v[186:187], v[134:135]
	v_fma_f64 v[4:5], v[172:173], v[108:109], -v[4:5]
	v_add_f64 v[196:197], v[192:193], v[194:195]
	ds_read_b128 v[192:195], v1 offset:1424
	s_waitcnt lgkmcnt(1)
	v_mul_f64 v[198:199], v[188:189], v[128:129]
	v_add_f64 v[2:3], v[2:3], v[4:5]
	v_mul_f64 v[4:5], v[178:179], v[120:121]
	v_fmac_f64_e32 v[198:199], v[190:191], v[130:131]
	v_fma_f64 v[4:5], v[176:177], v[122:123], -v[4:5]
	v_add_f64 v[200:201], v[196:197], v[198:199]
	ds_read_b128 v[196:199], v1 offset:1440
	v_add_f64 v[2:3], v[2:3], v[4:5]
	v_mul_f64 v[4:5], v[182:183], v[114:115]
	v_fma_f64 v[4:5], v[180:181], v[116:117], -v[4:5]
	v_add_f64 v[2:3], v[2:3], v[4:5]
	v_mul_f64 v[4:5], v[186:187], v[132:133]
	s_waitcnt vmcnt(14) lgkmcnt(1)
	v_mul_f64 v[202:203], v[192:193], v[206:207]
	v_fma_f64 v[4:5], v[184:185], v[134:135], -v[4:5]
	s_waitcnt vmcnt(12)
	v_fmac_f64_e32 v[202:203], v[194:195], v[208:209]
	v_add_f64 v[2:3], v[2:3], v[4:5]
	v_mul_f64 v[4:5], v[190:191], v[128:129]
	v_add_f64 v[212:213], v[200:201], v[202:203]
	ds_read_b128 v[200:203], v1 offset:1456
	s_waitcnt lgkmcnt(1)
	v_mul_f64 v[214:215], v[196:197], v[118:119]
	v_fma_f64 v[4:5], v[188:189], v[130:131], -v[4:5]
	v_fmac_f64_e32 v[214:215], v[198:199], v[204:205]
	v_add_f64 v[2:3], v[2:3], v[4:5]
	v_mul_f64 v[4:5], v[194:195], v[206:207]
	v_add_f64 v[230:231], v[212:213], v[214:215]
	ds_read_b128 v[212:215], v1 offset:1472
	v_fma_f64 v[4:5], v[192:193], v[208:209], -v[4:5]
	v_add_f64 v[2:3], v[2:3], v[4:5]
	v_mul_f64 v[4:5], v[198:199], v[118:119]
	ds_read_b128 v[216:219], v1 offset:1488
	v_fma_f64 v[4:5], v[196:197], v[204:205], -v[4:5]
	v_add_f64 v[2:3], v[2:3], v[4:5]
	s_waitcnt vmcnt(6) lgkmcnt(2)
	v_mul_f64 v[4:5], v[202:203], v[222:223]
	v_mul_f64 v[232:233], v[200:201], v[222:223]
	s_waitcnt vmcnt(4)
	v_fma_f64 v[4:5], v[200:201], v[224:225], -v[4:5]
	v_fmac_f64_e32 v[232:233], v[202:203], v[224:225]
	v_add_f64 v[2:3], v[2:3], v[4:5]
	s_waitcnt lgkmcnt(1)
	v_mul_f64 v[4:5], v[214:215], v[210:211]
	v_add_f64 v[230:231], v[230:231], v[232:233]
	v_mul_f64 v[232:233], v[212:213], v[210:211]
	v_fma_f64 v[4:5], v[212:213], v[220:221], -v[4:5]
	v_fmac_f64_e32 v[232:233], v[214:215], v[220:221]
	v_add_f64 v[2:3], v[2:3], v[4:5]
	s_waitcnt vmcnt(2) lgkmcnt(0)
	v_mul_f64 v[4:5], v[218:219], v[226:227]
	v_add_f64 v[230:231], v[230:231], v[232:233]
	v_mul_f64 v[232:233], v[216:217], v[226:227]
	s_waitcnt vmcnt(0)
	v_fma_f64 v[4:5], v[216:217], v[228:229], -v[4:5]
	v_fmac_f64_e32 v[232:233], v[218:219], v[228:229]
	v_add_f64 v[2:3], v[2:3], v[4:5]
	v_add_f64 v[230:231], v[230:231], v[232:233]
	v_add_f64 v[2:3], v[46:47], -v[2:3]
	v_add_f64 v[4:5], v[44:45], -v[230:231]
	buffer_store_dword v3, off, s[0:3], 0 offset:308
	buffer_store_dword v2, off, s[0:3], 0 offset:304
	;; [unrolled: 1-line block ×4, first 2 shown]
	s_and_saveexec_b64 s[4:5], vcc
	s_cbranch_execz .LBB46_261
; %bb.260:
	v_accvgpr_read_b32 v0, a123
	buffer_load_dword v2, v0, s[0:3], 0 offen
	buffer_load_dword v3, v0, s[0:3], 0 offen offset:4
	buffer_load_dword v4, v0, s[0:3], 0 offen offset:8
	;; [unrolled: 1-line block ×3, first 2 shown]
	v_mov_b32_e32 v0, 0
	v_accvgpr_read_b32 v1, a141
	buffer_store_dword v0, off, s[0:3], 0 offset:288
	buffer_store_dword v0, off, s[0:3], 0 offset:292
	buffer_store_dword v0, off, s[0:3], 0 offset:296
	buffer_store_dword v0, off, s[0:3], 0 offset:300
	s_waitcnt vmcnt(4)
	ds_write_b128 v1, v[2:5]
.LBB46_261:
	s_or_b64 exec, exec, s[4:5]
	s_waitcnt lgkmcnt(0)
	; wave barrier
	s_waitcnt lgkmcnt(0)
	buffer_load_dword v38, off, s[0:3], 0 offset:304
	buffer_load_dword v39, off, s[0:3], 0 offset:308
	buffer_load_dword v42, off, s[0:3], 0 offset:312
	buffer_load_dword v43, off, s[0:3], 0 offset:316
	buffer_load_dword v40, off, s[0:3], 0 offset:320
	buffer_load_dword v41, off, s[0:3], 0 offset:324
	buffer_load_dword v44, off, s[0:3], 0 offset:328
	buffer_load_dword v45, off, s[0:3], 0 offset:332
	buffer_load_dword v46, off, s[0:3], 0 offset:344
	buffer_load_dword v47, off, s[0:3], 0 offset:348
	buffer_load_dword v49, off, s[0:3], 0 offset:380
	buffer_load_dword v48, off, s[0:3], 0 offset:376
	buffer_load_dword v51, off, s[0:3], 0 offset:372
	buffer_load_dword v50, off, s[0:3], 0 offset:368
	buffer_load_dword v53, off, s[0:3], 0 offset:364
	buffer_load_dword v52, off, s[0:3], 0 offset:360
	buffer_load_dword v55, off, s[0:3], 0 offset:412
	buffer_load_dword v54, off, s[0:3], 0 offset:408
	buffer_load_dword v57, off, s[0:3], 0 offset:404
	buffer_load_dword v56, off, s[0:3], 0 offset:400
	buffer_load_dword v59, off, s[0:3], 0 offset:396
	buffer_load_dword v58, off, s[0:3], 0 offset:392
	buffer_load_dword v65, off, s[0:3], 0 offset:444
	buffer_load_dword v67, off, s[0:3], 0 offset:436
	buffer_load_dword v69, off, s[0:3], 0 offset:428
	buffer_load_dword v68, off, s[0:3], 0 offset:424
	buffer_load_dword v76, off, s[0:3], 0 offset:336
	buffer_load_dword v77, off, s[0:3], 0 offset:340
	buffer_load_dword v75, off, s[0:3], 0 offset:356
	buffer_load_dword v74, off, s[0:3], 0 offset:352
	buffer_load_dword v73, off, s[0:3], 0 offset:388
	buffer_load_dword v72, off, s[0:3], 0 offset:384
	buffer_load_dword v71, off, s[0:3], 0 offset:420
	buffer_load_dword v70, off, s[0:3], 0 offset:416
	buffer_load_dword v64, off, s[0:3], 0 offset:440
	buffer_load_dword v66, off, s[0:3], 0 offset:432
	buffer_load_dword v62, off, s[0:3], 0 offset:288
	buffer_load_dword v63, off, s[0:3], 0 offset:292
	buffer_load_dword v60, off, s[0:3], 0 offset:296
	buffer_load_dword v61, off, s[0:3], 0 offset:300
	buffer_load_dword v79, off, s[0:3], 0 offset:476
	buffer_load_dword v78, off, s[0:3], 0 offset:472
	buffer_load_dword v81, off, s[0:3], 0 offset:468
	buffer_load_dword v80, off, s[0:3], 0 offset:464
	buffer_load_dword v83, off, s[0:3], 0 offset:460
	buffer_load_dword v82, off, s[0:3], 0 offset:456
	buffer_load_dword v85, off, s[0:3], 0 offset:452
	buffer_load_dword v84, off, s[0:3], 0 offset:448
	v_mov_b32_e32 v1, 0
	ds_read_b128 v[34:37], v1 offset:1040
	ds_read_b128 v[30:33], v1 offset:1056
	ds_read_b128 v[26:29], v1 offset:1072
	ds_read_b128 v[22:25], v1 offset:1088
	ds_read_b128 v[18:21], v1 offset:1104
	ds_read_b128 v[14:17], v1 offset:1120
	ds_read_b128 v[10:13], v1 offset:1136
	ds_read_b128 v[6:9], v1 offset:1152
	ds_read_b128 v[2:5], v1 offset:1168
	v_cmp_lt_u32_e32 vcc, 16, v254
	s_waitcnt vmcnt(44) lgkmcnt(8)
	v_mul_f64 v[86:87], v[34:35], v[42:43]
	v_fmac_f64_e32 v[86:87], v[36:37], v[38:39]
	v_add_f64 v[86:87], v[86:87], 0
	v_mul_f64 v[36:37], v[36:37], v[42:43]
	s_waitcnt vmcnt(40) lgkmcnt(7)
	v_mul_f64 v[88:89], v[30:31], v[44:45]
	v_fmac_f64_e32 v[88:89], v[32:33], v[40:41]
	s_waitcnt vmcnt(38) lgkmcnt(6)
	v_mul_f64 v[90:91], v[26:27], v[46:47]
	v_add_f64 v[86:87], v[86:87], v[88:89]
	s_waitcnt vmcnt(36) lgkmcnt(4)
	v_mul_f64 v[94:95], v[18:19], v[48:49]
	v_fma_f64 v[34:35], v[34:35], v[38:39], -v[36:37]
	s_waitcnt vmcnt(34)
	v_fmac_f64_e32 v[94:95], v[20:21], v[50:51]
	v_mul_f64 v[32:33], v[32:33], v[44:45]
	s_waitcnt vmcnt(32)
	v_mul_f64 v[92:93], v[22:23], v[52:53]
	v_add_f64 v[34:35], v[34:35], 0
	s_waitcnt vmcnt(30) lgkmcnt(2)
	v_mul_f64 v[98:99], v[10:11], v[54:55]
	v_fma_f64 v[30:31], v[30:31], v[40:41], -v[32:33]
	s_waitcnt vmcnt(28)
	v_fmac_f64_e32 v[98:99], v[12:13], v[56:57]
	v_add_f64 v[30:31], v[34:35], v[30:31]
	s_waitcnt vmcnt(26)
	v_mul_f64 v[96:97], v[14:15], v[58:59]
	v_mul_f64 v[20:21], v[20:21], v[48:49]
	v_fma_f64 v[18:19], v[18:19], v[50:51], -v[20:21]
	v_mul_f64 v[12:13], v[12:13], v[54:55]
	s_waitcnt vmcnt(22) lgkmcnt(1)
	v_mul_f64 v[110:111], v[6:7], v[68:69]
	v_fma_f64 v[10:11], v[10:11], v[56:57], -v[12:13]
	s_waitcnt vmcnt(20)
	v_fmac_f64_e32 v[90:91], v[28:29], v[76:77]
	v_add_f64 v[86:87], v[86:87], v[90:91]
	s_waitcnt vmcnt(18)
	v_fmac_f64_e32 v[92:93], v[24:25], v[74:75]
	v_add_f64 v[86:87], v[86:87], v[92:93]
	s_waitcnt vmcnt(16)
	v_fmac_f64_e32 v[96:97], v[16:17], v[72:73]
	v_add_f64 v[86:87], v[86:87], v[94:95]
	v_add_f64 v[86:87], v[86:87], v[96:97]
	v_add_f64 v[112:113], v[86:87], v[98:99]
	buffer_load_dword v87, off, s[0:3], 0 offset:508
	buffer_load_dword v86, off, s[0:3], 0 offset:504
	;; [unrolled: 1-line block ×72, first 2 shown]
	s_waitcnt vmcnt(62)
	v_fmac_f64_e32 v[110:111], v[8:9], v[70:71]
	v_add_f64 v[144:145], v[112:113], v[110:111]
	ds_read_b128 v[110:113], v1 offset:1184
	s_waitcnt lgkmcnt(1)
	v_mul_f64 v[146:147], v[2:3], v[64:65]
	v_fmac_f64_e32 v[146:147], v[4:5], v[66:67]
	v_add_f64 v[148:149], v[144:145], v[146:147]
	ds_read_b128 v[144:147], v1 offset:1200
	s_waitcnt lgkmcnt(1)
	v_mul_f64 v[150:151], v[110:111], v[82:83]
	;; [unrolled: 5-line block ×5, first 2 shown]
	v_fmac_f64_e32 v[162:163], v[154:155], v[88:89]
	v_add_f64 v[164:165], v[160:161], v[162:163]
	ds_read_b128 v[160:163], v1 offset:1264
	s_waitcnt vmcnt(58) lgkmcnt(1)
	v_mul_f64 v[166:167], v[156:157], v[98:99]
	s_waitcnt vmcnt(56)
	v_fmac_f64_e32 v[166:167], v[158:159], v[100:101]
	v_add_f64 v[168:169], v[164:165], v[166:167]
	ds_read_b128 v[164:167], v1 offset:1280
	s_waitcnt lgkmcnt(1)
	v_mul_f64 v[170:171], v[160:161], v[94:95]
	v_fmac_f64_e32 v[170:171], v[162:163], v[96:97]
	v_mul_f64 v[28:29], v[28:29], v[46:47]
	v_add_f64 v[172:173], v[168:169], v[170:171]
	ds_read_b128 v[168:171], v1 offset:1296
	s_waitcnt vmcnt(50) lgkmcnt(1)
	v_mul_f64 v[174:175], v[164:165], v[106:107]
	v_fma_f64 v[26:27], v[26:27], v[76:77], -v[28:29]
	v_mul_f64 v[24:25], v[24:25], v[52:53]
	s_waitcnt vmcnt(48)
	v_fmac_f64_e32 v[174:175], v[166:167], v[108:109]
	v_add_f64 v[26:27], v[30:31], v[26:27]
	v_fma_f64 v[22:23], v[22:23], v[74:75], -v[24:25]
	v_add_f64 v[176:177], v[172:173], v[174:175]
	ds_read_b128 v[172:175], v1 offset:1312
	v_add_f64 v[22:23], v[26:27], v[22:23]
	v_mul_f64 v[16:17], v[16:17], v[58:59]
	v_add_f64 v[18:19], v[22:23], v[18:19]
	v_fma_f64 v[14:15], v[14:15], v[72:73], -v[16:17]
	v_add_f64 v[14:15], v[18:19], v[14:15]
	v_mul_f64 v[8:9], v[8:9], v[68:69]
	s_waitcnt lgkmcnt(1)
	v_mul_f64 v[178:179], v[168:169], v[102:103]
	v_add_f64 v[10:11], v[14:15], v[10:11]
	v_fma_f64 v[6:7], v[6:7], v[70:71], -v[8:9]
	v_mul_f64 v[4:5], v[4:5], v[64:65]
	v_fmac_f64_e32 v[178:179], v[170:171], v[104:105]
	v_add_f64 v[6:7], v[10:11], v[6:7]
	v_fma_f64 v[2:3], v[2:3], v[66:67], -v[4:5]
	v_mul_f64 v[4:5], v[112:113], v[82:83]
	v_add_f64 v[180:181], v[176:177], v[178:179]
	ds_read_b128 v[176:179], v1 offset:1328
	s_waitcnt vmcnt(42) lgkmcnt(1)
	v_mul_f64 v[182:183], v[172:173], v[120:121]
	v_add_f64 v[2:3], v[6:7], v[2:3]
	v_fma_f64 v[4:5], v[110:111], v[84:85], -v[4:5]
	s_waitcnt vmcnt(40)
	v_fmac_f64_e32 v[182:183], v[174:175], v[122:123]
	v_add_f64 v[2:3], v[2:3], v[4:5]
	v_mul_f64 v[4:5], v[146:147], v[78:79]
	v_add_f64 v[184:185], v[180:181], v[182:183]
	ds_read_b128 v[180:183], v1 offset:1344
	v_fma_f64 v[4:5], v[144:145], v[80:81], -v[4:5]
	v_add_f64 v[2:3], v[2:3], v[4:5]
	v_mul_f64 v[4:5], v[150:151], v[90:91]
	v_fma_f64 v[4:5], v[148:149], v[92:93], -v[4:5]
	s_waitcnt lgkmcnt(1)
	v_mul_f64 v[186:187], v[176:177], v[114:115]
	v_add_f64 v[2:3], v[2:3], v[4:5]
	v_mul_f64 v[4:5], v[154:155], v[86:87]
	v_fmac_f64_e32 v[186:187], v[178:179], v[116:117]
	v_fma_f64 v[4:5], v[152:153], v[88:89], -v[4:5]
	v_add_f64 v[188:189], v[184:185], v[186:187]
	ds_read_b128 v[184:187], v1 offset:1360
	s_waitcnt vmcnt(34) lgkmcnt(1)
	v_mul_f64 v[190:191], v[180:181], v[128:129]
	v_add_f64 v[2:3], v[2:3], v[4:5]
	v_mul_f64 v[4:5], v[158:159], v[98:99]
	s_waitcnt vmcnt(32)
	v_fmac_f64_e32 v[190:191], v[182:183], v[130:131]
	v_fma_f64 v[4:5], v[156:157], v[100:101], -v[4:5]
	v_add_f64 v[192:193], v[188:189], v[190:191]
	ds_read_b128 v[188:191], v1 offset:1376
	v_add_f64 v[2:3], v[2:3], v[4:5]
	v_mul_f64 v[4:5], v[162:163], v[94:95]
	v_fma_f64 v[4:5], v[160:161], v[96:97], -v[4:5]
	v_add_f64 v[2:3], v[2:3], v[4:5]
	v_mul_f64 v[4:5], v[166:167], v[106:107]
	s_waitcnt lgkmcnt(1)
	v_mul_f64 v[194:195], v[184:185], v[124:125]
	v_fma_f64 v[4:5], v[164:165], v[108:109], -v[4:5]
	v_fmac_f64_e32 v[194:195], v[186:187], v[126:127]
	v_add_f64 v[2:3], v[2:3], v[4:5]
	v_mul_f64 v[4:5], v[170:171], v[102:103]
	v_add_f64 v[196:197], v[192:193], v[194:195]
	ds_read_b128 v[192:195], v1 offset:1392
	s_waitcnt vmcnt(26) lgkmcnt(1)
	v_mul_f64 v[198:199], v[188:189], v[136:137]
	v_fma_f64 v[4:5], v[168:169], v[104:105], -v[4:5]
	s_waitcnt vmcnt(24)
	v_fmac_f64_e32 v[198:199], v[190:191], v[138:139]
	v_add_f64 v[2:3], v[2:3], v[4:5]
	v_mul_f64 v[4:5], v[174:175], v[120:121]
	v_add_f64 v[200:201], v[196:197], v[198:199]
	ds_read_b128 v[196:199], v1 offset:1408
	v_fma_f64 v[4:5], v[172:173], v[122:123], -v[4:5]
	v_add_f64 v[2:3], v[2:3], v[4:5]
	v_mul_f64 v[4:5], v[178:179], v[114:115]
	v_fma_f64 v[4:5], v[176:177], v[116:117], -v[4:5]
	s_waitcnt lgkmcnt(1)
	v_mul_f64 v[202:203], v[192:193], v[132:133]
	v_add_f64 v[2:3], v[2:3], v[4:5]
	v_mul_f64 v[4:5], v[182:183], v[128:129]
	v_fmac_f64_e32 v[202:203], v[194:195], v[134:135]
	v_fma_f64 v[4:5], v[180:181], v[130:131], -v[4:5]
	v_add_f64 v[212:213], v[200:201], v[202:203]
	ds_read_b128 v[200:203], v1 offset:1424
	s_waitcnt vmcnt(18) lgkmcnt(1)
	v_mul_f64 v[214:215], v[196:197], v[118:119]
	v_add_f64 v[2:3], v[2:3], v[4:5]
	v_mul_f64 v[4:5], v[186:187], v[124:125]
	s_waitcnt vmcnt(16)
	v_fmac_f64_e32 v[214:215], v[198:199], v[204:205]
	v_fma_f64 v[4:5], v[184:185], v[126:127], -v[4:5]
	v_add_f64 v[216:217], v[212:213], v[214:215]
	ds_read_b128 v[212:215], v1 offset:1440
	v_add_f64 v[2:3], v[2:3], v[4:5]
	v_mul_f64 v[4:5], v[190:191], v[136:137]
	v_fma_f64 v[4:5], v[188:189], v[138:139], -v[4:5]
	v_add_f64 v[2:3], v[2:3], v[4:5]
	v_mul_f64 v[4:5], v[194:195], v[132:133]
	s_waitcnt lgkmcnt(1)
	v_mul_f64 v[218:219], v[200:201], v[140:141]
	v_fma_f64 v[4:5], v[192:193], v[134:135], -v[4:5]
	v_fmac_f64_e32 v[218:219], v[202:203], v[142:143]
	v_add_f64 v[2:3], v[2:3], v[4:5]
	v_mul_f64 v[4:5], v[198:199], v[118:119]
	v_add_f64 v[220:221], v[216:217], v[218:219]
	ds_read_b128 v[216:219], v1 offset:1456
	s_waitcnt vmcnt(10) lgkmcnt(1)
	v_mul_f64 v[222:223], v[212:213], v[210:211]
	v_fma_f64 v[4:5], v[196:197], v[204:205], -v[4:5]
	s_waitcnt vmcnt(8)
	v_fmac_f64_e32 v[222:223], v[214:215], v[228:229]
	v_add_f64 v[2:3], v[2:3], v[4:5]
	v_mul_f64 v[4:5], v[202:203], v[140:141]
	v_add_f64 v[238:239], v[220:221], v[222:223]
	ds_read_b128 v[220:223], v1 offset:1472
	ds_read_b128 v[224:227], v1 offset:1488
	v_fma_f64 v[4:5], v[200:201], v[142:143], -v[4:5]
	v_add_f64 v[2:3], v[2:3], v[4:5]
	v_mul_f64 v[4:5], v[214:215], v[210:211]
	v_fma_f64 v[4:5], v[212:213], v[228:229], -v[4:5]
	v_add_f64 v[2:3], v[2:3], v[4:5]
	s_waitcnt lgkmcnt(2)
	v_mul_f64 v[4:5], v[218:219], v[206:207]
	v_mul_f64 v[240:241], v[216:217], v[206:207]
	v_fma_f64 v[4:5], v[216:217], v[208:209], -v[4:5]
	v_fmac_f64_e32 v[240:241], v[218:219], v[208:209]
	v_add_f64 v[2:3], v[2:3], v[4:5]
	s_waitcnt vmcnt(2) lgkmcnt(1)
	v_mul_f64 v[4:5], v[222:223], v[234:235]
	v_add_f64 v[238:239], v[238:239], v[240:241]
	v_mul_f64 v[240:241], v[220:221], v[234:235]
	s_waitcnt vmcnt(0)
	v_fma_f64 v[4:5], v[220:221], v[236:237], -v[4:5]
	v_fmac_f64_e32 v[240:241], v[222:223], v[236:237]
	v_add_f64 v[2:3], v[2:3], v[4:5]
	s_waitcnt lgkmcnt(0)
	v_mul_f64 v[4:5], v[226:227], v[230:231]
	v_add_f64 v[238:239], v[238:239], v[240:241]
	v_mul_f64 v[240:241], v[224:225], v[230:231]
	v_fma_f64 v[4:5], v[224:225], v[232:233], -v[4:5]
	v_fmac_f64_e32 v[240:241], v[226:227], v[232:233]
	v_add_f64 v[2:3], v[2:3], v[4:5]
	v_add_f64 v[238:239], v[238:239], v[240:241]
	v_add_f64 v[2:3], v[62:63], -v[2:3]
	v_add_f64 v[4:5], v[60:61], -v[238:239]
	buffer_store_dword v3, off, s[0:3], 0 offset:292
	buffer_store_dword v2, off, s[0:3], 0 offset:288
	buffer_store_dword v5, off, s[0:3], 0 offset:300
	buffer_store_dword v4, off, s[0:3], 0 offset:296
	s_and_saveexec_b64 s[4:5], vcc
	s_cbranch_execz .LBB46_263
; %bb.262:
	v_accvgpr_read_b32 v0, a124
	buffer_load_dword v2, v0, s[0:3], 0 offen
	buffer_load_dword v3, v0, s[0:3], 0 offen offset:4
	buffer_load_dword v4, v0, s[0:3], 0 offen offset:8
	;; [unrolled: 1-line block ×3, first 2 shown]
	v_accvgpr_read_b32 v0, a141
	buffer_store_dword v1, off, s[0:3], 0 offset:272
	buffer_store_dword v1, off, s[0:3], 0 offset:276
	;; [unrolled: 1-line block ×4, first 2 shown]
	s_waitcnt vmcnt(4)
	ds_write_b128 v0, v[2:5]
.LBB46_263:
	s_or_b64 exec, exec, s[4:5]
	s_waitcnt lgkmcnt(0)
	; wave barrier
	s_waitcnt lgkmcnt(0)
	buffer_load_dword v48, off, s[0:3], 0 offset:288
	buffer_load_dword v49, off, s[0:3], 0 offset:292
	;; [unrolled: 1-line block ×40, first 2 shown]
	ds_read_b128 v[38:41], v1 offset:1024
	ds_read_b128 v[34:37], v1 offset:1040
	;; [unrolled: 1-line block ×10, first 2 shown]
	buffer_load_dword v83, off, s[0:3], 0 offset:460
	buffer_load_dword v82, off, s[0:3], 0 offset:456
	;; [unrolled: 1-line block ×8, first 2 shown]
	v_cmp_lt_u32_e32 vcc, 15, v254
	s_waitcnt vmcnt(44) lgkmcnt(9)
	v_mul_f64 v[90:91], v[38:39], v[50:51]
	v_fmac_f64_e32 v[90:91], v[40:41], v[48:49]
	v_add_f64 v[90:91], v[90:91], 0
	v_mul_f64 v[40:41], v[40:41], v[50:51]
	s_waitcnt vmcnt(40) lgkmcnt(8)
	v_mul_f64 v[92:93], v[34:35], v[44:45]
	v_fmac_f64_e32 v[92:93], v[36:37], v[42:43]
	s_waitcnt vmcnt(38) lgkmcnt(7)
	v_mul_f64 v[94:95], v[30:31], v[46:47]
	v_add_f64 v[90:91], v[90:91], v[92:93]
	s_waitcnt vmcnt(36) lgkmcnt(5)
	v_mul_f64 v[98:99], v[22:23], v[52:53]
	v_mul_f64 v[36:37], v[36:37], v[44:45]
	s_waitcnt vmcnt(34)
	v_fmac_f64_e32 v[98:99], v[24:25], v[54:55]
	v_fma_f64 v[34:35], v[34:35], v[42:43], -v[36:37]
	s_waitcnt vmcnt(32)
	v_mul_f64 v[96:97], v[26:27], v[56:57]
	v_mul_f64 v[24:25], v[24:25], v[52:53]
	s_waitcnt vmcnt(30) lgkmcnt(4)
	v_mul_f64 v[100:101], v[18:19], v[62:63]
	v_fma_f64 v[22:23], v[22:23], v[54:55], -v[24:25]
	s_waitcnt vmcnt(28) lgkmcnt(1)
	v_mul_f64 v[124:125], v[2:3], v[64:65]
	s_waitcnt vmcnt(25)
	v_mul_f64 v[104:105], v[6:7], v[68:69]
	s_waitcnt vmcnt(23)
	;; [unrolled: 2-line block ×3, first 2 shown]
	v_fmac_f64_e32 v[102:103], v[12:13], v[72:73]
	v_mul_f64 v[12:13], v[12:13], v[70:71]
	s_waitcnt vmcnt(19)
	v_fmac_f64_e32 v[94:95], v[32:33], v[80:81]
	v_add_f64 v[90:91], v[90:91], v[94:95]
	s_waitcnt vmcnt(17)
	v_fmac_f64_e32 v[96:97], v[28:29], v[78:79]
	v_add_f64 v[90:91], v[90:91], v[96:97]
	;; [unrolled: 3-line block ×3, first 2 shown]
	v_add_f64 v[90:91], v[90:91], v[100:101]
	s_waitcnt vmcnt(13)
	v_fmac_f64_e32 v[104:105], v[8:9], v[74:75]
	v_add_f64 v[90:91], v[90:91], v[102:103]
	v_add_f64 v[126:127], v[90:91], v[104:105]
	buffer_load_dword v91, off, s[0:3], 0 offset:492
	buffer_load_dword v90, off, s[0:3], 0 offset:488
	;; [unrolled: 1-line block ×72, first 2 shown]
	s_waitcnt vmcnt(62)
	v_fmac_f64_e32 v[124:125], v[4:5], v[66:67]
	v_add_f64 v[152:153], v[126:127], v[124:125]
	ds_read_b128 v[124:127], v1 offset:1184
	s_waitcnt lgkmcnt(1)
	v_mul_f64 v[154:155], v[14:15], v[86:87]
	v_fmac_f64_e32 v[154:155], v[16:17], v[88:89]
	buffer_load_dword v235, off, s[0:3], 0 offset:764
	buffer_load_dword v234, off, s[0:3], 0 offset:760
	;; [unrolled: 1-line block ×4, first 2 shown]
	v_add_f64 v[156:157], v[152:153], v[154:155]
	s_waitcnt lgkmcnt(0)
	v_mul_f64 v[158:159], v[124:125], v[82:83]
	ds_read_b128 v[152:155], v1 offset:1200
	v_fmac_f64_e32 v[158:159], v[126:127], v[84:85]
	v_add_f64 v[160:161], v[156:157], v[158:159]
	ds_read_b128 v[156:159], v1 offset:1216
	v_mul_f64 v[32:33], v[32:33], v[46:47]
	s_waitcnt lgkmcnt(1)
	v_mul_f64 v[162:163], v[152:153], v[94:95]
	v_fma_f64 v[30:31], v[30:31], v[80:81], -v[32:33]
	v_fmac_f64_e32 v[162:163], v[154:155], v[96:97]
	s_waitcnt lgkmcnt(0)
	v_mul_f64 v[166:167], v[156:157], v[90:91]
	v_add_f64 v[164:165], v[160:161], v[162:163]
	ds_read_b128 v[160:163], v1 offset:1232
	v_fmac_f64_e32 v[166:167], v[158:159], v[92:93]
	v_add_f64 v[168:169], v[164:165], v[166:167]
	ds_read_b128 v[164:167], v1 offset:1248
	v_mul_f64 v[28:29], v[28:29], v[56:57]
	s_waitcnt vmcnt(62) lgkmcnt(1)
	v_mul_f64 v[170:171], v[160:161], v[102:103]
	s_waitcnt vmcnt(60)
	v_fmac_f64_e32 v[170:171], v[162:163], v[104:105]
	v_add_f64 v[172:173], v[168:169], v[170:171]
	s_waitcnt lgkmcnt(0)
	v_mul_f64 v[174:175], v[164:165], v[98:99]
	ds_read_b128 v[168:171], v1 offset:1264
	v_fmac_f64_e32 v[174:175], v[166:167], v[100:101]
	v_add_f64 v[176:177], v[172:173], v[174:175]
	ds_read_b128 v[172:175], v1 offset:1280
	v_fma_f64 v[26:27], v[26:27], v[78:79], -v[28:29]
	s_waitcnt vmcnt(54) lgkmcnt(1)
	v_mul_f64 v[178:179], v[168:169], v[110:111]
	s_waitcnt vmcnt(52)
	v_fmac_f64_e32 v[178:179], v[170:171], v[112:113]
	v_add_f64 v[180:181], v[176:177], v[178:179]
	s_waitcnt lgkmcnt(0)
	v_mul_f64 v[182:183], v[172:173], v[106:107]
	ds_read_b128 v[176:179], v1 offset:1296
	v_fmac_f64_e32 v[182:183], v[174:175], v[108:109]
	v_add_f64 v[184:185], v[180:181], v[182:183]
	ds_read_b128 v[180:183], v1 offset:1312
	v_mul_f64 v[20:21], v[20:21], v[62:63]
	s_waitcnt vmcnt(46) lgkmcnt(1)
	v_mul_f64 v[186:187], v[176:177], v[120:121]
	s_waitcnt vmcnt(44)
	v_fmac_f64_e32 v[186:187], v[178:179], v[122:123]
	v_add_f64 v[188:189], v[184:185], v[186:187]
	s_waitcnt lgkmcnt(0)
	v_mul_f64 v[190:191], v[180:181], v[114:115]
	ds_read_b128 v[184:187], v1 offset:1328
	v_fmac_f64_e32 v[190:191], v[182:183], v[116:117]
	v_add_f64 v[192:193], v[188:189], v[190:191]
	ds_read_b128 v[188:191], v1 offset:1344
	v_fma_f64 v[18:19], v[18:19], v[76:77], -v[20:21]
	s_waitcnt vmcnt(38) lgkmcnt(1)
	v_mul_f64 v[194:195], v[184:185], v[132:133]
	s_waitcnt vmcnt(36)
	v_fmac_f64_e32 v[194:195], v[186:187], v[134:135]
	v_add_f64 v[196:197], v[192:193], v[194:195]
	s_waitcnt lgkmcnt(0)
	v_mul_f64 v[198:199], v[188:189], v[128:129]
	ds_read_b128 v[192:195], v1 offset:1360
	v_fmac_f64_e32 v[198:199], v[190:191], v[130:131]
	v_add_f64 v[200:201], v[196:197], v[198:199]
	ds_read_b128 v[196:199], v1 offset:1376
	v_fma_f64 v[10:11], v[10:11], v[72:73], -v[12:13]
	s_waitcnt vmcnt(30) lgkmcnt(1)
	v_mul_f64 v[202:203], v[192:193], v[140:141]
	s_waitcnt vmcnt(28)
	v_fmac_f64_e32 v[202:203], v[194:195], v[142:143]
	v_add_f64 v[212:213], v[200:201], v[202:203]
	s_waitcnt lgkmcnt(0)
	v_mul_f64 v[214:215], v[196:197], v[136:137]
	ds_read_b128 v[200:203], v1 offset:1392
	v_fmac_f64_e32 v[214:215], v[198:199], v[138:139]
	v_add_f64 v[216:217], v[212:213], v[214:215]
	ds_read_b128 v[212:215], v1 offset:1408
	v_mul_f64 v[8:9], v[8:9], v[68:69]
	s_waitcnt vmcnt(22) lgkmcnt(1)
	v_mul_f64 v[218:219], v[200:201], v[148:149]
	s_waitcnt vmcnt(20)
	v_fmac_f64_e32 v[218:219], v[202:203], v[150:151]
	v_add_f64 v[220:221], v[216:217], v[218:219]
	s_waitcnt lgkmcnt(0)
	v_mul_f64 v[222:223], v[212:213], v[144:145]
	ds_read_b128 v[216:219], v1 offset:1424
	v_fmac_f64_e32 v[222:223], v[214:215], v[146:147]
	v_add_f64 v[224:225], v[220:221], v[222:223]
	ds_read_b128 v[220:223], v1 offset:1440
	v_fma_f64 v[6:7], v[6:7], v[74:75], -v[8:9]
	s_waitcnt vmcnt(14) lgkmcnt(1)
	v_mul_f64 v[226:227], v[216:217], v[206:207]
	s_waitcnt vmcnt(12)
	v_fmac_f64_e32 v[226:227], v[218:219], v[208:209]
	v_add_f64 v[238:239], v[224:225], v[226:227]
	s_waitcnt lgkmcnt(0)
	v_mul_f64 v[240:241], v[220:221], v[118:119]
	v_fmac_f64_e32 v[240:241], v[222:223], v[204:205]
	v_add_f64 v[238:239], v[238:239], v[240:241]
	v_fma_f64 v[240:241], v[38:39], v[48:49], -v[40:41]
	v_add_f64 v[240:241], v[240:241], 0
	v_add_f64 v[34:35], v[240:241], v[34:35]
	;; [unrolled: 1-line block ×7, first 2 shown]
	v_mul_f64 v[4:5], v[4:5], v[64:65]
	v_add_f64 v[6:7], v[10:11], v[6:7]
	v_fma_f64 v[2:3], v[2:3], v[66:67], -v[4:5]
	v_mul_f64 v[4:5], v[16:17], v[86:87]
	v_add_f64 v[2:3], v[6:7], v[2:3]
	v_fma_f64 v[4:5], v[14:15], v[88:89], -v[4:5]
	v_add_f64 v[2:3], v[2:3], v[4:5]
	v_mul_f64 v[4:5], v[126:127], v[82:83]
	v_fma_f64 v[4:5], v[124:125], v[84:85], -v[4:5]
	v_add_f64 v[2:3], v[2:3], v[4:5]
	v_mul_f64 v[4:5], v[154:155], v[94:95]
	;; [unrolled: 3-line block ×15, first 2 shown]
	ds_read_b128 v[224:227], v1 offset:1456
	ds_read_b128 v[38:41], v1 offset:1472
	v_fma_f64 v[4:5], v[212:213], v[146:147], -v[4:5]
	v_add_f64 v[2:3], v[2:3], v[4:5]
	v_mul_f64 v[4:5], v[218:219], v[206:207]
	v_fma_f64 v[4:5], v[216:217], v[208:209], -v[4:5]
	v_add_f64 v[2:3], v[2:3], v[4:5]
	v_mul_f64 v[4:5], v[222:223], v[118:119]
	ds_read_b128 v[48:51], v1 offset:1488
	v_fma_f64 v[4:5], v[220:221], v[204:205], -v[4:5]
	v_add_f64 v[2:3], v[2:3], v[4:5]
	s_waitcnt vmcnt(6) lgkmcnt(2)
	v_mul_f64 v[4:5], v[226:227], v[230:231]
	v_mul_f64 v[242:243], v[224:225], v[230:231]
	s_waitcnt vmcnt(4)
	v_fma_f64 v[4:5], v[224:225], v[232:233], -v[4:5]
	v_fmac_f64_e32 v[242:243], v[226:227], v[232:233]
	v_add_f64 v[2:3], v[2:3], v[4:5]
	s_waitcnt lgkmcnt(1)
	v_mul_f64 v[4:5], v[40:41], v[210:211]
	v_add_f64 v[238:239], v[238:239], v[242:243]
	v_mul_f64 v[242:243], v[38:39], v[210:211]
	v_fma_f64 v[4:5], v[38:39], v[228:229], -v[4:5]
	v_fmac_f64_e32 v[242:243], v[40:41], v[228:229]
	v_add_f64 v[2:3], v[2:3], v[4:5]
	s_waitcnt vmcnt(2) lgkmcnt(0)
	v_mul_f64 v[4:5], v[50:51], v[234:235]
	v_add_f64 v[238:239], v[238:239], v[242:243]
	v_mul_f64 v[242:243], v[48:49], v[234:235]
	s_waitcnt vmcnt(0)
	v_fma_f64 v[4:5], v[48:49], v[236:237], -v[4:5]
	v_fmac_f64_e32 v[242:243], v[50:51], v[236:237]
	v_add_f64 v[2:3], v[2:3], v[4:5]
	v_add_f64 v[238:239], v[238:239], v[242:243]
	v_add_f64 v[2:3], v[60:61], -v[2:3]
	v_add_f64 v[4:5], v[58:59], -v[238:239]
	buffer_store_dword v3, off, s[0:3], 0 offset:276
	buffer_store_dword v2, off, s[0:3], 0 offset:272
	;; [unrolled: 1-line block ×4, first 2 shown]
	s_and_saveexec_b64 s[4:5], vcc
	s_cbranch_execz .LBB46_265
; %bb.264:
	v_accvgpr_read_b32 v0, a125
	buffer_load_dword v2, v0, s[0:3], 0 offen
	buffer_load_dword v3, v0, s[0:3], 0 offen offset:4
	buffer_load_dword v4, v0, s[0:3], 0 offen offset:8
	buffer_load_dword v5, v0, s[0:3], 0 offen offset:12
	v_mov_b32_e32 v0, 0
	v_accvgpr_read_b32 v1, a141
	buffer_store_dword v0, off, s[0:3], 0 offset:256
	buffer_store_dword v0, off, s[0:3], 0 offset:260
	;; [unrolled: 1-line block ×4, first 2 shown]
	s_waitcnt vmcnt(4)
	ds_write_b128 v1, v[2:5]
.LBB46_265:
	s_or_b64 exec, exec, s[4:5]
	s_waitcnt lgkmcnt(0)
	; wave barrier
	s_waitcnt lgkmcnt(0)
	buffer_load_dword v106, off, s[0:3], 0 offset:272
	buffer_load_dword v107, off, s[0:3], 0 offset:276
	;; [unrolled: 1-line block ×49, first 2 shown]
	v_mov_b32_e32 v1, 0
	ds_read_b128 v[110:113], v1 offset:1008
	ds_read_b128 v[250:253], v1 offset:1024
	;; [unrolled: 1-line block ×10, first 2 shown]
	buffer_load_dword v160, off, s[0:3], 0 offset:464
	buffer_load_dword v175, off, s[0:3], 0 offset:460
	;; [unrolled: 1-line block ×69, first 2 shown]
	v_accvgpr_write_b32 a140, v254
	v_cmp_lt_u32_e32 vcc, 14, v254
	s_waitcnt vmcnt(62) lgkmcnt(9)
	v_mul_f64 v[34:35], v[110:111], v[108:109]
	v_fmac_f64_e32 v[34:35], v[112:113], v[106:107]
	v_add_f64 v[34:35], v[34:35], 0
	v_mul_f64 v[108:109], v[112:113], v[108:109]
	s_waitcnt lgkmcnt(8)
	v_mul_f64 v[36:37], v[250:251], v[116:117]
	v_fmac_f64_e32 v[36:37], v[252:253], v[114:115]
	s_waitcnt lgkmcnt(7)
	v_mul_f64 v[38:39], v[30:31], v[120:121]
	v_add_f64 v[34:35], v[34:35], v[36:37]
	s_waitcnt lgkmcnt(5)
	v_mul_f64 v[42:43], v[22:23], v[122:123]
	v_mul_f64 v[116:117], v[252:253], v[116:117]
	v_fmac_f64_e32 v[42:43], v[24:25], v[124:125]
	v_fma_f64 v[248:249], v[110:111], v[106:107], -v[108:109]
	v_mul_f64 v[40:41], v[26:27], v[126:127]
	v_fma_f64 v[250:251], v[250:251], v[114:115], -v[116:117]
	s_waitcnt lgkmcnt(3)
	v_mul_f64 v[46:47], v[14:15], v[128:129]
	v_mul_f64 v[24:25], v[24:25], v[122:123]
	v_fmac_f64_e32 v[46:47], v[16:17], v[130:131]
	v_fma_f64 v[22:23], v[22:23], v[124:125], -v[24:25]
	v_mul_f64 v[44:45], v[18:19], v[132:133]
	v_mul_f64 v[16:17], v[16:17], v[128:129]
	s_waitcnt lgkmcnt(1)
	v_mul_f64 v[50:51], v[6:7], v[134:135]
	v_fma_f64 v[14:15], v[14:15], v[130:131], -v[16:17]
	v_fmac_f64_e32 v[50:51], v[8:9], v[136:137]
	v_mul_f64 v[8:9], v[8:9], v[134:135]
	v_mul_f64 v[48:49], v[10:11], v[142:143]
	v_fma_f64 v[6:7], v[6:7], v[136:137], -v[8:9]
	s_waitcnt lgkmcnt(0)
	v_mul_f64 v[52:53], v[2:3], v[138:139]
	v_fmac_f64_e32 v[38:39], v[32:33], v[154:155]
	v_add_f64 v[34:35], v[34:35], v[38:39]
	v_fmac_f64_e32 v[40:41], v[28:29], v[152:153]
	v_add_f64 v[34:35], v[34:35], v[40:41]
	;; [unrolled: 2-line block ×3, first 2 shown]
	v_add_f64 v[34:35], v[34:35], v[44:45]
	v_fmac_f64_e32 v[48:49], v[12:13], v[148:149]
	v_add_f64 v[34:35], v[34:35], v[46:47]
	v_add_f64 v[34:35], v[34:35], v[48:49]
	v_fmac_f64_e32 v[52:53], v[4:5], v[146:147]
	v_add_f64 v[34:35], v[34:35], v[50:51]
	v_add_f64 v[42:43], v[34:35], v[52:53]
	ds_read_b128 v[38:41], v1 offset:1168
	ds_read_b128 v[34:37], v1 offset:1184
	buffer_load_dword v231, off, s[0:3], 0 offset:764
	buffer_load_dword v230, off, s[0:3], 0 offset:760
	;; [unrolled: 1-line block ×8, first 2 shown]
	ds_read_b128 v[110:113], v1 offset:1456
	ds_read_b128 v[106:109], v1 offset:1472
	s_waitcnt lgkmcnt(3)
	v_mul_f64 v[44:45], v[38:39], v[144:145]
	v_fmac_f64_e32 v[44:45], v[40:41], v[156:157]
	v_add_f64 v[46:47], v[42:43], v[44:45]
	ds_read_b128 v[42:45], v1 offset:1200
	s_waitcnt lgkmcnt(3)
	v_mul_f64 v[48:49], v[34:35], v[174:175]
	v_fmac_f64_e32 v[48:49], v[36:37], v[178:179]
	v_add_f64 v[50:51], v[46:47], v[48:49]
	;; [unrolled: 5-line block ×3, first 2 shown]
	ds_read_b128 v[50:53], v1 offset:1232
	s_waitcnt vmcnt(62) lgkmcnt(1)
	v_mul_f64 v[56:57], v[46:47], v[182:183]
	v_fmac_f64_e32 v[56:57], v[48:49], v[186:187]
	v_add_f64 v[58:59], v[54:55], v[56:57]
	ds_read_b128 v[54:57], v1 offset:1248
	s_waitcnt lgkmcnt(1)
	v_mul_f64 v[60:61], v[50:51], v[162:163]
	v_fmac_f64_e32 v[60:61], v[52:53], v[164:165]
	v_add_f64 v[62:63], v[58:59], v[60:61]
	ds_read_b128 v[58:61], v1 offset:1264
	s_waitcnt vmcnt(58) lgkmcnt(1)
	v_mul_f64 v[64:65], v[54:55], v[190:191]
	s_waitcnt vmcnt(56)
	v_fmac_f64_e32 v[64:65], v[56:57], v[194:195]
	v_add_f64 v[66:67], v[62:63], v[64:65]
	ds_read_b128 v[62:65], v1 offset:1280
	s_waitcnt lgkmcnt(1)
	v_mul_f64 v[68:69], v[58:59], v[166:167]
	v_fmac_f64_e32 v[68:69], v[60:61], v[168:169]
	v_add_f64 v[70:71], v[66:67], v[68:69]
	ds_read_b128 v[66:69], v1 offset:1296
	s_waitcnt vmcnt(50) lgkmcnt(1)
	v_mul_f64 v[72:73], v[62:63], v[198:199]
	s_waitcnt vmcnt(48)
	;; [unrolled: 11-line block ×5, first 2 shown]
	v_fmac_f64_e32 v[96:97], v[88:89], v[228:229]
	v_add_f64 v[98:99], v[94:95], v[96:97]
	ds_read_b128 v[94:97], v1 offset:1408
	s_waitcnt lgkmcnt(1)
	v_mul_f64 v[100:101], v[90:91], v[192:193]
	v_fmac_f64_e32 v[100:101], v[92:93], v[196:197]
	v_add_f64 v[118:119], v[98:99], v[100:101]
	ds_read_b128 v[98:101], v1 offset:1424
	ds_read_b128 v[102:105], v1 offset:1440
	;; [unrolled: 1-line block ×3, first 2 shown]
	buffer_load_dword v252, off, s[0:3], 0 offset:264
	buffer_load_dword v253, off, s[0:3], 0 offset:268
	s_waitcnt vmcnt(20) lgkmcnt(3)
	v_mul_f64 v[204:205], v[94:95], v[232:233]
	s_waitcnt vmcnt(18)
	v_fmac_f64_e32 v[204:205], v[96:97], v[236:237]
	v_add_f64 v[118:119], v[118:119], v[204:205]
	s_waitcnt lgkmcnt(2)
	v_mul_f64 v[204:205], v[98:99], v[200:201]
	v_fmac_f64_e32 v[204:205], v[100:101], v[212:213]
	v_add_f64 v[118:119], v[118:119], v[204:205]
	s_waitcnt vmcnt(12) lgkmcnt(1)
	v_mul_f64 v[204:205], v[102:103], v[238:239]
	s_waitcnt vmcnt(10)
	v_fmac_f64_e32 v[204:205], v[104:105], v[240:241]
	v_add_f64 v[118:119], v[118:119], v[204:205]
	v_mul_f64 v[204:205], v[110:111], v[216:217]
	v_fmac_f64_e32 v[204:205], v[112:113], v[220:221]
	v_add_f64 v[118:119], v[118:119], v[204:205]
	s_waitcnt vmcnt(4)
	v_mul_f64 v[204:205], v[106:107], v[242:243]
	v_mul_f64 v[32:33], v[32:33], v[120:121]
	s_waitcnt vmcnt(2)
	v_fmac_f64_e32 v[204:205], v[108:109], v[244:245]
	v_add_f64 v[118:119], v[118:119], v[204:205]
	s_waitcnt lgkmcnt(0)
	v_mul_f64 v[204:205], v[114:115], v[230:231]
	v_fmac_f64_e32 v[204:205], v[116:117], v[234:235]
	v_add_f64 v[246:247], v[118:119], v[204:205]
	v_add_f64 v[118:119], v[248:249], 0
	v_add_f64 v[118:119], v[118:119], v[250:251]
	v_fma_f64 v[30:31], v[30:31], v[154:155], -v[32:33]
	v_mul_f64 v[28:29], v[28:29], v[126:127]
	v_add_f64 v[30:31], v[118:119], v[30:31]
	v_fma_f64 v[26:27], v[26:27], v[152:153], -v[28:29]
	v_add_f64 v[26:27], v[30:31], v[26:27]
	v_mul_f64 v[20:21], v[20:21], v[132:133]
	v_add_f64 v[22:23], v[26:27], v[22:23]
	v_fma_f64 v[18:19], v[18:19], v[150:151], -v[20:21]
	v_add_f64 v[18:19], v[22:23], v[18:19]
	;; [unrolled: 4-line block ×3, first 2 shown]
	v_mul_f64 v[4:5], v[4:5], v[138:139]
	v_add_f64 v[6:7], v[10:11], v[6:7]
	v_fma_f64 v[2:3], v[2:3], v[146:147], -v[4:5]
	v_mul_f64 v[4:5], v[40:41], v[144:145]
	v_add_f64 v[2:3], v[6:7], v[2:3]
	v_fma_f64 v[4:5], v[38:39], v[156:157], -v[4:5]
	v_add_f64 v[2:3], v[2:3], v[4:5]
	v_mul_f64 v[4:5], v[36:37], v[174:175]
	v_fma_f64 v[4:5], v[34:35], v[178:179], -v[4:5]
	v_add_f64 v[2:3], v[2:3], v[4:5]
	v_mul_f64 v[4:5], v[44:45], v[158:159]
	;; [unrolled: 3-line block ×20, first 2 shown]
	v_fma_f64 v[4:5], v[114:115], v[234:235], -v[4:5]
	v_add_f64 v[2:3], v[2:3], v[4:5]
	v_add_f64 v[2:3], v[140:141], -v[2:3]
	s_waitcnt vmcnt(0)
	v_add_f64 v[4:5], v[252:253], -v[246:247]
	buffer_store_dword v3, off, s[0:3], 0 offset:260
	buffer_store_dword v2, off, s[0:3], 0 offset:256
	;; [unrolled: 1-line block ×4, first 2 shown]
	s_and_saveexec_b64 s[4:5], vcc
	s_cbranch_execz .LBB46_267
; %bb.266:
	v_accvgpr_read_b32 v0, a126
	buffer_load_dword v2, v0, s[0:3], 0 offen
	buffer_load_dword v3, v0, s[0:3], 0 offen offset:4
	buffer_load_dword v4, v0, s[0:3], 0 offen offset:8
	;; [unrolled: 1-line block ×3, first 2 shown]
	v_accvgpr_read_b32 v0, a141
	buffer_store_dword v1, off, s[0:3], 0 offset:240
	buffer_store_dword v1, off, s[0:3], 0 offset:244
	;; [unrolled: 1-line block ×4, first 2 shown]
	s_waitcnt vmcnt(4)
	ds_write_b128 v0, v[2:5]
.LBB46_267:
	s_or_b64 exec, exec, s[4:5]
	s_waitcnt lgkmcnt(0)
	; wave barrier
	s_waitcnt lgkmcnt(0)
	buffer_load_dword v112, off, s[0:3], 0 offset:256
	buffer_load_dword v113, off, s[0:3], 0 offset:260
	;; [unrolled: 1-line block ×36, first 2 shown]
	ds_read_b128 v[102:105], v1 offset:992
	ds_read_b128 v[106:109], v1 offset:1008
	;; [unrolled: 1-line block ×9, first 2 shown]
	buffer_load_dword v145, off, s[0:3], 0 offset:428
	buffer_load_dword v144, off, s[0:3], 0 offset:424
	;; [unrolled: 1-line block ×78, first 2 shown]
	v_accvgpr_read_b32 v210, a140
	v_cmp_lt_u32_e32 vcc, 13, v210
	s_waitcnt vmcnt(62) lgkmcnt(8)
	v_mul_f64 v[26:27], v[102:103], v[246:247]
	v_fmac_f64_e32 v[26:27], v[104:105], v[112:113]
	v_add_f64 v[26:27], v[26:27], 0
	v_mul_f64 v[104:105], v[104:105], v[246:247]
	s_waitcnt lgkmcnt(7)
	v_mul_f64 v[28:29], v[106:107], v[248:249]
	v_fmac_f64_e32 v[28:29], v[108:109], v[110:111]
	s_waitcnt lgkmcnt(6)
	v_mul_f64 v[30:31], v[114:115], v[244:245]
	v_add_f64 v[26:27], v[26:27], v[28:29]
	s_waitcnt lgkmcnt(4)
	v_mul_f64 v[34:35], v[18:19], v[120:121]
	v_fma_f64 v[246:247], v[102:103], v[112:113], -v[104:105]
	v_fmac_f64_e32 v[34:35], v[20:21], v[122:123]
	v_mul_f64 v[108:109], v[108:109], v[248:249]
	v_mul_f64 v[32:33], v[22:23], v[124:125]
	v_fma_f64 v[248:249], v[106:107], v[110:111], -v[108:109]
	s_waitcnt lgkmcnt(2)
	v_mul_f64 v[38:39], v[10:11], v[126:127]
	v_mul_f64 v[20:21], v[20:21], v[120:121]
	v_fmac_f64_e32 v[38:39], v[12:13], v[128:129]
	v_fma_f64 v[18:19], v[18:19], v[122:123], -v[20:21]
	v_mul_f64 v[36:37], v[14:15], v[132:133]
	v_mul_f64 v[12:13], v[12:13], v[126:127]
	s_waitcnt lgkmcnt(1)
	v_mul_f64 v[40:41], v[6:7], v[130:131]
	v_fma_f64 v[10:11], v[10:11], v[128:129], -v[12:13]
	v_fmac_f64_e32 v[30:31], v[116:117], v[250:251]
	v_add_f64 v[26:27], v[26:27], v[30:31]
	v_fmac_f64_e32 v[32:33], v[24:25], v[140:141]
	v_add_f64 v[26:27], v[26:27], v[32:33]
	;; [unrolled: 2-line block ×3, first 2 shown]
	v_add_f64 v[26:27], v[26:27], v[36:37]
	v_fmac_f64_e32 v[40:41], v[8:9], v[136:137]
	v_add_f64 v[30:31], v[26:27], v[38:39]
	v_add_f64 v[30:31], v[30:31], v[40:41]
	s_waitcnt lgkmcnt(0)
	v_mul_f64 v[32:33], v[2:3], v[134:135]
	v_fmac_f64_e32 v[32:33], v[4:5], v[142:143]
	ds_read_b128 v[26:29], v1 offset:1136
	v_add_f64 v[34:35], v[30:31], v[32:33]
	ds_read_b128 v[30:33], v1 offset:1152
	buffer_load_dword v231, off, s[0:3], 0 offset:692
	buffer_load_dword v230, off, s[0:3], 0 offset:688
	v_mul_f64 v[116:117], v[116:117], v[244:245]
	s_waitcnt lgkmcnt(1)
	v_mul_f64 v[36:37], v[26:27], v[148:149]
	v_fmac_f64_e32 v[36:37], v[28:29], v[150:151]
	v_add_f64 v[38:39], v[34:35], v[36:37]
	ds_read_b128 v[34:37], v1 offset:1168
	s_waitcnt lgkmcnt(1)
	v_mul_f64 v[40:41], v[30:31], v[144:145]
	v_fmac_f64_e32 v[40:41], v[32:33], v[146:147]
	v_add_f64 v[42:43], v[38:39], v[40:41]
	ds_read_b128 v[38:41], v1 offset:1184
	;; [unrolled: 5-line block ×4, first 2 shown]
	buffer_load_dword v233, off, s[0:3], 0 offset:748
	buffer_load_dword v235, off, s[0:3], 0 offset:732
	;; [unrolled: 1-line block ×12, first 2 shown]
	s_waitcnt vmcnt(62) lgkmcnt(1)
	v_mul_f64 v[52:53], v[42:43], v[176:177]
	v_fmac_f64_e32 v[52:53], v[44:45], v[180:181]
	v_add_f64 v[54:55], v[50:51], v[52:53]
	ds_read_b128 v[50:53], v1 offset:1232
	s_waitcnt lgkmcnt(1)
	v_mul_f64 v[56:57], v[46:47], v[156:157]
	v_fmac_f64_e32 v[56:57], v[48:49], v[158:159]
	v_add_f64 v[58:59], v[54:55], v[56:57]
	ds_read_b128 v[54:57], v1 offset:1248
	s_waitcnt lgkmcnt(1)
	v_mul_f64 v[60:61], v[50:51], v[184:185]
	s_waitcnt vmcnt(60)
	v_fmac_f64_e32 v[60:61], v[52:53], v[188:189]
	v_add_f64 v[62:63], v[58:59], v[60:61]
	ds_read_b128 v[58:61], v1 offset:1264
	s_waitcnt lgkmcnt(1)
	v_mul_f64 v[64:65], v[54:55], v[164:165]
	v_fmac_f64_e32 v[64:65], v[56:57], v[166:167]
	v_add_f64 v[66:67], v[62:63], v[64:65]
	ds_read_b128 v[62:65], v1 offset:1280
	s_waitcnt vmcnt(54) lgkmcnt(1)
	v_mul_f64 v[68:69], v[58:59], v[192:193]
	s_waitcnt vmcnt(52)
	v_fmac_f64_e32 v[68:69], v[60:61], v[196:197]
	v_add_f64 v[70:71], v[66:67], v[68:69]
	ds_read_b128 v[66:69], v1 offset:1296
	s_waitcnt lgkmcnt(1)
	v_mul_f64 v[72:73], v[62:63], v[168:169]
	v_fmac_f64_e32 v[72:73], v[64:65], v[170:171]
	v_add_f64 v[74:75], v[70:71], v[72:73]
	ds_read_b128 v[70:73], v1 offset:1312
	s_waitcnt vmcnt(46) lgkmcnt(1)
	;; [unrolled: 11-line block ×4, first 2 shown]
	v_mul_f64 v[92:93], v[82:83], v[220:221]
	s_waitcnt vmcnt(28)
	v_fmac_f64_e32 v[92:93], v[84:85], v[222:223]
	v_add_f64 v[98:99], v[90:91], v[92:93]
	ds_read_b128 v[90:93], v1 offset:1392
	ds_read_b128 v[94:97], v1 offset:1408
	s_waitcnt lgkmcnt(2)
	v_mul_f64 v[100:101], v[86:87], v[186:187]
	v_fmac_f64_e32 v[100:101], v[88:89], v[190:191]
	v_add_f64 v[98:99], v[98:99], v[100:101]
	s_waitcnt vmcnt(22) lgkmcnt(1)
	v_mul_f64 v[100:101], v[90:91], v[224:225]
	s_waitcnt vmcnt(20)
	v_fmac_f64_e32 v[100:101], v[92:93], v[226:227]
	v_add_f64 v[98:99], v[98:99], v[100:101]
	s_waitcnt lgkmcnt(0)
	v_mul_f64 v[100:101], v[94:95], v[194:195]
	v_fmac_f64_e32 v[100:101], v[96:97], v[198:199]
	v_add_f64 v[118:119], v[98:99], v[100:101]
	ds_read_b128 v[98:101], v1 offset:1424
	ds_read_b128 v[102:105], v1 offset:1440
	;; [unrolled: 1-line block ×3, first 2 shown]
	v_fma_f64 v[250:251], v[114:115], v[250:251], -v[116:117]
	ds_read_b128 v[114:117], v1 offset:1488
	s_waitcnt vmcnt(14) lgkmcnt(3)
	v_mul_f64 v[112:113], v[98:99], v[228:229]
	s_waitcnt lgkmcnt(2)
	v_mul_f64 v[110:111], v[102:103], v[202:203]
	s_waitcnt vmcnt(12)
	v_fmac_f64_e32 v[112:113], v[100:101], v[230:231]
	v_add_f64 v[112:113], v[118:119], v[112:113]
	v_fmac_f64_e32 v[110:111], v[104:105], v[214:215]
	v_add_f64 v[118:119], v[112:113], v[110:111]
	ds_read_b128 v[110:113], v1 offset:1472
	buffer_load_dword v254, off, s[0:3], 0 offset:240
	buffer_load_dword v255, off, s[0:3], 0 offset:244
	;; [unrolled: 1-line block ×4, first 2 shown]
	v_mul_f64 v[24:25], v[24:25], v[124:125]
	v_fma_f64 v[22:23], v[22:23], v[140:141], -v[24:25]
	v_mul_f64 v[16:17], v[16:17], v[132:133]
	s_waitcnt vmcnt(13) lgkmcnt(2)
	v_mul_f64 v[204:205], v[106:107], v[234:235]
	v_fma_f64 v[14:15], v[14:15], v[138:139], -v[16:17]
	s_waitcnt vmcnt(11)
	v_fmac_f64_e32 v[204:205], v[108:109], v[240:241]
	v_add_f64 v[118:119], v[118:119], v[204:205]
	s_waitcnt vmcnt(10) lgkmcnt(0)
	v_mul_f64 v[204:205], v[110:111], v[232:233]
	s_waitcnt vmcnt(8)
	v_fmac_f64_e32 v[204:205], v[112:113], v[238:239]
	v_add_f64 v[118:119], v[118:119], v[204:205]
	s_waitcnt vmcnt(6)
	v_mul_f64 v[204:205], v[114:115], v[236:237]
	v_mul_f64 v[8:9], v[8:9], v[130:131]
	s_waitcnt vmcnt(4)
	v_fmac_f64_e32 v[204:205], v[116:117], v[242:243]
	v_add_f64 v[244:245], v[118:119], v[204:205]
	v_add_f64 v[118:119], v[246:247], 0
	v_add_f64 v[118:119], v[118:119], v[248:249]
	v_add_f64 v[118:119], v[118:119], v[250:251]
	v_add_f64 v[22:23], v[118:119], v[22:23]
	v_add_f64 v[18:19], v[22:23], v[18:19]
	v_add_f64 v[14:15], v[18:19], v[14:15]
	v_add_f64 v[10:11], v[14:15], v[10:11]
	v_fma_f64 v[6:7], v[6:7], v[136:137], -v[8:9]
	v_mul_f64 v[4:5], v[4:5], v[134:135]
	v_add_f64 v[6:7], v[10:11], v[6:7]
	v_fma_f64 v[2:3], v[2:3], v[142:143], -v[4:5]
	v_mul_f64 v[4:5], v[28:29], v[148:149]
	v_add_f64 v[2:3], v[6:7], v[2:3]
	v_fma_f64 v[4:5], v[26:27], v[150:151], -v[4:5]
	v_add_f64 v[2:3], v[2:3], v[4:5]
	v_mul_f64 v[4:5], v[32:33], v[144:145]
	v_fma_f64 v[4:5], v[30:31], v[146:147], -v[4:5]
	v_add_f64 v[2:3], v[2:3], v[4:5]
	v_mul_f64 v[4:5], v[36:37], v[160:161]
	;; [unrolled: 3-line block ×22, first 2 shown]
	v_fma_f64 v[4:5], v[114:115], v[242:243], -v[4:5]
	v_add_f64 v[2:3], v[2:3], v[4:5]
	s_waitcnt vmcnt(2)
	v_add_f64 v[2:3], v[254:255], -v[2:3]
	s_waitcnt vmcnt(0)
	v_add_f64 v[4:5], v[252:253], -v[244:245]
	buffer_store_dword v3, off, s[0:3], 0 offset:244
	buffer_store_dword v2, off, s[0:3], 0 offset:240
	;; [unrolled: 1-line block ×4, first 2 shown]
	s_and_saveexec_b64 s[4:5], vcc
	s_cbranch_execz .LBB46_269
; %bb.268:
	v_accvgpr_read_b32 v0, a127
	buffer_load_dword v2, v0, s[0:3], 0 offen
	buffer_load_dword v3, v0, s[0:3], 0 offen offset:4
	buffer_load_dword v4, v0, s[0:3], 0 offen offset:8
	;; [unrolled: 1-line block ×3, first 2 shown]
	v_mov_b32_e32 v0, 0
	v_accvgpr_read_b32 v1, a141
	buffer_store_dword v0, off, s[0:3], 0 offset:224
	buffer_store_dword v0, off, s[0:3], 0 offset:228
	buffer_store_dword v0, off, s[0:3], 0 offset:232
	buffer_store_dword v0, off, s[0:3], 0 offset:236
	s_waitcnt vmcnt(4)
	ds_write_b128 v1, v[2:5]
.LBB46_269:
	s_or_b64 exec, exec, s[4:5]
	s_waitcnt lgkmcnt(0)
	; wave barrier
	s_waitcnt lgkmcnt(0)
	buffer_load_dword v94, off, s[0:3], 0 offset:240
	buffer_load_dword v95, off, s[0:3], 0 offset:244
	;; [unrolled: 1-line block ×52, first 2 shown]
	v_mov_b32_e32 v1, 0
	ds_read_b128 v[102:105], v1 offset:976
	ds_read_b128 v[114:117], v1 offset:992
	;; [unrolled: 1-line block ×10, first 2 shown]
	v_cmp_lt_u32_e32 vcc, 12, v210
	s_waitcnt vmcnt(48) lgkmcnt(9)
	v_mul_f64 v[26:27], v[102:103], v[96:97]
	v_fmac_f64_e32 v[26:27], v[104:105], v[94:95]
	v_add_f64 v[26:27], v[26:27], 0
	v_mul_f64 v[96:97], v[104:105], v[96:97]
	s_waitcnt vmcnt(44) lgkmcnt(8)
	v_mul_f64 v[28:29], v[114:115], v[100:101]
	v_fmac_f64_e32 v[28:29], v[116:117], v[98:99]
	s_waitcnt vmcnt(42) lgkmcnt(7)
	v_mul_f64 v[30:31], v[244:245], v[106:107]
	v_add_f64 v[26:27], v[26:27], v[28:29]
	s_waitcnt vmcnt(40) lgkmcnt(5)
	v_mul_f64 v[34:35], v[22:23], v[122:123]
	v_fma_f64 v[204:205], v[102:103], v[94:95], -v[96:97]
	s_waitcnt vmcnt(38)
	v_fmac_f64_e32 v[34:35], v[24:25], v[126:127]
	v_mul_f64 v[100:101], v[116:117], v[100:101]
	s_waitcnt vmcnt(36)
	v_mul_f64 v[32:33], v[250:251], v[110:111]
	v_fma_f64 v[206:207], v[114:115], v[98:99], -v[100:101]
	s_waitcnt vmcnt(34) lgkmcnt(3)
	v_mul_f64 v[38:39], v[14:15], v[120:121]
	v_mul_f64 v[106:107], v[246:247], v[106:107]
	s_waitcnt vmcnt(32)
	v_fmac_f64_e32 v[38:39], v[16:17], v[124:125]
	v_mul_f64 v[110:111], v[252:253], v[110:111]
	s_waitcnt vmcnt(30)
	v_mul_f64 v[36:37], v[18:19], v[132:133]
	v_mul_f64 v[24:25], v[24:25], v[122:123]
	v_fma_f64 v[22:23], v[22:23], v[126:127], -v[24:25]
	s_waitcnt vmcnt(27) lgkmcnt(2)
	v_mul_f64 v[40:41], v[10:11], v[130:131]
	s_waitcnt vmcnt(26) lgkmcnt(1)
	v_mul_f64 v[42:43], v[6:7], v[128:129]
	v_mul_f64 v[16:17], v[16:17], v[120:121]
	s_waitcnt vmcnt(24)
	v_fmac_f64_e32 v[30:31], v[246:247], v[108:109]
	v_add_f64 v[26:27], v[26:27], v[30:31]
	s_waitcnt vmcnt(22)
	v_fmac_f64_e32 v[32:33], v[252:253], v[112:113]
	v_add_f64 v[26:27], v[26:27], v[32:33]
	;; [unrolled: 3-line block ×3, first 2 shown]
	v_add_f64 v[26:27], v[26:27], v[36:37]
	s_waitcnt vmcnt(18)
	v_fmac_f64_e32 v[40:41], v[12:13], v[134:135]
	v_add_f64 v[26:27], v[26:27], v[38:39]
	v_add_f64 v[26:27], v[26:27], v[40:41]
	s_waitcnt vmcnt(16)
	v_fmac_f64_e32 v[42:43], v[8:9], v[140:141]
	v_add_f64 v[34:35], v[26:27], v[42:43]
	ds_read_b128 v[26:29], v1 offset:1136
	ds_read_b128 v[30:33], v1 offset:1152
	buffer_load_dword v157, off, s[0:3], 0 offset:476
	buffer_load_dword v156, off, s[0:3], 0 offset:472
	;; [unrolled: 1-line block ×56, first 2 shown]
	s_waitcnt vmcnt(62) lgkmcnt(2)
	v_mul_f64 v[36:37], v[2:3], v[144:145]
	v_fmac_f64_e32 v[36:37], v[4:5], v[146:147]
	v_add_f64 v[34:35], v[34:35], v[36:37]
	s_waitcnt lgkmcnt(1)
	v_mul_f64 v[36:37], v[26:27], v[138:139]
	v_fmac_f64_e32 v[36:37], v[28:29], v[142:143]
	v_add_f64 v[34:35], v[34:35], v[36:37]
	s_waitcnt lgkmcnt(0)
	v_mul_f64 v[36:37], v[30:31], v[148:149]
	s_waitcnt vmcnt(60)
	v_fmac_f64_e32 v[36:37], v[32:33], v[152:153]
	v_add_f64 v[42:43], v[34:35], v[36:37]
	ds_read_b128 v[34:37], v1 offset:1168
	buffer_load_dword v201, off, s[0:3], 0 offset:700
	buffer_load_dword v200, off, s[0:3], 0 offset:696
	;; [unrolled: 1-line block ×16, first 2 shown]
	ds_read_b128 v[38:41], v1 offset:1184
	buffer_load_dword v231, off, s[0:3], 0 offset:764
	buffer_load_dword v230, off, s[0:3], 0 offset:760
	;; [unrolled: 1-line block ×8, first 2 shown]
	ds_read_b128 v[98:101], v1 offset:1424
	s_waitcnt vmcnt(62) lgkmcnt(2)
	v_mul_f64 v[44:45], v[34:35], v[150:151]
	v_fmac_f64_e32 v[44:45], v[36:37], v[154:155]
	v_add_f64 v[46:47], v[42:43], v[44:45]
	ds_read_b128 v[42:45], v1 offset:1200
	v_fma_f64 v[248:249], v[244:245], v[108:109], -v[106:107]
	ds_read_b128 v[106:109], v1 offset:1456
	v_fma_f64 v[246:247], v[250:251], v[112:113], -v[110:111]
	v_mul_f64 v[20:21], v[20:21], v[132:133]
	v_fma_f64 v[18:19], v[18:19], v[136:137], -v[20:21]
	v_fma_f64 v[14:15], v[14:15], v[124:125], -v[16:17]
	v_mul_f64 v[12:13], v[12:13], v[130:131]
	v_fma_f64 v[10:11], v[10:11], v[134:135], -v[12:13]
	v_mul_f64 v[8:9], v[8:9], v[128:129]
	;; [unrolled: 2-line block ×3, first 2 shown]
	s_waitcnt lgkmcnt(3)
	v_mul_f64 v[48:49], v[38:39], v[172:173]
	v_fma_f64 v[2:3], v[2:3], v[146:147], -v[4:5]
	v_fmac_f64_e32 v[48:49], v[40:41], v[176:177]
	v_add_f64 v[50:51], v[46:47], v[48:49]
	ds_read_b128 v[46:49], v1 offset:1216
	s_waitcnt lgkmcnt(2)
	v_mul_f64 v[52:53], v[42:43], v[156:157]
	v_fmac_f64_e32 v[52:53], v[44:45], v[158:159]
	v_add_f64 v[54:55], v[50:51], v[52:53]
	ds_read_b128 v[50:53], v1 offset:1232
	s_waitcnt lgkmcnt(1)
	v_mul_f64 v[56:57], v[46:47], v[180:181]
	;; [unrolled: 5-line block ×3, first 2 shown]
	v_fmac_f64_e32 v[60:61], v[52:53], v[162:163]
	v_add_f64 v[62:63], v[58:59], v[60:61]
	ds_read_b128 v[58:61], v1 offset:1264
	s_waitcnt vmcnt(58) lgkmcnt(1)
	v_mul_f64 v[64:65], v[54:55], v[188:189]
	s_waitcnt vmcnt(56)
	v_fmac_f64_e32 v[64:65], v[56:57], v[192:193]
	v_add_f64 v[66:67], v[62:63], v[64:65]
	ds_read_b128 v[62:65], v1 offset:1280
	s_waitcnt lgkmcnt(1)
	v_mul_f64 v[68:69], v[58:59], v[164:165]
	v_fmac_f64_e32 v[68:69], v[60:61], v[166:167]
	v_add_f64 v[70:71], v[66:67], v[68:69]
	ds_read_b128 v[66:69], v1 offset:1296
	s_waitcnt vmcnt(50) lgkmcnt(1)
	v_mul_f64 v[72:73], v[62:63], v[196:197]
	s_waitcnt vmcnt(48)
	v_fmac_f64_e32 v[72:73], v[64:65], v[198:199]
	v_add_f64 v[74:75], v[70:71], v[72:73]
	ds_read_b128 v[70:73], v1 offset:1312
	s_waitcnt lgkmcnt(1)
	v_mul_f64 v[76:77], v[66:67], v[168:169]
	;; [unrolled: 11-line block ×3, first 2 shown]
	v_fmac_f64_e32 v[84:85], v[76:77], v[178:179]
	v_add_f64 v[90:91], v[82:83], v[84:85]
	ds_read_b128 v[82:85], v1 offset:1360
	ds_read_b128 v[86:89], v1 offset:1376
	s_waitcnt vmcnt(34) lgkmcnt(2)
	v_mul_f64 v[92:93], v[78:79], v[218:219]
	s_waitcnt vmcnt(32)
	v_fmac_f64_e32 v[92:93], v[80:81], v[224:225]
	v_add_f64 v[90:91], v[90:91], v[92:93]
	s_waitcnt lgkmcnt(1)
	v_mul_f64 v[92:93], v[82:83], v[182:183]
	v_fmac_f64_e32 v[92:93], v[84:85], v[186:187]
	v_add_f64 v[90:91], v[90:91], v[92:93]
	s_waitcnt vmcnt(27) lgkmcnt(0)
	v_mul_f64 v[92:93], v[86:87], v[222:223]
	s_waitcnt vmcnt(25)
	v_fmac_f64_e32 v[92:93], v[88:89], v[226:227]
	v_add_f64 v[118:119], v[90:91], v[92:93]
	ds_read_b128 v[90:93], v1 offset:1392
	ds_read_b128 v[94:97], v1 offset:1408
	ds_read_b128 v[110:113], v1 offset:1472
	v_mul_f64 v[4:5], v[28:29], v[138:139]
	v_fma_f64 v[4:5], v[26:27], v[142:143], -v[4:5]
	s_waitcnt lgkmcnt(2)
	v_mul_f64 v[102:103], v[90:91], v[190:191]
	s_waitcnt vmcnt(24)
	v_fmac_f64_e32 v[102:103], v[92:93], v[194:195]
	s_waitcnt vmcnt(18) lgkmcnt(1)
	v_mul_f64 v[104:105], v[94:95], v[228:229]
	v_add_f64 v[102:103], v[118:119], v[102:103]
	s_waitcnt vmcnt(16)
	v_fmac_f64_e32 v[104:105], v[96:97], v[232:233]
	v_add_f64 v[102:103], v[102:103], v[104:105]
	v_mul_f64 v[104:105], v[98:99], v[200:201]
	v_fmac_f64_e32 v[104:105], v[100:101], v[212:213]
	v_add_f64 v[114:115], v[102:103], v[104:105]
	ds_read_b128 v[102:105], v1 offset:1440
	s_waitcnt vmcnt(10) lgkmcnt(0)
	v_mul_f64 v[116:117], v[102:103], v[236:237]
	s_waitcnt vmcnt(8)
	v_fmac_f64_e32 v[116:117], v[104:105], v[238:239]
	v_add_f64 v[114:115], v[114:115], v[116:117]
	v_mul_f64 v[116:117], v[106:107], v[216:217]
	v_fmac_f64_e32 v[116:117], v[108:109], v[220:221]
	v_add_f64 v[114:115], v[114:115], v[116:117]
	s_waitcnt vmcnt(2)
	v_mul_f64 v[116:117], v[110:111], v[240:241]
	s_waitcnt vmcnt(0)
	v_fmac_f64_e32 v[116:117], v[112:113], v[242:243]
	v_add_f64 v[118:119], v[114:115], v[116:117]
	ds_read_b128 v[114:117], v1 offset:1488
	buffer_load_dword v252, off, s[0:3], 0 offset:224
	buffer_load_dword v253, off, s[0:3], 0 offset:228
	s_waitcnt lgkmcnt(0)
	v_mul_f64 v[208:209], v[114:115], v[230:231]
	v_fmac_f64_e32 v[208:209], v[116:117], v[234:235]
	v_add_f64 v[244:245], v[118:119], v[208:209]
	v_add_f64 v[118:119], v[204:205], 0
	;; [unrolled: 1-line block ×4, first 2 shown]
	buffer_load_dword v248, off, s[0:3], 0 offset:232
	buffer_load_dword v249, off, s[0:3], 0 offset:236
	v_add_f64 v[118:119], v[118:119], v[246:247]
	v_add_f64 v[22:23], v[118:119], v[22:23]
	;; [unrolled: 1-line block ×8, first 2 shown]
	v_mul_f64 v[4:5], v[32:33], v[148:149]
	v_fma_f64 v[4:5], v[30:31], v[152:153], -v[4:5]
	v_add_f64 v[2:3], v[2:3], v[4:5]
	v_mul_f64 v[4:5], v[36:37], v[150:151]
	v_fma_f64 v[4:5], v[34:35], v[154:155], -v[4:5]
	v_add_f64 v[2:3], v[2:3], v[4:5]
	;; [unrolled: 3-line block ×22, first 2 shown]
	s_waitcnt vmcnt(2)
	v_add_f64 v[2:3], v[252:253], -v[2:3]
	s_waitcnt vmcnt(0)
	v_add_f64 v[4:5], v[248:249], -v[244:245]
	buffer_store_dword v3, off, s[0:3], 0 offset:228
	buffer_store_dword v2, off, s[0:3], 0 offset:224
	;; [unrolled: 1-line block ×4, first 2 shown]
	s_and_saveexec_b64 s[4:5], vcc
	s_cbranch_execz .LBB46_271
; %bb.270:
	v_accvgpr_read_b32 v0, a128
	buffer_load_dword v2, v0, s[0:3], 0 offen
	buffer_load_dword v3, v0, s[0:3], 0 offen offset:4
	buffer_load_dword v4, v0, s[0:3], 0 offen offset:8
	;; [unrolled: 1-line block ×3, first 2 shown]
	v_accvgpr_read_b32 v0, a141
	buffer_store_dword v1, off, s[0:3], 0 offset:208
	buffer_store_dword v1, off, s[0:3], 0 offset:212
	;; [unrolled: 1-line block ×4, first 2 shown]
	s_waitcnt vmcnt(4)
	ds_write_b128 v0, v[2:5]
.LBB46_271:
	s_or_b64 exec, exec, s[4:5]
	s_waitcnt lgkmcnt(0)
	; wave barrier
	s_waitcnt lgkmcnt(0)
	buffer_load_dword v86, off, s[0:3], 0 offset:224
	buffer_load_dword v87, off, s[0:3], 0 offset:228
	;; [unrolled: 1-line block ×42, first 2 shown]
	ds_read_b128 v[94:97], v1 offset:960
	ds_read_b128 v[106:109], v1 offset:976
	;; [unrolled: 1-line block ×10, first 2 shown]
	buffer_load_dword v147, off, s[0:3], 0 offset:372
	buffer_load_dword v146, off, s[0:3], 0 offset:368
	ds_read_b128 v[6:9], v1 offset:1120
	buffer_load_dword v143, off, s[0:3], 0 offset:428
	buffer_load_dword v142, off, s[0:3], 0 offset:424
	;; [unrolled: 1-line block ×80, first 2 shown]
	s_waitcnt vmcnt(62) lgkmcnt(10)
	v_mul_f64 v[26:27], v[94:95], v[88:89]
	v_fmac_f64_e32 v[26:27], v[96:97], v[86:87]
	v_add_f64 v[26:27], v[26:27], 0
	v_mul_f64 v[88:89], v[96:97], v[88:89]
	s_waitcnt lgkmcnt(9)
	v_mul_f64 v[28:29], v[106:107], v[92:93]
	v_fmac_f64_e32 v[28:29], v[108:109], v[90:91]
	s_waitcnt lgkmcnt(8)
	v_mul_f64 v[30:31], v[114:115], v[98:99]
	v_add_f64 v[26:27], v[26:27], v[28:29]
	s_waitcnt lgkmcnt(6)
	v_mul_f64 v[34:35], v[248:249], v[110:111]
	v_fma_f64 v[204:205], v[94:95], v[86:87], -v[88:89]
	v_fmac_f64_e32 v[34:35], v[250:251], v[112:113]
	v_mul_f64 v[92:93], v[108:109], v[92:93]
	v_mul_f64 v[32:33], v[244:245], v[102:103]
	;; [unrolled: 1-line block ×3, first 2 shown]
	s_waitcnt lgkmcnt(4)
	v_mul_f64 v[38:39], v[18:19], v[120:121]
	v_mul_f64 v[102:103], v[246:247], v[102:103]
	v_fmac_f64_e32 v[38:39], v[20:21], v[122:123]
	v_mul_f64 v[110:111], v[250:251], v[110:111]
	v_mul_f64 v[36:37], v[22:23], v[124:125]
	v_fma_f64 v[248:249], v[248:249], v[112:113], -v[110:111]
	s_waitcnt lgkmcnt(2)
	v_mul_f64 v[42:43], v[10:11], v[126:127]
	v_add_f64 v[204:205], v[204:205], 0
	v_mul_f64 v[20:21], v[20:21], v[120:121]
	v_mul_f64 v[40:41], v[14:15], v[132:133]
	v_fma_f64 v[18:19], v[18:19], v[122:123], -v[20:21]
	s_waitcnt lgkmcnt(1)
	v_mul_f64 v[44:45], v[2:3], v[130:131]
	v_fmac_f64_e32 v[30:31], v[116:117], v[100:101]
	v_add_f64 v[26:27], v[26:27], v[30:31]
	v_fmac_f64_e32 v[32:33], v[246:247], v[104:105]
	v_add_f64 v[26:27], v[26:27], v[32:33]
	v_fmac_f64_e32 v[36:37], v[24:25], v[136:137]
	v_add_f64 v[26:27], v[26:27], v[34:35]
	v_add_f64 v[26:27], v[26:27], v[36:37]
	v_fmac_f64_e32 v[40:41], v[16:17], v[134:135]
	v_add_f64 v[26:27], v[26:27], v[38:39]
	v_fmac_f64_e32 v[42:43], v[12:13], v[128:129]
	v_add_f64 v[26:27], v[26:27], v[40:41]
	v_add_f64 v[26:27], v[26:27], v[42:43]
	s_waitcnt lgkmcnt(0)
	v_mul_f64 v[32:33], v[6:7], v[138:139]
	v_fmac_f64_e32 v[44:45], v[4:5], v[146:147]
	v_add_f64 v[30:31], v[26:27], v[44:45]
	ds_read_b128 v[26:29], v1 offset:1136
	v_fmac_f64_e32 v[32:33], v[8:9], v[140:141]
	v_add_f64 v[34:35], v[30:31], v[32:33]
	ds_read_b128 v[30:33], v1 offset:1152
	v_fma_f64 v[206:207], v[114:115], v[100:101], -v[98:99]
	s_waitcnt lgkmcnt(1)
	v_mul_f64 v[36:37], v[26:27], v[148:149]
	v_fmac_f64_e32 v[36:37], v[28:29], v[164:165]
	v_add_f64 v[38:39], v[34:35], v[36:37]
	ds_read_b128 v[34:37], v1 offset:1168
	s_waitcnt lgkmcnt(1)
	v_mul_f64 v[40:41], v[30:31], v[142:143]
	v_fmac_f64_e32 v[40:41], v[32:33], v[144:145]
	v_add_f64 v[42:43], v[38:39], v[40:41]
	ds_read_b128 v[38:41], v1 offset:1184
	;; [unrolled: 5-line block ×4, first 2 shown]
	s_waitcnt vmcnt(58) lgkmcnt(1)
	v_mul_f64 v[52:53], v[42:43], v[176:177]
	s_waitcnt vmcnt(56)
	v_fmac_f64_e32 v[52:53], v[44:45], v[180:181]
	v_add_f64 v[54:55], v[50:51], v[52:53]
	ds_read_b128 v[50:53], v1 offset:1232
	buffer_load_dword v232, off, s[0:3], 0 offset:744
	buffer_load_dword v237, off, s[0:3], 0 offset:732
	buffer_load_dword v236, off, s[0:3], 0 offset:728
	buffer_load_dword v239, off, s[0:3], 0 offset:724
	buffer_load_dword v238, off, s[0:3], 0 offset:720
	buffer_load_dword v234, off, s[0:3], 0 offset:736
	buffer_load_dword v233, off, s[0:3], 0 offset:748
	buffer_load_dword v235, off, s[0:3], 0 offset:740
	s_waitcnt lgkmcnt(1)
	v_mul_f64 v[56:57], v[46:47], v[154:155]
	v_fmac_f64_e32 v[56:57], v[48:49], v[156:157]
	v_add_f64 v[58:59], v[54:55], v[56:57]
	ds_read_b128 v[54:57], v1 offset:1248
	s_waitcnt vmcnt(58) lgkmcnt(1)
	v_mul_f64 v[60:61], v[50:51], v[184:185]
	s_waitcnt vmcnt(56)
	v_fmac_f64_e32 v[60:61], v[52:53], v[188:189]
	buffer_load_dword v241, off, s[0:3], 0 offset:764
	buffer_load_dword v240, off, s[0:3], 0 offset:760
	;; [unrolled: 1-line block ×4, first 2 shown]
	v_add_f64 v[62:63], v[58:59], v[60:61]
	ds_read_b128 v[58:61], v1 offset:1264
	s_waitcnt lgkmcnt(1)
	v_mul_f64 v[64:65], v[54:55], v[158:159]
	v_fmac_f64_e32 v[64:65], v[56:57], v[160:161]
	v_add_f64 v[66:67], v[62:63], v[64:65]
	ds_read_b128 v[62:65], v1 offset:1280
	s_waitcnt vmcnt(54) lgkmcnt(1)
	v_mul_f64 v[68:69], v[58:59], v[192:193]
	s_waitcnt vmcnt(52)
	v_fmac_f64_e32 v[68:69], v[60:61], v[196:197]
	v_add_f64 v[70:71], v[66:67], v[68:69]
	ds_read_b128 v[66:69], v1 offset:1296
	s_waitcnt lgkmcnt(1)
	v_mul_f64 v[72:73], v[62:63], v[162:163]
	v_fmac_f64_e32 v[72:73], v[64:65], v[166:167]
	v_add_f64 v[74:75], v[70:71], v[72:73]
	ds_read_b128 v[70:73], v1 offset:1312
	s_waitcnt vmcnt(46) lgkmcnt(1)
	v_mul_f64 v[76:77], v[66:67], v[200:201]
	s_waitcnt vmcnt(44)
	v_fmac_f64_e32 v[76:77], v[68:69], v[212:213]
	v_add_f64 v[82:83], v[74:75], v[76:77]
	ds_read_b128 v[74:77], v1 offset:1328
	ds_read_b128 v[78:81], v1 offset:1344
	s_waitcnt lgkmcnt(2)
	v_mul_f64 v[84:85], v[70:71], v[170:171]
	v_fmac_f64_e32 v[84:85], v[72:73], v[174:175]
	v_add_f64 v[82:83], v[82:83], v[84:85]
	s_waitcnt vmcnt(38) lgkmcnt(1)
	v_mul_f64 v[84:85], v[74:75], v[216:217]
	s_waitcnt vmcnt(36)
	v_fmac_f64_e32 v[84:85], v[76:77], v[218:219]
	v_add_f64 v[82:83], v[82:83], v[84:85]
	s_waitcnt lgkmcnt(0)
	v_mul_f64 v[84:85], v[78:79], v[178:179]
	v_fmac_f64_e32 v[84:85], v[80:81], v[182:183]
	v_add_f64 v[118:119], v[82:83], v[84:85]
	ds_read_b128 v[82:85], v1 offset:1360
	ds_read_b128 v[86:89], v1 offset:1376
	ds_read_b128 v[98:101], v1 offset:1424
	v_fma_f64 v[246:247], v[244:245], v[104:105], -v[102:103]
	ds_read_b128 v[102:105], v1 offset:1456
	ds_read_b128 v[110:113], v1 offset:1472
	s_waitcnt vmcnt(30) lgkmcnt(4)
	v_mul_f64 v[94:95], v[82:83], v[220:221]
	s_waitcnt vmcnt(28)
	v_fmac_f64_e32 v[94:95], v[84:85], v[222:223]
	v_add_f64 v[94:95], v[118:119], v[94:95]
	v_fma_f64 v[118:119], v[106:107], v[90:91], -v[92:93]
	ds_read_b128 v[90:93], v1 offset:1392
	s_waitcnt lgkmcnt(4)
	v_mul_f64 v[96:97], v[86:87], v[186:187]
	v_fmac_f64_e32 v[96:97], v[88:89], v[190:191]
	v_add_f64 v[106:107], v[94:95], v[96:97]
	ds_read_b128 v[94:97], v1 offset:1408
	s_waitcnt vmcnt(22) lgkmcnt(1)
	v_mul_f64 v[108:109], v[90:91], v[224:225]
	s_waitcnt vmcnt(20)
	v_fmac_f64_e32 v[108:109], v[92:93], v[226:227]
	v_add_f64 v[106:107], v[106:107], v[108:109]
	v_add_f64 v[118:119], v[204:205], v[118:119]
	s_waitcnt lgkmcnt(0)
	v_mul_f64 v[108:109], v[94:95], v[194:195]
	v_fmac_f64_e32 v[108:109], v[96:97], v[198:199]
	v_add_f64 v[114:115], v[106:107], v[108:109]
	ds_read_b128 v[106:109], v1 offset:1440
	s_waitcnt vmcnt(14)
	v_mul_f64 v[116:117], v[98:99], v[228:229]
	s_waitcnt vmcnt(12)
	v_fmac_f64_e32 v[116:117], v[100:101], v[230:231]
	v_add_f64 v[114:115], v[114:115], v[116:117]
	v_add_f64 v[250:251], v[118:119], v[206:207]
	s_waitcnt lgkmcnt(0)
	v_mul_f64 v[116:117], v[106:107], v[202:203]
	v_fmac_f64_e32 v[116:117], v[108:109], v[214:215]
	v_add_f64 v[114:115], v[114:115], v[116:117]
	v_add_f64 v[118:119], v[250:251], v[246:247]
	v_mul_f64 v[24:25], v[24:25], v[124:125]
	v_add_f64 v[118:119], v[118:119], v[248:249]
	v_fma_f64 v[22:23], v[22:23], v[136:137], -v[24:25]
	v_add_f64 v[22:23], v[118:119], v[22:23]
	v_mul_f64 v[16:17], v[16:17], v[132:133]
	v_add_f64 v[18:19], v[22:23], v[18:19]
	v_fma_f64 v[14:15], v[14:15], v[134:135], -v[16:17]
	v_mul_f64 v[12:13], v[12:13], v[126:127]
	s_waitcnt vmcnt(9)
	v_mul_f64 v[116:117], v[102:103], v[236:237]
	v_add_f64 v[14:15], v[18:19], v[14:15]
	s_waitcnt vmcnt(7)
	v_fmac_f64_e32 v[116:117], v[104:105], v[238:239]
	v_add_f64 v[114:115], v[114:115], v[116:117]
	s_waitcnt vmcnt(5)
	v_mul_f64 v[116:117], v[110:111], v[232:233]
	s_waitcnt vmcnt(4)
	v_fmac_f64_e32 v[116:117], v[112:113], v[234:235]
	v_add_f64 v[208:209], v[114:115], v[116:117]
	ds_read_b128 v[114:117], v1 offset:1488
	buffer_load_dword v254, off, s[0:3], 0 offset:208
	buffer_load_dword v255, off, s[0:3], 0 offset:212
	;; [unrolled: 1-line block ×4, first 2 shown]
	v_fma_f64 v[10:11], v[10:11], v[128:129], -v[12:13]
	v_mul_f64 v[4:5], v[4:5], v[130:131]
	v_add_f64 v[10:11], v[14:15], v[10:11]
	v_fma_f64 v[2:3], v[2:3], v[146:147], -v[4:5]
	v_mul_f64 v[4:5], v[8:9], v[138:139]
	v_add_f64 v[2:3], v[10:11], v[2:3]
	v_fma_f64 v[4:5], v[6:7], v[140:141], -v[4:5]
	v_add_f64 v[2:3], v[2:3], v[4:5]
	v_mul_f64 v[4:5], v[28:29], v[148:149]
	v_fma_f64 v[4:5], v[26:27], v[164:165], -v[4:5]
	v_add_f64 v[2:3], v[2:3], v[4:5]
	v_mul_f64 v[4:5], v[32:33], v[142:143]
	;; [unrolled: 3-line block ×22, first 2 shown]
	v_fma_f64 v[4:5], v[110:111], v[234:235], -v[4:5]
	v_add_f64 v[2:3], v[2:3], v[4:5]
	s_waitcnt vmcnt(6) lgkmcnt(0)
	v_mul_f64 v[4:5], v[116:117], v[240:241]
	s_waitcnt vmcnt(4)
	v_fma_f64 v[4:5], v[114:115], v[242:243], -v[4:5]
	v_mul_f64 v[210:211], v[114:115], v[240:241]
	v_add_f64 v[2:3], v[2:3], v[4:5]
	v_fmac_f64_e32 v[210:211], v[116:117], v[242:243]
	s_waitcnt vmcnt(2)
	v_add_f64 v[2:3], v[254:255], -v[2:3]
	v_accvgpr_read_b32 v254, a140
	v_add_f64 v[244:245], v[208:209], v[210:211]
	v_cmp_lt_u32_e32 vcc, 11, v254
	s_waitcnt vmcnt(0)
	v_add_f64 v[4:5], v[252:253], -v[244:245]
	buffer_store_dword v3, off, s[0:3], 0 offset:212
	buffer_store_dword v2, off, s[0:3], 0 offset:208
	;; [unrolled: 1-line block ×4, first 2 shown]
	s_and_saveexec_b64 s[4:5], vcc
	s_cbranch_execz .LBB46_273
; %bb.272:
	v_accvgpr_read_b32 v0, a129
	buffer_load_dword v2, v0, s[0:3], 0 offen
	buffer_load_dword v3, v0, s[0:3], 0 offen offset:4
	buffer_load_dword v4, v0, s[0:3], 0 offen offset:8
	;; [unrolled: 1-line block ×3, first 2 shown]
	v_mov_b32_e32 v0, 0
	v_accvgpr_read_b32 v1, a141
	buffer_store_dword v0, off, s[0:3], 0 offset:192
	buffer_store_dword v0, off, s[0:3], 0 offset:196
	;; [unrolled: 1-line block ×4, first 2 shown]
	s_waitcnt vmcnt(4)
	ds_write_b128 v1, v[2:5]
.LBB46_273:
	s_or_b64 exec, exec, s[4:5]
	s_waitcnt lgkmcnt(0)
	; wave barrier
	s_waitcnt lgkmcnt(0)
	buffer_load_dword v82, off, s[0:3], 0 offset:208
	buffer_load_dword v83, off, s[0:3], 0 offset:212
	;; [unrolled: 1-line block ×54, first 2 shown]
	v_mov_b32_e32 v1, 0
	ds_read_b128 v[90:93], v1 offset:944
	ds_read_b128 v[106:109], v1 offset:960
	;; [unrolled: 1-line block ×9, first 2 shown]
	buffer_load_dword v151, off, s[0:3], 0 offset:436
	buffer_load_dword v150, off, s[0:3], 0 offset:432
	;; [unrolled: 1-line block ×62, first 2 shown]
	v_cmp_lt_u32_e32 vcc, 10, v254
	s_waitcnt vmcnt(62) lgkmcnt(8)
	v_mul_f64 v[14:15], v[90:91], v[84:85]
	v_fmac_f64_e32 v[14:15], v[92:93], v[82:83]
	v_add_f64 v[14:15], v[14:15], 0
	v_mul_f64 v[84:85], v[92:93], v[84:85]
	s_waitcnt lgkmcnt(7)
	v_mul_f64 v[16:17], v[106:107], v[88:89]
	v_fmac_f64_e32 v[16:17], v[108:109], v[86:87]
	s_waitcnt lgkmcnt(6)
	v_mul_f64 v[18:19], v[114:115], v[94:95]
	v_add_f64 v[14:15], v[14:15], v[16:17]
	s_waitcnt lgkmcnt(4)
	v_mul_f64 v[22:23], v[246:247], v[102:103]
	v_fma_f64 v[204:205], v[90:91], v[82:83], -v[84:85]
	v_fmac_f64_e32 v[22:23], v[248:249], v[104:105]
	v_mul_f64 v[88:89], v[108:109], v[88:89]
	v_mul_f64 v[20:21], v[242:243], v[98:99]
	v_fma_f64 v[206:207], v[106:107], v[86:87], -v[88:89]
	s_waitcnt lgkmcnt(2)
	v_mul_f64 v[26:27], v[10:11], v[120:121]
	v_mul_f64 v[94:95], v[116:117], v[94:95]
	v_fmac_f64_e32 v[26:27], v[12:13], v[122:123]
	v_mul_f64 v[98:99], v[244:245], v[98:99]
	v_mul_f64 v[24:25], v[250:251], v[110:111]
	;; [unrolled: 1-line block ×3, first 2 shown]
	s_waitcnt lgkmcnt(1)
	v_mul_f64 v[28:29], v[6:7], v[124:125]
	v_mul_f64 v[110:111], v[252:253], v[110:111]
	v_fmac_f64_e32 v[18:19], v[116:117], v[96:97]
	v_add_f64 v[14:15], v[14:15], v[18:19]
	v_fmac_f64_e32 v[20:21], v[244:245], v[100:101]
	v_add_f64 v[14:15], v[14:15], v[20:21]
	;; [unrolled: 2-line block ×3, first 2 shown]
	v_add_f64 v[14:15], v[14:15], v[24:25]
	v_fmac_f64_e32 v[28:29], v[8:9], v[128:129]
	v_add_f64 v[14:15], v[14:15], v[26:27]
	v_add_f64 v[18:19], v[14:15], v[28:29]
	ds_read_b128 v[14:17], v1 offset:1088
	s_waitcnt lgkmcnt(1)
	v_mul_f64 v[20:21], v[2:3], v[126:127]
	v_fmac_f64_e32 v[20:21], v[4:5], v[130:131]
	v_add_f64 v[22:23], v[18:19], v[20:21]
	ds_read_b128 v[18:21], v1 offset:1104
	s_waitcnt lgkmcnt(1)
	v_mul_f64 v[24:25], v[14:15], v[136:137]
	v_fmac_f64_e32 v[24:25], v[16:17], v[138:139]
	;; [unrolled: 5-line block ×5, first 2 shown]
	v_add_f64 v[38:39], v[34:35], v[36:37]
	ds_read_b128 v[34:37], v1 offset:1168
	s_waitcnt vmcnt(58) lgkmcnt(1)
	v_mul_f64 v[40:41], v[30:31], v[164:165]
	s_waitcnt vmcnt(56)
	v_fmac_f64_e32 v[40:41], v[32:33], v[168:169]
	v_add_f64 v[42:43], v[38:39], v[40:41]
	ds_read_b128 v[38:41], v1 offset:1184
	s_waitcnt lgkmcnt(1)
	v_mul_f64 v[44:45], v[34:35], v[144:145]
	v_fmac_f64_e32 v[44:45], v[36:37], v[150:151]
	v_add_f64 v[46:47], v[42:43], v[44:45]
	ds_read_b128 v[42:45], v1 offset:1200
	s_waitcnt vmcnt(50) lgkmcnt(1)
	v_mul_f64 v[48:49], v[38:39], v[172:173]
	s_waitcnt vmcnt(48)
	v_fmac_f64_e32 v[48:49], v[40:41], v[176:177]
	v_add_f64 v[50:51], v[46:47], v[48:49]
	ds_read_b128 v[46:49], v1 offset:1216
	buffer_load_dword v221, off, s[0:3], 0 offset:684
	buffer_load_dword v220, off, s[0:3], 0 offset:680
	;; [unrolled: 1-line block ×8, first 2 shown]
	s_waitcnt lgkmcnt(1)
	v_mul_f64 v[52:53], v[42:43], v[152:153]
	v_fmac_f64_e32 v[52:53], v[44:45], v[154:155]
	v_add_f64 v[54:55], v[50:51], v[52:53]
	ds_read_b128 v[50:53], v1 offset:1232
	s_waitcnt vmcnt(50) lgkmcnt(1)
	v_mul_f64 v[56:57], v[46:47], v[180:181]
	s_waitcnt vmcnt(48)
	v_fmac_f64_e32 v[56:57], v[48:49], v[184:185]
	buffer_load_dword v225, off, s[0:3], 0 offset:732
	buffer_load_dword v231, off, s[0:3], 0 offset:716
	;; [unrolled: 1-line block ×12, first 2 shown]
	v_add_f64 v[58:59], v[54:55], v[56:57]
	ds_read_b128 v[54:57], v1 offset:1248
	s_waitcnt lgkmcnt(1)
	v_mul_f64 v[60:61], v[50:51], v[156:157]
	v_fmac_f64_e32 v[60:61], v[52:53], v[158:159]
	v_add_f64 v[62:63], v[58:59], v[60:61]
	ds_read_b128 v[58:61], v1 offset:1264
	s_waitcnt vmcnt(54) lgkmcnt(1)
	v_mul_f64 v[64:65], v[54:55], v[188:189]
	s_waitcnt vmcnt(52)
	v_fmac_f64_e32 v[64:65], v[56:57], v[192:193]
	v_add_f64 v[66:67], v[62:63], v[64:65]
	ds_read_b128 v[62:65], v1 offset:1280
	s_waitcnt lgkmcnt(1)
	v_mul_f64 v[68:69], v[58:59], v[160:161]
	v_fmac_f64_e32 v[68:69], v[60:61], v[162:163]
	v_add_f64 v[70:71], v[66:67], v[68:69]
	ds_read_b128 v[66:69], v1 offset:1296
	s_waitcnt vmcnt(46) lgkmcnt(1)
	v_mul_f64 v[72:73], v[62:63], v[196:197]
	s_waitcnt vmcnt(44)
	v_fmac_f64_e32 v[72:73], v[64:65], v[198:199]
	v_add_f64 v[78:79], v[70:71], v[72:73]
	ds_read_b128 v[70:73], v1 offset:1312
	ds_read_b128 v[74:77], v1 offset:1328
	s_waitcnt lgkmcnt(2)
	v_mul_f64 v[80:81], v[66:67], v[166:167]
	v_fmac_f64_e32 v[80:81], v[68:69], v[170:171]
	v_add_f64 v[78:79], v[78:79], v[80:81]
	s_waitcnt vmcnt(38) lgkmcnt(1)
	v_mul_f64 v[80:81], v[70:71], v[200:201]
	s_waitcnt vmcnt(36)
	v_fmac_f64_e32 v[80:81], v[72:73], v[202:203]
	v_add_f64 v[78:79], v[78:79], v[80:81]
	s_waitcnt lgkmcnt(0)
	v_mul_f64 v[80:81], v[74:75], v[174:175]
	v_fmac_f64_e32 v[80:81], v[76:77], v[178:179]
	v_add_f64 v[118:119], v[78:79], v[80:81]
	ds_read_b128 v[78:81], v1 offset:1344
	ds_read_b128 v[82:85], v1 offset:1360
	;; [unrolled: 1-line block ×3, first 2 shown]
	v_fma_f64 v[208:209], v[242:243], v[100:101], -v[98:99]
	ds_read_b128 v[98:101], v1 offset:1424
	s_waitcnt vmcnt(30) lgkmcnt(3)
	v_mul_f64 v[90:91], v[78:79], v[212:213]
	s_waitcnt vmcnt(28)
	v_fmac_f64_e32 v[90:91], v[80:81], v[214:215]
	s_waitcnt lgkmcnt(2)
	v_mul_f64 v[92:93], v[82:83], v[182:183]
	v_add_f64 v[90:91], v[118:119], v[90:91]
	v_fmac_f64_e32 v[92:93], v[84:85], v[186:187]
	v_add_f64 v[90:91], v[90:91], v[92:93]
	v_fma_f64 v[118:119], v[114:115], v[96:97], -v[94:95]
	ds_read_b128 v[94:97], v1 offset:1408
	s_waitcnt vmcnt(22) lgkmcnt(2)
	v_mul_f64 v[92:93], v[86:87], v[216:217]
	s_waitcnt vmcnt(20)
	v_fmac_f64_e32 v[92:93], v[88:89], v[218:219]
	v_add_f64 v[106:107], v[90:91], v[92:93]
	ds_read_b128 v[90:93], v1 offset:1392
	buffer_load_dword v240, off, s[0:3], 0 offset:760
	v_fma_f64 v[210:211], v[246:247], v[104:105], -v[102:103]
	ds_read_b128 v[102:105], v1 offset:1440
	v_fma_f64 v[250:251], v[250:251], v[112:113], -v[110:111]
	s_waitcnt lgkmcnt(1)
	v_mul_f64 v[108:109], v[90:91], v[190:191]
	v_fmac_f64_e32 v[108:109], v[92:93], v[194:195]
	v_add_f64 v[106:107], v[106:107], v[108:109]
	ds_read_b128 v[110:113], v1 offset:1472
	v_add_f64 v[204:205], v[204:205], 0
	v_add_f64 v[204:205], v[204:205], v[206:207]
	;; [unrolled: 1-line block ×5, first 2 shown]
	v_mul_f64 v[12:13], v[12:13], v[120:121]
	v_add_f64 v[118:119], v[252:253], v[250:251]
	v_fma_f64 v[10:11], v[10:11], v[122:123], -v[12:13]
	v_mul_f64 v[8:9], v[8:9], v[124:125]
	v_add_f64 v[10:11], v[118:119], v[10:11]
	v_fma_f64 v[6:7], v[6:7], v[128:129], -v[8:9]
	;; [unrolled: 3-line block ×3, first 2 shown]
	v_mul_f64 v[4:5], v[16:17], v[136:137]
	v_add_f64 v[2:3], v[6:7], v[2:3]
	s_waitcnt vmcnt(19)
	v_mul_f64 v[108:109], v[94:95], v[220:221]
	v_fma_f64 v[4:5], v[14:15], v[138:139], -v[4:5]
	s_waitcnt vmcnt(17)
	v_fmac_f64_e32 v[108:109], v[96:97], v[222:223]
	v_add_f64 v[106:107], v[106:107], v[108:109]
	s_waitcnt vmcnt(15)
	v_mul_f64 v[108:109], v[98:99], v[226:227]
	s_waitcnt vmcnt(13)
	v_fmac_f64_e32 v[108:109], v[100:101], v[228:229]
	v_add_f64 v[114:115], v[106:107], v[108:109]
	ds_read_b128 v[106:109], v1 offset:1456
	buffer_load_dword v244, off, s[0:3], 0 offset:752
	buffer_load_dword v241, off, s[0:3], 0 offset:764
	;; [unrolled: 1-line block ×3, first 2 shown]
	s_waitcnt vmcnt(13) lgkmcnt(2)
	v_mul_f64 v[116:117], v[102:103], v[230:231]
	s_waitcnt vmcnt(11)
	v_fmac_f64_e32 v[116:117], v[104:105], v[236:237]
	v_add_f64 v[114:115], v[114:115], v[116:117]
	s_waitcnt vmcnt(10) lgkmcnt(0)
	v_mul_f64 v[116:117], v[106:107], v[224:225]
	s_waitcnt vmcnt(8)
	v_fmac_f64_e32 v[116:117], v[108:109], v[234:235]
	v_add_f64 v[114:115], v[114:115], v[116:117]
	s_waitcnt vmcnt(6)
	v_mul_f64 v[116:117], v[110:111], v[232:233]
	s_waitcnt vmcnt(4)
	v_fmac_f64_e32 v[116:117], v[112:113], v[238:239]
	v_add_f64 v[242:243], v[114:115], v[116:117]
	ds_read_b128 v[114:117], v1 offset:1488
	buffer_load_dword v248, off, s[0:3], 0 offset:192
	buffer_load_dword v249, off, s[0:3], 0 offset:196
	v_add_f64 v[2:3], v[2:3], v[4:5]
	v_mul_f64 v[4:5], v[20:21], v[132:133]
	v_fma_f64 v[4:5], v[18:19], v[134:135], -v[4:5]
	v_add_f64 v[2:3], v[2:3], v[4:5]
	v_mul_f64 v[4:5], v[24:25], v[146:147]
	v_fma_f64 v[4:5], v[22:23], v[148:149], -v[4:5]
	;; [unrolled: 3-line block ×22, first 2 shown]
	v_add_f64 v[2:3], v[2:3], v[4:5]
	s_waitcnt vmcnt(3) lgkmcnt(0)
	v_mul_f64 v[246:247], v[114:115], v[240:241]
	s_waitcnt vmcnt(2)
	v_fmac_f64_e32 v[246:247], v[116:117], v[244:245]
	v_add_f64 v[242:243], v[242:243], v[246:247]
	buffer_load_dword v246, off, s[0:3], 0 offset:200
	buffer_load_dword v247, off, s[0:3], 0 offset:204
	v_mul_f64 v[4:5], v[108:109], v[224:225]
	v_fma_f64 v[4:5], v[106:107], v[234:235], -v[4:5]
	v_add_f64 v[2:3], v[2:3], v[4:5]
	v_mul_f64 v[4:5], v[112:113], v[232:233]
	v_fma_f64 v[4:5], v[110:111], v[238:239], -v[4:5]
	v_add_f64 v[2:3], v[2:3], v[4:5]
	v_mul_f64 v[4:5], v[116:117], v[240:241]
	v_fma_f64 v[4:5], v[114:115], v[244:245], -v[4:5]
	v_add_f64 v[2:3], v[2:3], v[4:5]
	s_waitcnt vmcnt(2)
	v_add_f64 v[2:3], v[248:249], -v[2:3]
	s_waitcnt vmcnt(0)
	v_add_f64 v[4:5], v[246:247], -v[242:243]
	buffer_store_dword v3, off, s[0:3], 0 offset:196
	buffer_store_dword v2, off, s[0:3], 0 offset:192
	;; [unrolled: 1-line block ×4, first 2 shown]
	s_and_saveexec_b64 s[4:5], vcc
	s_cbranch_execz .LBB46_275
; %bb.274:
	v_accvgpr_read_b32 v0, a130
	buffer_load_dword v2, v0, s[0:3], 0 offen
	buffer_load_dword v3, v0, s[0:3], 0 offen offset:4
	buffer_load_dword v4, v0, s[0:3], 0 offen offset:8
	;; [unrolled: 1-line block ×3, first 2 shown]
	v_accvgpr_read_b32 v0, a141
	buffer_store_dword v1, off, s[0:3], 0 offset:176
	buffer_store_dword v1, off, s[0:3], 0 offset:180
	;; [unrolled: 1-line block ×4, first 2 shown]
	s_waitcnt vmcnt(4)
	ds_write_b128 v0, v[2:5]
.LBB46_275:
	s_or_b64 exec, exec, s[4:5]
	s_waitcnt lgkmcnt(0)
	; wave barrier
	s_waitcnt lgkmcnt(0)
	buffer_load_dword v84, off, s[0:3], 0 offset:192
	buffer_load_dword v85, off, s[0:3], 0 offset:196
	;; [unrolled: 1-line block ×34, first 2 shown]
	ds_read_b128 v[74:77], v1 offset:928
	ds_read_b128 v[78:81], v1 offset:944
	;; [unrolled: 1-line block ×8, first 2 shown]
	buffer_load_dword v127, off, s[0:3], 0 offset:308
	buffer_load_dword v126, off, s[0:3], 0 offset:304
	ds_read_b128 v[6:9], v1 offset:1056
	buffer_load_dword v129, off, s[0:3], 0 offset:364
	buffer_load_dword v128, off, s[0:3], 0 offset:360
	;; [unrolled: 1-line block ×80, first 2 shown]
	s_waitcnt vmcnt(62) lgkmcnt(8)
	v_mul_f64 v[10:11], v[74:75], v[106:107]
	v_fmac_f64_e32 v[10:11], v[76:77], v[84:85]
	v_add_f64 v[10:11], v[10:11], 0
	v_mul_f64 v[76:77], v[76:77], v[106:107]
	s_waitcnt lgkmcnt(7)
	v_mul_f64 v[12:13], v[78:79], v[96:97]
	v_fmac_f64_e32 v[12:13], v[80:81], v[82:83]
	s_waitcnt lgkmcnt(6)
	v_mul_f64 v[14:15], v[86:87], v[94:95]
	v_add_f64 v[10:11], v[10:11], v[12:13]
	s_waitcnt lgkmcnt(4)
	v_mul_f64 v[18:19], v[98:99], v[108:109]
	v_fma_f64 v[204:205], v[74:75], v[84:85], -v[76:77]
	v_fmac_f64_e32 v[18:19], v[100:101], v[114:115]
	v_mul_f64 v[80:81], v[80:81], v[96:97]
	v_mul_f64 v[16:17], v[90:91], v[116:117]
	v_fma_f64 v[206:207], v[78:79], v[82:83], -v[80:81]
	s_waitcnt lgkmcnt(2)
	v_mul_f64 v[22:23], v[110:111], v[240:241]
	v_mul_f64 v[100:101], v[100:101], v[108:109]
	v_fma_f64 v[210:211], v[98:99], v[114:115], -v[100:101]
	v_mul_f64 v[20:21], v[102:103], v[244:245]
	v_add_f64 v[204:205], v[204:205], 0
	s_waitcnt lgkmcnt(1)
	v_mul_f64 v[24:25], v[2:3], v[120:121]
	v_add_f64 v[204:205], v[204:205], v[206:207]
	v_fmac_f64_e32 v[14:15], v[88:89], v[250:251]
	v_add_f64 v[10:11], v[10:11], v[14:15]
	v_fmac_f64_e32 v[16:17], v[92:93], v[248:249]
	;; [unrolled: 2-line block ×4, first 2 shown]
	v_add_f64 v[10:11], v[10:11], v[20:21]
	v_add_f64 v[10:11], v[10:11], v[22:23]
	s_waitcnt lgkmcnt(0)
	v_mul_f64 v[16:17], v[6:7], v[122:123]
	v_fmac_f64_e32 v[16:17], v[8:9], v[124:125]
	v_fmac_f64_e32 v[24:25], v[4:5], v[126:127]
	v_add_f64 v[14:15], v[10:11], v[24:25]
	ds_read_b128 v[10:13], v1 offset:1072
	v_add_f64 v[18:19], v[14:15], v[16:17]
	ds_read_b128 v[14:17], v1 offset:1088
	v_mul_f64 v[88:89], v[88:89], v[94:95]
	v_mul_f64 v[92:93], v[92:93], v[116:117]
	s_waitcnt lgkmcnt(1)
	v_mul_f64 v[20:21], v[10:11], v[132:133]
	v_fmac_f64_e32 v[20:21], v[12:13], v[134:135]
	s_waitcnt lgkmcnt(0)
	v_mul_f64 v[24:25], v[14:15], v[128:129]
	v_add_f64 v[22:23], v[18:19], v[20:21]
	ds_read_b128 v[18:21], v1 offset:1104
	v_fmac_f64_e32 v[24:25], v[16:17], v[130:131]
	v_add_f64 v[26:27], v[22:23], v[24:25]
	ds_read_b128 v[22:25], v1 offset:1120
	v_fma_f64 v[208:209], v[90:91], v[248:249], -v[92:93]
	s_waitcnt lgkmcnt(1)
	v_mul_f64 v[28:29], v[18:19], v[144:145]
	v_fmac_f64_e32 v[28:29], v[20:21], v[146:147]
	v_add_f64 v[30:31], v[26:27], v[28:29]
	s_waitcnt lgkmcnt(0)
	v_mul_f64 v[32:33], v[22:23], v[136:137]
	ds_read_b128 v[26:29], v1 offset:1136
	v_fmac_f64_e32 v[32:33], v[24:25], v[138:139]
	v_add_f64 v[34:35], v[30:31], v[32:33]
	ds_read_b128 v[30:33], v1 offset:1152
	v_mul_f64 v[104:105], v[104:105], v[244:245]
	s_waitcnt vmcnt(58) lgkmcnt(1)
	v_mul_f64 v[36:37], v[26:27], v[160:161]
	s_waitcnt vmcnt(56)
	v_fmac_f64_e32 v[36:37], v[28:29], v[164:165]
	v_add_f64 v[38:39], v[34:35], v[36:37]
	s_waitcnt lgkmcnt(0)
	v_mul_f64 v[40:41], v[30:31], v[140:141]
	ds_read_b128 v[34:37], v1 offset:1168
	v_fmac_f64_e32 v[40:41], v[32:33], v[142:143]
	v_add_f64 v[42:43], v[38:39], v[40:41]
	ds_read_b128 v[38:41], v1 offset:1184
	v_mul_f64 v[112:113], v[112:113], v[240:241]
	s_waitcnt vmcnt(50) lgkmcnt(1)
	v_mul_f64 v[44:45], v[34:35], v[168:169]
	s_waitcnt vmcnt(48)
	v_fmac_f64_e32 v[44:45], v[36:37], v[172:173]
	v_add_f64 v[46:47], v[42:43], v[44:45]
	s_waitcnt lgkmcnt(0)
	v_mul_f64 v[48:49], v[38:39], v[148:149]
	v_fmac_f64_e32 v[48:49], v[40:41], v[150:151]
	ds_read_b128 v[42:45], v1 offset:1200
	v_add_f64 v[50:51], v[46:47], v[48:49]
	ds_read_b128 v[46:49], v1 offset:1216
	buffer_load_dword v217, off, s[0:3], 0 offset:684
	buffer_load_dword v219, off, s[0:3], 0 offset:668
	;; [unrolled: 1-line block ×12, first 2 shown]
	v_fma_f64 v[252:253], v[110:111], v[242:243], -v[112:113]
	s_waitcnt vmcnt(54) lgkmcnt(1)
	v_mul_f64 v[52:53], v[42:43], v[176:177]
	s_waitcnt vmcnt(52)
	v_fmac_f64_e32 v[52:53], v[44:45], v[180:181]
	v_add_f64 v[54:55], v[50:51], v[52:53]
	ds_read_b128 v[50:53], v1 offset:1232
	s_waitcnt lgkmcnt(1)
	v_mul_f64 v[56:57], v[46:47], v[152:153]
	v_fmac_f64_e32 v[56:57], v[48:49], v[154:155]
	buffer_load_dword v231, off, s[0:3], 0 offset:716
	buffer_load_dword v230, off, s[0:3], 0 offset:712
	;; [unrolled: 1-line block ×12, first 2 shown]
	v_add_f64 v[58:59], v[54:55], v[56:57]
	ds_read_b128 v[54:57], v1 offset:1248
	s_waitcnt vmcnt(58) lgkmcnt(1)
	v_mul_f64 v[60:61], v[50:51], v[184:185]
	s_waitcnt vmcnt(56)
	v_fmac_f64_e32 v[60:61], v[52:53], v[188:189]
	v_add_f64 v[62:63], v[58:59], v[60:61]
	ds_read_b128 v[58:61], v1 offset:1264
	s_waitcnt lgkmcnt(1)
	v_mul_f64 v[64:65], v[54:55], v[156:157]
	v_fmac_f64_e32 v[64:65], v[56:57], v[158:159]
	v_add_f64 v[70:71], v[62:63], v[64:65]
	ds_read_b128 v[62:65], v1 offset:1280
	ds_read_b128 v[66:69], v1 offset:1296
	s_waitcnt vmcnt(50) lgkmcnt(2)
	v_mul_f64 v[72:73], v[58:59], v[192:193]
	s_waitcnt vmcnt(48)
	v_fmac_f64_e32 v[72:73], v[60:61], v[194:195]
	v_add_f64 v[70:71], v[70:71], v[72:73]
	s_waitcnt lgkmcnt(1)
	v_mul_f64 v[72:73], v[62:63], v[162:163]
	v_fmac_f64_e32 v[72:73], v[64:65], v[166:167]
	v_add_f64 v[70:71], v[70:71], v[72:73]
	s_waitcnt vmcnt(42) lgkmcnt(0)
	v_mul_f64 v[72:73], v[66:67], v[196:197]
	s_waitcnt vmcnt(40)
	v_fmac_f64_e32 v[72:73], v[68:69], v[198:199]
	v_add_f64 v[118:119], v[70:71], v[72:73]
	ds_read_b128 v[70:73], v1 offset:1312
	ds_read_b128 v[74:77], v1 offset:1328
	;; [unrolled: 1-line block ×5, first 2 shown]
	s_waitcnt lgkmcnt(4)
	v_mul_f64 v[84:85], v[70:71], v[170:171]
	v_fmac_f64_e32 v[84:85], v[72:73], v[174:175]
	v_add_f64 v[82:83], v[118:119], v[84:85]
	s_waitcnt vmcnt(34) lgkmcnt(3)
	v_mul_f64 v[84:85], v[74:75], v[200:201]
	s_waitcnt vmcnt(32)
	v_fmac_f64_e32 v[84:85], v[76:77], v[202:203]
	v_add_f64 v[82:83], v[82:83], v[84:85]
	v_fma_f64 v[118:119], v[86:87], v[250:251], -v[88:89]
	ds_read_b128 v[86:89], v1 offset:1376
	s_waitcnt lgkmcnt(3)
	v_mul_f64 v[84:85], v[78:79], v[178:179]
	v_fmac_f64_e32 v[84:85], v[80:81], v[182:183]
	v_add_f64 v[96:97], v[82:83], v[84:85]
	ds_read_b128 v[82:85], v1 offset:1360
	v_fma_f64 v[250:251], v[102:103], v[246:247], -v[104:105]
	ds_read_b128 v[110:113], v1 offset:1472
	v_add_f64 v[118:119], v[204:205], v[118:119]
	v_add_f64 v[118:119], v[118:119], v[208:209]
	s_waitcnt vmcnt(26) lgkmcnt(1)
	v_mul_f64 v[94:95], v[82:83], v[212:213]
	s_waitcnt vmcnt(24)
	v_fmac_f64_e32 v[94:95], v[84:85], v[214:215]
	v_add_f64 v[94:95], v[96:97], v[94:95]
	v_mul_f64 v[96:97], v[86:87], v[186:187]
	v_fmac_f64_e32 v[96:97], v[88:89], v[190:191]
	v_add_f64 v[106:107], v[94:95], v[96:97]
	ds_read_b128 v[94:97], v1 offset:1408
	v_add_f64 v[254:255], v[118:119], v[210:211]
	v_add_f64 v[118:119], v[254:255], v[250:251]
	v_mul_f64 v[4:5], v[4:5], v[120:121]
	v_add_f64 v[118:119], v[118:119], v[252:253]
	ds_read_b128 v[102:105], v1 offset:1456
	v_fma_f64 v[2:3], v[2:3], v[126:127], -v[4:5]
	v_mul_f64 v[4:5], v[8:9], v[122:123]
	v_add_f64 v[2:3], v[118:119], v[2:3]
	v_fma_f64 v[4:5], v[6:7], v[124:125], -v[4:5]
	v_add_f64 v[2:3], v[2:3], v[4:5]
	v_mul_f64 v[4:5], v[12:13], v[132:133]
	v_fma_f64 v[4:5], v[10:11], v[134:135], -v[4:5]
	v_add_f64 v[2:3], v[2:3], v[4:5]
	v_mul_f64 v[4:5], v[16:17], v[128:129]
	s_waitcnt vmcnt(21)
	v_mul_f64 v[108:109], v[90:91], v[218:219]
	v_fma_f64 v[4:5], v[14:15], v[130:131], -v[4:5]
	s_waitcnt vmcnt(19)
	v_fmac_f64_e32 v[108:109], v[92:93], v[224:225]
	v_add_f64 v[106:107], v[106:107], v[108:109]
	s_waitcnt vmcnt(18) lgkmcnt(1)
	v_mul_f64 v[108:109], v[94:95], v[216:217]
	s_waitcnt vmcnt(16)
	v_fmac_f64_e32 v[108:109], v[96:97], v[222:223]
	v_add_f64 v[114:115], v[106:107], v[108:109]
	ds_read_b128 v[106:109], v1 offset:1440
	buffer_load_dword v243, off, s[0:3], 0 offset:764
	buffer_load_dword v242, off, s[0:3], 0 offset:760
	;; [unrolled: 1-line block ×4, first 2 shown]
	s_waitcnt vmcnt(18)
	v_mul_f64 v[116:117], v[98:99], v[220:221]
	s_waitcnt vmcnt(16)
	v_fmac_f64_e32 v[116:117], v[100:101], v[226:227]
	v_add_f64 v[114:115], v[114:115], v[116:117]
	s_waitcnt vmcnt(14) lgkmcnt(0)
	v_mul_f64 v[116:117], v[106:107], v[230:231]
	s_waitcnt vmcnt(12)
	v_fmac_f64_e32 v[116:117], v[108:109], v[232:233]
	v_add_f64 v[114:115], v[114:115], v[116:117]
	s_waitcnt vmcnt(9)
	v_mul_f64 v[116:117], v[102:103], v[236:237]
	s_waitcnt vmcnt(7)
	v_fmac_f64_e32 v[116:117], v[104:105], v[238:239]
	v_add_f64 v[114:115], v[114:115], v[116:117]
	s_waitcnt vmcnt(5)
	v_mul_f64 v[116:117], v[110:111], v[228:229]
	s_waitcnt vmcnt(4)
	v_fmac_f64_e32 v[116:117], v[112:113], v[234:235]
	v_add_f64 v[240:241], v[114:115], v[116:117]
	ds_read_b128 v[114:117], v1 offset:1488
	v_add_f64 v[2:3], v[2:3], v[4:5]
	v_mul_f64 v[4:5], v[20:21], v[144:145]
	v_fma_f64 v[4:5], v[18:19], v[146:147], -v[4:5]
	v_add_f64 v[2:3], v[2:3], v[4:5]
	v_mul_f64 v[4:5], v[24:25], v[136:137]
	v_fma_f64 v[4:5], v[22:23], v[138:139], -v[4:5]
	;; [unrolled: 3-line block ×21, first 2 shown]
	v_add_f64 v[2:3], v[2:3], v[4:5]
	s_waitcnt vmcnt(2) lgkmcnt(0)
	v_mul_f64 v[246:247], v[114:115], v[242:243]
	v_mul_f64 v[4:5], v[108:109], v[230:231]
	s_waitcnt vmcnt(0)
	v_fmac_f64_e32 v[246:247], v[116:117], v[244:245]
	v_add_f64 v[240:241], v[240:241], v[246:247]
	buffer_load_dword v248, off, s[0:3], 0 offset:176
	buffer_load_dword v249, off, s[0:3], 0 offset:180
	;; [unrolled: 1-line block ×4, first 2 shown]
	v_fma_f64 v[4:5], v[106:107], v[232:233], -v[4:5]
	v_add_f64 v[2:3], v[2:3], v[4:5]
	v_mul_f64 v[4:5], v[104:105], v[236:237]
	v_fma_f64 v[4:5], v[102:103], v[238:239], -v[4:5]
	v_add_f64 v[2:3], v[2:3], v[4:5]
	v_mul_f64 v[4:5], v[112:113], v[228:229]
	v_fma_f64 v[4:5], v[110:111], v[234:235], -v[4:5]
	v_add_f64 v[2:3], v[2:3], v[4:5]
	v_mul_f64 v[4:5], v[116:117], v[242:243]
	v_fma_f64 v[4:5], v[114:115], v[244:245], -v[4:5]
	v_add_f64 v[2:3], v[2:3], v[4:5]
	v_accvgpr_read_b32 v254, a140
	v_cmp_lt_u32_e32 vcc, 9, v254
	s_waitcnt vmcnt(2)
	v_add_f64 v[2:3], v[248:249], -v[2:3]
	s_waitcnt vmcnt(0)
	v_add_f64 v[4:5], v[246:247], -v[240:241]
	buffer_store_dword v3, off, s[0:3], 0 offset:180
	buffer_store_dword v2, off, s[0:3], 0 offset:176
	buffer_store_dword v5, off, s[0:3], 0 offset:188
	buffer_store_dword v4, off, s[0:3], 0 offset:184
	s_and_saveexec_b64 s[4:5], vcc
	s_cbranch_execz .LBB46_277
; %bb.276:
	v_accvgpr_read_b32 v0, a131
	buffer_load_dword v2, v0, s[0:3], 0 offen
	buffer_load_dword v3, v0, s[0:3], 0 offen offset:4
	buffer_load_dword v4, v0, s[0:3], 0 offen offset:8
	;; [unrolled: 1-line block ×3, first 2 shown]
	v_mov_b32_e32 v0, 0
	v_accvgpr_read_b32 v1, a141
	buffer_store_dword v0, off, s[0:3], 0 offset:160
	buffer_store_dword v0, off, s[0:3], 0 offset:164
	;; [unrolled: 1-line block ×4, first 2 shown]
	s_waitcnt vmcnt(4)
	ds_write_b128 v1, v[2:5]
.LBB46_277:
	s_or_b64 exec, exec, s[4:5]
	s_waitcnt lgkmcnt(0)
	; wave barrier
	s_waitcnt lgkmcnt(0)
	buffer_load_dword v66, off, s[0:3], 0 offset:176
	buffer_load_dword v67, off, s[0:3], 0 offset:180
	;; [unrolled: 1-line block ×55, first 2 shown]
	v_mov_b32_e32 v1, 0
	ds_read_b128 v[74:77], v1 offset:912
	ds_read_b128 v[86:89], v1 offset:928
	;; [unrolled: 1-line block ×9, first 2 shown]
	buffer_load_dword v138, off, s[0:3], 0 offset:400
	buffer_load_dword v157, off, s[0:3], 0 offset:396
	;; [unrolled: 1-line block ×61, first 2 shown]
	v_cmp_lt_u32_e32 vcc, 8, v254
	s_waitcnt vmcnt(62) lgkmcnt(8)
	v_mul_f64 v[6:7], v[74:75], v[68:69]
	v_fmac_f64_e32 v[6:7], v[76:77], v[66:67]
	v_add_f64 v[6:7], v[6:7], 0
	v_mul_f64 v[68:69], v[76:77], v[68:69]
	s_waitcnt lgkmcnt(7)
	v_mul_f64 v[8:9], v[86:87], v[72:73]
	v_fmac_f64_e32 v[8:9], v[88:89], v[70:71]
	s_waitcnt lgkmcnt(6)
	v_mul_f64 v[10:11], v[98:99], v[78:79]
	v_add_f64 v[6:7], v[6:7], v[8:9]
	s_waitcnt lgkmcnt(4)
	v_mul_f64 v[14:15], v[114:115], v[90:91]
	v_fma_f64 v[204:205], v[74:75], v[66:67], -v[68:69]
	v_fmac_f64_e32 v[14:15], v[116:117], v[92:93]
	v_mul_f64 v[72:73], v[88:89], v[72:73]
	v_mul_f64 v[12:13], v[110:111], v[82:83]
	;; [unrolled: 1-line block ×3, first 2 shown]
	s_waitcnt lgkmcnt(2)
	v_mul_f64 v[18:19], v[244:245], v[102:103]
	v_mul_f64 v[82:83], v[112:113], v[82:83]
	;; [unrolled: 1-line block ×4, first 2 shown]
	v_fma_f64 v[210:211], v[114:115], v[92:93], -v[90:91]
	s_waitcnt lgkmcnt(1)
	v_mul_f64 v[20:21], v[248:249], v[106:107]
	v_fmac_f64_e32 v[20:21], v[250:251], v[108:109]
	v_fmac_f64_e32 v[10:11], v[100:101], v[80:81]
	v_add_f64 v[6:7], v[6:7], v[10:11]
	v_fmac_f64_e32 v[12:13], v[112:113], v[84:85]
	v_add_f64 v[6:7], v[6:7], v[12:13]
	;; [unrolled: 2-line block ×4, first 2 shown]
	v_add_f64 v[6:7], v[6:7], v[18:19]
	v_add_f64 v[10:11], v[6:7], v[20:21]
	ds_read_b128 v[6:9], v1 offset:1056
	s_waitcnt lgkmcnt(1)
	v_mul_f64 v[12:13], v[2:3], v[120:121]
	v_fmac_f64_e32 v[12:13], v[4:5], v[122:123]
	v_add_f64 v[14:15], v[10:11], v[12:13]
	ds_read_b128 v[10:13], v1 offset:1072
	s_waitcnt lgkmcnt(1)
	v_mul_f64 v[16:17], v[6:7], v[128:129]
	v_fmac_f64_e32 v[16:17], v[8:9], v[130:131]
	;; [unrolled: 5-line block ×5, first 2 shown]
	v_add_f64 v[30:31], v[26:27], v[28:29]
	ds_read_b128 v[26:29], v1 offset:1136
	s_waitcnt vmcnt(58) lgkmcnt(1)
	v_mul_f64 v[32:33], v[22:23], v[156:157]
	s_waitcnt vmcnt(56)
	v_fmac_f64_e32 v[32:33], v[24:25], v[160:161]
	v_add_f64 v[34:35], v[30:31], v[32:33]
	ds_read_b128 v[30:33], v1 offset:1152
	s_waitcnt lgkmcnt(1)
	v_mul_f64 v[36:37], v[26:27], v[136:137]
	v_fmac_f64_e32 v[36:37], v[28:29], v[138:139]
	v_add_f64 v[38:39], v[34:35], v[36:37]
	ds_read_b128 v[34:37], v1 offset:1168
	s_waitcnt vmcnt(50) lgkmcnt(1)
	v_mul_f64 v[40:41], v[30:31], v[164:165]
	s_waitcnt vmcnt(48)
	v_fmac_f64_e32 v[40:41], v[32:33], v[168:169]
	v_add_f64 v[42:43], v[38:39], v[40:41]
	ds_read_b128 v[38:41], v1 offset:1184
	s_waitcnt lgkmcnt(1)
	v_mul_f64 v[44:45], v[34:35], v[144:145]
	v_fmac_f64_e32 v[44:45], v[36:37], v[146:147]
	v_add_f64 v[46:47], v[42:43], v[44:45]
	ds_read_b128 v[42:45], v1 offset:1200
	s_waitcnt vmcnt(42) lgkmcnt(1)
	v_mul_f64 v[48:49], v[38:39], v[172:173]
	s_waitcnt vmcnt(40)
	v_fmac_f64_e32 v[48:49], v[40:41], v[176:177]
	v_add_f64 v[50:51], v[46:47], v[48:49]
	ds_read_b128 v[46:49], v1 offset:1216
	buffer_load_dword v213, off, s[0:3], 0 offset:652
	buffer_load_dword v212, off, s[0:3], 0 offset:648
	;; [unrolled: 1-line block ×4, first 2 shown]
	s_waitcnt lgkmcnt(1)
	v_mul_f64 v[52:53], v[42:43], v[148:149]
	v_fmac_f64_e32 v[52:53], v[44:45], v[150:151]
	v_add_f64 v[54:55], v[50:51], v[52:53]
	ds_read_b128 v[50:53], v1 offset:1232
	buffer_load_dword v217, off, s[0:3], 0 offset:668
	buffer_load_dword v216, off, s[0:3], 0 offset:664
	;; [unrolled: 1-line block ×8, first 2 shown]
	s_waitcnt vmcnt(46) lgkmcnt(1)
	v_mul_f64 v[56:57], v[46:47], v[180:181]
	s_waitcnt vmcnt(44)
	v_fmac_f64_e32 v[56:57], v[48:49], v[184:185]
	v_add_f64 v[58:59], v[54:55], v[56:57]
	ds_read_b128 v[54:57], v1 offset:1248
	buffer_load_dword v227, off, s[0:3], 0 offset:700
	buffer_load_dword v226, off, s[0:3], 0 offset:696
	;; [unrolled: 1-line block ×12, first 2 shown]
	s_waitcnt lgkmcnt(1)
	v_mul_f64 v[60:61], v[50:51], v[152:153]
	v_fmac_f64_e32 v[60:61], v[52:53], v[154:155]
	v_add_f64 v[62:63], v[58:59], v[60:61]
	ds_read_b128 v[58:61], v1 offset:1264
	s_waitcnt vmcnt(50) lgkmcnt(1)
	v_mul_f64 v[64:65], v[54:55], v[188:189]
	s_waitcnt vmcnt(48)
	v_fmac_f64_e32 v[64:65], v[56:57], v[190:191]
	v_add_f64 v[62:63], v[62:63], v[64:65]
	buffer_load_dword v237, off, s[0:3], 0 offset:748
	buffer_load_dword v236, off, s[0:3], 0 offset:744
	;; [unrolled: 1-line block ×4, first 2 shown]
	s_waitcnt lgkmcnt(0)
	v_mul_f64 v[64:65], v[58:59], v[158:159]
	v_fmac_f64_e32 v[64:65], v[60:61], v[162:163]
	v_add_f64 v[118:119], v[62:63], v[64:65]
	ds_read_b128 v[62:65], v1 offset:1280
	ds_read_b128 v[66:69], v1 offset:1296
	v_fma_f64 v[206:207], v[98:99], v[80:81], -v[78:79]
	ds_read_b128 v[78:81], v1 offset:1344
	v_fma_f64 v[208:209], v[110:111], v[84:85], -v[82:83]
	ds_read_b128 v[82:85], v1 offset:1360
	s_waitcnt vmcnt(46) lgkmcnt(3)
	v_mul_f64 v[74:75], v[62:63], v[192:193]
	s_waitcnt vmcnt(44)
	v_fmac_f64_e32 v[74:75], v[64:65], v[194:195]
	v_add_f64 v[74:75], v[118:119], v[74:75]
	v_fma_f64 v[118:119], v[86:87], v[70:71], -v[72:73]
	ds_read_b128 v[70:73], v1 offset:1312
	s_waitcnt lgkmcnt(3)
	v_mul_f64 v[76:77], v[66:67], v[166:167]
	v_fmac_f64_e32 v[76:77], v[68:69], v[170:171]
	v_add_f64 v[86:87], v[74:75], v[76:77]
	ds_read_b128 v[74:77], v1 offset:1328
	s_waitcnt vmcnt(38) lgkmcnt(1)
	v_mul_f64 v[88:89], v[70:71], v[196:197]
	s_waitcnt vmcnt(36)
	v_fmac_f64_e32 v[88:89], v[72:73], v[198:199]
	v_add_f64 v[86:87], v[86:87], v[88:89]
	ds_read_b128 v[90:93], v1 offset:1392
	s_waitcnt lgkmcnt(1)
	v_mul_f64 v[88:89], v[74:75], v[174:175]
	v_fmac_f64_e32 v[88:89], v[76:77], v[178:179]
	v_add_f64 v[86:87], v[86:87], v[88:89]
	s_waitcnt vmcnt(30)
	v_mul_f64 v[88:89], v[78:79], v[200:201]
	s_waitcnt vmcnt(28)
	v_fmac_f64_e32 v[88:89], v[80:81], v[202:203]
	v_add_f64 v[86:87], v[86:87], v[88:89]
	v_mul_f64 v[88:89], v[82:83], v[182:183]
	v_fmac_f64_e32 v[88:89], v[84:85], v[186:187]
	v_add_f64 v[98:99], v[86:87], v[88:89]
	ds_read_b128 v[86:89], v1 offset:1376
	v_mul_f64 v[94:95], v[242:243], v[94:95]
	v_fma_f64 v[252:253], v[240:241], v[96:97], -v[94:95]
	ds_read_b128 v[94:97], v1 offset:1408
	v_mul_f64 v[102:103], v[246:247], v[102:103]
	v_fma_f64 v[246:247], v[244:245], v[104:105], -v[102:103]
	;; [unrolled: 3-line block ×3, first 2 shown]
	v_add_f64 v[204:205], v[204:205], 0
	v_add_f64 v[118:119], v[204:205], v[118:119]
	;; [unrolled: 1-line block ×7, first 2 shown]
	v_mul_f64 v[4:5], v[4:5], v[120:121]
	v_add_f64 v[118:119], v[252:253], v[250:251]
	v_fma_f64 v[2:3], v[2:3], v[122:123], -v[4:5]
	v_mul_f64 v[4:5], v[8:9], v[128:129]
	v_add_f64 v[2:3], v[118:119], v[2:3]
	v_fma_f64 v[4:5], v[6:7], v[130:131], -v[4:5]
	v_add_f64 v[2:3], v[2:3], v[4:5]
	ds_read_b128 v[106:109], v1 offset:1456
	v_mul_f64 v[4:5], v[12:13], v[124:125]
	v_fma_f64 v[4:5], v[10:11], v[126:127], -v[4:5]
	v_add_f64 v[2:3], v[2:3], v[4:5]
	s_waitcnt vmcnt(26) lgkmcnt(3)
	v_mul_f64 v[100:101], v[86:87], v[212:213]
	v_mul_f64 v[4:5], v[16:17], v[140:141]
	s_waitcnt vmcnt(24)
	v_fmac_f64_e32 v[100:101], v[88:89], v[214:215]
	v_add_f64 v[98:99], v[98:99], v[100:101]
	s_waitcnt vmcnt(22)
	v_mul_f64 v[100:101], v[90:91], v[216:217]
	s_waitcnt vmcnt(20)
	v_fmac_f64_e32 v[100:101], v[92:93], v[220:221]
	v_add_f64 v[98:99], v[98:99], v[100:101]
	s_waitcnt vmcnt(18) lgkmcnt(2)
	v_mul_f64 v[100:101], v[94:95], v[218:219]
	s_waitcnt vmcnt(16)
	v_fmac_f64_e32 v[100:101], v[96:97], v[222:223]
	v_add_f64 v[110:111], v[98:99], v[100:101]
	ds_read_b128 v[98:101], v1 offset:1424
	v_fma_f64 v[4:5], v[14:15], v[142:143], -v[4:5]
	v_add_f64 v[2:3], v[2:3], v[4:5]
	v_mul_f64 v[4:5], v[20:21], v[132:133]
	v_fma_f64 v[4:5], v[18:19], v[134:135], -v[4:5]
	s_waitcnt vmcnt(14) lgkmcnt(0)
	v_mul_f64 v[112:113], v[98:99], v[226:227]
	s_waitcnt vmcnt(12)
	v_fmac_f64_e32 v[112:113], v[100:101], v[228:229]
	v_add_f64 v[110:111], v[110:111], v[112:113]
	s_waitcnt vmcnt(9)
	v_mul_f64 v[112:113], v[102:103], v[232:233]
	s_waitcnt vmcnt(7)
	v_fmac_f64_e32 v[112:113], v[104:105], v[234:235]
	v_add_f64 v[110:111], v[110:111], v[112:113]
	s_waitcnt vmcnt(5)
	v_mul_f64 v[112:113], v[106:107], v[224:225]
	s_waitcnt vmcnt(4)
	v_fmac_f64_e32 v[112:113], v[108:109], v[230:231]
	v_add_f64 v[114:115], v[110:111], v[112:113]
	ds_read_b128 v[110:113], v1 offset:1472
	buffer_load_dword v242, off, s[0:3], 0 offset:760
	buffer_load_dword v243, off, s[0:3], 0 offset:764
	;; [unrolled: 1-line block ×4, first 2 shown]
	v_add_f64 v[2:3], v[2:3], v[4:5]
	v_mul_f64 v[4:5], v[24:25], v[156:157]
	v_fma_f64 v[4:5], v[22:23], v[160:161], -v[4:5]
	s_waitcnt vmcnt(6) lgkmcnt(0)
	v_mul_f64 v[116:117], v[110:111], v[236:237]
	s_waitcnt vmcnt(4)
	v_fmac_f64_e32 v[116:117], v[112:113], v[238:239]
	v_add_f64 v[240:241], v[114:115], v[116:117]
	ds_read_b128 v[114:117], v1 offset:1488
	v_add_f64 v[2:3], v[2:3], v[4:5]
	v_mul_f64 v[4:5], v[28:29], v[136:137]
	v_fma_f64 v[4:5], v[26:27], v[138:139], -v[4:5]
	v_add_f64 v[2:3], v[2:3], v[4:5]
	v_mul_f64 v[4:5], v[32:33], v[164:165]
	v_fma_f64 v[4:5], v[30:31], v[168:169], -v[4:5]
	;; [unrolled: 3-line block ×22, first 2 shown]
	v_add_f64 v[2:3], v[2:3], v[4:5]
	s_waitcnt vmcnt(2) lgkmcnt(0)
	v_mul_f64 v[248:249], v[114:115], v[242:243]
	v_mul_f64 v[4:5], v[116:117], v[242:243]
	s_waitcnt vmcnt(0)
	v_fmac_f64_e32 v[248:249], v[116:117], v[244:245]
	v_add_f64 v[240:241], v[240:241], v[248:249]
	buffer_load_dword v248, off, s[0:3], 0 offset:160
	buffer_load_dword v249, off, s[0:3], 0 offset:164
	;; [unrolled: 1-line block ×4, first 2 shown]
	v_fma_f64 v[4:5], v[114:115], v[244:245], -v[4:5]
	v_add_f64 v[2:3], v[2:3], v[4:5]
	s_waitcnt vmcnt(2)
	v_add_f64 v[2:3], v[248:249], -v[2:3]
	s_waitcnt vmcnt(0)
	v_add_f64 v[4:5], v[246:247], -v[240:241]
	buffer_store_dword v3, off, s[0:3], 0 offset:164
	buffer_store_dword v2, off, s[0:3], 0 offset:160
	;; [unrolled: 1-line block ×4, first 2 shown]
	s_and_saveexec_b64 s[4:5], vcc
	s_cbranch_execz .LBB46_279
; %bb.278:
	v_accvgpr_read_b32 v0, a132
	buffer_load_dword v2, v0, s[0:3], 0 offen
	buffer_load_dword v3, v0, s[0:3], 0 offen offset:4
	buffer_load_dword v4, v0, s[0:3], 0 offen offset:8
	buffer_load_dword v5, v0, s[0:3], 0 offen offset:12
	v_accvgpr_read_b32 v0, a141
	buffer_store_dword v1, off, s[0:3], 0 offset:144
	buffer_store_dword v1, off, s[0:3], 0 offset:148
	;; [unrolled: 1-line block ×4, first 2 shown]
	s_waitcnt vmcnt(4)
	ds_write_b128 v0, v[2:5]
.LBB46_279:
	s_or_b64 exec, exec, s[4:5]
	s_waitcnt lgkmcnt(0)
	; wave barrier
	s_waitcnt lgkmcnt(0)
	buffer_load_dword v66, off, s[0:3], 0 offset:160
	buffer_load_dword v67, off, s[0:3], 0 offset:164
	;; [unrolled: 1-line block ×42, first 2 shown]
	ds_read_b128 v[78:81], v1 offset:896
	ds_read_b128 v[90:93], v1 offset:912
	;; [unrolled: 1-line block ×10, first 2 shown]
	buffer_load_dword v131, off, s[0:3], 0 offset:308
	buffer_load_dword v130, off, s[0:3], 0 offset:304
	ds_read_b128 v[6:9], v1 offset:1056
	buffer_load_dword v127, off, s[0:3], 0 offset:364
	buffer_load_dword v126, off, s[0:3], 0 offset:360
	;; [unrolled: 1-line block ×80, first 2 shown]
	s_waitcnt vmcnt(62) lgkmcnt(10)
	v_mul_f64 v[10:11], v[78:79], v[68:69]
	v_fmac_f64_e32 v[10:11], v[80:81], v[66:67]
	v_add_f64 v[10:11], v[10:11], 0
	v_mul_f64 v[68:69], v[80:81], v[68:69]
	s_waitcnt lgkmcnt(9)
	v_mul_f64 v[12:13], v[90:91], v[64:65]
	v_fmac_f64_e32 v[12:13], v[92:93], v[62:63]
	s_waitcnt lgkmcnt(8)
	v_mul_f64 v[14:15], v[102:103], v[70:71]
	v_add_f64 v[10:11], v[10:11], v[12:13]
	s_waitcnt lgkmcnt(6)
	v_mul_f64 v[18:19], v[114:115], v[82:83]
	v_mul_f64 v[64:65], v[92:93], v[64:65]
	v_fmac_f64_e32 v[18:19], v[116:117], v[84:85]
	v_fma_f64 v[206:207], v[90:91], v[62:63], -v[64:65]
	v_mul_f64 v[16:17], v[110:111], v[74:75]
	v_fma_f64 v[204:205], v[78:79], v[66:67], -v[68:69]
	s_waitcnt lgkmcnt(4)
	v_mul_f64 v[22:23], v[244:245], v[94:95]
	v_mul_f64 v[70:71], v[104:105], v[70:71]
	v_fmac_f64_e32 v[22:23], v[246:247], v[96:97]
	v_mul_f64 v[74:75], v[112:113], v[74:75]
	v_mul_f64 v[20:21], v[240:241], v[86:87]
	;; [unrolled: 1-line block ×3, first 2 shown]
	s_waitcnt lgkmcnt(2)
	v_mul_f64 v[26:27], v[252:253], v[106:107]
	v_fma_f64 v[210:211], v[114:115], v[84:85], -v[82:83]
	v_mul_f64 v[86:87], v[242:243], v[86:87]
	v_mul_f64 v[24:25], v[248:249], v[98:99]
	;; [unrolled: 1-line block ×3, first 2 shown]
	s_waitcnt lgkmcnt(1)
	v_mul_f64 v[28:29], v[120:121], v[4:5]
	v_fma_f64 v[246:247], v[244:245], v[96:97], -v[94:95]
	v_fmac_f64_e32 v[14:15], v[104:105], v[72:73]
	v_add_f64 v[10:11], v[10:11], v[14:15]
	v_fmac_f64_e32 v[16:17], v[112:113], v[76:77]
	v_add_f64 v[10:11], v[10:11], v[16:17]
	;; [unrolled: 2-line block ×3, first 2 shown]
	v_add_f64 v[10:11], v[10:11], v[20:21]
	v_fmac_f64_e32 v[24:25], v[250:251], v[100:101]
	v_add_f64 v[10:11], v[10:11], v[22:23]
	v_fmac_f64_e32 v[26:27], v[254:255], v[108:109]
	v_add_f64 v[10:11], v[10:11], v[24:25]
	v_add_f64 v[10:11], v[10:11], v[26:27]
	s_waitcnt lgkmcnt(0)
	v_mul_f64 v[16:17], v[6:7], v[2:3]
	v_fmac_f64_e32 v[28:29], v[122:123], v[130:131]
	v_add_f64 v[14:15], v[10:11], v[28:29]
	ds_read_b128 v[10:13], v1 offset:1072
	v_fmac_f64_e32 v[16:17], v[8:9], v[124:125]
	v_add_f64 v[18:19], v[14:15], v[16:17]
	ds_read_b128 v[14:17], v1 offset:1088
	v_fma_f64 v[208:209], v[110:111], v[76:77], -v[74:75]
	s_waitcnt lgkmcnt(1)
	v_mul_f64 v[20:21], v[10:11], v[132:133]
	v_fmac_f64_e32 v[20:21], v[12:13], v[148:149]
	v_add_f64 v[22:23], v[18:19], v[20:21]
	ds_read_b128 v[18:21], v1 offset:1104
	s_waitcnt lgkmcnt(1)
	v_mul_f64 v[24:25], v[14:15], v[126:127]
	v_fmac_f64_e32 v[24:25], v[16:17], v[128:129]
	v_add_f64 v[26:27], v[22:23], v[24:25]
	ds_read_b128 v[22:25], v1 offset:1120
	;; [unrolled: 5-line block ×4, first 2 shown]
	s_waitcnt vmcnt(58) lgkmcnt(1)
	v_mul_f64 v[36:37], v[26:27], v[160:161]
	s_waitcnt vmcnt(56)
	v_fmac_f64_e32 v[36:37], v[28:29], v[164:165]
	v_add_f64 v[38:39], v[34:35], v[36:37]
	ds_read_b128 v[34:37], v1 offset:1168
	s_waitcnt lgkmcnt(1)
	v_mul_f64 v[40:41], v[30:31], v[138:139]
	v_fmac_f64_e32 v[40:41], v[32:33], v[140:141]
	v_add_f64 v[42:43], v[38:39], v[40:41]
	ds_read_b128 v[38:41], v1 offset:1184
	s_waitcnt vmcnt(50) lgkmcnt(1)
	v_mul_f64 v[44:45], v[34:35], v[168:169]
	s_waitcnt vmcnt(48)
	v_fmac_f64_e32 v[44:45], v[36:37], v[172:173]
	v_add_f64 v[46:47], v[42:43], v[44:45]
	ds_read_b128 v[42:45], v1 offset:1200
	s_waitcnt lgkmcnt(1)
	v_mul_f64 v[48:49], v[38:39], v[142:143]
	v_fmac_f64_e32 v[48:49], v[40:41], v[144:145]
	v_add_f64 v[50:51], v[46:47], v[48:49]
	ds_read_b128 v[46:49], v1 offset:1216
	s_waitcnt vmcnt(42) lgkmcnt(1)
	v_mul_f64 v[52:53], v[42:43], v[176:177]
	s_waitcnt vmcnt(40)
	v_fmac_f64_e32 v[52:53], v[44:45], v[180:181]
	v_add_f64 v[54:55], v[50:51], v[52:53]
	ds_read_b128 v[50:53], v1 offset:1232
	s_waitcnt lgkmcnt(1)
	v_mul_f64 v[56:57], v[46:47], v[146:147]
	buffer_load_dword v217, off, s[0:3], 0 offset:668
	buffer_load_dword v216, off, s[0:3], 0 offset:664
	;; [unrolled: 1-line block ×4, first 2 shown]
	v_fmac_f64_e32 v[56:57], v[48:49], v[150:151]
	v_add_f64 v[58:59], v[54:55], v[56:57]
	ds_read_b128 v[54:57], v1 offset:1248
	buffer_load_dword v222, off, s[0:3], 0 offset:680
	buffer_load_dword v224, off, s[0:3], 0 offset:672
	;; [unrolled: 1-line block ×16, first 2 shown]
	s_waitcnt vmcnt(54) lgkmcnt(1)
	v_mul_f64 v[60:61], v[50:51], v[184:185]
	s_waitcnt vmcnt(52)
	v_fmac_f64_e32 v[60:61], v[52:53], v[188:189]
	v_add_f64 v[118:119], v[58:59], v[60:61]
	ds_read_b128 v[58:61], v1 offset:1264
	buffer_load_dword v236, off, s[0:3], 0 offset:744
	buffer_load_dword v238, off, s[0:3], 0 offset:736
	;; [unrolled: 1-line block ×4, first 2 shown]
	ds_read_b128 v[62:65], v1 offset:1280
	s_waitcnt lgkmcnt(2)
	v_mul_f64 v[66:67], v[54:55], v[154:155]
	v_fmac_f64_e32 v[66:67], v[56:57], v[158:159]
	s_waitcnt vmcnt(50) lgkmcnt(1)
	v_mul_f64 v[68:69], v[58:59], v[192:193]
	v_add_f64 v[66:67], v[118:119], v[66:67]
	s_waitcnt vmcnt(48)
	v_fmac_f64_e32 v[68:69], v[60:61], v[194:195]
	v_add_f64 v[66:67], v[66:67], v[68:69]
	v_fma_f64 v[118:119], v[102:103], v[72:73], -v[70:71]
	ds_read_b128 v[70:73], v1 offset:1312
	s_waitcnt lgkmcnt(1)
	v_mul_f64 v[68:69], v[62:63], v[162:163]
	v_fmac_f64_e32 v[68:69], v[64:65], v[166:167]
	v_add_f64 v[78:79], v[66:67], v[68:69]
	ds_read_b128 v[66:69], v1 offset:1296
	ds_read_b128 v[74:77], v1 offset:1328
	;; [unrolled: 1-line block ×3, first 2 shown]
	v_accvgpr_write_b32 a143, v3
	v_accvgpr_write_b32 a142, v2
	s_waitcnt vmcnt(42) lgkmcnt(2)
	v_mul_f64 v[80:81], v[66:67], v[196:197]
	s_waitcnt vmcnt(40)
	v_fmac_f64_e32 v[80:81], v[68:69], v[198:199]
	v_add_f64 v[78:79], v[78:79], v[80:81]
	v_mul_f64 v[80:81], v[70:71], v[170:171]
	v_fmac_f64_e32 v[80:81], v[72:73], v[174:175]
	v_add_f64 v[90:91], v[78:79], v[80:81]
	ds_read_b128 v[78:81], v1 offset:1344
	s_waitcnt vmcnt(34) lgkmcnt(2)
	v_mul_f64 v[92:93], v[74:75], v[200:201]
	s_waitcnt vmcnt(32)
	v_fmac_f64_e32 v[92:93], v[76:77], v[202:203]
	v_fma_f64 v[2:3], v[240:241], v[88:89], -v[86:87]
	ds_read_b128 v[86:89], v1 offset:1376
	ds_read_b128 v[94:97], v1 offset:1408
	v_add_f64 v[90:91], v[90:91], v[92:93]
	s_waitcnt lgkmcnt(2)
	v_mul_f64 v[92:93], v[78:79], v[178:179]
	v_fmac_f64_e32 v[92:93], v[80:81], v[182:183]
	v_add_f64 v[90:91], v[90:91], v[92:93]
	s_waitcnt vmcnt(26)
	v_mul_f64 v[92:93], v[82:83], v[212:213]
	s_waitcnt vmcnt(24)
	v_fmac_f64_e32 v[92:93], v[84:85], v[214:215]
	v_add_f64 v[90:91], v[90:91], v[92:93]
	s_waitcnt lgkmcnt(1)
	v_mul_f64 v[92:93], v[86:87], v[186:187]
	v_fmac_f64_e32 v[92:93], v[88:89], v[190:191]
	v_add_f64 v[102:103], v[90:91], v[92:93]
	ds_read_b128 v[90:93], v1 offset:1392
	v_mul_f64 v[98:99], v[250:251], v[98:99]
	v_fma_f64 v[250:251], v[248:249], v[100:101], -v[98:99]
	ds_read_b128 v[98:101], v1 offset:1424
	v_mul_f64 v[106:107], v[254:255], v[106:107]
	v_fma_f64 v[252:253], v[252:253], v[108:109], -v[106:107]
	v_add_f64 v[204:205], v[204:205], 0
	v_add_f64 v[204:205], v[204:205], v[206:207]
	;; [unrolled: 1-line block ×8, first 2 shown]
	v_mul_f64 v[4:5], v[122:123], v[4:5]
	v_add_f64 v[2:3], v[2:3], v[252:253]
	v_fma_f64 v[4:5], v[120:121], v[130:131], -v[4:5]
	v_add_f64 v[2:3], v[2:3], v[4:5]
	ds_read_b128 v[106:109], v1 offset:1456
	s_waitcnt vmcnt(13) lgkmcnt(1)
	v_mul_f64 v[112:113], v[98:99], v[226:227]
	v_mul_f64 v[104:105], v[90:91], v[216:217]
	s_waitcnt vmcnt(11)
	v_fmac_f64_e32 v[112:113], v[100:101], v[232:233]
	v_fmac_f64_e32 v[104:105], v[92:93], v[218:219]
	v_add_f64 v[102:103], v[102:103], v[104:105]
	v_mul_f64 v[104:105], v[94:95], v[222:223]
	v_fmac_f64_e32 v[104:105], v[96:97], v[224:225]
	v_add_f64 v[110:111], v[102:103], v[104:105]
	ds_read_b128 v[102:105], v1 offset:1440
	v_add_f64 v[110:111], v[110:111], v[112:113]
	s_waitcnt vmcnt(10) lgkmcnt(0)
	v_mul_f64 v[112:113], v[102:103], v[220:221]
	s_waitcnt vmcnt(8)
	v_fmac_f64_e32 v[112:113], v[104:105], v[230:231]
	v_add_f64 v[110:111], v[110:111], v[112:113]
	s_waitcnt vmcnt(6)
	v_mul_f64 v[112:113], v[106:107], v[228:229]
	s_waitcnt vmcnt(4)
	v_fmac_f64_e32 v[112:113], v[108:109], v[234:235]
	v_add_f64 v[114:115], v[110:111], v[112:113]
	ds_read_b128 v[110:113], v1 offset:1472
	buffer_load_dword v243, off, s[0:3], 0 offset:764
	buffer_load_dword v242, off, s[0:3], 0 offset:760
	;; [unrolled: 1-line block ×4, first 2 shown]
	s_waitcnt vmcnt(5) lgkmcnt(0)
	v_mul_f64 v[116:117], v[110:111], v[236:237]
	s_waitcnt vmcnt(4)
	v_fmac_f64_e32 v[116:117], v[112:113], v[238:239]
	v_add_f64 v[240:241], v[114:115], v[116:117]
	ds_read_b128 v[114:117], v1 offset:1488
	v_accvgpr_read_b32 v0, a142
	v_accvgpr_read_b32 v1, a143
	v_mul_f64 v[4:5], v[8:9], v[0:1]
	v_fma_f64 v[4:5], v[6:7], v[124:125], -v[4:5]
	v_add_f64 v[2:3], v[2:3], v[4:5]
	v_mul_f64 v[4:5], v[12:13], v[132:133]
	v_fma_f64 v[4:5], v[10:11], v[148:149], -v[4:5]
	v_add_f64 v[2:3], v[2:3], v[4:5]
	;; [unrolled: 3-line block ×22, first 2 shown]
	v_mul_f64 v[4:5], v[96:97], v[222:223]
	v_fma_f64 v[4:5], v[94:95], v[224:225], -v[4:5]
	s_waitcnt vmcnt(2) lgkmcnt(0)
	v_mul_f64 v[248:249], v[114:115], v[242:243]
	v_add_f64 v[2:3], v[2:3], v[4:5]
	s_waitcnt vmcnt(0)
	v_fmac_f64_e32 v[248:249], v[116:117], v[244:245]
	v_add_f64 v[240:241], v[240:241], v[248:249]
	buffer_load_dword v248, off, s[0:3], 0 offset:144
	buffer_load_dword v249, off, s[0:3], 0 offset:148
	buffer_load_dword v246, off, s[0:3], 0 offset:152
	buffer_load_dword v247, off, s[0:3], 0 offset:156
	v_mul_f64 v[4:5], v[100:101], v[226:227]
	v_fma_f64 v[4:5], v[98:99], v[232:233], -v[4:5]
	v_add_f64 v[2:3], v[2:3], v[4:5]
	v_mul_f64 v[4:5], v[104:105], v[220:221]
	v_fma_f64 v[4:5], v[102:103], v[230:231], -v[4:5]
	v_add_f64 v[2:3], v[2:3], v[4:5]
	;; [unrolled: 3-line block ×5, first 2 shown]
	v_accvgpr_read_b32 v0, a140
	v_cmp_lt_u32_e32 vcc, 7, v0
	s_waitcnt vmcnt(2)
	v_add_f64 v[2:3], v[248:249], -v[2:3]
	s_waitcnt vmcnt(0)
	v_add_f64 v[4:5], v[246:247], -v[240:241]
	buffer_store_dword v3, off, s[0:3], 0 offset:148
	buffer_store_dword v2, off, s[0:3], 0 offset:144
	;; [unrolled: 1-line block ×4, first 2 shown]
	s_and_saveexec_b64 s[4:5], vcc
	s_cbranch_execz .LBB46_281
; %bb.280:
	v_accvgpr_read_b32 v0, a133
	buffer_load_dword v2, v0, s[0:3], 0 offen
	buffer_load_dword v3, v0, s[0:3], 0 offen offset:4
	buffer_load_dword v4, v0, s[0:3], 0 offen offset:8
	buffer_load_dword v5, v0, s[0:3], 0 offen offset:12
	v_mov_b32_e32 v0, 0
	v_accvgpr_read_b32 v1, a141
	buffer_store_dword v0, off, s[0:3], 0 offset:128
	buffer_store_dword v0, off, s[0:3], 0 offset:132
	;; [unrolled: 1-line block ×4, first 2 shown]
	s_waitcnt vmcnt(4)
	ds_write_b128 v1, v[2:5]
.LBB46_281:
	s_or_b64 exec, exec, s[4:5]
	s_waitcnt lgkmcnt(0)
	; wave barrier
	s_waitcnt lgkmcnt(0)
	buffer_load_dword v54, off, s[0:3], 0 offset:144
	buffer_load_dword v55, off, s[0:3], 0 offset:148
	;; [unrolled: 1-line block ×49, first 2 shown]
	s_waitcnt vmcnt(8)
	v_accvgpr_write_b32 a143, v3
	s_waitcnt vmcnt(7)
	v_pk_mov_b32 v[4:5], v[0:1], v[0:1] op_sel:[0,1]
	v_mov_b32_e32 v1, 0
	ds_read_b128 v[62:65], v1 offset:880
	ds_read_b128 v[74:77], v1 offset:896
	;; [unrolled: 1-line block ×11, first 2 shown]
	s_waitcnt lgkmcnt(10)
	v_mul_f64 v[6:7], v[62:63], v[56:57]
	s_waitcnt lgkmcnt(9)
	v_mul_f64 v[8:9], v[74:75], v[60:61]
	v_fmac_f64_e32 v[6:7], v[64:65], v[54:55]
	s_waitcnt lgkmcnt(8)
	v_mul_f64 v[10:11], v[86:87], v[66:67]
	v_fmac_f64_e32 v[8:9], v[76:77], v[58:59]
	v_add_f64 v[6:7], v[6:7], 0
	s_waitcnt lgkmcnt(7)
	v_mul_f64 v[12:13], v[98:99], v[70:71]
	v_fmac_f64_e32 v[10:11], v[88:89], v[68:69]
	v_add_f64 v[6:7], v[6:7], v[8:9]
	;; [unrolled: 4-line block ×4, first 2 shown]
	buffer_load_dword v128, off, s[0:3], 0 offset:328
	buffer_load_dword v145, off, s[0:3], 0 offset:324
	;; [unrolled: 1-line block ×75, first 2 shown]
	s_waitcnt lgkmcnt(4)
	v_mul_f64 v[18:19], v[238:239], v[90:91]
	v_fmac_f64_e32 v[16:17], v[116:117], v[84:85]
	v_add_f64 v[6:7], v[6:7], v[14:15]
	s_waitcnt lgkmcnt(3)
	v_mul_f64 v[20:21], v[242:243], v[94:95]
	v_fmac_f64_e32 v[18:19], v[240:241], v[92:93]
	v_add_f64 v[6:7], v[6:7], v[16:17]
	;; [unrolled: 4-line block ×4, first 2 shown]
	v_add_f64 v[6:7], v[6:7], v[22:23]
	s_waitcnt vmcnt(62)
	v_fmac_f64_e32 v[24:25], v[252:253], v[108:109]
	v_add_f64 v[10:11], v[6:7], v[24:25]
	ds_read_b128 v[6:9], v1 offset:1056
	s_waitcnt lgkmcnt(1)
	v_mul_f64 v[12:13], v[120:121], v[4:5]
	v_fmac_f64_e32 v[12:13], v[122:123], v[2:3]
	v_add_f64 v[14:15], v[10:11], v[12:13]
	ds_read_b128 v[10:13], v1 offset:1072
	s_waitcnt lgkmcnt(1)
	v_mul_f64 v[16:17], v[6:7], v[128:129]
	;; [unrolled: 5-line block ×5, first 2 shown]
	v_fmac_f64_e32 v[28:29], v[20:21], v[132:133]
	v_add_f64 v[30:31], v[26:27], v[28:29]
	ds_read_b128 v[26:29], v1 offset:1136
	s_waitcnt vmcnt(58) lgkmcnt(1)
	v_mul_f64 v[32:33], v[22:23], v[156:157]
	s_waitcnt vmcnt(56)
	v_fmac_f64_e32 v[32:33], v[24:25], v[160:161]
	v_add_f64 v[34:35], v[30:31], v[32:33]
	ds_read_b128 v[30:33], v1 offset:1152
	s_waitcnt lgkmcnt(1)
	v_mul_f64 v[36:37], v[26:27], v[134:135]
	v_fmac_f64_e32 v[36:37], v[28:29], v[136:137]
	v_add_f64 v[38:39], v[34:35], v[36:37]
	ds_read_b128 v[34:37], v1 offset:1168
	s_waitcnt vmcnt(50) lgkmcnt(1)
	v_mul_f64 v[40:41], v[30:31], v[164:165]
	s_waitcnt vmcnt(48)
	v_fmac_f64_e32 v[40:41], v[32:33], v[168:169]
	v_add_f64 v[42:43], v[38:39], v[40:41]
	ds_read_b128 v[38:41], v1 offset:1184
	s_waitcnt lgkmcnt(1)
	v_mul_f64 v[44:45], v[34:35], v[138:139]
	;; [unrolled: 11-line block ×3, first 2 shown]
	buffer_load_dword v215, off, s[0:3], 0 offset:652
	buffer_load_dword v214, off, s[0:3], 0 offset:648
	;; [unrolled: 1-line block ×4, first 2 shown]
	v_fmac_f64_e32 v[52:53], v[44:45], v[146:147]
	v_add_f64 v[118:119], v[50:51], v[52:53]
	ds_read_b128 v[50:53], v1 offset:1232
	buffer_load_dword v218, off, s[0:3], 0 offset:664
	buffer_load_dword v220, off, s[0:3], 0 offset:656
	;; [unrolled: 1-line block ×20, first 2 shown]
	v_mul_f64 v[56:57], v[64:65], v[56:57]
	v_fma_f64 v[204:205], v[62:63], v[54:55], -v[56:57]
	ds_read_b128 v[54:57], v1 offset:1248
	v_mul_f64 v[60:61], v[76:77], v[60:61]
	v_fma_f64 v[206:207], v[74:75], v[58:59], -v[60:61]
	ds_read_b128 v[58:61], v1 offset:1264
	s_waitcnt vmcnt(58) lgkmcnt(3)
	v_mul_f64 v[202:203], v[46:47], v[180:181]
	s_waitcnt vmcnt(56)
	v_fmac_f64_e32 v[202:203], v[48:49], v[184:185]
	s_waitcnt lgkmcnt(2)
	v_mul_f64 v[62:63], v[50:51], v[150:151]
	v_add_f64 v[118:119], v[118:119], v[202:203]
	v_fmac_f64_e32 v[62:63], v[52:53], v[154:155]
	s_waitcnt vmcnt(50) lgkmcnt(1)
	v_mul_f64 v[64:65], v[54:55], v[188:189]
	v_add_f64 v[62:63], v[118:119], v[62:63]
	s_waitcnt vmcnt(48)
	v_fmac_f64_e32 v[64:65], v[56:57], v[190:191]
	v_add_f64 v[62:63], v[62:63], v[64:65]
	s_waitcnt lgkmcnt(0)
	v_mul_f64 v[64:65], v[58:59], v[158:159]
	v_fmac_f64_e32 v[64:65], v[60:61], v[162:163]
	v_add_f64 v[74:75], v[62:63], v[64:65]
	ds_read_b128 v[62:65], v1 offset:1280
	v_mul_f64 v[66:67], v[88:89], v[66:67]
	v_fma_f64 v[118:119], v[86:87], v[68:69], -v[66:67]
	ds_read_b128 v[66:69], v1 offset:1296
	v_mul_f64 v[70:71], v[100:101], v[70:71]
	s_waitcnt vmcnt(42) lgkmcnt(1)
	v_mul_f64 v[76:77], v[62:63], v[192:193]
	s_waitcnt vmcnt(40)
	v_fmac_f64_e32 v[76:77], v[64:65], v[194:195]
	v_add_f64 v[74:75], v[74:75], v[76:77]
	v_fma_f64 v[208:209], v[98:99], v[72:73], -v[70:71]
	ds_read_b128 v[70:73], v1 offset:1312
	s_waitcnt lgkmcnt(1)
	v_mul_f64 v[76:77], v[66:67], v[166:167]
	v_fmac_f64_e32 v[76:77], v[68:69], v[170:171]
	v_add_f64 v[86:87], v[74:75], v[76:77]
	ds_read_b128 v[74:77], v1 offset:1328
	v_mul_f64 v[78:79], v[112:113], v[78:79]
	v_fma_f64 v[210:211], v[110:111], v[80:81], -v[78:79]
	ds_read_b128 v[78:81], v1 offset:1344
	s_waitcnt vmcnt(34) lgkmcnt(2)
	v_mul_f64 v[88:89], v[70:71], v[196:197]
	v_mul_f64 v[82:83], v[116:117], v[82:83]
	s_waitcnt vmcnt(32)
	v_fmac_f64_e32 v[88:89], v[72:73], v[198:199]
	v_fma_f64 v[254:255], v[114:115], v[84:85], -v[82:83]
	ds_read_b128 v[82:85], v1 offset:1360
	v_add_f64 v[86:87], v[86:87], v[88:89]
	s_waitcnt lgkmcnt(2)
	v_mul_f64 v[88:89], v[74:75], v[174:175]
	v_fmac_f64_e32 v[88:89], v[76:77], v[178:179]
	v_add_f64 v[86:87], v[86:87], v[88:89]
	s_waitcnt vmcnt(26) lgkmcnt(1)
	v_mul_f64 v[88:89], v[78:79], v[200:201]
	s_waitcnt vmcnt(24)
	v_fmac_f64_e32 v[88:89], v[80:81], v[212:213]
	v_add_f64 v[86:87], v[86:87], v[88:89]
	s_waitcnt lgkmcnt(0)
	v_mul_f64 v[88:89], v[82:83], v[182:183]
	v_fmac_f64_e32 v[88:89], v[84:85], v[186:187]
	v_add_f64 v[98:99], v[86:87], v[88:89]
	ds_read_b128 v[86:89], v1 offset:1376
	v_accvgpr_write_b32 a145, v5
	v_mul_f64 v[90:91], v[240:241], v[90:91]
	v_accvgpr_write_b32 a144, v4
	v_fma_f64 v[4:5], v[238:239], v[92:93], -v[90:91]
	ds_read_b128 v[90:93], v1 offset:1392
	v_mul_f64 v[94:95], v[244:245], v[94:95]
	v_accvgpr_write_b32 a142, v2
	v_fma_f64 v[2:3], v[242:243], v[96:97], -v[94:95]
	ds_read_b128 v[94:97], v1 offset:1408
	v_mul_f64 v[102:103], v[248:249], v[102:103]
	v_fma_f64 v[246:247], v[246:247], v[104:105], -v[102:103]
	ds_read_b128 v[102:105], v1 offset:1440
	v_mul_f64 v[106:107], v[252:253], v[106:107]
	v_fma_f64 v[250:251], v[250:251], v[108:109], -v[106:107]
	ds_read_b128 v[106:109], v1 offset:1456
	v_add_f64 v[204:205], v[204:205], 0
	v_add_f64 v[204:205], v[204:205], v[206:207]
	;; [unrolled: 1-line block ×5, first 2 shown]
	s_waitcnt vmcnt(22) lgkmcnt(4)
	v_mul_f64 v[100:101], v[86:87], v[214:215]
	v_add_f64 v[118:119], v[118:119], v[254:255]
	s_waitcnt vmcnt(20)
	v_fmac_f64_e32 v[100:101], v[88:89], v[216:217]
	v_add_f64 v[98:99], v[98:99], v[100:101]
	v_add_f64 v[4:5], v[118:119], v[4:5]
	s_waitcnt vmcnt(17) lgkmcnt(3)
	v_mul_f64 v[100:101], v[90:91], v[218:219]
	s_waitcnt vmcnt(16)
	v_fmac_f64_e32 v[100:101], v[92:93], v[220:221]
	v_add_f64 v[110:111], v[98:99], v[100:101]
	ds_read_b128 v[98:101], v1 offset:1424
	s_waitcnt vmcnt(14) lgkmcnt(3)
	v_mul_f64 v[112:113], v[94:95], v[224:225]
	s_waitcnt vmcnt(12)
	v_fmac_f64_e32 v[112:113], v[96:97], v[228:229]
	buffer_load_dword v203, off, s[0:3], 0 offset:748
	buffer_load_dword v202, off, s[0:3], 0 offset:744
	;; [unrolled: 1-line block ×4, first 2 shown]
	v_add_f64 v[110:111], v[110:111], v[112:113]
	s_waitcnt vmcnt(14) lgkmcnt(0)
	v_mul_f64 v[112:113], v[98:99], v[226:227]
	s_waitcnt vmcnt(12)
	v_fmac_f64_e32 v[112:113], v[100:101], v[230:231]
	v_add_f64 v[110:111], v[110:111], v[112:113]
	s_waitcnt vmcnt(9)
	v_mul_f64 v[112:113], v[102:103], v[234:235]
	s_waitcnt vmcnt(7)
	v_fmac_f64_e32 v[112:113], v[104:105], v[236:237]
	v_add_f64 v[110:111], v[110:111], v[112:113]
	s_waitcnt vmcnt(5)
	v_mul_f64 v[112:113], v[106:107], v[222:223]
	s_waitcnt vmcnt(4)
	v_fmac_f64_e32 v[112:113], v[108:109], v[232:233]
	v_add_f64 v[114:115], v[110:111], v[112:113]
	ds_read_b128 v[110:113], v1 offset:1472
	buffer_load_dword v242, off, s[0:3], 0 offset:760
	buffer_load_dword v243, off, s[0:3], 0 offset:764
	;; [unrolled: 1-line block ×4, first 2 shown]
	v_add_f64 v[2:3], v[4:5], v[2:3]
	v_add_f64 v[252:253], v[2:3], v[246:247]
	v_accvgpr_read_b32 v4, a144
	v_accvgpr_read_b32 v5, a145
	;; [unrolled: 1-line block ×3, first 2 shown]
	v_mul_f64 v[4:5], v[122:123], v[4:5]
	v_accvgpr_read_b32 v119, a143
	v_add_f64 v[2:3], v[252:253], v[250:251]
	v_fma_f64 v[4:5], v[120:121], v[118:119], -v[4:5]
	v_add_f64 v[2:3], v[2:3], v[4:5]
	v_mul_f64 v[4:5], v[8:9], v[128:129]
	v_fma_f64 v[4:5], v[6:7], v[144:145], -v[4:5]
	v_add_f64 v[2:3], v[2:3], v[4:5]
	v_mul_f64 v[4:5], v[12:13], v[124:125]
	;; [unrolled: 3-line block ×19, first 2 shown]
	s_waitcnt vmcnt(6) lgkmcnt(0)
	v_mul_f64 v[116:117], v[110:111], v[202:203]
	v_fma_f64 v[4:5], v[78:79], v[212:213], -v[4:5]
	s_waitcnt vmcnt(4)
	v_fmac_f64_e32 v[116:117], v[112:113], v[238:239]
	v_add_f64 v[240:241], v[114:115], v[116:117]
	ds_read_b128 v[114:117], v1 offset:1488
	v_add_f64 v[2:3], v[2:3], v[4:5]
	v_mul_f64 v[4:5], v[84:85], v[182:183]
	v_fma_f64 v[4:5], v[82:83], v[186:187], -v[4:5]
	v_add_f64 v[2:3], v[2:3], v[4:5]
	v_mul_f64 v[4:5], v[88:89], v[214:215]
	v_fma_f64 v[4:5], v[86:87], v[216:217], -v[4:5]
	v_add_f64 v[2:3], v[2:3], v[4:5]
	s_waitcnt vmcnt(2) lgkmcnt(0)
	v_mul_f64 v[248:249], v[114:115], v[242:243]
	v_mul_f64 v[4:5], v[92:93], v[218:219]
	s_waitcnt vmcnt(0)
	v_fmac_f64_e32 v[248:249], v[116:117], v[244:245]
	v_add_f64 v[240:241], v[240:241], v[248:249]
	buffer_load_dword v248, off, s[0:3], 0 offset:128
	buffer_load_dword v249, off, s[0:3], 0 offset:132
	;; [unrolled: 1-line block ×4, first 2 shown]
	v_fma_f64 v[4:5], v[90:91], v[220:221], -v[4:5]
	v_add_f64 v[2:3], v[2:3], v[4:5]
	v_mul_f64 v[4:5], v[96:97], v[224:225]
	v_fma_f64 v[4:5], v[94:95], v[228:229], -v[4:5]
	v_add_f64 v[2:3], v[2:3], v[4:5]
	v_mul_f64 v[4:5], v[100:101], v[226:227]
	;; [unrolled: 3-line block ×6, first 2 shown]
	v_fma_f64 v[4:5], v[114:115], v[244:245], -v[4:5]
	v_add_f64 v[2:3], v[2:3], v[4:5]
	v_accvgpr_read_b32 v0, a140
	v_cmp_lt_u32_e32 vcc, 6, v0
	s_waitcnt vmcnt(2)
	v_add_f64 v[2:3], v[248:249], -v[2:3]
	s_waitcnt vmcnt(0)
	v_add_f64 v[4:5], v[246:247], -v[240:241]
	buffer_store_dword v3, off, s[0:3], 0 offset:132
	buffer_store_dword v2, off, s[0:3], 0 offset:128
	;; [unrolled: 1-line block ×4, first 2 shown]
	s_and_saveexec_b64 s[4:5], vcc
	s_cbranch_execz .LBB46_283
; %bb.282:
	v_accvgpr_read_b32 v0, a134
	buffer_load_dword v2, v0, s[0:3], 0 offen
	buffer_load_dword v3, v0, s[0:3], 0 offen offset:4
	buffer_load_dword v4, v0, s[0:3], 0 offen offset:8
	;; [unrolled: 1-line block ×3, first 2 shown]
	v_accvgpr_read_b32 v0, a141
	buffer_store_dword v1, off, s[0:3], 0 offset:112
	buffer_store_dword v1, off, s[0:3], 0 offset:116
	;; [unrolled: 1-line block ×4, first 2 shown]
	s_waitcnt vmcnt(4)
	ds_write_b128 v0, v[2:5]
.LBB46_283:
	s_or_b64 exec, exec, s[4:5]
	s_waitcnt lgkmcnt(0)
	; wave barrier
	s_waitcnt lgkmcnt(0)
	buffer_load_dword v56, off, s[0:3], 0 offset:128
	buffer_load_dword v57, off, s[0:3], 0 offset:132
	;; [unrolled: 1-line block ×42, first 2 shown]
	ds_read_b128 v[78:81], v1 offset:864
	ds_read_b128 v[90:93], v1 offset:880
	;; [unrolled: 1-line block ×10, first 2 shown]
	buffer_load_dword v105, off, s[0:3], 0 offset:276
	buffer_load_dword v104, off, s[0:3], 0 offset:272
	ds_read_b128 v[106:109], v1 offset:1024
	buffer_load_dword v3, off, s[0:3], 0 offset:332
	buffer_load_dword v2, off, s[0:3], 0 offset:328
	s_waitcnt vmcnt(38) lgkmcnt(9)
	v_mul_f64 v[4:5], v[90:91], v[62:63]
	v_fmac_f64_e32 v[4:5], v[92:93], v[54:55]
	s_waitcnt vmcnt(36) lgkmcnt(8)
	v_mul_f64 v[6:7], v[114:115], v[58:59]
	v_mul_f64 v[58:59], v[116:117], v[58:59]
	s_waitcnt vmcnt(34) lgkmcnt(6)
	v_mul_f64 v[10:11], v[242:243], v[70:71]
	v_mul_f64 v[70:71], v[244:245], v[70:71]
	s_waitcnt vmcnt(32)
	v_fmac_f64_e32 v[10:11], v[244:245], v[72:73]
	s_waitcnt vmcnt(30)
	v_mul_f64 v[8:9], v[238:239], v[64:65]
	s_waitcnt vmcnt(28) lgkmcnt(4)
	v_mul_f64 v[14:15], v[250:251], v[82:83]
	v_mul_f64 v[82:83], v[252:253], v[82:83]
	s_waitcnt vmcnt(26)
	v_fmac_f64_e32 v[14:15], v[252:253], v[84:85]
	s_waitcnt vmcnt(24)
	v_mul_f64 v[12:13], v[246:247], v[74:75]
	v_mul_f64 v[74:75], v[248:249], v[74:75]
	s_waitcnt vmcnt(22) lgkmcnt(2)
	v_mul_f64 v[18:19], v[206:207], v[94:95]
	v_mul_f64 v[94:95], v[208:209], v[94:95]
	s_waitcnt vmcnt(19)
	v_mul_f64 v[16:17], v[202:203], v[86:87]
	v_mul_f64 v[86:87], v[204:205], v[86:87]
	s_waitcnt vmcnt(17) lgkmcnt(1)
	v_mul_f64 v[20:21], v[98:99], v[102:103]
	s_waitcnt vmcnt(15)
	v_fmac_f64_e32 v[6:7], v[116:117], v[68:69]
	s_waitcnt vmcnt(13)
	v_fmac_f64_e32 v[8:9], v[240:241], v[66:67]
	;; [unrolled: 2-line block ×3, first 2 shown]
	v_fma_f64 v[246:247], v[246:247], v[76:77], -v[74:75]
	s_waitcnt vmcnt(9)
	v_fmac_f64_e32 v[16:17], v[204:205], v[88:89]
	s_waitcnt vmcnt(8)
	v_fmac_f64_e32 v[18:19], v[208:209], v[96:97]
	v_fma_f64 v[248:249], v[250:251], v[84:85], -v[82:83]
	v_fma_f64 v[204:205], v[202:203], v[88:89], -v[86:87]
	;; [unrolled: 1-line block ×3, first 2 shown]
	s_waitcnt vmcnt(2)
	v_fmac_f64_e32 v[20:21], v[100:101], v[104:105]
	v_mul_f64 v[100:101], v[100:101], v[102:103]
	s_waitcnt vmcnt(0)
	v_pk_mov_b32 v[22:23], v[2:3], v[2:3] op_sel:[0,1]
	buffer_load_dword v3, off, s[0:3], 0 offset:324
	buffer_load_dword v2, off, s[0:3], 0 offset:320
	buffer_load_dword v125, off, s[0:3], 0 offset:316
	buffer_load_dword v124, off, s[0:3], 0 offset:312
	buffer_load_dword v141, off, s[0:3], 0 offset:308
	buffer_load_dword v140, off, s[0:3], 0 offset:304
	buffer_load_dword v127, off, s[0:3], 0 offset:364
	buffer_load_dword v126, off, s[0:3], 0 offset:360
	buffer_load_dword v129, off, s[0:3], 0 offset:356
	buffer_load_dword v128, off, s[0:3], 0 offset:352
	buffer_load_dword v145, off, s[0:3], 0 offset:348
	buffer_load_dword v144, off, s[0:3], 0 offset:344
	buffer_load_dword v149, off, s[0:3], 0 offset:340
	buffer_load_dword v148, off, s[0:3], 0 offset:336
	buffer_load_dword v131, off, s[0:3], 0 offset:396
	buffer_load_dword v130, off, s[0:3], 0 offset:392
	buffer_load_dword v133, off, s[0:3], 0 offset:388
	buffer_load_dword v132, off, s[0:3], 0 offset:384
	buffer_load_dword v153, off, s[0:3], 0 offset:380
	buffer_load_dword v152, off, s[0:3], 0 offset:376
	buffer_load_dword v157, off, s[0:3], 0 offset:372
	buffer_load_dword v156, off, s[0:3], 0 offset:368
	buffer_load_dword v135, off, s[0:3], 0 offset:428
	buffer_load_dword v134, off, s[0:3], 0 offset:424
	buffer_load_dword v137, off, s[0:3], 0 offset:420
	buffer_load_dword v136, off, s[0:3], 0 offset:416
	buffer_load_dword v161, off, s[0:3], 0 offset:412
	buffer_load_dword v160, off, s[0:3], 0 offset:408
	buffer_load_dword v165, off, s[0:3], 0 offset:404
	buffer_load_dword v164, off, s[0:3], 0 offset:400
	buffer_load_dword v139, off, s[0:3], 0 offset:460
	buffer_load_dword v138, off, s[0:3], 0 offset:456
	buffer_load_dword v143, off, s[0:3], 0 offset:452
	buffer_load_dword v142, off, s[0:3], 0 offset:448
	buffer_load_dword v169, off, s[0:3], 0 offset:444
	buffer_load_dword v168, off, s[0:3], 0 offset:440
	buffer_load_dword v173, off, s[0:3], 0 offset:436
	buffer_load_dword v172, off, s[0:3], 0 offset:432
	buffer_load_dword v147, off, s[0:3], 0 offset:492
	buffer_load_dword v146, off, s[0:3], 0 offset:488
	buffer_load_dword v151, off, s[0:3], 0 offset:484
	buffer_load_dword v150, off, s[0:3], 0 offset:480
	buffer_load_dword v177, off, s[0:3], 0 offset:476
	buffer_load_dword v176, off, s[0:3], 0 offset:472
	buffer_load_dword v181, off, s[0:3], 0 offset:468
	buffer_load_dword v180, off, s[0:3], 0 offset:464
	buffer_load_dword v155, off, s[0:3], 0 offset:524
	buffer_load_dword v154, off, s[0:3], 0 offset:520
	buffer_load_dword v159, off, s[0:3], 0 offset:516
	buffer_load_dword v158, off, s[0:3], 0 offset:512
	buffer_load_dword v185, off, s[0:3], 0 offset:508
	buffer_load_dword v184, off, s[0:3], 0 offset:504
	buffer_load_dword v187, off, s[0:3], 0 offset:500
	buffer_load_dword v186, off, s[0:3], 0 offset:496
	buffer_load_dword v163, off, s[0:3], 0 offset:556
	buffer_load_dword v162, off, s[0:3], 0 offset:552
	buffer_load_dword v167, off, s[0:3], 0 offset:548
	buffer_load_dword v166, off, s[0:3], 0 offset:544
	buffer_load_dword v189, off, s[0:3], 0 offset:540
	buffer_load_dword v188, off, s[0:3], 0 offset:536
	buffer_load_dword v191, off, s[0:3], 0 offset:532
	buffer_load_dword v190, off, s[0:3], 0 offset:528
	buffer_load_dword v171, off, s[0:3], 0 offset:588
	buffer_load_dword v170, off, s[0:3], 0 offset:584
	buffer_load_dword v175, off, s[0:3], 0 offset:580
	buffer_load_dword v174, off, s[0:3], 0 offset:576
	buffer_load_dword v193, off, s[0:3], 0 offset:572
	buffer_load_dword v192, off, s[0:3], 0 offset:568
	buffer_load_dword v195, off, s[0:3], 0 offset:564
	buffer_load_dword v194, off, s[0:3], 0 offset:560
	buffer_load_dword v179, off, s[0:3], 0 offset:620
	buffer_load_dword v178, off, s[0:3], 0 offset:616
	buffer_load_dword v183, off, s[0:3], 0 offset:612
	buffer_load_dword v182, off, s[0:3], 0 offset:608
	buffer_load_dword v197, off, s[0:3], 0 offset:604
	buffer_load_dword v196, off, s[0:3], 0 offset:600
	buffer_load_dword v199, off, s[0:3], 0 offset:596
	buffer_load_dword v198, off, s[0:3], 0 offset:592
	ds_read_b128 v[120:123], v1 offset:1040
	v_accvgpr_write_b32 a143, v23
	v_accvgpr_write_b32 a142, v22
	v_fma_f64 v[250:251], v[98:99], v[104:105], -v[100:101]
	s_waitcnt vmcnt(62)
	v_pk_mov_b32 v[24:25], v[2:3], v[2:3] op_sel:[0,1]
	v_mul_f64 v[2:3], v[78:79], v[60:61]
	v_fmac_f64_e32 v[2:3], v[80:81], v[56:57]
	v_add_f64 v[2:3], v[2:3], 0
	v_add_f64 v[2:3], v[2:3], v[4:5]
	;; [unrolled: 1-line block ×9, first 2 shown]
	s_waitcnt lgkmcnt(1)
	v_mul_f64 v[8:9], v[106:107], v[110:111]
	v_add_f64 v[6:7], v[2:3], v[20:21]
	v_fmac_f64_e32 v[8:9], v[108:109], v[112:113]
	v_add_f64 v[10:11], v[6:7], v[8:9]
	ds_read_b128 v[6:9], v1 offset:1056
	s_waitcnt lgkmcnt(1)
	v_mul_f64 v[12:13], v[120:121], v[124:125]
	v_fmac_f64_e32 v[12:13], v[122:123], v[140:141]
	v_add_f64 v[14:15], v[10:11], v[12:13]
	ds_read_b128 v[10:13], v1 offset:1072
	s_waitcnt lgkmcnt(1)
	v_mul_f64 v[16:17], v[6:7], v[22:23]
	v_fmac_f64_e32 v[16:17], v[8:9], v[24:25]
	v_add_f64 v[18:19], v[14:15], v[16:17]
	ds_read_b128 v[14:17], v1 offset:1088
	s_waitcnt lgkmcnt(1)
	v_mul_f64 v[20:21], v[10:11], v[144:145]
	v_fmac_f64_e32 v[20:21], v[12:13], v[148:149]
	v_add_f64 v[22:23], v[18:19], v[20:21]
	ds_read_b128 v[18:21], v1 offset:1104
	v_accvgpr_write_b32 a145, v25
	v_accvgpr_write_b32 a144, v24
	s_waitcnt lgkmcnt(1)
	v_mul_f64 v[24:25], v[14:15], v[126:127]
	v_fmac_f64_e32 v[24:25], v[16:17], v[128:129]
	v_add_f64 v[26:27], v[22:23], v[24:25]
	ds_read_b128 v[22:25], v1 offset:1120
	s_waitcnt vmcnt(58) lgkmcnt(1)
	v_mul_f64 v[28:29], v[18:19], v[152:153]
	s_waitcnt vmcnt(56)
	v_fmac_f64_e32 v[28:29], v[20:21], v[156:157]
	v_add_f64 v[30:31], v[26:27], v[28:29]
	ds_read_b128 v[26:29], v1 offset:1136
	s_waitcnt lgkmcnt(1)
	v_mul_f64 v[32:33], v[22:23], v[130:131]
	v_fmac_f64_e32 v[32:33], v[24:25], v[132:133]
	v_add_f64 v[34:35], v[30:31], v[32:33]
	ds_read_b128 v[30:33], v1 offset:1152
	s_waitcnt vmcnt(50) lgkmcnt(1)
	v_mul_f64 v[36:37], v[26:27], v[160:161]
	s_waitcnt vmcnt(48)
	v_fmac_f64_e32 v[36:37], v[28:29], v[164:165]
	v_add_f64 v[38:39], v[34:35], v[36:37]
	ds_read_b128 v[34:37], v1 offset:1168
	;; [unrolled: 11-line block ×4, first 2 shown]
	buffer_load_dword v200, off, s[0:3], 0 offset:648
	buffer_load_dword v215, off, s[0:3], 0 offset:636
	;; [unrolled: 1-line block ×28, first 2 shown]
	s_waitcnt lgkmcnt(1)
	v_mul_f64 v[210:211], v[46:47], v[146:147]
	v_fmac_f64_e32 v[210:211], v[48:49], v[150:151]
	v_mul_f64 v[60:61], v[80:81], v[60:61]
	v_add_f64 v[118:119], v[118:119], v[210:211]
	s_waitcnt vmcnt(54) lgkmcnt(0)
	v_mul_f64 v[210:211], v[50:51], v[184:185]
	v_fma_f64 v[254:255], v[78:79], v[56:57], -v[60:61]
	v_mul_f64 v[56:57], v[92:93], v[62:63]
	v_fma_f64 v[2:3], v[90:91], v[54:55], -v[56:57]
	s_waitcnt vmcnt(52)
	v_fmac_f64_e32 v[210:211], v[52:53], v[186:187]
	ds_read_b128 v[54:57], v1 offset:1248
	v_add_f64 v[4:5], v[118:119], v[210:211]
	v_fma_f64 v[118:119], v[114:115], v[68:69], -v[58:59]
	ds_read_b128 v[58:61], v1 offset:1264
	v_mul_f64 v[62:63], v[240:241], v[64:65]
	v_fma_f64 v[210:211], v[238:239], v[66:67], -v[62:63]
	ds_read_b128 v[62:65], v1 offset:1280
	s_waitcnt lgkmcnt(2)
	v_mul_f64 v[68:69], v[54:55], v[154:155]
	v_fmac_f64_e32 v[68:69], v[56:57], v[158:159]
	s_waitcnt vmcnt(46) lgkmcnt(1)
	v_mul_f64 v[66:67], v[58:59], v[188:189]
	v_add_f64 v[4:5], v[4:5], v[68:69]
	s_waitcnt vmcnt(44)
	v_fmac_f64_e32 v[66:67], v[60:61], v[190:191]
	v_add_f64 v[4:5], v[4:5], v[66:67]
	v_fma_f64 v[240:241], v[242:243], v[72:73], -v[70:71]
	ds_read_b128 v[70:73], v1 offset:1312
	s_waitcnt lgkmcnt(1)
	v_mul_f64 v[66:67], v[62:63], v[162:163]
	v_fmac_f64_e32 v[66:67], v[64:65], v[166:167]
	v_add_f64 v[4:5], v[4:5], v[66:67]
	ds_read_b128 v[66:69], v1 offset:1296
	ds_read_b128 v[74:77], v1 offset:1328
	;; [unrolled: 1-line block ×5, first 2 shown]
	s_waitcnt vmcnt(38) lgkmcnt(4)
	v_mul_f64 v[78:79], v[66:67], v[192:193]
	s_waitcnt vmcnt(36)
	v_fmac_f64_e32 v[78:79], v[68:69], v[194:195]
	v_add_f64 v[4:5], v[4:5], v[78:79]
	v_mul_f64 v[78:79], v[70:71], v[170:171]
	v_fmac_f64_e32 v[78:79], v[72:73], v[174:175]
	v_add_f64 v[4:5], v[4:5], v[78:79]
	s_waitcnt vmcnt(30) lgkmcnt(3)
	v_mul_f64 v[78:79], v[74:75], v[196:197]
	s_waitcnt vmcnt(28)
	v_fmac_f64_e32 v[78:79], v[76:77], v[198:199]
	v_add_f64 v[4:5], v[4:5], v[78:79]
	ds_read_b128 v[78:81], v1 offset:1344
	v_mul_f64 v[108:109], v[108:109], v[110:111]
	v_fma_f64 v[252:253], v[106:107], v[112:113], -v[108:109]
	ds_read_b128 v[98:101], v1 offset:1424
	ds_read_b128 v[106:109], v1 offset:1456
	s_waitcnt lgkmcnt(2)
	v_mul_f64 v[90:91], v[78:79], v[178:179]
	v_fmac_f64_e32 v[90:91], v[80:81], v[182:183]
	v_add_f64 v[4:5], v[4:5], v[90:91]
	s_waitcnt vmcnt(9) lgkmcnt(1)
	v_mul_f64 v[110:111], v[98:99], v[230:231]
	v_mul_f64 v[90:91], v[82:83], v[214:215]
	s_waitcnt vmcnt(7)
	v_fmac_f64_e32 v[110:111], v[100:101], v[234:235]
	v_fmac_f64_e32 v[90:91], v[84:85], v[216:217]
	v_add_f64 v[4:5], v[4:5], v[90:91]
	v_mul_f64 v[90:91], v[86:87], v[200:201]
	v_fmac_f64_e32 v[90:91], v[88:89], v[212:213]
	v_add_f64 v[4:5], v[4:5], v[90:91]
	ds_read_b128 v[90:93], v1 offset:1392
	v_mul_f64 v[102:103], v[94:95], v[224:225]
	v_fmac_f64_e32 v[102:103], v[96:97], v[226:227]
	s_waitcnt lgkmcnt(0)
	v_mul_f64 v[114:115], v[90:91], v[218:219]
	v_fmac_f64_e32 v[114:115], v[92:93], v[220:221]
	v_add_f64 v[4:5], v[4:5], v[114:115]
	v_add_f64 v[4:5], v[4:5], v[102:103]
	ds_read_b128 v[102:105], v1 offset:1440
	buffer_load_dword v202, off, s[0:3], 0 offset:744
	buffer_load_dword v203, off, s[0:3], 0 offset:748
	;; [unrolled: 1-line block ×4, first 2 shown]
	v_add_f64 v[4:5], v[4:5], v[110:111]
	s_waitcnt vmcnt(9) lgkmcnt(0)
	v_mul_f64 v[110:111], v[102:103], v[222:223]
	s_waitcnt vmcnt(8)
	v_fmac_f64_e32 v[110:111], v[104:105], v[228:229]
	v_add_f64 v[4:5], v[4:5], v[110:111]
	s_waitcnt vmcnt(6)
	v_mul_f64 v[110:111], v[106:107], v[232:233]
	s_waitcnt vmcnt(4)
	v_fmac_f64_e32 v[110:111], v[108:109], v[236:237]
	v_add_f64 v[4:5], v[4:5], v[110:111]
	ds_read_b128 v[110:113], v1 offset:1472
	buffer_load_dword v243, off, s[0:3], 0 offset:764
	buffer_load_dword v242, off, s[0:3], 0 offset:760
	;; [unrolled: 1-line block ×4, first 2 shown]
	s_waitcnt vmcnt(6) lgkmcnt(0)
	v_mul_f64 v[114:115], v[110:111], v[202:203]
	s_waitcnt vmcnt(4)
	v_fmac_f64_e32 v[114:115], v[112:113], v[238:239]
	v_add_f64 v[4:5], v[4:5], v[114:115]
	ds_read_b128 v[114:117], v1 offset:1488
	v_accvgpr_read_b32 v0, a142
	v_accvgpr_read_b32 v1, a143
	v_mul_f64 v[8:9], v[8:9], v[0:1]
	v_accvgpr_read_b32 v0, a144
	v_accvgpr_read_b32 v1, a145
	v_fma_f64 v[6:7], v[6:7], v[0:1], -v[8:9]
	s_waitcnt vmcnt(2) lgkmcnt(0)
	v_mul_f64 v[208:209], v[114:115], v[242:243]
	v_accvgpr_read_b32 v0, a140
	s_waitcnt vmcnt(0)
	v_fmac_f64_e32 v[208:209], v[116:117], v[244:245]
	v_add_f64 v[4:5], v[4:5], v[208:209]
	v_add_f64 v[208:209], v[254:255], 0
	v_add_f64 v[2:3], v[208:209], v[2:3]
	v_add_f64 v[2:3], v[2:3], v[118:119]
	v_add_f64 v[2:3], v[2:3], v[210:211]
	v_add_f64 v[2:3], v[2:3], v[240:241]
	v_add_f64 v[2:3], v[2:3], v[246:247]
	v_add_f64 v[2:3], v[2:3], v[248:249]
	buffer_load_dword v248, off, s[0:3], 0 offset:112
	buffer_load_dword v249, off, s[0:3], 0 offset:116
	;; [unrolled: 1-line block ×4, first 2 shown]
	v_add_f64 v[2:3], v[2:3], v[204:205]
	v_add_f64 v[254:255], v[2:3], v[206:207]
	;; [unrolled: 1-line block ×3, first 2 shown]
	v_mul_f64 v[118:119], v[122:123], v[124:125]
	v_add_f64 v[2:3], v[2:3], v[252:253]
	v_fma_f64 v[118:119], v[120:121], v[140:141], -v[118:119]
	v_add_f64 v[2:3], v[2:3], v[118:119]
	v_add_f64 v[2:3], v[2:3], v[6:7]
	v_mul_f64 v[6:7], v[12:13], v[144:145]
	v_fma_f64 v[6:7], v[10:11], v[148:149], -v[6:7]
	v_add_f64 v[2:3], v[2:3], v[6:7]
	v_mul_f64 v[6:7], v[16:17], v[126:127]
	v_fma_f64 v[6:7], v[14:15], v[128:129], -v[6:7]
	;; [unrolled: 3-line block ×27, first 2 shown]
	v_add_f64 v[2:3], v[2:3], v[6:7]
	s_waitcnt vmcnt(2)
	v_add_f64 v[2:3], v[248:249], -v[2:3]
	v_cmp_lt_u32_e32 vcc, 5, v0
	s_waitcnt vmcnt(0)
	v_add_f64 v[4:5], v[246:247], -v[4:5]
	buffer_store_dword v3, off, s[0:3], 0 offset:116
	buffer_store_dword v2, off, s[0:3], 0 offset:112
	;; [unrolled: 1-line block ×4, first 2 shown]
	s_and_saveexec_b64 s[4:5], vcc
	s_cbranch_execz .LBB46_285
; %bb.284:
	v_accvgpr_read_b32 v0, a135
	buffer_load_dword v2, v0, s[0:3], 0 offen
	buffer_load_dword v3, v0, s[0:3], 0 offen offset:4
	buffer_load_dword v4, v0, s[0:3], 0 offen offset:8
	;; [unrolled: 1-line block ×3, first 2 shown]
	v_mov_b32_e32 v0, 0
	v_accvgpr_read_b32 v1, a141
	buffer_store_dword v0, off, s[0:3], 0 offset:96
	buffer_store_dword v0, off, s[0:3], 0 offset:100
	;; [unrolled: 1-line block ×4, first 2 shown]
	s_waitcnt vmcnt(4)
	ds_write_b128 v1, v[2:5]
.LBB46_285:
	s_or_b64 exec, exec, s[4:5]
	s_waitcnt lgkmcnt(0)
	; wave barrier
	s_waitcnt lgkmcnt(0)
	buffer_load_dword v54, off, s[0:3], 0 offset:112
	buffer_load_dword v55, off, s[0:3], 0 offset:116
	buffer_load_dword v56, off, s[0:3], 0 offset:120
	buffer_load_dword v57, off, s[0:3], 0 offset:124
	buffer_load_dword v58, off, s[0:3], 0 offset:128
	buffer_load_dword v59, off, s[0:3], 0 offset:132
	buffer_load_dword v224, off, s[0:3], 0 offset:136
	buffer_load_dword v225, off, s[0:3], 0 offset:140
	buffer_load_dword v60, off, s[0:3], 0 offset:152
	buffer_load_dword v61, off, s[0:3], 0 offset:156
	buffer_load_dword v65, off, s[0:3], 0 offset:188
	buffer_load_dword v64, off, s[0:3], 0 offset:184
	buffer_load_dword v67, off, s[0:3], 0 offset:180
	buffer_load_dword v66, off, s[0:3], 0 offset:176
	buffer_load_dword v69, off, s[0:3], 0 offset:172
	buffer_load_dword v68, off, s[0:3], 0 offset:168
	buffer_load_dword v75, off, s[0:3], 0 offset:220
	buffer_load_dword v74, off, s[0:3], 0 offset:216
	buffer_load_dword v77, off, s[0:3], 0 offset:212
	buffer_load_dword v76, off, s[0:3], 0 offset:208
	buffer_load_dword v71, off, s[0:3], 0 offset:204
	buffer_load_dword v70, off, s[0:3], 0 offset:200
	buffer_load_dword v87, off, s[0:3], 0 offset:252
	buffer_load_dword v86, off, s[0:3], 0 offset:248
	buffer_load_dword v88, off, s[0:3], 0 offset:240
	buffer_load_dword v79, off, s[0:3], 0 offset:236
	buffer_load_dword v78, off, s[0:3], 0 offset:232
	buffer_load_dword v91, off, s[0:3], 0 offset:268
	buffer_load_dword v90, off, s[0:3], 0 offset:264
	buffer_load_dword v84, off, s[0:3], 0 offset:144
	buffer_load_dword v85, off, s[0:3], 0 offset:148
	buffer_load_dword v83, off, s[0:3], 0 offset:164
	buffer_load_dword v82, off, s[0:3], 0 offset:160
	buffer_load_dword v73, off, s[0:3], 0 offset:196
	buffer_load_dword v72, off, s[0:3], 0 offset:192
	buffer_load_dword v81, off, s[0:3], 0 offset:228
	buffer_load_dword v80, off, s[0:3], 0 offset:224
	buffer_load_dword v89, off, s[0:3], 0 offset:244
	buffer_load_dword v102, off, s[0:3], 0 offset:280
	buffer_load_dword v104, off, s[0:3], 0 offset:272
	buffer_load_dword v105, off, s[0:3], 0 offset:276
	buffer_load_dword v103, off, s[0:3], 0 offset:284
	buffer_load_dword v93, off, s[0:3], 0 offset:260
	buffer_load_dword v92, off, s[0:3], 0 offset:256
	buffer_load_dword v3, off, s[0:3], 0 offset:316
	buffer_load_dword v2, off, s[0:3], 0 offset:312
	v_mov_b32_e32 v1, 0
	v_accvgpr_read_b32 v0, a140
	v_cmp_lt_u32_e32 vcc, 4, v0
	s_waitcnt vmcnt(0)
	v_pk_mov_b32 v[22:23], v[2:3], v[2:3] op_sel:[0,1]
	buffer_load_dword v3, off, s[0:3], 0 offset:308
	buffer_load_dword v2, off, s[0:3], 0 offset:304
	;; [unrolled: 1-line block ×3, first 2 shown]
	ds_read_b128 v[94:97], v1 offset:848
	ds_read_b128 v[108:111], v1 offset:864
	ds_read_b128 v[112:115], v1 offset:880
	ds_read_b128 v[200:203], v1 offset:896
	ds_read_b128 v[204:207], v1 offset:912
	ds_read_b128 v[240:243], v1 offset:928
	ds_read_b128 v[244:247], v1 offset:944
	ds_read_b128 v[248:251], v1 offset:960
	ds_read_b128 v[252:255], v1 offset:976
	ds_read_b128 v[208:211], v1 offset:992
	ds_read_b128 v[98:101], v1 offset:1008
	buffer_load_dword v106, off, s[0:3], 0 offset:296
	buffer_load_dword v63, off, s[0:3], 0 offset:292
	buffer_load_dword v62, off, s[0:3], 0 offset:288
	buffer_load_dword v125, off, s[0:3], 0 offset:348
	buffer_load_dword v124, off, s[0:3], 0 offset:344
	buffer_load_dword v127, off, s[0:3], 0 offset:340
	buffer_load_dword v126, off, s[0:3], 0 offset:336
	buffer_load_dword v141, off, s[0:3], 0 offset:332
	buffer_load_dword v140, off, s[0:3], 0 offset:328
	buffer_load_dword v145, off, s[0:3], 0 offset:324
	buffer_load_dword v144, off, s[0:3], 0 offset:320
	buffer_load_dword v129, off, s[0:3], 0 offset:380
	buffer_load_dword v128, off, s[0:3], 0 offset:376
	buffer_load_dword v131, off, s[0:3], 0 offset:372
	buffer_load_dword v130, off, s[0:3], 0 offset:368
	buffer_load_dword v149, off, s[0:3], 0 offset:364
	buffer_load_dword v148, off, s[0:3], 0 offset:360
	buffer_load_dword v153, off, s[0:3], 0 offset:356
	buffer_load_dword v152, off, s[0:3], 0 offset:352
	buffer_load_dword v133, off, s[0:3], 0 offset:412
	buffer_load_dword v132, off, s[0:3], 0 offset:408
	buffer_load_dword v135, off, s[0:3], 0 offset:404
	buffer_load_dword v134, off, s[0:3], 0 offset:400
	buffer_load_dword v157, off, s[0:3], 0 offset:396
	buffer_load_dword v156, off, s[0:3], 0 offset:392
	buffer_load_dword v161, off, s[0:3], 0 offset:388
	buffer_load_dword v160, off, s[0:3], 0 offset:384
	buffer_load_dword v137, off, s[0:3], 0 offset:444
	buffer_load_dword v136, off, s[0:3], 0 offset:440
	buffer_load_dword v139, off, s[0:3], 0 offset:436
	buffer_load_dword v138, off, s[0:3], 0 offset:432
	buffer_load_dword v165, off, s[0:3], 0 offset:428
	buffer_load_dword v164, off, s[0:3], 0 offset:424
	buffer_load_dword v169, off, s[0:3], 0 offset:420
	buffer_load_dword v168, off, s[0:3], 0 offset:416
	buffer_load_dword v143, off, s[0:3], 0 offset:476
	buffer_load_dword v142, off, s[0:3], 0 offset:472
	buffer_load_dword v147, off, s[0:3], 0 offset:468
	buffer_load_dword v146, off, s[0:3], 0 offset:464
	buffer_load_dword v173, off, s[0:3], 0 offset:460
	buffer_load_dword v172, off, s[0:3], 0 offset:456
	buffer_load_dword v177, off, s[0:3], 0 offset:452
	buffer_load_dword v176, off, s[0:3], 0 offset:448
	buffer_load_dword v151, off, s[0:3], 0 offset:508
	buffer_load_dword v150, off, s[0:3], 0 offset:504
	buffer_load_dword v155, off, s[0:3], 0 offset:500
	buffer_load_dword v154, off, s[0:3], 0 offset:496
	buffer_load_dword v181, off, s[0:3], 0 offset:492
	buffer_load_dword v180, off, s[0:3], 0 offset:488
	buffer_load_dword v183, off, s[0:3], 0 offset:484
	buffer_load_dword v182, off, s[0:3], 0 offset:480
	buffer_load_dword v159, off, s[0:3], 0 offset:540
	buffer_load_dword v158, off, s[0:3], 0 offset:536
	buffer_load_dword v163, off, s[0:3], 0 offset:532
	buffer_load_dword v162, off, s[0:3], 0 offset:528
	buffer_load_dword v185, off, s[0:3], 0 offset:524
	buffer_load_dword v184, off, s[0:3], 0 offset:520
	buffer_load_dword v187, off, s[0:3], 0 offset:516
	buffer_load_dword v186, off, s[0:3], 0 offset:512
	buffer_load_dword v167, off, s[0:3], 0 offset:572
	buffer_load_dword v166, off, s[0:3], 0 offset:568
	buffer_load_dword v171, off, s[0:3], 0 offset:564
	buffer_load_dword v170, off, s[0:3], 0 offset:560
	buffer_load_dword v189, off, s[0:3], 0 offset:556
	buffer_load_dword v188, off, s[0:3], 0 offset:552
	buffer_load_dword v191, off, s[0:3], 0 offset:548
	buffer_load_dword v190, off, s[0:3], 0 offset:544
	buffer_load_dword v175, off, s[0:3], 0 offset:604
	buffer_load_dword v174, off, s[0:3], 0 offset:600
	buffer_load_dword v179, off, s[0:3], 0 offset:596
	buffer_load_dword v178, off, s[0:3], 0 offset:592
	buffer_load_dword v193, off, s[0:3], 0 offset:588
	buffer_load_dword v192, off, s[0:3], 0 offset:584
	buffer_load_dword v195, off, s[0:3], 0 offset:580
	buffer_load_dword v194, off, s[0:3], 0 offset:576
	s_waitcnt lgkmcnt(9)
	v_mul_f64 v[4:5], v[108:109], v[224:225]
	s_waitcnt lgkmcnt(8)
	v_mul_f64 v[6:7], v[112:113], v[60:61]
	v_fmac_f64_e32 v[4:5], v[110:111], v[58:59]
	s_waitcnt lgkmcnt(7)
	v_mul_f64 v[8:9], v[200:201], v[68:69]
	v_fmac_f64_e32 v[6:7], v[114:115], v[84:85]
	;; [unrolled: 3-line block ×5, first 2 shown]
	ds_read_b128 v[116:119], v1 offset:1024
	ds_read_b128 v[120:123], v1 offset:1040
	s_waitcnt lgkmcnt(5)
	v_mul_f64 v[16:17], v[248:249], v[78:79]
	v_fmac_f64_e32 v[14:15], v[246:247], v[76:77]
	s_waitcnt lgkmcnt(4)
	v_mul_f64 v[18:19], v[252:253], v[86:87]
	v_fmac_f64_e32 v[16:17], v[250:251], v[80:81]
	;; [unrolled: 3-line block ×3, first 2 shown]
	v_fmac_f64_e32 v[20:21], v[210:211], v[92:93]
	v_accvgpr_write_b32 a143, v23
	v_accvgpr_write_b32 a142, v22
	v_mul_f64 v[64:65], v[206:207], v[64:65]
	v_fma_f64 v[64:65], v[204:205], v[66:67], -v[64:65]
	v_mul_f64 v[66:67], v[242:243], v[70:71]
	v_fma_f64 v[242:243], v[240:241], v[72:73], -v[66:67]
	v_mul_f64 v[74:75], v[246:247], v[74:75]
	v_mul_f64 v[78:79], v[250:251], v[78:79]
	v_fma_f64 v[248:249], v[248:249], v[80:81], -v[78:79]
	v_mul_f64 v[86:87], v[254:255], v[86:87]
	v_fma_f64 v[250:251], v[252:253], v[88:89], -v[86:87]
	;; [unrolled: 2-line block ×3, first 2 shown]
	s_waitcnt vmcnt(62)
	v_pk_mov_b32 v[24:25], v[2:3], v[2:3] op_sel:[0,1]
	v_mul_f64 v[2:3], v[94:95], v[56:57]
	v_fmac_f64_e32 v[2:3], v[96:97], v[54:55]
	v_add_f64 v[2:3], v[2:3], 0
	v_add_f64 v[2:3], v[2:3], v[4:5]
	;; [unrolled: 1-line block ×9, first 2 shown]
	s_waitcnt lgkmcnt(2)
	v_mul_f64 v[4:5], v[98:99], v[102:103]
	v_add_f64 v[2:3], v[2:3], v[20:21]
	v_fmac_f64_e32 v[4:5], v[100:101], v[104:105]
	s_waitcnt lgkmcnt(1)
	v_mul_f64 v[8:9], v[116:117], v[106:107]
	v_add_f64 v[6:7], v[2:3], v[4:5]
	v_fmac_f64_e32 v[8:9], v[118:119], v[62:63]
	s_waitcnt lgkmcnt(0)
	v_mul_f64 v[12:13], v[120:121], v[22:23]
	v_add_f64 v[10:11], v[6:7], v[8:9]
	ds_read_b128 v[6:9], v1 offset:1056
	v_fmac_f64_e32 v[12:13], v[122:123], v[24:25]
	v_add_f64 v[14:15], v[10:11], v[12:13]
	ds_read_b128 v[10:13], v1 offset:1072
	v_accvgpr_write_b32 a145, v25
	s_waitcnt lgkmcnt(1)
	v_mul_f64 v[16:17], v[6:7], v[140:141]
	v_fmac_f64_e32 v[16:17], v[8:9], v[144:145]
	v_add_f64 v[18:19], v[14:15], v[16:17]
	s_waitcnt lgkmcnt(0)
	v_mul_f64 v[20:21], v[10:11], v[124:125]
	ds_read_b128 v[14:17], v1 offset:1088
	v_fmac_f64_e32 v[20:21], v[12:13], v[126:127]
	v_add_f64 v[22:23], v[18:19], v[20:21]
	ds_read_b128 v[18:21], v1 offset:1104
	v_accvgpr_write_b32 a144, v24
	s_waitcnt vmcnt(58) lgkmcnt(1)
	v_mul_f64 v[24:25], v[14:15], v[148:149]
	s_waitcnt vmcnt(56)
	v_fmac_f64_e32 v[24:25], v[16:17], v[152:153]
	v_add_f64 v[26:27], v[22:23], v[24:25]
	s_waitcnt lgkmcnt(0)
	v_mul_f64 v[28:29], v[18:19], v[128:129]
	ds_read_b128 v[22:25], v1 offset:1120
	v_fmac_f64_e32 v[28:29], v[20:21], v[130:131]
	v_add_f64 v[30:31], v[26:27], v[28:29]
	ds_read_b128 v[26:29], v1 offset:1136
	v_mul_f64 v[56:57], v[96:97], v[56:57]
	s_waitcnt vmcnt(50) lgkmcnt(1)
	v_mul_f64 v[32:33], v[22:23], v[156:157]
	s_waitcnt vmcnt(48)
	v_fmac_f64_e32 v[32:33], v[24:25], v[160:161]
	v_add_f64 v[34:35], v[30:31], v[32:33]
	s_waitcnt lgkmcnt(0)
	v_mul_f64 v[36:37], v[26:27], v[132:133]
	ds_read_b128 v[30:33], v1 offset:1152
	v_fmac_f64_e32 v[36:37], v[28:29], v[134:135]
	v_add_f64 v[38:39], v[34:35], v[36:37]
	ds_read_b128 v[34:37], v1 offset:1168
	v_fma_f64 v[2:3], v[94:95], v[54:55], -v[56:57]
	s_waitcnt vmcnt(42) lgkmcnt(1)
	v_mul_f64 v[40:41], v[30:31], v[164:165]
	s_waitcnt vmcnt(40)
	v_fmac_f64_e32 v[40:41], v[32:33], v[168:169]
	v_add_f64 v[42:43], v[38:39], v[40:41]
	s_waitcnt lgkmcnt(0)
	v_mul_f64 v[44:45], v[34:35], v[136:137]
	ds_read_b128 v[38:41], v1 offset:1184
	v_fmac_f64_e32 v[44:45], v[36:37], v[138:139]
	v_add_f64 v[46:47], v[42:43], v[44:45]
	ds_read_b128 v[42:45], v1 offset:1200
	v_mul_f64 v[94:95], v[110:111], v[224:225]
	s_waitcnt vmcnt(34) lgkmcnt(1)
	v_mul_f64 v[48:49], v[38:39], v[172:173]
	s_waitcnt vmcnt(32)
	v_fmac_f64_e32 v[48:49], v[40:41], v[176:177]
	v_add_f64 v[50:51], v[46:47], v[48:49]
	s_waitcnt lgkmcnt(0)
	v_mul_f64 v[52:53], v[42:43], v[142:143]
	v_fmac_f64_e32 v[52:53], v[44:45], v[146:147]
	ds_read_b128 v[46:49], v1 offset:1216
	v_add_f64 v[212:213], v[50:51], v[52:53]
	ds_read_b128 v[50:53], v1 offset:1232
	buffer_load_dword v197, off, s[0:3], 0 offset:620
	buffer_load_dword v196, off, s[0:3], 0 offset:616
	;; [unrolled: 1-line block ×4, first 2 shown]
	v_fma_f64 v[238:239], v[108:109], v[58:59], -v[94:95]
	s_waitcnt vmcnt(30) lgkmcnt(1)
	v_mul_f64 v[214:215], v[46:47], v[180:181]
	s_waitcnt vmcnt(28)
	v_fmac_f64_e32 v[214:215], v[48:49], v[182:183]
	v_add_f64 v[236:237], v[212:213], v[214:215]
	buffer_load_dword v214, off, s[0:3], 0 offset:632
	buffer_load_dword v216, off, s[0:3], 0 offset:624
	;; [unrolled: 1-line block ×12, first 2 shown]
	ds_read_b128 v[54:57], v1 offset:1248
	buffer_load_dword v225, off, s[0:3], 0 offset:684
	buffer_load_dword v224, off, s[0:3], 0 offset:680
	;; [unrolled: 1-line block ×12, first 2 shown]
	s_waitcnt lgkmcnt(1)
	v_mul_f64 v[4:5], v[50:51], v[150:151]
	v_mul_f64 v[58:59], v[114:115], v[60:61]
	v_fmac_f64_e32 v[4:5], v[52:53], v[154:155]
	s_waitcnt vmcnt(46) lgkmcnt(0)
	v_mul_f64 v[60:61], v[54:55], v[184:185]
	v_fma_f64 v[94:95], v[112:113], v[84:85], -v[58:59]
	v_add_f64 v[58:59], v[236:237], v[4:5]
	v_mul_f64 v[4:5], v[202:203], v[68:69]
	s_waitcnt vmcnt(44)
	v_fmac_f64_e32 v[60:61], v[56:57], v[186:187]
	v_fma_f64 v[96:97], v[200:201], v[82:83], -v[4:5]
	buffer_load_dword v236, off, s[0:3], 0 offset:728
	buffer_load_dword v4, off, s[0:3], 0 offset:720
	;; [unrolled: 1-line block ×4, first 2 shown]
	v_add_f64 v[82:83], v[58:59], v[60:61]
	ds_read_b128 v[58:61], v1 offset:1264
	ds_read_b128 v[204:207], v1 offset:1280
	;; [unrolled: 1-line block ×3, first 2 shown]
	v_fma_f64 v[202:203], v[244:245], v[76:77], -v[74:75]
	ds_read_b128 v[74:77], v1 offset:1328
	s_waitcnt lgkmcnt(3)
	v_mul_f64 v[84:85], v[58:59], v[158:159]
	v_fmac_f64_e32 v[84:85], v[60:61], v[162:163]
	s_waitcnt vmcnt(42) lgkmcnt(2)
	v_mul_f64 v[72:73], v[204:205], v[188:189]
	v_add_f64 v[70:71], v[82:83], v[84:85]
	s_waitcnt vmcnt(40)
	v_fmac_f64_e32 v[72:73], v[206:207], v[190:191]
	v_add_f64 v[70:71], v[70:71], v[72:73]
	s_waitcnt lgkmcnt(1)
	v_mul_f64 v[72:73], v[66:67], v[166:167]
	v_fmac_f64_e32 v[72:73], v[68:69], v[170:171]
	v_add_f64 v[82:83], v[70:71], v[72:73]
	ds_read_b128 v[70:73], v1 offset:1312
	ds_read_b128 v[78:81], v1 offset:1344
	;; [unrolled: 1-line block ×4, first 2 shown]
	v_mul_f64 v[100:101], v[100:101], v[102:103]
	s_waitcnt vmcnt(34) lgkmcnt(3)
	v_mul_f64 v[84:85], v[70:71], v[192:193]
	s_waitcnt vmcnt(32)
	v_fmac_f64_e32 v[84:85], v[72:73], v[194:195]
	v_add_f64 v[82:83], v[82:83], v[84:85]
	v_mul_f64 v[84:85], v[74:75], v[174:175]
	v_fmac_f64_e32 v[84:85], v[76:77], v[178:179]
	v_add_f64 v[82:83], v[82:83], v[84:85]
	v_fma_f64 v[254:255], v[98:99], v[104:105], -v[100:101]
	ds_read_b128 v[98:101], v1 offset:1424
	v_mul_f64 v[102:103], v[118:119], v[106:107]
	v_fma_f64 v[62:63], v[116:117], v[62:63], -v[102:103]
	ds_read_b128 v[102:105], v1 offset:1440
	v_accvgpr_write_b32 a147, v63
	v_accvgpr_write_b32 a146, v62
	v_add_f64 v[2:3], v[2:3], 0
	v_add_f64 v[2:3], v[2:3], v[238:239]
	;; [unrolled: 1-line block ×4, first 2 shown]
	ds_read_b128 v[86:89], v1 offset:1376
	v_add_f64 v[2:3], v[2:3], v[64:65]
	v_add_f64 v[2:3], v[2:3], v[242:243]
	;; [unrolled: 1-line block ×6, first 2 shown]
	v_accvgpr_read_b32 v64, a142
	v_add_f64 v[252:253], v[2:3], v[254:255]
	v_accvgpr_read_b32 v2, a146
	v_accvgpr_read_b32 v65, a143
	;; [unrolled: 1-line block ×4, first 2 shown]
	v_mul_f64 v[64:65], v[122:123], v[64:65]
	v_accvgpr_read_b32 v95, a145
	v_add_f64 v[2:3], v[252:253], v[2:3]
	v_fma_f64 v[64:65], v[120:121], v[94:95], -v[64:65]
	v_mul_f64 v[8:9], v[8:9], v[140:141]
	v_add_f64 v[2:3], v[2:3], v[64:65]
	v_fma_f64 v[6:7], v[6:7], v[144:145], -v[8:9]
	v_add_f64 v[2:3], v[2:3], v[6:7]
	s_waitcnt vmcnt(30) lgkmcnt(5)
	v_mul_f64 v[84:85], v[78:79], v[196:197]
	v_mul_f64 v[6:7], v[12:13], v[124:125]
	s_waitcnt vmcnt(28)
	v_fmac_f64_e32 v[84:85], v[80:81], v[198:199]
	v_add_f64 v[108:109], v[82:83], v[84:85]
	ds_read_b128 v[82:85], v1 offset:1360
	v_fma_f64 v[6:7], v[10:11], v[126:127], -v[6:7]
	s_waitcnt vmcnt(9) lgkmcnt(3)
	v_mul_f64 v[106:107], v[98:99], v[228:229]
	s_waitcnt vmcnt(8)
	v_fmac_f64_e32 v[106:107], v[100:101], v[230:231]
	v_add_f64 v[2:3], v[2:3], v[6:7]
	s_waitcnt lgkmcnt(0)
	v_mul_f64 v[110:111], v[82:83], v[214:215]
	v_fmac_f64_e32 v[110:111], v[84:85], v[216:217]
	v_add_f64 v[108:109], v[108:109], v[110:111]
	v_mul_f64 v[110:111], v[86:87], v[218:219]
	v_fmac_f64_e32 v[110:111], v[88:89], v[222:223]
	v_add_f64 v[108:109], v[108:109], v[110:111]
	;; [unrolled: 3-line block ×4, first 2 shown]
	v_add_f64 v[62:63], v[62:63], v[106:107]
	s_waitcnt vmcnt(6)
	v_mul_f64 v[106:107], v[102:103], v[232:233]
	s_waitcnt vmcnt(4)
	v_fmac_f64_e32 v[106:107], v[104:105], v[234:235]
	v_add_f64 v[62:63], v[62:63], v[106:107]
	ds_read_b128 v[106:109], v1 offset:1456
	buffer_load_dword v201, off, s[0:3], 0 offset:748
	buffer_load_dword v200, off, s[0:3], 0 offset:744
	;; [unrolled: 1-line block ×4, first 2 shown]
	v_mul_f64 v[6:7], v[16:17], v[148:149]
	v_fma_f64 v[6:7], v[14:15], v[152:153], -v[6:7]
	v_add_f64 v[2:3], v[2:3], v[6:7]
	s_waitcnt vmcnt(5) lgkmcnt(0)
	v_mul_f64 v[110:111], v[106:107], v[236:237]
	s_waitcnt vmcnt(4)
	v_fmac_f64_e32 v[110:111], v[108:109], v[4:5]
	v_add_f64 v[62:63], v[62:63], v[110:111]
	ds_read_b128 v[110:113], v1 offset:1472
	buffer_load_dword v244, off, s[0:3], 0 offset:760
	buffer_load_dword v245, off, s[0:3], 0 offset:764
	;; [unrolled: 1-line block ×4, first 2 shown]
	v_mul_f64 v[6:7], v[20:21], v[128:129]
	v_fma_f64 v[6:7], v[18:19], v[130:131], -v[6:7]
	v_add_f64 v[2:3], v[2:3], v[6:7]
	v_mul_f64 v[6:7], v[24:25], v[156:157]
	v_fma_f64 v[6:7], v[22:23], v[160:161], -v[6:7]
	v_add_f64 v[2:3], v[2:3], v[6:7]
	;; [unrolled: 3-line block ×23, first 2 shown]
	s_waitcnt vmcnt(6) lgkmcnt(0)
	v_mul_f64 v[114:115], v[110:111], v[200:201]
	v_mul_f64 v[4:5], v[112:113], v[200:201]
	s_waitcnt vmcnt(4)
	v_fmac_f64_e32 v[114:115], v[112:113], v[240:241]
	v_add_f64 v[62:63], v[62:63], v[114:115]
	ds_read_b128 v[114:117], v1 offset:1488
	buffer_load_dword v250, off, s[0:3], 0 offset:96
	buffer_load_dword v251, off, s[0:3], 0 offset:100
	;; [unrolled: 1-line block ×4, first 2 shown]
	v_fma_f64 v[4:5], v[110:111], v[240:241], -v[4:5]
	v_add_f64 v[2:3], v[2:3], v[4:5]
	s_waitcnt vmcnt(6) lgkmcnt(0)
	v_mul_f64 v[4:5], v[116:117], v[244:245]
	v_mul_f64 v[118:119], v[114:115], v[244:245]
	s_waitcnt vmcnt(4)
	v_fma_f64 v[4:5], v[114:115], v[246:247], -v[4:5]
	v_fmac_f64_e32 v[118:119], v[116:117], v[246:247]
	v_add_f64 v[2:3], v[2:3], v[4:5]
	v_add_f64 v[62:63], v[62:63], v[118:119]
	s_waitcnt vmcnt(2)
	v_add_f64 v[2:3], v[250:251], -v[2:3]
	s_waitcnt vmcnt(0)
	v_add_f64 v[4:5], v[248:249], -v[62:63]
	buffer_store_dword v3, off, s[0:3], 0 offset:100
	buffer_store_dword v2, off, s[0:3], 0 offset:96
	;; [unrolled: 1-line block ×4, first 2 shown]
	s_and_saveexec_b64 s[4:5], vcc
	s_cbranch_execz .LBB46_287
; %bb.286:
	v_accvgpr_read_b32 v0, a136
	buffer_load_dword v2, v0, s[0:3], 0 offen
	buffer_load_dword v3, v0, s[0:3], 0 offen offset:4
	buffer_load_dword v4, v0, s[0:3], 0 offen offset:8
	;; [unrolled: 1-line block ×3, first 2 shown]
	v_accvgpr_read_b32 v0, a141
	buffer_store_dword v1, off, s[0:3], 0 offset:80
	buffer_store_dword v1, off, s[0:3], 0 offset:84
	;; [unrolled: 1-line block ×4, first 2 shown]
	s_waitcnt vmcnt(4)
	ds_write_b128 v0, v[2:5]
.LBB46_287:
	s_or_b64 exec, exec, s[4:5]
	s_waitcnt lgkmcnt(0)
	; wave barrier
	s_waitcnt lgkmcnt(0)
	buffer_load_dword v58, off, s[0:3], 0 offset:96
	buffer_load_dword v59, off, s[0:3], 0 offset:100
	;; [unrolled: 1-line block ×42, first 2 shown]
	ds_read_b128 v[110:113], v1 offset:832
	ds_read_b128 v[114:117], v1 offset:848
	;; [unrolled: 1-line block ×10, first 2 shown]
	buffer_load_dword v235, off, s[0:3], 0 offset:244
	buffer_load_dword v234, off, s[0:3], 0 offset:240
	ds_read_b128 v[90:93], v1 offset:992
	buffer_load_dword v105, off, s[0:3], 0 offset:300
	buffer_load_dword v104, off, s[0:3], 0 offset:296
	;; [unrolled: 1-line block ×6, first 2 shown]
	s_waitcnt vmcnt(46) lgkmcnt(10)
	v_mul_f64 v[2:3], v[110:111], v[60:61]
	v_fmac_f64_e32 v[2:3], v[112:113], v[58:59]
	v_add_f64 v[2:3], v[2:3], 0
	v_mul_f64 v[60:61], v[112:113], v[60:61]
	s_waitcnt vmcnt(42) lgkmcnt(9)
	v_mul_f64 v[4:5], v[114:115], v[62:63]
	v_fmac_f64_e32 v[4:5], v[116:117], v[56:57]
	v_add_f64 v[2:3], v[2:3], v[4:5]
	buffer_load_dword v237, off, s[0:3], 0 offset:276
	buffer_load_dword v236, off, s[0:3], 0 offset:272
	;; [unrolled: 1-line block ×4, first 2 shown]
	s_waitcnt vmcnt(44) lgkmcnt(8)
	v_mul_f64 v[6:7], v[200:201], v[54:55]
	s_waitcnt vmcnt(42) lgkmcnt(6)
	v_mul_f64 v[10:11], v[208:209], v[64:65]
	s_waitcnt vmcnt(40)
	v_fmac_f64_e32 v[10:11], v[210:211], v[66:67]
	v_mul_f64 v[54:55], v[202:203], v[54:55]
	s_waitcnt vmcnt(38)
	v_mul_f64 v[8:9], v[204:205], v[68:69]
	s_waitcnt vmcnt(36) lgkmcnt(4)
	v_mul_f64 v[14:15], v[242:243], v[70:71]
	s_waitcnt vmcnt(34)
	v_fmac_f64_e32 v[14:15], v[244:245], v[72:73]
	s_waitcnt vmcnt(32)
	v_mul_f64 v[12:13], v[238:239], v[74:75]
	s_waitcnt vmcnt(30) lgkmcnt(2)
	v_mul_f64 v[18:19], v[250:251], v[78:79]
	v_mul_f64 v[78:79], v[252:253], v[78:79]
	s_waitcnt vmcnt(27)
	v_mul_f64 v[16:17], v[246:247], v[76:77]
	s_waitcnt vmcnt(25) lgkmcnt(1)
	v_mul_f64 v[20:21], v[82:83], v[86:87]
	s_waitcnt vmcnt(23)
	v_fmac_f64_e32 v[6:7], v[202:203], v[100:101]
	v_add_f64 v[2:3], v[2:3], v[6:7]
	s_waitcnt vmcnt(21)
	v_fmac_f64_e32 v[8:9], v[206:207], v[98:99]
	v_add_f64 v[2:3], v[2:3], v[8:9]
	;; [unrolled: 3-line block ×3, first 2 shown]
	v_add_f64 v[2:3], v[2:3], v[12:13]
	s_waitcnt vmcnt(17)
	v_fmac_f64_e32 v[16:17], v[248:249], v[88:89]
	v_add_f64 v[2:3], v[2:3], v[14:15]
	s_waitcnt vmcnt(16)
	v_fmac_f64_e32 v[18:19], v[252:253], v[80:81]
	v_add_f64 v[2:3], v[2:3], v[16:17]
	v_add_f64 v[2:3], v[2:3], v[18:19]
	v_fma_f64 v[54:55], v[200:201], v[100:101], -v[54:55]
	s_waitcnt vmcnt(10)
	v_fmac_f64_e32 v[20:21], v[84:85], v[234:235]
	v_add_f64 v[2:3], v[2:3], v[20:21]
	v_fma_f64 v[250:251], v[250:251], v[80:81], -v[78:79]
	v_mul_f64 v[84:85], v[84:85], v[86:87]
	v_fma_f64 v[252:253], v[82:83], v[234:235], -v[84:85]
	s_waitcnt vmcnt(0)
	v_pk_mov_b32 v[18:19], v[4:5], v[4:5] op_sel:[0,1]
	buffer_load_dword v5, off, s[0:3], 0 offset:324
	buffer_load_dword v4, off, s[0:3], 0 offset:320
	v_accvgpr_write_b32 a143, v19
	v_accvgpr_write_b32 a142, v18
	s_waitcnt vmcnt(0)
	v_pk_mov_b32 v[22:23], v[4:5], v[4:5] op_sel:[0,1]
	buffer_load_dword v137, off, s[0:3], 0 offset:316
	buffer_load_dword v136, off, s[0:3], 0 offset:312
	;; [unrolled: 1-line block ×6, first 2 shown]
	v_accvgpr_write_b32 a145, v23
	v_accvgpr_write_b32 a144, v22
	s_waitcnt vmcnt(0)
	v_pk_mov_b32 v[26:27], v[4:5], v[4:5] op_sel:[0,1]
	buffer_load_dword v5, off, s[0:3], 0 offset:356
	buffer_load_dword v4, off, s[0:3], 0 offset:352
	v_accvgpr_write_b32 a147, v27
	v_accvgpr_write_b32 a146, v26
	s_waitcnt vmcnt(0)
	v_pk_mov_b32 v[28:29], v[4:5], v[4:5] op_sel:[0,1]
	buffer_load_dword v145, off, s[0:3], 0 offset:348
	buffer_load_dword v144, off, s[0:3], 0 offset:344
	;; [unrolled: 1-line block ×60, first 2 shown]
	ds_read_b128 v[118:121], v1 offset:1008
	ds_read_b128 v[224:227], v1 offset:1024
	;; [unrolled: 1-line block ×5, first 2 shown]
	v_accvgpr_write_b32 a149, v29
	s_waitcnt lgkmcnt(3)
	v_mul_f64 v[8:9], v[224:225], v[104:105]
	v_fmac_f64_e32 v[8:9], v[226:227], v[106:107]
	s_waitcnt lgkmcnt(2)
	v_mul_f64 v[12:13], v[126:127], v[136:137]
	v_fmac_f64_e32 v[12:13], v[128:129], v[140:141]
	;; [unrolled: 3-line block ×3, first 2 shown]
	v_accvgpr_write_b32 a148, v28
	s_waitcnt vmcnt(52)
	v_pk_mov_b32 v[34:35], v[4:5], v[4:5] op_sel:[0,1]
	v_mul_f64 v[4:5], v[90:91], v[96:97]
	v_fmac_f64_e32 v[4:5], v[92:93], v[102:103]
	v_add_f64 v[2:3], v[2:3], v[4:5]
	v_mul_f64 v[4:5], v[118:119], v[108:109]
	v_fmac_f64_e32 v[4:5], v[120:121], v[236:237]
	v_add_f64 v[6:7], v[2:3], v[4:5]
	v_add_f64 v[10:11], v[6:7], v[8:9]
	;; [unrolled: 1-line block ×4, first 2 shown]
	ds_read_b128 v[14:17], v1 offset:1088
	s_waitcnt lgkmcnt(1)
	v_mul_f64 v[20:21], v[122:123], v[144:145]
	v_fmac_f64_e32 v[20:21], v[124:125], v[148:149]
	v_add_f64 v[22:23], v[18:19], v[20:21]
	ds_read_b128 v[18:21], v1 offset:1104
	s_waitcnt lgkmcnt(1)
	v_mul_f64 v[24:25], v[14:15], v[26:27]
	v_fmac_f64_e32 v[24:25], v[16:17], v[28:29]
	v_add_f64 v[26:27], v[22:23], v[24:25]
	ds_read_b128 v[22:25], v1 offset:1120
	s_waitcnt vmcnt(50) lgkmcnt(1)
	v_mul_f64 v[28:29], v[18:19], v[152:153]
	s_waitcnt vmcnt(48)
	v_fmac_f64_e32 v[28:29], v[20:21], v[156:157]
	v_add_f64 v[30:31], v[26:27], v[28:29]
	ds_read_b128 v[26:29], v1 offset:1136
	s_waitcnt lgkmcnt(1)
	v_mul_f64 v[32:33], v[22:23], v[254:255]
	v_fmac_f64_e32 v[32:33], v[24:25], v[34:35]
	v_accvgpr_write_b32 a151, v35
	v_accvgpr_write_b32 a150, v34
	v_add_f64 v[34:35], v[30:31], v[32:33]
	ds_read_b128 v[30:33], v1 offset:1152
	s_waitcnt vmcnt(42) lgkmcnt(1)
	v_mul_f64 v[36:37], v[26:27], v[160:161]
	s_waitcnt vmcnt(40)
	v_fmac_f64_e32 v[36:37], v[28:29], v[164:165]
	v_add_f64 v[38:39], v[34:35], v[36:37]
	ds_read_b128 v[34:37], v1 offset:1168
	s_waitcnt lgkmcnt(1)
	v_mul_f64 v[40:41], v[30:31], v[132:133]
	v_fmac_f64_e32 v[40:41], v[32:33], v[134:135]
	v_add_f64 v[42:43], v[38:39], v[40:41]
	ds_read_b128 v[38:41], v1 offset:1184
	s_waitcnt vmcnt(34) lgkmcnt(1)
	v_mul_f64 v[44:45], v[34:35], v[168:169]
	s_waitcnt vmcnt(32)
	v_fmac_f64_e32 v[44:45], v[36:37], v[172:173]
	v_add_f64 v[46:47], v[42:43], v[44:45]
	ds_read_b128 v[42:45], v1 offset:1200
	s_waitcnt lgkmcnt(1)
	v_mul_f64 v[48:49], v[38:39], v[138:139]
	v_fmac_f64_e32 v[48:49], v[40:41], v[142:143]
	v_add_f64 v[50:51], v[46:47], v[48:49]
	ds_read_b128 v[46:49], v1 offset:1216
	s_waitcnt vmcnt(26) lgkmcnt(1)
	v_mul_f64 v[52:53], v[42:43], v[176:177]
	s_waitcnt vmcnt(24)
	v_fmac_f64_e32 v[52:53], v[44:45], v[178:179]
	v_add_f64 v[2:3], v[50:51], v[52:53]
	ds_read_b128 v[50:53], v1 offset:1232
	buffer_load_dword v13, off, s[0:3], 0 offset:604
	buffer_load_dword v12, off, s[0:3], 0 offset:600
	;; [unrolled: 1-line block ×20, first 2 shown]
	v_fma_f64 v[6:7], v[110:111], v[58:59], -v[60:61]
	v_mul_f64 v[58:59], v[116:117], v[62:63]
	v_fma_f64 v[56:57], v[114:115], v[56:57], -v[58:59]
	v_mul_f64 v[58:59], v[206:207], v[68:69]
	v_fma_f64 v[202:203], v[204:205], v[98:99], -v[58:59]
	buffer_load_dword v206, off, s[0:3], 0 offset:680
	buffer_load_dword v228, off, s[0:3], 0 offset:672
	;; [unrolled: 1-line block ×12, first 2 shown]
	s_waitcnt lgkmcnt(1)
	v_mul_f64 v[4:5], v[46:47], v[146:147]
	v_fmac_f64_e32 v[4:5], v[48:49], v[150:151]
	v_add_f64 v[58:59], v[2:3], v[4:5]
	v_mul_f64 v[2:3], v[210:211], v[64:65]
	v_fma_f64 v[2:3], v[208:209], v[66:67], -v[2:3]
	buffer_load_dword v209, off, s[0:3], 0 offset:732
	buffer_load_dword v208, off, s[0:3], 0 offset:728
	;; [unrolled: 1-line block ×4, first 2 shown]
	ds_read_b128 v[8:11], v1 offset:1248
	s_waitcnt vmcnt(54) lgkmcnt(1)
	v_mul_f64 v[4:5], v[50:51], v[180:181]
	s_waitcnt vmcnt(52)
	v_fmac_f64_e32 v[4:5], v[52:53], v[182:183]
	v_add_f64 v[4:5], v[58:59], v[4:5]
	v_mul_f64 v[58:59], v[240:241], v[74:75]
	v_fma_f64 v[94:95], v[238:239], v[94:95], -v[58:59]
	ds_read_b128 v[58:61], v1 offset:1264
	s_waitcnt lgkmcnt(1)
	v_mul_f64 v[62:63], v[8:9], v[154:155]
	v_fmac_f64_e32 v[62:63], v[10:11], v[158:159]
	v_add_f64 v[4:5], v[4:5], v[62:63]
	ds_read_b128 v[62:65], v1 offset:1280
	v_mul_f64 v[66:67], v[244:245], v[70:71]
	s_waitcnt vmcnt(46) lgkmcnt(1)
	v_mul_f64 v[70:71], v[58:59], v[184:185]
	v_fma_f64 v[242:243], v[242:243], v[72:73], -v[66:67]
	ds_read_b128 v[66:69], v1 offset:1296
	s_waitcnt vmcnt(44)
	v_fmac_f64_e32 v[70:71], v[60:61], v[186:187]
	v_add_f64 v[4:5], v[4:5], v[70:71]
	v_mul_f64 v[70:71], v[248:249], v[76:77]
	v_fma_f64 v[248:249], v[246:247], v[88:89], -v[70:71]
	ds_read_b128 v[70:73], v1 offset:1312
	ds_read_b128 v[78:81], v1 offset:1344
	s_waitcnt lgkmcnt(3)
	v_mul_f64 v[74:75], v[62:63], v[162:163]
	v_fmac_f64_e32 v[74:75], v[64:65], v[166:167]
	v_add_f64 v[4:5], v[4:5], v[74:75]
	s_waitcnt vmcnt(38) lgkmcnt(2)
	v_mul_f64 v[74:75], v[66:67], v[188:189]
	s_waitcnt vmcnt(36)
	v_fmac_f64_e32 v[74:75], v[68:69], v[190:191]
	v_add_f64 v[4:5], v[4:5], v[74:75]
	s_waitcnt lgkmcnt(1)
	v_mul_f64 v[74:75], v[70:71], v[170:171]
	v_fmac_f64_e32 v[74:75], v[72:73], v[174:175]
	v_add_f64 v[4:5], v[4:5], v[74:75]
	ds_read_b128 v[74:77], v1 offset:1328
	ds_read_b128 v[82:85], v1 offset:1360
	v_mul_f64 v[92:93], v[92:93], v[96:97]
	v_fma_f64 v[96:97], v[90:91], v[102:103], -v[92:93]
	v_add_f64 v[6:7], v[6:7], 0
	v_add_f64 v[6:7], v[6:7], v[56:57]
	;; [unrolled: 1-line block ×10, first 2 shown]
	v_mul_f64 v[6:7], v[128:129], v[136:137]
	v_fma_f64 v[6:7], v[126:127], v[140:141], -v[6:7]
	ds_read_b128 v[90:93], v1 offset:1392
	s_waitcnt vmcnt(25) lgkmcnt(1)
	v_mul_f64 v[98:99], v[82:83], v[214:215]
	s_waitcnt vmcnt(23)
	v_fmac_f64_e32 v[98:99], v[84:85], v[220:221]
	v_mul_f64 v[88:89], v[74:75], v[12:13]
	v_fmac_f64_e32 v[88:89], v[76:77], v[130:131]
	v_mul_f64 v[86:87], v[78:79], v[198:199]
	v_add_f64 v[4:5], v[4:5], v[88:89]
	v_fmac_f64_e32 v[86:87], v[80:81], v[212:213]
	v_add_f64 v[4:5], v[4:5], v[86:87]
	ds_read_b128 v[86:89], v1 offset:1376
	v_add_f64 v[4:5], v[4:5], v[98:99]
	s_waitcnt vmcnt(18) lgkmcnt(1)
	v_mul_f64 v[102:103], v[90:91], v[216:217]
	s_waitcnt vmcnt(16)
	v_fmac_f64_e32 v[102:103], v[92:93], v[222:223]
	s_waitcnt lgkmcnt(0)
	v_mul_f64 v[98:99], v[86:87], v[196:197]
	v_fmac_f64_e32 v[98:99], v[88:89], v[218:219]
	v_add_f64 v[4:5], v[4:5], v[98:99]
	v_mul_f64 v[98:99], v[120:121], v[108:109]
	v_fma_f64 v[120:121], v[118:119], v[236:237], -v[98:99]
	ds_read_b128 v[98:101], v1 offset:1408
	ds_read_b128 v[234:237], v1 offset:1424
	v_add_f64 v[4:5], v[4:5], v[102:103]
	v_mul_f64 v[102:103], v[226:227], v[104:105]
	v_fma_f64 v[224:225], v[224:225], v[106:107], -v[102:103]
	ds_read_b128 v[102:105], v1 offset:1440
	s_waitcnt vmcnt(13) lgkmcnt(2)
	v_mul_f64 v[106:107], v[98:99], v[206:207]
	s_waitcnt vmcnt(12)
	v_fmac_f64_e32 v[106:107], v[100:101], v[228:229]
	v_add_f64 v[4:5], v[4:5], v[106:107]
	s_waitcnt vmcnt(9) lgkmcnt(1)
	v_mul_f64 v[106:107], v[234:235], v[230:231]
	s_waitcnt vmcnt(7)
	v_fmac_f64_e32 v[106:107], v[236:237], v[232:233]
	v_add_f64 v[4:5], v[4:5], v[106:107]
	;; [unrolled: 5-line block ×3, first 2 shown]
	ds_read_b128 v[106:109], v1 offset:1456
	buffer_load_dword v238, off, s[0:3], 0 offset:744
	buffer_load_dword v239, off, s[0:3], 0 offset:748
	buffer_load_dword v240, off, s[0:3], 0 offset:736
	buffer_load_dword v241, off, s[0:3], 0 offset:740
	s_waitcnt vmcnt(6) lgkmcnt(0)
	v_mul_f64 v[110:111], v[106:107], v[208:209]
	s_waitcnt vmcnt(4)
	v_fmac_f64_e32 v[110:111], v[108:109], v[210:211]
	v_add_f64 v[4:5], v[4:5], v[110:111]
	ds_read_b128 v[110:113], v1 offset:1472
	buffer_load_dword v245, off, s[0:3], 0 offset:764
	buffer_load_dword v244, off, s[0:3], 0 offset:760
	;; [unrolled: 1-line block ×4, first 2 shown]
	s_waitcnt vmcnt(6) lgkmcnt(0)
	v_mul_f64 v[114:115], v[110:111], v[238:239]
	s_waitcnt vmcnt(4)
	v_fmac_f64_e32 v[114:115], v[112:113], v[240:241]
	v_add_f64 v[4:5], v[4:5], v[114:115]
	ds_read_b128 v[114:117], v1 offset:1488
	buffer_load_dword v250, off, s[0:3], 0 offset:80
	buffer_load_dword v251, off, s[0:3], 0 offset:84
	;; [unrolled: 1-line block ×4, first 2 shown]
	v_accvgpr_read_b32 v0, a142
	v_accvgpr_read_b32 v1, a143
	s_waitcnt vmcnt(6) lgkmcnt(0)
	v_mul_f64 v[118:119], v[114:115], v[244:245]
	s_waitcnt vmcnt(4)
	v_fmac_f64_e32 v[118:119], v[116:117], v[246:247]
	v_add_f64 v[4:5], v[4:5], v[118:119]
	v_add_f64 v[118:119], v[2:3], v[96:97]
	;; [unrolled: 1-line block ×5, first 2 shown]
	v_mul_f64 v[6:7], v[194:195], v[0:1]
	v_accvgpr_read_b32 v0, a144
	v_accvgpr_read_b32 v1, a145
	v_fma_f64 v[6:7], v[192:193], v[0:1], -v[6:7]
	v_add_f64 v[2:3], v[2:3], v[6:7]
	v_mul_f64 v[6:7], v[124:125], v[144:145]
	v_accvgpr_read_b32 v0, a146
	v_fma_f64 v[6:7], v[122:123], v[148:149], -v[6:7]
	v_accvgpr_read_b32 v1, a147
	v_add_f64 v[2:3], v[2:3], v[6:7]
	v_mul_f64 v[6:7], v[16:17], v[0:1]
	v_accvgpr_read_b32 v0, a148
	v_accvgpr_read_b32 v1, a149
	v_fma_f64 v[6:7], v[14:15], v[0:1], -v[6:7]
	v_add_f64 v[2:3], v[2:3], v[6:7]
	v_mul_f64 v[6:7], v[20:21], v[152:153]
	v_fma_f64 v[6:7], v[18:19], v[156:157], -v[6:7]
	v_accvgpr_read_b32 v0, a150
	v_add_f64 v[2:3], v[2:3], v[6:7]
	v_mul_f64 v[6:7], v[24:25], v[254:255]
	v_accvgpr_read_b32 v1, a151
	v_fma_f64 v[6:7], v[22:23], v[0:1], -v[6:7]
	v_add_f64 v[2:3], v[2:3], v[6:7]
	v_mul_f64 v[6:7], v[28:29], v[160:161]
	v_fma_f64 v[6:7], v[26:27], v[164:165], -v[6:7]
	v_add_f64 v[2:3], v[2:3], v[6:7]
	v_mul_f64 v[6:7], v[32:33], v[132:133]
	v_fma_f64 v[6:7], v[30:31], v[134:135], -v[6:7]
	v_add_f64 v[2:3], v[2:3], v[6:7]
	v_mul_f64 v[6:7], v[36:37], v[168:169]
	v_fma_f64 v[6:7], v[34:35], v[172:173], -v[6:7]
	v_add_f64 v[2:3], v[2:3], v[6:7]
	v_mul_f64 v[6:7], v[40:41], v[138:139]
	v_fma_f64 v[6:7], v[38:39], v[142:143], -v[6:7]
	v_add_f64 v[2:3], v[2:3], v[6:7]
	v_mul_f64 v[6:7], v[44:45], v[176:177]
	v_fma_f64 v[6:7], v[42:43], v[178:179], -v[6:7]
	v_add_f64 v[2:3], v[2:3], v[6:7]
	v_mul_f64 v[6:7], v[48:49], v[146:147]
	v_fma_f64 v[6:7], v[46:47], v[150:151], -v[6:7]
	v_add_f64 v[2:3], v[2:3], v[6:7]
	v_mul_f64 v[6:7], v[52:53], v[180:181]
	v_fma_f64 v[6:7], v[50:51], v[182:183], -v[6:7]
	v_add_f64 v[2:3], v[2:3], v[6:7]
	v_mul_f64 v[6:7], v[10:11], v[154:155]
	v_fma_f64 v[6:7], v[8:9], v[158:159], -v[6:7]
	v_add_f64 v[2:3], v[2:3], v[6:7]
	v_mul_f64 v[6:7], v[60:61], v[184:185]
	v_fma_f64 v[6:7], v[58:59], v[186:187], -v[6:7]
	v_add_f64 v[2:3], v[2:3], v[6:7]
	v_mul_f64 v[6:7], v[64:65], v[162:163]
	v_fma_f64 v[6:7], v[62:63], v[166:167], -v[6:7]
	v_add_f64 v[2:3], v[2:3], v[6:7]
	v_mul_f64 v[6:7], v[68:69], v[188:189]
	v_fma_f64 v[6:7], v[66:67], v[190:191], -v[6:7]
	v_add_f64 v[2:3], v[2:3], v[6:7]
	v_mul_f64 v[6:7], v[72:73], v[170:171]
	v_fma_f64 v[6:7], v[70:71], v[174:175], -v[6:7]
	v_add_f64 v[2:3], v[2:3], v[6:7]
	v_mul_f64 v[6:7], v[76:77], v[12:13]
	v_fma_f64 v[6:7], v[74:75], v[130:131], -v[6:7]
	v_add_f64 v[2:3], v[2:3], v[6:7]
	v_mul_f64 v[6:7], v[80:81], v[198:199]
	v_fma_f64 v[6:7], v[78:79], v[212:213], -v[6:7]
	v_add_f64 v[2:3], v[2:3], v[6:7]
	v_mul_f64 v[6:7], v[84:85], v[214:215]
	v_fma_f64 v[6:7], v[82:83], v[220:221], -v[6:7]
	v_add_f64 v[2:3], v[2:3], v[6:7]
	v_mul_f64 v[6:7], v[88:89], v[196:197]
	v_fma_f64 v[6:7], v[86:87], v[218:219], -v[6:7]
	v_add_f64 v[2:3], v[2:3], v[6:7]
	v_mul_f64 v[6:7], v[92:93], v[216:217]
	v_fma_f64 v[6:7], v[90:91], v[222:223], -v[6:7]
	v_add_f64 v[2:3], v[2:3], v[6:7]
	v_mul_f64 v[6:7], v[100:101], v[206:207]
	v_fma_f64 v[6:7], v[98:99], v[228:229], -v[6:7]
	v_add_f64 v[2:3], v[2:3], v[6:7]
	v_mul_f64 v[6:7], v[236:237], v[230:231]
	v_fma_f64 v[6:7], v[234:235], v[232:233], -v[6:7]
	v_add_f64 v[2:3], v[2:3], v[6:7]
	v_mul_f64 v[6:7], v[104:105], v[204:205]
	v_fma_f64 v[6:7], v[102:103], v[200:201], -v[6:7]
	v_add_f64 v[2:3], v[2:3], v[6:7]
	v_mul_f64 v[6:7], v[108:109], v[208:209]
	v_fma_f64 v[6:7], v[106:107], v[210:211], -v[6:7]
	v_add_f64 v[2:3], v[2:3], v[6:7]
	v_mul_f64 v[6:7], v[112:113], v[238:239]
	v_fma_f64 v[6:7], v[110:111], v[240:241], -v[6:7]
	v_add_f64 v[2:3], v[2:3], v[6:7]
	v_mul_f64 v[6:7], v[116:117], v[244:245]
	v_fma_f64 v[6:7], v[114:115], v[246:247], -v[6:7]
	v_add_f64 v[2:3], v[2:3], v[6:7]
	v_accvgpr_read_b32 v0, a140
	s_waitcnt vmcnt(2)
	v_add_f64 v[2:3], v[250:251], -v[2:3]
	v_cmp_lt_u32_e32 vcc, 3, v0
	s_waitcnt vmcnt(0)
	v_add_f64 v[4:5], v[248:249], -v[4:5]
	buffer_store_dword v3, off, s[0:3], 0 offset:84
	buffer_store_dword v2, off, s[0:3], 0 offset:80
	;; [unrolled: 1-line block ×4, first 2 shown]
	s_and_saveexec_b64 s[4:5], vcc
	s_cbranch_execz .LBB46_289
; %bb.288:
	v_accvgpr_read_b32 v0, a137
	buffer_load_dword v2, v0, s[0:3], 0 offen
	buffer_load_dword v3, v0, s[0:3], 0 offen offset:4
	buffer_load_dword v4, v0, s[0:3], 0 offen offset:8
	;; [unrolled: 1-line block ×3, first 2 shown]
	v_mov_b32_e32 v0, 0
	v_accvgpr_read_b32 v1, a141
	buffer_store_dword v0, off, s[0:3], 0 offset:64
	buffer_store_dword v0, off, s[0:3], 0 offset:68
	;; [unrolled: 1-line block ×4, first 2 shown]
	s_waitcnt vmcnt(4)
	ds_write_b128 v1, v[2:5]
.LBB46_289:
	s_or_b64 exec, exec, s[4:5]
	s_waitcnt lgkmcnt(0)
	; wave barrier
	s_waitcnt lgkmcnt(0)
	buffer_load_dword v50, off, s[0:3], 0 offset:80
	buffer_load_dword v51, off, s[0:3], 0 offset:84
	buffer_load_dword v212, off, s[0:3], 0 offset:88
	buffer_load_dword v213, off, s[0:3], 0 offset:92
	buffer_load_dword v52, off, s[0:3], 0 offset:96
	buffer_load_dword v53, off, s[0:3], 0 offset:100
	buffer_load_dword v58, off, s[0:3], 0 offset:104
	buffer_load_dword v59, off, s[0:3], 0 offset:108
	buffer_load_dword v216, off, s[0:3], 0 offset:120
	buffer_load_dword v217, off, s[0:3], 0 offset:124
	buffer_load_dword v221, off, s[0:3], 0 offset:156
	buffer_load_dword v220, off, s[0:3], 0 offset:152
	buffer_load_dword v61, off, s[0:3], 0 offset:148
	buffer_load_dword v60, off, s[0:3], 0 offset:144
	buffer_load_dword v65, off, s[0:3], 0 offset:140
	buffer_load_dword v64, off, s[0:3], 0 offset:136
	buffer_load_dword v67, off, s[0:3], 0 offset:188
	buffer_load_dword v66, off, s[0:3], 0 offset:184
	buffer_load_dword v71, off, s[0:3], 0 offset:180
	buffer_load_dword v70, off, s[0:3], 0 offset:176
	buffer_load_dword v77, off, s[0:3], 0 offset:172
	buffer_load_dword v76, off, s[0:3], 0 offset:168
	buffer_load_dword v69, off, s[0:3], 0 offset:204
	buffer_load_dword v68, off, s[0:3], 0 offset:200
	buffer_load_dword v82, off, s[0:3], 0 offset:112
	buffer_load_dword v83, off, s[0:3], 0 offset:116
	buffer_load_dword v81, off, s[0:3], 0 offset:132
	buffer_load_dword v80, off, s[0:3], 0 offset:128
	buffer_load_dword v79, off, s[0:3], 0 offset:164
	buffer_load_dword v78, off, s[0:3], 0 offset:160
	buffer_load_dword v73, off, s[0:3], 0 offset:196
	buffer_load_dword v72, off, s[0:3], 0 offset:192
	buffer_load_dword v74, off, s[0:3], 0 offset:216
	buffer_load_dword v84, off, s[0:3], 0 offset:208
	buffer_load_dword v85, off, s[0:3], 0 offset:212
	buffer_load_dword v75, off, s[0:3], 0 offset:220
	buffer_load_dword v87, off, s[0:3], 0 offset:252
	buffer_load_dword v86, off, s[0:3], 0 offset:248
	buffer_load_dword v89, off, s[0:3], 0 offset:244
	buffer_load_dword v88, off, s[0:3], 0 offset:240
	buffer_load_dword v91, off, s[0:3], 0 offset:236
	buffer_load_dword v90, off, s[0:3], 0 offset:232
	buffer_load_dword v93, off, s[0:3], 0 offset:228
	buffer_load_dword v92, off, s[0:3], 0 offset:224
	buffer_load_dword v95, off, s[0:3], 0 offset:284
	buffer_load_dword v94, off, s[0:3], 0 offset:280
	buffer_load_dword v97, off, s[0:3], 0 offset:276
	buffer_load_dword v96, off, s[0:3], 0 offset:272
	buffer_load_dword v99, off, s[0:3], 0 offset:268
	buffer_load_dword v98, off, s[0:3], 0 offset:264
	buffer_load_dword v101, off, s[0:3], 0 offset:260
	buffer_load_dword v100, off, s[0:3], 0 offset:256
	buffer_load_dword v3, off, s[0:3], 0 offset:316
	buffer_load_dword v2, off, s[0:3], 0 offset:312
	v_mov_b32_e32 v1, 0
	ds_read_b128 v[102:105], v1 offset:816
	ds_read_b128 v[106:109], v1 offset:832
	;; [unrolled: 1-line block ×9, first 2 shown]
	v_accvgpr_read_b32 v0, a140
	v_cmp_lt_u32_e32 vcc, 2, v0
	s_waitcnt vmcnt(46) lgkmcnt(7)
	v_mul_f64 v[4:5], v[106:107], v[58:59]
	v_fmac_f64_e32 v[4:5], v[108:109], v[52:53]
	s_waitcnt vmcnt(44) lgkmcnt(6)
	v_mul_f64 v[6:7], v[110:111], v[216:217]
	s_waitcnt vmcnt(42) lgkmcnt(4)
	v_mul_f64 v[10:11], v[200:201], v[220:221]
	s_waitcnt vmcnt(40)
	v_fmac_f64_e32 v[10:11], v[202:203], v[60:61]
	s_waitcnt vmcnt(38)
	v_mul_f64 v[8:9], v[114:115], v[64:65]
	s_waitcnt vmcnt(36) lgkmcnt(2)
	v_mul_f64 v[14:15], v[208:209], v[66:67]
	v_mul_f64 v[66:67], v[210:211], v[66:67]
	s_waitcnt vmcnt(34)
	v_fmac_f64_e32 v[14:15], v[210:211], v[70:71]
	s_waitcnt vmcnt(32)
	v_mul_f64 v[12:13], v[204:205], v[76:77]
	s_waitcnt vmcnt(30) lgkmcnt(1)
	v_mul_f64 v[16:17], v[236:237], v[68:69]
	s_waitcnt vmcnt(28)
	v_fmac_f64_e32 v[6:7], v[112:113], v[82:83]
	s_waitcnt vmcnt(26)
	v_fmac_f64_e32 v[8:9], v[116:117], v[80:81]
	;; [unrolled: 2-line block ×4, first 2 shown]
	s_waitcnt vmcnt(0)
	v_pk_mov_b32 v[18:19], v[2:3], v[2:3] op_sel:[0,1]
	v_mul_f64 v[2:3], v[102:103], v[212:213]
	v_fmac_f64_e32 v[2:3], v[104:105], v[50:51]
	v_add_f64 v[2:3], v[2:3], 0
	v_add_f64 v[2:3], v[2:3], v[4:5]
	buffer_load_dword v5, off, s[0:3], 0 offset:308
	buffer_load_dword v4, off, s[0:3], 0 offset:304
	v_add_f64 v[2:3], v[2:3], v[6:7]
	v_add_f64 v[2:3], v[2:3], v[8:9]
	;; [unrolled: 1-line block ×6, first 2 shown]
	v_accvgpr_write_b32 a143, v19
	v_accvgpr_write_b32 a142, v18
	s_waitcnt vmcnt(0)
	v_pk_mov_b32 v[14:15], v[4:5], v[4:5] op_sel:[0,1]
	buffer_load_dword v63, off, s[0:3], 0 offset:300
	buffer_load_dword v62, off, s[0:3], 0 offset:296
	;; [unrolled: 1-line block ×6, first 2 shown]
	v_accvgpr_write_b32 a145, v15
	v_accvgpr_write_b32 a144, v14
	s_waitcnt vmcnt(0)
	v_pk_mov_b32 v[22:23], v[4:5], v[4:5] op_sel:[0,1]
	buffer_load_dword v5, off, s[0:3], 0 offset:340
	buffer_load_dword v4, off, s[0:3], 0 offset:336
	v_accvgpr_write_b32 a147, v23
	v_accvgpr_write_b32 a146, v22
	s_waitcnt vmcnt(0)
	v_pk_mov_b32 v[24:25], v[4:5], v[4:5] op_sel:[0,1]
	buffer_load_dword v141, off, s[0:3], 0 offset:332
	buffer_load_dword v140, off, s[0:3], 0 offset:328
	;; [unrolled: 1-line block ×52, first 2 shown]
	ds_read_b128 v[244:247], v1 offset:960
	ds_read_b128 v[248:251], v1 offset:976
	ds_read_b128 v[252:255], v1 offset:992
	ds_read_b128 v[118:121], v1 offset:1008
	ds_read_b128 v[54:57], v1 offset:1024
	ds_read_b128 v[126:129], v1 offset:1040
	ds_read_b128 v[122:125], v1 offset:1056
	v_accvgpr_write_b32 a149, v25
	v_accvgpr_write_b32 a148, v24
	s_waitcnt lgkmcnt(2)
	v_mul_f64 v[8:9], v[54:55], v[62:63]
	v_fmac_f64_e32 v[8:9], v[56:57], v[222:223]
	s_waitcnt lgkmcnt(1)
	v_mul_f64 v[12:13], v[126:127], v[18:19]
	v_fmac_f64_e32 v[12:13], v[128:129], v[14:15]
	v_mul_f64 v[56:57], v[56:57], v[62:63]
	s_waitcnt vmcnt(46)
	v_pk_mov_b32 v[30:31], v[4:5], v[4:5] op_sel:[0,1]
	v_mul_f64 v[4:5], v[240:241], v[74:75]
	v_fmac_f64_e32 v[4:5], v[242:243], v[84:85]
	v_add_f64 v[2:3], v[2:3], v[4:5]
	v_mul_f64 v[4:5], v[244:245], v[90:91]
	v_fmac_f64_e32 v[4:5], v[246:247], v[92:93]
	v_add_f64 v[2:3], v[2:3], v[4:5]
	;; [unrolled: 3-line block ×5, first 2 shown]
	v_add_f64 v[10:11], v[6:7], v[8:9]
	v_add_f64 v[14:15], v[10:11], v[12:13]
	ds_read_b128 v[10:13], v1 offset:1072
	s_waitcnt lgkmcnt(1)
	v_mul_f64 v[16:17], v[122:123], v[140:141]
	v_fmac_f64_e32 v[16:17], v[124:125], v[144:145]
	v_add_f64 v[18:19], v[14:15], v[16:17]
	ds_read_b128 v[14:17], v1 offset:1088
	s_waitcnt lgkmcnt(1)
	v_mul_f64 v[20:21], v[10:11], v[22:23]
	v_fmac_f64_e32 v[20:21], v[12:13], v[24:25]
	v_add_f64 v[22:23], v[18:19], v[20:21]
	ds_read_b128 v[18:21], v1 offset:1104
	s_waitcnt vmcnt(42) lgkmcnt(1)
	v_mul_f64 v[24:25], v[14:15], v[148:149]
	s_waitcnt vmcnt(40)
	v_fmac_f64_e32 v[24:25], v[16:17], v[152:153]
	v_add_f64 v[26:27], v[22:23], v[24:25]
	ds_read_b128 v[22:25], v1 offset:1120
	s_waitcnt lgkmcnt(1)
	v_mul_f64 v[28:29], v[18:19], v[30:31]
	v_accvgpr_write_b32 a151, v31
	v_fmac_f64_e32 v[28:29], v[20:21], v[130:131]
	v_accvgpr_write_b32 a150, v30
	v_add_f64 v[30:31], v[26:27], v[28:29]
	ds_read_b128 v[26:29], v1 offset:1136
	s_waitcnt vmcnt(34) lgkmcnt(1)
	v_mul_f64 v[32:33], v[22:23], v[156:157]
	s_waitcnt vmcnt(32)
	v_fmac_f64_e32 v[32:33], v[24:25], v[160:161]
	v_add_f64 v[34:35], v[30:31], v[32:33]
	ds_read_b128 v[30:33], v1 offset:1152
	s_waitcnt lgkmcnt(1)
	v_mul_f64 v[36:37], v[26:27], v[132:133]
	v_fmac_f64_e32 v[36:37], v[28:29], v[134:135]
	v_add_f64 v[38:39], v[34:35], v[36:37]
	ds_read_b128 v[34:37], v1 offset:1168
	s_waitcnt vmcnt(26) lgkmcnt(1)
	v_mul_f64 v[40:41], v[30:31], v[164:165]
	s_waitcnt vmcnt(24)
	v_fmac_f64_e32 v[40:41], v[32:33], v[166:167]
	v_add_f64 v[42:43], v[38:39], v[40:41]
	ds_read_b128 v[38:41], v1 offset:1184
	s_waitcnt lgkmcnt(1)
	v_mul_f64 v[44:45], v[34:35], v[136:137]
	v_fmac_f64_e32 v[44:45], v[36:37], v[138:139]
	v_add_f64 v[46:47], v[42:43], v[44:45]
	ds_read_b128 v[42:45], v1 offset:1200
	buffer_load_dword v181, off, s[0:3], 0 offset:572
	buffer_load_dword v183, off, s[0:3], 0 offset:556
	;; [unrolled: 1-line block ×8, first 2 shown]
	s_waitcnt vmcnt(26) lgkmcnt(1)
	v_mul_f64 v[48:49], v[38:39], v[168:169]
	s_waitcnt vmcnt(24)
	v_fmac_f64_e32 v[48:49], v[40:41], v[170:171]
	v_add_f64 v[192:193], v[46:47], v[48:49]
	ds_read_b128 v[46:49], v1 offset:1216
	buffer_load_dword v189, off, s[0:3], 0 offset:588
	buffer_load_dword v188, off, s[0:3], 0 offset:584
	;; [unrolled: 1-line block ×4, first 2 shown]
	s_waitcnt lgkmcnt(1)
	v_mul_f64 v[194:195], v[42:43], v[142:143]
	v_fmac_f64_e32 v[194:195], v[44:45], v[146:147]
	v_add_f64 v[2:3], v[192:193], v[194:195]
	buffer_load_dword v193, off, s[0:3], 0 offset:604
	buffer_load_dword v192, off, s[0:3], 0 offset:600
	;; [unrolled: 1-line block ×8, first 2 shown]
	v_mul_f64 v[4:5], v[104:105], v[212:213]
	buffer_load_dword v212, off, s[0:3], 0 offset:632
	buffer_load_dword v214, off, s[0:3], 0 offset:624
	;; [unrolled: 1-line block ×4, first 2 shown]
	v_fma_f64 v[4:5], v[102:103], v[50:51], -v[4:5]
	v_mul_f64 v[50:51], v[108:109], v[58:59]
	v_fma_f64 v[102:103], v[106:107], v[52:53], -v[50:51]
	v_mul_f64 v[50:51], v[112:113], v[216:217]
	buffer_load_dword v217, off, s[0:3], 0 offset:652
	buffer_load_dword v216, off, s[0:3], 0 offset:648
	buffer_load_dword v219, off, s[0:3], 0 offset:644
	buffer_load_dword v218, off, s[0:3], 0 offset:640
	v_fma_f64 v[104:105], v[110:111], v[82:83], -v[50:51]
	v_mul_f64 v[50:51], v[116:117], v[64:65]
	buffer_load_dword v65, off, s[0:3], 0 offset:668
	buffer_load_dword v64, off, s[0:3], 0 offset:664
	buffer_load_dword v225, off, s[0:3], 0 offset:660
	buffer_load_dword v224, off, s[0:3], 0 offset:656
	;; [unrolled: 6-line block ×3, first 2 shown]
	buffer_load_dword v232, off, s[0:3], 0 offset:672
	buffer_load_dword v220, off, s[0:3], 0 offset:696
	buffer_load_dword v231, off, s[0:3], 0 offset:692
	buffer_load_dword v230, off, s[0:3], 0 offset:688
	buffer_load_dword v229, off, s[0:3], 0 offset:716
	buffer_load_dword v228, off, s[0:3], 0 offset:712
	buffer_load_dword v235, off, s[0:3], 0 offset:708
	buffer_load_dword v234, off, s[0:3], 0 offset:704
	v_fma_f64 v[108:109], v[200:201], v[60:61], -v[50:51]
	ds_read_b128 v[50:53], v1 offset:1232
	v_mul_f64 v[60:61], v[206:207], v[76:77]
	v_fma_f64 v[202:203], v[204:205], v[78:79], -v[60:61]
	ds_read_b128 v[204:207], v1 offset:1248
	s_waitcnt vmcnt(54) lgkmcnt(2)
	v_mul_f64 v[58:59], v[46:47], v[172:173]
	s_waitcnt vmcnt(52)
	v_fmac_f64_e32 v[58:59], v[48:49], v[174:175]
	v_add_f64 v[2:3], v[2:3], v[58:59]
	s_waitcnt lgkmcnt(1)
	v_mul_f64 v[58:59], v[50:51], v[150:151]
	v_fmac_f64_e32 v[58:59], v[52:53], v[154:155]
	v_add_f64 v[2:3], v[2:3], v[58:59]
	s_waitcnt vmcnt(46) lgkmcnt(0)
	v_mul_f64 v[58:59], v[204:205], v[176:177]
	s_waitcnt vmcnt(44)
	v_fmac_f64_e32 v[58:59], v[206:207], v[178:179]
	v_add_f64 v[2:3], v[2:3], v[58:59]
	ds_read_b128 v[58:61], v1 offset:1264
	v_fma_f64 v[200:201], v[208:209], v[70:71], -v[66:67]
	ds_read_b128 v[208:211], v1 offset:1280
	v_mul_f64 v[66:67], v[238:239], v[68:69]
	v_fma_f64 v[236:237], v[236:237], v[72:73], -v[66:67]
	ds_read_b128 v[66:69], v1 offset:1296
	s_waitcnt lgkmcnt(2)
	v_mul_f64 v[70:71], v[58:59], v[158:159]
	v_fmac_f64_e32 v[70:71], v[60:61], v[162:163]
	v_add_f64 v[2:3], v[2:3], v[70:71]
	v_mul_f64 v[74:75], v[242:243], v[74:75]
	v_fma_f64 v[242:243], v[240:241], v[84:85], -v[74:75]
	ds_read_b128 v[74:77], v1 offset:1328
	v_mul_f64 v[78:79], v[246:247], v[90:91]
	v_fma_f64 v[238:239], v[244:245], v[92:93], -v[78:79]
	v_mul_f64 v[86:87], v[250:251], v[86:87]
	v_fma_f64 v[248:249], v[248:249], v[88:89], -v[86:87]
	v_mul_f64 v[94:95], v[120:121], v[94:95]
	buffer_load_dword v6, off, s[0:3], 0 offset:728
	v_add_f64 v[4:5], v[4:5], 0
	v_add_f64 v[4:5], v[4:5], v[102:103]
	v_add_f64 v[4:5], v[4:5], v[104:105]
	v_add_f64 v[4:5], v[4:5], v[106:107]
	ds_read_b128 v[78:81], v1 offset:1344
	v_add_f64 v[4:5], v[4:5], v[108:109]
	v_add_f64 v[4:5], v[4:5], v[202:203]
	;; [unrolled: 1-line block ×7, first 2 shown]
	ds_read_b128 v[86:89], v1 offset:1376
	s_waitcnt vmcnt(42) lgkmcnt(4)
	v_mul_f64 v[70:71], v[208:209], v[182:183]
	s_waitcnt vmcnt(40)
	v_fmac_f64_e32 v[70:71], v[210:211], v[186:187]
	v_add_f64 v[2:3], v[2:3], v[70:71]
	s_waitcnt vmcnt(39) lgkmcnt(3)
	v_mul_f64 v[70:71], v[66:67], v[180:181]
	s_waitcnt vmcnt(37)
	v_fmac_f64_e32 v[70:71], v[68:69], v[184:185]
	v_add_f64 v[2:3], v[2:3], v[70:71]
	ds_read_b128 v[70:73], v1 offset:1312
	s_waitcnt vmcnt(35) lgkmcnt(0)
	v_mul_f64 v[82:83], v[70:71], v[188:189]
	s_waitcnt vmcnt(33)
	v_fmac_f64_e32 v[82:83], v[72:73], v[190:191]
	v_add_f64 v[2:3], v[2:3], v[82:83]
	s_waitcnt vmcnt(31)
	v_mul_f64 v[82:83], v[74:75], v[192:193]
	s_waitcnt vmcnt(29)
	v_fmac_f64_e32 v[82:83], v[76:77], v[196:197]
	v_add_f64 v[2:3], v[2:3], v[82:83]
	s_waitcnt vmcnt(27)
	v_mul_f64 v[82:83], v[78:79], v[194:195]
	s_waitcnt vmcnt(25)
	v_fmac_f64_e32 v[82:83], v[80:81], v[198:199]
	v_add_f64 v[2:3], v[2:3], v[82:83]
	ds_read_b128 v[82:85], v1 offset:1360
	s_waitcnt vmcnt(22) lgkmcnt(0)
	v_mul_f64 v[90:91], v[82:83], v[212:213]
	s_waitcnt vmcnt(21)
	v_fmac_f64_e32 v[90:91], v[84:85], v[214:215]
	v_add_f64 v[110:111], v[2:3], v[90:91]
	v_mul_f64 v[90:91], v[254:255], v[98:99]
	v_fma_f64 v[250:251], v[252:253], v[100:101], -v[90:91]
	ds_read_b128 v[90:93], v1 offset:1392
	s_waitcnt vmcnt(19)
	v_mul_f64 v[98:99], v[86:87], v[216:217]
	s_waitcnt vmcnt(17)
	v_fmac_f64_e32 v[98:99], v[88:89], v[218:219]
	v_fma_f64 v[2:3], v[118:119], v[96:97], -v[94:95]
	ds_read_b128 v[94:97], v1 offset:1408
	s_waitcnt vmcnt(15) lgkmcnt(1)
	v_mul_f64 v[8:9], v[90:91], v[64:65]
	v_add_f64 v[98:99], v[110:111], v[98:99]
	s_waitcnt vmcnt(13)
	v_fmac_f64_e32 v[8:9], v[92:93], v[224:225]
	v_add_f64 v[8:9], v[98:99], v[8:9]
	ds_read_b128 v[98:101], v1 offset:1424
	v_fma_f64 v[252:253], v[54:55], v[222:223], -v[56:57]
	ds_read_b128 v[54:57], v1 offset:1440
	s_waitcnt vmcnt(10) lgkmcnt(2)
	v_mul_f64 v[62:63], v[94:95], v[226:227]
	s_waitcnt vmcnt(8)
	v_fmac_f64_e32 v[62:63], v[96:97], v[232:233]
	v_add_f64 v[8:9], v[8:9], v[62:63]
	s_waitcnt vmcnt(7) lgkmcnt(1)
	v_mul_f64 v[62:63], v[98:99], v[220:221]
	s_waitcnt vmcnt(5)
	v_fmac_f64_e32 v[62:63], v[100:101], v[230:231]
	v_add_f64 v[8:9], v[8:9], v[62:63]
	;; [unrolled: 5-line block ×3, first 2 shown]
	buffer_load_dword v62, off, s[0:3], 0 offset:720
	buffer_load_dword v7, off, s[0:3], 0 offset:732
	;; [unrolled: 1-line block ×3, first 2 shown]
	ds_read_b128 v[118:121], v1 offset:1456
	buffer_load_dword v255, off, s[0:3], 0 offset:748
	buffer_load_dword v254, off, s[0:3], 0 offset:744
	;; [unrolled: 1-line block ×4, first 2 shown]
	v_add_f64 v[4:5], v[4:5], v[250:251]
	v_add_f64 v[202:203], v[4:5], v[2:3]
	v_accvgpr_read_b32 v4, a142
	v_accvgpr_read_b32 v5, a143
	v_mul_f64 v[4:5], v[128:129], v[4:5]
	v_add_f64 v[2:3], v[202:203], v[252:253]
	s_waitcnt vmcnt(5) lgkmcnt(0)
	v_mul_f64 v[110:111], v[118:119], v[6:7]
	s_waitcnt vmcnt(4)
	v_fmac_f64_e32 v[110:111], v[120:121], v[62:63]
	v_add_f64 v[8:9], v[8:9], v[110:111]
	ds_read_b128 v[110:113], v1 offset:1472
	buffer_load_dword v244, off, s[0:3], 0 offset:760
	buffer_load_dword v245, off, s[0:3], 0 offset:764
	;; [unrolled: 1-line block ×4, first 2 shown]
	s_waitcnt vmcnt(6) lgkmcnt(0)
	v_mul_f64 v[114:115], v[110:111], v[254:255]
	s_waitcnt vmcnt(4)
	v_fmac_f64_e32 v[114:115], v[112:113], v[240:241]
	v_add_f64 v[8:9], v[8:9], v[114:115]
	ds_read_b128 v[114:117], v1 offset:1488
	buffer_load_dword v250, off, s[0:3], 0 offset:64
	buffer_load_dword v251, off, s[0:3], 0 offset:68
	;; [unrolled: 1-line block ×4, first 2 shown]
	s_waitcnt vmcnt(6) lgkmcnt(0)
	v_mul_f64 v[222:223], v[114:115], v[244:245]
	s_waitcnt vmcnt(4)
	v_fmac_f64_e32 v[222:223], v[116:117], v[246:247]
	v_add_f64 v[222:223], v[8:9], v[222:223]
	v_accvgpr_read_b32 v8, a144
	v_accvgpr_read_b32 v9, a145
	v_fma_f64 v[4:5], v[126:127], v[8:9], -v[4:5]
	v_add_f64 v[2:3], v[2:3], v[4:5]
	v_mul_f64 v[4:5], v[124:125], v[140:141]
	v_fma_f64 v[4:5], v[122:123], v[144:145], -v[4:5]
	v_add_f64 v[2:3], v[2:3], v[4:5]
	v_accvgpr_read_b32 v4, a146
	v_accvgpr_read_b32 v5, a147
	;; [unrolled: 1-line block ×3, first 2 shown]
	v_mul_f64 v[4:5], v[12:13], v[4:5]
	v_accvgpr_read_b32 v9, a149
	v_fma_f64 v[4:5], v[10:11], v[8:9], -v[4:5]
	v_add_f64 v[2:3], v[2:3], v[4:5]
	v_mul_f64 v[4:5], v[16:17], v[148:149]
	v_fma_f64 v[4:5], v[14:15], v[152:153], -v[4:5]
	v_add_f64 v[2:3], v[2:3], v[4:5]
	v_accvgpr_read_b32 v4, a150
	v_accvgpr_read_b32 v5, a151
	v_mul_f64 v[4:5], v[20:21], v[4:5]
	v_fma_f64 v[4:5], v[18:19], v[130:131], -v[4:5]
	v_add_f64 v[2:3], v[2:3], v[4:5]
	v_mul_f64 v[4:5], v[24:25], v[156:157]
	v_fma_f64 v[4:5], v[22:23], v[160:161], -v[4:5]
	v_add_f64 v[2:3], v[2:3], v[4:5]
	;; [unrolled: 3-line block ×25, first 2 shown]
	s_waitcnt vmcnt(2)
	v_add_f64 v[2:3], v[250:251], -v[2:3]
	s_waitcnt vmcnt(0)
	v_add_f64 v[4:5], v[248:249], -v[222:223]
	buffer_store_dword v3, off, s[0:3], 0 offset:68
	buffer_store_dword v2, off, s[0:3], 0 offset:64
	;; [unrolled: 1-line block ×4, first 2 shown]
	s_and_saveexec_b64 s[4:5], vcc
	s_cbranch_execz .LBB46_291
; %bb.290:
	v_accvgpr_read_b32 v0, a138
	buffer_load_dword v2, v0, s[0:3], 0 offen
	buffer_load_dword v3, v0, s[0:3], 0 offen offset:4
	buffer_load_dword v4, v0, s[0:3], 0 offen offset:8
	;; [unrolled: 1-line block ×3, first 2 shown]
	v_accvgpr_read_b32 v0, a141
	buffer_store_dword v1, off, s[0:3], 0 offset:48
	buffer_store_dword v1, off, s[0:3], 0 offset:52
	;; [unrolled: 1-line block ×4, first 2 shown]
	s_waitcnt vmcnt(4)
	ds_write_b128 v0, v[2:5]
.LBB46_291:
	s_or_b64 exec, exec, s[4:5]
	s_waitcnt lgkmcnt(0)
	; wave barrier
	s_waitcnt lgkmcnt(0)
	buffer_load_dword v186, off, s[0:3], 0 offset:64
	buffer_load_dword v187, off, s[0:3], 0 offset:68
	;; [unrolled: 1-line block ×36, first 2 shown]
	ds_read_b128 v[82:85], v1 offset:800
	ds_read_b128 v[78:81], v1 offset:816
	;; [unrolled: 1-line block ×9, first 2 shown]
	buffer_load_dword v201, off, s[0:3], 0 offset:236
	buffer_load_dword v200, off, s[0:3], 0 offset:232
	;; [unrolled: 1-line block ×19, first 2 shown]
	s_waitcnt vmcnt(51) lgkmcnt(8)
	v_mul_f64 v[2:3], v[82:83], v[194:195]
	v_fmac_f64_e32 v[2:3], v[84:85], v[186:187]
	v_add_f64 v[2:3], v[2:3], 0
	s_waitcnt vmcnt(47) lgkmcnt(7)
	v_mul_f64 v[4:5], v[78:79], v[214:215]
	v_fmac_f64_e32 v[4:5], v[80:81], v[212:213]
	v_add_f64 v[2:3], v[2:3], v[4:5]
	buffer_load_dword v246, off, s[0:3], 0 offset:288
	buffer_load_dword v99, off, s[0:3], 0 offset:284
	buffer_load_dword v98, off, s[0:3], 0 offset:280
	buffer_load_dword v101, off, s[0:3], 0 offset:276
	buffer_load_dword v100, off, s[0:3], 0 offset:272
	buffer_load_dword v5, off, s[0:3], 0 offset:332
	buffer_load_dword v4, off, s[0:3], 0 offset:328
	s_waitcnt vmcnt(52) lgkmcnt(6)
	v_mul_f64 v[6:7], v[74:75], v[216:217]
	s_waitcnt vmcnt(50) lgkmcnt(4)
	v_mul_f64 v[10:11], v[62:63], v[228:229]
	s_waitcnt vmcnt(48)
	v_fmac_f64_e32 v[10:11], v[64:65], v[230:231]
	v_mul_f64 v[80:81], v[80:81], v[214:215]
	s_waitcnt vmcnt(46)
	v_mul_f64 v[8:9], v[70:71], v[218:219]
	v_fma_f64 v[78:79], v[78:79], v[212:213], -v[80:81]
	s_waitcnt vmcnt(44) lgkmcnt(2)
	v_mul_f64 v[14:15], v[54:55], v[104:105]
	v_mul_f64 v[64:65], v[64:65], v[228:229]
	s_waitcnt vmcnt(42)
	v_fmac_f64_e32 v[14:15], v[56:57], v[108:109]
	v_mul_f64 v[56:57], v[56:57], v[104:105]
	s_waitcnt vmcnt(40)
	v_mul_f64 v[12:13], v[50:51], v[112:113]
	v_fma_f64 v[104:105], v[54:55], v[108:109], -v[56:57]
	s_waitcnt vmcnt(38) lgkmcnt(1)
	v_mul_f64 v[16:17], v[58:59], v[106:107]
	s_waitcnt vmcnt(36)
	v_fmac_f64_e32 v[6:7], v[76:77], v[196:197]
	v_add_f64 v[2:3], v[2:3], v[6:7]
	s_waitcnt vmcnt(34)
	v_fmac_f64_e32 v[8:9], v[72:73], v[116:117]
	v_add_f64 v[2:3], v[2:3], v[8:9]
	;; [unrolled: 3-line block ×3, first 2 shown]
	v_add_f64 v[2:3], v[2:3], v[12:13]
	s_waitcnt vmcnt(30)
	v_fmac_f64_e32 v[16:17], v[60:61], v[110:111]
	v_add_f64 v[2:3], v[2:3], v[14:15]
	v_add_f64 v[2:3], v[2:3], v[16:17]
	v_mul_f64 v[76:77], v[76:77], v[216:217]
	v_mul_f64 v[72:73], v[72:73], v[218:219]
	;; [unrolled: 1-line block ×3, first 2 shown]
	v_fma_f64 v[80:81], v[74:75], v[196:197], -v[76:77]
	v_fma_f64 v[196:197], v[50:51], v[114:115], -v[52:53]
	v_mul_f64 v[60:61], v[60:61], v[106:107]
	s_waitcnt vmcnt(0)
	v_pk_mov_b32 v[18:19], v[4:5], v[4:5] op_sel:[0,1]
	buffer_load_dword v5, off, s[0:3], 0 offset:324
	buffer_load_dword v4, off, s[0:3], 0 offset:320
	v_accvgpr_write_b32 a143, v19
	v_accvgpr_write_b32 a142, v18
	s_waitcnt vmcnt(0)
	v_pk_mov_b32 v[20:21], v[4:5], v[4:5] op_sel:[0,1]
	buffer_load_dword v137, off, s[0:3], 0 offset:316
	buffer_load_dword v136, off, s[0:3], 0 offset:312
	;; [unrolled: 1-line block ×6, first 2 shown]
	v_accvgpr_write_b32 a145, v21
	v_accvgpr_write_b32 a144, v20
	s_waitcnt vmcnt(0)
	v_pk_mov_b32 v[26:27], v[4:5], v[4:5] op_sel:[0,1]
	buffer_load_dword v5, off, s[0:3], 0 offset:356
	buffer_load_dword v4, off, s[0:3], 0 offset:352
	v_accvgpr_write_b32 a147, v27
	v_accvgpr_write_b32 a146, v26
	s_waitcnt vmcnt(0)
	v_pk_mov_b32 v[28:29], v[4:5], v[4:5] op_sel:[0,1]
	buffer_load_dword v145, off, s[0:3], 0 offset:348
	buffer_load_dword v144, off, s[0:3], 0 offset:344
	;; [unrolled: 1-line block ×6, first 2 shown]
	v_accvgpr_write_b32 a149, v29
	v_accvgpr_write_b32 a148, v28
	s_waitcnt vmcnt(0)
	v_pk_mov_b32 v[34:35], v[4:5], v[4:5] op_sel:[0,1]
	buffer_load_dword v5, off, s[0:3], 0 offset:388
	buffer_load_dword v4, off, s[0:3], 0 offset:384
	v_accvgpr_write_b32 a151, v35
	v_accvgpr_write_b32 a150, v34
	s_waitcnt vmcnt(0)
	v_pk_mov_b32 v[36:37], v[4:5], v[4:5] op_sel:[0,1]
	buffer_load_dword v153, off, s[0:3], 0 offset:380
	buffer_load_dword v152, off, s[0:3], 0 offset:376
	;; [unrolled: 1-line block ×36, first 2 shown]
	ds_read_b128 v[204:207], v1 offset:944
	ds_read_b128 v[208:211], v1 offset:960
	;; [unrolled: 1-line block ×9, first 2 shown]
	v_accvgpr_write_b32 a153, v37
	s_waitcnt lgkmcnt(3)
	v_mul_f64 v[8:9], v[94:95], v[244:245]
	v_fmac_f64_e32 v[8:9], v[96:97], v[246:247]
	s_waitcnt lgkmcnt(2)
	v_mul_f64 v[12:13], v[130:131], v[136:137]
	v_fmac_f64_e32 v[12:13], v[132:133], v[140:141]
	;; [unrolled: 3-line block ×3, first 2 shown]
	v_accvgpr_write_b32 a152, v36
	v_mul_f64 v[106:107], v[210:211], v[200:201]
	v_mul_f64 v[96:97], v[96:97], v[244:245]
	s_waitcnt vmcnt(30)
	v_pk_mov_b32 v[42:43], v[4:5], v[4:5] op_sel:[0,1]
	v_mul_f64 v[4:5], v[66:67], v[102:103]
	v_fmac_f64_e32 v[4:5], v[68:69], v[198:199]
	v_add_f64 v[2:3], v[2:3], v[4:5]
	v_mul_f64 v[4:5], v[204:205], v[240:241]
	v_fmac_f64_e32 v[4:5], v[206:207], v[242:243]
	v_add_f64 v[2:3], v[2:3], v[4:5]
	;; [unrolled: 3-line block ×6, first 2 shown]
	v_add_f64 v[10:11], v[6:7], v[8:9]
	v_add_f64 v[14:15], v[10:11], v[12:13]
	;; [unrolled: 1-line block ×3, first 2 shown]
	ds_read_b128 v[14:17], v1 offset:1088
	s_waitcnt lgkmcnt(1)
	v_mul_f64 v[20:21], v[122:123], v[144:145]
	v_fmac_f64_e32 v[20:21], v[124:125], v[148:149]
	v_add_f64 v[22:23], v[18:19], v[20:21]
	ds_read_b128 v[18:21], v1 offset:1104
	s_waitcnt lgkmcnt(1)
	v_mul_f64 v[24:25], v[14:15], v[26:27]
	v_fmac_f64_e32 v[24:25], v[16:17], v[28:29]
	v_add_f64 v[26:27], v[22:23], v[24:25]
	;; [unrolled: 5-line block ×4, first 2 shown]
	ds_read_b128 v[30:33], v1 offset:1152
	s_waitcnt vmcnt(26) lgkmcnt(1)
	v_mul_f64 v[36:37], v[26:27], v[160:161]
	s_waitcnt vmcnt(24)
	v_fmac_f64_e32 v[36:37], v[28:29], v[162:163]
	v_add_f64 v[38:39], v[34:35], v[36:37]
	ds_read_b128 v[34:37], v1 offset:1168
	s_waitcnt lgkmcnt(1)
	v_mul_f64 v[40:41], v[30:31], v[42:43]
	v_accvgpr_write_b32 a155, v43
	v_fmac_f64_e32 v[40:41], v[32:33], v[134:135]
	v_accvgpr_write_b32 a154, v42
	v_add_f64 v[42:43], v[38:39], v[40:41]
	ds_read_b128 v[38:41], v1 offset:1184
	s_waitcnt vmcnt(18) lgkmcnt(1)
	v_mul_f64 v[44:45], v[34:35], v[164:165]
	s_waitcnt vmcnt(16)
	v_fmac_f64_e32 v[44:45], v[36:37], v[166:167]
	v_add_f64 v[46:47], v[42:43], v[44:45]
	ds_read_b128 v[42:45], v1 offset:1200
	buffer_load_dword v177, off, s[0:3], 0 offset:540
	buffer_load_dword v176, off, s[0:3], 0 offset:536
	;; [unrolled: 1-line block ×4, first 2 shown]
	s_waitcnt lgkmcnt(1)
	v_mul_f64 v[48:49], v[38:39], v[138:139]
	v_fmac_f64_e32 v[48:49], v[40:41], v[142:143]
	v_add_f64 v[180:181], v[46:47], v[48:49]
	ds_read_b128 v[46:49], v1 offset:1216
	buffer_load_dword v183, off, s[0:3], 0 offset:556
	buffer_load_dword v182, off, s[0:3], 0 offset:552
	;; [unrolled: 1-line block ×4, first 2 shown]
	s_waitcnt vmcnt(18) lgkmcnt(1)
	v_mul_f64 v[188:189], v[42:43], v[168:169]
	s_waitcnt vmcnt(16)
	v_fmac_f64_e32 v[188:189], v[44:45], v[170:171]
	v_add_f64 v[2:3], v[180:181], v[188:189]
	buffer_load_dword v181, off, s[0:3], 0 offset:588
	buffer_load_dword v189, off, s[0:3], 0 offset:572
	;; [unrolled: 1-line block ×8, first 2 shown]
	v_mul_f64 v[4:5], v[84:85], v[194:195]
	v_fma_f64 v[10:11], v[82:83], v[186:187], -v[4:5]
	buffer_load_dword v186, off, s[0:3], 0 offset:616
	buffer_load_dword v195, off, s[0:3], 0 offset:604
	;; [unrolled: 1-line block ×20, first 2 shown]
	v_fma_f64 v[84:85], v[62:63], v[230:231], -v[64:65]
	buffer_load_dword v231, off, s[0:3], 0 offset:684
	buffer_load_dword v230, off, s[0:3], 0 offset:680
	;; [unrolled: 1-line block ×12, first 2 shown]
	s_waitcnt lgkmcnt(0)
	v_mul_f64 v[50:51], v[46:47], v[146:147]
	v_fmac_f64_e32 v[50:51], v[48:49], v[150:151]
	v_add_f64 v[2:3], v[2:3], v[50:51]
	ds_read_b128 v[50:53], v1 offset:1232
	ds_read_b128 v[54:57], v1 offset:1248
	v_fma_f64 v[6:7], v[58:59], v[110:111], -v[60:61]
	ds_read_b128 v[58:61], v1 offset:1264
	v_fma_f64 v[82:83], v[70:71], v[116:117], -v[72:73]
	s_waitcnt vmcnt(50) lgkmcnt(2)
	v_mul_f64 v[62:63], v[50:51], v[172:173]
	s_waitcnt vmcnt(48)
	v_fmac_f64_e32 v[62:63], v[52:53], v[174:175]
	s_waitcnt lgkmcnt(1)
	v_mul_f64 v[8:9], v[54:55], v[154:155]
	v_add_f64 v[2:3], v[2:3], v[62:63]
	ds_read_b128 v[62:65], v1 offset:1280
	v_fmac_f64_e32 v[8:9], v[56:57], v[158:159]
	v_add_f64 v[2:3], v[2:3], v[8:9]
	v_mul_f64 v[70:71], v[206:207], v[240:241]
	v_fma_f64 v[202:203], v[208:209], v[202:203], -v[106:107]
	ds_read_b128 v[208:211], v1 offset:1360
	v_mul_f64 v[92:93], v[92:93], v[98:99]
	v_add_f64 v[10:11], v[10:11], 0
	v_add_f64 v[10:11], v[10:11], v[78:79]
	;; [unrolled: 1-line block ×8, first 2 shown]
	s_waitcnt vmcnt(46) lgkmcnt(2)
	v_mul_f64 v[8:9], v[58:59], v[176:177]
	s_waitcnt vmcnt(44)
	v_fmac_f64_e32 v[8:9], v[60:61], v[178:179]
	v_add_f64 v[2:3], v[2:3], v[8:9]
	v_mul_f64 v[8:9], v[68:69], v[102:103]
	v_fma_f64 v[8:9], v[66:67], v[198:199], -v[8:9]
	ds_read_b128 v[66:69], v1 offset:1296
	v_fma_f64 v[102:103], v[204:205], v[242:243], -v[70:71]
	ds_read_b128 v[70:73], v1 offset:1312
	s_waitcnt vmcnt(42) lgkmcnt(3)
	v_mul_f64 v[74:75], v[62:63], v[182:183]
	s_waitcnt vmcnt(40)
	v_fmac_f64_e32 v[74:75], v[64:65], v[184:185]
	v_add_f64 v[2:3], v[2:3], v[74:75]
	s_waitcnt vmcnt(37) lgkmcnt(1)
	v_mul_f64 v[74:75], v[66:67], v[188:189]
	s_waitcnt vmcnt(35)
	v_fmac_f64_e32 v[74:75], v[68:69], v[192:193]
	v_add_f64 v[2:3], v[2:3], v[74:75]
	;; [unrolled: 5-line block ×3, first 2 shown]
	ds_read_b128 v[74:77], v1 offset:1328
	ds_read_b128 v[204:207], v1 offset:1344
	v_add_f64 v[6:7], v[6:7], v[8:9]
	v_add_f64 v[6:7], v[6:7], v[102:103]
	;; [unrolled: 1-line block ×3, first 2 shown]
	s_waitcnt vmcnt(29) lgkmcnt(1)
	v_mul_f64 v[106:107], v[74:75], v[194:195]
	s_waitcnt vmcnt(27)
	v_fmac_f64_e32 v[106:107], v[76:77], v[214:215]
	v_add_f64 v[2:3], v[2:3], v[106:107]
	v_mul_f64 v[106:107], v[120:121], v[252:253]
	s_waitcnt vmcnt(25) lgkmcnt(0)
	v_mul_f64 v[12:13], v[204:205], v[186:187]
	v_fma_f64 v[4:5], v[118:119], v[254:255], -v[106:107]
	s_waitcnt vmcnt(24)
	v_fmac_f64_e32 v[12:13], v[206:207], v[212:213]
	ds_read_b128 v[118:121], v1 offset:1376
	v_add_f64 v[2:3], v[2:3], v[12:13]
	v_mul_f64 v[12:13], v[88:89], v[248:249]
	v_fma_f64 v[12:13], v[86:87], v[250:251], -v[12:13]
	ds_read_b128 v[86:89], v1 offset:1392
	s_waitcnt vmcnt(21)
	v_mul_f64 v[106:107], v[208:209], v[218:219]
	s_waitcnt vmcnt(19)
	v_fmac_f64_e32 v[106:107], v[210:211], v[224:225]
	v_fma_f64 v[252:253], v[90:91], v[100:101], -v[92:93]
	ds_read_b128 v[98:101], v1 offset:1408
	v_add_f64 v[2:3], v[2:3], v[106:107]
	s_waitcnt vmcnt(18) lgkmcnt(2)
	v_mul_f64 v[106:107], v[118:119], v[216:217]
	s_waitcnt vmcnt(16)
	v_fmac_f64_e32 v[106:107], v[120:121], v[222:223]
	ds_read_b128 v[90:93], v1 offset:1424
	v_add_f64 v[2:3], v[2:3], v[106:107]
	s_waitcnt vmcnt(14) lgkmcnt(2)
	v_mul_f64 v[106:107], v[86:87], v[220:221]
	s_waitcnt vmcnt(12)
	v_fmac_f64_e32 v[106:107], v[88:89], v[226:227]
	v_fma_f64 v[254:255], v[94:95], v[246:247], -v[96:97]
	ds_read_b128 v[94:97], v1 offset:1440
	v_add_f64 v[2:3], v[2:3], v[106:107]
	s_waitcnt vmcnt(10) lgkmcnt(2)
	v_mul_f64 v[106:107], v[98:99], v[230:231]
	s_waitcnt vmcnt(8)
	v_fmac_f64_e32 v[106:107], v[100:101], v[232:233]
	v_add_f64 v[2:3], v[2:3], v[106:107]
	s_waitcnt vmcnt(5) lgkmcnt(1)
	v_mul_f64 v[106:107], v[90:91], v[236:237]
	s_waitcnt vmcnt(3)
	v_fmac_f64_e32 v[106:107], v[92:93], v[238:239]
	;; [unrolled: 5-line block ×3, first 2 shown]
	v_add_f64 v[110:111], v[2:3], v[106:107]
	buffer_load_dword v3, off, s[0:3], 0 offset:732
	buffer_load_dword v2, off, s[0:3], 0 offset:728
	;; [unrolled: 1-line block ×4, first 2 shown]
	ds_read_b128 v[106:109], v1 offset:1456
	buffer_load_dword v200, off, s[0:3], 0 offset:744
	buffer_load_dword v201, off, s[0:3], 0 offset:748
	buffer_load_dword v240, off, s[0:3], 0 offset:736
	buffer_load_dword v241, off, s[0:3], 0 offset:740
	v_add_f64 v[4:5], v[6:7], v[4:5]
	v_add_f64 v[202:203], v[4:5], v[12:13]
	;; [unrolled: 1-line block ×3, first 2 shown]
	v_mul_f64 v[6:7], v[132:133], v[136:137]
	v_add_f64 v[4:5], v[4:5], v[254:255]
	v_fma_f64 v[6:7], v[130:131], v[140:141], -v[6:7]
	v_add_f64 v[4:5], v[4:5], v[6:7]
	v_accvgpr_read_b32 v255, a140
	v_cmp_lt_u32_e32 vcc, 1, v255
	s_waitcnt vmcnt(6) lgkmcnt(0)
	v_mul_f64 v[112:113], v[106:107], v[2:3]
	v_mul_f64 v[2:3], v[108:109], v[2:3]
	s_waitcnt vmcnt(4)
	v_fmac_f64_e32 v[112:113], v[108:109], v[198:199]
	v_add_f64 v[114:115], v[110:111], v[112:113]
	ds_read_b128 v[110:113], v1 offset:1472
	buffer_load_dword v245, off, s[0:3], 0 offset:764
	buffer_load_dword v244, off, s[0:3], 0 offset:760
	;; [unrolled: 1-line block ×4, first 2 shown]
	v_fma_f64 v[2:3], v[106:107], v[198:199], -v[2:3]
	s_waitcnt vmcnt(6) lgkmcnt(0)
	v_mul_f64 v[116:117], v[110:111], v[200:201]
	s_waitcnt vmcnt(4)
	v_fmac_f64_e32 v[116:117], v[112:113], v[240:241]
	v_add_f64 v[242:243], v[114:115], v[116:117]
	ds_read_b128 v[114:117], v1 offset:1488
	v_accvgpr_read_b32 v0, a142
	v_accvgpr_read_b32 v1, a143
	v_mul_f64 v[6:7], v[128:129], v[0:1]
	v_accvgpr_read_b32 v0, a144
	v_accvgpr_read_b32 v1, a145
	v_fma_f64 v[6:7], v[126:127], v[0:1], -v[6:7]
	v_add_f64 v[4:5], v[4:5], v[6:7]
	v_mul_f64 v[6:7], v[124:125], v[144:145]
	v_accvgpr_read_b32 v0, a146
	v_fma_f64 v[6:7], v[122:123], v[148:149], -v[6:7]
	v_accvgpr_read_b32 v1, a147
	v_add_f64 v[4:5], v[4:5], v[6:7]
	v_mul_f64 v[6:7], v[16:17], v[0:1]
	v_accvgpr_read_b32 v0, a148
	v_accvgpr_read_b32 v1, a149
	v_fma_f64 v[6:7], v[14:15], v[0:1], -v[6:7]
	v_add_f64 v[4:5], v[4:5], v[6:7]
	v_mul_f64 v[6:7], v[20:21], v[152:153]
	v_accvgpr_read_b32 v0, a150
	v_fma_f64 v[6:7], v[18:19], v[156:157], -v[6:7]
	v_accvgpr_read_b32 v1, a151
	v_add_f64 v[4:5], v[4:5], v[6:7]
	;; [unrolled: 10-line block ×3, first 2 shown]
	v_mul_f64 v[6:7], v[32:33], v[0:1]
	v_fma_f64 v[6:7], v[30:31], v[134:135], -v[6:7]
	v_add_f64 v[4:5], v[4:5], v[6:7]
	v_mul_f64 v[6:7], v[36:37], v[164:165]
	v_fma_f64 v[6:7], v[34:35], v[166:167], -v[6:7]
	v_add_f64 v[4:5], v[4:5], v[6:7]
	;; [unrolled: 3-line block ×12, first 2 shown]
	v_mul_f64 v[6:7], v[206:207], v[186:187]
	v_fma_f64 v[6:7], v[204:205], v[212:213], -v[6:7]
	s_waitcnt vmcnt(2) lgkmcnt(0)
	v_mul_f64 v[248:249], v[114:115], v[244:245]
	v_add_f64 v[4:5], v[4:5], v[6:7]
	s_waitcnt vmcnt(0)
	v_fmac_f64_e32 v[248:249], v[116:117], v[246:247]
	v_add_f64 v[242:243], v[242:243], v[248:249]
	buffer_load_dword v250, off, s[0:3], 0 offset:48
	buffer_load_dword v251, off, s[0:3], 0 offset:52
	buffer_load_dword v248, off, s[0:3], 0 offset:56
	buffer_load_dword v249, off, s[0:3], 0 offset:60
	v_mul_f64 v[6:7], v[210:211], v[218:219]
	v_fma_f64 v[6:7], v[208:209], v[224:225], -v[6:7]
	v_add_f64 v[4:5], v[4:5], v[6:7]
	v_mul_f64 v[6:7], v[120:121], v[216:217]
	v_fma_f64 v[6:7], v[118:119], v[222:223], -v[6:7]
	v_add_f64 v[4:5], v[4:5], v[6:7]
	;; [unrolled: 3-line block ×6, first 2 shown]
	v_add_f64 v[2:3], v[4:5], v[2:3]
	v_mul_f64 v[4:5], v[112:113], v[200:201]
	v_fma_f64 v[4:5], v[110:111], v[240:241], -v[4:5]
	v_add_f64 v[2:3], v[2:3], v[4:5]
	v_mul_f64 v[4:5], v[116:117], v[244:245]
	v_fma_f64 v[4:5], v[114:115], v[246:247], -v[4:5]
	v_add_f64 v[2:3], v[2:3], v[4:5]
	s_waitcnt vmcnt(2)
	v_add_f64 v[2:3], v[250:251], -v[2:3]
	s_waitcnt vmcnt(0)
	v_add_f64 v[4:5], v[248:249], -v[242:243]
	buffer_store_dword v3, off, s[0:3], 0 offset:52
	buffer_store_dword v2, off, s[0:3], 0 offset:48
	;; [unrolled: 1-line block ×4, first 2 shown]
	s_and_saveexec_b64 s[4:5], vcc
	s_cbranch_execz .LBB46_293
; %bb.292:
	v_accvgpr_read_b32 v0, a139
	buffer_load_dword v2, v0, s[0:3], 0 offen
	buffer_load_dword v3, v0, s[0:3], 0 offen offset:4
	buffer_load_dword v4, v0, s[0:3], 0 offen offset:8
	;; [unrolled: 1-line block ×3, first 2 shown]
	v_mov_b32_e32 v0, 0
	v_accvgpr_read_b32 v1, a141
	buffer_store_dword v0, off, s[0:3], 0 offset:32
	buffer_store_dword v0, off, s[0:3], 0 offset:36
	;; [unrolled: 1-line block ×4, first 2 shown]
	s_waitcnt vmcnt(4)
	ds_write_b128 v1, v[2:5]
.LBB46_293:
	s_or_b64 exec, exec, s[4:5]
	v_mov_b32_e32 v254, 0
	s_waitcnt lgkmcnt(0)
	; wave barrier
	s_waitcnt lgkmcnt(0)
	buffer_load_dword v56, off, s[0:3], 0 offset:48
	buffer_load_dword v57, off, s[0:3], 0 offset:52
	;; [unrolled: 1-line block ×54, first 2 shown]
	ds_read_b128 v[110:113], v254 offset:784
	ds_read_b128 v[114:117], v254 offset:800
	;; [unrolled: 1-line block ×9, first 2 shown]
	buffer_load_dword v105, off, s[0:3], 0 offset:276
	buffer_load_dword v104, off, s[0:3], 0 offset:272
	;; [unrolled: 1-line block ×8, first 2 shown]
	v_cmp_ne_u32_e32 vcc, 0, v255
	s_waitcnt vmcnt(58) lgkmcnt(8)
	v_mul_f64 v[2:3], v[110:111], v[58:59]
	v_fmac_f64_e32 v[2:3], v[112:113], v[56:57]
	v_add_f64 v[2:3], v[2:3], 0
	v_mul_f64 v[58:59], v[112:113], v[58:59]
	s_waitcnt vmcnt(54) lgkmcnt(7)
	v_mul_f64 v[4:5], v[114:115], v[156:157]
	v_fmac_f64_e32 v[4:5], v[116:117], v[52:53]
	s_waitcnt vmcnt(52) lgkmcnt(6)
	v_mul_f64 v[6:7], v[162:163], v[50:51]
	v_add_f64 v[2:3], v[2:3], v[4:5]
	s_waitcnt vmcnt(50) lgkmcnt(4)
	v_mul_f64 v[10:11], v[170:171], v[60:61]
	v_fma_f64 v[110:111], v[110:111], v[56:57], -v[58:59]
	s_waitcnt vmcnt(48)
	v_fmac_f64_e32 v[10:11], v[172:173], v[62:63]
	v_mul_f64 v[56:57], v[116:117], v[156:157]
	s_waitcnt vmcnt(46)
	v_mul_f64 v[8:9], v[166:167], v[64:65]
	v_mul_f64 v[50:51], v[164:165], v[50:51]
	s_waitcnt vmcnt(44) lgkmcnt(2)
	v_mul_f64 v[14:15], v[178:179], v[74:75]
	v_fma_f64 v[112:113], v[114:115], v[52:53], -v[56:57]
	s_waitcnt vmcnt(42)
	v_fmac_f64_e32 v[14:15], v[180:181], v[72:73]
	v_add_f64 v[110:111], v[110:111], 0
	s_waitcnt vmcnt(40)
	v_mul_f64 v[12:13], v[174:175], v[76:77]
	v_mul_f64 v[56:57], v[176:177], v[76:77]
	s_waitcnt vmcnt(38) lgkmcnt(1)
	v_mul_f64 v[16:17], v[182:183], v[68:69]
	v_mul_f64 v[58:59], v[184:185], v[68:69]
	s_waitcnt vmcnt(36)
	v_fmac_f64_e32 v[6:7], v[164:165], v[246:247]
	v_add_f64 v[2:3], v[2:3], v[6:7]
	s_waitcnt vmcnt(34)
	v_fmac_f64_e32 v[8:9], v[168:169], v[80:81]
	v_add_f64 v[2:3], v[2:3], v[8:9]
	;; [unrolled: 3-line block ×3, first 2 shown]
	v_add_f64 v[2:3], v[2:3], v[12:13]
	v_add_f64 v[2:3], v[2:3], v[14:15]
	s_waitcnt vmcnt(30)
	v_fmac_f64_e32 v[16:17], v[184:185], v[70:71]
	v_add_f64 v[2:3], v[2:3], v[16:17]
	s_waitcnt vmcnt(26) lgkmcnt(0)
	v_mul_f64 v[4:5], v[186:187], v[66:67]
	v_fmac_f64_e32 v[4:5], v[188:189], v[84:85]
	v_add_f64 v[2:3], v[2:3], v[4:5]
	s_waitcnt vmcnt(0)
	v_pk_mov_b32 v[14:15], v[0:1], v[0:1] op_sel:[0,1]
	buffer_load_dword v1, off, s[0:3], 0 offset:308
	buffer_load_dword v0, off, s[0:3], 0 offset:304
	v_accvgpr_write_b32 a143, v15
	v_accvgpr_write_b32 a142, v14
	v_fma_f64 v[114:115], v[162:163], v[246:247], -v[50:51]
	v_mul_f64 v[50:51], v[168:169], v[64:65]
	v_fma_f64 v[116:117], v[166:167], v[80:81], -v[50:51]
	v_mul_f64 v[50:51], v[172:173], v[60:61]
	v_add_f64 v[110:111], v[110:111], v[112:113]
	v_add_f64 v[110:111], v[110:111], v[114:115]
	v_add_f64 v[110:111], v[110:111], v[116:117]
	s_waitcnt vmcnt(0)
	v_pk_mov_b32 v[18:19], v[0:1], v[0:1] op_sel:[0,1]
	buffer_load_dword v107, off, s[0:3], 0 offset:300
	buffer_load_dword v106, off, s[0:3], 0 offset:296
	buffer_load_dword v109, off, s[0:3], 0 offset:292
	buffer_load_dword v108, off, s[0:3], 0 offset:288
	buffer_load_dword v1, off, s[0:3], 0 offset:348
	buffer_load_dword v0, off, s[0:3], 0 offset:344
	v_accvgpr_write_b32 a145, v19
	v_accvgpr_write_b32 a144, v18
	s_waitcnt vmcnt(0)
	v_pk_mov_b32 v[22:23], v[0:1], v[0:1] op_sel:[0,1]
	buffer_load_dword v1, off, s[0:3], 0 offset:340
	buffer_load_dword v0, off, s[0:3], 0 offset:336
	v_accvgpr_write_b32 a147, v23
	v_accvgpr_write_b32 a146, v22
	s_waitcnt vmcnt(0)
	v_pk_mov_b32 v[24:25], v[0:1], v[0:1] op_sel:[0,1]
	buffer_load_dword v223, off, s[0:3], 0 offset:332
	buffer_load_dword v222, off, s[0:3], 0 offset:328
	buffer_load_dword v225, off, s[0:3], 0 offset:324
	buffer_load_dword v224, off, s[0:3], 0 offset:320
	buffer_load_dword v1, off, s[0:3], 0 offset:380
	buffer_load_dword v0, off, s[0:3], 0 offset:376
	v_accvgpr_write_b32 a149, v25
	v_accvgpr_write_b32 a148, v24
	s_waitcnt vmcnt(0)
	v_pk_mov_b32 v[30:31], v[0:1], v[0:1] op_sel:[0,1]
	buffer_load_dword v1, off, s[0:3], 0 offset:372
	buffer_load_dword v0, off, s[0:3], 0 offset:368
	v_accvgpr_write_b32 a151, v31
	v_accvgpr_write_b32 a150, v30
	;; [unrolled: 16-line block ×3, first 2 shown]
	s_waitcnt vmcnt(0)
	v_pk_mov_b32 v[40:41], v[0:1], v[0:1] op_sel:[0,1]
	buffer_load_dword v237, off, s[0:3], 0 offset:396
	buffer_load_dword v236, off, s[0:3], 0 offset:392
	;; [unrolled: 1-line block ×28, first 2 shown]
	ds_read_b128 v[190:193], v254 offset:928
	ds_read_b128 v[194:197], v254 offset:944
	ds_read_b128 v[198:201], v254 offset:960
	ds_read_b128 v[204:207], v254 offset:976
	ds_read_b128 v[208:211], v254 offset:992
	ds_read_b128 v[250:253], v254 offset:1008
	s_waitcnt lgkmcnt(5)
	v_mul_f64 v[4:5], v[190:191], v[90:91]
	v_fmac_f64_e32 v[4:5], v[192:193], v[92:93]
	v_add_f64 v[2:3], v[2:3], v[4:5]
	s_waitcnt lgkmcnt(4)
	v_mul_f64 v[4:5], v[194:195], v[86:87]
	v_fmac_f64_e32 v[4:5], v[196:197], v[88:89]
	v_add_f64 v[2:3], v[2:3], v[4:5]
	;; [unrolled: 4-line block ×3, first 2 shown]
	s_waitcnt lgkmcnt(2)
	v_mul_f64 v[4:5], v[204:205], v[96:97]
	ds_read_b128 v[118:121], v254 offset:1024
	ds_read_b128 v[134:137], v254 offset:1040
	v_fmac_f64_e32 v[4:5], v[206:207], v[98:99]
	v_add_f64 v[2:3], v[2:3], v[4:5]
	s_waitcnt lgkmcnt(3)
	v_mul_f64 v[4:5], v[208:209], v[82:83]
	ds_read_b128 v[130:133], v254 offset:1056
	ds_read_b128 v[126:129], v254 offset:1072
	v_fmac_f64_e32 v[4:5], v[210:211], v[202:203]
	v_add_f64 v[2:3], v[2:3], v[4:5]
	s_waitcnt lgkmcnt(4)
	v_mul_f64 v[4:5], v[250:251], v[94:95]
	v_fmac_f64_e32 v[4:5], v[252:253], v[104:105]
	s_waitcnt lgkmcnt(3)
	v_mul_f64 v[8:9], v[118:119], v[106:107]
	ds_read_b128 v[122:125], v254 offset:1088
	v_add_f64 v[6:7], v[2:3], v[4:5]
	v_fmac_f64_e32 v[8:9], v[120:121], v[108:109]
	s_waitcnt lgkmcnt(3)
	v_mul_f64 v[12:13], v[134:135], v[14:15]
	v_add_f64 v[10:11], v[6:7], v[8:9]
	v_fmac_f64_e32 v[12:13], v[136:137], v[18:19]
	s_waitcnt lgkmcnt(2)
	v_mul_f64 v[16:17], v[130:131], v[222:223]
	;; [unrolled: 4-line block ×3, first 2 shown]
	v_add_f64 v[18:19], v[14:15], v[16:17]
	v_fmac_f64_e32 v[20:21], v[128:129], v[24:25]
	v_add_f64 v[22:23], v[18:19], v[20:21]
	ds_read_b128 v[18:21], v254 offset:1104
	s_waitcnt lgkmcnt(1)
	v_mul_f64 v[24:25], v[122:123], v[228:229]
	v_fmac_f64_e32 v[24:25], v[124:125], v[232:233]
	v_add_f64 v[26:27], v[22:23], v[24:25]
	ds_read_b128 v[22:25], v254 offset:1120
	s_waitcnt lgkmcnt(1)
	v_mul_f64 v[28:29], v[18:19], v[30:31]
	v_fmac_f64_e32 v[28:29], v[20:21], v[32:33]
	v_add_f64 v[30:31], v[26:27], v[28:29]
	ds_read_b128 v[26:29], v254 offset:1136
	v_accvgpr_write_b32 a157, v41
	v_accvgpr_write_b32 a156, v40
	v_fma_f64 v[14:15], v[170:171], v[62:63], -v[50:51]
	s_waitcnt vmcnt(26) lgkmcnt(1)
	v_mul_f64 v[32:33], v[22:23], v[236:237]
	s_waitcnt lgkmcnt(0)
	v_mul_f64 v[36:37], v[26:27], v[38:39]
	s_waitcnt vmcnt(24)
	v_fmac_f64_e32 v[32:33], v[24:25], v[238:239]
	v_add_f64 v[34:35], v[30:31], v[32:33]
	ds_read_b128 v[30:33], v254 offset:1152
	v_fmac_f64_e32 v[36:37], v[28:29], v[40:41]
	v_add_f64 v[38:39], v[34:35], v[36:37]
	ds_read_b128 v[34:37], v254 offset:1168
	v_mul_f64 v[4:5], v[180:181], v[74:75]
	s_waitcnt vmcnt(18) lgkmcnt(1)
	v_mul_f64 v[40:41], v[30:31], v[240:241]
	s_waitcnt vmcnt(16)
	v_fmac_f64_e32 v[40:41], v[32:33], v[218:219]
	v_add_f64 v[42:43], v[38:39], v[40:41]
	ds_read_b128 v[38:41], v254 offset:1184
	s_waitcnt lgkmcnt(1)
	v_mul_f64 v[44:45], v[34:35], v[0:1]
	v_fmac_f64_e32 v[44:45], v[36:37], v[220:221]
	v_add_f64 v[46:47], v[42:43], v[44:45]
	ds_read_b128 v[42:45], v254 offset:1200
	s_waitcnt vmcnt(10) lgkmcnt(1)
	v_mul_f64 v[48:49], v[38:39], v[212:213]
	s_waitcnt vmcnt(8)
	v_fmac_f64_e32 v[48:49], v[40:41], v[214:215]
	v_add_f64 v[140:141], v[46:47], v[48:49]
	ds_read_b128 v[46:49], v254 offset:1216
	buffer_load_dword v139, off, s[0:3], 0 offset:524
	buffer_load_dword v138, off, s[0:3], 0 offset:520
	;; [unrolled: 1-line block ×4, first 2 shown]
	s_waitcnt lgkmcnt(1)
	v_mul_f64 v[144:145], v[42:43], v[216:217]
	v_fmac_f64_e32 v[144:145], v[44:45], v[226:227]
	v_add_f64 v[54:55], v[140:141], v[144:145]
	buffer_load_dword v145, off, s[0:3], 0 offset:540
	buffer_load_dword v144, off, s[0:3], 0 offset:536
	;; [unrolled: 1-line block ×32, first 2 shown]
	ds_read_b128 v[50:53], v254 offset:1232
	buffer_load_dword v177, off, s[0:3], 0 offset:668
	buffer_load_dword v176, off, s[0:3], 0 offset:664
	buffer_load_dword v247, off, s[0:3], 0 offset:660
	buffer_load_dword v246, off, s[0:3], 0 offset:656
	v_fma_f64 v[10:11], v[174:175], v[78:79], -v[56:57]
	v_fma_f64 v[6:7], v[178:179], v[72:73], -v[4:5]
	buffer_load_dword v174, off, s[0:3], 0 offset:696
	buffer_load_dword v181, off, s[0:3], 0 offset:684
	;; [unrolled: 1-line block ×8, first 2 shown]
	v_fma_f64 v[4:5], v[182:183], v[70:71], -v[58:59]
	buffer_load_dword v183, off, s[0:3], 0 offset:716
	buffer_load_dword v182, off, s[0:3], 0 offset:712
	;; [unrolled: 1-line block ×4, first 2 shown]
	s_waitcnt vmcnt(54) lgkmcnt(1)
	v_mul_f64 v[56:57], v[46:47], v[242:243]
	s_waitcnt vmcnt(52)
	v_fmac_f64_e32 v[56:57], v[48:49], v[244:245]
	v_add_f64 v[8:9], v[54:55], v[56:57]
	s_waitcnt lgkmcnt(0)
	v_mul_f64 v[54:55], v[50:51], v[230:231]
	v_fmac_f64_e32 v[54:55], v[52:53], v[234:235]
	v_add_f64 v[8:9], v[8:9], v[54:55]
	ds_read_b128 v[54:57], v254 offset:1248
	v_mul_f64 v[58:59], v[188:189], v[66:67]
	v_fma_f64 v[186:187], v[186:187], v[84:85], -v[58:59]
	ds_read_b128 v[58:61], v254 offset:1264
	v_mul_f64 v[70:71], v[196:197], v[86:87]
	v_fma_f64 v[194:195], v[194:195], v[88:89], -v[70:71]
	ds_read_b128 v[70:73], v254 offset:1312
	ds_read_b128 v[86:89], v254 offset:1376
	v_accvgpr_write_b32 a159, v1
	v_mul_f64 v[82:83], v[210:211], v[82:83]
	v_accvgpr_write_b32 a158, v0
	v_fma_f64 v[0:1], v[208:209], v[202:203], -v[82:83]
	v_add_f64 v[14:15], v[110:111], v[14:15]
	v_add_f64 v[10:11], v[14:15], v[10:11]
	;; [unrolled: 1-line block ×5, first 2 shown]
	s_waitcnt vmcnt(50) lgkmcnt(3)
	v_mul_f64 v[62:63], v[54:55], v[138:139]
	s_waitcnt vmcnt(48)
	v_fmac_f64_e32 v[62:63], v[56:57], v[142:143]
	v_add_f64 v[8:9], v[8:9], v[62:63]
	v_mul_f64 v[62:63], v[192:193], v[90:91]
	v_fma_f64 v[188:189], v[190:191], v[92:93], -v[62:63]
	ds_read_b128 v[90:93], v254 offset:1392
	ds_read_b128 v[62:65], v254 offset:1280
	s_waitcnt vmcnt(46) lgkmcnt(4)
	v_mul_f64 v[66:67], v[58:59], v[144:145]
	s_waitcnt vmcnt(44)
	v_fmac_f64_e32 v[66:67], v[60:61], v[146:147]
	v_add_f64 v[8:9], v[8:9], v[66:67]
	ds_read_b128 v[66:69], v254 offset:1296
	s_waitcnt vmcnt(41) lgkmcnt(1)
	v_mul_f64 v[74:75], v[62:63], v[150:151]
	s_waitcnt vmcnt(39)
	v_fmac_f64_e32 v[74:75], v[64:65], v[154:155]
	v_add_f64 v[8:9], v[8:9], v[74:75]
	v_mul_f64 v[74:75], v[200:201], v[100:101]
	v_fma_f64 v[2:3], v[198:199], v[102:103], -v[74:75]
	ds_read_b128 v[74:77], v254 offset:1328
	s_waitcnt vmcnt(38) lgkmcnt(1)
	v_mul_f64 v[78:79], v[66:67], v[140:141]
	s_waitcnt vmcnt(36)
	v_fmac_f64_e32 v[78:79], v[68:69], v[152:153]
	s_waitcnt vmcnt(33)
	v_mul_f64 v[12:13], v[70:71], v[158:159]
	v_add_f64 v[8:9], v[8:9], v[78:79]
	s_waitcnt vmcnt(31)
	v_fmac_f64_e32 v[12:13], v[72:73], v[160:161]
	v_add_f64 v[8:9], v[8:9], v[12:13]
	s_waitcnt vmcnt(29) lgkmcnt(0)
	v_mul_f64 v[12:13], v[74:75], v[148:149]
	s_waitcnt vmcnt(28)
	v_fmac_f64_e32 v[12:13], v[76:77], v[156:157]
	v_add_f64 v[8:9], v[8:9], v[12:13]
	ds_read_b128 v[78:81], v254 offset:1344
	v_mul_f64 v[12:13], v[206:207], v[96:97]
	v_fma_f64 v[12:13], v[204:205], v[98:99], -v[12:13]
	ds_read_b128 v[204:207], v254 offset:1360
	ds_read_b128 v[98:101], v254 offset:1424
	s_waitcnt vmcnt(26) lgkmcnt(2)
	v_mul_f64 v[84:85], v[78:79], v[162:163]
	s_waitcnt vmcnt(24)
	v_fmac_f64_e32 v[84:85], v[80:81], v[164:165]
	v_add_f64 v[8:9], v[8:9], v[84:85]
	s_waitcnt vmcnt(22) lgkmcnt(1)
	v_mul_f64 v[16:17], v[204:205], v[166:167]
	s_waitcnt vmcnt(20)
	v_fmac_f64_e32 v[16:17], v[206:207], v[170:171]
	v_add_f64 v[8:9], v[8:9], v[16:17]
	s_waitcnt vmcnt(18)
	v_mul_f64 v[16:17], v[86:87], v[168:169]
	s_waitcnt vmcnt(16)
	v_fmac_f64_e32 v[16:17], v[88:89], v[172:173]
	v_add_f64 v[8:9], v[8:9], v[16:17]
	v_mul_f64 v[16:17], v[252:253], v[94:95]
	ds_read_b128 v[94:97], v254 offset:1408
	s_waitcnt vmcnt(14)
	v_mul_f64 v[82:83], v[90:91], v[176:177]
	v_fma_f64 v[16:17], v[250:251], v[104:105], -v[16:17]
	s_waitcnt vmcnt(12)
	v_fmac_f64_e32 v[82:83], v[92:93], v[246:247]
	ds_read_b128 v[102:105], v254 offset:1440
	v_add_f64 v[8:9], v[8:9], v[82:83]
	s_waitcnt vmcnt(9) lgkmcnt(1)
	v_mul_f64 v[82:83], v[94:95], v[180:181]
	s_waitcnt vmcnt(7)
	v_fmac_f64_e32 v[82:83], v[96:97], v[248:249]
	v_add_f64 v[8:9], v[8:9], v[82:83]
	s_waitcnt vmcnt(5)
	v_mul_f64 v[82:83], v[98:99], v[174:175]
	s_waitcnt vmcnt(4)
	v_fmac_f64_e32 v[82:83], v[100:101], v[178:179]
	v_add_f64 v[8:9], v[8:9], v[82:83]
	s_waitcnt vmcnt(2) lgkmcnt(0)
	v_mul_f64 v[82:83], v[102:103], v[182:183]
	s_waitcnt vmcnt(0)
	v_fmac_f64_e32 v[82:83], v[104:105], v[184:185]
	v_mul_f64 v[84:85], v[120:121], v[106:107]
	v_add_f64 v[82:83], v[8:9], v[82:83]
	buffer_load_dword v8, off, s[0:3], 0 offset:728
	buffer_load_dword v9, off, s[0:3], 0 offset:732
	;; [unrolled: 1-line block ×4, first 2 shown]
	v_fma_f64 v[200:201], v[118:119], v[108:109], -v[84:85]
	ds_read_b128 v[106:109], v254 offset:1456
	buffer_load_dword v191, off, s[0:3], 0 offset:748
	buffer_load_dword v190, off, s[0:3], 0 offset:744
	;; [unrolled: 1-line block ×4, first 2 shown]
	v_add_f64 v[4:5], v[4:5], v[188:189]
	v_add_f64 v[4:5], v[4:5], v[194:195]
	;; [unrolled: 1-line block ×5, first 2 shown]
	v_accvgpr_read_b32 v2, a142
	v_accvgpr_read_b32 v3, a143
	;; [unrolled: 1-line block ×3, first 2 shown]
	v_mul_f64 v[2:3], v[136:137], v[2:3]
	v_accvgpr_read_b32 v5, a145
	v_fma_f64 v[2:3], v[134:135], v[4:5], -v[2:3]
	v_accvgpr_read_b32 v4, a148
	v_accvgpr_read_b32 v5, a149
	s_waitcnt vmcnt(6) lgkmcnt(0)
	v_mul_f64 v[84:85], v[106:107], v[8:9]
	s_waitcnt vmcnt(4)
	v_fmac_f64_e32 v[84:85], v[108:109], v[120:121]
	v_add_f64 v[118:119], v[82:83], v[84:85]
	ds_read_b128 v[82:85], v254 offset:1472
	s_waitcnt vmcnt(2) lgkmcnt(0)
	v_mul_f64 v[196:197], v[82:83], v[190:191]
	s_waitcnt vmcnt(0)
	v_fmac_f64_e32 v[196:197], v[84:85], v[192:193]
	v_add_f64 v[118:119], v[118:119], v[196:197]
	buffer_load_dword v196, off, s[0:3], 0 offset:760
	buffer_load_dword v197, off, s[0:3], 0 offset:764
	;; [unrolled: 1-line block ×4, first 2 shown]
	ds_read_b128 v[208:211], v254 offset:1488
	buffer_load_dword v252, off, s[0:3], 0 offset:32
	buffer_load_dword v253, off, s[0:3], 0 offset:36
	;; [unrolled: 1-line block ×4, first 2 shown]
	s_waitcnt vmcnt(6) lgkmcnt(0)
	v_mul_f64 v[202:203], v[208:209], v[196:197]
	s_waitcnt vmcnt(4)
	v_fmac_f64_e32 v[202:203], v[210:211], v[198:199]
	v_add_f64 v[202:203], v[118:119], v[202:203]
	v_add_f64 v[118:119], v[0:1], v[16:17]
	;; [unrolled: 1-line block ×4, first 2 shown]
	v_mul_f64 v[2:3], v[132:133], v[222:223]
	v_fma_f64 v[2:3], v[130:131], v[224:225], -v[2:3]
	v_add_f64 v[0:1], v[0:1], v[2:3]
	v_accvgpr_read_b32 v2, a146
	v_accvgpr_read_b32 v3, a147
	v_mul_f64 v[2:3], v[128:129], v[2:3]
	v_fma_f64 v[2:3], v[126:127], v[4:5], -v[2:3]
	v_add_f64 v[0:1], v[0:1], v[2:3]
	v_mul_f64 v[2:3], v[124:125], v[228:229]
	v_fma_f64 v[2:3], v[122:123], v[232:233], -v[2:3]
	v_add_f64 v[0:1], v[0:1], v[2:3]
	v_accvgpr_read_b32 v2, a150
	v_accvgpr_read_b32 v3, a151
	;; [unrolled: 1-line block ×3, first 2 shown]
	v_mul_f64 v[2:3], v[20:21], v[2:3]
	v_accvgpr_read_b32 v5, a153
	v_fma_f64 v[2:3], v[18:19], v[4:5], -v[2:3]
	v_add_f64 v[0:1], v[0:1], v[2:3]
	v_mul_f64 v[2:3], v[24:25], v[236:237]
	v_fma_f64 v[2:3], v[22:23], v[238:239], -v[2:3]
	v_add_f64 v[0:1], v[0:1], v[2:3]
	v_accvgpr_read_b32 v2, a154
	v_accvgpr_read_b32 v3, a155
	;; [unrolled: 1-line block ×3, first 2 shown]
	v_mul_f64 v[2:3], v[28:29], v[2:3]
	v_accvgpr_read_b32 v5, a157
	v_fma_f64 v[2:3], v[26:27], v[4:5], -v[2:3]
	v_add_f64 v[0:1], v[0:1], v[2:3]
	v_mul_f64 v[2:3], v[32:33], v[240:241]
	v_fma_f64 v[2:3], v[30:31], v[218:219], -v[2:3]
	v_add_f64 v[0:1], v[0:1], v[2:3]
	v_accvgpr_read_b32 v2, a158
	v_accvgpr_read_b32 v3, a159
	v_mul_f64 v[2:3], v[36:37], v[2:3]
	v_fma_f64 v[2:3], v[34:35], v[220:221], -v[2:3]
	v_add_f64 v[0:1], v[0:1], v[2:3]
	v_mul_f64 v[2:3], v[40:41], v[212:213]
	v_fma_f64 v[2:3], v[38:39], v[214:215], -v[2:3]
	v_add_f64 v[0:1], v[0:1], v[2:3]
	;; [unrolled: 3-line block ×21, first 2 shown]
	s_waitcnt vmcnt(2)
	v_add_f64 v[0:1], v[252:253], -v[0:1]
	s_waitcnt vmcnt(0)
	v_add_f64 v[2:3], v[250:251], -v[202:203]
	buffer_store_dword v1, off, s[0:3], 0 offset:36
	buffer_store_dword v0, off, s[0:3], 0 offset:32
	;; [unrolled: 1-line block ×4, first 2 shown]
	s_and_saveexec_b64 s[4:5], vcc
	s_cbranch_execz .LBB46_295
; %bb.294:
	buffer_load_dword v0, off, s[0:3], 0 offset:16
	buffer_load_dword v1, off, s[0:3], 0 offset:20
	;; [unrolled: 1-line block ×4, first 2 shown]
	v_accvgpr_read_b32 v4, a141
	buffer_store_dword v254, off, s[0:3], 0 offset:16
	buffer_store_dword v254, off, s[0:3], 0 offset:20
	;; [unrolled: 1-line block ×4, first 2 shown]
	s_waitcnt vmcnt(4)
	ds_write_b128 v4, v[0:3]
.LBB46_295:
	s_or_b64 exec, exec, s[4:5]
	s_waitcnt lgkmcnt(0)
	; wave barrier
	s_waitcnt lgkmcnt(0)
	buffer_load_dword v50, off, s[0:3], 0 offset:32
	buffer_load_dword v51, off, s[0:3], 0 offset:36
	;; [unrolled: 1-line block ×42, first 2 shown]
	ds_read_b128 v[112:115], v254 offset:768
	ds_read_b128 v[132:135], v254 offset:784
	;; [unrolled: 1-line block ×10, first 2 shown]
	buffer_load_dword v109, off, s[0:3], 0 offset:180
	buffer_load_dword v108, off, s[0:3], 0 offset:176
	ds_read_b128 v[60:63], v254 offset:928
	buffer_load_dword v99, off, s[0:3], 0 offset:236
	buffer_load_dword v98, off, s[0:3], 0 offset:232
	;; [unrolled: 1-line block ×6, first 2 shown]
	s_and_b64 vcc, exec, s[20:21]
	s_waitcnt vmcnt(46) lgkmcnt(10)
	v_mul_f64 v[0:1], v[112:113], v[54:55]
	v_fmac_f64_e32 v[0:1], v[114:115], v[50:51]
	v_add_f64 v[0:1], v[0:1], 0
	v_mul_f64 v[54:55], v[114:115], v[54:55]
	s_waitcnt vmcnt(42) lgkmcnt(9)
	v_mul_f64 v[2:3], v[132:133], v[64:65]
	v_fmac_f64_e32 v[2:3], v[134:135], v[52:53]
	s_waitcnt vmcnt(40) lgkmcnt(8)
	v_mul_f64 v[4:5], v[138:139], v[48:49]
	v_add_f64 v[0:1], v[0:1], v[2:3]
	s_waitcnt vmcnt(38) lgkmcnt(6)
	v_mul_f64 v[8:9], v[150:151], v[66:67]
	v_mul_f64 v[48:49], v[140:141], v[48:49]
	s_waitcnt vmcnt(36)
	v_fmac_f64_e32 v[8:9], v[152:153], v[68:69]
	s_waitcnt vmcnt(34)
	v_mul_f64 v[6:7], v[142:143], v[70:71]
	s_waitcnt vmcnt(32) lgkmcnt(4)
	v_mul_f64 v[12:13], v[162:163], v[72:73]
	s_waitcnt vmcnt(30)
	v_fmac_f64_e32 v[12:13], v[164:165], v[74:75]
	s_waitcnt vmcnt(28)
	v_mul_f64 v[10:11], v[156:157], v[76:77]
	s_waitcnt vmcnt(26) lgkmcnt(2)
	v_mul_f64 v[16:17], v[174:175], v[80:81]
	s_waitcnt vmcnt(23)
	v_mul_f64 v[14:15], v[166:167], v[84:85]
	s_waitcnt vmcnt(21) lgkmcnt(1)
	v_mul_f64 v[18:19], v[56:57], v[78:79]
	s_waitcnt vmcnt(19)
	v_fmac_f64_e32 v[4:5], v[140:141], v[94:95]
	v_add_f64 v[0:1], v[0:1], v[4:5]
	s_waitcnt vmcnt(17)
	v_fmac_f64_e32 v[6:7], v[144:145], v[90:91]
	v_add_f64 v[0:1], v[0:1], v[6:7]
	s_waitcnt vmcnt(15)
	v_fmac_f64_e32 v[10:11], v[158:159], v[88:89]
	v_add_f64 v[0:1], v[0:1], v[8:9]
	v_add_f64 v[0:1], v[0:1], v[10:11]
	s_waitcnt vmcnt(13)
	v_fmac_f64_e32 v[14:15], v[168:169], v[86:87]
	v_add_f64 v[0:1], v[0:1], v[12:13]
	s_waitcnt vmcnt(12)
	v_fmac_f64_e32 v[16:17], v[176:177], v[82:83]
	v_add_f64 v[0:1], v[0:1], v[14:15]
	v_add_f64 v[4:5], v[0:1], v[16:17]
	buffer_load_dword v203, off, s[0:3], 0 offset:212
	buffer_load_dword v202, off, s[0:3], 0 offset:208
	;; [unrolled: 1-line block ×20, first 2 shown]
	s_waitcnt vmcnt(26)
	v_fmac_f64_e32 v[18:19], v[58:59], v[108:109]
	s_waitcnt lgkmcnt(0)
	v_mul_f64 v[6:7], v[60:61], v[92:93]
	v_add_f64 v[4:5], v[4:5], v[18:19]
	v_fmac_f64_e32 v[6:7], v[62:63], v[96:97]
	v_add_f64 v[4:5], v[4:5], v[6:7]
	v_fma_f64 v[114:115], v[138:139], v[94:95], -v[48:49]
	v_mul_f64 v[48:49], v[144:145], v[70:71]
	v_fma_f64 v[90:91], v[142:143], v[90:91], -v[48:49]
	v_mul_f64 v[62:63], v[62:63], v[92:93]
	s_waitcnt vmcnt(0)
	v_pk_mov_b32 v[16:17], v[2:3], v[2:3] op_sel:[0,1]
	buffer_load_dword v3, off, s[0:3], 0 offset:324
	buffer_load_dword v2, off, s[0:3], 0 offset:320
	v_accvgpr_write_b32 a143, v17
	v_accvgpr_write_b32 a142, v16
	s_waitcnt vmcnt(0)
	v_pk_mov_b32 v[20:21], v[2:3], v[2:3] op_sel:[0,1]
	buffer_load_dword v3, off, s[0:3], 0 offset:316
	buffer_load_dword v2, off, s[0:3], 0 offset:312
	v_accvgpr_write_b32 a145, v21
	v_accvgpr_write_b32 a144, v20
	s_waitcnt vmcnt(0)
	v_pk_mov_b32 v[12:13], v[2:3], v[2:3] op_sel:[0,1]
	buffer_load_dword v231, off, s[0:3], 0 offset:308
	buffer_load_dword v230, off, s[0:3], 0 offset:304
	buffer_load_dword v3, off, s[0:3], 0 offset:364
	buffer_load_dword v2, off, s[0:3], 0 offset:360
	v_accvgpr_write_b32 a141, v13
	v_accvgpr_write_b32 a140, v12
	s_waitcnt vmcnt(0)
	v_pk_mov_b32 v[24:25], v[2:3], v[2:3] op_sel:[0,1]
	buffer_load_dword v3, off, s[0:3], 0 offset:356
	buffer_load_dword v2, off, s[0:3], 0 offset:352
	v_accvgpr_write_b32 a147, v25
	v_accvgpr_write_b32 a146, v24
	s_waitcnt vmcnt(0)
	v_pk_mov_b32 v[26:27], v[2:3], v[2:3] op_sel:[0,1]
	buffer_load_dword v235, off, s[0:3], 0 offset:348
	buffer_load_dword v234, off, s[0:3], 0 offset:344
	buffer_load_dword v239, off, s[0:3], 0 offset:340
	buffer_load_dword v238, off, s[0:3], 0 offset:336
	buffer_load_dword v3, off, s[0:3], 0 offset:396
	buffer_load_dword v2, off, s[0:3], 0 offset:392
	v_accvgpr_write_b32 a149, v27
	v_accvgpr_write_b32 a148, v26
	s_waitcnt vmcnt(0)
	v_pk_mov_b32 v[32:33], v[2:3], v[2:3] op_sel:[0,1]
	buffer_load_dword v3, off, s[0:3], 0 offset:388
	buffer_load_dword v2, off, s[0:3], 0 offset:384
	v_accvgpr_write_b32 a151, v33
	v_accvgpr_write_b32 a150, v32
	s_waitcnt vmcnt(0)
	v_pk_mov_b32 v[34:35], v[2:3], v[2:3] op_sel:[0,1]
	buffer_load_dword v243, off, s[0:3], 0 offset:380
	buffer_load_dword v242, off, s[0:3], 0 offset:376
	;; [unrolled: 16-line block ×3, first 2 shown]
	buffer_load_dword v253, off, s[0:3], 0 offset:404
	buffer_load_dword v252, off, s[0:3], 0 offset:400
	;; [unrolled: 1-line block ×26, first 2 shown]
	ds_read_b128 v[178:181], v254 offset:944
	ds_read_b128 v[182:185], v254 offset:960
	;; [unrolled: 1-line block ×6, first 2 shown]
	s_waitcnt lgkmcnt(5)
	v_mul_f64 v[6:7], v[178:179], v[102:103]
	v_fmac_f64_e32 v[6:7], v[180:181], v[202:203]
	v_add_f64 v[4:5], v[4:5], v[6:7]
	s_waitcnt lgkmcnt(4)
	v_mul_f64 v[6:7], v[182:183], v[98:99]
	v_fmac_f64_e32 v[6:7], v[184:185], v[100:101]
	v_add_f64 v[4:5], v[4:5], v[6:7]
	;; [unrolled: 4-line block ×3, first 2 shown]
	s_waitcnt lgkmcnt(2)
	v_mul_f64 v[6:7], v[190:191], v[110:111]
	ds_read_b128 v[216:219], v254 offset:1040
	ds_read_b128 v[212:215], v254 offset:1056
	v_fmac_f64_e32 v[6:7], v[192:193], v[204:205]
	v_add_f64 v[4:5], v[4:5], v[6:7]
	s_waitcnt lgkmcnt(3)
	v_mul_f64 v[6:7], v[194:195], v[210:211]
	ds_read_b128 v[124:127], v254 offset:1072
	ds_read_b128 v[120:123], v254 offset:1088
	v_fmac_f64_e32 v[6:7], v[196:197], v[0:1]
	v_add_f64 v[4:5], v[4:5], v[6:7]
	s_waitcnt lgkmcnt(4)
	v_mul_f64 v[6:7], v[198:199], v[104:105]
	v_fmac_f64_e32 v[6:7], v[200:201], v[106:107]
	s_waitcnt lgkmcnt(3)
	v_mul_f64 v[10:11], v[216:217], v[12:13]
	v_add_f64 v[8:9], v[4:5], v[6:7]
	v_fmac_f64_e32 v[10:11], v[218:219], v[230:231]
	s_waitcnt lgkmcnt(2)
	v_mul_f64 v[14:15], v[212:213], v[16:17]
	v_add_f64 v[12:13], v[8:9], v[10:11]
	;; [unrolled: 4-line block ×4, first 2 shown]
	ds_read_b128 v[116:119], v254 offset:1104
	v_fmac_f64_e32 v[22:23], v[122:123], v[26:27]
	v_add_f64 v[24:25], v[20:21], v[22:23]
	ds_read_b128 v[20:23], v254 offset:1120
	v_accvgpr_write_b32 a157, v43
	s_waitcnt lgkmcnt(1)
	v_mul_f64 v[26:27], v[116:117], v[242:243]
	v_fmac_f64_e32 v[26:27], v[118:119], v[246:247]
	v_add_f64 v[28:29], v[24:25], v[26:27]
	s_waitcnt lgkmcnt(0)
	v_mul_f64 v[30:31], v[20:21], v[32:33]
	ds_read_b128 v[24:27], v254 offset:1136
	v_fmac_f64_e32 v[30:31], v[22:23], v[34:35]
	v_add_f64 v[32:33], v[28:29], v[30:31]
	ds_read_b128 v[28:31], v254 offset:1152
	v_accvgpr_write_b32 a156, v42
	v_fma_f64 v[16:17], v[112:113], v[50:51], -v[54:55]
	s_waitcnt vmcnt(26) lgkmcnt(1)
	v_mul_f64 v[34:35], v[24:25], v[250:251]
	buffer_load_dword v130, off, s[0:3], 0 offset:552
	s_waitcnt vmcnt(25)
	v_fmac_f64_e32 v[34:35], v[26:27], v[252:253]
	s_waitcnt lgkmcnt(0)
	v_mul_f64 v[38:39], v[28:29], v[40:41]
	v_add_f64 v[36:37], v[32:33], v[34:35]
	ds_read_b128 v[32:35], v254 offset:1168
	v_fmac_f64_e32 v[38:39], v[30:31], v[42:43]
	v_add_f64 v[40:41], v[36:37], v[38:39]
	ds_read_b128 v[36:39], v254 offset:1184
	v_mul_f64 v[50:51], v[134:135], v[64:65]
	s_waitcnt vmcnt(19) lgkmcnt(1)
	v_mul_f64 v[42:43], v[32:33], v[226:227]
	s_waitcnt vmcnt(17)
	v_fmac_f64_e32 v[42:43], v[34:35], v[222:223]
	v_add_f64 v[44:45], v[40:41], v[42:43]
	s_waitcnt lgkmcnt(0)
	v_mul_f64 v[46:47], v[36:37], v[2:3]
	v_fmac_f64_e32 v[46:47], v[38:39], v[232:233]
	ds_read_b128 v[40:43], v254 offset:1200
	v_add_f64 v[170:171], v[44:45], v[46:47]
	ds_read_b128 v[44:47], v254 offset:1216
	v_fma_f64 v[112:113], v[132:133], v[52:53], -v[50:51]
	buffer_load_dword v135, off, s[0:3], 0 offset:540
	buffer_load_dword v134, off, s[0:3], 0 offset:536
	;; [unrolled: 1-line block ×19, first 2 shown]
	v_mul_f64 v[54:55], v[152:153], v[66:67]
	buffer_load_dword v152, off, s[0:3], 0 offset:616
	ds_read_b128 v[48:51], v254 offset:1232
	buffer_load_dword v154, off, s[0:3], 0 offset:608
	buffer_load_dword v153, off, s[0:3], 0 offset:620
	;; [unrolled: 1-line block ×3, first 2 shown]
	v_fma_f64 v[150:151], v[150:151], v[68:69], -v[54:55]
	v_mul_f64 v[54:55], v[158:159], v[76:77]
	v_fma_f64 v[12:13], v[156:157], v[88:89], -v[54:55]
	buffer_load_dword v88, off, s[0:3], 0 offset:648
	buffer_load_dword v159, off, s[0:3], 0 offset:636
	;; [unrolled: 1-line block ×8, first 2 shown]
	v_mul_f64 v[54:55], v[164:165], v[72:73]
	v_fma_f64 v[8:9], v[162:163], v[74:75], -v[54:55]
	buffer_load_dword v163, off, s[0:3], 0 offset:668
	buffer_load_dword v162, off, s[0:3], 0 offset:664
	;; [unrolled: 1-line block ×4, first 2 shown]
	s_waitcnt vmcnt(46) lgkmcnt(2)
	v_mul_f64 v[52:53], v[40:41], v[228:229]
	s_waitcnt vmcnt(44)
	v_fmac_f64_e32 v[52:53], v[42:43], v[224:225]
	v_add_f64 v[6:7], v[170:171], v[52:53]
	s_waitcnt lgkmcnt(1)
	v_mul_f64 v[52:53], v[44:45], v[236:237]
	v_mul_f64 v[10:11], v[168:169], v[84:85]
	v_fma_f64 v[10:11], v[166:167], v[86:87], -v[10:11]
	buffer_load_dword v167, off, s[0:3], 0 offset:684
	buffer_load_dword v166, off, s[0:3], 0 offset:680
	;; [unrolled: 1-line block ×8, first 2 shown]
	v_fmac_f64_e32 v[52:53], v[46:47], v[240:241]
	v_add_f64 v[6:7], v[6:7], v[52:53]
	v_mul_f64 v[52:53], v[176:177], v[80:81]
	v_fma_f64 v[4:5], v[174:175], v[82:83], -v[52:53]
	buffer_load_dword v174, off, s[0:3], 0 offset:712
	buffer_load_dword v176, off, s[0:3], 0 offset:704
	;; [unrolled: 1-line block ×4, first 2 shown]
	s_waitcnt vmcnt(50) lgkmcnt(0)
	v_mul_f64 v[14:15], v[48:49], v[220:221]
	s_waitcnt vmcnt(48)
	v_fmac_f64_e32 v[14:15], v[50:51], v[128:129]
	v_add_f64 v[6:7], v[6:7], v[14:15]
	ds_read_b128 v[52:55], v254 offset:1248
	v_mul_f64 v[14:15], v[58:59], v[78:79]
	v_fma_f64 v[14:15], v[56:57], v[108:109], -v[14:15]
	ds_read_b128 v[56:59], v254 offset:1264
	v_accvgpr_write_b32 a159, v3
	v_accvgpr_write_b32 a158, v2
	v_fma_f64 v[2:3], v[60:61], v[96:97], -v[62:63]
	ds_read_b128 v[60:63], v254 offset:1280
	s_waitcnt lgkmcnt(2)
	v_mul_f64 v[64:65], v[52:53], v[244:245]
	v_fmac_f64_e32 v[64:65], v[54:55], v[248:249]
	v_add_f64 v[6:7], v[6:7], v[64:65]
	ds_read_b128 v[64:67], v254 offset:1296
	ds_read_b128 v[68:71], v254 offset:1312
	v_mul_f64 v[72:73], v[184:185], v[98:99]
	v_mul_f64 v[80:81], v[188:189], v[206:207]
	v_fma_f64 v[186:187], v[186:187], v[208:209], -v[80:81]
	v_mul_f64 v[84:85], v[192:193], v[110:111]
	v_fma_f64 v[192:193], v[190:191], v[204:205], -v[84:85]
	ds_read_b128 v[84:87], v254 offset:1376
	ds_read_b128 v[206:209], v254 offset:1392
	v_mul_f64 v[96:97], v[200:201], v[104:105]
	v_fma_f64 v[198:199], v[198:199], v[106:107], -v[96:97]
	v_add_f64 v[16:17], v[16:17], 0
	v_add_f64 v[16:17], v[16:17], v[112:113]
	;; [unrolled: 1-line block ×11, first 2 shown]
	v_accvgpr_read_b32 v4, a140
	v_accvgpr_read_b32 v5, a141
	v_mul_f64 v[4:5], v[218:219], v[4:5]
	v_fma_f64 v[4:5], v[216:217], v[230:231], -v[4:5]
	v_accvgpr_read_b32 v8, a144
	ds_read_b128 v[80:83], v254 offset:1360
	v_accvgpr_read_b32 v9, a145
	ds_read_b128 v[96:99], v254 offset:1424
	s_waitcnt vmcnt(45) lgkmcnt(7)
	v_mul_f64 v[18:19], v[56:57], v[134:135]
	s_waitcnt vmcnt(43)
	v_fmac_f64_e32 v[18:19], v[58:59], v[136:137]
	v_add_f64 v[6:7], v[6:7], v[18:19]
	s_waitcnt vmcnt(41) lgkmcnt(6)
	v_mul_f64 v[18:19], v[60:61], v[130:131]
	s_waitcnt vmcnt(40)
	v_fmac_f64_e32 v[18:19], v[62:63], v[132:133]
	v_add_f64 v[6:7], v[6:7], v[18:19]
	v_mul_f64 v[18:19], v[180:181], v[102:103]
	v_fma_f64 v[18:19], v[178:179], v[202:203], -v[18:19]
	v_fma_f64 v[178:179], v[182:183], v[100:101], -v[72:73]
	ds_read_b128 v[72:75], v254 offset:1328
	s_waitcnt vmcnt(38) lgkmcnt(6)
	v_mul_f64 v[76:77], v[64:65], v[138:139]
	s_waitcnt vmcnt(36)
	v_fmac_f64_e32 v[76:77], v[66:67], v[140:141]
	v_add_f64 v[6:7], v[6:7], v[76:77]
	s_waitcnt vmcnt(34) lgkmcnt(5)
	v_mul_f64 v[76:77], v[68:69], v[142:143]
	s_waitcnt vmcnt(32)
	v_fmac_f64_e32 v[76:77], v[70:71], v[146:147]
	v_add_f64 v[6:7], v[6:7], v[76:77]
	;; [unrolled: 5-line block ×3, first 2 shown]
	ds_read_b128 v[76:79], v254 offset:1344
	ds_read_b128 v[100:103], v254 offset:1440
	v_add_f64 v[2:3], v[2:3], v[18:19]
	v_add_f64 v[2:3], v[2:3], v[178:179]
	;; [unrolled: 1-line block ×3, first 2 shown]
	s_waitcnt vmcnt(25) lgkmcnt(1)
	v_mul_f64 v[92:93], v[76:77], v[152:153]
	s_waitcnt vmcnt(24)
	v_fmac_f64_e32 v[92:93], v[78:79], v[154:155]
	v_add_f64 v[6:7], v[6:7], v[92:93]
	s_waitcnt vmcnt(21)
	v_mul_f64 v[92:93], v[80:81], v[158:159]
	s_waitcnt vmcnt(19)
	v_fmac_f64_e32 v[92:93], v[82:83], v[160:161]
	v_add_f64 v[6:7], v[6:7], v[92:93]
	s_waitcnt vmcnt(17)
	v_mul_f64 v[92:93], v[84:85], v[88:89]
	s_waitcnt vmcnt(16)
	v_fmac_f64_e32 v[92:93], v[86:87], v[156:157]
	v_add_f64 v[6:7], v[6:7], v[92:93]
	v_mul_f64 v[92:93], v[196:197], v[210:211]
	v_fma_f64 v[196:197], v[194:195], v[0:1], -v[92:93]
	ds_read_b128 v[92:95], v254 offset:1408
	s_waitcnt vmcnt(14)
	v_mul_f64 v[0:1], v[206:207], v[162:163]
	s_waitcnt vmcnt(12)
	v_fmac_f64_e32 v[0:1], v[208:209], v[164:165]
	v_add_f64 v[0:1], v[6:7], v[0:1]
	v_add_f64 v[200:201], v[2:3], v[192:193]
	s_waitcnt vmcnt(10) lgkmcnt(0)
	v_mul_f64 v[6:7], v[92:93], v[166:167]
	s_waitcnt vmcnt(8)
	v_fmac_f64_e32 v[6:7], v[94:95], v[170:171]
	v_add_f64 v[0:1], v[0:1], v[6:7]
	s_waitcnt vmcnt(6)
	v_mul_f64 v[6:7], v[96:97], v[168:169]
	s_waitcnt vmcnt(4)
	v_fmac_f64_e32 v[6:7], v[98:99], v[172:173]
	v_add_f64 v[0:1], v[0:1], v[6:7]
	s_waitcnt vmcnt(1)
	v_mul_f64 v[6:7], v[100:101], v[174:175]
	s_waitcnt vmcnt(0)
	v_fmac_f64_e32 v[6:7], v[102:103], v[176:177]
	v_add_f64 v[6:7], v[0:1], v[6:7]
	buffer_load_dword v1, off, s[0:3], 0 offset:732
	buffer_load_dword v0, off, s[0:3], 0 offset:728
	;; [unrolled: 1-line block ×4, first 2 shown]
	ds_read_b128 v[104:107], v254 offset:1456
	buffer_load_dword v182, off, s[0:3], 0 offset:744
	buffer_load_dword v183, off, s[0:3], 0 offset:748
	;; [unrolled: 1-line block ×4, first 2 shown]
	v_add_f64 v[2:3], v[200:201], v[196:197]
	v_add_f64 v[2:3], v[2:3], v[198:199]
	v_add_f64 v[2:3], v[2:3], v[4:5]
	v_accvgpr_read_b32 v4, a142
	v_accvgpr_read_b32 v5, a143
	v_mul_f64 v[4:5], v[214:215], v[4:5]
	v_fma_f64 v[4:5], v[212:213], v[8:9], -v[4:5]
	v_add_f64 v[2:3], v[2:3], v[4:5]
	v_mul_f64 v[4:5], v[126:127], v[234:235]
	v_fma_f64 v[4:5], v[124:125], v[238:239], -v[4:5]
	v_add_f64 v[2:3], v[2:3], v[4:5]
	v_accvgpr_read_b32 v4, a146
	v_accvgpr_read_b32 v5, a147
	v_accvgpr_read_b32 v8, a148
	v_mul_f64 v[4:5], v[122:123], v[4:5]
	v_accvgpr_read_b32 v9, a149
	v_fma_f64 v[4:5], v[120:121], v[8:9], -v[4:5]
	v_add_f64 v[2:3], v[2:3], v[4:5]
	v_mul_f64 v[4:5], v[118:119], v[242:243]
	v_fma_f64 v[4:5], v[116:117], v[246:247], -v[4:5]
	v_add_f64 v[2:3], v[2:3], v[4:5]
	v_accvgpr_read_b32 v4, a150
	v_accvgpr_read_b32 v5, a151
	v_accvgpr_read_b32 v8, a152
	v_mul_f64 v[4:5], v[22:23], v[4:5]
	v_accvgpr_read_b32 v9, a153
	;; [unrolled: 10-line block ×3, first 2 shown]
	v_fma_f64 v[4:5], v[28:29], v[8:9], -v[4:5]
	v_add_f64 v[2:3], v[2:3], v[4:5]
	v_mul_f64 v[4:5], v[34:35], v[226:227]
	v_fma_f64 v[4:5], v[32:33], v[222:223], -v[4:5]
	v_add_f64 v[2:3], v[2:3], v[4:5]
	v_accvgpr_read_b32 v4, a158
	v_accvgpr_read_b32 v5, a159
	v_mul_f64 v[4:5], v[38:39], v[4:5]
	v_fma_f64 v[4:5], v[36:37], v[232:233], -v[4:5]
	v_add_f64 v[2:3], v[2:3], v[4:5]
	v_mul_f64 v[4:5], v[42:43], v[228:229]
	v_fma_f64 v[4:5], v[40:41], v[224:225], -v[4:5]
	v_add_f64 v[2:3], v[2:3], v[4:5]
	;; [unrolled: 3-line block ×10, first 2 shown]
	v_mul_f64 v[4:5], v[78:79], v[152:153]
	v_fma_f64 v[4:5], v[76:77], v[154:155], -v[4:5]
	s_waitcnt vmcnt(6) lgkmcnt(0)
	v_mul_f64 v[108:109], v[104:105], v[0:1]
	v_add_f64 v[2:3], v[2:3], v[4:5]
	s_waitcnt vmcnt(4)
	v_fmac_f64_e32 v[108:109], v[106:107], v[180:181]
	v_add_f64 v[6:7], v[6:7], v[108:109]
	ds_read_b128 v[108:111], v254 offset:1472
	v_mul_f64 v[4:5], v[82:83], v[158:159]
	v_fma_f64 v[4:5], v[80:81], v[160:161], -v[4:5]
	v_add_f64 v[2:3], v[2:3], v[4:5]
	v_mul_f64 v[4:5], v[86:87], v[88:89]
	s_waitcnt vmcnt(2) lgkmcnt(0)
	v_mul_f64 v[188:189], v[108:109], v[182:183]
	s_waitcnt vmcnt(0)
	v_fmac_f64_e32 v[188:189], v[110:111], v[184:185]
	v_add_f64 v[6:7], v[6:7], v[188:189]
	buffer_load_dword v189, off, s[0:3], 0 offset:764
	buffer_load_dword v188, off, s[0:3], 0 offset:760
	;; [unrolled: 1-line block ×4, first 2 shown]
	ds_read_b128 v[202:205], v254 offset:1488
	v_fma_f64 v[4:5], v[84:85], v[156:157], -v[4:5]
	v_add_f64 v[2:3], v[2:3], v[4:5]
	v_mul_f64 v[4:5], v[208:209], v[162:163]
	v_fma_f64 v[4:5], v[206:207], v[164:165], -v[4:5]
	v_add_f64 v[2:3], v[2:3], v[4:5]
	v_mul_f64 v[4:5], v[94:95], v[166:167]
	;; [unrolled: 3-line block ×4, first 2 shown]
	v_fma_f64 v[4:5], v[100:101], v[176:177], -v[4:5]
	v_mul_f64 v[0:1], v[106:107], v[0:1]
	v_add_f64 v[2:3], v[2:3], v[4:5]
	v_fma_f64 v[0:1], v[104:105], v[180:181], -v[0:1]
	v_add_f64 v[0:1], v[2:3], v[0:1]
	v_mul_f64 v[2:3], v[110:111], v[182:183]
	v_fma_f64 v[2:3], v[108:109], v[184:185], -v[2:3]
	v_add_f64 v[0:1], v[0:1], v[2:3]
	s_waitcnt vmcnt(2) lgkmcnt(0)
	v_mul_f64 v[194:195], v[202:203], v[188:189]
	v_mul_f64 v[2:3], v[204:205], v[188:189]
	s_waitcnt vmcnt(0)
	v_fmac_f64_e32 v[194:195], v[204:205], v[190:191]
	v_add_f64 v[6:7], v[6:7], v[194:195]
	buffer_load_dword v194, off, s[0:3], 0 offset:16
	buffer_load_dword v195, off, s[0:3], 0 offset:20
	buffer_load_dword v192, off, s[0:3], 0 offset:24
	buffer_load_dword v193, off, s[0:3], 0 offset:28
	v_fma_f64 v[2:3], v[202:203], v[190:191], -v[2:3]
	v_add_f64 v[0:1], v[0:1], v[2:3]
	s_waitcnt vmcnt(2)
	v_add_f64 v[0:1], v[194:195], -v[0:1]
	s_waitcnt vmcnt(0)
	v_add_f64 v[2:3], v[192:193], -v[6:7]
	buffer_store_dword v1, off, s[0:3], 0 offset:20
	buffer_store_dword v0, off, s[0:3], 0 offset:16
	;; [unrolled: 1-line block ×4, first 2 shown]
	s_cbranch_vccz .LBB46_389
; %bb.296:
	v_pk_mov_b32 v[0:1], s[10:11], s[10:11] op_sel:[0,1]
	flat_load_dword v0, v[0:1] offset:180
	s_waitcnt vmcnt(0) lgkmcnt(0)
	v_add_u32_e32 v0, -1, v0
	v_cmp_ne_u32_e32 vcc, 45, v0
	s_and_saveexec_b64 s[4:5], vcc
	s_cbranch_execz .LBB46_298
; %bb.297:
	v_mov_b32_e32 v1, 16
	v_accvgpr_read_b32 v9, a95
	v_lshl_add_u32 v0, v0, 4, v1
	buffer_load_dword v1, v9, s[0:3], 0 offen offset:4
	buffer_load_dword v2, v9, s[0:3], 0 offen offset:8
	buffer_load_dword v3, v9, s[0:3], 0 offen offset:12
	buffer_load_dword v4, v0, s[0:3], 0 offen
	buffer_load_dword v5, v0, s[0:3], 0 offen offset:4
	buffer_load_dword v6, v0, s[0:3], 0 offen offset:8
	buffer_load_dword v7, v0, s[0:3], 0 offen offset:12
	buffer_load_dword v8, v9, s[0:3], 0 offen
	s_waitcnt vmcnt(4)
	buffer_store_dword v4, v9, s[0:3], 0 offen
	s_waitcnt vmcnt(4)
	buffer_store_dword v5, v9, s[0:3], 0 offen offset:4
	s_waitcnt vmcnt(4)
	buffer_store_dword v6, v9, s[0:3], 0 offen offset:8
	s_waitcnt vmcnt(4)
	buffer_store_dword v7, v9, s[0:3], 0 offen offset:12
	buffer_store_dword v3, v0, s[0:3], 0 offen offset:12
	buffer_store_dword v2, v0, s[0:3], 0 offen offset:8
	buffer_store_dword v1, v0, s[0:3], 0 offen offset:4
	s_waitcnt vmcnt(7)
	buffer_store_dword v8, v0, s[0:3], 0 offen
.LBB46_298:
	s_or_b64 exec, exec, s[4:5]
	v_pk_mov_b32 v[0:1], s[10:11], s[10:11] op_sel:[0,1]
	flat_load_dword v0, v[0:1] offset:176
	s_waitcnt vmcnt(0) lgkmcnt(0)
	v_add_u32_e32 v0, -1, v0
	v_cmp_ne_u32_e32 vcc, 44, v0
	s_and_saveexec_b64 s[4:5], vcc
	s_cbranch_execz .LBB46_300
; %bb.299:
	v_mov_b32_e32 v1, 16
	v_accvgpr_read_b32 v9, a96
	v_lshl_add_u32 v0, v0, 4, v1
	buffer_load_dword v1, v9, s[0:3], 0 offen offset:4
	buffer_load_dword v2, v9, s[0:3], 0 offen offset:8
	buffer_load_dword v3, v9, s[0:3], 0 offen offset:12
	buffer_load_dword v4, v0, s[0:3], 0 offen
	buffer_load_dword v5, v0, s[0:3], 0 offen offset:4
	buffer_load_dword v6, v0, s[0:3], 0 offen offset:8
	buffer_load_dword v7, v0, s[0:3], 0 offen offset:12
	buffer_load_dword v8, v9, s[0:3], 0 offen
	s_waitcnt vmcnt(4)
	buffer_store_dword v4, v9, s[0:3], 0 offen
	s_waitcnt vmcnt(4)
	buffer_store_dword v5, v9, s[0:3], 0 offen offset:4
	s_waitcnt vmcnt(4)
	buffer_store_dword v6, v9, s[0:3], 0 offen offset:8
	s_waitcnt vmcnt(4)
	buffer_store_dword v7, v9, s[0:3], 0 offen offset:12
	buffer_store_dword v3, v0, s[0:3], 0 offen offset:12
	buffer_store_dword v2, v0, s[0:3], 0 offen offset:8
	buffer_store_dword v1, v0, s[0:3], 0 offen offset:4
	s_waitcnt vmcnt(7)
	buffer_store_dword v8, v0, s[0:3], 0 offen
.LBB46_300:
	s_or_b64 exec, exec, s[4:5]
	;; [unrolled: 34-line block ×45, first 2 shown]
	v_pk_mov_b32 v[0:1], s[10:11], s[10:11] op_sel:[0,1]
	flat_load_dword v0, v[0:1]
	s_waitcnt vmcnt(0) lgkmcnt(0)
	v_add_u32_e32 v0, -1, v0
	v_cmp_ne_u32_e32 vcc, 0, v0
	s_and_saveexec_b64 s[4:5], vcc
	s_cbranch_execz .LBB46_388
; %bb.387:
	v_mov_b32_e32 v1, 16
	v_lshl_add_u32 v0, v0, 4, v1
	buffer_load_dword v1, v0, s[0:3], 0 offen
	buffer_load_dword v2, v0, s[0:3], 0 offen offset:4
	buffer_load_dword v3, v0, s[0:3], 0 offen offset:8
	buffer_load_dword v4, v0, s[0:3], 0 offen offset:12
	buffer_load_dword v5, off, s[0:3], 0 offset:28
	buffer_load_dword v6, off, s[0:3], 0 offset:24
	;; [unrolled: 1-line block ×4, first 2 shown]
	s_waitcnt vmcnt(7)
	buffer_store_dword v1, off, s[0:3], 0 offset:16
	s_waitcnt vmcnt(7)
	buffer_store_dword v2, off, s[0:3], 0 offset:20
	;; [unrolled: 2-line block ×4, first 2 shown]
	s_waitcnt vmcnt(7)
	buffer_store_dword v5, v0, s[0:3], 0 offen offset:12
	s_waitcnt vmcnt(7)
	buffer_store_dword v6, v0, s[0:3], 0 offen offset:8
	;; [unrolled: 2-line block ×3, first 2 shown]
	s_waitcnt vmcnt(7)
	buffer_store_dword v8, v0, s[0:3], 0 offen
.LBB46_388:
	s_or_b64 exec, exec, s[4:5]
.LBB46_389:
	buffer_load_dword v0, off, s[0:3], 0 offset:16
	buffer_load_dword v1, off, s[0:3], 0 offset:20
	;; [unrolled: 1-line block ×4, first 2 shown]
	v_accvgpr_read_b32 v5, a1
	v_accvgpr_read_b32 v4, a0
	s_waitcnt vmcnt(0)
	global_store_dwordx4 v[4:5], v[0:3], off
	s_nop 0
	v_accvgpr_read_b32 v3, a139
	buffer_load_dword v0, v3, s[0:3], 0 offen
	buffer_load_dword v1, v3, s[0:3], 0 offen offset:4
	buffer_load_dword v2, v3, s[0:3], 0 offen offset:8
	s_nop 0
	buffer_load_dword v3, v3, s[0:3], 0 offen offset:12
	v_accvgpr_read_b32 v5, a3
	v_accvgpr_read_b32 v4, a2
	s_waitcnt vmcnt(0)
	global_store_dwordx4 v[4:5], v[0:3], off
	s_nop 0
	v_accvgpr_read_b32 v3, a138
	buffer_load_dword v0, v3, s[0:3], 0 offen
	buffer_load_dword v1, v3, s[0:3], 0 offen offset:4
	buffer_load_dword v2, v3, s[0:3], 0 offen offset:8
	s_nop 0
	buffer_load_dword v3, v3, s[0:3], 0 offen offset:12
	;; [unrolled: 11-line block ×5, first 2 shown]
	v_accvgpr_read_b32 v4, a12
	v_accvgpr_read_b32 v5, a13
	s_waitcnt vmcnt(0)
	global_store_dwordx4 v[4:5], v[0:3], off
	v_accvgpr_read_b32 v4, a134
	buffer_load_dword v0, v4, s[0:3], 0 offen
	buffer_load_dword v1, v4, s[0:3], 0 offen offset:4
	buffer_load_dword v2, v4, s[0:3], 0 offen offset:8
	buffer_load_dword v3, v4, s[0:3], 0 offen offset:12
	v_accvgpr_read_b32 v4, a10
	v_accvgpr_read_b32 v5, a11
	s_waitcnt vmcnt(0)
	global_store_dwordx4 v[4:5], v[0:3], off
	v_accvgpr_read_b32 v4, a133
	buffer_load_dword v0, v4, s[0:3], 0 offen
	buffer_load_dword v1, v4, s[0:3], 0 offen offset:4
	buffer_load_dword v2, v4, s[0:3], 0 offen offset:8
	buffer_load_dword v3, v4, s[0:3], 0 offen offset:12
	;; [unrolled: 9-line block ×41, first 2 shown]
	v_accvgpr_read_b32 v4, a54
	v_accvgpr_read_b32 v5, a55
	s_waitcnt vmcnt(0)
	global_store_dwordx4 v[4:5], v[0:3], off
	s_endpgm
	.section	.rodata,"a",@progbits
	.p2align	6, 0x0
	.amdhsa_kernel _ZN9rocsolver6v33100L18getri_kernel_smallILi47E19rocblas_complex_numIdEPS3_EEvT1_iilPiilS6_bb
		.amdhsa_group_segment_fixed_size 1512
		.amdhsa_private_segment_fixed_size 784
		.amdhsa_kernarg_size 60
		.amdhsa_user_sgpr_count 8
		.amdhsa_user_sgpr_private_segment_buffer 1
		.amdhsa_user_sgpr_dispatch_ptr 0
		.amdhsa_user_sgpr_queue_ptr 0
		.amdhsa_user_sgpr_kernarg_segment_ptr 1
		.amdhsa_user_sgpr_dispatch_id 0
		.amdhsa_user_sgpr_flat_scratch_init 1
		.amdhsa_user_sgpr_kernarg_preload_length 0
		.amdhsa_user_sgpr_kernarg_preload_offset 0
		.amdhsa_user_sgpr_private_segment_size 0
		.amdhsa_uses_dynamic_stack 0
		.amdhsa_system_sgpr_private_segment_wavefront_offset 1
		.amdhsa_system_sgpr_workgroup_id_x 1
		.amdhsa_system_sgpr_workgroup_id_y 0
		.amdhsa_system_sgpr_workgroup_id_z 0
		.amdhsa_system_sgpr_workgroup_info 0
		.amdhsa_system_vgpr_workitem_id 0
		.amdhsa_next_free_vgpr 416
		.amdhsa_next_free_sgpr 23
		.amdhsa_accum_offset 256
		.amdhsa_reserve_vcc 1
		.amdhsa_reserve_flat_scratch 1
		.amdhsa_float_round_mode_32 0
		.amdhsa_float_round_mode_16_64 0
		.amdhsa_float_denorm_mode_32 3
		.amdhsa_float_denorm_mode_16_64 3
		.amdhsa_dx10_clamp 1
		.amdhsa_ieee_mode 1
		.amdhsa_fp16_overflow 0
		.amdhsa_tg_split 0
		.amdhsa_exception_fp_ieee_invalid_op 0
		.amdhsa_exception_fp_denorm_src 0
		.amdhsa_exception_fp_ieee_div_zero 0
		.amdhsa_exception_fp_ieee_overflow 0
		.amdhsa_exception_fp_ieee_underflow 0
		.amdhsa_exception_fp_ieee_inexact 0
		.amdhsa_exception_int_div_zero 0
	.end_amdhsa_kernel
	.section	.text._ZN9rocsolver6v33100L18getri_kernel_smallILi47E19rocblas_complex_numIdEPS3_EEvT1_iilPiilS6_bb,"axG",@progbits,_ZN9rocsolver6v33100L18getri_kernel_smallILi47E19rocblas_complex_numIdEPS3_EEvT1_iilPiilS6_bb,comdat
.Lfunc_end46:
	.size	_ZN9rocsolver6v33100L18getri_kernel_smallILi47E19rocblas_complex_numIdEPS3_EEvT1_iilPiilS6_bb, .Lfunc_end46-_ZN9rocsolver6v33100L18getri_kernel_smallILi47E19rocblas_complex_numIdEPS3_EEvT1_iilPiilS6_bb
                                        ; -- End function
	.section	.AMDGPU.csdata,"",@progbits
; Kernel info:
; codeLenInByte = 141616
; NumSgprs: 29
; NumVgprs: 256
; NumAgprs: 160
; TotalNumVgprs: 416
; ScratchSize: 784
; MemoryBound: 0
; FloatMode: 240
; IeeeMode: 1
; LDSByteSize: 1512 bytes/workgroup (compile time only)
; SGPRBlocks: 3
; VGPRBlocks: 51
; NumSGPRsForWavesPerEU: 29
; NumVGPRsForWavesPerEU: 416
; AccumOffset: 256
; Occupancy: 1
; WaveLimiterHint : 1
; COMPUTE_PGM_RSRC2:SCRATCH_EN: 1
; COMPUTE_PGM_RSRC2:USER_SGPR: 8
; COMPUTE_PGM_RSRC2:TRAP_HANDLER: 0
; COMPUTE_PGM_RSRC2:TGID_X_EN: 1
; COMPUTE_PGM_RSRC2:TGID_Y_EN: 0
; COMPUTE_PGM_RSRC2:TGID_Z_EN: 0
; COMPUTE_PGM_RSRC2:TIDIG_COMP_CNT: 0
; COMPUTE_PGM_RSRC3_GFX90A:ACCUM_OFFSET: 63
; COMPUTE_PGM_RSRC3_GFX90A:TG_SPLIT: 0
	.section	.text._ZN9rocsolver6v33100L18getri_kernel_smallILi48E19rocblas_complex_numIdEPS3_EEvT1_iilPiilS6_bb,"axG",@progbits,_ZN9rocsolver6v33100L18getri_kernel_smallILi48E19rocblas_complex_numIdEPS3_EEvT1_iilPiilS6_bb,comdat
	.globl	_ZN9rocsolver6v33100L18getri_kernel_smallILi48E19rocblas_complex_numIdEPS3_EEvT1_iilPiilS6_bb ; -- Begin function _ZN9rocsolver6v33100L18getri_kernel_smallILi48E19rocblas_complex_numIdEPS3_EEvT1_iilPiilS6_bb
	.p2align	8
	.type	_ZN9rocsolver6v33100L18getri_kernel_smallILi48E19rocblas_complex_numIdEPS3_EEvT1_iilPiilS6_bb,@function
_ZN9rocsolver6v33100L18getri_kernel_smallILi48E19rocblas_complex_numIdEPS3_EEvT1_iilPiilS6_bb: ; @_ZN9rocsolver6v33100L18getri_kernel_smallILi48E19rocblas_complex_numIdEPS3_EEvT1_iilPiilS6_bb
; %bb.0:
	s_add_u32 flat_scratch_lo, s6, s9
	s_addc_u32 flat_scratch_hi, s7, 0
	s_add_u32 s0, s0, s9
	v_mov_b32_e32 v254, v0
	s_addc_u32 s1, s1, 0
	v_cmp_gt_u32_e32 vcc, 48, v254
	s_and_saveexec_b64 s[6:7], vcc
	s_cbranch_execz .LBB47_206
; %bb.1:
	s_load_dword s22, s[4:5], 0x38
	s_load_dwordx4 s[16:19], s[4:5], 0x10
	s_load_dwordx4 s[12:15], s[4:5], 0x28
                                        ; implicit-def: $sgpr10_sgpr11
	s_waitcnt lgkmcnt(0)
	s_bitcmp1_b32 s22, 8
	s_cselect_b64 s[20:21], -1, 0
	s_ashr_i32 s9, s8, 31
	s_bfe_u32 s6, s22, 0x10008
	s_cmp_eq_u32 s6, 0
	s_cbranch_scc1 .LBB47_3
; %bb.2:
	s_load_dword s6, s[4:5], 0x20
	s_mul_i32 s7, s8, s13
	s_mul_hi_u32 s10, s8, s12
	s_mul_i32 s11, s9, s12
	s_add_i32 s10, s10, s7
	s_add_i32 s11, s10, s11
	s_mul_i32 s10, s8, s12
	s_waitcnt lgkmcnt(0)
	s_ashr_i32 s7, s6, 31
	s_lshl_b64 s[10:11], s[10:11], 2
	s_add_u32 s10, s18, s10
	s_addc_u32 s11, s19, s11
	s_lshl_b64 s[6:7], s[6:7], 2
	s_add_u32 s10, s10, s6
	s_addc_u32 s11, s11, s7
.LBB47_3:
	s_load_dwordx4 s[4:7], s[4:5], 0x0
	s_mul_i32 s12, s8, s17
	s_mul_hi_u32 s13, s8, s16
	s_add_i32 s17, s13, s12
	v_lshlrev_b32_e32 v1, 4, v254
	s_waitcnt lgkmcnt(0)
	s_ashr_i32 s13, s6, 31
	s_mov_b32 s12, s6
	s_mul_i32 s6, s9, s16
	s_add_i32 s17, s17, s6
	s_mul_i32 s16, s8, s16
	s_lshl_b64 s[16:17], s[16:17], 4
	s_add_u32 s6, s4, s16
	s_addc_u32 s16, s5, s17
	s_lshl_b64 s[4:5], s[12:13], 4
	s_add_u32 s4, s6, s4
	s_addc_u32 s5, s16, s5
	s_add_i32 s6, s7, s7
	v_add_u32_e32 v4, s6, v254
	v_ashrrev_i32_e32 v5, 31, v4
	v_add_u32_e32 v2, s7, v4
	v_lshlrev_b64 v[4:5], 4, v[4:5]
	v_mov_b32_e32 v0, s5
	v_add_co_u32_e32 v4, vcc, s4, v4
	v_addc_co_u32_e32 v5, vcc, v0, v5, vcc
	global_load_dwordx4 v[54:57], v1, s[4:5]
	v_add_co_u32_e32 v12, vcc, s4, v1
	s_mov_b32 s12, s7
	s_ashr_i32 s13, s7, 31
	v_addc_co_u32_e32 v13, vcc, 0, v0, vcc
	s_lshl_b64 s[12:13], s[12:13], 4
	v_mov_b32_e32 v0, s13
	v_add_co_u32_e32 v10, vcc, s12, v12
	v_addc_co_u32_e32 v11, vcc, v13, v0, vcc
	global_load_dwordx4 v[58:61], v[10:11], off
	global_load_dwordx4 v[62:65], v[4:5], off
	v_ashrrev_i32_e32 v3, 31, v2
	v_add_u32_e32 v6, s7, v2
	v_accvgpr_write_b32 a45, v5
	v_lshlrev_b64 v[2:3], 4, v[2:3]
	v_accvgpr_write_b32 a44, v4
	v_mov_b32_e32 v0, s5
	v_add_co_u32_e32 v4, vcc, s4, v2
	v_addc_co_u32_e32 v5, vcc, v0, v3, vcc
	v_ashrrev_i32_e32 v7, 31, v6
	global_load_dwordx4 v[66:69], v[4:5], off
	v_lshlrev_b64 v[2:3], 4, v[6:7]
	v_add_co_u32_e32 v2, vcc, s4, v2
	v_add_u32_e32 v8, s7, v6
	v_addc_co_u32_e32 v3, vcc, v0, v3, vcc
	v_accvgpr_write_b32 a47, v3
	global_load_dwordx4 v[70:73], v[2:3], off
	v_ashrrev_i32_e32 v9, 31, v8
	v_accvgpr_write_b32 a59, v5
	v_accvgpr_write_b32 a46, v2
	v_lshlrev_b64 v[2:3], 4, v[8:9]
	v_accvgpr_write_b32 a58, v4
	v_add_co_u32_e32 v4, vcc, s4, v2
	v_add_u32_e32 v14, s7, v8
	v_addc_co_u32_e32 v5, vcc, v0, v3, vcc
	v_ashrrev_i32_e32 v15, 31, v14
	global_load_dwordx4 v[6:9], v[4:5], off
	v_lshlrev_b64 v[2:3], 4, v[14:15]
	v_add_co_u32_e32 v2, vcc, s4, v2
	v_accvgpr_write_b32 a79, v13
	v_accvgpr_write_b32 a73, v11
	v_addc_co_u32_e32 v3, vcc, v0, v3, vcc
	v_accvgpr_write_b32 a78, v12
	v_accvgpr_write_b32 a72, v10
	global_load_dwordx4 v[10:13], v[2:3], off
	v_add_u32_e32 v74, s7, v14
	v_add_u32_e32 v76, s7, v74
	;; [unrolled: 1-line block ×39, first 2 shown]
	v_accvgpr_write_b32 a39, v3
	v_add_u32_e32 v14, s7, v16
	v_accvgpr_write_b32 a38, v2
	v_add_u32_e32 v2, s7, v14
	v_ashrrev_i32_e32 v3, 31, v2
	v_lshlrev_b64 v[2:3], 4, v[2:3]
	v_add_co_u32_e32 v2, vcc, s4, v2
	v_accvgpr_write_b32 a49, v5
	v_addc_co_u32_e32 v3, vcc, v0, v3, vcc
	v_accvgpr_write_b32 a0, v2
	v_ashrrev_i32_e32 v75, 31, v74
	v_accvgpr_write_b32 a48, v4
	v_accvgpr_write_b32 a1, v3
	global_load_dwordx4 v[2:5], v[2:3], off
	s_waitcnt vmcnt(7)
	buffer_store_dword v57, off, s[0:3], 0 offset:28
	buffer_store_dword v56, off, s[0:3], 0 offset:24
	buffer_store_dword v55, off, s[0:3], 0 offset:20
	buffer_store_dword v54, off, s[0:3], 0 offset:16
	s_waitcnt vmcnt(10)
	buffer_store_dword v61, off, s[0:3], 0 offset:44
	buffer_store_dword v60, off, s[0:3], 0 offset:40
	buffer_store_dword v59, off, s[0:3], 0 offset:36
	buffer_store_dword v58, off, s[0:3], 0 offset:32
	;; [unrolled: 5-line block ×6, first 2 shown]
	s_waitcnt vmcnt(25)
	buffer_store_dword v13, off, s[0:3], 0 offset:124
	v_lshlrev_b64 v[6:7], 4, v[74:75]
	v_add_co_u32_e32 v8, vcc, s4, v6
	v_addc_co_u32_e32 v9, vcc, v0, v7, vcc
	v_ashrrev_i32_e32 v77, 31, v76
	global_load_dwordx4 v[54:57], v[8:9], off
	v_lshlrev_b64 v[6:7], 4, v[76:77]
	v_add_co_u32_e32 v6, vcc, s4, v6
	v_addc_co_u32_e32 v7, vcc, v0, v7, vcc
	global_load_dwordx4 v[58:61], v[6:7], off
	v_accvgpr_write_b32 a91, v7
	v_ashrrev_i32_e32 v79, 31, v78
	v_accvgpr_write_b32 a95, v9
	v_accvgpr_write_b32 a90, v6
	v_lshlrev_b64 v[6:7], 4, v[78:79]
	v_accvgpr_write_b32 a94, v8
	v_add_co_u32_e32 v8, vcc, s4, v6
	v_addc_co_u32_e32 v9, vcc, v0, v7, vcc
	v_ashrrev_i32_e32 v81, 31, v80
	global_load_dwordx4 v[62:65], v[8:9], off
	v_lshlrev_b64 v[6:7], 4, v[80:81]
	v_add_co_u32_e32 v6, vcc, s4, v6
	v_addc_co_u32_e32 v7, vcc, v0, v7, vcc
	global_load_dwordx4 v[66:69], v[6:7], off
	v_accvgpr_write_b32 a87, v7
	v_ashrrev_i32_e32 v83, 31, v82
	v_accvgpr_write_b32 a93, v9
	v_accvgpr_write_b32 a86, v6
	v_lshlrev_b64 v[6:7], 4, v[82:83]
	v_accvgpr_write_b32 a92, v8
	;; [unrolled: 14-line block ×5, first 2 shown]
	v_add_co_u32_e32 v8, vcc, s4, v6
	v_addc_co_u32_e32 v9, vcc, v0, v7, vcc
	v_ashrrev_i32_e32 v97, 31, v96
	v_lshlrev_b64 v[6:7], 4, v[96:97]
	global_load_dwordx4 v[94:97], v[8:9], off
	v_add_co_u32_e32 v6, vcc, s4, v6
	v_addc_co_u32_e32 v7, vcc, v0, v7, vcc
	global_load_dwordx4 v[98:101], v[6:7], off
	v_accvgpr_write_b32 a51, v7
	v_ashrrev_i32_e32 v103, 31, v102
	v_accvgpr_write_b32 a63, v9
	v_accvgpr_write_b32 a50, v6
	v_lshlrev_b64 v[6:7], 4, v[102:103]
	v_accvgpr_write_b32 a62, v8
	v_add_co_u32_e32 v8, vcc, s4, v6
	v_addc_co_u32_e32 v9, vcc, v0, v7, vcc
	v_ashrrev_i32_e32 v105, 31, v104
	v_lshlrev_b64 v[6:7], 4, v[104:105]
	global_load_dwordx4 v[102:105], v[8:9], off
	v_add_co_u32_e32 v6, vcc, s4, v6
	v_addc_co_u32_e32 v7, vcc, v0, v7, vcc
	global_load_dwordx4 v[106:109], v[6:7], off
	v_accvgpr_write_b32 a35, v7
	v_ashrrev_i32_e32 v111, 31, v110
	v_accvgpr_write_b32 a53, v9
	v_accvgpr_write_b32 a34, v6
	v_lshlrev_b64 v[6:7], 4, v[110:111]
	v_accvgpr_write_b32 a52, v8
	;; [unrolled: 14-line block ×4, first 2 shown]
	v_add_co_u32_e32 v8, vcc, s4, v6
	v_addc_co_u32_e32 v9, vcc, v0, v7, vcc
	v_ashrrev_i32_e32 v129, 31, v128
	v_lshlrev_b64 v[6:7], 4, v[128:129]
	global_load_dwordx4 v[126:129], v[8:9], off
	v_add_co_u32_e32 v6, vcc, s4, v6
	v_addc_co_u32_e32 v7, vcc, v0, v7, vcc
	v_accvgpr_write_b32 a21, v9
	v_accvgpr_write_b32 a13, v7
	;; [unrolled: 1-line block ×4, first 2 shown]
	global_load_dwordx4 v[6:9], v[6:7], off
	v_ashrrev_i32_e32 v53, 31, v52
	buffer_store_dword v12, off, s[0:3], 0 offset:120
	buffer_store_dword v11, off, s[0:3], 0 offset:116
	buffer_store_dword v10, off, s[0:3], 0 offset:112
	s_waitcnt vmcnt(22)
	buffer_store_dword v57, off, s[0:3], 0 offset:140
	buffer_store_dword v56, off, s[0:3], 0 offset:136
	buffer_store_dword v55, off, s[0:3], 0 offset:132
	buffer_store_dword v54, off, s[0:3], 0 offset:128
	s_waitcnt vmcnt(25)
	buffer_store_dword v61, off, s[0:3], 0 offset:156
	;; [unrolled: 5-line block ×15, first 2 shown]
	buffer_store_dword v112, off, s[0:3], 0 offset:360
	buffer_store_dword v111, off, s[0:3], 0 offset:356
	;; [unrolled: 1-line block ×11, first 2 shown]
	s_waitcnt vmcnt(62)
	buffer_store_dword v125, off, s[0:3], 0 offset:412
	buffer_store_dword v124, off, s[0:3], 0 offset:408
	buffer_store_dword v123, off, s[0:3], 0 offset:404
	buffer_store_dword v122, off, s[0:3], 0 offset:400
	buffer_store_dword v129, off, s[0:3], 0 offset:428
	buffer_store_dword v128, off, s[0:3], 0 offset:424
	buffer_store_dword v127, off, s[0:3], 0 offset:420
	buffer_store_dword v126, off, s[0:3], 0 offset:416
	buffer_store_dword v9, off, s[0:3], 0 offset:444
	v_lshlrev_b64 v[10:11], 4, v[52:53]
	v_add_co_u32_e32 v12, vcc, s4, v10
	v_ashrrev_i32_e32 v51, 31, v50
	v_addc_co_u32_e32 v13, vcc, v0, v11, vcc
	v_lshlrev_b64 v[10:11], 4, v[50:51]
	v_add_co_u32_e32 v50, vcc, s4, v10
	v_accvgpr_write_b32 a85, v13
	v_addc_co_u32_e32 v51, vcc, v0, v11, vcc
	v_accvgpr_write_b32 a84, v12
	global_load_dwordx4 v[10:13], v[12:13], off
	v_accvgpr_write_b32 a75, v51
	v_ashrrev_i32_e32 v49, 31, v48
	v_accvgpr_write_b32 a74, v50
	global_load_dwordx4 v[50:53], v[50:51], off
	v_lshlrev_b64 v[48:49], 4, v[48:49]
	v_add_co_u32_e32 v48, vcc, s4, v48
	v_ashrrev_i32_e32 v47, 31, v46
	v_addc_co_u32_e32 v49, vcc, v0, v49, vcc
	v_lshlrev_b64 v[46:47], 4, v[46:47]
	v_add_co_u32_e32 v54, vcc, s4, v46
	v_accvgpr_write_b32 a77, v49
	v_addc_co_u32_e32 v55, vcc, v0, v47, vcc
	v_accvgpr_write_b32 a76, v48
	global_load_dwordx4 v[46:49], v[48:49], off
	v_accvgpr_write_b32 a65, v55
	v_ashrrev_i32_e32 v45, 31, v44
	v_accvgpr_write_b32 a64, v54
	global_load_dwordx4 v[54:57], v[54:55], off
	v_lshlrev_b64 v[44:45], 4, v[44:45]
	v_add_co_u32_e32 v44, vcc, s4, v44
	v_ashrrev_i32_e32 v43, 31, v42
	v_addc_co_u32_e32 v45, vcc, v0, v45, vcc
	v_lshlrev_b64 v[42:43], 4, v[42:43]
	v_add_co_u32_e32 v58, vcc, s4, v42
	v_accvgpr_write_b32 a67, v45
	v_addc_co_u32_e32 v59, vcc, v0, v43, vcc
	v_accvgpr_write_b32 a66, v44
	global_load_dwordx4 v[42:45], v[44:45], off
	v_accvgpr_write_b32 a54, v58
	v_ashrrev_i32_e32 v41, 31, v40
	v_accvgpr_write_b32 a55, v59
	global_load_dwordx4 v[58:61], v[58:59], off
	v_lshlrev_b64 v[40:41], 4, v[40:41]
	v_add_co_u32_e32 v40, vcc, s4, v40
	v_ashrrev_i32_e32 v39, 31, v38
	v_addc_co_u32_e32 v41, vcc, v0, v41, vcc
	v_lshlrev_b64 v[38:39], 4, v[38:39]
	v_add_co_u32_e32 v62, vcc, s4, v38
	v_accvgpr_write_b32 a57, v41
	v_addc_co_u32_e32 v63, vcc, v0, v39, vcc
	v_accvgpr_write_b32 a56, v40
	global_load_dwordx4 v[38:41], v[40:41], off
	v_accvgpr_write_b32 a40, v62
	v_ashrrev_i32_e32 v37, 31, v36
	v_accvgpr_write_b32 a41, v63
	global_load_dwordx4 v[62:65], v[62:63], off
	v_lshlrev_b64 v[36:37], 4, v[36:37]
	v_add_co_u32_e32 v36, vcc, s4, v36
	v_ashrrev_i32_e32 v35, 31, v34
	v_addc_co_u32_e32 v37, vcc, v0, v37, vcc
	v_lshlrev_b64 v[34:35], 4, v[34:35]
	v_add_co_u32_e32 v66, vcc, s4, v34
	v_accvgpr_write_b32 a43, v37
	v_addc_co_u32_e32 v67, vcc, v0, v35, vcc
	v_accvgpr_write_b32 a42, v36
	global_load_dwordx4 v[34:37], v[36:37], off
	v_accvgpr_write_b32 a30, v66
	v_ashrrev_i32_e32 v33, 31, v32
	v_accvgpr_write_b32 a31, v67
	global_load_dwordx4 v[66:69], v[66:67], off
	v_lshlrev_b64 v[32:33], 4, v[32:33]
	v_add_co_u32_e32 v32, vcc, s4, v32
	v_ashrrev_i32_e32 v31, 31, v30
	v_addc_co_u32_e32 v33, vcc, v0, v33, vcc
	v_lshlrev_b64 v[30:31], 4, v[30:31]
	v_add_co_u32_e32 v70, vcc, s4, v30
	v_accvgpr_write_b32 a32, v32
	v_addc_co_u32_e32 v71, vcc, v0, v31, vcc
	v_accvgpr_write_b32 a33, v33
	global_load_dwordx4 v[30:33], v[32:33], off
	v_accvgpr_write_b32 a22, v70
	v_ashrrev_i32_e32 v29, 31, v28
	v_accvgpr_write_b32 a23, v71
	global_load_dwordx4 v[70:73], v[70:71], off
	v_lshlrev_b64 v[28:29], 4, v[28:29]
	v_add_co_u32_e32 v28, vcc, s4, v28
	v_ashrrev_i32_e32 v27, 31, v26
	v_addc_co_u32_e32 v29, vcc, v0, v29, vcc
	v_lshlrev_b64 v[26:27], 4, v[26:27]
	v_add_co_u32_e32 v74, vcc, s4, v26
	v_accvgpr_write_b32 a24, v28
	v_addc_co_u32_e32 v75, vcc, v0, v27, vcc
	v_accvgpr_write_b32 a25, v29
	global_load_dwordx4 v[26:29], v[28:29], off
	v_accvgpr_write_b32 a14, v74
	v_ashrrev_i32_e32 v25, 31, v24
	v_accvgpr_write_b32 a15, v75
	global_load_dwordx4 v[74:77], v[74:75], off
	v_lshlrev_b64 v[24:25], 4, v[24:25]
	v_add_co_u32_e32 v24, vcc, s4, v24
	v_ashrrev_i32_e32 v23, 31, v22
	v_addc_co_u32_e32 v25, vcc, v0, v25, vcc
	v_lshlrev_b64 v[22:23], 4, v[22:23]
	v_add_co_u32_e32 v78, vcc, s4, v22
	v_accvgpr_write_b32 a16, v24
	v_addc_co_u32_e32 v79, vcc, v0, v23, vcc
	v_accvgpr_write_b32 a17, v25
	global_load_dwordx4 v[22:25], v[24:25], off
	v_accvgpr_write_b32 a8, v78
	v_ashrrev_i32_e32 v21, 31, v20
	v_accvgpr_write_b32 a9, v79
	global_load_dwordx4 v[78:81], v[78:79], off
	v_lshlrev_b64 v[20:21], 4, v[20:21]
	v_add_co_u32_e32 v20, vcc, s4, v20
	v_ashrrev_i32_e32 v19, 31, v18
	v_addc_co_u32_e32 v21, vcc, v0, v21, vcc
	v_lshlrev_b64 v[18:19], 4, v[18:19]
	v_add_co_u32_e32 v82, vcc, s4, v18
	v_accvgpr_write_b32 a10, v20
	v_addc_co_u32_e32 v83, vcc, v0, v19, vcc
	v_accvgpr_write_b32 a11, v21
	global_load_dwordx4 v[18:21], v[20:21], off
	v_accvgpr_write_b32 a4, v82
	v_accvgpr_write_b32 a5, v83
	global_load_dwordx4 v[82:85], v[82:83], off
	v_ashrrev_i32_e32 v17, 31, v16
	v_lshlrev_b64 v[16:17], 4, v[16:17]
	v_add_co_u32_e32 v16, vcc, s4, v16
	v_addc_co_u32_e32 v17, vcc, v0, v17, vcc
	v_ashrrev_i32_e32 v15, 31, v14
	v_accvgpr_write_b32 a6, v16
	v_lshlrev_b64 v[86:87], 4, v[14:15]
	v_accvgpr_write_b32 a7, v17
	global_load_dwordx4 v[14:17], v[16:17], off
	v_add_co_u32_e32 v86, vcc, s4, v86
	v_addc_co_u32_e32 v87, vcc, v0, v87, vcc
	v_accvgpr_write_b32 a2, v86
	v_accvgpr_write_b32 a3, v87
	global_load_dwordx4 v[86:89], v[86:87], off
	v_mov_b32_e32 v0, 16
	buffer_store_dword v8, off, s[0:3], 0 offset:440
	buffer_store_dword v7, off, s[0:3], 0 offset:436
	buffer_store_dword v6, off, s[0:3], 0 offset:432
	s_waitcnt vmcnt(22)
	buffer_store_dword v13, off, s[0:3], 0 offset:460
	buffer_store_dword v12, off, s[0:3], 0 offset:456
	buffer_store_dword v11, off, s[0:3], 0 offset:452
	buffer_store_dword v10, off, s[0:3], 0 offset:448
	s_waitcnt vmcnt(25)
	buffer_store_dword v53, off, s[0:3], 0 offset:476
	;; [unrolled: 5-line block ×15, first 2 shown]
	buffer_store_dword v24, off, s[0:3], 0 offset:680
	buffer_store_dword v23, off, s[0:3], 0 offset:676
	;; [unrolled: 1-line block ×11, first 2 shown]
	s_waitcnt vmcnt(62)
	buffer_store_dword v85, off, s[0:3], 0 offset:732
	buffer_store_dword v84, off, s[0:3], 0 offset:728
	;; [unrolled: 1-line block ×16, first 2 shown]
	v_add_u32_e32 v2, 16, v0
	v_accvgpr_write_b32 a142, v2
	v_add_u32_e32 v2, 32, v0
	v_accvgpr_write_b32 a141, v2
	;; [unrolled: 2-line block ×45, first 2 shown]
	v_add_u32_e32 v2, 0x2e0, v0
	v_add_u32_e32 v0, 0x2f0, v0
	v_accvgpr_write_b32 a97, v2
	v_accvgpr_write_b32 a96, v0
	s_bitcmp0_b32 s22, 0
	s_mov_b64 s[6:7], -1
	s_cbranch_scc1 .LBB47_204
; %bb.4:
	v_cmp_eq_u32_e64 s[4:5], 0, v254
	s_and_saveexec_b64 s[6:7], s[4:5]
	s_cbranch_execz .LBB47_6
; %bb.5:
	v_mov_b32_e32 v0, 0
	ds_write_b32 v0, v0 offset:1536
.LBB47_6:
	s_or_b64 exec, exec, s[6:7]
	v_mov_b32_e32 v0, 16
	v_lshl_add_u32 v12, v254, 4, v0
	s_waitcnt lgkmcnt(0)
	; wave barrier
	s_waitcnt lgkmcnt(0)
	buffer_load_dword v2, v12, s[0:3], 0 offen
	buffer_load_dword v3, v12, s[0:3], 0 offen offset:4
	buffer_load_dword v4, v12, s[0:3], 0 offen offset:8
	buffer_load_dword v5, v12, s[0:3], 0 offen offset:12
	s_waitcnt vmcnt(2)
	v_cmp_eq_f64_e32 vcc, 0, v[2:3]
	s_waitcnt vmcnt(0)
	v_cmp_eq_f64_e64 s[6:7], 0, v[4:5]
	s_and_b64 s[6:7], vcc, s[6:7]
	s_and_saveexec_b64 s[12:13], s[6:7]
	s_cbranch_execz .LBB47_10
; %bb.7:
	v_mov_b32_e32 v2, 0
	ds_read_b32 v0, v2 offset:1536
	v_add_u32_e32 v3, 1, v254
	s_waitcnt lgkmcnt(0)
	v_readfirstlane_b32 s6, v0
	s_cmp_eq_u32 s6, 0
	s_cselect_b64 s[16:17], -1, 0
	v_cmp_gt_i32_e32 vcc, s6, v3
	s_or_b64 s[16:17], s[16:17], vcc
	s_and_b64 exec, exec, s[16:17]
	s_cbranch_execz .LBB47_10
; %bb.8:
	s_mov_b64 s[16:17], 0
	v_mov_b32_e32 v4, s6
.LBB47_9:                               ; =>This Inner Loop Header: Depth=1
	ds_cmpst_rtn_b32 v4, v2, v4, v3 offset:1536
	s_waitcnt lgkmcnt(0)
	v_cmp_ne_u32_e32 vcc, 0, v4
	v_cmp_le_i32_e64 s[6:7], v4, v3
	s_and_b64 s[6:7], vcc, s[6:7]
	s_and_b64 s[6:7], exec, s[6:7]
	s_or_b64 s[16:17], s[6:7], s[16:17]
	s_andn2_b64 exec, exec, s[16:17]
	s_cbranch_execnz .LBB47_9
.LBB47_10:
	s_or_b64 exec, exec, s[12:13]
	v_mov_b32_e32 v3, 0
	s_waitcnt lgkmcnt(0)
	; wave barrier
	ds_read_b32 v2, v3 offset:1536
	s_and_saveexec_b64 s[6:7], s[4:5]
	s_cbranch_execz .LBB47_12
; %bb.11:
	s_lshl_b64 s[12:13], s[8:9], 2
	s_add_u32 s12, s14, s12
	s_addc_u32 s13, s15, s13
	s_waitcnt lgkmcnt(0)
	global_store_dword v3, v2, s[12:13]
.LBB47_12:
	s_or_b64 exec, exec, s[6:7]
	s_waitcnt lgkmcnt(0)
	v_cmp_ne_u32_e32 vcc, 0, v2
	s_mov_b64 s[6:7], 0
	s_cbranch_vccnz .LBB47_204
; %bb.13:
	buffer_load_dword v7, v12, s[0:3], 0 offen offset:4
	buffer_load_dword v6, v12, s[0:3], 0 offen
	buffer_load_dword v9, v12, s[0:3], 0 offen offset:12
	buffer_load_dword v8, v12, s[0:3], 0 offen offset:8
                                        ; implicit-def: $vgpr10_vgpr11
	s_waitcnt vmcnt(3)
	v_xor_b32_e32 v0, 0x80000000, v7
	s_waitcnt vmcnt(2)
	v_cmp_gt_f64_e32 vcc, 0, v[6:7]
	s_waitcnt vmcnt(1)
	v_xor_b32_e32 v4, 0x80000000, v9
	v_cndmask_b32_e32 v3, v7, v0, vcc
	s_waitcnt vmcnt(0)
	v_cmp_gt_f64_e32 vcc, 0, v[8:9]
	v_mov_b32_e32 v2, v6
	v_cndmask_b32_e32 v5, v9, v4, vcc
	v_mov_b32_e32 v4, v8
	v_cmp_ngt_f64_e32 vcc, v[2:3], v[4:5]
                                        ; implicit-def: $vgpr4_vgpr5
	s_and_saveexec_b64 s[6:7], vcc
	s_xor_b64 s[6:7], exec, s[6:7]
	s_cbranch_execz .LBB47_15
; %bb.14:
	v_div_scale_f64 v[2:3], s[12:13], v[8:9], v[8:9], v[6:7]
	v_rcp_f64_e32 v[4:5], v[2:3]
	v_div_scale_f64 v[10:11], vcc, v[6:7], v[8:9], v[6:7]
	v_fma_f64 v[14:15], -v[2:3], v[4:5], 1.0
	v_fmac_f64_e32 v[4:5], v[4:5], v[14:15]
	v_fma_f64 v[14:15], -v[2:3], v[4:5], 1.0
	v_fmac_f64_e32 v[4:5], v[4:5], v[14:15]
	v_mul_f64 v[14:15], v[10:11], v[4:5]
	v_fma_f64 v[2:3], -v[2:3], v[14:15], v[10:11]
	v_div_fmas_f64 v[2:3], v[2:3], v[4:5], v[14:15]
	v_div_fixup_f64 v[2:3], v[2:3], v[8:9], v[6:7]
	v_fmac_f64_e32 v[8:9], v[6:7], v[2:3]
	v_div_scale_f64 v[4:5], s[12:13], v[8:9], v[8:9], 1.0
	v_rcp_f64_e32 v[6:7], v[4:5]
	v_fma_f64 v[10:11], -v[4:5], v[6:7], 1.0
	v_fmac_f64_e32 v[6:7], v[6:7], v[10:11]
	v_fma_f64 v[10:11], -v[4:5], v[6:7], 1.0
	v_fmac_f64_e32 v[6:7], v[6:7], v[10:11]
	v_div_scale_f64 v[10:11], vcc, 1.0, v[8:9], 1.0
	v_mul_f64 v[14:15], v[10:11], v[6:7]
	v_fma_f64 v[4:5], -v[4:5], v[14:15], v[10:11]
	s_nop 1
	v_div_fmas_f64 v[4:5], v[4:5], v[6:7], v[14:15]
	v_div_fixup_f64 v[4:5], v[4:5], v[8:9], 1.0
	v_mul_f64 v[10:11], v[2:3], v[4:5]
	v_xor_b32_e32 v5, 0x80000000, v5
	v_xor_b32_e32 v3, 0x80000000, v11
	v_mov_b32_e32 v2, v10
                                        ; implicit-def: $vgpr6_vgpr7
                                        ; implicit-def: $vgpr8_vgpr9
.LBB47_15:
	s_andn2_saveexec_b64 s[6:7], s[6:7]
	s_cbranch_execz .LBB47_17
; %bb.16:
	v_div_scale_f64 v[2:3], s[12:13], v[6:7], v[6:7], v[8:9]
	v_rcp_f64_e32 v[4:5], v[2:3]
	v_div_scale_f64 v[10:11], vcc, v[8:9], v[6:7], v[8:9]
	v_fma_f64 v[14:15], -v[2:3], v[4:5], 1.0
	v_fmac_f64_e32 v[4:5], v[4:5], v[14:15]
	v_fma_f64 v[14:15], -v[2:3], v[4:5], 1.0
	v_fmac_f64_e32 v[4:5], v[4:5], v[14:15]
	v_mul_f64 v[14:15], v[10:11], v[4:5]
	v_fma_f64 v[2:3], -v[2:3], v[14:15], v[10:11]
	v_div_fmas_f64 v[2:3], v[2:3], v[4:5], v[14:15]
	v_div_fixup_f64 v[4:5], v[2:3], v[6:7], v[8:9]
	v_fmac_f64_e32 v[6:7], v[8:9], v[4:5]
	v_div_scale_f64 v[2:3], s[12:13], v[6:7], v[6:7], 1.0
	v_rcp_f64_e32 v[8:9], v[2:3]
	v_fma_f64 v[10:11], -v[2:3], v[8:9], 1.0
	v_fmac_f64_e32 v[8:9], v[8:9], v[10:11]
	v_fma_f64 v[10:11], -v[2:3], v[8:9], 1.0
	v_fmac_f64_e32 v[8:9], v[8:9], v[10:11]
	v_div_scale_f64 v[10:11], vcc, 1.0, v[6:7], 1.0
	v_mul_f64 v[14:15], v[10:11], v[8:9]
	v_fma_f64 v[2:3], -v[2:3], v[14:15], v[10:11]
	s_nop 1
	v_div_fmas_f64 v[2:3], v[2:3], v[8:9], v[14:15]
	v_div_fixup_f64 v[10:11], v[2:3], v[6:7], 1.0
	v_xor_b32_e32 v3, 0x80000000, v11
	v_mov_b32_e32 v2, v10
	v_mul_f64 v[4:5], v[4:5], -v[10:11]
.LBB47_17:
	s_or_b64 exec, exec, s[6:7]
	buffer_store_dword v11, v12, s[0:3], 0 offen offset:4
	buffer_store_dword v10, v12, s[0:3], 0 offen
	buffer_store_dword v5, v12, s[0:3], 0 offen offset:12
	buffer_store_dword v4, v12, s[0:3], 0 offen offset:8
	v_accvgpr_read_b32 v0, a142
	buffer_load_dword v11, v0, s[0:3], 0 offen offset:12
	buffer_load_dword v10, v0, s[0:3], 0 offen offset:8
	;; [unrolled: 1-line block ×3, first 2 shown]
	buffer_load_dword v8, v0, s[0:3], 0 offen
	v_xor_b32_e32 v5, 0x80000000, v5
	v_add_u32_e32 v6, 0x300, v1
	ds_write_b128 v1, v[2:5]
	s_waitcnt vmcnt(0)
	ds_write_b128 v1, v[8:11] offset:768
	s_waitcnt lgkmcnt(0)
	; wave barrier
	s_waitcnt lgkmcnt(0)
	s_and_saveexec_b64 s[6:7], s[4:5]
	s_cbranch_execz .LBB47_19
; %bb.18:
	buffer_load_dword v14, v12, s[0:3], 0 offen offset:8
	buffer_load_dword v15, v12, s[0:3], 0 offen offset:12
	buffer_load_dword v16, v12, s[0:3], 0 offen
	buffer_load_dword v17, v12, s[0:3], 0 offen offset:4
	ds_read_b128 v[2:5], v6
	v_mov_b32_e32 v0, 0
	ds_read_b128 v[8:11], v0 offset:16
	s_waitcnt vmcnt(2) lgkmcnt(1)
	v_mul_f64 v[18:19], v[4:5], v[14:15]
	v_mul_f64 v[14:15], v[2:3], v[14:15]
	s_waitcnt vmcnt(0)
	v_fmac_f64_e32 v[14:15], v[4:5], v[16:17]
	v_fma_f64 v[2:3], v[2:3], v[16:17], -v[18:19]
	v_add_f64 v[4:5], v[14:15], 0
	v_add_f64 v[2:3], v[2:3], 0
	s_waitcnt lgkmcnt(0)
	v_mul_f64 v[14:15], v[4:5], v[10:11]
	v_mul_f64 v[10:11], v[2:3], v[10:11]
	v_fma_f64 v[2:3], v[2:3], v[8:9], -v[14:15]
	v_fmac_f64_e32 v[10:11], v[4:5], v[8:9]
	buffer_store_dword v2, off, s[0:3], 0 offset:32
	buffer_store_dword v3, off, s[0:3], 0 offset:36
	;; [unrolled: 1-line block ×4, first 2 shown]
.LBB47_19:
	s_or_b64 exec, exec, s[6:7]
	v_accvgpr_read_b32 v0, a141
	s_waitcnt lgkmcnt(0)
	; wave barrier
	buffer_load_dword v2, v0, s[0:3], 0 offen
	buffer_load_dword v3, v0, s[0:3], 0 offen offset:4
	buffer_load_dword v4, v0, s[0:3], 0 offen offset:8
	;; [unrolled: 1-line block ×3, first 2 shown]
	v_cmp_gt_u32_e32 vcc, 2, v254
	s_waitcnt vmcnt(0)
	ds_write_b128 v6, v[2:5]
	s_waitcnt lgkmcnt(0)
	; wave barrier
	s_waitcnt lgkmcnt(0)
	s_and_saveexec_b64 s[6:7], vcc
	s_cbranch_execz .LBB47_23
; %bb.20:
	buffer_load_dword v8, v12, s[0:3], 0 offen offset:8
	buffer_load_dword v9, v12, s[0:3], 0 offen offset:12
	buffer_load_dword v10, v12, s[0:3], 0 offen
	buffer_load_dword v11, v12, s[0:3], 0 offen offset:4
	ds_read_b128 v[2:5], v6
	s_waitcnt vmcnt(2) lgkmcnt(0)
	v_mul_f64 v[12:13], v[4:5], v[8:9]
	v_mul_f64 v[8:9], v[2:3], v[8:9]
	s_waitcnt vmcnt(0)
	v_fma_f64 v[2:3], v[2:3], v[10:11], -v[12:13]
	v_fmac_f64_e32 v[8:9], v[4:5], v[10:11]
	v_add_f64 v[4:5], v[2:3], 0
	v_add_f64 v[2:3], v[8:9], 0
	s_and_saveexec_b64 s[12:13], s[4:5]
	s_cbranch_execz .LBB47_22
; %bb.21:
	buffer_load_dword v12, off, s[0:3], 0 offset:40
	buffer_load_dword v13, off, s[0:3], 0 offset:44
	;; [unrolled: 1-line block ×4, first 2 shown]
	v_mov_b32_e32 v0, 0
	ds_read_b128 v[8:11], v0 offset:784
	s_waitcnt vmcnt(2) lgkmcnt(0)
	v_mul_f64 v[16:17], v[8:9], v[12:13]
	v_mul_f64 v[12:13], v[10:11], v[12:13]
	s_waitcnt vmcnt(0)
	v_fmac_f64_e32 v[16:17], v[10:11], v[14:15]
	v_fma_f64 v[8:9], v[8:9], v[14:15], -v[12:13]
	v_add_f64 v[2:3], v[2:3], v[16:17]
	v_add_f64 v[4:5], v[4:5], v[8:9]
.LBB47_22:
	s_or_b64 exec, exec, s[12:13]
	v_mov_b32_e32 v0, 0
	ds_read_b128 v[8:11], v0 offset:32
	s_waitcnt lgkmcnt(0)
	v_mul_f64 v[12:13], v[2:3], v[10:11]
	v_mul_f64 v[10:11], v[4:5], v[10:11]
	v_fma_f64 v[4:5], v[4:5], v[8:9], -v[12:13]
	v_fmac_f64_e32 v[10:11], v[2:3], v[8:9]
	buffer_store_dword v5, off, s[0:3], 0 offset:52
	buffer_store_dword v4, off, s[0:3], 0 offset:48
	;; [unrolled: 1-line block ×4, first 2 shown]
.LBB47_23:
	s_or_b64 exec, exec, s[6:7]
	v_accvgpr_read_b32 v0, a140
	s_waitcnt lgkmcnt(0)
	; wave barrier
	buffer_load_dword v2, v0, s[0:3], 0 offen
	buffer_load_dword v3, v0, s[0:3], 0 offen offset:4
	buffer_load_dword v4, v0, s[0:3], 0 offen offset:8
	;; [unrolled: 1-line block ×3, first 2 shown]
	v_cmp_gt_u32_e32 vcc, 3, v254
	v_add_u32_e32 v7, -1, v254
	s_waitcnt vmcnt(0)
	ds_write_b128 v6, v[2:5]
	s_waitcnt lgkmcnt(0)
	; wave barrier
	s_waitcnt lgkmcnt(0)
	s_and_saveexec_b64 s[4:5], vcc
	s_cbranch_execz .LBB47_27
; %bb.24:
	v_pk_mov_b32 v[2:3], 0, 0
	v_add_u32_e32 v8, -1, v254
	v_add_u32_e32 v9, 0x300, v1
	v_add_u32_e32 v10, 16, v1
	s_mov_b64 s[6:7], 0
	v_pk_mov_b32 v[4:5], v[2:3], v[2:3] op_sel:[0,1]
.LBB47_25:                              ; =>This Inner Loop Header: Depth=1
	buffer_load_dword v16, v10, s[0:3], 0 offen offset:8
	buffer_load_dword v17, v10, s[0:3], 0 offen offset:12
	buffer_load_dword v18, v10, s[0:3], 0 offen
	buffer_load_dword v19, v10, s[0:3], 0 offen offset:4
	ds_read_b128 v[12:15], v9
	v_add_u32_e32 v8, 1, v8
	v_cmp_lt_u32_e32 vcc, 1, v8
	v_add_u32_e32 v9, 16, v9
	v_add_u32_e32 v10, 16, v10
	s_or_b64 s[6:7], vcc, s[6:7]
	s_waitcnt vmcnt(2) lgkmcnt(0)
	v_mul_f64 v[20:21], v[14:15], v[16:17]
	v_mul_f64 v[16:17], v[12:13], v[16:17]
	s_waitcnt vmcnt(0)
	v_fma_f64 v[12:13], v[12:13], v[18:19], -v[20:21]
	v_fmac_f64_e32 v[16:17], v[14:15], v[18:19]
	v_add_f64 v[4:5], v[4:5], v[12:13]
	v_add_f64 v[2:3], v[2:3], v[16:17]
	s_andn2_b64 exec, exec, s[6:7]
	s_cbranch_execnz .LBB47_25
; %bb.26:
	s_or_b64 exec, exec, s[6:7]
	v_mov_b32_e32 v0, 0
	ds_read_b128 v[8:11], v0 offset:48
	s_waitcnt lgkmcnt(0)
	v_mul_f64 v[12:13], v[2:3], v[10:11]
	v_mul_f64 v[10:11], v[4:5], v[10:11]
	v_fma_f64 v[4:5], v[4:5], v[8:9], -v[12:13]
	v_fmac_f64_e32 v[10:11], v[2:3], v[8:9]
	buffer_store_dword v5, off, s[0:3], 0 offset:68
	buffer_store_dword v4, off, s[0:3], 0 offset:64
	buffer_store_dword v11, off, s[0:3], 0 offset:76
	buffer_store_dword v10, off, s[0:3], 0 offset:72
.LBB47_27:
	s_or_b64 exec, exec, s[4:5]
	v_accvgpr_read_b32 v0, a139
	s_waitcnt lgkmcnt(0)
	; wave barrier
	buffer_load_dword v2, v0, s[0:3], 0 offen
	buffer_load_dword v3, v0, s[0:3], 0 offen offset:4
	buffer_load_dword v4, v0, s[0:3], 0 offen offset:8
	buffer_load_dword v5, v0, s[0:3], 0 offen offset:12
	v_cmp_gt_u32_e32 vcc, 4, v254
	s_waitcnt vmcnt(0)
	ds_write_b128 v6, v[2:5]
	s_waitcnt lgkmcnt(0)
	; wave barrier
	s_waitcnt lgkmcnt(0)
	s_and_saveexec_b64 s[4:5], vcc
	s_cbranch_execz .LBB47_31
; %bb.28:
	v_pk_mov_b32 v[2:3], 0, 0
	v_add_u32_e32 v8, -1, v254
	v_add_u32_e32 v9, 0x300, v1
	v_add_u32_e32 v10, 16, v1
	s_mov_b64 s[6:7], 0
	v_pk_mov_b32 v[4:5], v[2:3], v[2:3] op_sel:[0,1]
.LBB47_29:                              ; =>This Inner Loop Header: Depth=1
	buffer_load_dword v16, v10, s[0:3], 0 offen offset:8
	buffer_load_dword v17, v10, s[0:3], 0 offen offset:12
	buffer_load_dword v18, v10, s[0:3], 0 offen
	buffer_load_dword v19, v10, s[0:3], 0 offen offset:4
	ds_read_b128 v[12:15], v9
	v_add_u32_e32 v8, 1, v8
	v_cmp_lt_u32_e32 vcc, 2, v8
	v_add_u32_e32 v9, 16, v9
	v_add_u32_e32 v10, 16, v10
	s_or_b64 s[6:7], vcc, s[6:7]
	s_waitcnt vmcnt(2) lgkmcnt(0)
	v_mul_f64 v[20:21], v[14:15], v[16:17]
	v_mul_f64 v[16:17], v[12:13], v[16:17]
	s_waitcnt vmcnt(0)
	v_fma_f64 v[12:13], v[12:13], v[18:19], -v[20:21]
	v_fmac_f64_e32 v[16:17], v[14:15], v[18:19]
	v_add_f64 v[4:5], v[4:5], v[12:13]
	v_add_f64 v[2:3], v[2:3], v[16:17]
	s_andn2_b64 exec, exec, s[6:7]
	s_cbranch_execnz .LBB47_29
; %bb.30:
	s_or_b64 exec, exec, s[6:7]
	v_mov_b32_e32 v0, 0
	ds_read_b128 v[8:11], v0 offset:64
	s_waitcnt lgkmcnt(0)
	v_mul_f64 v[12:13], v[2:3], v[10:11]
	v_mul_f64 v[10:11], v[4:5], v[10:11]
	v_fma_f64 v[4:5], v[4:5], v[8:9], -v[12:13]
	v_fmac_f64_e32 v[10:11], v[2:3], v[8:9]
	buffer_store_dword v5, off, s[0:3], 0 offset:84
	buffer_store_dword v4, off, s[0:3], 0 offset:80
	buffer_store_dword v11, off, s[0:3], 0 offset:92
	buffer_store_dword v10, off, s[0:3], 0 offset:88
.LBB47_31:
	s_or_b64 exec, exec, s[4:5]
	v_accvgpr_read_b32 v0, a138
	s_waitcnt lgkmcnt(0)
	; wave barrier
	buffer_load_dword v2, v0, s[0:3], 0 offen
	buffer_load_dword v3, v0, s[0:3], 0 offen offset:4
	buffer_load_dword v4, v0, s[0:3], 0 offen offset:8
	buffer_load_dword v5, v0, s[0:3], 0 offen offset:12
	v_cmp_gt_u32_e32 vcc, 5, v254
	;; [unrolled: 58-line block ×19, first 2 shown]
	s_waitcnt vmcnt(0)
	ds_write_b128 v6, v[2:5]
	s_waitcnt lgkmcnt(0)
	; wave barrier
	s_waitcnt lgkmcnt(0)
	s_and_saveexec_b64 s[4:5], vcc
	s_cbranch_execz .LBB47_103
; %bb.100:
	v_pk_mov_b32 v[2:3], 0, 0
	v_add_u32_e32 v8, -1, v254
	v_add_u32_e32 v9, 0x300, v1
	v_add_u32_e32 v10, 16, v1
	s_mov_b64 s[6:7], 0
	v_pk_mov_b32 v[4:5], v[2:3], v[2:3] op_sel:[0,1]
.LBB47_101:                             ; =>This Inner Loop Header: Depth=1
	buffer_load_dword v16, v10, s[0:3], 0 offen offset:8
	buffer_load_dword v17, v10, s[0:3], 0 offen offset:12
	buffer_load_dword v18, v10, s[0:3], 0 offen
	buffer_load_dword v19, v10, s[0:3], 0 offen offset:4
	ds_read_b128 v[12:15], v9
	v_add_u32_e32 v8, 1, v8
	v_cmp_lt_u32_e32 vcc, 20, v8
	v_add_u32_e32 v9, 16, v9
	v_add_u32_e32 v10, 16, v10
	s_or_b64 s[6:7], vcc, s[6:7]
	s_waitcnt vmcnt(2) lgkmcnt(0)
	v_mul_f64 v[20:21], v[14:15], v[16:17]
	v_mul_f64 v[16:17], v[12:13], v[16:17]
	s_waitcnt vmcnt(0)
	v_fma_f64 v[12:13], v[12:13], v[18:19], -v[20:21]
	v_fmac_f64_e32 v[16:17], v[14:15], v[18:19]
	v_add_f64 v[4:5], v[4:5], v[12:13]
	v_add_f64 v[2:3], v[2:3], v[16:17]
	s_andn2_b64 exec, exec, s[6:7]
	s_cbranch_execnz .LBB47_101
; %bb.102:
	s_or_b64 exec, exec, s[6:7]
	v_mov_b32_e32 v0, 0
	ds_read_b128 v[8:11], v0 offset:352
	s_waitcnt lgkmcnt(0)
	v_mul_f64 v[12:13], v[2:3], v[10:11]
	v_mul_f64 v[10:11], v[4:5], v[10:11]
	v_fma_f64 v[4:5], v[4:5], v[8:9], -v[12:13]
	v_fmac_f64_e32 v[10:11], v[2:3], v[8:9]
	buffer_store_dword v5, off, s[0:3], 0 offset:372
	buffer_store_dword v4, off, s[0:3], 0 offset:368
	buffer_store_dword v11, off, s[0:3], 0 offset:380
	buffer_store_dword v10, off, s[0:3], 0 offset:376
.LBB47_103:
	s_or_b64 exec, exec, s[4:5]
	v_accvgpr_read_b32 v0, a120
	s_waitcnt lgkmcnt(0)
	; wave barrier
	buffer_load_dword v2, v0, s[0:3], 0 offen
	buffer_load_dword v3, v0, s[0:3], 0 offen offset:4
	buffer_load_dword v4, v0, s[0:3], 0 offen offset:8
	buffer_load_dword v5, v0, s[0:3], 0 offen offset:12
	v_cmp_gt_u32_e32 vcc, 23, v254
	s_waitcnt vmcnt(0)
	ds_write_b128 v6, v[2:5]
	s_waitcnt lgkmcnt(0)
	; wave barrier
	s_waitcnt lgkmcnt(0)
	s_and_saveexec_b64 s[4:5], vcc
	s_cbranch_execz .LBB47_107
; %bb.104:
	v_pk_mov_b32 v[2:3], 0, 0
	v_add_u32_e32 v8, -1, v254
	v_add_u32_e32 v9, 0x300, v1
	v_add_u32_e32 v10, 16, v1
	s_mov_b64 s[6:7], 0
	v_pk_mov_b32 v[4:5], v[2:3], v[2:3] op_sel:[0,1]
.LBB47_105:                             ; =>This Inner Loop Header: Depth=1
	buffer_load_dword v16, v10, s[0:3], 0 offen offset:8
	buffer_load_dword v17, v10, s[0:3], 0 offen offset:12
	buffer_load_dword v18, v10, s[0:3], 0 offen
	buffer_load_dword v19, v10, s[0:3], 0 offen offset:4
	ds_read_b128 v[12:15], v9
	v_add_u32_e32 v8, 1, v8
	v_cmp_lt_u32_e32 vcc, 21, v8
	v_add_u32_e32 v9, 16, v9
	v_add_u32_e32 v10, 16, v10
	s_or_b64 s[6:7], vcc, s[6:7]
	s_waitcnt vmcnt(2) lgkmcnt(0)
	v_mul_f64 v[20:21], v[14:15], v[16:17]
	v_mul_f64 v[16:17], v[12:13], v[16:17]
	s_waitcnt vmcnt(0)
	v_fma_f64 v[12:13], v[12:13], v[18:19], -v[20:21]
	v_fmac_f64_e32 v[16:17], v[14:15], v[18:19]
	v_add_f64 v[4:5], v[4:5], v[12:13]
	v_add_f64 v[2:3], v[2:3], v[16:17]
	s_andn2_b64 exec, exec, s[6:7]
	s_cbranch_execnz .LBB47_105
; %bb.106:
	s_or_b64 exec, exec, s[6:7]
	v_mov_b32_e32 v0, 0
	ds_read_b128 v[8:11], v0 offset:368
	s_waitcnt lgkmcnt(0)
	v_mul_f64 v[12:13], v[2:3], v[10:11]
	v_mul_f64 v[10:11], v[4:5], v[10:11]
	v_fma_f64 v[4:5], v[4:5], v[8:9], -v[12:13]
	v_fmac_f64_e32 v[10:11], v[2:3], v[8:9]
	buffer_store_dword v5, off, s[0:3], 0 offset:388
	buffer_store_dword v4, off, s[0:3], 0 offset:384
	buffer_store_dword v11, off, s[0:3], 0 offset:396
	buffer_store_dword v10, off, s[0:3], 0 offset:392
.LBB47_107:
	s_or_b64 exec, exec, s[4:5]
	v_accvgpr_read_b32 v0, a119
	s_waitcnt lgkmcnt(0)
	; wave barrier
	buffer_load_dword v2, v0, s[0:3], 0 offen
	buffer_load_dword v3, v0, s[0:3], 0 offen offset:4
	buffer_load_dword v4, v0, s[0:3], 0 offen offset:8
	buffer_load_dword v5, v0, s[0:3], 0 offen offset:12
	v_cmp_gt_u32_e32 vcc, 24, v254
	;; [unrolled: 58-line block ×24, first 2 shown]
	s_waitcnt vmcnt(0)
	ds_write_b128 v6, v[2:5]
	s_waitcnt lgkmcnt(0)
	; wave barrier
	s_waitcnt lgkmcnt(0)
	s_and_saveexec_b64 s[4:5], vcc
	s_cbranch_execz .LBB47_199
; %bb.196:
	v_pk_mov_b32 v[2:3], 0, 0
	v_add_u32_e32 v8, -1, v254
	v_add_u32_e32 v9, 0x300, v1
	v_add_u32_e32 v10, 16, v1
	s_mov_b64 s[6:7], 0
	v_pk_mov_b32 v[4:5], v[2:3], v[2:3] op_sel:[0,1]
.LBB47_197:                             ; =>This Inner Loop Header: Depth=1
	buffer_load_dword v16, v10, s[0:3], 0 offen offset:8
	buffer_load_dword v17, v10, s[0:3], 0 offen offset:12
	buffer_load_dword v18, v10, s[0:3], 0 offen
	buffer_load_dword v19, v10, s[0:3], 0 offen offset:4
	ds_read_b128 v[12:15], v9
	v_add_u32_e32 v8, 1, v8
	v_cmp_lt_u32_e32 vcc, 44, v8
	v_add_u32_e32 v9, 16, v9
	v_add_u32_e32 v10, 16, v10
	s_or_b64 s[6:7], vcc, s[6:7]
	s_waitcnt vmcnt(2) lgkmcnt(0)
	v_mul_f64 v[20:21], v[14:15], v[16:17]
	v_mul_f64 v[16:17], v[12:13], v[16:17]
	s_waitcnt vmcnt(0)
	v_fma_f64 v[12:13], v[12:13], v[18:19], -v[20:21]
	v_fmac_f64_e32 v[16:17], v[14:15], v[18:19]
	v_add_f64 v[4:5], v[4:5], v[12:13]
	v_add_f64 v[2:3], v[2:3], v[16:17]
	s_andn2_b64 exec, exec, s[6:7]
	s_cbranch_execnz .LBB47_197
; %bb.198:
	s_or_b64 exec, exec, s[6:7]
	v_mov_b32_e32 v0, 0
	ds_read_b128 v[8:11], v0 offset:736
	s_waitcnt lgkmcnt(0)
	v_mul_f64 v[12:13], v[2:3], v[10:11]
	v_mul_f64 v[10:11], v[4:5], v[10:11]
	v_fma_f64 v[4:5], v[4:5], v[8:9], -v[12:13]
	v_fmac_f64_e32 v[10:11], v[2:3], v[8:9]
	buffer_store_dword v5, off, s[0:3], 0 offset:756
	buffer_store_dword v4, off, s[0:3], 0 offset:752
	buffer_store_dword v11, off, s[0:3], 0 offset:764
	buffer_store_dword v10, off, s[0:3], 0 offset:760
.LBB47_199:
	s_or_b64 exec, exec, s[4:5]
	v_accvgpr_read_b32 v0, a96
	s_waitcnt lgkmcnt(0)
	; wave barrier
	buffer_load_dword v2, v0, s[0:3], 0 offen
	buffer_load_dword v3, v0, s[0:3], 0 offen offset:4
	buffer_load_dword v4, v0, s[0:3], 0 offen offset:8
	;; [unrolled: 1-line block ×3, first 2 shown]
	v_cmp_ne_u32_e32 vcc, 47, v254
	s_waitcnt vmcnt(0)
	ds_write_b128 v6, v[2:5]
	s_waitcnt lgkmcnt(0)
	; wave barrier
	s_waitcnt lgkmcnt(0)
	s_and_saveexec_b64 s[4:5], vcc
	s_cbranch_execz .LBB47_203
; %bb.200:
	v_pk_mov_b32 v[2:3], 0, 0
	v_add_u32_e32 v6, 0x300, v1
	v_add_u32_e32 v1, 16, v1
	s_mov_b64 s[6:7], 0
	v_pk_mov_b32 v[4:5], v[2:3], v[2:3] op_sel:[0,1]
.LBB47_201:                             ; =>This Inner Loop Header: Depth=1
	buffer_load_dword v12, v1, s[0:3], 0 offen offset:8
	buffer_load_dword v13, v1, s[0:3], 0 offen offset:12
	buffer_load_dword v14, v1, s[0:3], 0 offen
	buffer_load_dword v15, v1, s[0:3], 0 offen offset:4
	ds_read_b128 v[8:11], v6
	v_add_u32_e32 v7, 1, v7
	v_cmp_lt_u32_e32 vcc, 45, v7
	v_add_u32_e32 v6, 16, v6
	v_add_u32_e32 v1, 16, v1
	s_or_b64 s[6:7], vcc, s[6:7]
	s_waitcnt vmcnt(2) lgkmcnt(0)
	v_mul_f64 v[16:17], v[10:11], v[12:13]
	v_mul_f64 v[12:13], v[8:9], v[12:13]
	s_waitcnt vmcnt(0)
	v_fma_f64 v[8:9], v[8:9], v[14:15], -v[16:17]
	v_fmac_f64_e32 v[12:13], v[10:11], v[14:15]
	v_add_f64 v[4:5], v[4:5], v[8:9]
	v_add_f64 v[2:3], v[2:3], v[12:13]
	s_andn2_b64 exec, exec, s[6:7]
	s_cbranch_execnz .LBB47_201
; %bb.202:
	s_or_b64 exec, exec, s[6:7]
	v_mov_b32_e32 v0, 0
	ds_read_b128 v[6:9], v0 offset:752
	s_waitcnt lgkmcnt(0)
	v_mul_f64 v[10:11], v[2:3], v[8:9]
	v_mul_f64 v[8:9], v[4:5], v[8:9]
	v_fma_f64 v[4:5], v[4:5], v[6:7], -v[10:11]
	v_fmac_f64_e32 v[8:9], v[2:3], v[6:7]
	buffer_store_dword v5, off, s[0:3], 0 offset:772
	buffer_store_dword v4, off, s[0:3], 0 offset:768
	;; [unrolled: 1-line block ×4, first 2 shown]
.LBB47_203:
	s_or_b64 exec, exec, s[4:5]
	s_mov_b64 s[6:7], -1
	s_waitcnt lgkmcnt(0)
	; wave barrier
.LBB47_204:
	s_and_b64 vcc, exec, s[6:7]
	s_cbranch_vccz .LBB47_206
; %bb.205:
	s_lshl_b64 s[4:5], s[8:9], 2
	s_add_u32 s4, s14, s4
	s_addc_u32 s5, s15, s5
	v_mov_b32_e32 v0, 0
	global_load_dword v0, v0, s[4:5]
	s_waitcnt vmcnt(0)
	v_cmp_ne_u32_e32 vcc, 0, v0
	s_cbranch_vccz .LBB47_207
.LBB47_206:
	s_endpgm
.LBB47_207:
	v_mov_b32_e32 v0, 0x300
	v_lshl_add_u32 v0, v254, 4, v0
	v_accvgpr_write_b32 a144, v0
	v_cmp_eq_u32_e32 vcc, 47, v254
	s_and_saveexec_b64 s[4:5], vcc
	s_cbranch_execz .LBB47_209
; %bb.208:
	v_accvgpr_read_b32 v0, a97
	buffer_load_dword v2, v0, s[0:3], 0 offen
	buffer_load_dword v3, v0, s[0:3], 0 offen offset:4
	buffer_load_dword v4, v0, s[0:3], 0 offen offset:8
	;; [unrolled: 1-line block ×3, first 2 shown]
	v_mov_b32_e32 v0, 0
	v_accvgpr_read_b32 v1, a144
	buffer_store_dword v0, off, s[0:3], 0 offset:752
	buffer_store_dword v0, off, s[0:3], 0 offset:756
	buffer_store_dword v0, off, s[0:3], 0 offset:760
	buffer_store_dword v0, off, s[0:3], 0 offset:764
	s_waitcnt vmcnt(4)
	ds_write_b128 v1, v[2:5]
.LBB47_209:
	s_or_b64 exec, exec, s[4:5]
	s_waitcnt lgkmcnt(0)
	; wave barrier
	s_waitcnt lgkmcnt(0)
	buffer_load_dword v6, off, s[0:3], 0 offset:776
	buffer_load_dword v7, off, s[0:3], 0 offset:780
	;; [unrolled: 1-line block ×8, first 2 shown]
	v_mov_b32_e32 v1, 0
	ds_read_b128 v[2:5], v1 offset:1520
	v_cmp_lt_u32_e32 vcc, 45, v254
	s_waitcnt vmcnt(6) lgkmcnt(0)
	v_mul_f64 v[14:15], v[2:3], v[6:7]
	v_mul_f64 v[6:7], v[4:5], v[6:7]
	s_waitcnt vmcnt(4)
	v_fma_f64 v[2:3], v[2:3], v[8:9], -v[6:7]
	v_fmac_f64_e32 v[14:15], v[4:5], v[8:9]
	v_add_f64 v[2:3], v[2:3], 0
	v_add_f64 v[4:5], v[14:15], 0
	s_waitcnt vmcnt(2)
	v_add_f64 v[2:3], v[10:11], -v[2:3]
	s_waitcnt vmcnt(0)
	v_add_f64 v[4:5], v[12:13], -v[4:5]
	buffer_store_dword v2, off, s[0:3], 0 offset:752
	buffer_store_dword v3, off, s[0:3], 0 offset:756
	;; [unrolled: 1-line block ×4, first 2 shown]
	s_and_saveexec_b64 s[4:5], vcc
	s_cbranch_execz .LBB47_211
; %bb.210:
	v_accvgpr_read_b32 v0, a98
	buffer_load_dword v2, v0, s[0:3], 0 offen
	buffer_load_dword v3, v0, s[0:3], 0 offen offset:4
	buffer_load_dword v4, v0, s[0:3], 0 offen offset:8
	;; [unrolled: 1-line block ×3, first 2 shown]
	v_accvgpr_read_b32 v0, a144
	buffer_store_dword v1, off, s[0:3], 0 offset:736
	buffer_store_dword v1, off, s[0:3], 0 offset:740
	;; [unrolled: 1-line block ×4, first 2 shown]
	s_waitcnt vmcnt(4)
	ds_write_b128 v0, v[2:5]
.LBB47_211:
	s_or_b64 exec, exec, s[4:5]
	s_waitcnt lgkmcnt(0)
	; wave barrier
	s_waitcnt lgkmcnt(0)
	buffer_load_dword v10, off, s[0:3], 0 offset:760
	buffer_load_dword v11, off, s[0:3], 0 offset:764
	;; [unrolled: 1-line block ×12, first 2 shown]
	ds_read_b128 v[2:5], v1 offset:1504
	ds_read_b128 v[6:9], v1 offset:1520
	v_cmp_lt_u32_e32 vcc, 44, v254
	s_waitcnt vmcnt(10) lgkmcnt(1)
	v_mul_f64 v[22:23], v[2:3], v[10:11]
	v_mul_f64 v[10:11], v[4:5], v[10:11]
	s_waitcnt vmcnt(8) lgkmcnt(0)
	v_mul_f64 v[24:25], v[6:7], v[12:13]
	v_mul_f64 v[12:13], v[8:9], v[12:13]
	s_waitcnt vmcnt(6)
	v_fma_f64 v[2:3], v[2:3], v[14:15], -v[10:11]
	v_fmac_f64_e32 v[22:23], v[4:5], v[14:15]
	s_waitcnt vmcnt(4)
	v_fma_f64 v[4:5], v[6:7], v[16:17], -v[12:13]
	v_add_f64 v[2:3], v[2:3], 0
	v_fmac_f64_e32 v[24:25], v[8:9], v[16:17]
	v_add_f64 v[6:7], v[22:23], 0
	v_add_f64 v[2:3], v[2:3], v[4:5]
	v_add_f64 v[6:7], v[6:7], v[24:25]
	s_waitcnt vmcnt(2)
	v_add_f64 v[2:3], v[18:19], -v[2:3]
	s_waitcnt vmcnt(0)
	v_add_f64 v[4:5], v[20:21], -v[6:7]
	buffer_store_dword v2, off, s[0:3], 0 offset:736
	buffer_store_dword v3, off, s[0:3], 0 offset:740
	;; [unrolled: 1-line block ×4, first 2 shown]
	s_and_saveexec_b64 s[4:5], vcc
	s_cbranch_execz .LBB47_213
; %bb.212:
	v_accvgpr_read_b32 v0, a99
	buffer_load_dword v2, v0, s[0:3], 0 offen
	buffer_load_dword v3, v0, s[0:3], 0 offen offset:4
	buffer_load_dword v4, v0, s[0:3], 0 offen offset:8
	;; [unrolled: 1-line block ×3, first 2 shown]
	v_mov_b32_e32 v0, 0
	v_accvgpr_read_b32 v1, a144
	buffer_store_dword v0, off, s[0:3], 0 offset:720
	buffer_store_dword v0, off, s[0:3], 0 offset:724
	buffer_store_dword v0, off, s[0:3], 0 offset:728
	buffer_store_dword v0, off, s[0:3], 0 offset:732
	s_waitcnt vmcnt(4)
	ds_write_b128 v1, v[2:5]
.LBB47_213:
	s_or_b64 exec, exec, s[4:5]
	s_waitcnt lgkmcnt(0)
	; wave barrier
	s_waitcnt lgkmcnt(0)
	buffer_load_dword v14, off, s[0:3], 0 offset:744
	buffer_load_dword v15, off, s[0:3], 0 offset:748
	;; [unrolled: 1-line block ×16, first 2 shown]
	v_mov_b32_e32 v1, 0
	ds_read_b128 v[2:5], v1 offset:1488
	ds_read_b128 v[6:9], v1 offset:1504
	;; [unrolled: 1-line block ×3, first 2 shown]
	v_cmp_lt_u32_e32 vcc, 43, v254
	s_waitcnt vmcnt(14) lgkmcnt(2)
	v_mul_f64 v[30:31], v[2:3], v[14:15]
	v_mul_f64 v[14:15], v[4:5], v[14:15]
	s_waitcnt vmcnt(12) lgkmcnt(1)
	v_mul_f64 v[32:33], v[6:7], v[16:17]
	v_mul_f64 v[16:17], v[8:9], v[16:17]
	;; [unrolled: 3-line block ×3, first 2 shown]
	s_waitcnt vmcnt(8)
	v_fma_f64 v[2:3], v[2:3], v[20:21], -v[14:15]
	v_fmac_f64_e32 v[30:31], v[4:5], v[20:21]
	s_waitcnt vmcnt(6)
	v_fma_f64 v[4:5], v[6:7], v[22:23], -v[16:17]
	v_add_f64 v[2:3], v[2:3], 0
	v_fmac_f64_e32 v[32:33], v[8:9], v[22:23]
	s_waitcnt vmcnt(4)
	v_fma_f64 v[6:7], v[10:11], v[24:25], -v[18:19]
	v_add_f64 v[8:9], v[30:31], 0
	v_add_f64 v[2:3], v[2:3], v[4:5]
	v_fmac_f64_e32 v[34:35], v[12:13], v[24:25]
	v_add_f64 v[8:9], v[8:9], v[32:33]
	v_add_f64 v[2:3], v[2:3], v[6:7]
	;; [unrolled: 1-line block ×3, first 2 shown]
	s_waitcnt vmcnt(2)
	v_add_f64 v[2:3], v[26:27], -v[2:3]
	s_waitcnt vmcnt(0)
	v_add_f64 v[4:5], v[28:29], -v[4:5]
	buffer_store_dword v2, off, s[0:3], 0 offset:720
	buffer_store_dword v3, off, s[0:3], 0 offset:724
	;; [unrolled: 1-line block ×4, first 2 shown]
	s_and_saveexec_b64 s[4:5], vcc
	s_cbranch_execz .LBB47_215
; %bb.214:
	v_accvgpr_read_b32 v0, a100
	buffer_load_dword v2, v0, s[0:3], 0 offen
	buffer_load_dword v3, v0, s[0:3], 0 offen offset:4
	buffer_load_dword v4, v0, s[0:3], 0 offen offset:8
	;; [unrolled: 1-line block ×3, first 2 shown]
	v_accvgpr_read_b32 v0, a144
	buffer_store_dword v1, off, s[0:3], 0 offset:704
	buffer_store_dword v1, off, s[0:3], 0 offset:708
	;; [unrolled: 1-line block ×4, first 2 shown]
	s_waitcnt vmcnt(4)
	ds_write_b128 v0, v[2:5]
.LBB47_215:
	s_or_b64 exec, exec, s[4:5]
	s_waitcnt lgkmcnt(0)
	; wave barrier
	s_waitcnt lgkmcnt(0)
	buffer_load_dword v18, off, s[0:3], 0 offset:728
	buffer_load_dword v19, off, s[0:3], 0 offset:732
	;; [unrolled: 1-line block ×20, first 2 shown]
	ds_read_b128 v[2:5], v1 offset:1472
	ds_read_b128 v[6:9], v1 offset:1488
	;; [unrolled: 1-line block ×4, first 2 shown]
	v_cmp_lt_u32_e32 vcc, 42, v254
	s_waitcnt vmcnt(18) lgkmcnt(3)
	v_mul_f64 v[38:39], v[2:3], v[18:19]
	v_mul_f64 v[18:19], v[4:5], v[18:19]
	s_waitcnt vmcnt(16) lgkmcnt(2)
	v_mul_f64 v[40:41], v[6:7], v[20:21]
	v_mul_f64 v[20:21], v[8:9], v[20:21]
	;; [unrolled: 3-line block ×4, first 2 shown]
	s_waitcnt vmcnt(10)
	v_fma_f64 v[2:3], v[2:3], v[26:27], -v[18:19]
	v_fmac_f64_e32 v[38:39], v[4:5], v[26:27]
	s_waitcnt vmcnt(8)
	v_fma_f64 v[4:5], v[6:7], v[28:29], -v[20:21]
	v_add_f64 v[2:3], v[2:3], 0
	v_fmac_f64_e32 v[40:41], v[8:9], v[28:29]
	s_waitcnt vmcnt(6)
	v_fma_f64 v[6:7], v[10:11], v[30:31], -v[22:23]
	v_add_f64 v[10:11], v[38:39], 0
	v_add_f64 v[2:3], v[2:3], v[4:5]
	v_fmac_f64_e32 v[42:43], v[12:13], v[30:31]
	s_waitcnt vmcnt(4)
	v_fma_f64 v[8:9], v[14:15], v[32:33], -v[24:25]
	v_add_f64 v[10:11], v[10:11], v[40:41]
	v_add_f64 v[2:3], v[2:3], v[6:7]
	v_fmac_f64_e32 v[44:45], v[16:17], v[32:33]
	v_add_f64 v[4:5], v[10:11], v[42:43]
	v_add_f64 v[2:3], v[2:3], v[8:9]
	;; [unrolled: 1-line block ×3, first 2 shown]
	s_waitcnt vmcnt(2)
	v_add_f64 v[2:3], v[34:35], -v[2:3]
	s_waitcnt vmcnt(0)
	v_add_f64 v[4:5], v[36:37], -v[4:5]
	buffer_store_dword v2, off, s[0:3], 0 offset:704
	buffer_store_dword v3, off, s[0:3], 0 offset:708
	;; [unrolled: 1-line block ×4, first 2 shown]
	s_and_saveexec_b64 s[4:5], vcc
	s_cbranch_execz .LBB47_217
; %bb.216:
	v_accvgpr_read_b32 v0, a101
	buffer_load_dword v2, v0, s[0:3], 0 offen
	buffer_load_dword v3, v0, s[0:3], 0 offen offset:4
	buffer_load_dword v4, v0, s[0:3], 0 offen offset:8
	;; [unrolled: 1-line block ×3, first 2 shown]
	v_mov_b32_e32 v0, 0
	v_accvgpr_read_b32 v1, a144
	buffer_store_dword v0, off, s[0:3], 0 offset:688
	buffer_store_dword v0, off, s[0:3], 0 offset:692
	buffer_store_dword v0, off, s[0:3], 0 offset:696
	buffer_store_dword v0, off, s[0:3], 0 offset:700
	s_waitcnt vmcnt(4)
	ds_write_b128 v1, v[2:5]
.LBB47_217:
	s_or_b64 exec, exec, s[4:5]
	s_waitcnt lgkmcnt(0)
	; wave barrier
	s_waitcnt lgkmcnt(0)
	buffer_load_dword v22, off, s[0:3], 0 offset:712
	buffer_load_dword v23, off, s[0:3], 0 offset:716
	;; [unrolled: 1-line block ×24, first 2 shown]
	v_mov_b32_e32 v1, 0
	ds_read_b128 v[2:5], v1 offset:1456
	ds_read_b128 v[6:9], v1 offset:1472
	;; [unrolled: 1-line block ×5, first 2 shown]
	v_cmp_lt_u32_e32 vcc, 41, v254
	s_waitcnt vmcnt(22) lgkmcnt(4)
	v_mul_f64 v[46:47], v[2:3], v[22:23]
	v_mul_f64 v[22:23], v[4:5], v[22:23]
	s_waitcnt vmcnt(20) lgkmcnt(3)
	v_mul_f64 v[48:49], v[6:7], v[24:25]
	v_mul_f64 v[24:25], v[8:9], v[24:25]
	;; [unrolled: 3-line block ×4, first 2 shown]
	s_waitcnt vmcnt(13) lgkmcnt(0)
	v_mul_f64 v[54:55], v[18:19], v[28:29]
	s_waitcnt vmcnt(11)
	v_fma_f64 v[2:3], v[2:3], v[34:35], -v[22:23]
	v_fmac_f64_e32 v[46:47], v[4:5], v[34:35]
	s_waitcnt vmcnt(9)
	v_fma_f64 v[4:5], v[6:7], v[36:37], -v[24:25]
	v_add_f64 v[2:3], v[2:3], 0
	v_fmac_f64_e32 v[48:49], v[8:9], v[36:37]
	s_waitcnt vmcnt(7)
	v_fmac_f64_e32 v[50:51], v[12:13], v[38:39]
	v_fma_f64 v[6:7], v[10:11], v[38:39], -v[26:27]
	v_add_f64 v[12:13], v[46:47], 0
	v_add_f64 v[2:3], v[2:3], v[4:5]
	v_mul_f64 v[28:29], v[20:21], v[28:29]
	s_waitcnt vmcnt(5)
	v_fma_f64 v[8:9], v[14:15], v[40:41], -v[32:33]
	v_add_f64 v[12:13], v[12:13], v[48:49]
	v_add_f64 v[2:3], v[2:3], v[6:7]
	v_fmac_f64_e32 v[52:53], v[16:17], v[40:41]
	s_waitcnt vmcnt(4)
	v_fma_f64 v[10:11], v[18:19], v[30:31], -v[28:29]
	v_add_f64 v[4:5], v[12:13], v[50:51]
	v_add_f64 v[2:3], v[2:3], v[8:9]
	v_fmac_f64_e32 v[54:55], v[20:21], v[30:31]
	v_add_f64 v[4:5], v[4:5], v[52:53]
	v_add_f64 v[2:3], v[2:3], v[10:11]
	;; [unrolled: 1-line block ×3, first 2 shown]
	s_waitcnt vmcnt(2)
	v_add_f64 v[2:3], v[42:43], -v[2:3]
	s_waitcnt vmcnt(0)
	v_add_f64 v[4:5], v[44:45], -v[4:5]
	buffer_store_dword v3, off, s[0:3], 0 offset:692
	buffer_store_dword v2, off, s[0:3], 0 offset:688
	;; [unrolled: 1-line block ×4, first 2 shown]
	s_and_saveexec_b64 s[4:5], vcc
	s_cbranch_execz .LBB47_219
; %bb.218:
	v_accvgpr_read_b32 v0, a102
	buffer_load_dword v2, v0, s[0:3], 0 offen
	buffer_load_dword v3, v0, s[0:3], 0 offen offset:4
	buffer_load_dword v4, v0, s[0:3], 0 offen offset:8
	;; [unrolled: 1-line block ×3, first 2 shown]
	v_accvgpr_read_b32 v0, a144
	buffer_store_dword v1, off, s[0:3], 0 offset:672
	buffer_store_dword v1, off, s[0:3], 0 offset:676
	;; [unrolled: 1-line block ×4, first 2 shown]
	s_waitcnt vmcnt(4)
	ds_write_b128 v0, v[2:5]
.LBB47_219:
	s_or_b64 exec, exec, s[4:5]
	s_waitcnt lgkmcnt(0)
	; wave barrier
	s_waitcnt lgkmcnt(0)
	buffer_load_dword v26, off, s[0:3], 0 offset:696
	buffer_load_dword v27, off, s[0:3], 0 offset:700
	;; [unrolled: 1-line block ×28, first 2 shown]
	ds_read_b128 v[2:5], v1 offset:1440
	ds_read_b128 v[6:9], v1 offset:1456
	;; [unrolled: 1-line block ×6, first 2 shown]
	v_cmp_lt_u32_e32 vcc, 40, v254
	s_waitcnt vmcnt(26) lgkmcnt(5)
	v_mul_f64 v[54:55], v[2:3], v[26:27]
	v_mul_f64 v[26:27], v[4:5], v[26:27]
	s_waitcnt vmcnt(24) lgkmcnt(4)
	v_mul_f64 v[56:57], v[6:7], v[28:29]
	v_mul_f64 v[28:29], v[8:9], v[28:29]
	;; [unrolled: 3-line block ×4, first 2 shown]
	s_waitcnt vmcnt(17)
	v_mul_f64 v[60:61], v[14:15], v[36:37]
	v_mul_f64 v[36:37], v[16:17], v[36:37]
	s_waitcnt vmcnt(15) lgkmcnt(0)
	v_mul_f64 v[64:65], v[22:23], v[38:39]
	v_mul_f64 v[38:39], v[24:25], v[38:39]
	s_waitcnt vmcnt(14)
	v_fmac_f64_e32 v[62:63], v[20:21], v[34:35]
	s_waitcnt vmcnt(12)
	v_fma_f64 v[2:3], v[2:3], v[40:41], -v[26:27]
	v_fmac_f64_e32 v[54:55], v[4:5], v[40:41]
	s_waitcnt vmcnt(10)
	v_fma_f64 v[4:5], v[6:7], v[42:43], -v[28:29]
	v_add_f64 v[2:3], v[2:3], 0
	v_fmac_f64_e32 v[56:57], v[8:9], v[42:43]
	s_waitcnt vmcnt(8)
	v_fma_f64 v[6:7], v[10:11], v[44:45], -v[30:31]
	s_waitcnt vmcnt(6)
	v_fma_f64 v[8:9], v[14:15], v[46:47], -v[36:37]
	v_add_f64 v[14:15], v[54:55], 0
	v_add_f64 v[2:3], v[2:3], v[4:5]
	v_fmac_f64_e32 v[58:59], v[12:13], v[44:45]
	v_add_f64 v[14:15], v[14:15], v[56:57]
	v_add_f64 v[2:3], v[2:3], v[6:7]
	v_fmac_f64_e32 v[60:61], v[16:17], v[46:47]
	v_fma_f64 v[10:11], v[18:19], v[34:35], -v[32:33]
	v_add_f64 v[4:5], v[14:15], v[58:59]
	v_add_f64 v[2:3], v[2:3], v[8:9]
	s_waitcnt vmcnt(4)
	v_fma_f64 v[12:13], v[22:23], v[48:49], -v[38:39]
	v_add_f64 v[4:5], v[4:5], v[60:61]
	v_add_f64 v[2:3], v[2:3], v[10:11]
	v_fmac_f64_e32 v[64:65], v[24:25], v[48:49]
	v_add_f64 v[4:5], v[4:5], v[62:63]
	v_add_f64 v[2:3], v[2:3], v[12:13]
	;; [unrolled: 1-line block ×3, first 2 shown]
	s_waitcnt vmcnt(2)
	v_add_f64 v[2:3], v[50:51], -v[2:3]
	s_waitcnt vmcnt(0)
	v_add_f64 v[4:5], v[52:53], -v[4:5]
	buffer_store_dword v3, off, s[0:3], 0 offset:676
	buffer_store_dword v2, off, s[0:3], 0 offset:672
	buffer_store_dword v5, off, s[0:3], 0 offset:684
	buffer_store_dword v4, off, s[0:3], 0 offset:680
	s_and_saveexec_b64 s[4:5], vcc
	s_cbranch_execz .LBB47_221
; %bb.220:
	v_accvgpr_read_b32 v0, a103
	buffer_load_dword v2, v0, s[0:3], 0 offen
	buffer_load_dword v3, v0, s[0:3], 0 offen offset:4
	buffer_load_dword v4, v0, s[0:3], 0 offen offset:8
	;; [unrolled: 1-line block ×3, first 2 shown]
	v_mov_b32_e32 v0, 0
	v_accvgpr_read_b32 v1, a144
	buffer_store_dword v0, off, s[0:3], 0 offset:656
	buffer_store_dword v0, off, s[0:3], 0 offset:660
	;; [unrolled: 1-line block ×4, first 2 shown]
	s_waitcnt vmcnt(4)
	ds_write_b128 v1, v[2:5]
.LBB47_221:
	s_or_b64 exec, exec, s[4:5]
	s_waitcnt lgkmcnt(0)
	; wave barrier
	s_waitcnt lgkmcnt(0)
	buffer_load_dword v30, off, s[0:3], 0 offset:680
	buffer_load_dword v31, off, s[0:3], 0 offset:684
	;; [unrolled: 1-line block ×32, first 2 shown]
	v_mov_b32_e32 v1, 0
	ds_read_b128 v[2:5], v1 offset:1424
	ds_read_b128 v[6:9], v1 offset:1440
	;; [unrolled: 1-line block ×7, first 2 shown]
	v_cmp_lt_u32_e32 vcc, 39, v254
	s_waitcnt vmcnt(30) lgkmcnt(6)
	v_mul_f64 v[62:63], v[2:3], v[30:31]
	v_mul_f64 v[30:31], v[4:5], v[30:31]
	s_waitcnt vmcnt(28) lgkmcnt(5)
	v_mul_f64 v[64:65], v[6:7], v[32:33]
	v_mul_f64 v[32:33], v[8:9], v[32:33]
	;; [unrolled: 3-line block ×4, first 2 shown]
	s_waitcnt vmcnt(21)
	v_mul_f64 v[68:69], v[14:15], v[40:41]
	v_mul_f64 v[40:41], v[16:17], v[40:41]
	s_waitcnt vmcnt(17) lgkmcnt(1)
	v_mul_f64 v[72:73], v[22:23], v[46:47]
	v_mul_f64 v[46:47], v[24:25], v[46:47]
	s_waitcnt vmcnt(16) lgkmcnt(0)
	v_mul_f64 v[74:75], v[26:27], v[42:43]
	v_mul_f64 v[42:43], v[28:29], v[42:43]
	s_waitcnt vmcnt(13)
	v_fma_f64 v[2:3], v[2:3], v[48:49], -v[30:31]
	v_fmac_f64_e32 v[62:63], v[4:5], v[48:49]
	s_waitcnt vmcnt(11)
	v_fma_f64 v[4:5], v[6:7], v[50:51], -v[32:33]
	v_add_f64 v[2:3], v[2:3], 0
	v_fmac_f64_e32 v[64:65], v[8:9], v[50:51]
	s_waitcnt vmcnt(9)
	v_fma_f64 v[6:7], v[10:11], v[52:53], -v[34:35]
	s_waitcnt vmcnt(7)
	v_fmac_f64_e32 v[68:69], v[16:17], v[54:55]
	v_add_f64 v[16:17], v[62:63], 0
	v_add_f64 v[2:3], v[2:3], v[4:5]
	v_fmac_f64_e32 v[66:67], v[12:13], v[52:53]
	v_fma_f64 v[8:9], v[14:15], v[54:55], -v[40:41]
	v_add_f64 v[16:17], v[16:17], v[64:65]
	v_add_f64 v[2:3], v[2:3], v[6:7]
	v_fma_f64 v[10:11], v[18:19], v[38:39], -v[36:37]
	v_add_f64 v[4:5], v[16:17], v[66:67]
	v_add_f64 v[2:3], v[2:3], v[8:9]
	v_fmac_f64_e32 v[70:71], v[20:21], v[38:39]
	s_waitcnt vmcnt(5)
	v_fma_f64 v[12:13], v[22:23], v[56:57], -v[46:47]
	v_add_f64 v[4:5], v[4:5], v[68:69]
	v_add_f64 v[2:3], v[2:3], v[10:11]
	v_fmac_f64_e32 v[72:73], v[24:25], v[56:57]
	s_waitcnt vmcnt(4)
	v_fma_f64 v[14:15], v[26:27], v[44:45], -v[42:43]
	v_add_f64 v[4:5], v[4:5], v[70:71]
	v_add_f64 v[2:3], v[2:3], v[12:13]
	v_fmac_f64_e32 v[74:75], v[28:29], v[44:45]
	v_add_f64 v[4:5], v[4:5], v[72:73]
	v_add_f64 v[2:3], v[2:3], v[14:15]
	;; [unrolled: 1-line block ×3, first 2 shown]
	s_waitcnt vmcnt(2)
	v_add_f64 v[2:3], v[58:59], -v[2:3]
	s_waitcnt vmcnt(0)
	v_add_f64 v[4:5], v[60:61], -v[4:5]
	buffer_store_dword v3, off, s[0:3], 0 offset:660
	buffer_store_dword v2, off, s[0:3], 0 offset:656
	;; [unrolled: 1-line block ×4, first 2 shown]
	s_and_saveexec_b64 s[4:5], vcc
	s_cbranch_execz .LBB47_223
; %bb.222:
	v_accvgpr_read_b32 v0, a104
	buffer_load_dword v2, v0, s[0:3], 0 offen
	buffer_load_dword v3, v0, s[0:3], 0 offen offset:4
	buffer_load_dword v4, v0, s[0:3], 0 offen offset:8
	;; [unrolled: 1-line block ×3, first 2 shown]
	v_accvgpr_read_b32 v0, a144
	buffer_store_dword v1, off, s[0:3], 0 offset:640
	buffer_store_dword v1, off, s[0:3], 0 offset:644
	;; [unrolled: 1-line block ×4, first 2 shown]
	s_waitcnt vmcnt(4)
	ds_write_b128 v0, v[2:5]
.LBB47_223:
	s_or_b64 exec, exec, s[4:5]
	s_waitcnt lgkmcnt(0)
	; wave barrier
	s_waitcnt lgkmcnt(0)
	buffer_load_dword v34, off, s[0:3], 0 offset:664
	buffer_load_dword v35, off, s[0:3], 0 offset:668
	;; [unrolled: 1-line block ×36, first 2 shown]
	ds_read_b128 v[2:5], v1 offset:1408
	ds_read_b128 v[6:9], v1 offset:1424
	;; [unrolled: 1-line block ×8, first 2 shown]
	v_cmp_lt_u32_e32 vcc, 38, v254
	s_waitcnt vmcnt(34) lgkmcnt(7)
	v_mul_f64 v[70:71], v[2:3], v[34:35]
	v_mul_f64 v[34:35], v[4:5], v[34:35]
	s_waitcnt vmcnt(32) lgkmcnt(6)
	v_mul_f64 v[72:73], v[6:7], v[36:37]
	v_mul_f64 v[36:37], v[8:9], v[36:37]
	;; [unrolled: 3-line block ×4, first 2 shown]
	s_waitcnt vmcnt(25)
	v_mul_f64 v[76:77], v[14:15], v[44:45]
	v_mul_f64 v[44:45], v[16:17], v[44:45]
	s_waitcnt vmcnt(23) lgkmcnt(1)
	v_mul_f64 v[82:83], v[26:27], v[46:47]
	v_mul_f64 v[46:47], v[28:29], v[46:47]
	s_waitcnt vmcnt(20)
	v_mul_f64 v[80:81], v[22:23], v[50:51]
	v_mul_f64 v[50:51], v[24:25], v[50:51]
	s_waitcnt vmcnt(18) lgkmcnt(0)
	v_mul_f64 v[84:85], v[30:31], v[52:53]
	s_waitcnt vmcnt(17)
	v_fmac_f64_e32 v[78:79], v[20:21], v[42:43]
	s_waitcnt vmcnt(16)
	v_fmac_f64_e32 v[82:83], v[28:29], v[48:49]
	s_waitcnt vmcnt(14)
	v_fma_f64 v[2:3], v[2:3], v[54:55], -v[34:35]
	v_fmac_f64_e32 v[70:71], v[4:5], v[54:55]
	s_waitcnt vmcnt(12)
	v_fma_f64 v[4:5], v[6:7], v[56:57], -v[36:37]
	v_add_f64 v[2:3], v[2:3], 0
	v_fmac_f64_e32 v[72:73], v[8:9], v[56:57]
	s_waitcnt vmcnt(10)
	v_fma_f64 v[6:7], v[10:11], v[58:59], -v[38:39]
	s_waitcnt vmcnt(8)
	v_fmac_f64_e32 v[76:77], v[16:17], v[60:61]
	v_add_f64 v[16:17], v[70:71], 0
	v_add_f64 v[2:3], v[2:3], v[4:5]
	v_fmac_f64_e32 v[74:75], v[12:13], v[58:59]
	v_fma_f64 v[8:9], v[14:15], v[60:61], -v[44:45]
	v_add_f64 v[16:17], v[16:17], v[72:73]
	v_add_f64 v[2:3], v[2:3], v[6:7]
	v_fma_f64 v[10:11], v[18:19], v[42:43], -v[40:41]
	v_add_f64 v[4:5], v[16:17], v[74:75]
	v_add_f64 v[2:3], v[2:3], v[8:9]
	s_waitcnt vmcnt(6)
	v_fma_f64 v[12:13], v[22:23], v[62:63], -v[50:51]
	v_add_f64 v[4:5], v[4:5], v[76:77]
	v_add_f64 v[2:3], v[2:3], v[10:11]
	v_fmac_f64_e32 v[80:81], v[24:25], v[62:63]
	v_fma_f64 v[14:15], v[26:27], v[48:49], -v[46:47]
	v_add_f64 v[4:5], v[4:5], v[78:79]
	v_add_f64 v[2:3], v[2:3], v[12:13]
	v_mul_f64 v[6:7], v[32:33], v[52:53]
	v_add_f64 v[4:5], v[4:5], v[80:81]
	v_add_f64 v[2:3], v[2:3], v[14:15]
	s_waitcnt vmcnt(4)
	v_fma_f64 v[6:7], v[30:31], v[64:65], -v[6:7]
	v_fmac_f64_e32 v[84:85], v[32:33], v[64:65]
	v_add_f64 v[4:5], v[4:5], v[82:83]
	v_add_f64 v[2:3], v[2:3], v[6:7]
	;; [unrolled: 1-line block ×3, first 2 shown]
	s_waitcnt vmcnt(2)
	v_add_f64 v[2:3], v[66:67], -v[2:3]
	s_waitcnt vmcnt(0)
	v_add_f64 v[4:5], v[68:69], -v[4:5]
	buffer_store_dword v3, off, s[0:3], 0 offset:644
	buffer_store_dword v2, off, s[0:3], 0 offset:640
	;; [unrolled: 1-line block ×4, first 2 shown]
	s_and_saveexec_b64 s[4:5], vcc
	s_cbranch_execz .LBB47_225
; %bb.224:
	v_accvgpr_read_b32 v0, a105
	buffer_load_dword v2, v0, s[0:3], 0 offen
	buffer_load_dword v3, v0, s[0:3], 0 offen offset:4
	buffer_load_dword v4, v0, s[0:3], 0 offen offset:8
	;; [unrolled: 1-line block ×3, first 2 shown]
	v_mov_b32_e32 v0, 0
	v_accvgpr_read_b32 v1, a144
	buffer_store_dword v0, off, s[0:3], 0 offset:624
	buffer_store_dword v0, off, s[0:3], 0 offset:628
	;; [unrolled: 1-line block ×4, first 2 shown]
	s_waitcnt vmcnt(4)
	ds_write_b128 v1, v[2:5]
.LBB47_225:
	s_or_b64 exec, exec, s[4:5]
	s_waitcnt lgkmcnt(0)
	; wave barrier
	s_waitcnt lgkmcnt(0)
	buffer_load_dword v38, off, s[0:3], 0 offset:648
	buffer_load_dword v39, off, s[0:3], 0 offset:652
	;; [unrolled: 1-line block ×40, first 2 shown]
	v_mov_b32_e32 v1, 0
	ds_read_b128 v[2:5], v1 offset:1392
	ds_read_b128 v[6:9], v1 offset:1408
	;; [unrolled: 1-line block ×9, first 2 shown]
	v_cmp_lt_u32_e32 vcc, 37, v254
	s_waitcnt vmcnt(38) lgkmcnt(8)
	v_mul_f64 v[78:79], v[2:3], v[38:39]
	v_mul_f64 v[38:39], v[4:5], v[38:39]
	s_waitcnt vmcnt(36) lgkmcnt(7)
	v_mul_f64 v[80:81], v[6:7], v[40:41]
	v_mul_f64 v[40:41], v[8:9], v[40:41]
	;; [unrolled: 3-line block ×3, first 2 shown]
	s_waitcnt vmcnt(32) lgkmcnt(4)
	v_mul_f64 v[86:87], v[18:19], v[44:45]
	s_waitcnt vmcnt(30)
	v_fmac_f64_e32 v[86:87], v[20:21], v[46:47]
	s_waitcnt vmcnt(28)
	v_mul_f64 v[84:85], v[14:15], v[48:49]
	v_mul_f64 v[48:49], v[16:17], v[48:49]
	s_waitcnt vmcnt(26) lgkmcnt(2)
	v_mul_f64 v[90:91], v[26:27], v[50:51]
	s_waitcnt vmcnt(24)
	v_fmac_f64_e32 v[90:91], v[28:29], v[52:53]
	s_waitcnt vmcnt(22)
	v_mul_f64 v[88:89], v[22:23], v[54:55]
	s_waitcnt vmcnt(18) lgkmcnt(1)
	v_mul_f64 v[92:93], v[30:31], v[60:61]
	s_waitcnt vmcnt(17) lgkmcnt(0)
	v_mul_f64 v[94:95], v[34:35], v[56:57]
	s_waitcnt vmcnt(15)
	v_fma_f64 v[2:3], v[2:3], v[62:63], -v[38:39]
	v_fmac_f64_e32 v[78:79], v[4:5], v[62:63]
	s_waitcnt vmcnt(13)
	v_fma_f64 v[4:5], v[6:7], v[64:65], -v[40:41]
	v_add_f64 v[2:3], v[2:3], 0
	s_waitcnt vmcnt(11)
	v_fma_f64 v[6:7], v[10:11], v[66:67], -v[42:43]
	v_add_f64 v[2:3], v[2:3], v[4:5]
	v_fmac_f64_e32 v[80:81], v[8:9], v[64:65]
	s_waitcnt vmcnt(9)
	v_fma_f64 v[8:9], v[14:15], v[68:69], -v[48:49]
	v_add_f64 v[2:3], v[2:3], v[6:7]
	v_mul_f64 v[6:7], v[20:21], v[44:45]
	v_add_f64 v[2:3], v[2:3], v[8:9]
	v_fma_f64 v[6:7], v[18:19], v[46:47], -v[6:7]
	v_add_f64 v[2:3], v[2:3], v[6:7]
	v_mul_f64 v[6:7], v[24:25], v[54:55]
	v_add_f64 v[10:11], v[78:79], 0
	s_waitcnt vmcnt(7)
	v_fma_f64 v[6:7], v[22:23], v[70:71], -v[6:7]
	v_fmac_f64_e32 v[82:83], v[12:13], v[66:67]
	v_add_f64 v[10:11], v[10:11], v[80:81]
	v_add_f64 v[2:3], v[2:3], v[6:7]
	v_mul_f64 v[6:7], v[28:29], v[50:51]
	v_fmac_f64_e32 v[84:85], v[16:17], v[68:69]
	v_add_f64 v[4:5], v[10:11], v[82:83]
	v_fma_f64 v[6:7], v[26:27], v[52:53], -v[6:7]
	v_add_f64 v[4:5], v[4:5], v[84:85]
	v_add_f64 v[2:3], v[2:3], v[6:7]
	v_mul_f64 v[6:7], v[32:33], v[60:61]
	v_fmac_f64_e32 v[88:89], v[24:25], v[70:71]
	v_add_f64 v[4:5], v[4:5], v[86:87]
	s_waitcnt vmcnt(5)
	v_fma_f64 v[6:7], v[30:31], v[72:73], -v[6:7]
	v_add_f64 v[4:5], v[4:5], v[88:89]
	v_add_f64 v[2:3], v[2:3], v[6:7]
	v_mul_f64 v[6:7], v[36:37], v[56:57]
	v_fmac_f64_e32 v[92:93], v[32:33], v[72:73]
	v_add_f64 v[4:5], v[4:5], v[90:91]
	s_waitcnt vmcnt(4)
	v_fma_f64 v[6:7], v[34:35], v[58:59], -v[6:7]
	v_fmac_f64_e32 v[94:95], v[36:37], v[58:59]
	v_add_f64 v[4:5], v[4:5], v[92:93]
	v_add_f64 v[2:3], v[2:3], v[6:7]
	;; [unrolled: 1-line block ×3, first 2 shown]
	s_waitcnt vmcnt(2)
	v_add_f64 v[2:3], v[74:75], -v[2:3]
	s_waitcnt vmcnt(0)
	v_add_f64 v[4:5], v[76:77], -v[4:5]
	buffer_store_dword v3, off, s[0:3], 0 offset:628
	buffer_store_dword v2, off, s[0:3], 0 offset:624
	;; [unrolled: 1-line block ×4, first 2 shown]
	s_and_saveexec_b64 s[4:5], vcc
	s_cbranch_execz .LBB47_227
; %bb.226:
	v_accvgpr_read_b32 v0, a106
	buffer_load_dword v2, v0, s[0:3], 0 offen
	buffer_load_dword v3, v0, s[0:3], 0 offen offset:4
	buffer_load_dword v4, v0, s[0:3], 0 offen offset:8
	;; [unrolled: 1-line block ×3, first 2 shown]
	v_accvgpr_read_b32 v0, a144
	buffer_store_dword v1, off, s[0:3], 0 offset:608
	buffer_store_dword v1, off, s[0:3], 0 offset:612
	;; [unrolled: 1-line block ×4, first 2 shown]
	s_waitcnt vmcnt(4)
	ds_write_b128 v0, v[2:5]
.LBB47_227:
	s_or_b64 exec, exec, s[4:5]
	s_waitcnt lgkmcnt(0)
	; wave barrier
	s_waitcnt lgkmcnt(0)
	buffer_load_dword v4, off, s[0:3], 0 offset:624
	buffer_load_dword v5, off, s[0:3], 0 offset:628
	;; [unrolled: 1-line block ×44, first 2 shown]
	ds_read_b128 v[6:9], v1 offset:1376
	ds_read_b128 v[10:13], v1 offset:1392
	;; [unrolled: 1-line block ×10, first 2 shown]
	v_cmp_lt_u32_e32 vcc, 36, v254
	s_waitcnt vmcnt(40) lgkmcnt(9)
	v_mul_f64 v[86:87], v[6:7], v[46:47]
	v_mul_f64 v[46:47], v[8:9], v[46:47]
	s_waitcnt vmcnt(38) lgkmcnt(8)
	v_mul_f64 v[88:89], v[10:11], v[48:49]
	v_mul_f64 v[48:49], v[12:13], v[48:49]
	v_fmac_f64_e32 v[86:87], v[8:9], v[4:5]
	v_fma_f64 v[4:5], v[6:7], v[4:5], -v[46:47]
	s_waitcnt vmcnt(36) lgkmcnt(7)
	v_mul_f64 v[90:91], v[14:15], v[2:3]
	v_add_f64 v[4:5], v[4:5], 0
	v_mul_f64 v[2:3], v[16:17], v[2:3]
	v_add_f64 v[8:9], v[86:87], 0
	s_waitcnt vmcnt(30) lgkmcnt(6)
	v_mul_f64 v[92:93], v[18:19], v[54:55]
	s_waitcnt lgkmcnt(5)
	v_mul_f64 v[94:95], v[22:23], v[50:51]
	v_fmac_f64_e32 v[94:95], v[24:25], v[52:53]
	s_waitcnt vmcnt(28) lgkmcnt(3)
	v_mul_f64 v[98:99], v[30:31], v[56:57]
	s_waitcnt vmcnt(26)
	v_fmac_f64_e32 v[98:99], v[32:33], v[58:59]
	s_waitcnt vmcnt(24)
	v_mul_f64 v[96:97], v[26:27], v[60:61]
	s_waitcnt vmcnt(22) lgkmcnt(1)
	v_mul_f64 v[102:103], v[38:39], v[62:63]
	s_waitcnt vmcnt(20)
	v_fmac_f64_e32 v[102:103], v[40:41], v[64:65]
	s_waitcnt vmcnt(18)
	v_mul_f64 v[100:101], v[34:35], v[66:67]
	s_waitcnt vmcnt(16) lgkmcnt(0)
	v_mul_f64 v[104:105], v[42:43], v[68:69]
	s_waitcnt vmcnt(14)
	v_fma_f64 v[6:7], v[10:11], v[70:71], -v[48:49]
	v_add_f64 v[4:5], v[4:5], v[6:7]
	s_waitcnt vmcnt(12)
	v_fma_f64 v[2:3], v[14:15], v[72:73], -v[2:3]
	v_add_f64 v[2:3], v[4:5], v[2:3]
	v_mul_f64 v[4:5], v[20:21], v[54:55]
	s_waitcnt vmcnt(10)
	v_fma_f64 v[4:5], v[18:19], v[74:75], -v[4:5]
	v_add_f64 v[2:3], v[2:3], v[4:5]
	v_mul_f64 v[4:5], v[24:25], v[50:51]
	v_fma_f64 v[4:5], v[22:23], v[52:53], -v[4:5]
	v_add_f64 v[2:3], v[2:3], v[4:5]
	v_mul_f64 v[4:5], v[28:29], v[60:61]
	s_waitcnt vmcnt(8)
	v_fma_f64 v[4:5], v[26:27], v[76:77], -v[4:5]
	v_fmac_f64_e32 v[88:89], v[12:13], v[70:71]
	v_add_f64 v[2:3], v[2:3], v[4:5]
	v_mul_f64 v[4:5], v[32:33], v[56:57]
	v_fmac_f64_e32 v[90:91], v[16:17], v[72:73]
	v_add_f64 v[8:9], v[8:9], v[88:89]
	v_fma_f64 v[4:5], v[30:31], v[58:59], -v[4:5]
	v_fmac_f64_e32 v[92:93], v[20:21], v[74:75]
	v_add_f64 v[6:7], v[8:9], v[90:91]
	v_add_f64 v[2:3], v[2:3], v[4:5]
	v_mul_f64 v[4:5], v[36:37], v[66:67]
	v_add_f64 v[6:7], v[6:7], v[92:93]
	s_waitcnt vmcnt(6)
	v_fma_f64 v[4:5], v[34:35], v[78:79], -v[4:5]
	v_fmac_f64_e32 v[96:97], v[28:29], v[76:77]
	v_add_f64 v[6:7], v[6:7], v[94:95]
	v_add_f64 v[2:3], v[2:3], v[4:5]
	v_mul_f64 v[4:5], v[40:41], v[62:63]
	v_add_f64 v[6:7], v[6:7], v[96:97]
	v_fma_f64 v[4:5], v[38:39], v[64:65], -v[4:5]
	v_fmac_f64_e32 v[100:101], v[36:37], v[78:79]
	v_add_f64 v[6:7], v[6:7], v[98:99]
	v_add_f64 v[2:3], v[2:3], v[4:5]
	v_mul_f64 v[4:5], v[44:45], v[68:69]
	v_add_f64 v[6:7], v[6:7], v[100:101]
	s_waitcnt vmcnt(4)
	v_fma_f64 v[4:5], v[42:43], v[80:81], -v[4:5]
	v_fmac_f64_e32 v[104:105], v[44:45], v[80:81]
	v_add_f64 v[6:7], v[6:7], v[102:103]
	v_add_f64 v[2:3], v[2:3], v[4:5]
	;; [unrolled: 1-line block ×3, first 2 shown]
	s_waitcnt vmcnt(2)
	v_add_f64 v[2:3], v[82:83], -v[2:3]
	s_waitcnt vmcnt(0)
	v_add_f64 v[4:5], v[84:85], -v[6:7]
	buffer_store_dword v3, off, s[0:3], 0 offset:612
	buffer_store_dword v2, off, s[0:3], 0 offset:608
	;; [unrolled: 1-line block ×4, first 2 shown]
	s_and_saveexec_b64 s[4:5], vcc
	s_cbranch_execz .LBB47_229
; %bb.228:
	v_accvgpr_read_b32 v0, a107
	buffer_load_dword v2, v0, s[0:3], 0 offen
	buffer_load_dword v3, v0, s[0:3], 0 offen offset:4
	buffer_load_dword v4, v0, s[0:3], 0 offen offset:8
	buffer_load_dword v5, v0, s[0:3], 0 offen offset:12
	v_mov_b32_e32 v0, 0
	v_accvgpr_read_b32 v1, a144
	buffer_store_dword v0, off, s[0:3], 0 offset:592
	buffer_store_dword v0, off, s[0:3], 0 offset:596
	;; [unrolled: 1-line block ×4, first 2 shown]
	s_waitcnt vmcnt(4)
	ds_write_b128 v1, v[2:5]
.LBB47_229:
	s_or_b64 exec, exec, s[4:5]
	v_mov_b32_e32 v1, 0
	s_waitcnt lgkmcnt(0)
	; wave barrier
	s_waitcnt lgkmcnt(0)
	ds_read_b128 v[14:17], v1 offset:1360
	ds_read_b128 v[10:13], v1 offset:1376
	;; [unrolled: 1-line block ×4, first 2 shown]
	buffer_load_dword v48, off, s[0:3], 0 offset:592
	buffer_load_dword v49, off, s[0:3], 0 offset:596
	;; [unrolled: 1-line block ×20, first 2 shown]
	v_cmp_lt_u32_e32 vcc, 35, v254
	s_waitcnt vmcnt(12) lgkmcnt(3)
	v_mul_f64 v[18:19], v[14:15], v[56:57]
	v_fmac_f64_e32 v[18:19], v[16:17], v[50:51]
	v_add_f64 v[18:19], v[18:19], 0
	v_mul_f64 v[16:17], v[16:17], v[56:57]
	s_waitcnt vmcnt(8) lgkmcnt(2)
	v_mul_f64 v[20:21], v[10:11], v[58:59]
	v_fmac_f64_e32 v[20:21], v[12:13], v[52:53]
	v_add_f64 v[18:19], v[18:19], v[20:21]
	v_fma_f64 v[14:15], v[14:15], v[50:51], -v[16:17]
	s_waitcnt vmcnt(4) lgkmcnt(1)
	v_mul_f64 v[20:21], v[6:7], v[60:61]
	v_fmac_f64_e32 v[20:21], v[8:9], v[54:55]
	v_add_f64 v[18:19], v[18:19], v[20:21]
	s_waitcnt vmcnt(0) lgkmcnt(0)
	v_mul_f64 v[20:21], v[2:3], v[64:65]
	v_fmac_f64_e32 v[20:21], v[4:5], v[62:63]
	v_add_f64 v[22:23], v[18:19], v[20:21]
	ds_read_b128 v[18:21], v1 offset:1424
	buffer_load_dword v67, off, s[0:3], 0 offset:676
	buffer_load_dword v66, off, s[0:3], 0 offset:672
	buffer_load_dword v69, off, s[0:3], 0 offset:684
	buffer_load_dword v68, off, s[0:3], 0 offset:680
	v_mul_f64 v[12:13], v[12:13], v[58:59]
	v_add_f64 v[14:15], v[14:15], 0
	v_fma_f64 v[10:11], v[10:11], v[52:53], -v[12:13]
	v_mul_f64 v[8:9], v[8:9], v[60:61]
	v_add_f64 v[10:11], v[14:15], v[10:11]
	v_fma_f64 v[6:7], v[6:7], v[54:55], -v[8:9]
	;; [unrolled: 3-line block ×3, first 2 shown]
	v_add_f64 v[2:3], v[6:7], v[2:3]
	s_waitcnt vmcnt(0) lgkmcnt(0)
	v_mul_f64 v[24:25], v[18:19], v[68:69]
	v_fmac_f64_e32 v[24:25], v[20:21], v[66:67]
	v_add_f64 v[26:27], v[22:23], v[24:25]
	ds_read_b128 v[22:25], v1 offset:1440
	buffer_load_dword v71, off, s[0:3], 0 offset:692
	buffer_load_dword v70, off, s[0:3], 0 offset:688
	buffer_load_dword v73, off, s[0:3], 0 offset:700
	buffer_load_dword v72, off, s[0:3], 0 offset:696
	v_mul_f64 v[4:5], v[20:21], v[68:69]
	v_fma_f64 v[4:5], v[18:19], v[66:67], -v[4:5]
	v_add_f64 v[2:3], v[2:3], v[4:5]
	s_waitcnt vmcnt(0) lgkmcnt(0)
	v_mul_f64 v[28:29], v[22:23], v[72:73]
	v_fmac_f64_e32 v[28:29], v[24:25], v[70:71]
	v_add_f64 v[30:31], v[26:27], v[28:29]
	ds_read_b128 v[26:29], v1 offset:1456
	buffer_load_dword v75, off, s[0:3], 0 offset:708
	buffer_load_dword v74, off, s[0:3], 0 offset:704
	buffer_load_dword v77, off, s[0:3], 0 offset:716
	buffer_load_dword v76, off, s[0:3], 0 offset:712
	v_mul_f64 v[4:5], v[24:25], v[72:73]
	v_fma_f64 v[4:5], v[22:23], v[70:71], -v[4:5]
	;; [unrolled: 12-line block ×6, first 2 shown]
	v_add_f64 v[2:3], v[2:3], v[4:5]
	s_waitcnt vmcnt(0) lgkmcnt(0)
	v_mul_f64 v[4:5], v[44:45], v[92:93]
	v_mul_f64 v[96:97], v[42:43], v[92:93]
	v_fma_f64 v[4:5], v[42:43], v[90:91], -v[4:5]
	v_fmac_f64_e32 v[96:97], v[44:45], v[90:91]
	v_add_f64 v[2:3], v[2:3], v[4:5]
	v_add_f64 v[94:95], v[94:95], v[96:97]
	v_add_f64 v[2:3], v[48:49], -v[2:3]
	v_add_f64 v[4:5], v[46:47], -v[94:95]
	buffer_store_dword v3, off, s[0:3], 0 offset:596
	buffer_store_dword v2, off, s[0:3], 0 offset:592
	;; [unrolled: 1-line block ×4, first 2 shown]
	s_and_saveexec_b64 s[4:5], vcc
	s_cbranch_execz .LBB47_231
; %bb.230:
	v_accvgpr_read_b32 v0, a108
	buffer_load_dword v2, v0, s[0:3], 0 offen
	buffer_load_dword v3, v0, s[0:3], 0 offen offset:4
	buffer_load_dword v4, v0, s[0:3], 0 offen offset:8
	;; [unrolled: 1-line block ×3, first 2 shown]
	v_accvgpr_read_b32 v0, a144
	buffer_store_dword v1, off, s[0:3], 0 offset:576
	buffer_store_dword v1, off, s[0:3], 0 offset:580
	;; [unrolled: 1-line block ×4, first 2 shown]
	s_waitcnt vmcnt(4)
	ds_write_b128 v0, v[2:5]
.LBB47_231:
	s_or_b64 exec, exec, s[4:5]
	s_waitcnt lgkmcnt(0)
	; wave barrier
	s_waitcnt lgkmcnt(0)
	ds_read_b128 v[14:17], v1 offset:1344
	ds_read_b128 v[10:13], v1 offset:1360
	;; [unrolled: 1-line block ×4, first 2 shown]
	buffer_load_dword v48, off, s[0:3], 0 offset:576
	buffer_load_dword v49, off, s[0:3], 0 offset:580
	;; [unrolled: 1-line block ×20, first 2 shown]
	v_cmp_lt_u32_e32 vcc, 34, v254
	s_waitcnt vmcnt(12) lgkmcnt(3)
	v_mul_f64 v[18:19], v[14:15], v[56:57]
	v_fmac_f64_e32 v[18:19], v[16:17], v[50:51]
	v_add_f64 v[18:19], v[18:19], 0
	v_mul_f64 v[16:17], v[16:17], v[56:57]
	s_waitcnt vmcnt(8) lgkmcnt(2)
	v_mul_f64 v[20:21], v[10:11], v[58:59]
	v_fmac_f64_e32 v[20:21], v[12:13], v[52:53]
	v_add_f64 v[18:19], v[18:19], v[20:21]
	v_fma_f64 v[14:15], v[14:15], v[50:51], -v[16:17]
	s_waitcnt vmcnt(4) lgkmcnt(1)
	v_mul_f64 v[20:21], v[6:7], v[60:61]
	v_fmac_f64_e32 v[20:21], v[8:9], v[54:55]
	v_add_f64 v[18:19], v[18:19], v[20:21]
	s_waitcnt vmcnt(0) lgkmcnt(0)
	v_mul_f64 v[20:21], v[2:3], v[64:65]
	v_fmac_f64_e32 v[20:21], v[4:5], v[62:63]
	v_add_f64 v[22:23], v[18:19], v[20:21]
	ds_read_b128 v[18:21], v1 offset:1408
	buffer_load_dword v67, off, s[0:3], 0 offset:660
	buffer_load_dword v66, off, s[0:3], 0 offset:656
	buffer_load_dword v69, off, s[0:3], 0 offset:668
	buffer_load_dword v68, off, s[0:3], 0 offset:664
	v_mul_f64 v[12:13], v[12:13], v[58:59]
	v_add_f64 v[14:15], v[14:15], 0
	v_fma_f64 v[10:11], v[10:11], v[52:53], -v[12:13]
	v_mul_f64 v[8:9], v[8:9], v[60:61]
	v_add_f64 v[10:11], v[14:15], v[10:11]
	v_fma_f64 v[6:7], v[6:7], v[54:55], -v[8:9]
	v_mul_f64 v[4:5], v[4:5], v[64:65]
	v_add_f64 v[6:7], v[10:11], v[6:7]
	v_fma_f64 v[2:3], v[2:3], v[62:63], -v[4:5]
	v_add_f64 v[2:3], v[6:7], v[2:3]
	s_waitcnt vmcnt(0) lgkmcnt(0)
	v_mul_f64 v[24:25], v[18:19], v[68:69]
	v_fmac_f64_e32 v[24:25], v[20:21], v[66:67]
	v_add_f64 v[26:27], v[22:23], v[24:25]
	ds_read_b128 v[22:25], v1 offset:1424
	buffer_load_dword v71, off, s[0:3], 0 offset:676
	buffer_load_dword v70, off, s[0:3], 0 offset:672
	buffer_load_dword v73, off, s[0:3], 0 offset:684
	buffer_load_dword v72, off, s[0:3], 0 offset:680
	v_mul_f64 v[4:5], v[20:21], v[68:69]
	v_fma_f64 v[4:5], v[18:19], v[66:67], -v[4:5]
	v_add_f64 v[2:3], v[2:3], v[4:5]
	s_waitcnt vmcnt(0) lgkmcnt(0)
	v_mul_f64 v[28:29], v[22:23], v[72:73]
	v_fmac_f64_e32 v[28:29], v[24:25], v[70:71]
	v_add_f64 v[30:31], v[26:27], v[28:29]
	ds_read_b128 v[26:29], v1 offset:1440
	buffer_load_dword v75, off, s[0:3], 0 offset:692
	buffer_load_dword v74, off, s[0:3], 0 offset:688
	buffer_load_dword v77, off, s[0:3], 0 offset:700
	buffer_load_dword v76, off, s[0:3], 0 offset:696
	v_mul_f64 v[4:5], v[24:25], v[72:73]
	v_fma_f64 v[4:5], v[22:23], v[70:71], -v[4:5]
	;; [unrolled: 12-line block ×7, first 2 shown]
	v_add_f64 v[2:3], v[2:3], v[4:5]
	s_waitcnt vmcnt(0) lgkmcnt(0)
	v_mul_f64 v[4:5], v[96:97], v[102:103]
	v_mul_f64 v[104:105], v[94:95], v[102:103]
	v_fma_f64 v[4:5], v[94:95], v[100:101], -v[4:5]
	v_fmac_f64_e32 v[104:105], v[96:97], v[100:101]
	v_add_f64 v[2:3], v[2:3], v[4:5]
	v_add_f64 v[98:99], v[98:99], v[104:105]
	v_add_f64 v[2:3], v[48:49], -v[2:3]
	v_add_f64 v[4:5], v[46:47], -v[98:99]
	buffer_store_dword v3, off, s[0:3], 0 offset:580
	buffer_store_dword v2, off, s[0:3], 0 offset:576
	;; [unrolled: 1-line block ×4, first 2 shown]
	s_and_saveexec_b64 s[4:5], vcc
	s_cbranch_execz .LBB47_233
; %bb.232:
	v_accvgpr_read_b32 v0, a109
	buffer_load_dword v2, v0, s[0:3], 0 offen
	buffer_load_dword v3, v0, s[0:3], 0 offen offset:4
	buffer_load_dword v4, v0, s[0:3], 0 offen offset:8
	;; [unrolled: 1-line block ×3, first 2 shown]
	v_mov_b32_e32 v0, 0
	v_accvgpr_read_b32 v1, a144
	buffer_store_dword v0, off, s[0:3], 0 offset:560
	buffer_store_dword v0, off, s[0:3], 0 offset:564
	;; [unrolled: 1-line block ×4, first 2 shown]
	s_waitcnt vmcnt(4)
	ds_write_b128 v1, v[2:5]
.LBB47_233:
	s_or_b64 exec, exec, s[4:5]
	s_waitcnt lgkmcnt(0)
	; wave barrier
	s_waitcnt lgkmcnt(0)
	buffer_load_dword v2, off, s[0:3], 0 offset:576
	buffer_load_dword v3, off, s[0:3], 0 offset:580
	;; [unrolled: 1-line block ×56, first 2 shown]
	v_mov_b32_e32 v1, 0
	ds_read_b128 v[30:33], v1 offset:1328
	ds_read_b128 v[34:37], v1 offset:1344
	ds_read_b128 v[38:41], v1 offset:1360
	ds_read_b128 v[42:45], v1 offset:1376
	ds_read_b128 v[46:49], v1 offset:1392
	ds_read_b128 v[50:53], v1 offset:1408
	ds_read_b128 v[54:57], v1 offset:1424
	ds_read_b128 v[58:61], v1 offset:1440
	ds_read_b128 v[78:81], v1 offset:1520
	v_cmp_lt_u32_e32 vcc, 33, v254
	s_waitcnt vmcnt(52) lgkmcnt(8)
	v_mul_f64 v[62:63], v[30:31], v[6:7]
	v_fmac_f64_e32 v[62:63], v[32:33], v[2:3]
	v_mul_f64 v[6:7], v[32:33], v[6:7]
	v_add_f64 v[62:63], v[62:63], 0
	s_waitcnt vmcnt(48) lgkmcnt(7)
	v_mul_f64 v[64:65], v[34:35], v[8:9]
	v_fmac_f64_e32 v[64:65], v[36:37], v[4:5]
	s_waitcnt vmcnt(46) lgkmcnt(6)
	v_mul_f64 v[66:67], v[38:39], v[10:11]
	v_fma_f64 v[2:3], v[30:31], v[2:3], -v[6:7]
	v_mul_f64 v[6:7], v[36:37], v[8:9]
	s_waitcnt vmcnt(44) lgkmcnt(5)
	v_mul_f64 v[68:69], v[42:43], v[12:13]
	v_add_f64 v[62:63], v[62:63], v[64:65]
	v_add_f64 v[2:3], v[2:3], 0
	v_fma_f64 v[4:5], v[34:35], v[4:5], -v[6:7]
	v_add_f64 v[2:3], v[2:3], v[4:5]
	v_mul_f64 v[4:5], v[40:41], v[10:11]
	s_waitcnt vmcnt(37) lgkmcnt(4)
	v_mul_f64 v[70:71], v[46:47], v[20:21]
	s_waitcnt lgkmcnt(3)
	v_mul_f64 v[72:73], v[50:51], v[18:19]
	s_waitcnt vmcnt(35)
	v_fmac_f64_e32 v[70:71], v[48:49], v[22:23]
	s_waitcnt lgkmcnt(2)
	v_mul_f64 v[74:75], v[54:55], v[14:15]
	s_waitcnt vmcnt(33)
	v_fmac_f64_e32 v[66:67], v[40:41], v[28:29]
	v_add_f64 v[62:63], v[62:63], v[66:67]
	s_waitcnt vmcnt(31)
	v_fmac_f64_e32 v[68:69], v[44:45], v[26:27]
	v_add_f64 v[62:63], v[62:63], v[68:69]
	v_fma_f64 v[4:5], v[38:39], v[28:29], -v[4:5]
	s_waitcnt vmcnt(29)
	v_fmac_f64_e32 v[72:73], v[52:53], v[24:25]
	v_add_f64 v[62:63], v[62:63], v[70:71]
	v_add_f64 v[2:3], v[2:3], v[4:5]
	v_mul_f64 v[4:5], v[44:45], v[12:13]
	s_waitcnt vmcnt(28)
	v_fmac_f64_e32 v[74:75], v[56:57], v[16:17]
	v_add_f64 v[62:63], v[62:63], v[72:73]
	v_fma_f64 v[4:5], v[42:43], v[26:27], -v[4:5]
	v_add_f64 v[66:67], v[62:63], v[74:75]
	ds_read_b128 v[62:65], v1 offset:1456
	s_waitcnt vmcnt(24) lgkmcnt(2)
	v_mul_f64 v[68:69], v[58:59], v[86:87]
	v_add_f64 v[2:3], v[2:3], v[4:5]
	v_mul_f64 v[4:5], v[48:49], v[20:21]
	s_waitcnt vmcnt(22)
	v_fmac_f64_e32 v[68:69], v[60:61], v[88:89]
	v_fma_f64 v[4:5], v[46:47], v[22:23], -v[4:5]
	v_add_f64 v[70:71], v[66:67], v[68:69]
	ds_read_b128 v[66:69], v1 offset:1472
	v_add_f64 v[2:3], v[2:3], v[4:5]
	v_mul_f64 v[4:5], v[52:53], v[18:19]
	v_fma_f64 v[4:5], v[50:51], v[24:25], -v[4:5]
	v_add_f64 v[2:3], v[2:3], v[4:5]
	v_mul_f64 v[4:5], v[56:57], v[14:15]
	s_waitcnt vmcnt(21) lgkmcnt(1)
	v_mul_f64 v[72:73], v[62:63], v[82:83]
	v_fma_f64 v[4:5], v[54:55], v[16:17], -v[4:5]
	s_waitcnt vmcnt(20)
	v_fmac_f64_e32 v[72:73], v[64:65], v[84:85]
	v_add_f64 v[2:3], v[2:3], v[4:5]
	v_mul_f64 v[4:5], v[60:61], v[86:87]
	v_add_f64 v[74:75], v[70:71], v[72:73]
	ds_read_b128 v[70:73], v1 offset:1488
	s_waitcnt vmcnt(16) lgkmcnt(1)
	v_mul_f64 v[76:77], v[66:67], v[94:95]
	v_fma_f64 v[4:5], v[58:59], v[88:89], -v[4:5]
	s_waitcnt vmcnt(14)
	v_fmac_f64_e32 v[76:77], v[68:69], v[96:97]
	v_add_f64 v[2:3], v[2:3], v[4:5]
	v_mul_f64 v[4:5], v[64:65], v[82:83]
	v_add_f64 v[110:111], v[74:75], v[76:77]
	ds_read_b128 v[74:77], v1 offset:1504
	v_fma_f64 v[4:5], v[62:63], v[84:85], -v[4:5]
	v_add_f64 v[2:3], v[2:3], v[4:5]
	v_mul_f64 v[4:5], v[68:69], v[94:95]
	v_fma_f64 v[4:5], v[66:67], v[96:97], -v[4:5]
	v_add_f64 v[2:3], v[2:3], v[4:5]
	s_waitcnt vmcnt(13) lgkmcnt(1)
	v_mul_f64 v[4:5], v[72:73], v[90:91]
	v_mul_f64 v[112:113], v[70:71], v[90:91]
	s_waitcnt vmcnt(12)
	v_fma_f64 v[4:5], v[70:71], v[92:93], -v[4:5]
	v_fmac_f64_e32 v[112:113], v[72:73], v[92:93]
	v_add_f64 v[2:3], v[2:3], v[4:5]
	s_waitcnt vmcnt(8) lgkmcnt(0)
	v_mul_f64 v[4:5], v[76:77], v[102:103]
	v_add_f64 v[110:111], v[110:111], v[112:113]
	v_mul_f64 v[112:113], v[74:75], v[102:103]
	s_waitcnt vmcnt(6)
	v_fma_f64 v[4:5], v[74:75], v[104:105], -v[4:5]
	v_fmac_f64_e32 v[112:113], v[76:77], v[104:105]
	v_add_f64 v[2:3], v[2:3], v[4:5]
	s_waitcnt vmcnt(5)
	v_mul_f64 v[4:5], v[80:81], v[98:99]
	v_add_f64 v[110:111], v[110:111], v[112:113]
	v_mul_f64 v[112:113], v[78:79], v[98:99]
	s_waitcnt vmcnt(4)
	v_fma_f64 v[4:5], v[78:79], v[100:101], -v[4:5]
	v_fmac_f64_e32 v[112:113], v[80:81], v[100:101]
	v_add_f64 v[2:3], v[2:3], v[4:5]
	v_add_f64 v[110:111], v[110:111], v[112:113]
	s_waitcnt vmcnt(2)
	v_add_f64 v[2:3], v[106:107], -v[2:3]
	s_waitcnt vmcnt(0)
	v_add_f64 v[4:5], v[108:109], -v[110:111]
	buffer_store_dword v3, off, s[0:3], 0 offset:564
	buffer_store_dword v2, off, s[0:3], 0 offset:560
	;; [unrolled: 1-line block ×4, first 2 shown]
	s_and_saveexec_b64 s[4:5], vcc
	s_cbranch_execz .LBB47_235
; %bb.234:
	v_accvgpr_read_b32 v0, a110
	buffer_load_dword v2, v0, s[0:3], 0 offen
	buffer_load_dword v3, v0, s[0:3], 0 offen offset:4
	buffer_load_dword v4, v0, s[0:3], 0 offen offset:8
	;; [unrolled: 1-line block ×3, first 2 shown]
	v_accvgpr_read_b32 v0, a144
	buffer_store_dword v1, off, s[0:3], 0 offset:544
	buffer_store_dword v1, off, s[0:3], 0 offset:548
	;; [unrolled: 1-line block ×4, first 2 shown]
	s_waitcnt vmcnt(4)
	ds_write_b128 v0, v[2:5]
.LBB47_235:
	s_or_b64 exec, exec, s[4:5]
	s_waitcnt lgkmcnt(0)
	; wave barrier
	s_waitcnt lgkmcnt(0)
	buffer_load_dword v2, off, s[0:3], 0 offset:560
	buffer_load_dword v3, off, s[0:3], 0 offset:564
	;; [unrolled: 1-line block ×60, first 2 shown]
	ds_read_b128 v[30:33], v1 offset:1312
	ds_read_b128 v[34:37], v1 offset:1328
	;; [unrolled: 1-line block ×8, first 2 shown]
	v_cmp_lt_u32_e32 vcc, 32, v254
	ds_read_b128 v[82:85], v1 offset:1520
	s_waitcnt vmcnt(56) lgkmcnt(8)
	v_mul_f64 v[62:63], v[30:31], v[6:7]
	v_fmac_f64_e32 v[62:63], v[32:33], v[2:3]
	v_add_f64 v[62:63], v[62:63], 0
	v_mul_f64 v[6:7], v[32:33], v[6:7]
	s_waitcnt vmcnt(52) lgkmcnt(7)
	v_mul_f64 v[64:65], v[34:35], v[8:9]
	v_fmac_f64_e32 v[64:65], v[36:37], v[4:5]
	s_waitcnt vmcnt(50) lgkmcnt(6)
	v_mul_f64 v[66:67], v[38:39], v[10:11]
	v_add_f64 v[62:63], v[62:63], v[64:65]
	s_waitcnt vmcnt(48) lgkmcnt(4)
	v_mul_f64 v[70:71], v[46:47], v[12:13]
	v_fma_f64 v[2:3], v[30:31], v[2:3], -v[6:7]
	s_waitcnt vmcnt(46)
	v_fmac_f64_e32 v[70:71], v[48:49], v[14:15]
	v_mul_f64 v[6:7], v[36:37], v[8:9]
	s_waitcnt vmcnt(44)
	v_mul_f64 v[68:69], v[42:43], v[16:17]
	v_add_f64 v[2:3], v[2:3], 0
	v_fma_f64 v[4:5], v[34:35], v[4:5], -v[6:7]
	v_add_f64 v[2:3], v[2:3], v[4:5]
	s_waitcnt vmcnt(40) lgkmcnt(3)
	v_mul_f64 v[72:73], v[50:51], v[22:23]
	v_mul_f64 v[4:5], v[40:41], v[10:11]
	s_waitcnt vmcnt(38)
	v_fmac_f64_e32 v[66:67], v[40:41], v[28:29]
	v_add_f64 v[62:63], v[62:63], v[66:67]
	s_waitcnt vmcnt(36)
	v_fmac_f64_e32 v[68:69], v[44:45], v[26:27]
	v_add_f64 v[62:63], v[62:63], v[68:69]
	;; [unrolled: 3-line block ×3, first 2 shown]
	s_waitcnt vmcnt(33) lgkmcnt(2)
	v_mul_f64 v[64:65], v[54:55], v[18:19]
	v_add_f64 v[62:63], v[62:63], v[72:73]
	s_waitcnt vmcnt(32)
	v_fmac_f64_e32 v[64:65], v[56:57], v[20:21]
	v_add_f64 v[66:67], v[62:63], v[64:65]
	ds_read_b128 v[62:65], v1 offset:1440
	v_fma_f64 v[4:5], v[38:39], v[28:29], -v[4:5]
	v_add_f64 v[2:3], v[2:3], v[4:5]
	v_mul_f64 v[4:5], v[44:45], v[16:17]
	v_fma_f64 v[4:5], v[42:43], v[26:27], -v[4:5]
	s_waitcnt vmcnt(28) lgkmcnt(2)
	v_mul_f64 v[68:69], v[58:59], v[90:91]
	v_add_f64 v[2:3], v[2:3], v[4:5]
	v_mul_f64 v[4:5], v[48:49], v[12:13]
	s_waitcnt vmcnt(26)
	v_fmac_f64_e32 v[68:69], v[60:61], v[92:93]
	v_fma_f64 v[4:5], v[46:47], v[14:15], -v[4:5]
	v_add_f64 v[70:71], v[66:67], v[68:69]
	ds_read_b128 v[66:69], v1 offset:1456
	s_waitcnt vmcnt(25) lgkmcnt(1)
	v_mul_f64 v[72:73], v[62:63], v[86:87]
	v_add_f64 v[2:3], v[2:3], v[4:5]
	v_mul_f64 v[4:5], v[52:53], v[22:23]
	s_waitcnt vmcnt(24)
	v_fmac_f64_e32 v[72:73], v[64:65], v[88:89]
	v_fma_f64 v[4:5], v[50:51], v[24:25], -v[4:5]
	v_add_f64 v[74:75], v[70:71], v[72:73]
	ds_read_b128 v[70:73], v1 offset:1472
	v_add_f64 v[2:3], v[2:3], v[4:5]
	v_mul_f64 v[4:5], v[56:57], v[18:19]
	v_fma_f64 v[4:5], v[54:55], v[20:21], -v[4:5]
	v_add_f64 v[2:3], v[2:3], v[4:5]
	v_mul_f64 v[4:5], v[60:61], v[90:91]
	s_waitcnt vmcnt(20) lgkmcnt(1)
	v_mul_f64 v[76:77], v[66:67], v[98:99]
	v_fma_f64 v[4:5], v[58:59], v[92:93], -v[4:5]
	s_waitcnt vmcnt(18)
	v_fmac_f64_e32 v[76:77], v[68:69], v[100:101]
	v_add_f64 v[2:3], v[2:3], v[4:5]
	v_mul_f64 v[4:5], v[64:65], v[86:87]
	v_add_f64 v[78:79], v[74:75], v[76:77]
	ds_read_b128 v[74:77], v1 offset:1488
	s_waitcnt vmcnt(17) lgkmcnt(1)
	v_mul_f64 v[80:81], v[70:71], v[94:95]
	v_fma_f64 v[4:5], v[62:63], v[88:89], -v[4:5]
	s_waitcnt vmcnt(16)
	v_fmac_f64_e32 v[80:81], v[72:73], v[96:97]
	v_add_f64 v[2:3], v[2:3], v[4:5]
	v_mul_f64 v[4:5], v[68:69], v[98:99]
	v_add_f64 v[118:119], v[78:79], v[80:81]
	ds_read_b128 v[78:81], v1 offset:1504
	v_fma_f64 v[4:5], v[66:67], v[100:101], -v[4:5]
	v_add_f64 v[2:3], v[2:3], v[4:5]
	v_mul_f64 v[4:5], v[72:73], v[94:95]
	v_fma_f64 v[4:5], v[70:71], v[96:97], -v[4:5]
	v_add_f64 v[2:3], v[2:3], v[4:5]
	s_waitcnt vmcnt(12) lgkmcnt(1)
	v_mul_f64 v[4:5], v[76:77], v[106:107]
	v_mul_f64 v[120:121], v[74:75], v[106:107]
	s_waitcnt vmcnt(10)
	v_fma_f64 v[4:5], v[74:75], v[108:109], -v[4:5]
	v_fmac_f64_e32 v[120:121], v[76:77], v[108:109]
	v_add_f64 v[2:3], v[2:3], v[4:5]
	s_waitcnt vmcnt(9) lgkmcnt(0)
	v_mul_f64 v[4:5], v[80:81], v[102:103]
	v_add_f64 v[118:119], v[118:119], v[120:121]
	v_mul_f64 v[120:121], v[78:79], v[102:103]
	s_waitcnt vmcnt(8)
	v_fma_f64 v[4:5], v[78:79], v[104:105], -v[4:5]
	v_fmac_f64_e32 v[120:121], v[80:81], v[104:105]
	v_add_f64 v[2:3], v[2:3], v[4:5]
	s_waitcnt vmcnt(6)
	v_mul_f64 v[4:5], v[84:85], v[110:111]
	v_add_f64 v[118:119], v[118:119], v[120:121]
	v_mul_f64 v[120:121], v[82:83], v[110:111]
	s_waitcnt vmcnt(4)
	v_fma_f64 v[4:5], v[82:83], v[112:113], -v[4:5]
	v_fmac_f64_e32 v[120:121], v[84:85], v[112:113]
	v_add_f64 v[2:3], v[2:3], v[4:5]
	v_add_f64 v[118:119], v[118:119], v[120:121]
	s_waitcnt vmcnt(2)
	v_add_f64 v[2:3], v[114:115], -v[2:3]
	s_waitcnt vmcnt(0)
	v_add_f64 v[4:5], v[116:117], -v[118:119]
	buffer_store_dword v3, off, s[0:3], 0 offset:548
	buffer_store_dword v2, off, s[0:3], 0 offset:544
	;; [unrolled: 1-line block ×4, first 2 shown]
	s_and_saveexec_b64 s[4:5], vcc
	s_cbranch_execz .LBB47_237
; %bb.236:
	v_accvgpr_read_b32 v0, a111
	buffer_load_dword v2, v0, s[0:3], 0 offen
	buffer_load_dword v3, v0, s[0:3], 0 offen offset:4
	buffer_load_dword v4, v0, s[0:3], 0 offen offset:8
	;; [unrolled: 1-line block ×3, first 2 shown]
	v_mov_b32_e32 v0, 0
	v_accvgpr_read_b32 v1, a144
	buffer_store_dword v0, off, s[0:3], 0 offset:528
	buffer_store_dword v0, off, s[0:3], 0 offset:532
	;; [unrolled: 1-line block ×4, first 2 shown]
	s_waitcnt vmcnt(4)
	ds_write_b128 v1, v[2:5]
.LBB47_237:
	s_or_b64 exec, exec, s[4:5]
	s_waitcnt lgkmcnt(0)
	; wave barrier
	s_waitcnt lgkmcnt(0)
	buffer_load_dword v2, off, s[0:3], 0 offset:544
	buffer_load_dword v3, off, s[0:3], 0 offset:548
	;; [unrolled: 1-line block ×64, first 2 shown]
	v_mov_b32_e32 v1, 0
	ds_read_b128 v[38:41], v1 offset:1296
	ds_read_b128 v[42:45], v1 offset:1312
	;; [unrolled: 1-line block ×7, first 2 shown]
	v_cmp_lt_u32_e32 vcc, 31, v254
	s_waitcnt vmcnt(60) lgkmcnt(6)
	v_mul_f64 v[62:63], v[38:39], v[4:5]
	v_fmac_f64_e32 v[62:63], v[40:41], v[2:3]
	s_waitcnt vmcnt(58) lgkmcnt(5)
	v_mul_f64 v[64:65], v[42:43], v[6:7]
	v_add_f64 v[62:63], v[62:63], 0
	s_waitcnt vmcnt(56) lgkmcnt(4)
	v_mul_f64 v[66:67], v[46:47], v[8:9]
	v_mul_f64 v[4:5], v[40:41], v[4:5]
	s_waitcnt vmcnt(54) lgkmcnt(2)
	v_mul_f64 v[70:71], v[54:55], v[10:11]
	v_fma_f64 v[2:3], v[38:39], v[2:3], -v[4:5]
	v_mul_f64 v[4:5], v[44:45], v[6:7]
	s_waitcnt vmcnt(51)
	v_mul_f64 v[68:69], v[50:51], v[14:15]
	v_add_f64 v[2:3], v[2:3], 0
	s_waitcnt vmcnt(49)
	v_fmac_f64_e32 v[64:65], v[44:45], v[20:21]
	v_add_f64 v[62:63], v[62:63], v[64:65]
	s_waitcnt vmcnt(47)
	v_fmac_f64_e32 v[66:67], v[48:49], v[18:19]
	;; [unrolled: 3-line block ×4, first 2 shown]
	v_add_f64 v[66:67], v[62:63], v[70:71]
	ds_read_b128 v[62:65], v1 offset:1392
	s_waitcnt vmcnt(40) lgkmcnt(2)
	v_mul_f64 v[68:69], v[58:59], v[26:27]
	v_fma_f64 v[4:5], v[42:43], v[20:21], -v[4:5]
	s_waitcnt vmcnt(38)
	v_fmac_f64_e32 v[68:69], v[60:61], v[28:29]
	v_add_f64 v[70:71], v[66:67], v[68:69]
	ds_read_b128 v[66:69], v1 offset:1408
	s_waitcnt vmcnt(37) lgkmcnt(1)
	v_mul_f64 v[72:73], v[62:63], v[22:23]
	s_waitcnt vmcnt(36)
	v_fmac_f64_e32 v[72:73], v[64:65], v[24:25]
	v_add_f64 v[2:3], v[2:3], v[4:5]
	v_mul_f64 v[4:5], v[48:49], v[8:9]
	v_add_f64 v[74:75], v[70:71], v[72:73]
	ds_read_b128 v[70:73], v1 offset:1424
	s_waitcnt vmcnt(32) lgkmcnt(1)
	v_mul_f64 v[76:77], v[66:67], v[34:35]
	v_fma_f64 v[4:5], v[46:47], v[18:19], -v[4:5]
	s_waitcnt vmcnt(30)
	v_fmac_f64_e32 v[76:77], v[68:69], v[36:37]
	v_add_f64 v[2:3], v[2:3], v[4:5]
	v_mul_f64 v[4:5], v[52:53], v[14:15]
	v_add_f64 v[78:79], v[74:75], v[76:77]
	ds_read_b128 v[74:77], v1 offset:1440
	v_fma_f64 v[4:5], v[50:51], v[16:17], -v[4:5]
	v_add_f64 v[2:3], v[2:3], v[4:5]
	v_mul_f64 v[4:5], v[56:57], v[10:11]
	v_fma_f64 v[4:5], v[54:55], v[12:13], -v[4:5]
	s_waitcnt vmcnt(29) lgkmcnt(1)
	v_mul_f64 v[80:81], v[70:71], v[30:31]
	v_add_f64 v[2:3], v[2:3], v[4:5]
	v_mul_f64 v[4:5], v[60:61], v[26:27]
	s_waitcnt vmcnt(28)
	v_fmac_f64_e32 v[80:81], v[72:73], v[32:33]
	v_fma_f64 v[4:5], v[58:59], v[28:29], -v[4:5]
	v_add_f64 v[82:83], v[78:79], v[80:81]
	ds_read_b128 v[78:81], v1 offset:1456
	s_waitcnt vmcnt(24) lgkmcnt(1)
	v_mul_f64 v[84:85], v[74:75], v[102:103]
	v_add_f64 v[2:3], v[2:3], v[4:5]
	v_mul_f64 v[4:5], v[64:65], v[22:23]
	s_waitcnt vmcnt(22)
	v_fmac_f64_e32 v[84:85], v[76:77], v[104:105]
	v_fma_f64 v[4:5], v[62:63], v[24:25], -v[4:5]
	v_add_f64 v[86:87], v[82:83], v[84:85]
	ds_read_b128 v[82:85], v1 offset:1472
	v_add_f64 v[2:3], v[2:3], v[4:5]
	v_mul_f64 v[4:5], v[68:69], v[34:35]
	v_fma_f64 v[4:5], v[66:67], v[36:37], -v[4:5]
	v_add_f64 v[2:3], v[2:3], v[4:5]
	v_mul_f64 v[4:5], v[72:73], v[30:31]
	s_waitcnt vmcnt(21) lgkmcnt(1)
	v_mul_f64 v[88:89], v[78:79], v[98:99]
	v_fma_f64 v[4:5], v[70:71], v[32:33], -v[4:5]
	s_waitcnt vmcnt(20)
	v_fmac_f64_e32 v[88:89], v[80:81], v[100:101]
	v_add_f64 v[2:3], v[2:3], v[4:5]
	v_mul_f64 v[4:5], v[76:77], v[102:103]
	v_add_f64 v[90:91], v[86:87], v[88:89]
	ds_read_b128 v[86:89], v1 offset:1488
	s_waitcnt vmcnt(16) lgkmcnt(1)
	v_mul_f64 v[92:93], v[82:83], v[110:111]
	v_fma_f64 v[4:5], v[74:75], v[104:105], -v[4:5]
	s_waitcnt vmcnt(14)
	v_fmac_f64_e32 v[92:93], v[84:85], v[112:113]
	v_add_f64 v[2:3], v[2:3], v[4:5]
	v_mul_f64 v[4:5], v[80:81], v[98:99]
	v_add_f64 v[126:127], v[90:91], v[92:93]
	ds_read_b128 v[90:93], v1 offset:1504
	v_fma_f64 v[4:5], v[78:79], v[100:101], -v[4:5]
	v_add_f64 v[2:3], v[2:3], v[4:5]
	v_mul_f64 v[4:5], v[84:85], v[110:111]
	v_fma_f64 v[4:5], v[82:83], v[112:113], -v[4:5]
	v_add_f64 v[2:3], v[2:3], v[4:5]
	s_waitcnt vmcnt(13) lgkmcnt(1)
	v_mul_f64 v[4:5], v[88:89], v[106:107]
	v_mul_f64 v[128:129], v[86:87], v[106:107]
	s_waitcnt vmcnt(12)
	v_fma_f64 v[4:5], v[86:87], v[108:109], -v[4:5]
	v_fmac_f64_e32 v[128:129], v[88:89], v[108:109]
	v_add_f64 v[2:3], v[2:3], v[4:5]
	s_waitcnt vmcnt(8) lgkmcnt(0)
	v_mul_f64 v[4:5], v[92:93], v[118:119]
	v_add_f64 v[126:127], v[126:127], v[128:129]
	v_mul_f64 v[128:129], v[90:91], v[118:119]
	s_waitcnt vmcnt(6)
	v_fma_f64 v[4:5], v[90:91], v[120:121], -v[4:5]
	v_fmac_f64_e32 v[128:129], v[92:93], v[120:121]
	v_add_f64 v[2:3], v[2:3], v[4:5]
	s_waitcnt vmcnt(5)
	v_mul_f64 v[4:5], v[96:97], v[114:115]
	v_add_f64 v[126:127], v[126:127], v[128:129]
	v_mul_f64 v[128:129], v[94:95], v[114:115]
	s_waitcnt vmcnt(4)
	v_fma_f64 v[4:5], v[94:95], v[116:117], -v[4:5]
	v_fmac_f64_e32 v[128:129], v[96:97], v[116:117]
	v_add_f64 v[2:3], v[2:3], v[4:5]
	v_add_f64 v[126:127], v[126:127], v[128:129]
	s_waitcnt vmcnt(2)
	v_add_f64 v[2:3], v[122:123], -v[2:3]
	s_waitcnt vmcnt(0)
	v_add_f64 v[4:5], v[124:125], -v[126:127]
	buffer_store_dword v3, off, s[0:3], 0 offset:532
	buffer_store_dword v2, off, s[0:3], 0 offset:528
	buffer_store_dword v5, off, s[0:3], 0 offset:540
	buffer_store_dword v4, off, s[0:3], 0 offset:536
	s_and_saveexec_b64 s[4:5], vcc
	s_cbranch_execz .LBB47_239
; %bb.238:
	v_accvgpr_read_b32 v0, a112
	buffer_load_dword v2, v0, s[0:3], 0 offen
	buffer_load_dword v3, v0, s[0:3], 0 offen offset:4
	buffer_load_dword v4, v0, s[0:3], 0 offen offset:8
	;; [unrolled: 1-line block ×3, first 2 shown]
	v_accvgpr_read_b32 v0, a144
	buffer_store_dword v1, off, s[0:3], 0 offset:512
	buffer_store_dword v1, off, s[0:3], 0 offset:516
	;; [unrolled: 1-line block ×4, first 2 shown]
	s_waitcnt vmcnt(4)
	ds_write_b128 v0, v[2:5]
.LBB47_239:
	s_or_b64 exec, exec, s[4:5]
	s_waitcnt lgkmcnt(0)
	; wave barrier
	s_waitcnt lgkmcnt(0)
	buffer_load_dword v2, off, s[0:3], 0 offset:528
	buffer_load_dword v3, off, s[0:3], 0 offset:532
	;; [unrolled: 1-line block ×64, first 2 shown]
	ds_read_b128 v[46:49], v1 offset:1280
	ds_read_b128 v[50:53], v1 offset:1296
	;; [unrolled: 1-line block ×4, first 2 shown]
	buffer_load_dword v130, off, s[0:3], 0 offset:512
	buffer_load_dword v131, off, s[0:3], 0 offset:516
	;; [unrolled: 1-line block ×4, first 2 shown]
	v_cmp_lt_u32_e32 vcc, 30, v254
	ds_read_b128 v[106:109], v1 offset:1520
	s_waitcnt vmcnt(62) lgkmcnt(4)
	v_mul_f64 v[62:63], v[46:47], v[4:5]
	v_fmac_f64_e32 v[62:63], v[48:49], v[2:3]
	v_add_f64 v[62:63], v[62:63], 0
	s_waitcnt lgkmcnt(2)
	v_mul_f64 v[66:67], v[54:55], v[6:7]
	v_mul_f64 v[4:5], v[48:49], v[4:5]
	v_fma_f64 v[2:3], v[46:47], v[2:3], -v[4:5]
	s_waitcnt vmcnt(58) lgkmcnt(1)
	v_mul_f64 v[68:69], v[58:59], v[12:13]
	v_add_f64 v[2:3], v[2:3], 0
	s_waitcnt vmcnt(56)
	v_mul_f64 v[64:65], v[50:51], v[18:19]
	v_mul_f64 v[4:5], v[52:53], v[18:19]
	s_waitcnt vmcnt(53)
	v_fmac_f64_e32 v[66:67], v[56:57], v[16:17]
	s_waitcnt vmcnt(52)
	v_fmac_f64_e32 v[64:65], v[52:53], v[20:21]
	v_add_f64 v[70:71], v[62:63], v[64:65]
	ds_read_b128 v[62:65], v1 offset:1344
	v_add_f64 v[66:67], v[70:71], v[66:67]
	s_waitcnt vmcnt(50)
	v_fmac_f64_e32 v[68:69], v[60:61], v[14:15]
	v_add_f64 v[70:71], v[66:67], v[68:69]
	ds_read_b128 v[66:69], v1 offset:1360
	s_waitcnt vmcnt(49) lgkmcnt(1)
	v_mul_f64 v[72:73], v[62:63], v[8:9]
	s_waitcnt vmcnt(48)
	v_fmac_f64_e32 v[72:73], v[64:65], v[10:11]
	v_add_f64 v[74:75], v[70:71], v[72:73]
	ds_read_b128 v[70:73], v1 offset:1376
	s_waitcnt vmcnt(44) lgkmcnt(1)
	v_mul_f64 v[76:77], v[66:67], v[26:27]
	;; [unrolled: 6-line block ×3, first 2 shown]
	s_waitcnt vmcnt(40)
	v_fmac_f64_e32 v[80:81], v[72:73], v[24:25]
	v_add_f64 v[82:83], v[78:79], v[80:81]
	ds_read_b128 v[78:81], v1 offset:1408
	v_fma_f64 v[4:5], v[50:51], v[20:21], -v[4:5]
	v_add_f64 v[2:3], v[2:3], v[4:5]
	v_mul_f64 v[4:5], v[56:57], v[6:7]
	s_waitcnt vmcnt(36) lgkmcnt(1)
	v_mul_f64 v[84:85], v[74:75], v[34:35]
	v_fma_f64 v[4:5], v[54:55], v[16:17], -v[4:5]
	s_waitcnt vmcnt(34)
	v_fmac_f64_e32 v[84:85], v[76:77], v[36:37]
	v_add_f64 v[2:3], v[2:3], v[4:5]
	v_mul_f64 v[4:5], v[60:61], v[12:13]
	v_add_f64 v[86:87], v[82:83], v[84:85]
	ds_read_b128 v[82:85], v1 offset:1424
	s_waitcnt vmcnt(33) lgkmcnt(1)
	v_mul_f64 v[88:89], v[78:79], v[30:31]
	v_fma_f64 v[4:5], v[58:59], v[14:15], -v[4:5]
	s_waitcnt vmcnt(32)
	v_fmac_f64_e32 v[88:89], v[80:81], v[32:33]
	v_add_f64 v[2:3], v[2:3], v[4:5]
	v_mul_f64 v[4:5], v[64:65], v[8:9]
	v_add_f64 v[90:91], v[86:87], v[88:89]
	ds_read_b128 v[86:89], v1 offset:1440
	v_fma_f64 v[4:5], v[62:63], v[10:11], -v[4:5]
	v_add_f64 v[2:3], v[2:3], v[4:5]
	v_mul_f64 v[4:5], v[68:69], v[26:27]
	v_fma_f64 v[4:5], v[66:67], v[28:29], -v[4:5]
	s_waitcnt vmcnt(28) lgkmcnt(1)
	v_mul_f64 v[92:93], v[82:83], v[42:43]
	v_add_f64 v[2:3], v[2:3], v[4:5]
	v_mul_f64 v[4:5], v[72:73], v[22:23]
	s_waitcnt vmcnt(26)
	v_fmac_f64_e32 v[92:93], v[84:85], v[44:45]
	v_fma_f64 v[4:5], v[70:71], v[24:25], -v[4:5]
	v_add_f64 v[94:95], v[90:91], v[92:93]
	ds_read_b128 v[90:93], v1 offset:1456
	s_waitcnt vmcnt(25) lgkmcnt(1)
	v_mul_f64 v[96:97], v[86:87], v[38:39]
	v_add_f64 v[2:3], v[2:3], v[4:5]
	v_mul_f64 v[4:5], v[76:77], v[34:35]
	s_waitcnt vmcnt(24)
	v_fmac_f64_e32 v[96:97], v[88:89], v[40:41]
	v_fma_f64 v[4:5], v[74:75], v[36:37], -v[4:5]
	v_add_f64 v[98:99], v[94:95], v[96:97]
	ds_read_b128 v[94:97], v1 offset:1472
	v_add_f64 v[2:3], v[2:3], v[4:5]
	v_mul_f64 v[4:5], v[80:81], v[30:31]
	v_fma_f64 v[4:5], v[78:79], v[32:33], -v[4:5]
	v_add_f64 v[2:3], v[2:3], v[4:5]
	v_mul_f64 v[4:5], v[84:85], v[42:43]
	s_waitcnt vmcnt(20) lgkmcnt(1)
	v_mul_f64 v[100:101], v[90:91], v[114:115]
	v_fma_f64 v[4:5], v[82:83], v[44:45], -v[4:5]
	s_waitcnt vmcnt(18)
	v_fmac_f64_e32 v[100:101], v[92:93], v[116:117]
	v_add_f64 v[2:3], v[2:3], v[4:5]
	v_mul_f64 v[4:5], v[88:89], v[38:39]
	v_add_f64 v[102:103], v[98:99], v[100:101]
	ds_read_b128 v[98:101], v1 offset:1488
	s_waitcnt vmcnt(17) lgkmcnt(1)
	v_mul_f64 v[104:105], v[94:95], v[110:111]
	v_fma_f64 v[4:5], v[86:87], v[40:41], -v[4:5]
	s_waitcnt vmcnt(16)
	v_fmac_f64_e32 v[104:105], v[96:97], v[112:113]
	v_add_f64 v[2:3], v[2:3], v[4:5]
	v_mul_f64 v[4:5], v[92:93], v[114:115]
	v_add_f64 v[134:135], v[102:103], v[104:105]
	ds_read_b128 v[102:105], v1 offset:1504
	v_fma_f64 v[4:5], v[90:91], v[116:117], -v[4:5]
	v_add_f64 v[2:3], v[2:3], v[4:5]
	v_mul_f64 v[4:5], v[96:97], v[110:111]
	v_fma_f64 v[4:5], v[94:95], v[112:113], -v[4:5]
	v_add_f64 v[2:3], v[2:3], v[4:5]
	s_waitcnt vmcnt(12) lgkmcnt(1)
	v_mul_f64 v[4:5], v[100:101], v[122:123]
	v_mul_f64 v[136:137], v[98:99], v[122:123]
	s_waitcnt vmcnt(10)
	v_fma_f64 v[4:5], v[98:99], v[124:125], -v[4:5]
	v_fmac_f64_e32 v[136:137], v[100:101], v[124:125]
	v_add_f64 v[2:3], v[2:3], v[4:5]
	s_waitcnt vmcnt(9) lgkmcnt(0)
	v_mul_f64 v[4:5], v[104:105], v[118:119]
	v_add_f64 v[134:135], v[134:135], v[136:137]
	v_mul_f64 v[136:137], v[102:103], v[118:119]
	s_waitcnt vmcnt(8)
	v_fma_f64 v[4:5], v[102:103], v[120:121], -v[4:5]
	v_fmac_f64_e32 v[136:137], v[104:105], v[120:121]
	v_add_f64 v[2:3], v[2:3], v[4:5]
	s_waitcnt vmcnt(6)
	v_mul_f64 v[4:5], v[108:109], v[126:127]
	v_add_f64 v[134:135], v[134:135], v[136:137]
	v_mul_f64 v[136:137], v[106:107], v[126:127]
	s_waitcnt vmcnt(4)
	v_fma_f64 v[4:5], v[106:107], v[128:129], -v[4:5]
	v_fmac_f64_e32 v[136:137], v[108:109], v[128:129]
	v_add_f64 v[2:3], v[2:3], v[4:5]
	v_add_f64 v[134:135], v[134:135], v[136:137]
	s_waitcnt vmcnt(2)
	v_add_f64 v[2:3], v[130:131], -v[2:3]
	s_waitcnt vmcnt(0)
	v_add_f64 v[4:5], v[132:133], -v[134:135]
	buffer_store_dword v3, off, s[0:3], 0 offset:516
	buffer_store_dword v2, off, s[0:3], 0 offset:512
	;; [unrolled: 1-line block ×4, first 2 shown]
	s_and_saveexec_b64 s[4:5], vcc
	s_cbranch_execz .LBB47_241
; %bb.240:
	v_accvgpr_read_b32 v0, a113
	buffer_load_dword v2, v0, s[0:3], 0 offen
	buffer_load_dword v3, v0, s[0:3], 0 offen offset:4
	buffer_load_dword v4, v0, s[0:3], 0 offen offset:8
	;; [unrolled: 1-line block ×3, first 2 shown]
	v_mov_b32_e32 v0, 0
	v_accvgpr_read_b32 v1, a144
	buffer_store_dword v0, off, s[0:3], 0 offset:496
	buffer_store_dword v0, off, s[0:3], 0 offset:500
	;; [unrolled: 1-line block ×4, first 2 shown]
	s_waitcnt vmcnt(4)
	ds_write_b128 v1, v[2:5]
.LBB47_241:
	s_or_b64 exec, exec, s[4:5]
	s_waitcnt lgkmcnt(0)
	; wave barrier
	s_waitcnt lgkmcnt(0)
	buffer_load_dword v2, off, s[0:3], 0 offset:512
	buffer_load_dword v3, off, s[0:3], 0 offset:516
	;; [unrolled: 1-line block ×68, first 2 shown]
	v_mov_b32_e32 v1, 0
	buffer_load_dword v138, off, s[0:3], 0 offset:496
	buffer_load_dword v139, off, s[0:3], 0 offset:500
	;; [unrolled: 1-line block ×3, first 2 shown]
	ds_read_b128 v[46:49], v1 offset:1264
	ds_read_b128 v[50:53], v1 offset:1280
	buffer_load_dword v141, off, s[0:3], 0 offset:508
	ds_read_b128 v[54:57], v1 offset:1296
	ds_read_b128 v[58:61], v1 offset:1312
	;; [unrolled: 1-line block ×3, first 2 shown]
	v_cmp_lt_u32_e32 vcc, 29, v254
	s_waitcnt vmcnt(62) lgkmcnt(4)
	v_mul_f64 v[62:63], v[46:47], v[6:7]
	v_fmac_f64_e32 v[62:63], v[48:49], v[2:3]
	v_add_f64 v[62:63], v[62:63], 0
	v_mul_f64 v[6:7], v[48:49], v[6:7]
	s_waitcnt lgkmcnt(3)
	v_mul_f64 v[64:65], v[50:51], v[10:11]
	v_fmac_f64_e32 v[64:65], v[52:53], v[4:5]
	v_add_f64 v[62:63], v[62:63], v[64:65]
	v_fma_f64 v[2:3], v[46:47], v[2:3], -v[6:7]
	s_waitcnt vmcnt(60) lgkmcnt(2)
	v_mul_f64 v[64:65], v[54:55], v[12:13]
	v_fmac_f64_e32 v[64:65], v[56:57], v[8:9]
	v_add_f64 v[66:67], v[62:63], v[64:65]
	ds_read_b128 v[62:65], v1 offset:1328
	s_waitcnt vmcnt(56) lgkmcnt(2)
	v_mul_f64 v[68:69], v[58:59], v[18:19]
	v_mul_f64 v[6:7], v[52:53], v[10:11]
	s_waitcnt vmcnt(54)
	v_fmac_f64_e32 v[68:69], v[60:61], v[20:21]
	v_add_f64 v[70:71], v[66:67], v[68:69]
	ds_read_b128 v[66:69], v1 offset:1344
	s_waitcnt vmcnt(53) lgkmcnt(1)
	v_mul_f64 v[72:73], v[62:63], v[14:15]
	s_waitcnt vmcnt(52)
	v_fmac_f64_e32 v[72:73], v[64:65], v[16:17]
	v_add_f64 v[74:75], v[70:71], v[72:73]
	ds_read_b128 v[70:73], v1 offset:1360
	s_waitcnt vmcnt(48) lgkmcnt(1)
	;; [unrolled: 6-line block ×4, first 2 shown]
	v_mul_f64 v[84:85], v[74:75], v[34:35]
	s_waitcnt vmcnt(38)
	v_fmac_f64_e32 v[84:85], v[76:77], v[36:37]
	v_add_f64 v[2:3], v[2:3], 0
	v_fma_f64 v[4:5], v[50:51], v[4:5], -v[6:7]
	v_add_f64 v[86:87], v[82:83], v[84:85]
	ds_read_b128 v[82:85], v1 offset:1408
	v_add_f64 v[2:3], v[2:3], v[4:5]
	v_mul_f64 v[4:5], v[56:57], v[12:13]
	v_fma_f64 v[4:5], v[54:55], v[8:9], -v[4:5]
	v_add_f64 v[2:3], v[2:3], v[4:5]
	v_mul_f64 v[4:5], v[60:61], v[18:19]
	s_waitcnt vmcnt(37) lgkmcnt(1)
	v_mul_f64 v[88:89], v[78:79], v[30:31]
	v_fma_f64 v[4:5], v[58:59], v[20:21], -v[4:5]
	s_waitcnt vmcnt(36)
	v_fmac_f64_e32 v[88:89], v[80:81], v[32:33]
	v_add_f64 v[2:3], v[2:3], v[4:5]
	v_mul_f64 v[4:5], v[64:65], v[14:15]
	v_add_f64 v[90:91], v[86:87], v[88:89]
	ds_read_b128 v[86:89], v1 offset:1424
	s_waitcnt vmcnt(32) lgkmcnt(1)
	v_mul_f64 v[92:93], v[82:83], v[42:43]
	v_fma_f64 v[4:5], v[62:63], v[16:17], -v[4:5]
	s_waitcnt vmcnt(30)
	v_fmac_f64_e32 v[92:93], v[84:85], v[44:45]
	v_add_f64 v[2:3], v[2:3], v[4:5]
	v_mul_f64 v[4:5], v[68:69], v[26:27]
	v_add_f64 v[94:95], v[90:91], v[92:93]
	ds_read_b128 v[90:93], v1 offset:1440
	v_fma_f64 v[4:5], v[66:67], v[28:29], -v[4:5]
	v_add_f64 v[2:3], v[2:3], v[4:5]
	v_mul_f64 v[4:5], v[72:73], v[22:23]
	v_fma_f64 v[4:5], v[70:71], v[24:25], -v[4:5]
	s_waitcnt vmcnt(29) lgkmcnt(1)
	v_mul_f64 v[96:97], v[86:87], v[38:39]
	v_add_f64 v[2:3], v[2:3], v[4:5]
	v_mul_f64 v[4:5], v[76:77], v[34:35]
	s_waitcnt vmcnt(28)
	v_fmac_f64_e32 v[96:97], v[88:89], v[40:41]
	v_fma_f64 v[4:5], v[74:75], v[36:37], -v[4:5]
	v_add_f64 v[98:99], v[94:95], v[96:97]
	ds_read_b128 v[94:97], v1 offset:1456
	s_waitcnt vmcnt(24) lgkmcnt(1)
	v_mul_f64 v[100:101], v[90:91], v[118:119]
	v_add_f64 v[2:3], v[2:3], v[4:5]
	v_mul_f64 v[4:5], v[80:81], v[30:31]
	s_waitcnt vmcnt(22)
	v_fmac_f64_e32 v[100:101], v[92:93], v[120:121]
	v_fma_f64 v[4:5], v[78:79], v[32:33], -v[4:5]
	v_add_f64 v[102:103], v[98:99], v[100:101]
	ds_read_b128 v[98:101], v1 offset:1472
	v_add_f64 v[2:3], v[2:3], v[4:5]
	v_mul_f64 v[4:5], v[84:85], v[42:43]
	v_fma_f64 v[4:5], v[82:83], v[44:45], -v[4:5]
	v_add_f64 v[2:3], v[2:3], v[4:5]
	v_mul_f64 v[4:5], v[88:89], v[38:39]
	s_waitcnt vmcnt(21) lgkmcnt(1)
	v_mul_f64 v[104:105], v[94:95], v[114:115]
	v_fma_f64 v[4:5], v[86:87], v[40:41], -v[4:5]
	s_waitcnt vmcnt(20)
	v_fmac_f64_e32 v[104:105], v[96:97], v[116:117]
	v_add_f64 v[2:3], v[2:3], v[4:5]
	v_mul_f64 v[4:5], v[92:93], v[118:119]
	v_add_f64 v[106:107], v[102:103], v[104:105]
	ds_read_b128 v[102:105], v1 offset:1488
	s_waitcnt vmcnt(16) lgkmcnt(1)
	v_mul_f64 v[108:109], v[98:99], v[126:127]
	v_fma_f64 v[4:5], v[90:91], v[120:121], -v[4:5]
	s_waitcnt vmcnt(14)
	v_fmac_f64_e32 v[108:109], v[100:101], v[128:129]
	v_add_f64 v[2:3], v[2:3], v[4:5]
	v_mul_f64 v[4:5], v[96:97], v[114:115]
	v_add_f64 v[142:143], v[106:107], v[108:109]
	ds_read_b128 v[106:109], v1 offset:1504
	v_fma_f64 v[4:5], v[94:95], v[116:117], -v[4:5]
	v_add_f64 v[2:3], v[2:3], v[4:5]
	v_mul_f64 v[4:5], v[100:101], v[126:127]
	v_fma_f64 v[4:5], v[98:99], v[128:129], -v[4:5]
	v_add_f64 v[2:3], v[2:3], v[4:5]
	s_waitcnt vmcnt(13) lgkmcnt(1)
	v_mul_f64 v[4:5], v[104:105], v[122:123]
	v_mul_f64 v[144:145], v[102:103], v[122:123]
	s_waitcnt vmcnt(12)
	v_fma_f64 v[4:5], v[102:103], v[124:125], -v[4:5]
	v_fmac_f64_e32 v[144:145], v[104:105], v[124:125]
	v_add_f64 v[2:3], v[2:3], v[4:5]
	s_waitcnt vmcnt(8) lgkmcnt(0)
	v_mul_f64 v[4:5], v[108:109], v[134:135]
	v_add_f64 v[142:143], v[142:143], v[144:145]
	v_mul_f64 v[144:145], v[106:107], v[134:135]
	s_waitcnt vmcnt(6)
	v_fma_f64 v[4:5], v[106:107], v[136:137], -v[4:5]
	v_fmac_f64_e32 v[144:145], v[108:109], v[136:137]
	v_add_f64 v[2:3], v[2:3], v[4:5]
	s_waitcnt vmcnt(5)
	v_mul_f64 v[4:5], v[112:113], v[130:131]
	v_add_f64 v[142:143], v[142:143], v[144:145]
	v_mul_f64 v[144:145], v[110:111], v[130:131]
	s_waitcnt vmcnt(4)
	v_fma_f64 v[4:5], v[110:111], v[132:133], -v[4:5]
	v_fmac_f64_e32 v[144:145], v[112:113], v[132:133]
	v_add_f64 v[2:3], v[2:3], v[4:5]
	v_add_f64 v[142:143], v[142:143], v[144:145]
	s_waitcnt vmcnt(2)
	v_add_f64 v[2:3], v[138:139], -v[2:3]
	s_waitcnt vmcnt(0)
	v_add_f64 v[4:5], v[140:141], -v[142:143]
	buffer_store_dword v3, off, s[0:3], 0 offset:500
	buffer_store_dword v2, off, s[0:3], 0 offset:496
	;; [unrolled: 1-line block ×4, first 2 shown]
	s_and_saveexec_b64 s[4:5], vcc
	s_cbranch_execz .LBB47_243
; %bb.242:
	v_accvgpr_read_b32 v0, a114
	buffer_load_dword v2, v0, s[0:3], 0 offen
	buffer_load_dword v3, v0, s[0:3], 0 offen offset:4
	buffer_load_dword v4, v0, s[0:3], 0 offen offset:8
	;; [unrolled: 1-line block ×3, first 2 shown]
	v_accvgpr_read_b32 v0, a144
	buffer_store_dword v1, off, s[0:3], 0 offset:480
	buffer_store_dword v1, off, s[0:3], 0 offset:484
	;; [unrolled: 1-line block ×4, first 2 shown]
	s_waitcnt vmcnt(4)
	ds_write_b128 v0, v[2:5]
.LBB47_243:
	s_or_b64 exec, exec, s[4:5]
	s_waitcnt lgkmcnt(0)
	; wave barrier
	s_waitcnt lgkmcnt(0)
	buffer_load_dword v2, off, s[0:3], 0 offset:496
	buffer_load_dword v3, off, s[0:3], 0 offset:500
	buffer_load_dword v8, off, s[0:3], 0 offset:504
	buffer_load_dword v9, off, s[0:3], 0 offset:508
	buffer_load_dword v4, off, s[0:3], 0 offset:512
	buffer_load_dword v5, off, s[0:3], 0 offset:516
	buffer_load_dword v10, off, s[0:3], 0 offset:520
	buffer_load_dword v11, off, s[0:3], 0 offset:524
	buffer_load_dword v6, off, s[0:3], 0 offset:528
	buffer_load_dword v7, off, s[0:3], 0 offset:532
	buffer_load_dword v12, off, s[0:3], 0 offset:536
	buffer_load_dword v13, off, s[0:3], 0 offset:540
	buffer_load_dword v15, off, s[0:3], 0 offset:572
	buffer_load_dword v17, off, s[0:3], 0 offset:564
	buffer_load_dword v19, off, s[0:3], 0 offset:556
	buffer_load_dword v18, off, s[0:3], 0 offset:552
	buffer_load_dword v21, off, s[0:3], 0 offset:548
	buffer_load_dword v20, off, s[0:3], 0 offset:544
	buffer_load_dword v14, off, s[0:3], 0 offset:568
	buffer_load_dword v16, off, s[0:3], 0 offset:560
	buffer_load_dword v23, off, s[0:3], 0 offset:604
	buffer_load_dword v25, off, s[0:3], 0 offset:596
	buffer_load_dword v27, off, s[0:3], 0 offset:588
	buffer_load_dword v26, off, s[0:3], 0 offset:584
	buffer_load_dword v29, off, s[0:3], 0 offset:580
	buffer_load_dword v28, off, s[0:3], 0 offset:576
	buffer_load_dword v22, off, s[0:3], 0 offset:600
	buffer_load_dword v24, off, s[0:3], 0 offset:592
	buffer_load_dword v31, off, s[0:3], 0 offset:636
	buffer_load_dword v33, off, s[0:3], 0 offset:628
	buffer_load_dword v35, off, s[0:3], 0 offset:620
	buffer_load_dword v34, off, s[0:3], 0 offset:616
	buffer_load_dword v37, off, s[0:3], 0 offset:612
	buffer_load_dword v36, off, s[0:3], 0 offset:608
	buffer_load_dword v30, off, s[0:3], 0 offset:632
	buffer_load_dword v32, off, s[0:3], 0 offset:624
	buffer_load_dword v39, off, s[0:3], 0 offset:668
	buffer_load_dword v41, off, s[0:3], 0 offset:660
	buffer_load_dword v43, off, s[0:3], 0 offset:652
	buffer_load_dword v42, off, s[0:3], 0 offset:648
	buffer_load_dword v45, off, s[0:3], 0 offset:644
	buffer_load_dword v44, off, s[0:3], 0 offset:640
	buffer_load_dword v38, off, s[0:3], 0 offset:664
	buffer_load_dword v40, off, s[0:3], 0 offset:656
	buffer_load_dword v47, off, s[0:3], 0 offset:700
	buffer_load_dword v49, off, s[0:3], 0 offset:692
	buffer_load_dword v51, off, s[0:3], 0 offset:684
	buffer_load_dword v50, off, s[0:3], 0 offset:680
	buffer_load_dword v125, off, s[0:3], 0 offset:676
	buffer_load_dword v124, off, s[0:3], 0 offset:672
	buffer_load_dword v46, off, s[0:3], 0 offset:696
	buffer_load_dword v48, off, s[0:3], 0 offset:688
	buffer_load_dword v127, off, s[0:3], 0 offset:732
	buffer_load_dword v129, off, s[0:3], 0 offset:724
	buffer_load_dword v131, off, s[0:3], 0 offset:716
	buffer_load_dword v130, off, s[0:3], 0 offset:712
	buffer_load_dword v133, off, s[0:3], 0 offset:708
	buffer_load_dword v132, off, s[0:3], 0 offset:704
	buffer_load_dword v126, off, s[0:3], 0 offset:728
	buffer_load_dword v128, off, s[0:3], 0 offset:720
	buffer_load_dword v135, off, s[0:3], 0 offset:764
	buffer_load_dword v137, off, s[0:3], 0 offset:756
	buffer_load_dword v139, off, s[0:3], 0 offset:748
	buffer_load_dword v138, off, s[0:3], 0 offset:744
	buffer_load_dword v141, off, s[0:3], 0 offset:740
	buffer_load_dword v140, off, s[0:3], 0 offset:736
	buffer_load_dword v134, off, s[0:3], 0 offset:760
	buffer_load_dword v136, off, s[0:3], 0 offset:752
	buffer_load_dword v143, off, s[0:3], 0 offset:780
	buffer_load_dword v142, off, s[0:3], 0 offset:776
	buffer_load_dword v145, off, s[0:3], 0 offset:772
	buffer_load_dword v144, off, s[0:3], 0 offset:768
	ds_read_b128 v[52:55], v1 offset:1248
	buffer_load_dword v146, off, s[0:3], 0 offset:480
	buffer_load_dword v147, off, s[0:3], 0 offset:484
	;; [unrolled: 1-line block ×4, first 2 shown]
	ds_read_b128 v[56:59], v1 offset:1264
	ds_read_b128 v[60:63], v1 offset:1280
	;; [unrolled: 1-line block ×3, first 2 shown]
	v_cmp_lt_u32_e32 vcc, 28, v254
	ds_read_b128 v[120:123], v1 offset:1520
	s_waitcnt vmcnt(62) lgkmcnt(4)
	v_mul_f64 v[68:69], v[52:53], v[8:9]
	v_fmac_f64_e32 v[68:69], v[54:55], v[2:3]
	v_add_f64 v[68:69], v[68:69], 0
	v_mul_f64 v[8:9], v[54:55], v[8:9]
	s_waitcnt lgkmcnt(3)
	v_mul_f64 v[70:71], v[56:57], v[10:11]
	v_fmac_f64_e32 v[70:71], v[58:59], v[4:5]
	v_add_f64 v[68:69], v[68:69], v[70:71]
	v_fma_f64 v[2:3], v[52:53], v[2:3], -v[8:9]
	s_waitcnt lgkmcnt(2)
	v_mul_f64 v[70:71], v[60:61], v[12:13]
	v_fmac_f64_e32 v[70:71], v[62:63], v[6:7]
	v_add_f64 v[72:73], v[68:69], v[70:71]
	ds_read_b128 v[68:71], v1 offset:1312
	s_waitcnt vmcnt(60) lgkmcnt(2)
	v_mul_f64 v[74:75], v[64:65], v[18:19]
	v_mul_f64 v[8:9], v[58:59], v[10:11]
	s_waitcnt vmcnt(58)
	v_fmac_f64_e32 v[74:75], v[66:67], v[20:21]
	v_add_f64 v[76:77], v[72:73], v[74:75]
	ds_read_b128 v[72:75], v1 offset:1328
	s_waitcnt vmcnt(57) lgkmcnt(1)
	v_mul_f64 v[78:79], v[68:69], v[14:15]
	s_waitcnt vmcnt(56)
	v_fmac_f64_e32 v[78:79], v[70:71], v[16:17]
	v_add_f64 v[80:81], v[76:77], v[78:79]
	ds_read_b128 v[76:79], v1 offset:1344
	s_waitcnt vmcnt(52) lgkmcnt(1)
	;; [unrolled: 6-line block ×4, first 2 shown]
	v_mul_f64 v[90:91], v[80:81], v[34:35]
	s_waitcnt vmcnt(42)
	v_fmac_f64_e32 v[90:91], v[82:83], v[36:37]
	v_add_f64 v[2:3], v[2:3], 0
	v_fma_f64 v[4:5], v[56:57], v[4:5], -v[8:9]
	v_add_f64 v[92:93], v[88:89], v[90:91]
	ds_read_b128 v[88:91], v1 offset:1392
	s_waitcnt vmcnt(41) lgkmcnt(1)
	v_mul_f64 v[94:95], v[84:85], v[30:31]
	v_add_f64 v[2:3], v[2:3], v[4:5]
	v_mul_f64 v[4:5], v[62:63], v[12:13]
	s_waitcnt vmcnt(40)
	v_fmac_f64_e32 v[94:95], v[86:87], v[32:33]
	v_fma_f64 v[4:5], v[60:61], v[6:7], -v[4:5]
	v_add_f64 v[96:97], v[92:93], v[94:95]
	ds_read_b128 v[92:95], v1 offset:1408
	v_add_f64 v[2:3], v[2:3], v[4:5]
	v_mul_f64 v[4:5], v[66:67], v[18:19]
	v_fma_f64 v[4:5], v[64:65], v[20:21], -v[4:5]
	v_add_f64 v[2:3], v[2:3], v[4:5]
	v_mul_f64 v[4:5], v[70:71], v[14:15]
	s_waitcnt vmcnt(36) lgkmcnt(1)
	v_mul_f64 v[98:99], v[88:89], v[42:43]
	v_fma_f64 v[4:5], v[68:69], v[16:17], -v[4:5]
	s_waitcnt vmcnt(34)
	v_fmac_f64_e32 v[98:99], v[90:91], v[44:45]
	v_add_f64 v[2:3], v[2:3], v[4:5]
	v_mul_f64 v[4:5], v[74:75], v[26:27]
	v_add_f64 v[100:101], v[96:97], v[98:99]
	ds_read_b128 v[96:99], v1 offset:1424
	s_waitcnt vmcnt(33) lgkmcnt(1)
	v_mul_f64 v[102:103], v[92:93], v[38:39]
	v_fma_f64 v[4:5], v[72:73], v[28:29], -v[4:5]
	s_waitcnt vmcnt(32)
	v_fmac_f64_e32 v[102:103], v[94:95], v[40:41]
	v_add_f64 v[2:3], v[2:3], v[4:5]
	v_mul_f64 v[4:5], v[78:79], v[22:23]
	v_add_f64 v[104:105], v[100:101], v[102:103]
	ds_read_b128 v[100:103], v1 offset:1440
	v_fma_f64 v[4:5], v[76:77], v[24:25], -v[4:5]
	v_add_f64 v[2:3], v[2:3], v[4:5]
	v_mul_f64 v[4:5], v[82:83], v[34:35]
	v_fma_f64 v[4:5], v[80:81], v[36:37], -v[4:5]
	s_waitcnt vmcnt(28) lgkmcnt(1)
	v_mul_f64 v[106:107], v[96:97], v[50:51]
	v_add_f64 v[2:3], v[2:3], v[4:5]
	v_mul_f64 v[4:5], v[86:87], v[30:31]
	s_waitcnt vmcnt(26)
	v_fmac_f64_e32 v[106:107], v[98:99], v[124:125]
	v_fma_f64 v[4:5], v[84:85], v[32:33], -v[4:5]
	v_add_f64 v[108:109], v[104:105], v[106:107]
	ds_read_b128 v[104:107], v1 offset:1456
	s_waitcnt vmcnt(25) lgkmcnt(1)
	v_mul_f64 v[110:111], v[100:101], v[46:47]
	v_add_f64 v[2:3], v[2:3], v[4:5]
	v_mul_f64 v[4:5], v[90:91], v[42:43]
	s_waitcnt vmcnt(24)
	v_fmac_f64_e32 v[110:111], v[102:103], v[48:49]
	v_fma_f64 v[4:5], v[88:89], v[44:45], -v[4:5]
	v_add_f64 v[112:113], v[108:109], v[110:111]
	ds_read_b128 v[108:111], v1 offset:1472
	v_add_f64 v[2:3], v[2:3], v[4:5]
	v_mul_f64 v[4:5], v[94:95], v[38:39]
	v_fma_f64 v[4:5], v[92:93], v[40:41], -v[4:5]
	v_add_f64 v[2:3], v[2:3], v[4:5]
	v_mul_f64 v[4:5], v[98:99], v[50:51]
	s_waitcnt vmcnt(20) lgkmcnt(1)
	v_mul_f64 v[114:115], v[104:105], v[130:131]
	v_fma_f64 v[4:5], v[96:97], v[124:125], -v[4:5]
	s_waitcnt vmcnt(18)
	v_fmac_f64_e32 v[114:115], v[106:107], v[132:133]
	v_add_f64 v[2:3], v[2:3], v[4:5]
	v_mul_f64 v[4:5], v[102:103], v[46:47]
	v_add_f64 v[116:117], v[112:113], v[114:115]
	ds_read_b128 v[112:115], v1 offset:1488
	s_waitcnt vmcnt(17) lgkmcnt(1)
	v_mul_f64 v[118:119], v[108:109], v[126:127]
	v_fma_f64 v[4:5], v[100:101], v[48:49], -v[4:5]
	s_waitcnt vmcnt(16)
	v_fmac_f64_e32 v[118:119], v[110:111], v[128:129]
	v_add_f64 v[2:3], v[2:3], v[4:5]
	v_mul_f64 v[4:5], v[106:107], v[130:131]
	v_add_f64 v[150:151], v[116:117], v[118:119]
	ds_read_b128 v[116:119], v1 offset:1504
	v_fma_f64 v[4:5], v[104:105], v[132:133], -v[4:5]
	v_add_f64 v[2:3], v[2:3], v[4:5]
	v_mul_f64 v[4:5], v[110:111], v[126:127]
	v_fma_f64 v[4:5], v[108:109], v[128:129], -v[4:5]
	v_add_f64 v[2:3], v[2:3], v[4:5]
	s_waitcnt vmcnt(12) lgkmcnt(1)
	v_mul_f64 v[4:5], v[114:115], v[138:139]
	v_mul_f64 v[152:153], v[112:113], v[138:139]
	s_waitcnt vmcnt(10)
	v_fma_f64 v[4:5], v[112:113], v[140:141], -v[4:5]
	v_fmac_f64_e32 v[152:153], v[114:115], v[140:141]
	v_add_f64 v[2:3], v[2:3], v[4:5]
	s_waitcnt vmcnt(9) lgkmcnt(0)
	v_mul_f64 v[4:5], v[118:119], v[134:135]
	v_add_f64 v[150:151], v[150:151], v[152:153]
	v_mul_f64 v[152:153], v[116:117], v[134:135]
	s_waitcnt vmcnt(8)
	v_fma_f64 v[4:5], v[116:117], v[136:137], -v[4:5]
	v_fmac_f64_e32 v[152:153], v[118:119], v[136:137]
	v_add_f64 v[2:3], v[2:3], v[4:5]
	s_waitcnt vmcnt(6)
	v_mul_f64 v[4:5], v[122:123], v[142:143]
	v_add_f64 v[150:151], v[150:151], v[152:153]
	v_mul_f64 v[152:153], v[120:121], v[142:143]
	s_waitcnt vmcnt(4)
	v_fma_f64 v[4:5], v[120:121], v[144:145], -v[4:5]
	v_fmac_f64_e32 v[152:153], v[122:123], v[144:145]
	v_add_f64 v[2:3], v[2:3], v[4:5]
	v_add_f64 v[150:151], v[150:151], v[152:153]
	s_waitcnt vmcnt(2)
	v_add_f64 v[2:3], v[146:147], -v[2:3]
	s_waitcnt vmcnt(0)
	v_add_f64 v[4:5], v[148:149], -v[150:151]
	buffer_store_dword v3, off, s[0:3], 0 offset:484
	buffer_store_dword v2, off, s[0:3], 0 offset:480
	;; [unrolled: 1-line block ×4, first 2 shown]
	s_and_saveexec_b64 s[4:5], vcc
	s_cbranch_execz .LBB47_245
; %bb.244:
	v_accvgpr_read_b32 v0, a115
	buffer_load_dword v2, v0, s[0:3], 0 offen
	buffer_load_dword v3, v0, s[0:3], 0 offen offset:4
	buffer_load_dword v4, v0, s[0:3], 0 offen offset:8
	;; [unrolled: 1-line block ×3, first 2 shown]
	v_mov_b32_e32 v0, 0
	v_accvgpr_read_b32 v1, a144
	buffer_store_dword v0, off, s[0:3], 0 offset:464
	buffer_store_dword v0, off, s[0:3], 0 offset:468
	;; [unrolled: 1-line block ×4, first 2 shown]
	s_waitcnt vmcnt(4)
	ds_write_b128 v1, v[2:5]
.LBB47_245:
	s_or_b64 exec, exec, s[4:5]
	s_waitcnt lgkmcnt(0)
	; wave barrier
	s_waitcnt lgkmcnt(0)
	buffer_load_dword v2, off, s[0:3], 0 offset:480
	buffer_load_dword v3, off, s[0:3], 0 offset:484
	;; [unrolled: 1-line block ×76, first 2 shown]
	v_mov_b32_e32 v1, 0
	ds_read_b128 v[54:57], v1 offset:1232
	buffer_load_dword v154, off, s[0:3], 0 offset:464
	buffer_load_dword v155, off, s[0:3], 0 offset:468
	;; [unrolled: 1-line block ×4, first 2 shown]
	ds_read_b128 v[58:61], v1 offset:1248
	ds_read_b128 v[62:65], v1 offset:1264
	;; [unrolled: 1-line block ×4, first 2 shown]
	v_cmp_lt_u32_e32 vcc, 27, v254
	s_waitcnt vmcnt(62) lgkmcnt(4)
	v_mul_f64 v[70:71], v[54:55], v[8:9]
	v_fmac_f64_e32 v[70:71], v[56:57], v[2:3]
	v_add_f64 v[70:71], v[70:71], 0
	v_mul_f64 v[8:9], v[56:57], v[8:9]
	s_waitcnt lgkmcnt(3)
	v_mul_f64 v[72:73], v[58:59], v[10:11]
	v_fmac_f64_e32 v[72:73], v[60:61], v[4:5]
	v_add_f64 v[70:71], v[70:71], v[72:73]
	v_fma_f64 v[2:3], v[54:55], v[2:3], -v[8:9]
	s_waitcnt lgkmcnt(2)
	v_mul_f64 v[72:73], v[62:63], v[12:13]
	v_fmac_f64_e32 v[72:73], v[64:65], v[6:7]
	v_add_f64 v[74:75], v[70:71], v[72:73]
	ds_read_b128 v[70:73], v1 offset:1296
	s_waitcnt lgkmcnt(2)
	v_mul_f64 v[76:77], v[66:67], v[18:19]
	v_mul_f64 v[8:9], v[60:61], v[10:11]
	v_fmac_f64_e32 v[76:77], v[68:69], v[20:21]
	v_add_f64 v[78:79], v[74:75], v[76:77]
	ds_read_b128 v[74:77], v1 offset:1312
	s_waitcnt vmcnt(61) lgkmcnt(1)
	v_mul_f64 v[80:81], v[70:71], v[14:15]
	s_waitcnt vmcnt(60)
	v_fmac_f64_e32 v[80:81], v[72:73], v[16:17]
	v_add_f64 v[82:83], v[78:79], v[80:81]
	ds_read_b128 v[78:81], v1 offset:1328
	s_waitcnt vmcnt(56) lgkmcnt(1)
	v_mul_f64 v[84:85], v[74:75], v[26:27]
	s_waitcnt vmcnt(54)
	;; [unrolled: 6-line block ×4, first 2 shown]
	v_fmac_f64_e32 v[92:93], v[84:85], v[36:37]
	v_add_f64 v[94:95], v[90:91], v[92:93]
	ds_read_b128 v[90:93], v1 offset:1376
	v_add_f64 v[2:3], v[2:3], 0
	v_fma_f64 v[4:5], v[58:59], v[4:5], -v[8:9]
	s_waitcnt vmcnt(45) lgkmcnt(1)
	v_mul_f64 v[96:97], v[86:87], v[30:31]
	v_add_f64 v[2:3], v[2:3], v[4:5]
	v_mul_f64 v[4:5], v[64:65], v[12:13]
	s_waitcnt vmcnt(44)
	v_fmac_f64_e32 v[96:97], v[88:89], v[32:33]
	v_fma_f64 v[4:5], v[62:63], v[6:7], -v[4:5]
	v_add_f64 v[98:99], v[94:95], v[96:97]
	ds_read_b128 v[94:97], v1 offset:1392
	s_waitcnt vmcnt(40) lgkmcnt(1)
	v_mul_f64 v[100:101], v[90:91], v[42:43]
	v_add_f64 v[2:3], v[2:3], v[4:5]
	v_mul_f64 v[4:5], v[68:69], v[18:19]
	s_waitcnt vmcnt(38)
	v_fmac_f64_e32 v[100:101], v[92:93], v[44:45]
	v_fma_f64 v[4:5], v[66:67], v[20:21], -v[4:5]
	v_add_f64 v[102:103], v[98:99], v[100:101]
	ds_read_b128 v[98:101], v1 offset:1408
	v_add_f64 v[2:3], v[2:3], v[4:5]
	v_mul_f64 v[4:5], v[72:73], v[14:15]
	v_fma_f64 v[4:5], v[70:71], v[16:17], -v[4:5]
	v_add_f64 v[2:3], v[2:3], v[4:5]
	v_mul_f64 v[4:5], v[76:77], v[26:27]
	s_waitcnt vmcnt(37) lgkmcnt(1)
	v_mul_f64 v[104:105], v[94:95], v[38:39]
	v_fma_f64 v[4:5], v[74:75], v[28:29], -v[4:5]
	s_waitcnt vmcnt(36)
	v_fmac_f64_e32 v[104:105], v[96:97], v[40:41]
	v_add_f64 v[2:3], v[2:3], v[4:5]
	v_mul_f64 v[4:5], v[80:81], v[22:23]
	v_add_f64 v[106:107], v[102:103], v[104:105]
	ds_read_b128 v[102:105], v1 offset:1424
	s_waitcnt vmcnt(32) lgkmcnt(1)
	v_mul_f64 v[108:109], v[98:99], v[50:51]
	v_fma_f64 v[4:5], v[78:79], v[24:25], -v[4:5]
	s_waitcnt vmcnt(30)
	v_fmac_f64_e32 v[108:109], v[100:101], v[52:53]
	v_add_f64 v[2:3], v[2:3], v[4:5]
	v_mul_f64 v[4:5], v[84:85], v[34:35]
	v_add_f64 v[110:111], v[106:107], v[108:109]
	ds_read_b128 v[106:109], v1 offset:1440
	v_fma_f64 v[4:5], v[82:83], v[36:37], -v[4:5]
	v_add_f64 v[2:3], v[2:3], v[4:5]
	v_mul_f64 v[4:5], v[88:89], v[30:31]
	v_fma_f64 v[4:5], v[86:87], v[32:33], -v[4:5]
	s_waitcnt vmcnt(29) lgkmcnt(1)
	v_mul_f64 v[112:113], v[102:103], v[46:47]
	v_add_f64 v[2:3], v[2:3], v[4:5]
	v_mul_f64 v[4:5], v[92:93], v[42:43]
	s_waitcnt vmcnt(28)
	v_fmac_f64_e32 v[112:113], v[104:105], v[48:49]
	v_fma_f64 v[4:5], v[90:91], v[44:45], -v[4:5]
	v_add_f64 v[114:115], v[110:111], v[112:113]
	ds_read_b128 v[110:113], v1 offset:1456
	s_waitcnt vmcnt(24) lgkmcnt(1)
	v_mul_f64 v[116:117], v[106:107], v[134:135]
	v_add_f64 v[2:3], v[2:3], v[4:5]
	v_mul_f64 v[4:5], v[96:97], v[38:39]
	s_waitcnt vmcnt(22)
	v_fmac_f64_e32 v[116:117], v[108:109], v[136:137]
	v_fma_f64 v[4:5], v[94:95], v[40:41], -v[4:5]
	v_add_f64 v[118:119], v[114:115], v[116:117]
	ds_read_b128 v[114:117], v1 offset:1472
	v_add_f64 v[2:3], v[2:3], v[4:5]
	v_mul_f64 v[4:5], v[100:101], v[50:51]
	v_fma_f64 v[4:5], v[98:99], v[52:53], -v[4:5]
	v_add_f64 v[2:3], v[2:3], v[4:5]
	v_mul_f64 v[4:5], v[104:105], v[46:47]
	s_waitcnt vmcnt(21) lgkmcnt(1)
	v_mul_f64 v[120:121], v[110:111], v[130:131]
	v_fma_f64 v[4:5], v[102:103], v[48:49], -v[4:5]
	s_waitcnt vmcnt(20)
	v_fmac_f64_e32 v[120:121], v[112:113], v[132:133]
	v_add_f64 v[2:3], v[2:3], v[4:5]
	v_mul_f64 v[4:5], v[108:109], v[134:135]
	v_add_f64 v[122:123], v[118:119], v[120:121]
	ds_read_b128 v[118:121], v1 offset:1488
	s_waitcnt vmcnt(16) lgkmcnt(1)
	v_mul_f64 v[124:125], v[114:115], v[142:143]
	v_fma_f64 v[4:5], v[106:107], v[136:137], -v[4:5]
	s_waitcnt vmcnt(14)
	v_fmac_f64_e32 v[124:125], v[116:117], v[144:145]
	v_add_f64 v[2:3], v[2:3], v[4:5]
	v_mul_f64 v[4:5], v[112:113], v[130:131]
	v_add_f64 v[158:159], v[122:123], v[124:125]
	ds_read_b128 v[122:125], v1 offset:1504
	v_fma_f64 v[4:5], v[110:111], v[132:133], -v[4:5]
	v_add_f64 v[2:3], v[2:3], v[4:5]
	v_mul_f64 v[4:5], v[116:117], v[142:143]
	v_fma_f64 v[4:5], v[114:115], v[144:145], -v[4:5]
	v_add_f64 v[2:3], v[2:3], v[4:5]
	s_waitcnt vmcnt(13) lgkmcnt(1)
	v_mul_f64 v[4:5], v[120:121], v[138:139]
	v_mul_f64 v[160:161], v[118:119], v[138:139]
	s_waitcnt vmcnt(12)
	v_fma_f64 v[4:5], v[118:119], v[140:141], -v[4:5]
	v_fmac_f64_e32 v[160:161], v[120:121], v[140:141]
	v_add_f64 v[2:3], v[2:3], v[4:5]
	s_waitcnt vmcnt(8) lgkmcnt(0)
	v_mul_f64 v[4:5], v[124:125], v[150:151]
	v_add_f64 v[158:159], v[158:159], v[160:161]
	v_mul_f64 v[160:161], v[122:123], v[150:151]
	s_waitcnt vmcnt(6)
	v_fma_f64 v[4:5], v[122:123], v[152:153], -v[4:5]
	v_fmac_f64_e32 v[160:161], v[124:125], v[152:153]
	v_add_f64 v[2:3], v[2:3], v[4:5]
	s_waitcnt vmcnt(5)
	v_mul_f64 v[4:5], v[128:129], v[146:147]
	v_add_f64 v[158:159], v[158:159], v[160:161]
	v_mul_f64 v[160:161], v[126:127], v[146:147]
	s_waitcnt vmcnt(4)
	v_fma_f64 v[4:5], v[126:127], v[148:149], -v[4:5]
	v_fmac_f64_e32 v[160:161], v[128:129], v[148:149]
	v_add_f64 v[2:3], v[2:3], v[4:5]
	v_add_f64 v[158:159], v[158:159], v[160:161]
	s_waitcnt vmcnt(2)
	v_add_f64 v[2:3], v[154:155], -v[2:3]
	s_waitcnt vmcnt(0)
	v_add_f64 v[4:5], v[156:157], -v[158:159]
	buffer_store_dword v3, off, s[0:3], 0 offset:468
	buffer_store_dword v2, off, s[0:3], 0 offset:464
	;; [unrolled: 1-line block ×4, first 2 shown]
	s_and_saveexec_b64 s[4:5], vcc
	s_cbranch_execz .LBB47_247
; %bb.246:
	v_accvgpr_read_b32 v0, a116
	buffer_load_dword v2, v0, s[0:3], 0 offen
	buffer_load_dword v3, v0, s[0:3], 0 offen offset:4
	buffer_load_dword v4, v0, s[0:3], 0 offen offset:8
	;; [unrolled: 1-line block ×3, first 2 shown]
	v_accvgpr_read_b32 v0, a144
	buffer_store_dword v1, off, s[0:3], 0 offset:448
	buffer_store_dword v1, off, s[0:3], 0 offset:452
	;; [unrolled: 1-line block ×4, first 2 shown]
	s_waitcnt vmcnt(4)
	ds_write_b128 v0, v[2:5]
.LBB47_247:
	s_or_b64 exec, exec, s[4:5]
	s_waitcnt lgkmcnt(0)
	; wave barrier
	s_waitcnt lgkmcnt(0)
	buffer_load_dword v2, off, s[0:3], 0 offset:464
	buffer_load_dword v3, off, s[0:3], 0 offset:468
	;; [unrolled: 1-line block ×76, first 2 shown]
	ds_read_b128 v[54:57], v1 offset:1216
	buffer_load_dword v159, off, s[0:3], 0 offset:780
	buffer_load_dword v158, off, s[0:3], 0 offset:776
	buffer_load_dword v161, off, s[0:3], 0 offset:772
	buffer_load_dword v160, off, s[0:3], 0 offset:768
	buffer_load_dword v162, off, s[0:3], 0 offset:448
	buffer_load_dword v163, off, s[0:3], 0 offset:452
	buffer_load_dword v164, off, s[0:3], 0 offset:456
	buffer_load_dword v165, off, s[0:3], 0 offset:460
	ds_read_b128 v[58:61], v1 offset:1232
	ds_read_b128 v[62:65], v1 offset:1248
	;; [unrolled: 1-line block ×3, first 2 shown]
	v_cmp_lt_u32_e32 vcc, 26, v254
	ds_read_b128 v[130:133], v1 offset:1520
	s_waitcnt vmcnt(62) lgkmcnt(4)
	v_mul_f64 v[70:71], v[54:55], v[8:9]
	v_fmac_f64_e32 v[70:71], v[56:57], v[2:3]
	v_add_f64 v[70:71], v[70:71], 0
	v_mul_f64 v[8:9], v[56:57], v[8:9]
	s_waitcnt lgkmcnt(3)
	v_mul_f64 v[72:73], v[58:59], v[10:11]
	v_fmac_f64_e32 v[72:73], v[60:61], v[4:5]
	v_add_f64 v[70:71], v[70:71], v[72:73]
	v_fma_f64 v[2:3], v[54:55], v[2:3], -v[8:9]
	s_waitcnt lgkmcnt(2)
	v_mul_f64 v[72:73], v[62:63], v[12:13]
	v_fmac_f64_e32 v[72:73], v[64:65], v[6:7]
	v_add_f64 v[74:75], v[70:71], v[72:73]
	ds_read_b128 v[70:73], v1 offset:1280
	v_mul_f64 v[8:9], v[60:61], v[10:11]
	v_add_f64 v[2:3], v[2:3], 0
	s_waitcnt lgkmcnt(2)
	v_mul_f64 v[76:77], v[66:67], v[18:19]
	v_fma_f64 v[4:5], v[58:59], v[4:5], -v[8:9]
	v_fmac_f64_e32 v[76:77], v[68:69], v[20:21]
	v_add_f64 v[78:79], v[74:75], v[76:77]
	ds_read_b128 v[74:77], v1 offset:1296
	s_waitcnt lgkmcnt(1)
	v_mul_f64 v[80:81], v[70:71], v[14:15]
	v_fmac_f64_e32 v[80:81], v[72:73], v[16:17]
	v_add_f64 v[82:83], v[78:79], v[80:81]
	ds_read_b128 v[78:81], v1 offset:1312
	s_waitcnt vmcnt(58) lgkmcnt(1)
	v_mul_f64 v[84:85], v[74:75], v[26:27]
	s_waitcnt vmcnt(56)
	v_fmac_f64_e32 v[84:85], v[76:77], v[28:29]
	v_add_f64 v[86:87], v[82:83], v[84:85]
	ds_read_b128 v[82:85], v1 offset:1328
	s_waitcnt lgkmcnt(1)
	v_mul_f64 v[88:89], v[78:79], v[22:23]
	v_fmac_f64_e32 v[88:89], v[80:81], v[24:25]
	v_add_f64 v[90:91], v[86:87], v[88:89]
	ds_read_b128 v[86:89], v1 offset:1344
	s_waitcnt vmcnt(50) lgkmcnt(1)
	v_mul_f64 v[92:93], v[82:83], v[34:35]
	s_waitcnt vmcnt(48)
	v_fmac_f64_e32 v[92:93], v[84:85], v[36:37]
	v_add_f64 v[94:95], v[90:91], v[92:93]
	ds_read_b128 v[90:93], v1 offset:1360
	s_waitcnt lgkmcnt(1)
	v_mul_f64 v[96:97], v[86:87], v[30:31]
	v_fmac_f64_e32 v[96:97], v[88:89], v[32:33]
	v_add_f64 v[98:99], v[94:95], v[96:97]
	ds_read_b128 v[94:97], v1 offset:1376
	v_add_f64 v[2:3], v[2:3], v[4:5]
	v_mul_f64 v[4:5], v[64:65], v[12:13]
	v_fma_f64 v[4:5], v[62:63], v[6:7], -v[4:5]
	s_waitcnt vmcnt(42) lgkmcnt(1)
	v_mul_f64 v[100:101], v[90:91], v[42:43]
	v_add_f64 v[2:3], v[2:3], v[4:5]
	v_mul_f64 v[4:5], v[68:69], v[18:19]
	s_waitcnt vmcnt(40)
	v_fmac_f64_e32 v[100:101], v[92:93], v[44:45]
	v_fma_f64 v[4:5], v[66:67], v[20:21], -v[4:5]
	v_add_f64 v[102:103], v[98:99], v[100:101]
	ds_read_b128 v[98:101], v1 offset:1392
	s_waitcnt lgkmcnt(1)
	v_mul_f64 v[104:105], v[94:95], v[38:39]
	v_add_f64 v[2:3], v[2:3], v[4:5]
	v_mul_f64 v[4:5], v[72:73], v[14:15]
	v_fmac_f64_e32 v[104:105], v[96:97], v[40:41]
	v_fma_f64 v[4:5], v[70:71], v[16:17], -v[4:5]
	v_add_f64 v[106:107], v[102:103], v[104:105]
	ds_read_b128 v[102:105], v1 offset:1408
	v_add_f64 v[2:3], v[2:3], v[4:5]
	v_mul_f64 v[4:5], v[76:77], v[26:27]
	v_fma_f64 v[4:5], v[74:75], v[28:29], -v[4:5]
	v_add_f64 v[2:3], v[2:3], v[4:5]
	v_mul_f64 v[4:5], v[80:81], v[22:23]
	s_waitcnt vmcnt(34) lgkmcnt(1)
	v_mul_f64 v[108:109], v[98:99], v[50:51]
	v_fma_f64 v[4:5], v[78:79], v[24:25], -v[4:5]
	s_waitcnt vmcnt(32)
	v_fmac_f64_e32 v[108:109], v[100:101], v[52:53]
	v_add_f64 v[2:3], v[2:3], v[4:5]
	v_mul_f64 v[4:5], v[84:85], v[34:35]
	v_add_f64 v[110:111], v[106:107], v[108:109]
	ds_read_b128 v[106:109], v1 offset:1424
	s_waitcnt lgkmcnt(1)
	v_mul_f64 v[112:113], v[102:103], v[46:47]
	v_fma_f64 v[4:5], v[82:83], v[36:37], -v[4:5]
	v_fmac_f64_e32 v[112:113], v[104:105], v[48:49]
	v_add_f64 v[2:3], v[2:3], v[4:5]
	v_mul_f64 v[4:5], v[88:89], v[30:31]
	v_add_f64 v[114:115], v[110:111], v[112:113]
	ds_read_b128 v[110:113], v1 offset:1440
	v_fma_f64 v[4:5], v[86:87], v[32:33], -v[4:5]
	v_add_f64 v[2:3], v[2:3], v[4:5]
	v_mul_f64 v[4:5], v[92:93], v[42:43]
	v_fma_f64 v[4:5], v[90:91], v[44:45], -v[4:5]
	s_waitcnt vmcnt(26) lgkmcnt(1)
	v_mul_f64 v[116:117], v[106:107], v[138:139]
	v_add_f64 v[2:3], v[2:3], v[4:5]
	v_mul_f64 v[4:5], v[96:97], v[38:39]
	s_waitcnt vmcnt(24)
	v_fmac_f64_e32 v[116:117], v[108:109], v[140:141]
	v_fma_f64 v[4:5], v[94:95], v[40:41], -v[4:5]
	v_add_f64 v[118:119], v[114:115], v[116:117]
	ds_read_b128 v[114:117], v1 offset:1456
	s_waitcnt lgkmcnt(1)
	v_mul_f64 v[120:121], v[110:111], v[134:135]
	v_add_f64 v[2:3], v[2:3], v[4:5]
	v_mul_f64 v[4:5], v[100:101], v[50:51]
	v_fmac_f64_e32 v[120:121], v[112:113], v[136:137]
	v_fma_f64 v[4:5], v[98:99], v[52:53], -v[4:5]
	v_add_f64 v[122:123], v[118:119], v[120:121]
	ds_read_b128 v[118:121], v1 offset:1472
	v_add_f64 v[2:3], v[2:3], v[4:5]
	v_mul_f64 v[4:5], v[104:105], v[46:47]
	v_fma_f64 v[4:5], v[102:103], v[48:49], -v[4:5]
	v_add_f64 v[2:3], v[2:3], v[4:5]
	v_mul_f64 v[4:5], v[108:109], v[138:139]
	s_waitcnt vmcnt(18) lgkmcnt(1)
	v_mul_f64 v[124:125], v[114:115], v[146:147]
	v_fma_f64 v[4:5], v[106:107], v[140:141], -v[4:5]
	s_waitcnt vmcnt(16)
	v_fmac_f64_e32 v[124:125], v[116:117], v[148:149]
	v_add_f64 v[2:3], v[2:3], v[4:5]
	v_mul_f64 v[4:5], v[112:113], v[134:135]
	v_add_f64 v[126:127], v[122:123], v[124:125]
	ds_read_b128 v[122:125], v1 offset:1488
	s_waitcnt lgkmcnt(1)
	v_mul_f64 v[128:129], v[118:119], v[142:143]
	v_fma_f64 v[4:5], v[110:111], v[136:137], -v[4:5]
	v_fmac_f64_e32 v[128:129], v[120:121], v[144:145]
	v_add_f64 v[2:3], v[2:3], v[4:5]
	v_mul_f64 v[4:5], v[116:117], v[146:147]
	v_add_f64 v[166:167], v[126:127], v[128:129]
	ds_read_b128 v[126:129], v1 offset:1504
	v_fma_f64 v[4:5], v[114:115], v[148:149], -v[4:5]
	v_add_f64 v[2:3], v[2:3], v[4:5]
	v_mul_f64 v[4:5], v[120:121], v[142:143]
	v_fma_f64 v[4:5], v[118:119], v[144:145], -v[4:5]
	v_add_f64 v[2:3], v[2:3], v[4:5]
	s_waitcnt vmcnt(10) lgkmcnt(1)
	v_mul_f64 v[4:5], v[124:125], v[154:155]
	v_mul_f64 v[168:169], v[122:123], v[154:155]
	s_waitcnt vmcnt(8)
	v_fma_f64 v[4:5], v[122:123], v[156:157], -v[4:5]
	v_fmac_f64_e32 v[168:169], v[124:125], v[156:157]
	v_add_f64 v[2:3], v[2:3], v[4:5]
	s_waitcnt lgkmcnt(0)
	v_mul_f64 v[4:5], v[128:129], v[150:151]
	v_add_f64 v[166:167], v[166:167], v[168:169]
	v_mul_f64 v[168:169], v[126:127], v[150:151]
	v_fma_f64 v[4:5], v[126:127], v[152:153], -v[4:5]
	v_fmac_f64_e32 v[168:169], v[128:129], v[152:153]
	v_add_f64 v[2:3], v[2:3], v[4:5]
	s_waitcnt vmcnt(6)
	v_mul_f64 v[4:5], v[132:133], v[158:159]
	v_add_f64 v[166:167], v[166:167], v[168:169]
	v_mul_f64 v[168:169], v[130:131], v[158:159]
	s_waitcnt vmcnt(4)
	v_fma_f64 v[4:5], v[130:131], v[160:161], -v[4:5]
	v_fmac_f64_e32 v[168:169], v[132:133], v[160:161]
	v_add_f64 v[2:3], v[2:3], v[4:5]
	v_add_f64 v[166:167], v[166:167], v[168:169]
	s_waitcnt vmcnt(2)
	v_add_f64 v[2:3], v[162:163], -v[2:3]
	s_waitcnt vmcnt(0)
	v_add_f64 v[4:5], v[164:165], -v[166:167]
	buffer_store_dword v3, off, s[0:3], 0 offset:452
	buffer_store_dword v2, off, s[0:3], 0 offset:448
	;; [unrolled: 1-line block ×4, first 2 shown]
	s_and_saveexec_b64 s[4:5], vcc
	s_cbranch_execz .LBB47_249
; %bb.248:
	v_accvgpr_read_b32 v0, a117
	buffer_load_dword v2, v0, s[0:3], 0 offen
	buffer_load_dword v3, v0, s[0:3], 0 offen offset:4
	buffer_load_dword v4, v0, s[0:3], 0 offen offset:8
	;; [unrolled: 1-line block ×3, first 2 shown]
	v_mov_b32_e32 v0, 0
	v_accvgpr_read_b32 v1, a144
	buffer_store_dword v0, off, s[0:3], 0 offset:432
	buffer_store_dword v0, off, s[0:3], 0 offset:436
	;; [unrolled: 1-line block ×4, first 2 shown]
	s_waitcnt vmcnt(4)
	ds_write_b128 v1, v[2:5]
.LBB47_249:
	s_or_b64 exec, exec, s[4:5]
	s_waitcnt lgkmcnt(0)
	; wave barrier
	s_waitcnt lgkmcnt(0)
	buffer_load_dword v4, off, s[0:3], 0 offset:432
	buffer_load_dword v5, off, s[0:3], 0 offset:436
	;; [unrolled: 1-line block ×84, first 2 shown]
	v_mov_b32_e32 v1, 0
	ds_read_b128 v[66:69], v1 offset:1200
	buffer_load_dword v171, off, s[0:3], 0 offset:780
	buffer_load_dword v170, off, s[0:3], 0 offset:776
	;; [unrolled: 1-line block ×4, first 2 shown]
	ds_read_b128 v[70:73], v1 offset:1216
	ds_read_b128 v[74:77], v1 offset:1232
	;; [unrolled: 1-line block ×4, first 2 shown]
	v_cmp_lt_u32_e32 vcc, 25, v254
	s_waitcnt vmcnt(62) lgkmcnt(4)
	v_mul_f64 v[82:83], v[66:67], v[12:13]
	v_fmac_f64_e32 v[82:83], v[68:69], v[6:7]
	s_waitcnt lgkmcnt(3)
	v_mul_f64 v[84:85], v[70:71], v[14:15]
	v_add_f64 v[82:83], v[82:83], 0
	v_fmac_f64_e32 v[84:85], v[72:73], v[8:9]
	v_add_f64 v[82:83], v[82:83], v[84:85]
	s_waitcnt lgkmcnt(2)
	v_mul_f64 v[84:85], v[74:75], v[16:17]
	v_fmac_f64_e32 v[84:85], v[76:77], v[10:11]
	v_add_f64 v[86:87], v[82:83], v[84:85]
	ds_read_b128 v[82:85], v1 offset:1264
	v_mul_f64 v[12:13], v[68:69], v[12:13]
	s_waitcnt lgkmcnt(2)
	v_mul_f64 v[88:89], v[78:79], v[22:23]
	v_fma_f64 v[6:7], v[66:67], v[6:7], -v[12:13]
	v_fmac_f64_e32 v[88:89], v[80:81], v[24:25]
	v_add_f64 v[90:91], v[86:87], v[88:89]
	ds_read_b128 v[86:89], v1 offset:1280
	s_waitcnt lgkmcnt(1)
	v_mul_f64 v[92:93], v[82:83], v[18:19]
	v_fmac_f64_e32 v[92:93], v[84:85], v[20:21]
	v_add_f64 v[94:95], v[90:91], v[92:93]
	ds_read_b128 v[90:93], v1 offset:1296
	s_waitcnt vmcnt(58) lgkmcnt(1)
	v_mul_f64 v[96:97], v[86:87], v[30:31]
	s_waitcnt vmcnt(56)
	v_fmac_f64_e32 v[96:97], v[88:89], v[32:33]
	v_add_f64 v[98:99], v[94:95], v[96:97]
	ds_read_b128 v[94:97], v1 offset:1312
	s_waitcnt lgkmcnt(1)
	v_mul_f64 v[100:101], v[90:91], v[26:27]
	v_fmac_f64_e32 v[100:101], v[92:93], v[28:29]
	v_add_f64 v[102:103], v[98:99], v[100:101]
	ds_read_b128 v[98:101], v1 offset:1328
	s_waitcnt vmcnt(50) lgkmcnt(1)
	v_mul_f64 v[104:105], v[94:95], v[38:39]
	s_waitcnt vmcnt(48)
	v_fmac_f64_e32 v[104:105], v[96:97], v[40:41]
	v_add_f64 v[106:107], v[102:103], v[104:105]
	ds_read_b128 v[102:105], v1 offset:1344
	s_waitcnt lgkmcnt(1)
	v_mul_f64 v[108:109], v[98:99], v[34:35]
	v_fmac_f64_e32 v[108:109], v[100:101], v[36:37]
	v_mul_f64 v[12:13], v[72:73], v[14:15]
	v_add_f64 v[110:111], v[106:107], v[108:109]
	ds_read_b128 v[106:109], v1 offset:1360
	s_waitcnt vmcnt(42) lgkmcnt(1)
	v_mul_f64 v[112:113], v[102:103], v[46:47]
	v_add_f64 v[6:7], v[6:7], 0
	v_fma_f64 v[8:9], v[70:71], v[8:9], -v[12:13]
	s_waitcnt vmcnt(40)
	v_fmac_f64_e32 v[112:113], v[104:105], v[48:49]
	v_add_f64 v[6:7], v[6:7], v[8:9]
	v_mul_f64 v[8:9], v[76:77], v[16:17]
	v_add_f64 v[114:115], v[110:111], v[112:113]
	ds_read_b128 v[110:113], v1 offset:1376
	v_fma_f64 v[8:9], v[74:75], v[10:11], -v[8:9]
	v_add_f64 v[6:7], v[6:7], v[8:9]
	v_mul_f64 v[8:9], v[80:81], v[22:23]
	v_fma_f64 v[8:9], v[78:79], v[24:25], -v[8:9]
	s_waitcnt lgkmcnt(1)
	v_mul_f64 v[116:117], v[106:107], v[42:43]
	v_add_f64 v[6:7], v[6:7], v[8:9]
	v_mul_f64 v[8:9], v[84:85], v[18:19]
	v_fmac_f64_e32 v[116:117], v[108:109], v[44:45]
	v_fma_f64 v[8:9], v[82:83], v[20:21], -v[8:9]
	v_add_f64 v[118:119], v[114:115], v[116:117]
	ds_read_b128 v[114:117], v1 offset:1392
	s_waitcnt vmcnt(34) lgkmcnt(1)
	v_mul_f64 v[120:121], v[110:111], v[54:55]
	v_add_f64 v[6:7], v[6:7], v[8:9]
	v_mul_f64 v[8:9], v[88:89], v[30:31]
	s_waitcnt vmcnt(32)
	v_fmac_f64_e32 v[120:121], v[112:113], v[56:57]
	v_fma_f64 v[8:9], v[86:87], v[32:33], -v[8:9]
	v_add_f64 v[122:123], v[118:119], v[120:121]
	ds_read_b128 v[118:121], v1 offset:1408
	v_add_f64 v[6:7], v[6:7], v[8:9]
	v_mul_f64 v[8:9], v[92:93], v[26:27]
	v_fma_f64 v[8:9], v[90:91], v[28:29], -v[8:9]
	v_add_f64 v[6:7], v[6:7], v[8:9]
	v_mul_f64 v[8:9], v[96:97], v[38:39]
	s_waitcnt lgkmcnt(1)
	v_mul_f64 v[124:125], v[114:115], v[50:51]
	v_fma_f64 v[8:9], v[94:95], v[40:41], -v[8:9]
	v_fmac_f64_e32 v[124:125], v[116:117], v[52:53]
	v_add_f64 v[6:7], v[6:7], v[8:9]
	v_mul_f64 v[8:9], v[100:101], v[34:35]
	v_add_f64 v[126:127], v[122:123], v[124:125]
	ds_read_b128 v[122:125], v1 offset:1424
	s_waitcnt vmcnt(26) lgkmcnt(1)
	v_mul_f64 v[128:129], v[118:119], v[62:63]
	v_fma_f64 v[8:9], v[98:99], v[36:37], -v[8:9]
	s_waitcnt vmcnt(24)
	v_fmac_f64_e32 v[128:129], v[120:121], v[64:65]
	v_add_f64 v[6:7], v[6:7], v[8:9]
	v_mul_f64 v[8:9], v[104:105], v[46:47]
	v_add_f64 v[130:131], v[126:127], v[128:129]
	ds_read_b128 v[126:129], v1 offset:1440
	v_fma_f64 v[8:9], v[102:103], v[48:49], -v[8:9]
	v_add_f64 v[6:7], v[6:7], v[8:9]
	v_mul_f64 v[8:9], v[108:109], v[42:43]
	v_fma_f64 v[8:9], v[106:107], v[44:45], -v[8:9]
	s_waitcnt lgkmcnt(1)
	v_mul_f64 v[132:133], v[122:123], v[58:59]
	v_add_f64 v[6:7], v[6:7], v[8:9]
	v_mul_f64 v[8:9], v[112:113], v[54:55]
	v_fmac_f64_e32 v[132:133], v[124:125], v[60:61]
	v_fma_f64 v[8:9], v[110:111], v[56:57], -v[8:9]
	v_add_f64 v[134:135], v[130:131], v[132:133]
	ds_read_b128 v[130:133], v1 offset:1456
	s_waitcnt vmcnt(18) lgkmcnt(1)
	v_mul_f64 v[136:137], v[126:127], v[154:155]
	v_add_f64 v[6:7], v[6:7], v[8:9]
	v_mul_f64 v[8:9], v[116:117], v[50:51]
	s_waitcnt vmcnt(16)
	v_fmac_f64_e32 v[136:137], v[128:129], v[156:157]
	v_fma_f64 v[8:9], v[114:115], v[52:53], -v[8:9]
	v_add_f64 v[138:139], v[134:135], v[136:137]
	ds_read_b128 v[134:137], v1 offset:1472
	v_add_f64 v[6:7], v[6:7], v[8:9]
	v_mul_f64 v[8:9], v[120:121], v[62:63]
	v_fma_f64 v[8:9], v[118:119], v[64:65], -v[8:9]
	v_add_f64 v[6:7], v[6:7], v[8:9]
	v_mul_f64 v[8:9], v[124:125], v[58:59]
	s_waitcnt lgkmcnt(1)
	v_mul_f64 v[140:141], v[130:131], v[150:151]
	v_fma_f64 v[8:9], v[122:123], v[60:61], -v[8:9]
	v_fmac_f64_e32 v[140:141], v[132:133], v[152:153]
	v_add_f64 v[6:7], v[6:7], v[8:9]
	v_mul_f64 v[8:9], v[128:129], v[154:155]
	v_add_f64 v[142:143], v[138:139], v[140:141]
	ds_read_b128 v[138:141], v1 offset:1488
	s_waitcnt vmcnt(10) lgkmcnt(1)
	v_mul_f64 v[144:145], v[134:135], v[162:163]
	v_fma_f64 v[8:9], v[126:127], v[156:157], -v[8:9]
	s_waitcnt vmcnt(8)
	v_fmac_f64_e32 v[144:145], v[136:137], v[164:165]
	v_add_f64 v[6:7], v[6:7], v[8:9]
	v_mul_f64 v[8:9], v[132:133], v[150:151]
	v_add_f64 v[174:175], v[142:143], v[144:145]
	ds_read_b128 v[142:145], v1 offset:1504
	v_fma_f64 v[8:9], v[130:131], v[152:153], -v[8:9]
	v_add_f64 v[6:7], v[6:7], v[8:9]
	v_mul_f64 v[8:9], v[136:137], v[162:163]
	v_fma_f64 v[8:9], v[134:135], v[164:165], -v[8:9]
	v_add_f64 v[6:7], v[6:7], v[8:9]
	s_waitcnt lgkmcnt(1)
	v_mul_f64 v[8:9], v[140:141], v[158:159]
	v_mul_f64 v[176:177], v[138:139], v[158:159]
	v_fma_f64 v[8:9], v[138:139], v[160:161], -v[8:9]
	v_fmac_f64_e32 v[176:177], v[140:141], v[160:161]
	v_add_f64 v[6:7], v[6:7], v[8:9]
	s_waitcnt vmcnt(6) lgkmcnt(0)
	v_mul_f64 v[8:9], v[144:145], v[166:167]
	v_add_f64 v[174:175], v[174:175], v[176:177]
	v_mul_f64 v[176:177], v[142:143], v[166:167]
	s_waitcnt vmcnt(4)
	v_fma_f64 v[8:9], v[142:143], v[168:169], -v[8:9]
	v_fmac_f64_e32 v[176:177], v[144:145], v[168:169]
	v_add_f64 v[6:7], v[6:7], v[8:9]
	s_waitcnt vmcnt(2)
	v_mul_f64 v[8:9], v[148:149], v[170:171]
	v_add_f64 v[174:175], v[174:175], v[176:177]
	v_mul_f64 v[176:177], v[146:147], v[170:171]
	s_waitcnt vmcnt(0)
	v_fma_f64 v[8:9], v[146:147], v[172:173], -v[8:9]
	v_fmac_f64_e32 v[176:177], v[148:149], v[172:173]
	v_add_f64 v[6:7], v[6:7], v[8:9]
	v_add_f64 v[174:175], v[174:175], v[176:177]
	v_add_f64 v[4:5], v[4:5], -v[6:7]
	v_add_f64 v[2:3], v[2:3], -v[174:175]
	buffer_store_dword v5, off, s[0:3], 0 offset:436
	buffer_store_dword v4, off, s[0:3], 0 offset:432
	;; [unrolled: 1-line block ×4, first 2 shown]
	s_and_saveexec_b64 s[4:5], vcc
	s_cbranch_execz .LBB47_251
; %bb.250:
	v_accvgpr_read_b32 v0, a118
	buffer_load_dword v2, v0, s[0:3], 0 offen
	buffer_load_dword v3, v0, s[0:3], 0 offen offset:4
	buffer_load_dword v4, v0, s[0:3], 0 offen offset:8
	buffer_load_dword v5, v0, s[0:3], 0 offen offset:12
	v_accvgpr_read_b32 v0, a144
	buffer_store_dword v1, off, s[0:3], 0 offset:416
	buffer_store_dword v1, off, s[0:3], 0 offset:420
	;; [unrolled: 1-line block ×4, first 2 shown]
	s_waitcnt vmcnt(4)
	ds_write_b128 v0, v[2:5]
.LBB47_251:
	s_or_b64 exec, exec, s[4:5]
	s_waitcnt lgkmcnt(0)
	; wave barrier
	s_waitcnt lgkmcnt(0)
	ds_read_b128 v[14:17], v1 offset:1184
	ds_read_b128 v[10:13], v1 offset:1200
	;; [unrolled: 1-line block ×4, first 2 shown]
	buffer_load_dword v20, off, s[0:3], 0 offset:416
	buffer_load_dword v21, off, s[0:3], 0 offset:420
	;; [unrolled: 1-line block ×92, first 2 shown]
	s_waitcnt vmcnt(62) lgkmcnt(3)
	v_mul_f64 v[86:87], v[14:15], v[28:29]
	v_fmac_f64_e32 v[86:87], v[16:17], v[22:23]
	s_waitcnt lgkmcnt(2)
	v_mul_f64 v[88:89], v[10:11], v[30:31]
	v_add_f64 v[86:87], v[86:87], 0
	v_fmac_f64_e32 v[88:89], v[12:13], v[24:25]
	v_add_f64 v[86:87], v[86:87], v[88:89]
	s_waitcnt lgkmcnt(1)
	v_mul_f64 v[88:89], v[6:7], v[32:33]
	v_fmac_f64_e32 v[88:89], v[8:9], v[26:27]
	v_add_f64 v[90:91], v[86:87], v[88:89]
	ds_read_b128 v[86:89], v1 offset:1248
	v_mul_f64 v[16:17], v[16:17], v[28:29]
	v_fma_f64 v[14:15], v[14:15], v[22:23], -v[16:17]
	s_waitcnt lgkmcnt(1)
	v_mul_f64 v[92:93], v[2:3], v[38:39]
	v_mul_f64 v[12:13], v[12:13], v[30:31]
	v_fmac_f64_e32 v[92:93], v[4:5], v[40:41]
	v_add_f64 v[94:95], v[90:91], v[92:93]
	ds_read_b128 v[90:93], v1 offset:1264
	s_waitcnt lgkmcnt(1)
	v_mul_f64 v[96:97], v[86:87], v[34:35]
	v_fmac_f64_e32 v[96:97], v[88:89], v[36:37]
	v_add_f64 v[98:99], v[94:95], v[96:97]
	ds_read_b128 v[94:97], v1 offset:1280
	s_waitcnt lgkmcnt(1)
	v_mul_f64 v[100:101], v[90:91], v[46:47]
	s_waitcnt vmcnt(60)
	v_fmac_f64_e32 v[100:101], v[92:93], v[48:49]
	v_add_f64 v[102:103], v[98:99], v[100:101]
	ds_read_b128 v[98:101], v1 offset:1296
	s_waitcnt lgkmcnt(1)
	v_mul_f64 v[104:105], v[94:95], v[42:43]
	v_fmac_f64_e32 v[104:105], v[96:97], v[44:45]
	v_add_f64 v[106:107], v[102:103], v[104:105]
	ds_read_b128 v[102:105], v1 offset:1312
	s_waitcnt vmcnt(54) lgkmcnt(1)
	v_mul_f64 v[108:109], v[98:99], v[54:55]
	s_waitcnt vmcnt(52)
	v_fmac_f64_e32 v[108:109], v[100:101], v[56:57]
	v_add_f64 v[110:111], v[106:107], v[108:109]
	ds_read_b128 v[106:109], v1 offset:1328
	s_waitcnt lgkmcnt(1)
	v_mul_f64 v[112:113], v[102:103], v[50:51]
	v_fmac_f64_e32 v[112:113], v[104:105], v[52:53]
	v_add_f64 v[114:115], v[110:111], v[112:113]
	ds_read_b128 v[110:113], v1 offset:1344
	s_waitcnt vmcnt(46) lgkmcnt(1)
	v_mul_f64 v[116:117], v[106:107], v[62:63]
	s_waitcnt vmcnt(44)
	v_fmac_f64_e32 v[116:117], v[108:109], v[64:65]
	v_add_f64 v[118:119], v[114:115], v[116:117]
	ds_read_b128 v[114:117], v1 offset:1360
	s_waitcnt lgkmcnt(1)
	v_mul_f64 v[120:121], v[110:111], v[58:59]
	v_fmac_f64_e32 v[120:121], v[112:113], v[60:61]
	v_add_f64 v[14:15], v[14:15], 0
	v_fma_f64 v[10:11], v[10:11], v[24:25], -v[12:13]
	v_mul_f64 v[8:9], v[8:9], v[32:33]
	v_add_f64 v[122:123], v[118:119], v[120:121]
	ds_read_b128 v[118:121], v1 offset:1376
	v_add_f64 v[10:11], v[14:15], v[10:11]
	v_fma_f64 v[6:7], v[6:7], v[26:27], -v[8:9]
	v_mul_f64 v[4:5], v[4:5], v[38:39]
	v_add_f64 v[6:7], v[10:11], v[6:7]
	v_fma_f64 v[2:3], v[2:3], v[40:41], -v[4:5]
	v_mul_f64 v[4:5], v[88:89], v[34:35]
	v_add_f64 v[2:3], v[6:7], v[2:3]
	v_fma_f64 v[4:5], v[86:87], v[36:37], -v[4:5]
	s_waitcnt vmcnt(38) lgkmcnt(1)
	v_mul_f64 v[124:125], v[114:115], v[70:71]
	v_add_f64 v[2:3], v[2:3], v[4:5]
	v_mul_f64 v[4:5], v[92:93], v[46:47]
	s_waitcnt vmcnt(36)
	v_fmac_f64_e32 v[124:125], v[116:117], v[72:73]
	v_fma_f64 v[4:5], v[90:91], v[48:49], -v[4:5]
	v_add_f64 v[126:127], v[122:123], v[124:125]
	ds_read_b128 v[122:125], v1 offset:1392
	s_waitcnt lgkmcnt(1)
	v_mul_f64 v[128:129], v[118:119], v[66:67]
	v_add_f64 v[2:3], v[2:3], v[4:5]
	v_mul_f64 v[4:5], v[96:97], v[42:43]
	v_fmac_f64_e32 v[128:129], v[120:121], v[68:69]
	v_fma_f64 v[4:5], v[94:95], v[44:45], -v[4:5]
	v_add_f64 v[130:131], v[126:127], v[128:129]
	ds_read_b128 v[126:129], v1 offset:1408
	v_add_f64 v[2:3], v[2:3], v[4:5]
	v_mul_f64 v[4:5], v[100:101], v[54:55]
	v_fma_f64 v[4:5], v[98:99], v[56:57], -v[4:5]
	v_add_f64 v[2:3], v[2:3], v[4:5]
	v_mul_f64 v[4:5], v[104:105], v[50:51]
	s_waitcnt vmcnt(30) lgkmcnt(1)
	v_mul_f64 v[132:133], v[122:123], v[78:79]
	v_fma_f64 v[4:5], v[102:103], v[52:53], -v[4:5]
	s_waitcnt vmcnt(28)
	v_fmac_f64_e32 v[132:133], v[124:125], v[80:81]
	v_add_f64 v[2:3], v[2:3], v[4:5]
	v_mul_f64 v[4:5], v[108:109], v[62:63]
	v_add_f64 v[134:135], v[130:131], v[132:133]
	ds_read_b128 v[130:133], v1 offset:1424
	s_waitcnt lgkmcnt(1)
	v_mul_f64 v[136:137], v[126:127], v[74:75]
	v_fma_f64 v[4:5], v[106:107], v[64:65], -v[4:5]
	v_fmac_f64_e32 v[136:137], v[128:129], v[76:77]
	v_add_f64 v[2:3], v[2:3], v[4:5]
	v_mul_f64 v[4:5], v[112:113], v[58:59]
	v_add_f64 v[138:139], v[134:135], v[136:137]
	ds_read_b128 v[134:137], v1 offset:1440
	v_fma_f64 v[4:5], v[110:111], v[60:61], -v[4:5]
	v_add_f64 v[2:3], v[2:3], v[4:5]
	v_mul_f64 v[4:5], v[116:117], v[70:71]
	v_fma_f64 v[4:5], v[114:115], v[72:73], -v[4:5]
	s_waitcnt vmcnt(22) lgkmcnt(1)
	v_mul_f64 v[140:141], v[130:131], v[158:159]
	v_add_f64 v[2:3], v[2:3], v[4:5]
	v_mul_f64 v[4:5], v[120:121], v[66:67]
	s_waitcnt vmcnt(20)
	v_fmac_f64_e32 v[140:141], v[132:133], v[160:161]
	v_fma_f64 v[4:5], v[118:119], v[68:69], -v[4:5]
	v_add_f64 v[142:143], v[138:139], v[140:141]
	ds_read_b128 v[138:141], v1 offset:1456
	s_waitcnt lgkmcnt(1)
	v_mul_f64 v[144:145], v[134:135], v[82:83]
	v_add_f64 v[2:3], v[2:3], v[4:5]
	v_mul_f64 v[4:5], v[124:125], v[78:79]
	v_fmac_f64_e32 v[144:145], v[136:137], v[84:85]
	v_fma_f64 v[4:5], v[122:123], v[80:81], -v[4:5]
	v_add_f64 v[146:147], v[142:143], v[144:145]
	ds_read_b128 v[142:145], v1 offset:1472
	v_add_f64 v[2:3], v[2:3], v[4:5]
	v_mul_f64 v[4:5], v[128:129], v[74:75]
	v_fma_f64 v[4:5], v[126:127], v[76:77], -v[4:5]
	v_add_f64 v[2:3], v[2:3], v[4:5]
	v_mul_f64 v[4:5], v[132:133], v[158:159]
	s_waitcnt vmcnt(14) lgkmcnt(1)
	v_mul_f64 v[148:149], v[138:139], v[166:167]
	v_fma_f64 v[4:5], v[130:131], v[160:161], -v[4:5]
	s_waitcnt vmcnt(12)
	v_fmac_f64_e32 v[148:149], v[140:141], v[168:169]
	v_add_f64 v[2:3], v[2:3], v[4:5]
	v_mul_f64 v[4:5], v[136:137], v[82:83]
	v_add_f64 v[150:151], v[146:147], v[148:149]
	ds_read_b128 v[146:149], v1 offset:1488
	s_waitcnt lgkmcnt(1)
	v_mul_f64 v[152:153], v[142:143], v[162:163]
	v_fma_f64 v[4:5], v[134:135], v[84:85], -v[4:5]
	v_fmac_f64_e32 v[152:153], v[144:145], v[164:165]
	v_add_f64 v[2:3], v[2:3], v[4:5]
	v_mul_f64 v[4:5], v[140:141], v[166:167]
	v_add_f64 v[182:183], v[150:151], v[152:153]
	ds_read_b128 v[150:153], v1 offset:1504
	ds_read_b128 v[154:157], v1 offset:1520
	v_fma_f64 v[4:5], v[138:139], v[168:169], -v[4:5]
	v_add_f64 v[2:3], v[2:3], v[4:5]
	v_mul_f64 v[4:5], v[144:145], v[162:163]
	v_fma_f64 v[4:5], v[142:143], v[164:165], -v[4:5]
	v_add_f64 v[2:3], v[2:3], v[4:5]
	s_waitcnt vmcnt(6) lgkmcnt(2)
	v_mul_f64 v[4:5], v[148:149], v[174:175]
	v_mul_f64 v[184:185], v[146:147], v[174:175]
	s_waitcnt vmcnt(4)
	v_fma_f64 v[4:5], v[146:147], v[176:177], -v[4:5]
	v_fmac_f64_e32 v[184:185], v[148:149], v[176:177]
	v_add_f64 v[2:3], v[2:3], v[4:5]
	s_waitcnt lgkmcnt(1)
	v_mul_f64 v[4:5], v[152:153], v[170:171]
	v_add_f64 v[182:183], v[182:183], v[184:185]
	v_mul_f64 v[184:185], v[150:151], v[170:171]
	v_fma_f64 v[4:5], v[150:151], v[172:173], -v[4:5]
	v_fmac_f64_e32 v[184:185], v[152:153], v[172:173]
	v_add_f64 v[2:3], v[2:3], v[4:5]
	s_waitcnt vmcnt(2) lgkmcnt(0)
	v_mul_f64 v[4:5], v[156:157], v[178:179]
	v_add_f64 v[182:183], v[182:183], v[184:185]
	v_mul_f64 v[184:185], v[154:155], v[178:179]
	s_waitcnt vmcnt(0)
	v_fma_f64 v[4:5], v[154:155], v[180:181], -v[4:5]
	v_fmac_f64_e32 v[184:185], v[156:157], v[180:181]
	v_add_f64 v[2:3], v[2:3], v[4:5]
	v_add_f64 v[182:183], v[182:183], v[184:185]
	v_add_f64 v[2:3], v[20:21], -v[2:3]
	v_cmp_lt_u32_e32 vcc, 24, v254
	v_add_f64 v[4:5], v[18:19], -v[182:183]
	buffer_store_dword v3, off, s[0:3], 0 offset:420
	buffer_store_dword v2, off, s[0:3], 0 offset:416
	;; [unrolled: 1-line block ×4, first 2 shown]
	s_and_saveexec_b64 s[4:5], vcc
	s_cbranch_execz .LBB47_253
; %bb.252:
	v_accvgpr_read_b32 v0, a119
	buffer_load_dword v2, v0, s[0:3], 0 offen
	buffer_load_dword v3, v0, s[0:3], 0 offen offset:4
	buffer_load_dword v4, v0, s[0:3], 0 offen offset:8
	;; [unrolled: 1-line block ×3, first 2 shown]
	v_mov_b32_e32 v0, 0
	v_accvgpr_read_b32 v1, a144
	buffer_store_dword v0, off, s[0:3], 0 offset:400
	buffer_store_dword v0, off, s[0:3], 0 offset:404
	;; [unrolled: 1-line block ×4, first 2 shown]
	s_waitcnt vmcnt(4)
	ds_write_b128 v1, v[2:5]
.LBB47_253:
	s_or_b64 exec, exec, s[4:5]
	s_waitcnt lgkmcnt(0)
	; wave barrier
	s_waitcnt lgkmcnt(0)
	buffer_load_dword v9, off, s[0:3], 0 offset:428
	buffer_load_dword v6, off, s[0:3], 0 offset:440
	;; [unrolled: 1-line block ×64, first 2 shown]
	v_mov_b32_e32 v1, 0
	ds_read_b128 v[74:77], v1 offset:1168
	ds_read_b128 v[78:81], v1 offset:1184
	buffer_load_dword v67, off, s[0:3], 0 offset:684
	buffer_load_dword v66, off, s[0:3], 0 offset:680
	buffer_load_dword v69, off, s[0:3], 0 offset:676
	buffer_load_dword v68, off, s[0:3], 0 offset:672
	buffer_load_dword v71, off, s[0:3], 0 offset:668
	buffer_load_dword v70, off, s[0:3], 0 offset:664
	buffer_load_dword v73, off, s[0:3], 0 offset:660
	buffer_load_dword v72, off, s[0:3], 0 offset:656
	ds_read_b128 v[82:85], v1 offset:1200
	ds_read_b128 v[86:89], v1 offset:1216
	buffer_load_dword v167, off, s[0:3], 0 offset:716
	buffer_load_dword v166, off, s[0:3], 0 offset:712
	;; [unrolled: 1-line block ×24, first 2 shown]
	ds_read_b128 v[162:165], v1 offset:1520
	v_cmp_lt_u32_e32 vcc, 23, v254
	s_waitcnt vmcnt(62) lgkmcnt(1)
	v_mul_f64 v[96:97], v[86:87], v[22:23]
	v_fmac_f64_e32 v[96:97], v[88:89], v[24:25]
	v_mul_f64 v[92:93], v[78:79], v[6:7]
	v_mul_f64 v[90:91], v[74:75], v[8:9]
	;; [unrolled: 1-line block ×3, first 2 shown]
	v_fmac_f64_e32 v[90:91], v[76:77], v[10:11]
	v_add_f64 v[90:91], v[90:91], 0
	v_fma_f64 v[8:9], v[74:75], v[10:11], -v[8:9]
	v_mul_f64 v[6:7], v[80:81], v[6:7]
	v_add_f64 v[8:9], v[8:9], 0
	v_fmac_f64_e32 v[92:93], v[80:81], v[14:15]
	v_add_f64 v[90:91], v[90:91], v[92:93]
	v_mul_f64 v[92:93], v[82:83], v[16:17]
	v_fmac_f64_e32 v[92:93], v[84:85], v[12:13]
	v_add_f64 v[94:95], v[90:91], v[92:93]
	ds_read_b128 v[90:93], v1 offset:1232
	v_add_f64 v[98:99], v[94:95], v[96:97]
	ds_read_b128 v[94:97], v1 offset:1248
	v_fma_f64 v[6:7], v[78:79], v[14:15], -v[6:7]
	v_add_f64 v[6:7], v[8:9], v[6:7]
	s_waitcnt lgkmcnt(1)
	v_mul_f64 v[100:101], v[90:91], v[18:19]
	v_fmac_f64_e32 v[100:101], v[92:93], v[20:21]
	v_add_f64 v[102:103], v[98:99], v[100:101]
	ds_read_b128 v[98:101], v1 offset:1264
	s_waitcnt lgkmcnt(1)
	v_mul_f64 v[104:105], v[94:95], v[30:31]
	v_fmac_f64_e32 v[104:105], v[96:97], v[32:33]
	v_add_f64 v[106:107], v[102:103], v[104:105]
	ds_read_b128 v[102:105], v1 offset:1280
	;; [unrolled: 5-line block ×3, first 2 shown]
	s_waitcnt vmcnt(58) lgkmcnt(1)
	v_mul_f64 v[112:113], v[102:103], v[38:39]
	s_waitcnt vmcnt(56)
	v_fmac_f64_e32 v[112:113], v[104:105], v[40:41]
	v_add_f64 v[114:115], v[110:111], v[112:113]
	ds_read_b128 v[110:113], v1 offset:1312
	s_waitcnt lgkmcnt(1)
	v_mul_f64 v[116:117], v[106:107], v[34:35]
	v_fmac_f64_e32 v[116:117], v[108:109], v[36:37]
	v_add_f64 v[118:119], v[114:115], v[116:117]
	ds_read_b128 v[114:117], v1 offset:1328
	s_waitcnt vmcnt(50) lgkmcnt(1)
	v_mul_f64 v[120:121], v[110:111], v[46:47]
	s_waitcnt vmcnt(48)
	v_fmac_f64_e32 v[120:121], v[112:113], v[48:49]
	v_add_f64 v[122:123], v[118:119], v[120:121]
	ds_read_b128 v[118:121], v1 offset:1344
	v_mul_f64 v[8:9], v[84:85], v[16:17]
	s_waitcnt lgkmcnt(1)
	v_mul_f64 v[124:125], v[114:115], v[42:43]
	v_fma_f64 v[8:9], v[82:83], v[12:13], -v[8:9]
	v_fmac_f64_e32 v[124:125], v[116:117], v[44:45]
	v_add_f64 v[6:7], v[6:7], v[8:9]
	v_mul_f64 v[8:9], v[88:89], v[22:23]
	v_add_f64 v[126:127], v[122:123], v[124:125]
	ds_read_b128 v[122:125], v1 offset:1360
	s_waitcnt vmcnt(42) lgkmcnt(1)
	v_mul_f64 v[128:129], v[118:119], v[54:55]
	v_fma_f64 v[8:9], v[86:87], v[24:25], -v[8:9]
	s_waitcnt vmcnt(40)
	v_fmac_f64_e32 v[128:129], v[120:121], v[56:57]
	v_add_f64 v[6:7], v[6:7], v[8:9]
	v_mul_f64 v[8:9], v[92:93], v[18:19]
	v_add_f64 v[130:131], v[126:127], v[128:129]
	ds_read_b128 v[126:129], v1 offset:1376
	v_fma_f64 v[8:9], v[90:91], v[20:21], -v[8:9]
	v_add_f64 v[6:7], v[6:7], v[8:9]
	v_mul_f64 v[8:9], v[96:97], v[30:31]
	v_fma_f64 v[8:9], v[94:95], v[32:33], -v[8:9]
	s_waitcnt lgkmcnt(1)
	v_mul_f64 v[132:133], v[122:123], v[50:51]
	v_add_f64 v[6:7], v[6:7], v[8:9]
	v_mul_f64 v[8:9], v[100:101], v[26:27]
	v_fmac_f64_e32 v[132:133], v[124:125], v[52:53]
	v_fma_f64 v[8:9], v[98:99], v[28:29], -v[8:9]
	v_add_f64 v[134:135], v[130:131], v[132:133]
	ds_read_b128 v[130:133], v1 offset:1392
	s_waitcnt vmcnt(34) lgkmcnt(1)
	v_mul_f64 v[136:137], v[126:127], v[62:63]
	v_add_f64 v[6:7], v[6:7], v[8:9]
	v_mul_f64 v[8:9], v[104:105], v[38:39]
	s_waitcnt vmcnt(32)
	v_fmac_f64_e32 v[136:137], v[128:129], v[64:65]
	v_fma_f64 v[8:9], v[102:103], v[40:41], -v[8:9]
	v_add_f64 v[138:139], v[134:135], v[136:137]
	ds_read_b128 v[134:137], v1 offset:1408
	v_add_f64 v[6:7], v[6:7], v[8:9]
	v_mul_f64 v[8:9], v[108:109], v[34:35]
	v_fma_f64 v[8:9], v[106:107], v[36:37], -v[8:9]
	v_add_f64 v[6:7], v[6:7], v[8:9]
	v_mul_f64 v[8:9], v[112:113], v[46:47]
	s_waitcnt lgkmcnt(1)
	v_mul_f64 v[140:141], v[130:131], v[58:59]
	v_fma_f64 v[8:9], v[110:111], v[48:49], -v[8:9]
	v_fmac_f64_e32 v[140:141], v[132:133], v[60:61]
	v_add_f64 v[6:7], v[6:7], v[8:9]
	v_mul_f64 v[8:9], v[116:117], v[42:43]
	v_add_f64 v[142:143], v[138:139], v[140:141]
	ds_read_b128 v[138:141], v1 offset:1424
	s_waitcnt vmcnt(26) lgkmcnt(1)
	v_mul_f64 v[144:145], v[134:135], v[70:71]
	v_fma_f64 v[8:9], v[114:115], v[44:45], -v[8:9]
	s_waitcnt vmcnt(24)
	v_fmac_f64_e32 v[144:145], v[136:137], v[72:73]
	v_add_f64 v[6:7], v[6:7], v[8:9]
	v_mul_f64 v[8:9], v[120:121], v[54:55]
	v_add_f64 v[146:147], v[142:143], v[144:145]
	ds_read_b128 v[142:145], v1 offset:1440
	v_fma_f64 v[8:9], v[118:119], v[56:57], -v[8:9]
	v_add_f64 v[6:7], v[6:7], v[8:9]
	v_mul_f64 v[8:9], v[124:125], v[50:51]
	v_fma_f64 v[8:9], v[122:123], v[52:53], -v[8:9]
	s_waitcnt lgkmcnt(1)
	v_mul_f64 v[148:149], v[138:139], v[66:67]
	v_add_f64 v[6:7], v[6:7], v[8:9]
	v_mul_f64 v[8:9], v[128:129], v[62:63]
	v_fmac_f64_e32 v[148:149], v[140:141], v[68:69]
	v_fma_f64 v[8:9], v[126:127], v[64:65], -v[8:9]
	v_add_f64 v[150:151], v[146:147], v[148:149]
	ds_read_b128 v[146:149], v1 offset:1456
	s_waitcnt vmcnt(18) lgkmcnt(1)
	v_mul_f64 v[152:153], v[142:143], v[170:171]
	v_add_f64 v[6:7], v[6:7], v[8:9]
	v_mul_f64 v[8:9], v[132:133], v[58:59]
	s_waitcnt vmcnt(16)
	v_fmac_f64_e32 v[152:153], v[144:145], v[172:173]
	v_fma_f64 v[8:9], v[130:131], v[60:61], -v[8:9]
	v_add_f64 v[154:155], v[150:151], v[152:153]
	ds_read_b128 v[150:153], v1 offset:1472
	v_add_f64 v[6:7], v[6:7], v[8:9]
	v_mul_f64 v[8:9], v[136:137], v[70:71]
	v_fma_f64 v[8:9], v[134:135], v[72:73], -v[8:9]
	v_add_f64 v[6:7], v[6:7], v[8:9]
	v_mul_f64 v[8:9], v[140:141], v[66:67]
	s_waitcnt lgkmcnt(1)
	v_mul_f64 v[156:157], v[146:147], v[166:167]
	v_fma_f64 v[8:9], v[138:139], v[68:69], -v[8:9]
	v_fmac_f64_e32 v[156:157], v[148:149], v[168:169]
	v_add_f64 v[6:7], v[6:7], v[8:9]
	v_mul_f64 v[8:9], v[144:145], v[170:171]
	v_add_f64 v[158:159], v[154:155], v[156:157]
	ds_read_b128 v[154:157], v1 offset:1488
	s_waitcnt vmcnt(10) lgkmcnt(1)
	v_mul_f64 v[160:161], v[150:151], v[178:179]
	v_fma_f64 v[8:9], v[142:143], v[172:173], -v[8:9]
	s_waitcnt vmcnt(8)
	v_fmac_f64_e32 v[160:161], v[152:153], v[180:181]
	v_add_f64 v[6:7], v[6:7], v[8:9]
	v_mul_f64 v[8:9], v[148:149], v[166:167]
	v_add_f64 v[190:191], v[158:159], v[160:161]
	ds_read_b128 v[158:161], v1 offset:1504
	v_fma_f64 v[8:9], v[146:147], v[168:169], -v[8:9]
	v_add_f64 v[6:7], v[6:7], v[8:9]
	v_mul_f64 v[8:9], v[152:153], v[178:179]
	v_fma_f64 v[8:9], v[150:151], v[180:181], -v[8:9]
	v_add_f64 v[6:7], v[6:7], v[8:9]
	s_waitcnt lgkmcnt(1)
	v_mul_f64 v[8:9], v[156:157], v[174:175]
	v_mul_f64 v[192:193], v[154:155], v[174:175]
	v_fma_f64 v[8:9], v[154:155], v[176:177], -v[8:9]
	v_fmac_f64_e32 v[192:193], v[156:157], v[176:177]
	v_add_f64 v[6:7], v[6:7], v[8:9]
	s_waitcnt vmcnt(2) lgkmcnt(0)
	v_mul_f64 v[8:9], v[160:161], v[186:187]
	v_add_f64 v[190:191], v[190:191], v[192:193]
	v_mul_f64 v[192:193], v[158:159], v[186:187]
	s_waitcnt vmcnt(0)
	v_fma_f64 v[8:9], v[158:159], v[188:189], -v[8:9]
	v_fmac_f64_e32 v[192:193], v[160:161], v[188:189]
	v_add_f64 v[6:7], v[6:7], v[8:9]
	v_mul_f64 v[8:9], v[164:165], v[182:183]
	v_add_f64 v[190:191], v[190:191], v[192:193]
	v_mul_f64 v[192:193], v[162:163], v[182:183]
	v_fma_f64 v[8:9], v[162:163], v[184:185], -v[8:9]
	v_fmac_f64_e32 v[192:193], v[164:165], v[184:185]
	v_add_f64 v[6:7], v[6:7], v[8:9]
	v_add_f64 v[190:191], v[190:191], v[192:193]
	v_add_f64 v[4:5], v[4:5], -v[6:7]
	v_add_f64 v[2:3], v[2:3], -v[190:191]
	buffer_store_dword v5, off, s[0:3], 0 offset:404
	buffer_store_dword v4, off, s[0:3], 0 offset:400
	;; [unrolled: 1-line block ×4, first 2 shown]
	s_and_saveexec_b64 s[4:5], vcc
	s_cbranch_execz .LBB47_255
; %bb.254:
	v_accvgpr_read_b32 v0, a120
	buffer_load_dword v2, v0, s[0:3], 0 offen
	buffer_load_dword v3, v0, s[0:3], 0 offen offset:4
	buffer_load_dword v4, v0, s[0:3], 0 offen offset:8
	;; [unrolled: 1-line block ×3, first 2 shown]
	v_accvgpr_read_b32 v0, a144
	buffer_store_dword v1, off, s[0:3], 0 offset:384
	buffer_store_dword v1, off, s[0:3], 0 offset:388
	;; [unrolled: 1-line block ×4, first 2 shown]
	s_waitcnt vmcnt(4)
	ds_write_b128 v0, v[2:5]
.LBB47_255:
	s_or_b64 exec, exec, s[4:5]
	s_waitcnt lgkmcnt(0)
	; wave barrier
	s_waitcnt lgkmcnt(0)
	buffer_load_dword v22, off, s[0:3], 0 offset:400
	buffer_load_dword v23, off, s[0:3], 0 offset:404
	;; [unrolled: 1-line block ×16, first 2 shown]
	ds_read_b128 v[2:5], v1 offset:1152
	ds_read_b128 v[6:9], v1 offset:1168
	;; [unrolled: 1-line block ×4, first 2 shown]
	buffer_load_dword v35, off, s[0:3], 0 offset:476
	buffer_load_dword v34, off, s[0:3], 0 offset:472
	;; [unrolled: 1-line block ×48, first 2 shown]
	v_cmp_lt_u32_e32 vcc, 22, v254
	s_waitcnt vmcnt(42) lgkmcnt(0)
	v_mul_f64 v[104:105], v[14:15], v[38:39]
	s_waitcnt vmcnt(40)
	v_fmac_f64_e32 v[104:105], v[16:17], v[40:41]
	v_mul_f64 v[82:83], v[2:3], v[24:25]
	v_fmac_f64_e32 v[82:83], v[4:5], v[22:23]
	v_add_f64 v[82:83], v[82:83], 0
	v_mul_f64 v[4:5], v[4:5], v[24:25]
	v_mul_f64 v[84:85], v[6:7], v[32:33]
	v_fma_f64 v[2:3], v[2:3], v[22:23], -v[4:5]
	v_mul_f64 v[98:99], v[10:11], v[26:27]
	v_fmac_f64_e32 v[98:99], v[12:13], v[30:31]
	v_fmac_f64_e32 v[84:85], v[8:9], v[28:29]
	v_add_f64 v[100:101], v[82:83], v[84:85]
	buffer_load_dword v83, off, s[0:3], 0 offset:668
	buffer_load_dword v82, off, s[0:3], 0 offset:664
	;; [unrolled: 1-line block ×32, first 2 shown]
	v_add_f64 v[102:103], v[100:101], v[98:99]
	ds_read_b128 v[98:101], v1 offset:1216
	buffer_load_dword v195, off, s[0:3], 0 offset:780
	buffer_load_dword v194, off, s[0:3], 0 offset:776
	;; [unrolled: 1-line block ×4, first 2 shown]
	v_add_f64 v[106:107], v[102:103], v[104:105]
	ds_read_b128 v[102:105], v1 offset:1232
	v_mul_f64 v[4:5], v[8:9], v[32:33]
	s_waitcnt lgkmcnt(1)
	v_mul_f64 v[108:109], v[98:99], v[34:35]
	v_fmac_f64_e32 v[108:109], v[100:101], v[36:37]
	v_add_f64 v[110:111], v[106:107], v[108:109]
	ds_read_b128 v[106:109], v1 offset:1248
	s_waitcnt vmcnt(62) lgkmcnt(1)
	v_mul_f64 v[112:113], v[102:103], v[46:47]
	v_fmac_f64_e32 v[112:113], v[104:105], v[48:49]
	v_add_f64 v[114:115], v[110:111], v[112:113]
	ds_read_b128 v[110:113], v1 offset:1264
	s_waitcnt lgkmcnt(1)
	v_mul_f64 v[116:117], v[106:107], v[42:43]
	v_fmac_f64_e32 v[116:117], v[108:109], v[44:45]
	v_add_f64 v[118:119], v[114:115], v[116:117]
	ds_read_b128 v[114:117], v1 offset:1280
	s_waitcnt lgkmcnt(1)
	v_mul_f64 v[120:121], v[110:111], v[54:55]
	s_waitcnt vmcnt(60)
	v_fmac_f64_e32 v[120:121], v[112:113], v[56:57]
	v_add_f64 v[122:123], v[118:119], v[120:121]
	ds_read_b128 v[118:121], v1 offset:1296
	s_waitcnt lgkmcnt(1)
	v_mul_f64 v[124:125], v[114:115], v[50:51]
	v_fmac_f64_e32 v[124:125], v[116:117], v[52:53]
	v_add_f64 v[126:127], v[122:123], v[124:125]
	ds_read_b128 v[122:125], v1 offset:1312
	s_waitcnt vmcnt(54) lgkmcnt(1)
	v_mul_f64 v[128:129], v[118:119], v[62:63]
	s_waitcnt vmcnt(52)
	v_fmac_f64_e32 v[128:129], v[120:121], v[64:65]
	v_add_f64 v[130:131], v[126:127], v[128:129]
	ds_read_b128 v[126:129], v1 offset:1328
	s_waitcnt lgkmcnt(1)
	v_mul_f64 v[132:133], v[122:123], v[58:59]
	v_fmac_f64_e32 v[132:133], v[124:125], v[60:61]
	v_add_f64 v[2:3], v[2:3], 0
	v_fma_f64 v[4:5], v[6:7], v[28:29], -v[4:5]
	v_add_f64 v[134:135], v[130:131], v[132:133]
	ds_read_b128 v[130:133], v1 offset:1344
	v_add_f64 v[2:3], v[2:3], v[4:5]
	v_mul_f64 v[4:5], v[12:13], v[26:27]
	v_fma_f64 v[4:5], v[10:11], v[30:31], -v[4:5]
	v_add_f64 v[2:3], v[2:3], v[4:5]
	v_mul_f64 v[4:5], v[16:17], v[38:39]
	s_waitcnt vmcnt(46) lgkmcnt(1)
	v_mul_f64 v[136:137], v[126:127], v[70:71]
	v_fma_f64 v[4:5], v[14:15], v[40:41], -v[4:5]
	s_waitcnt vmcnt(44)
	v_fmac_f64_e32 v[136:137], v[128:129], v[72:73]
	v_add_f64 v[2:3], v[2:3], v[4:5]
	v_mul_f64 v[4:5], v[100:101], v[34:35]
	v_add_f64 v[138:139], v[134:135], v[136:137]
	ds_read_b128 v[134:137], v1 offset:1360
	s_waitcnt lgkmcnt(1)
	v_mul_f64 v[140:141], v[130:131], v[66:67]
	v_fma_f64 v[4:5], v[98:99], v[36:37], -v[4:5]
	v_fmac_f64_e32 v[140:141], v[132:133], v[68:69]
	v_add_f64 v[2:3], v[2:3], v[4:5]
	v_mul_f64 v[4:5], v[104:105], v[46:47]
	v_add_f64 v[142:143], v[138:139], v[140:141]
	ds_read_b128 v[138:141], v1 offset:1376
	v_fma_f64 v[4:5], v[102:103], v[48:49], -v[4:5]
	v_add_f64 v[2:3], v[2:3], v[4:5]
	v_mul_f64 v[4:5], v[108:109], v[42:43]
	v_fma_f64 v[4:5], v[106:107], v[44:45], -v[4:5]
	s_waitcnt vmcnt(38) lgkmcnt(1)
	v_mul_f64 v[144:145], v[134:135], v[78:79]
	v_add_f64 v[2:3], v[2:3], v[4:5]
	v_mul_f64 v[4:5], v[112:113], v[54:55]
	s_waitcnt vmcnt(36)
	v_fmac_f64_e32 v[144:145], v[136:137], v[80:81]
	v_fma_f64 v[4:5], v[110:111], v[56:57], -v[4:5]
	v_add_f64 v[146:147], v[142:143], v[144:145]
	ds_read_b128 v[142:145], v1 offset:1392
	s_waitcnt lgkmcnt(1)
	v_mul_f64 v[148:149], v[138:139], v[74:75]
	v_add_f64 v[2:3], v[2:3], v[4:5]
	v_mul_f64 v[4:5], v[116:117], v[50:51]
	v_fmac_f64_e32 v[148:149], v[140:141], v[76:77]
	v_fma_f64 v[4:5], v[114:115], v[52:53], -v[4:5]
	v_add_f64 v[150:151], v[146:147], v[148:149]
	ds_read_b128 v[146:149], v1 offset:1408
	v_add_f64 v[2:3], v[2:3], v[4:5]
	v_mul_f64 v[4:5], v[120:121], v[62:63]
	v_fma_f64 v[4:5], v[118:119], v[64:65], -v[4:5]
	v_add_f64 v[2:3], v[2:3], v[4:5]
	v_mul_f64 v[4:5], v[124:125], v[58:59]
	s_waitcnt vmcnt(30) lgkmcnt(1)
	v_mul_f64 v[152:153], v[142:143], v[86:87]
	v_fma_f64 v[4:5], v[122:123], v[60:61], -v[4:5]
	s_waitcnt vmcnt(28)
	v_fmac_f64_e32 v[152:153], v[144:145], v[88:89]
	v_add_f64 v[2:3], v[2:3], v[4:5]
	v_mul_f64 v[4:5], v[128:129], v[70:71]
	v_add_f64 v[154:155], v[150:151], v[152:153]
	ds_read_b128 v[150:153], v1 offset:1424
	s_waitcnt lgkmcnt(1)
	v_mul_f64 v[156:157], v[146:147], v[82:83]
	v_fma_f64 v[4:5], v[126:127], v[72:73], -v[4:5]
	v_fmac_f64_e32 v[156:157], v[148:149], v[84:85]
	v_add_f64 v[2:3], v[2:3], v[4:5]
	v_mul_f64 v[4:5], v[132:133], v[66:67]
	v_add_f64 v[158:159], v[154:155], v[156:157]
	ds_read_b128 v[154:157], v1 offset:1440
	v_fma_f64 v[4:5], v[130:131], v[68:69], -v[4:5]
	v_add_f64 v[2:3], v[2:3], v[4:5]
	v_mul_f64 v[4:5], v[136:137], v[78:79]
	v_fma_f64 v[4:5], v[134:135], v[80:81], -v[4:5]
	s_waitcnt vmcnt(22) lgkmcnt(1)
	v_mul_f64 v[160:161], v[150:151], v[94:95]
	v_add_f64 v[2:3], v[2:3], v[4:5]
	v_mul_f64 v[4:5], v[140:141], v[74:75]
	s_waitcnt vmcnt(20)
	v_fmac_f64_e32 v[160:161], v[152:153], v[96:97]
	v_fma_f64 v[4:5], v[138:139], v[76:77], -v[4:5]
	v_add_f64 v[162:163], v[158:159], v[160:161]
	ds_read_b128 v[158:161], v1 offset:1456
	s_waitcnt lgkmcnt(1)
	v_mul_f64 v[164:165], v[154:155], v[90:91]
	v_add_f64 v[2:3], v[2:3], v[4:5]
	v_mul_f64 v[4:5], v[144:145], v[86:87]
	v_fmac_f64_e32 v[164:165], v[156:157], v[92:93]
	v_fma_f64 v[4:5], v[142:143], v[88:89], -v[4:5]
	v_add_f64 v[166:167], v[162:163], v[164:165]
	ds_read_b128 v[162:165], v1 offset:1472
	v_add_f64 v[2:3], v[2:3], v[4:5]
	v_mul_f64 v[4:5], v[148:149], v[82:83]
	v_fma_f64 v[4:5], v[146:147], v[84:85], -v[4:5]
	v_add_f64 v[2:3], v[2:3], v[4:5]
	v_mul_f64 v[4:5], v[152:153], v[94:95]
	s_waitcnt vmcnt(14) lgkmcnt(1)
	v_mul_f64 v[168:169], v[158:159], v[182:183]
	v_fma_f64 v[4:5], v[150:151], v[96:97], -v[4:5]
	s_waitcnt vmcnt(12)
	v_fmac_f64_e32 v[168:169], v[160:161], v[184:185]
	v_add_f64 v[2:3], v[2:3], v[4:5]
	v_mul_f64 v[4:5], v[156:157], v[90:91]
	v_add_f64 v[170:171], v[166:167], v[168:169]
	ds_read_b128 v[166:169], v1 offset:1488
	s_waitcnt lgkmcnt(1)
	v_mul_f64 v[172:173], v[162:163], v[178:179]
	v_fma_f64 v[4:5], v[154:155], v[92:93], -v[4:5]
	v_fmac_f64_e32 v[172:173], v[164:165], v[180:181]
	v_add_f64 v[2:3], v[2:3], v[4:5]
	v_mul_f64 v[4:5], v[160:161], v[182:183]
	v_add_f64 v[198:199], v[170:171], v[172:173]
	ds_read_b128 v[170:173], v1 offset:1504
	v_fma_f64 v[4:5], v[158:159], v[184:185], -v[4:5]
	v_add_f64 v[2:3], v[2:3], v[4:5]
	v_mul_f64 v[4:5], v[164:165], v[178:179]
	ds_read_b128 v[174:177], v1 offset:1520
	v_fma_f64 v[4:5], v[162:163], v[180:181], -v[4:5]
	v_add_f64 v[2:3], v[2:3], v[4:5]
	s_waitcnt vmcnt(6) lgkmcnt(2)
	v_mul_f64 v[4:5], v[168:169], v[190:191]
	v_mul_f64 v[200:201], v[166:167], v[190:191]
	s_waitcnt vmcnt(4)
	v_fma_f64 v[4:5], v[166:167], v[192:193], -v[4:5]
	v_fmac_f64_e32 v[200:201], v[168:169], v[192:193]
	v_add_f64 v[2:3], v[2:3], v[4:5]
	s_waitcnt lgkmcnt(1)
	v_mul_f64 v[4:5], v[172:173], v[186:187]
	v_add_f64 v[198:199], v[198:199], v[200:201]
	v_mul_f64 v[200:201], v[170:171], v[186:187]
	v_fma_f64 v[4:5], v[170:171], v[188:189], -v[4:5]
	v_fmac_f64_e32 v[200:201], v[172:173], v[188:189]
	v_add_f64 v[2:3], v[2:3], v[4:5]
	s_waitcnt vmcnt(2) lgkmcnt(0)
	v_mul_f64 v[4:5], v[176:177], v[194:195]
	v_add_f64 v[198:199], v[198:199], v[200:201]
	v_mul_f64 v[200:201], v[174:175], v[194:195]
	s_waitcnt vmcnt(0)
	v_fma_f64 v[4:5], v[174:175], v[196:197], -v[4:5]
	v_fmac_f64_e32 v[200:201], v[176:177], v[196:197]
	v_add_f64 v[2:3], v[2:3], v[4:5]
	v_add_f64 v[198:199], v[198:199], v[200:201]
	v_add_f64 v[2:3], v[20:21], -v[2:3]
	v_add_f64 v[4:5], v[18:19], -v[198:199]
	buffer_store_dword v3, off, s[0:3], 0 offset:388
	buffer_store_dword v2, off, s[0:3], 0 offset:384
	;; [unrolled: 1-line block ×4, first 2 shown]
	s_and_saveexec_b64 s[4:5], vcc
	s_cbranch_execz .LBB47_257
; %bb.256:
	v_accvgpr_read_b32 v0, a121
	buffer_load_dword v2, v0, s[0:3], 0 offen
	buffer_load_dword v3, v0, s[0:3], 0 offen offset:4
	buffer_load_dword v4, v0, s[0:3], 0 offen offset:8
	;; [unrolled: 1-line block ×3, first 2 shown]
	v_mov_b32_e32 v0, 0
	v_accvgpr_read_b32 v1, a144
	buffer_store_dword v0, off, s[0:3], 0 offset:368
	buffer_store_dword v0, off, s[0:3], 0 offset:372
	;; [unrolled: 1-line block ×4, first 2 shown]
	s_waitcnt vmcnt(4)
	ds_write_b128 v1, v[2:5]
.LBB47_257:
	s_or_b64 exec, exec, s[4:5]
	s_waitcnt lgkmcnt(0)
	; wave barrier
	s_waitcnt lgkmcnt(0)
	buffer_load_dword v22, off, s[0:3], 0 offset:384
	buffer_load_dword v23, off, s[0:3], 0 offset:388
	;; [unrolled: 1-line block ×64, first 2 shown]
	v_mov_b32_e32 v1, 0
	ds_read_b128 v[18:21], v1 offset:1136
	ds_read_b128 v[14:17], v1 offset:1152
	;; [unrolled: 1-line block ×5, first 2 shown]
	v_cmp_lt_u32_e32 vcc, 21, v254
	s_waitcnt vmcnt(60) lgkmcnt(4)
	v_mul_f64 v[86:87], v[18:19], v[26:27]
	v_fmac_f64_e32 v[86:87], v[20:21], v[22:23]
	v_add_f64 v[86:87], v[86:87], 0
	v_mul_f64 v[20:21], v[20:21], v[26:27]
	s_waitcnt vmcnt(56) lgkmcnt(3)
	v_mul_f64 v[88:89], v[14:15], v[28:29]
	v_fmac_f64_e32 v[88:89], v[16:17], v[24:25]
	s_waitcnt vmcnt(54) lgkmcnt(2)
	v_mul_f64 v[90:91], v[10:11], v[30:31]
	v_add_f64 v[86:87], v[86:87], v[88:89]
	v_fma_f64 v[18:19], v[18:19], v[22:23], -v[20:21]
	v_mul_f64 v[16:17], v[16:17], v[28:29]
	s_waitcnt vmcnt(50) lgkmcnt(1)
	v_mul_f64 v[102:103], v[6:7], v[40:41]
	v_add_f64 v[18:19], v[18:19], 0
	s_waitcnt vmcnt(48)
	v_fmac_f64_e32 v[90:91], v[12:13], v[44:45]
	v_add_f64 v[104:105], v[86:87], v[90:91]
	buffer_load_dword v87, off, s[0:3], 0 offset:652
	buffer_load_dword v86, off, s[0:3], 0 offset:648
	;; [unrolled: 1-line block ×40, first 2 shown]
	s_waitcnt vmcnt(62)
	v_fmac_f64_e32 v[102:103], v[8:9], v[42:43]
	v_add_f64 v[106:107], v[104:105], v[102:103]
	ds_read_b128 v[102:105], v1 offset:1216
	s_waitcnt lgkmcnt(1)
	v_mul_f64 v[108:109], v[2:3], v[36:37]
	v_fmac_f64_e32 v[108:109], v[4:5], v[38:39]
	v_add_f64 v[110:111], v[106:107], v[108:109]
	ds_read_b128 v[106:109], v1 offset:1232
	s_waitcnt lgkmcnt(1)
	v_mul_f64 v[112:113], v[102:103], v[50:51]
	;; [unrolled: 5-line block ×5, first 2 shown]
	v_fmac_f64_e32 v[124:125], v[116:117], v[56:57]
	v_add_f64 v[126:127], v[122:123], v[124:125]
	ds_read_b128 v[122:125], v1 offset:1296
	s_waitcnt vmcnt(58) lgkmcnt(1)
	v_mul_f64 v[128:129], v[118:119], v[66:67]
	s_waitcnt vmcnt(56)
	v_fmac_f64_e32 v[128:129], v[120:121], v[68:69]
	v_add_f64 v[130:131], v[126:127], v[128:129]
	ds_read_b128 v[126:129], v1 offset:1312
	s_waitcnt lgkmcnt(1)
	v_mul_f64 v[132:133], v[122:123], v[62:63]
	v_fmac_f64_e32 v[132:133], v[124:125], v[64:65]
	v_add_f64 v[134:135], v[130:131], v[132:133]
	ds_read_b128 v[130:133], v1 offset:1328
	s_waitcnt vmcnt(50) lgkmcnt(1)
	v_mul_f64 v[136:137], v[126:127], v[74:75]
	s_waitcnt vmcnt(48)
	v_fmac_f64_e32 v[136:137], v[128:129], v[76:77]
	v_add_f64 v[138:139], v[134:135], v[136:137]
	ds_read_b128 v[134:137], v1 offset:1344
	v_fma_f64 v[14:15], v[14:15], v[24:25], -v[16:17]
	v_mul_f64 v[12:13], v[12:13], v[30:31]
	v_add_f64 v[14:15], v[18:19], v[14:15]
	v_fma_f64 v[10:11], v[10:11], v[44:45], -v[12:13]
	v_mul_f64 v[8:9], v[8:9], v[40:41]
	s_waitcnt lgkmcnt(1)
	v_mul_f64 v[140:141], v[130:131], v[70:71]
	v_add_f64 v[10:11], v[14:15], v[10:11]
	v_fma_f64 v[6:7], v[6:7], v[42:43], -v[8:9]
	v_mul_f64 v[4:5], v[4:5], v[36:37]
	v_fmac_f64_e32 v[140:141], v[132:133], v[72:73]
	v_add_f64 v[6:7], v[10:11], v[6:7]
	v_fma_f64 v[2:3], v[2:3], v[38:39], -v[4:5]
	v_mul_f64 v[4:5], v[104:105], v[50:51]
	v_add_f64 v[142:143], v[138:139], v[140:141]
	ds_read_b128 v[138:141], v1 offset:1360
	s_waitcnt vmcnt(42) lgkmcnt(1)
	v_mul_f64 v[144:145], v[134:135], v[82:83]
	v_add_f64 v[2:3], v[6:7], v[2:3]
	v_fma_f64 v[4:5], v[102:103], v[52:53], -v[4:5]
	s_waitcnt vmcnt(40)
	v_fmac_f64_e32 v[144:145], v[136:137], v[84:85]
	v_add_f64 v[2:3], v[2:3], v[4:5]
	v_mul_f64 v[4:5], v[108:109], v[46:47]
	v_add_f64 v[146:147], v[142:143], v[144:145]
	ds_read_b128 v[142:145], v1 offset:1376
	v_fma_f64 v[4:5], v[106:107], v[48:49], -v[4:5]
	v_add_f64 v[2:3], v[2:3], v[4:5]
	v_mul_f64 v[4:5], v[112:113], v[58:59]
	v_fma_f64 v[4:5], v[110:111], v[60:61], -v[4:5]
	s_waitcnt lgkmcnt(1)
	v_mul_f64 v[148:149], v[138:139], v[78:79]
	v_add_f64 v[2:3], v[2:3], v[4:5]
	v_mul_f64 v[4:5], v[116:117], v[54:55]
	v_fmac_f64_e32 v[148:149], v[140:141], v[80:81]
	v_fma_f64 v[4:5], v[114:115], v[56:57], -v[4:5]
	v_add_f64 v[150:151], v[146:147], v[148:149]
	ds_read_b128 v[146:149], v1 offset:1392
	s_waitcnt vmcnt(34) lgkmcnt(1)
	v_mul_f64 v[152:153], v[142:143], v[90:91]
	v_add_f64 v[2:3], v[2:3], v[4:5]
	v_mul_f64 v[4:5], v[120:121], v[66:67]
	s_waitcnt vmcnt(32)
	v_fmac_f64_e32 v[152:153], v[144:145], v[92:93]
	v_fma_f64 v[4:5], v[118:119], v[68:69], -v[4:5]
	v_add_f64 v[154:155], v[150:151], v[152:153]
	ds_read_b128 v[150:153], v1 offset:1408
	v_add_f64 v[2:3], v[2:3], v[4:5]
	v_mul_f64 v[4:5], v[124:125], v[62:63]
	v_fma_f64 v[4:5], v[122:123], v[64:65], -v[4:5]
	v_add_f64 v[2:3], v[2:3], v[4:5]
	v_mul_f64 v[4:5], v[128:129], v[74:75]
	s_waitcnt lgkmcnt(1)
	v_mul_f64 v[156:157], v[146:147], v[86:87]
	v_fma_f64 v[4:5], v[126:127], v[76:77], -v[4:5]
	v_fmac_f64_e32 v[156:157], v[148:149], v[88:89]
	v_add_f64 v[2:3], v[2:3], v[4:5]
	v_mul_f64 v[4:5], v[132:133], v[70:71]
	v_add_f64 v[158:159], v[154:155], v[156:157]
	ds_read_b128 v[154:157], v1 offset:1424
	s_waitcnt vmcnt(26) lgkmcnt(1)
	v_mul_f64 v[160:161], v[150:151], v[98:99]
	v_fma_f64 v[4:5], v[130:131], v[72:73], -v[4:5]
	s_waitcnt vmcnt(24)
	v_fmac_f64_e32 v[160:161], v[152:153], v[100:101]
	v_add_f64 v[2:3], v[2:3], v[4:5]
	v_mul_f64 v[4:5], v[136:137], v[82:83]
	v_add_f64 v[162:163], v[158:159], v[160:161]
	ds_read_b128 v[158:161], v1 offset:1440
	v_fma_f64 v[4:5], v[134:135], v[84:85], -v[4:5]
	v_add_f64 v[2:3], v[2:3], v[4:5]
	v_mul_f64 v[4:5], v[140:141], v[78:79]
	v_fma_f64 v[4:5], v[138:139], v[80:81], -v[4:5]
	s_waitcnt lgkmcnt(1)
	v_mul_f64 v[164:165], v[154:155], v[94:95]
	v_add_f64 v[2:3], v[2:3], v[4:5]
	v_mul_f64 v[4:5], v[144:145], v[90:91]
	v_fmac_f64_e32 v[164:165], v[156:157], v[96:97]
	v_fma_f64 v[4:5], v[142:143], v[92:93], -v[4:5]
	v_add_f64 v[166:167], v[162:163], v[164:165]
	ds_read_b128 v[162:165], v1 offset:1456
	s_waitcnt vmcnt(18) lgkmcnt(1)
	v_mul_f64 v[168:169], v[158:159], v[186:187]
	v_add_f64 v[2:3], v[2:3], v[4:5]
	v_mul_f64 v[4:5], v[148:149], v[86:87]
	s_waitcnt vmcnt(16)
	v_fmac_f64_e32 v[168:169], v[160:161], v[188:189]
	v_fma_f64 v[4:5], v[146:147], v[88:89], -v[4:5]
	v_add_f64 v[170:171], v[166:167], v[168:169]
	ds_read_b128 v[166:169], v1 offset:1472
	v_add_f64 v[2:3], v[2:3], v[4:5]
	v_mul_f64 v[4:5], v[152:153], v[98:99]
	v_fma_f64 v[4:5], v[150:151], v[100:101], -v[4:5]
	v_add_f64 v[2:3], v[2:3], v[4:5]
	v_mul_f64 v[4:5], v[156:157], v[94:95]
	s_waitcnt lgkmcnt(1)
	v_mul_f64 v[172:173], v[162:163], v[182:183]
	v_fma_f64 v[4:5], v[154:155], v[96:97], -v[4:5]
	v_fmac_f64_e32 v[172:173], v[164:165], v[184:185]
	v_add_f64 v[2:3], v[2:3], v[4:5]
	v_mul_f64 v[4:5], v[160:161], v[186:187]
	v_add_f64 v[174:175], v[170:171], v[172:173]
	ds_read_b128 v[170:173], v1 offset:1488
	s_waitcnt vmcnt(10) lgkmcnt(1)
	v_mul_f64 v[176:177], v[166:167], v[194:195]
	v_fma_f64 v[4:5], v[158:159], v[188:189], -v[4:5]
	s_waitcnt vmcnt(8)
	v_fmac_f64_e32 v[176:177], v[168:169], v[196:197]
	v_add_f64 v[2:3], v[2:3], v[4:5]
	v_mul_f64 v[4:5], v[164:165], v[182:183]
	v_add_f64 v[206:207], v[174:175], v[176:177]
	ds_read_b128 v[174:177], v1 offset:1504
	ds_read_b128 v[178:181], v1 offset:1520
	v_fma_f64 v[4:5], v[162:163], v[184:185], -v[4:5]
	v_add_f64 v[2:3], v[2:3], v[4:5]
	v_mul_f64 v[4:5], v[168:169], v[194:195]
	v_fma_f64 v[4:5], v[166:167], v[196:197], -v[4:5]
	v_add_f64 v[2:3], v[2:3], v[4:5]
	s_waitcnt lgkmcnt(2)
	v_mul_f64 v[4:5], v[172:173], v[190:191]
	v_mul_f64 v[208:209], v[170:171], v[190:191]
	v_fma_f64 v[4:5], v[170:171], v[192:193], -v[4:5]
	v_fmac_f64_e32 v[208:209], v[172:173], v[192:193]
	v_add_f64 v[2:3], v[2:3], v[4:5]
	s_waitcnt vmcnt(2) lgkmcnt(1)
	v_mul_f64 v[4:5], v[176:177], v[202:203]
	v_add_f64 v[206:207], v[206:207], v[208:209]
	v_mul_f64 v[208:209], v[174:175], v[202:203]
	s_waitcnt vmcnt(0)
	v_fma_f64 v[4:5], v[174:175], v[204:205], -v[4:5]
	v_fmac_f64_e32 v[208:209], v[176:177], v[204:205]
	v_add_f64 v[2:3], v[2:3], v[4:5]
	s_waitcnt lgkmcnt(0)
	v_mul_f64 v[4:5], v[180:181], v[198:199]
	v_add_f64 v[206:207], v[206:207], v[208:209]
	v_mul_f64 v[208:209], v[178:179], v[198:199]
	v_fma_f64 v[4:5], v[178:179], v[200:201], -v[4:5]
	v_fmac_f64_e32 v[208:209], v[180:181], v[200:201]
	v_add_f64 v[2:3], v[2:3], v[4:5]
	v_add_f64 v[206:207], v[206:207], v[208:209]
	v_add_f64 v[2:3], v[34:35], -v[2:3]
	v_add_f64 v[4:5], v[32:33], -v[206:207]
	buffer_store_dword v3, off, s[0:3], 0 offset:372
	buffer_store_dword v2, off, s[0:3], 0 offset:368
	;; [unrolled: 1-line block ×4, first 2 shown]
	s_and_saveexec_b64 s[4:5], vcc
	s_cbranch_execz .LBB47_259
; %bb.258:
	v_accvgpr_read_b32 v0, a122
	buffer_load_dword v2, v0, s[0:3], 0 offen
	buffer_load_dword v3, v0, s[0:3], 0 offen offset:4
	buffer_load_dword v4, v0, s[0:3], 0 offen offset:8
	;; [unrolled: 1-line block ×3, first 2 shown]
	v_accvgpr_read_b32 v0, a144
	buffer_store_dword v1, off, s[0:3], 0 offset:352
	buffer_store_dword v1, off, s[0:3], 0 offset:356
	buffer_store_dword v1, off, s[0:3], 0 offset:360
	buffer_store_dword v1, off, s[0:3], 0 offset:364
	s_waitcnt vmcnt(4)
	ds_write_b128 v0, v[2:5]
.LBB47_259:
	s_or_b64 exec, exec, s[4:5]
	s_waitcnt lgkmcnt(0)
	; wave barrier
	s_waitcnt lgkmcnt(0)
	buffer_load_dword v26, off, s[0:3], 0 offset:368
	buffer_load_dword v27, off, s[0:3], 0 offset:372
	;; [unrolled: 1-line block ×24, first 2 shown]
	ds_read_b128 v[22:25], v1 offset:1120
	ds_read_b128 v[18:21], v1 offset:1136
	;; [unrolled: 1-line block ×6, first 2 shown]
	buffer_load_dword v51, off, s[0:3], 0 offset:476
	buffer_load_dword v50, off, s[0:3], 0 offset:472
	buffer_load_dword v53, off, s[0:3], 0 offset:468
	buffer_load_dword v52, off, s[0:3], 0 offset:464
	buffer_load_dword v55, off, s[0:3], 0 offset:460
	buffer_load_dword v54, off, s[0:3], 0 offset:456
	buffer_load_dword v57, off, s[0:3], 0 offset:452
	buffer_load_dword v56, off, s[0:3], 0 offset:448
	buffer_load_dword v59, off, s[0:3], 0 offset:508
	buffer_load_dword v58, off, s[0:3], 0 offset:504
	buffer_load_dword v61, off, s[0:3], 0 offset:500
	buffer_load_dword v60, off, s[0:3], 0 offset:496
	buffer_load_dword v63, off, s[0:3], 0 offset:492
	buffer_load_dword v62, off, s[0:3], 0 offset:488
	buffer_load_dword v65, off, s[0:3], 0 offset:484
	buffer_load_dword v64, off, s[0:3], 0 offset:480
	buffer_load_dword v67, off, s[0:3], 0 offset:540
	buffer_load_dword v66, off, s[0:3], 0 offset:536
	buffer_load_dword v69, off, s[0:3], 0 offset:532
	buffer_load_dword v68, off, s[0:3], 0 offset:528
	buffer_load_dword v71, off, s[0:3], 0 offset:524
	buffer_load_dword v70, off, s[0:3], 0 offset:520
	buffer_load_dword v73, off, s[0:3], 0 offset:516
	buffer_load_dword v72, off, s[0:3], 0 offset:512
	buffer_load_dword v75, off, s[0:3], 0 offset:572
	buffer_load_dword v74, off, s[0:3], 0 offset:568
	buffer_load_dword v77, off, s[0:3], 0 offset:564
	buffer_load_dword v76, off, s[0:3], 0 offset:560
	buffer_load_dword v79, off, s[0:3], 0 offset:556
	buffer_load_dword v78, off, s[0:3], 0 offset:552
	buffer_load_dword v81, off, s[0:3], 0 offset:548
	buffer_load_dword v80, off, s[0:3], 0 offset:544
	buffer_load_dword v83, off, s[0:3], 0 offset:604
	buffer_load_dword v82, off, s[0:3], 0 offset:600
	buffer_load_dword v85, off, s[0:3], 0 offset:596
	buffer_load_dword v84, off, s[0:3], 0 offset:592
	buffer_load_dword v87, off, s[0:3], 0 offset:588
	buffer_load_dword v86, off, s[0:3], 0 offset:584
	buffer_load_dword v89, off, s[0:3], 0 offset:580
	buffer_load_dword v88, off, s[0:3], 0 offset:576
	v_cmp_lt_u32_e32 vcc, 20, v254
	s_waitcnt vmcnt(34) lgkmcnt(0)
	v_mul_f64 v[120:121], v[14:15], v[54:55]
	s_waitcnt vmcnt(32)
	v_fmac_f64_e32 v[120:121], v[16:17], v[56:57]
	v_mul_f64 v[90:91], v[22:23], v[28:29]
	v_fmac_f64_e32 v[90:91], v[24:25], v[26:27]
	v_mul_f64 v[92:93], v[18:19], v[30:31]
	v_add_f64 v[90:91], v[90:91], 0
	v_mul_f64 v[94:95], v[10:11], v[32:33]
	v_mul_f64 v[24:25], v[24:25], v[28:29]
	;; [unrolled: 1-line block ×3, first 2 shown]
	v_fma_f64 v[22:23], v[22:23], v[26:27], -v[24:25]
	v_add_f64 v[22:23], v[22:23], 0
	v_mul_f64 v[96:97], v[6:7], v[42:43]
	v_fmac_f64_e32 v[92:93], v[20:21], v[48:49]
	v_add_f64 v[90:91], v[90:91], v[92:93]
	v_fmac_f64_e32 v[94:95], v[12:13], v[46:47]
	v_add_f64 v[90:91], v[90:91], v[94:95]
	;; [unrolled: 2-line block ×3, first 2 shown]
	buffer_load_dword v91, off, s[0:3], 0 offset:636
	buffer_load_dword v90, off, s[0:3], 0 offset:632
	;; [unrolled: 1-line block ×40, first 2 shown]
	v_fmac_f64_e32 v[114:115], v[4:5], v[40:41]
	v_add_f64 v[118:119], v[116:117], v[114:115]
	ds_read_b128 v[114:117], v1 offset:1216
	buffer_load_dword v211, off, s[0:3], 0 offset:780
	buffer_load_dword v210, off, s[0:3], 0 offset:776
	;; [unrolled: 1-line block ×4, first 2 shown]
	v_add_f64 v[122:123], v[118:119], v[120:121]
	ds_read_b128 v[118:121], v1 offset:1232
	v_mul_f64 v[20:21], v[20:21], v[30:31]
	s_waitcnt lgkmcnt(1)
	v_mul_f64 v[124:125], v[114:115], v[50:51]
	v_fmac_f64_e32 v[124:125], v[116:117], v[52:53]
	v_add_f64 v[126:127], v[122:123], v[124:125]
	ds_read_b128 v[122:125], v1 offset:1248
	s_waitcnt vmcnt(62) lgkmcnt(1)
	v_mul_f64 v[128:129], v[118:119], v[62:63]
	v_fmac_f64_e32 v[128:129], v[120:121], v[64:65]
	v_add_f64 v[130:131], v[126:127], v[128:129]
	ds_read_b128 v[126:129], v1 offset:1264
	s_waitcnt lgkmcnt(1)
	v_mul_f64 v[132:133], v[122:123], v[58:59]
	v_fmac_f64_e32 v[132:133], v[124:125], v[60:61]
	v_add_f64 v[134:135], v[130:131], v[132:133]
	ds_read_b128 v[130:133], v1 offset:1280
	s_waitcnt lgkmcnt(1)
	v_mul_f64 v[136:137], v[126:127], v[70:71]
	s_waitcnt vmcnt(60)
	v_fmac_f64_e32 v[136:137], v[128:129], v[72:73]
	v_add_f64 v[138:139], v[134:135], v[136:137]
	ds_read_b128 v[134:137], v1 offset:1296
	s_waitcnt lgkmcnt(1)
	v_mul_f64 v[140:141], v[130:131], v[66:67]
	v_fmac_f64_e32 v[140:141], v[132:133], v[68:69]
	v_add_f64 v[142:143], v[138:139], v[140:141]
	ds_read_b128 v[138:141], v1 offset:1312
	s_waitcnt vmcnt(54) lgkmcnt(1)
	v_mul_f64 v[144:145], v[134:135], v[78:79]
	s_waitcnt vmcnt(52)
	v_fmac_f64_e32 v[144:145], v[136:137], v[80:81]
	v_add_f64 v[146:147], v[142:143], v[144:145]
	ds_read_b128 v[142:145], v1 offset:1328
	s_waitcnt lgkmcnt(1)
	v_mul_f64 v[148:149], v[138:139], v[74:75]
	v_fmac_f64_e32 v[148:149], v[140:141], v[76:77]
	v_fma_f64 v[18:19], v[18:19], v[48:49], -v[20:21]
	v_mul_f64 v[12:13], v[12:13], v[32:33]
	v_add_f64 v[150:151], v[146:147], v[148:149]
	ds_read_b128 v[146:149], v1 offset:1344
	v_add_f64 v[18:19], v[22:23], v[18:19]
	v_fma_f64 v[10:11], v[10:11], v[46:47], -v[12:13]
	v_mul_f64 v[8:9], v[8:9], v[42:43]
	v_add_f64 v[10:11], v[18:19], v[10:11]
	v_fma_f64 v[6:7], v[6:7], v[44:45], -v[8:9]
	v_mul_f64 v[4:5], v[4:5], v[38:39]
	;; [unrolled: 3-line block ×3, first 2 shown]
	s_waitcnt vmcnt(46) lgkmcnt(1)
	v_mul_f64 v[152:153], v[142:143], v[86:87]
	v_add_f64 v[2:3], v[6:7], v[2:3]
	v_fma_f64 v[4:5], v[14:15], v[56:57], -v[4:5]
	s_waitcnt vmcnt(44)
	v_fmac_f64_e32 v[152:153], v[144:145], v[88:89]
	v_add_f64 v[2:3], v[2:3], v[4:5]
	v_mul_f64 v[4:5], v[116:117], v[50:51]
	v_add_f64 v[154:155], v[150:151], v[152:153]
	ds_read_b128 v[150:153], v1 offset:1360
	s_waitcnt lgkmcnt(1)
	v_mul_f64 v[156:157], v[146:147], v[82:83]
	v_fma_f64 v[4:5], v[114:115], v[52:53], -v[4:5]
	v_fmac_f64_e32 v[156:157], v[148:149], v[84:85]
	v_add_f64 v[2:3], v[2:3], v[4:5]
	v_mul_f64 v[4:5], v[120:121], v[62:63]
	v_add_f64 v[158:159], v[154:155], v[156:157]
	ds_read_b128 v[154:157], v1 offset:1376
	v_fma_f64 v[4:5], v[118:119], v[64:65], -v[4:5]
	v_add_f64 v[2:3], v[2:3], v[4:5]
	v_mul_f64 v[4:5], v[124:125], v[58:59]
	v_fma_f64 v[4:5], v[122:123], v[60:61], -v[4:5]
	s_waitcnt vmcnt(38) lgkmcnt(1)
	v_mul_f64 v[160:161], v[150:151], v[94:95]
	v_add_f64 v[2:3], v[2:3], v[4:5]
	v_mul_f64 v[4:5], v[128:129], v[70:71]
	s_waitcnt vmcnt(36)
	v_fmac_f64_e32 v[160:161], v[152:153], v[96:97]
	v_fma_f64 v[4:5], v[126:127], v[72:73], -v[4:5]
	v_add_f64 v[162:163], v[158:159], v[160:161]
	ds_read_b128 v[158:161], v1 offset:1392
	s_waitcnt lgkmcnt(1)
	v_mul_f64 v[164:165], v[154:155], v[90:91]
	v_add_f64 v[2:3], v[2:3], v[4:5]
	v_mul_f64 v[4:5], v[132:133], v[66:67]
	v_fmac_f64_e32 v[164:165], v[156:157], v[92:93]
	v_fma_f64 v[4:5], v[130:131], v[68:69], -v[4:5]
	v_add_f64 v[166:167], v[162:163], v[164:165]
	ds_read_b128 v[162:165], v1 offset:1408
	v_add_f64 v[2:3], v[2:3], v[4:5]
	v_mul_f64 v[4:5], v[136:137], v[78:79]
	v_fma_f64 v[4:5], v[134:135], v[80:81], -v[4:5]
	v_add_f64 v[2:3], v[2:3], v[4:5]
	v_mul_f64 v[4:5], v[140:141], v[74:75]
	s_waitcnt vmcnt(30) lgkmcnt(1)
	v_mul_f64 v[168:169], v[158:159], v[102:103]
	v_fma_f64 v[4:5], v[138:139], v[76:77], -v[4:5]
	s_waitcnt vmcnt(28)
	v_fmac_f64_e32 v[168:169], v[160:161], v[104:105]
	v_add_f64 v[2:3], v[2:3], v[4:5]
	v_mul_f64 v[4:5], v[144:145], v[86:87]
	v_add_f64 v[170:171], v[166:167], v[168:169]
	ds_read_b128 v[166:169], v1 offset:1424
	s_waitcnt lgkmcnt(1)
	v_mul_f64 v[172:173], v[162:163], v[98:99]
	v_fma_f64 v[4:5], v[142:143], v[88:89], -v[4:5]
	v_fmac_f64_e32 v[172:173], v[164:165], v[100:101]
	v_add_f64 v[2:3], v[2:3], v[4:5]
	v_mul_f64 v[4:5], v[148:149], v[82:83]
	v_add_f64 v[174:175], v[170:171], v[172:173]
	ds_read_b128 v[170:173], v1 offset:1440
	v_fma_f64 v[4:5], v[146:147], v[84:85], -v[4:5]
	v_add_f64 v[2:3], v[2:3], v[4:5]
	v_mul_f64 v[4:5], v[152:153], v[94:95]
	v_fma_f64 v[4:5], v[150:151], v[96:97], -v[4:5]
	s_waitcnt vmcnt(22) lgkmcnt(1)
	v_mul_f64 v[176:177], v[166:167], v[110:111]
	v_add_f64 v[2:3], v[2:3], v[4:5]
	v_mul_f64 v[4:5], v[156:157], v[90:91]
	s_waitcnt vmcnt(20)
	v_fmac_f64_e32 v[176:177], v[168:169], v[112:113]
	v_fma_f64 v[4:5], v[154:155], v[92:93], -v[4:5]
	v_add_f64 v[178:179], v[174:175], v[176:177]
	ds_read_b128 v[174:177], v1 offset:1456
	s_waitcnt lgkmcnt(1)
	v_mul_f64 v[180:181], v[170:171], v[106:107]
	v_add_f64 v[2:3], v[2:3], v[4:5]
	v_mul_f64 v[4:5], v[160:161], v[102:103]
	v_fmac_f64_e32 v[180:181], v[172:173], v[108:109]
	v_fma_f64 v[4:5], v[158:159], v[104:105], -v[4:5]
	v_add_f64 v[182:183], v[178:179], v[180:181]
	ds_read_b128 v[178:181], v1 offset:1472
	v_add_f64 v[2:3], v[2:3], v[4:5]
	v_mul_f64 v[4:5], v[164:165], v[98:99]
	v_fma_f64 v[4:5], v[162:163], v[100:101], -v[4:5]
	v_add_f64 v[2:3], v[2:3], v[4:5]
	v_mul_f64 v[4:5], v[168:169], v[110:111]
	s_waitcnt vmcnt(14) lgkmcnt(1)
	v_mul_f64 v[184:185], v[174:175], v[198:199]
	v_fma_f64 v[4:5], v[166:167], v[112:113], -v[4:5]
	s_waitcnt vmcnt(12)
	v_fmac_f64_e32 v[184:185], v[176:177], v[200:201]
	v_add_f64 v[2:3], v[2:3], v[4:5]
	v_mul_f64 v[4:5], v[172:173], v[106:107]
	v_add_f64 v[186:187], v[182:183], v[184:185]
	ds_read_b128 v[182:185], v1 offset:1488
	s_waitcnt lgkmcnt(1)
	v_mul_f64 v[188:189], v[178:179], v[194:195]
	v_fma_f64 v[4:5], v[170:171], v[108:109], -v[4:5]
	v_fmac_f64_e32 v[188:189], v[180:181], v[196:197]
	v_add_f64 v[2:3], v[2:3], v[4:5]
	v_mul_f64 v[4:5], v[176:177], v[198:199]
	v_add_f64 v[214:215], v[186:187], v[188:189]
	ds_read_b128 v[186:189], v1 offset:1504
	v_fma_f64 v[4:5], v[174:175], v[200:201], -v[4:5]
	v_add_f64 v[2:3], v[2:3], v[4:5]
	v_mul_f64 v[4:5], v[180:181], v[194:195]
	ds_read_b128 v[190:193], v1 offset:1520
	v_fma_f64 v[4:5], v[178:179], v[196:197], -v[4:5]
	v_add_f64 v[2:3], v[2:3], v[4:5]
	s_waitcnt vmcnt(6) lgkmcnt(2)
	v_mul_f64 v[4:5], v[184:185], v[206:207]
	v_mul_f64 v[216:217], v[182:183], v[206:207]
	s_waitcnt vmcnt(4)
	v_fma_f64 v[4:5], v[182:183], v[208:209], -v[4:5]
	v_fmac_f64_e32 v[216:217], v[184:185], v[208:209]
	v_add_f64 v[2:3], v[2:3], v[4:5]
	s_waitcnt lgkmcnt(1)
	v_mul_f64 v[4:5], v[188:189], v[202:203]
	v_add_f64 v[214:215], v[214:215], v[216:217]
	v_mul_f64 v[216:217], v[186:187], v[202:203]
	v_fma_f64 v[4:5], v[186:187], v[204:205], -v[4:5]
	v_fmac_f64_e32 v[216:217], v[188:189], v[204:205]
	v_add_f64 v[2:3], v[2:3], v[4:5]
	s_waitcnt vmcnt(2) lgkmcnt(0)
	v_mul_f64 v[4:5], v[192:193], v[210:211]
	v_add_f64 v[214:215], v[214:215], v[216:217]
	v_mul_f64 v[216:217], v[190:191], v[210:211]
	s_waitcnt vmcnt(0)
	v_fma_f64 v[4:5], v[190:191], v[212:213], -v[4:5]
	v_fmac_f64_e32 v[216:217], v[192:193], v[212:213]
	v_add_f64 v[2:3], v[2:3], v[4:5]
	v_add_f64 v[214:215], v[214:215], v[216:217]
	v_add_f64 v[2:3], v[36:37], -v[2:3]
	v_add_f64 v[4:5], v[34:35], -v[214:215]
	buffer_store_dword v3, off, s[0:3], 0 offset:356
	buffer_store_dword v2, off, s[0:3], 0 offset:352
	;; [unrolled: 1-line block ×4, first 2 shown]
	s_and_saveexec_b64 s[4:5], vcc
	s_cbranch_execz .LBB47_261
; %bb.260:
	v_accvgpr_read_b32 v0, a123
	buffer_load_dword v2, v0, s[0:3], 0 offen
	buffer_load_dword v3, v0, s[0:3], 0 offen offset:4
	buffer_load_dword v4, v0, s[0:3], 0 offen offset:8
	;; [unrolled: 1-line block ×3, first 2 shown]
	v_mov_b32_e32 v0, 0
	v_accvgpr_read_b32 v1, a144
	buffer_store_dword v0, off, s[0:3], 0 offset:336
	buffer_store_dword v0, off, s[0:3], 0 offset:340
	;; [unrolled: 1-line block ×4, first 2 shown]
	s_waitcnt vmcnt(4)
	ds_write_b128 v1, v[2:5]
.LBB47_261:
	s_or_b64 exec, exec, s[4:5]
	s_waitcnt lgkmcnt(0)
	; wave barrier
	s_waitcnt lgkmcnt(0)
	buffer_load_dword v30, off, s[0:3], 0 offset:352
	buffer_load_dword v31, off, s[0:3], 0 offset:356
	;; [unrolled: 1-line block ×56, first 2 shown]
	v_mov_b32_e32 v1, 0
	ds_read_b128 v[26:29], v1 offset:1104
	ds_read_b128 v[22:25], v1 offset:1120
	;; [unrolled: 1-line block ×7, first 2 shown]
	v_cmp_lt_u32_e32 vcc, 19, v254
	s_waitcnt vmcnt(52) lgkmcnt(6)
	v_mul_f64 v[86:87], v[26:27], v[34:35]
	v_fmac_f64_e32 v[86:87], v[28:29], v[30:31]
	v_add_f64 v[86:87], v[86:87], 0
	v_mul_f64 v[28:29], v[28:29], v[34:35]
	s_waitcnt vmcnt(48) lgkmcnt(5)
	v_mul_f64 v[88:89], v[22:23], v[36:37]
	v_fmac_f64_e32 v[88:89], v[24:25], v[32:33]
	s_waitcnt vmcnt(46) lgkmcnt(4)
	v_mul_f64 v[90:91], v[18:19], v[38:39]
	v_add_f64 v[86:87], v[86:87], v[88:89]
	s_waitcnt vmcnt(44) lgkmcnt(2)
	v_mul_f64 v[94:95], v[10:11], v[40:41]
	v_fma_f64 v[26:27], v[26:27], v[30:31], -v[28:29]
	s_waitcnt vmcnt(42)
	v_fmac_f64_e32 v[94:95], v[12:13], v[42:43]
	v_mul_f64 v[24:25], v[24:25], v[36:37]
	s_waitcnt vmcnt(40)
	v_mul_f64 v[92:93], v[14:15], v[48:49]
	v_add_f64 v[26:27], v[26:27], 0
	v_fma_f64 v[22:23], v[22:23], v[32:33], -v[24:25]
	v_add_f64 v[22:23], v[26:27], v[22:23]
	s_waitcnt vmcnt(36) lgkmcnt(1)
	v_mul_f64 v[110:111], v[6:7], v[54:55]
	v_mul_f64 v[12:13], v[12:13], v[40:41]
	s_waitcnt vmcnt(34)
	v_fmac_f64_e32 v[90:91], v[20:21], v[60:61]
	v_add_f64 v[86:87], v[86:87], v[90:91]
	s_waitcnt vmcnt(32)
	v_fmac_f64_e32 v[92:93], v[16:17], v[58:59]
	v_add_f64 v[86:87], v[86:87], v[92:93]
	v_add_f64 v[116:117], v[86:87], v[94:95]
	buffer_load_dword v87, off, s[0:3], 0 offset:588
	buffer_load_dword v86, off, s[0:3], 0 offset:584
	;; [unrolled: 1-line block ×56, first 2 shown]
	ds_read_b128 v[124:127], v1 offset:1216
	ds_read_b128 v[128:131], v1 offset:1232
	v_mul_f64 v[20:21], v[20:21], v[38:39]
	v_fma_f64 v[18:19], v[18:19], v[60:61], -v[20:21]
	v_mul_f64 v[16:17], v[16:17], v[48:49]
	s_waitcnt vmcnt(62)
	v_fmac_f64_e32 v[110:111], v[8:9], v[56:57]
	v_add_f64 v[18:19], v[22:23], v[18:19]
	v_fma_f64 v[14:15], v[14:15], v[58:59], -v[16:17]
	v_add_f64 v[110:111], v[116:117], v[110:111]
	s_waitcnt lgkmcnt(2)
	v_mul_f64 v[116:117], v[2:3], v[50:51]
	v_add_f64 v[14:15], v[18:19], v[14:15]
	v_fma_f64 v[10:11], v[10:11], v[42:43], -v[12:13]
	v_mul_f64 v[8:9], v[8:9], v[54:55]
	v_fmac_f64_e32 v[116:117], v[4:5], v[52:53]
	ds_read_b128 v[132:135], v1 offset:1248
	ds_read_b128 v[136:139], v1 offset:1264
	v_add_f64 v[10:11], v[14:15], v[10:11]
	v_fma_f64 v[6:7], v[6:7], v[56:57], -v[8:9]
	v_mul_f64 v[4:5], v[4:5], v[50:51]
	v_add_f64 v[6:7], v[10:11], v[6:7]
	v_fma_f64 v[2:3], v[2:3], v[52:53], -v[4:5]
	s_waitcnt lgkmcnt(3)
	v_mul_f64 v[4:5], v[126:127], v[66:67]
	v_add_f64 v[110:111], v[110:111], v[116:117]
	v_mul_f64 v[116:117], v[124:125], v[66:67]
	v_add_f64 v[2:3], v[6:7], v[2:3]
	v_fma_f64 v[4:5], v[124:125], v[68:69], -v[4:5]
	v_fmac_f64_e32 v[116:117], v[126:127], v[68:69]
	v_add_f64 v[2:3], v[2:3], v[4:5]
	s_waitcnt lgkmcnt(2)
	v_mul_f64 v[4:5], v[130:131], v[62:63]
	v_add_f64 v[110:111], v[110:111], v[116:117]
	v_mul_f64 v[116:117], v[128:129], v[62:63]
	ds_read_b128 v[140:143], v1 offset:1280
	ds_read_b128 v[144:147], v1 offset:1296
	v_fma_f64 v[4:5], v[128:129], v[64:65], -v[4:5]
	v_fmac_f64_e32 v[116:117], v[130:131], v[64:65]
	v_add_f64 v[2:3], v[2:3], v[4:5]
	s_waitcnt lgkmcnt(3)
	v_mul_f64 v[4:5], v[134:135], v[74:75]
	v_add_f64 v[110:111], v[110:111], v[116:117]
	v_mul_f64 v[116:117], v[132:133], v[74:75]
	v_fma_f64 v[4:5], v[132:133], v[76:77], -v[4:5]
	v_fmac_f64_e32 v[116:117], v[134:135], v[76:77]
	v_add_f64 v[2:3], v[2:3], v[4:5]
	s_waitcnt lgkmcnt(2)
	v_mul_f64 v[4:5], v[138:139], v[70:71]
	v_add_f64 v[110:111], v[110:111], v[116:117]
	v_mul_f64 v[116:117], v[136:137], v[70:71]
	ds_read_b128 v[148:151], v1 offset:1312
	ds_read_b128 v[152:155], v1 offset:1328
	v_fma_f64 v[4:5], v[136:137], v[72:73], -v[4:5]
	v_fmac_f64_e32 v[116:117], v[138:139], v[72:73]
	v_add_f64 v[2:3], v[2:3], v[4:5]
	s_waitcnt vmcnt(58) lgkmcnt(3)
	v_mul_f64 v[4:5], v[142:143], v[82:83]
	v_add_f64 v[110:111], v[110:111], v[116:117]
	v_mul_f64 v[116:117], v[140:141], v[82:83]
	s_waitcnt vmcnt(56)
	v_fma_f64 v[4:5], v[140:141], v[84:85], -v[4:5]
	v_fmac_f64_e32 v[116:117], v[142:143], v[84:85]
	v_add_f64 v[2:3], v[2:3], v[4:5]
	s_waitcnt lgkmcnt(2)
	v_mul_f64 v[4:5], v[146:147], v[78:79]
	v_add_f64 v[110:111], v[110:111], v[116:117]
	v_mul_f64 v[116:117], v[144:145], v[78:79]
	ds_read_b128 v[156:159], v1 offset:1344
	ds_read_b128 v[160:163], v1 offset:1360
	v_fma_f64 v[4:5], v[144:145], v[80:81], -v[4:5]
	v_fmac_f64_e32 v[116:117], v[146:147], v[80:81]
	v_add_f64 v[2:3], v[2:3], v[4:5]
	s_waitcnt vmcnt(50) lgkmcnt(3)
	v_mul_f64 v[4:5], v[150:151], v[90:91]
	v_add_f64 v[110:111], v[110:111], v[116:117]
	v_mul_f64 v[116:117], v[148:149], v[90:91]
	s_waitcnt vmcnt(48)
	;; [unrolled: 17-line block ×7, first 2 shown]
	v_fma_f64 v[4:5], v[188:189], v[216:217], -v[4:5]
	v_fmac_f64_e32 v[116:117], v[190:191], v[216:217]
	v_add_f64 v[2:3], v[2:3], v[4:5]
	s_waitcnt lgkmcnt(2)
	v_mul_f64 v[4:5], v[194:195], v[210:211]
	v_add_f64 v[110:111], v[110:111], v[116:117]
	v_mul_f64 v[116:117], v[192:193], v[210:211]
	v_fma_f64 v[4:5], v[192:193], v[212:213], -v[4:5]
	v_fmac_f64_e32 v[116:117], v[194:195], v[212:213]
	v_add_f64 v[2:3], v[2:3], v[4:5]
	s_waitcnt vmcnt(2) lgkmcnt(1)
	v_mul_f64 v[4:5], v[200:201], v[222:223]
	v_add_f64 v[110:111], v[110:111], v[116:117]
	v_mul_f64 v[116:117], v[198:199], v[222:223]
	s_waitcnt vmcnt(0)
	v_fma_f64 v[4:5], v[198:199], v[224:225], -v[4:5]
	v_fmac_f64_e32 v[116:117], v[200:201], v[224:225]
	v_add_f64 v[2:3], v[2:3], v[4:5]
	s_waitcnt lgkmcnt(0)
	v_mul_f64 v[4:5], v[204:205], v[218:219]
	v_add_f64 v[110:111], v[110:111], v[116:117]
	v_mul_f64 v[116:117], v[202:203], v[218:219]
	v_fma_f64 v[4:5], v[202:203], v[220:221], -v[4:5]
	v_fmac_f64_e32 v[116:117], v[204:205], v[220:221]
	v_add_f64 v[2:3], v[2:3], v[4:5]
	v_add_f64 v[110:111], v[110:111], v[116:117]
	v_add_f64 v[2:3], v[46:47], -v[2:3]
	v_add_f64 v[4:5], v[44:45], -v[110:111]
	buffer_store_dword v3, off, s[0:3], 0 offset:340
	buffer_store_dword v2, off, s[0:3], 0 offset:336
	;; [unrolled: 1-line block ×4, first 2 shown]
	s_and_saveexec_b64 s[4:5], vcc
	s_cbranch_execz .LBB47_263
; %bb.262:
	v_accvgpr_read_b32 v0, a124
	buffer_load_dword v2, v0, s[0:3], 0 offen
	buffer_load_dword v3, v0, s[0:3], 0 offen offset:4
	buffer_load_dword v4, v0, s[0:3], 0 offen offset:8
	;; [unrolled: 1-line block ×3, first 2 shown]
	v_accvgpr_read_b32 v0, a144
	buffer_store_dword v1, off, s[0:3], 0 offset:320
	buffer_store_dword v1, off, s[0:3], 0 offset:324
	;; [unrolled: 1-line block ×4, first 2 shown]
	s_waitcnt vmcnt(4)
	ds_write_b128 v0, v[2:5]
.LBB47_263:
	s_or_b64 exec, exec, s[4:5]
	s_waitcnt lgkmcnt(0)
	; wave barrier
	s_waitcnt lgkmcnt(0)
	buffer_load_dword v34, off, s[0:3], 0 offset:336
	buffer_load_dword v35, off, s[0:3], 0 offset:340
	;; [unrolled: 1-line block ×32, first 2 shown]
	ds_read_b128 v[30:33], v1 offset:1088
	ds_read_b128 v[26:29], v1 offset:1104
	;; [unrolled: 1-line block ×8, first 2 shown]
	buffer_load_dword v67, off, s[0:3], 0 offset:476
	buffer_load_dword v66, off, s[0:3], 0 offset:472
	buffer_load_dword v69, off, s[0:3], 0 offset:468
	buffer_load_dword v68, off, s[0:3], 0 offset:464
	buffer_load_dword v71, off, s[0:3], 0 offset:460
	buffer_load_dword v70, off, s[0:3], 0 offset:456
	buffer_load_dword v73, off, s[0:3], 0 offset:452
	buffer_load_dword v72, off, s[0:3], 0 offset:448
	buffer_load_dword v75, off, s[0:3], 0 offset:508
	buffer_load_dword v74, off, s[0:3], 0 offset:504
	buffer_load_dword v77, off, s[0:3], 0 offset:500
	buffer_load_dword v76, off, s[0:3], 0 offset:496
	buffer_load_dword v79, off, s[0:3], 0 offset:492
	buffer_load_dword v78, off, s[0:3], 0 offset:488
	buffer_load_dword v81, off, s[0:3], 0 offset:484
	buffer_load_dword v80, off, s[0:3], 0 offset:480
	buffer_load_dword v83, off, s[0:3], 0 offset:540
	buffer_load_dword v82, off, s[0:3], 0 offset:536
	buffer_load_dword v85, off, s[0:3], 0 offset:532
	buffer_load_dword v84, off, s[0:3], 0 offset:528
	buffer_load_dword v87, off, s[0:3], 0 offset:524
	buffer_load_dword v86, off, s[0:3], 0 offset:520
	buffer_load_dword v89, off, s[0:3], 0 offset:516
	buffer_load_dword v88, off, s[0:3], 0 offset:512
	v_cmp_lt_u32_e32 vcc, 18, v254
	s_waitcnt vmcnt(52) lgkmcnt(7)
	v_mul_f64 v[90:91], v[30:31], v[38:39]
	v_fmac_f64_e32 v[90:91], v[32:33], v[34:35]
	v_add_f64 v[90:91], v[90:91], 0
	v_mul_f64 v[32:33], v[32:33], v[38:39]
	s_waitcnt vmcnt(48) lgkmcnt(6)
	v_mul_f64 v[92:93], v[26:27], v[40:41]
	v_fmac_f64_e32 v[92:93], v[28:29], v[36:37]
	s_waitcnt vmcnt(46) lgkmcnt(5)
	v_mul_f64 v[94:95], v[22:23], v[42:43]
	v_add_f64 v[90:91], v[90:91], v[92:93]
	s_waitcnt vmcnt(44) lgkmcnt(4)
	v_mul_f64 v[96:97], v[18:19], v[48:49]
	v_fma_f64 v[30:31], v[30:31], v[34:35], -v[32:33]
	s_waitcnt vmcnt(42) lgkmcnt(1)
	v_mul_f64 v[122:123], v[2:3], v[50:51]
	v_mul_f64 v[28:29], v[28:29], v[40:41]
	s_waitcnt vmcnt(18) lgkmcnt(0)
	v_mul_f64 v[136:137], v[14:15], v[70:71]
	v_mul_f64 v[100:101], v[6:7], v[54:55]
	s_waitcnt vmcnt(16)
	v_fmac_f64_e32 v[136:137], v[16:17], v[72:73]
	v_mul_f64 v[98:99], v[10:11], v[56:57]
	v_add_f64 v[30:31], v[30:31], 0
	v_fmac_f64_e32 v[98:99], v[12:13], v[58:59]
	v_fma_f64 v[26:27], v[26:27], v[36:37], -v[28:29]
	v_fmac_f64_e32 v[94:95], v[24:25], v[64:65]
	v_add_f64 v[90:91], v[90:91], v[94:95]
	v_fmac_f64_e32 v[96:97], v[20:21], v[62:63]
	v_add_f64 v[90:91], v[90:91], v[96:97]
	;; [unrolled: 2-line block ×3, first 2 shown]
	v_add_f64 v[124:125], v[90:91], v[100:101]
	buffer_load_dword v91, off, s[0:3], 0 offset:572
	buffer_load_dword v90, off, s[0:3], 0 offset:568
	;; [unrolled: 1-line block ×56, first 2 shown]
	v_fmac_f64_e32 v[122:123], v[4:5], v[52:53]
	v_add_f64 v[134:135], v[124:125], v[122:123]
	ds_read_b128 v[122:125], v1 offset:1216
	buffer_load_dword v227, off, s[0:3], 0 offset:780
	buffer_load_dword v226, off, s[0:3], 0 offset:776
	;; [unrolled: 1-line block ×4, first 2 shown]
	v_add_f64 v[138:139], v[134:135], v[136:137]
	ds_read_b128 v[134:137], v1 offset:1232
	v_mul_f64 v[24:25], v[24:25], v[42:43]
	s_waitcnt lgkmcnt(1)
	v_mul_f64 v[140:141], v[122:123], v[66:67]
	v_fmac_f64_e32 v[140:141], v[124:125], v[68:69]
	v_add_f64 v[142:143], v[138:139], v[140:141]
	ds_read_b128 v[138:141], v1 offset:1248
	s_waitcnt vmcnt(62) lgkmcnt(1)
	v_mul_f64 v[144:145], v[134:135], v[78:79]
	v_fmac_f64_e32 v[144:145], v[136:137], v[80:81]
	v_add_f64 v[146:147], v[142:143], v[144:145]
	ds_read_b128 v[142:145], v1 offset:1264
	s_waitcnt lgkmcnt(1)
	v_mul_f64 v[148:149], v[138:139], v[74:75]
	v_fmac_f64_e32 v[148:149], v[140:141], v[76:77]
	v_add_f64 v[150:151], v[146:147], v[148:149]
	ds_read_b128 v[146:149], v1 offset:1280
	s_waitcnt lgkmcnt(1)
	v_mul_f64 v[152:153], v[142:143], v[86:87]
	s_waitcnt vmcnt(60)
	v_fmac_f64_e32 v[152:153], v[144:145], v[88:89]
	v_add_f64 v[154:155], v[150:151], v[152:153]
	ds_read_b128 v[150:153], v1 offset:1296
	s_waitcnt lgkmcnt(1)
	v_mul_f64 v[156:157], v[146:147], v[82:83]
	v_fmac_f64_e32 v[156:157], v[148:149], v[84:85]
	v_add_f64 v[158:159], v[154:155], v[156:157]
	ds_read_b128 v[154:157], v1 offset:1312
	v_add_f64 v[26:27], v[30:31], v[26:27]
	v_fma_f64 v[22:23], v[22:23], v[64:65], -v[24:25]
	s_waitcnt vmcnt(54) lgkmcnt(1)
	v_mul_f64 v[160:161], v[150:151], v[94:95]
	v_mul_f64 v[20:21], v[20:21], v[48:49]
	s_waitcnt vmcnt(52)
	v_fmac_f64_e32 v[160:161], v[152:153], v[96:97]
	v_add_f64 v[162:163], v[158:159], v[160:161]
	ds_read_b128 v[158:161], v1 offset:1328
	s_waitcnt lgkmcnt(1)
	v_mul_f64 v[164:165], v[154:155], v[90:91]
	v_fmac_f64_e32 v[164:165], v[156:157], v[92:93]
	v_add_f64 v[22:23], v[26:27], v[22:23]
	v_fma_f64 v[18:19], v[18:19], v[62:63], -v[20:21]
	v_mul_f64 v[12:13], v[12:13], v[56:57]
	v_add_f64 v[166:167], v[162:163], v[164:165]
	ds_read_b128 v[162:165], v1 offset:1344
	v_add_f64 v[18:19], v[22:23], v[18:19]
	v_fma_f64 v[10:11], v[10:11], v[58:59], -v[12:13]
	v_mul_f64 v[8:9], v[8:9], v[54:55]
	v_add_f64 v[10:11], v[18:19], v[10:11]
	v_fma_f64 v[6:7], v[6:7], v[60:61], -v[8:9]
	v_mul_f64 v[4:5], v[4:5], v[50:51]
	;; [unrolled: 3-line block ×3, first 2 shown]
	s_waitcnt vmcnt(46) lgkmcnt(1)
	v_mul_f64 v[168:169], v[158:159], v[102:103]
	v_add_f64 v[2:3], v[6:7], v[2:3]
	v_fma_f64 v[4:5], v[14:15], v[72:73], -v[4:5]
	s_waitcnt vmcnt(44)
	v_fmac_f64_e32 v[168:169], v[160:161], v[104:105]
	v_add_f64 v[2:3], v[2:3], v[4:5]
	v_mul_f64 v[4:5], v[124:125], v[66:67]
	v_add_f64 v[170:171], v[166:167], v[168:169]
	ds_read_b128 v[166:169], v1 offset:1360
	s_waitcnt lgkmcnt(1)
	v_mul_f64 v[172:173], v[162:163], v[98:99]
	v_fma_f64 v[4:5], v[122:123], v[68:69], -v[4:5]
	v_fmac_f64_e32 v[172:173], v[164:165], v[100:101]
	v_add_f64 v[2:3], v[2:3], v[4:5]
	v_mul_f64 v[4:5], v[136:137], v[78:79]
	v_add_f64 v[174:175], v[170:171], v[172:173]
	ds_read_b128 v[170:173], v1 offset:1376
	v_fma_f64 v[4:5], v[134:135], v[80:81], -v[4:5]
	v_add_f64 v[2:3], v[2:3], v[4:5]
	v_mul_f64 v[4:5], v[140:141], v[74:75]
	v_fma_f64 v[4:5], v[138:139], v[76:77], -v[4:5]
	s_waitcnt vmcnt(38) lgkmcnt(1)
	v_mul_f64 v[176:177], v[166:167], v[110:111]
	v_add_f64 v[2:3], v[2:3], v[4:5]
	v_mul_f64 v[4:5], v[144:145], v[86:87]
	s_waitcnt vmcnt(36)
	v_fmac_f64_e32 v[176:177], v[168:169], v[112:113]
	v_fma_f64 v[4:5], v[142:143], v[88:89], -v[4:5]
	v_add_f64 v[178:179], v[174:175], v[176:177]
	ds_read_b128 v[174:177], v1 offset:1392
	s_waitcnt lgkmcnt(1)
	v_mul_f64 v[180:181], v[170:171], v[106:107]
	v_add_f64 v[2:3], v[2:3], v[4:5]
	v_mul_f64 v[4:5], v[148:149], v[82:83]
	v_fmac_f64_e32 v[180:181], v[172:173], v[108:109]
	v_fma_f64 v[4:5], v[146:147], v[84:85], -v[4:5]
	v_add_f64 v[182:183], v[178:179], v[180:181]
	ds_read_b128 v[178:181], v1 offset:1408
	v_add_f64 v[2:3], v[2:3], v[4:5]
	v_mul_f64 v[4:5], v[152:153], v[94:95]
	v_fma_f64 v[4:5], v[150:151], v[96:97], -v[4:5]
	v_add_f64 v[2:3], v[2:3], v[4:5]
	v_mul_f64 v[4:5], v[156:157], v[90:91]
	s_waitcnt vmcnt(30) lgkmcnt(1)
	v_mul_f64 v[184:185], v[174:175], v[118:119]
	v_fma_f64 v[4:5], v[154:155], v[92:93], -v[4:5]
	s_waitcnt vmcnt(28)
	v_fmac_f64_e32 v[184:185], v[176:177], v[120:121]
	v_add_f64 v[2:3], v[2:3], v[4:5]
	v_mul_f64 v[4:5], v[160:161], v[102:103]
	v_add_f64 v[186:187], v[182:183], v[184:185]
	ds_read_b128 v[182:185], v1 offset:1424
	s_waitcnt lgkmcnt(1)
	v_mul_f64 v[188:189], v[178:179], v[114:115]
	v_fma_f64 v[4:5], v[158:159], v[104:105], -v[4:5]
	v_fmac_f64_e32 v[188:189], v[180:181], v[116:117]
	v_add_f64 v[2:3], v[2:3], v[4:5]
	v_mul_f64 v[4:5], v[164:165], v[98:99]
	v_add_f64 v[190:191], v[186:187], v[188:189]
	ds_read_b128 v[186:189], v1 offset:1440
	v_fma_f64 v[4:5], v[162:163], v[100:101], -v[4:5]
	v_add_f64 v[2:3], v[2:3], v[4:5]
	v_mul_f64 v[4:5], v[168:169], v[110:111]
	v_fma_f64 v[4:5], v[166:167], v[112:113], -v[4:5]
	s_waitcnt vmcnt(22) lgkmcnt(1)
	v_mul_f64 v[192:193], v[182:183], v[130:131]
	v_add_f64 v[2:3], v[2:3], v[4:5]
	v_mul_f64 v[4:5], v[172:173], v[106:107]
	s_waitcnt vmcnt(20)
	v_fmac_f64_e32 v[192:193], v[184:185], v[132:133]
	v_fma_f64 v[4:5], v[170:171], v[108:109], -v[4:5]
	v_add_f64 v[198:199], v[190:191], v[192:193]
	ds_read_b128 v[190:193], v1 offset:1456
	s_waitcnt lgkmcnt(1)
	v_mul_f64 v[200:201], v[186:187], v[126:127]
	v_add_f64 v[2:3], v[2:3], v[4:5]
	v_mul_f64 v[4:5], v[176:177], v[118:119]
	v_fmac_f64_e32 v[200:201], v[188:189], v[128:129]
	v_fma_f64 v[4:5], v[174:175], v[120:121], -v[4:5]
	v_add_f64 v[202:203], v[198:199], v[200:201]
	ds_read_b128 v[198:201], v1 offset:1472
	v_add_f64 v[2:3], v[2:3], v[4:5]
	v_mul_f64 v[4:5], v[180:181], v[114:115]
	v_fma_f64 v[4:5], v[178:179], v[116:117], -v[4:5]
	v_add_f64 v[2:3], v[2:3], v[4:5]
	v_mul_f64 v[4:5], v[184:185], v[130:131]
	s_waitcnt vmcnt(14) lgkmcnt(1)
	v_mul_f64 v[204:205], v[190:191], v[206:207]
	v_fma_f64 v[4:5], v[182:183], v[132:133], -v[4:5]
	s_waitcnt vmcnt(12)
	v_fmac_f64_e32 v[204:205], v[192:193], v[208:209]
	v_add_f64 v[2:3], v[2:3], v[4:5]
	v_mul_f64 v[4:5], v[188:189], v[126:127]
	v_add_f64 v[214:215], v[202:203], v[204:205]
	ds_read_b128 v[202:205], v1 offset:1488
	s_waitcnt lgkmcnt(1)
	v_mul_f64 v[216:217], v[198:199], v[194:195]
	v_fma_f64 v[4:5], v[186:187], v[128:129], -v[4:5]
	v_fmac_f64_e32 v[216:217], v[200:201], v[196:197]
	v_add_f64 v[2:3], v[2:3], v[4:5]
	v_mul_f64 v[4:5], v[192:193], v[206:207]
	v_add_f64 v[230:231], v[214:215], v[216:217]
	ds_read_b128 v[214:217], v1 offset:1504
	v_fma_f64 v[4:5], v[190:191], v[208:209], -v[4:5]
	v_add_f64 v[2:3], v[2:3], v[4:5]
	v_mul_f64 v[4:5], v[200:201], v[194:195]
	ds_read_b128 v[218:221], v1 offset:1520
	v_fma_f64 v[4:5], v[198:199], v[196:197], -v[4:5]
	v_add_f64 v[2:3], v[2:3], v[4:5]
	s_waitcnt vmcnt(6) lgkmcnt(2)
	v_mul_f64 v[4:5], v[204:205], v[222:223]
	v_mul_f64 v[232:233], v[202:203], v[222:223]
	s_waitcnt vmcnt(4)
	v_fma_f64 v[4:5], v[202:203], v[224:225], -v[4:5]
	v_fmac_f64_e32 v[232:233], v[204:205], v[224:225]
	v_add_f64 v[2:3], v[2:3], v[4:5]
	s_waitcnt lgkmcnt(1)
	v_mul_f64 v[4:5], v[216:217], v[210:211]
	v_add_f64 v[230:231], v[230:231], v[232:233]
	v_mul_f64 v[232:233], v[214:215], v[210:211]
	v_fma_f64 v[4:5], v[214:215], v[212:213], -v[4:5]
	v_fmac_f64_e32 v[232:233], v[216:217], v[212:213]
	v_add_f64 v[2:3], v[2:3], v[4:5]
	s_waitcnt vmcnt(2) lgkmcnt(0)
	v_mul_f64 v[4:5], v[220:221], v[226:227]
	v_add_f64 v[230:231], v[230:231], v[232:233]
	v_mul_f64 v[232:233], v[218:219], v[226:227]
	s_waitcnt vmcnt(0)
	v_fma_f64 v[4:5], v[218:219], v[228:229], -v[4:5]
	v_fmac_f64_e32 v[232:233], v[220:221], v[228:229]
	v_add_f64 v[2:3], v[2:3], v[4:5]
	v_add_f64 v[230:231], v[230:231], v[232:233]
	v_add_f64 v[2:3], v[46:47], -v[2:3]
	v_add_f64 v[4:5], v[44:45], -v[230:231]
	buffer_store_dword v3, off, s[0:3], 0 offset:324
	buffer_store_dword v2, off, s[0:3], 0 offset:320
	;; [unrolled: 1-line block ×4, first 2 shown]
	s_and_saveexec_b64 s[4:5], vcc
	s_cbranch_execz .LBB47_265
; %bb.264:
	v_accvgpr_read_b32 v0, a125
	buffer_load_dword v2, v0, s[0:3], 0 offen
	buffer_load_dword v3, v0, s[0:3], 0 offen offset:4
	buffer_load_dword v4, v0, s[0:3], 0 offen offset:8
	;; [unrolled: 1-line block ×3, first 2 shown]
	v_mov_b32_e32 v0, 0
	v_accvgpr_read_b32 v1, a144
	buffer_store_dword v0, off, s[0:3], 0 offset:304
	buffer_store_dword v0, off, s[0:3], 0 offset:308
	;; [unrolled: 1-line block ×4, first 2 shown]
	s_waitcnt vmcnt(4)
	ds_write_b128 v1, v[2:5]
.LBB47_265:
	s_or_b64 exec, exec, s[4:5]
	s_waitcnt lgkmcnt(0)
	; wave barrier
	s_waitcnt lgkmcnt(0)
	buffer_load_dword v38, off, s[0:3], 0 offset:320
	buffer_load_dword v39, off, s[0:3], 0 offset:324
	;; [unrolled: 1-line block ×48, first 2 shown]
	v_mov_b32_e32 v1, 0
	ds_read_b128 v[34:37], v1 offset:1072
	ds_read_b128 v[30:33], v1 offset:1088
	;; [unrolled: 1-line block ×9, first 2 shown]
	v_cmp_lt_u32_e32 vcc, 17, v254
	s_waitcnt vmcnt(44) lgkmcnt(8)
	v_mul_f64 v[86:87], v[34:35], v[42:43]
	v_fmac_f64_e32 v[86:87], v[36:37], v[38:39]
	v_add_f64 v[86:87], v[86:87], 0
	v_mul_f64 v[36:37], v[36:37], v[42:43]
	s_waitcnt vmcnt(40) lgkmcnt(7)
	v_mul_f64 v[88:89], v[30:31], v[44:45]
	v_fmac_f64_e32 v[88:89], v[32:33], v[40:41]
	s_waitcnt vmcnt(38) lgkmcnt(6)
	v_mul_f64 v[90:91], v[26:27], v[46:47]
	v_add_f64 v[86:87], v[86:87], v[88:89]
	s_waitcnt vmcnt(36) lgkmcnt(4)
	v_mul_f64 v[94:95], v[18:19], v[48:49]
	v_fma_f64 v[34:35], v[34:35], v[38:39], -v[36:37]
	s_waitcnt vmcnt(34)
	v_fmac_f64_e32 v[94:95], v[20:21], v[50:51]
	v_mul_f64 v[32:33], v[32:33], v[44:45]
	s_waitcnt vmcnt(32)
	v_mul_f64 v[92:93], v[22:23], v[52:53]
	v_add_f64 v[34:35], v[34:35], 0
	s_waitcnt vmcnt(30) lgkmcnt(2)
	v_mul_f64 v[98:99], v[10:11], v[54:55]
	v_fma_f64 v[30:31], v[30:31], v[40:41], -v[32:33]
	s_waitcnt vmcnt(28)
	v_fmac_f64_e32 v[98:99], v[12:13], v[56:57]
	v_add_f64 v[30:31], v[34:35], v[30:31]
	s_waitcnt vmcnt(26)
	v_mul_f64 v[96:97], v[14:15], v[58:59]
	v_mul_f64 v[20:21], v[20:21], v[48:49]
	v_fma_f64 v[18:19], v[18:19], v[50:51], -v[20:21]
	v_mul_f64 v[12:13], v[12:13], v[54:55]
	s_waitcnt vmcnt(22) lgkmcnt(1)
	v_mul_f64 v[110:111], v[6:7], v[68:69]
	v_fma_f64 v[10:11], v[10:11], v[56:57], -v[12:13]
	s_waitcnt vmcnt(20)
	v_fmac_f64_e32 v[90:91], v[28:29], v[76:77]
	v_add_f64 v[86:87], v[86:87], v[90:91]
	s_waitcnt vmcnt(18)
	v_fmac_f64_e32 v[92:93], v[24:25], v[74:75]
	v_add_f64 v[86:87], v[86:87], v[92:93]
	s_waitcnt vmcnt(16)
	v_fmac_f64_e32 v[96:97], v[16:17], v[72:73]
	v_add_f64 v[86:87], v[86:87], v[94:95]
	v_add_f64 v[86:87], v[86:87], v[96:97]
	v_add_f64 v[112:113], v[86:87], v[98:99]
	buffer_load_dword v87, off, s[0:3], 0 offset:524
	buffer_load_dword v86, off, s[0:3], 0 offset:520
	;; [unrolled: 1-line block ×72, first 2 shown]
	s_waitcnt vmcnt(62)
	v_fmac_f64_e32 v[110:111], v[8:9], v[70:71]
	v_add_f64 v[142:143], v[112:113], v[110:111]
	ds_read_b128 v[110:113], v1 offset:1216
	s_waitcnt lgkmcnt(1)
	v_mul_f64 v[144:145], v[2:3], v[64:65]
	v_fmac_f64_e32 v[144:145], v[4:5], v[66:67]
	v_add_f64 v[146:147], v[142:143], v[144:145]
	ds_read_b128 v[142:145], v1 offset:1232
	s_waitcnt lgkmcnt(1)
	v_mul_f64 v[148:149], v[110:111], v[82:83]
	;; [unrolled: 5-line block ×5, first 2 shown]
	v_fmac_f64_e32 v[160:161], v[152:153], v[88:89]
	v_add_f64 v[162:163], v[158:159], v[160:161]
	ds_read_b128 v[158:161], v1 offset:1296
	s_waitcnt vmcnt(58) lgkmcnt(1)
	v_mul_f64 v[164:165], v[154:155], v[98:99]
	s_waitcnt vmcnt(56)
	v_fmac_f64_e32 v[164:165], v[156:157], v[100:101]
	v_add_f64 v[166:167], v[162:163], v[164:165]
	ds_read_b128 v[162:165], v1 offset:1312
	s_waitcnt lgkmcnt(1)
	v_mul_f64 v[168:169], v[158:159], v[94:95]
	v_fmac_f64_e32 v[168:169], v[160:161], v[96:97]
	v_mul_f64 v[28:29], v[28:29], v[46:47]
	v_add_f64 v[170:171], v[166:167], v[168:169]
	ds_read_b128 v[166:169], v1 offset:1328
	s_waitcnt vmcnt(50) lgkmcnt(1)
	v_mul_f64 v[172:173], v[162:163], v[106:107]
	v_fma_f64 v[26:27], v[26:27], v[76:77], -v[28:29]
	v_mul_f64 v[24:25], v[24:25], v[52:53]
	s_waitcnt vmcnt(48)
	v_fmac_f64_e32 v[172:173], v[164:165], v[108:109]
	v_add_f64 v[26:27], v[30:31], v[26:27]
	v_fma_f64 v[22:23], v[22:23], v[74:75], -v[24:25]
	v_add_f64 v[174:175], v[170:171], v[172:173]
	ds_read_b128 v[170:173], v1 offset:1344
	v_add_f64 v[22:23], v[26:27], v[22:23]
	v_mul_f64 v[16:17], v[16:17], v[58:59]
	v_add_f64 v[18:19], v[22:23], v[18:19]
	v_fma_f64 v[14:15], v[14:15], v[72:73], -v[16:17]
	v_add_f64 v[14:15], v[18:19], v[14:15]
	v_mul_f64 v[8:9], v[8:9], v[68:69]
	s_waitcnt lgkmcnt(1)
	v_mul_f64 v[176:177], v[166:167], v[102:103]
	v_add_f64 v[10:11], v[14:15], v[10:11]
	v_fma_f64 v[6:7], v[6:7], v[70:71], -v[8:9]
	v_mul_f64 v[4:5], v[4:5], v[64:65]
	v_fmac_f64_e32 v[176:177], v[168:169], v[104:105]
	v_add_f64 v[6:7], v[10:11], v[6:7]
	v_fma_f64 v[2:3], v[2:3], v[66:67], -v[4:5]
	v_mul_f64 v[4:5], v[112:113], v[82:83]
	v_add_f64 v[178:179], v[174:175], v[176:177]
	ds_read_b128 v[174:177], v1 offset:1360
	s_waitcnt vmcnt(42) lgkmcnt(1)
	v_mul_f64 v[180:181], v[170:171], v[118:119]
	v_add_f64 v[2:3], v[6:7], v[2:3]
	v_fma_f64 v[4:5], v[110:111], v[84:85], -v[4:5]
	s_waitcnt vmcnt(40)
	v_fmac_f64_e32 v[180:181], v[172:173], v[120:121]
	v_add_f64 v[2:3], v[2:3], v[4:5]
	v_mul_f64 v[4:5], v[144:145], v[78:79]
	v_add_f64 v[182:183], v[178:179], v[180:181]
	ds_read_b128 v[178:181], v1 offset:1376
	v_fma_f64 v[4:5], v[142:143], v[80:81], -v[4:5]
	v_add_f64 v[2:3], v[2:3], v[4:5]
	v_mul_f64 v[4:5], v[148:149], v[90:91]
	v_fma_f64 v[4:5], v[146:147], v[92:93], -v[4:5]
	s_waitcnt lgkmcnt(1)
	v_mul_f64 v[184:185], v[174:175], v[114:115]
	v_add_f64 v[2:3], v[2:3], v[4:5]
	v_mul_f64 v[4:5], v[152:153], v[86:87]
	v_fmac_f64_e32 v[184:185], v[176:177], v[116:117]
	v_fma_f64 v[4:5], v[150:151], v[88:89], -v[4:5]
	v_add_f64 v[186:187], v[182:183], v[184:185]
	ds_read_b128 v[182:185], v1 offset:1392
	s_waitcnt vmcnt(34) lgkmcnt(1)
	v_mul_f64 v[188:189], v[178:179], v[126:127]
	v_add_f64 v[2:3], v[2:3], v[4:5]
	v_mul_f64 v[4:5], v[156:157], v[98:99]
	s_waitcnt vmcnt(32)
	v_fmac_f64_e32 v[188:189], v[180:181], v[128:129]
	v_fma_f64 v[4:5], v[154:155], v[100:101], -v[4:5]
	v_add_f64 v[190:191], v[186:187], v[188:189]
	ds_read_b128 v[186:189], v1 offset:1408
	v_add_f64 v[2:3], v[2:3], v[4:5]
	v_mul_f64 v[4:5], v[160:161], v[94:95]
	v_fma_f64 v[4:5], v[158:159], v[96:97], -v[4:5]
	v_add_f64 v[2:3], v[2:3], v[4:5]
	v_mul_f64 v[4:5], v[164:165], v[106:107]
	s_waitcnt lgkmcnt(1)
	v_mul_f64 v[192:193], v[182:183], v[122:123]
	v_fma_f64 v[4:5], v[162:163], v[108:109], -v[4:5]
	v_fmac_f64_e32 v[192:193], v[184:185], v[124:125]
	v_add_f64 v[2:3], v[2:3], v[4:5]
	v_mul_f64 v[4:5], v[168:169], v[102:103]
	v_add_f64 v[198:199], v[190:191], v[192:193]
	ds_read_b128 v[190:193], v1 offset:1424
	s_waitcnt vmcnt(26) lgkmcnt(1)
	v_mul_f64 v[200:201], v[186:187], v[134:135]
	v_fma_f64 v[4:5], v[166:167], v[104:105], -v[4:5]
	s_waitcnt vmcnt(24)
	v_fmac_f64_e32 v[200:201], v[188:189], v[136:137]
	v_add_f64 v[2:3], v[2:3], v[4:5]
	v_mul_f64 v[4:5], v[172:173], v[118:119]
	v_add_f64 v[202:203], v[198:199], v[200:201]
	ds_read_b128 v[198:201], v1 offset:1440
	v_fma_f64 v[4:5], v[170:171], v[120:121], -v[4:5]
	v_add_f64 v[2:3], v[2:3], v[4:5]
	v_mul_f64 v[4:5], v[176:177], v[114:115]
	v_fma_f64 v[4:5], v[174:175], v[116:117], -v[4:5]
	s_waitcnt lgkmcnt(1)
	v_mul_f64 v[204:205], v[190:191], v[130:131]
	v_add_f64 v[2:3], v[2:3], v[4:5]
	v_mul_f64 v[4:5], v[180:181], v[126:127]
	v_fmac_f64_e32 v[204:205], v[192:193], v[132:133]
	v_fma_f64 v[4:5], v[178:179], v[128:129], -v[4:5]
	v_add_f64 v[214:215], v[202:203], v[204:205]
	ds_read_b128 v[202:205], v1 offset:1456
	s_waitcnt vmcnt(18) lgkmcnt(1)
	v_mul_f64 v[216:217], v[198:199], v[194:195]
	v_add_f64 v[2:3], v[2:3], v[4:5]
	v_mul_f64 v[4:5], v[184:185], v[122:123]
	s_waitcnt vmcnt(16)
	v_fmac_f64_e32 v[216:217], v[200:201], v[196:197]
	v_fma_f64 v[4:5], v[182:183], v[124:125], -v[4:5]
	v_add_f64 v[218:219], v[214:215], v[216:217]
	ds_read_b128 v[214:217], v1 offset:1472
	v_add_f64 v[2:3], v[2:3], v[4:5]
	v_mul_f64 v[4:5], v[188:189], v[134:135]
	v_fma_f64 v[4:5], v[186:187], v[136:137], -v[4:5]
	v_add_f64 v[2:3], v[2:3], v[4:5]
	v_mul_f64 v[4:5], v[192:193], v[130:131]
	s_waitcnt lgkmcnt(1)
	v_mul_f64 v[220:221], v[202:203], v[138:139]
	v_fma_f64 v[4:5], v[190:191], v[132:133], -v[4:5]
	v_fmac_f64_e32 v[220:221], v[204:205], v[140:141]
	v_add_f64 v[2:3], v[2:3], v[4:5]
	v_mul_f64 v[4:5], v[200:201], v[194:195]
	v_add_f64 v[222:223], v[218:219], v[220:221]
	ds_read_b128 v[218:221], v1 offset:1488
	s_waitcnt vmcnt(10) lgkmcnt(1)
	v_mul_f64 v[224:225], v[214:215], v[210:211]
	v_fma_f64 v[4:5], v[198:199], v[196:197], -v[4:5]
	s_waitcnt vmcnt(8)
	v_fmac_f64_e32 v[224:225], v[216:217], v[212:213]
	v_add_f64 v[2:3], v[2:3], v[4:5]
	v_mul_f64 v[4:5], v[204:205], v[138:139]
	v_add_f64 v[238:239], v[222:223], v[224:225]
	ds_read_b128 v[222:225], v1 offset:1504
	ds_read_b128 v[226:229], v1 offset:1520
	v_fma_f64 v[4:5], v[202:203], v[140:141], -v[4:5]
	v_add_f64 v[2:3], v[2:3], v[4:5]
	v_mul_f64 v[4:5], v[216:217], v[210:211]
	v_fma_f64 v[4:5], v[214:215], v[212:213], -v[4:5]
	v_add_f64 v[2:3], v[2:3], v[4:5]
	s_waitcnt lgkmcnt(2)
	v_mul_f64 v[4:5], v[220:221], v[206:207]
	v_mul_f64 v[240:241], v[218:219], v[206:207]
	v_fma_f64 v[4:5], v[218:219], v[208:209], -v[4:5]
	v_fmac_f64_e32 v[240:241], v[220:221], v[208:209]
	v_add_f64 v[2:3], v[2:3], v[4:5]
	s_waitcnt vmcnt(2) lgkmcnt(1)
	v_mul_f64 v[4:5], v[224:225], v[234:235]
	v_add_f64 v[238:239], v[238:239], v[240:241]
	v_mul_f64 v[240:241], v[222:223], v[234:235]
	s_waitcnt vmcnt(0)
	v_fma_f64 v[4:5], v[222:223], v[236:237], -v[4:5]
	v_fmac_f64_e32 v[240:241], v[224:225], v[236:237]
	v_add_f64 v[2:3], v[2:3], v[4:5]
	s_waitcnt lgkmcnt(0)
	v_mul_f64 v[4:5], v[228:229], v[230:231]
	v_add_f64 v[238:239], v[238:239], v[240:241]
	v_mul_f64 v[240:241], v[226:227], v[230:231]
	v_fma_f64 v[4:5], v[226:227], v[232:233], -v[4:5]
	v_fmac_f64_e32 v[240:241], v[228:229], v[232:233]
	v_add_f64 v[2:3], v[2:3], v[4:5]
	v_add_f64 v[238:239], v[238:239], v[240:241]
	v_add_f64 v[2:3], v[62:63], -v[2:3]
	v_add_f64 v[4:5], v[60:61], -v[238:239]
	buffer_store_dword v3, off, s[0:3], 0 offset:308
	buffer_store_dword v2, off, s[0:3], 0 offset:304
	;; [unrolled: 1-line block ×4, first 2 shown]
	s_and_saveexec_b64 s[4:5], vcc
	s_cbranch_execz .LBB47_267
; %bb.266:
	v_accvgpr_read_b32 v0, a126
	buffer_load_dword v2, v0, s[0:3], 0 offen
	buffer_load_dword v3, v0, s[0:3], 0 offen offset:4
	buffer_load_dword v4, v0, s[0:3], 0 offen offset:8
	;; [unrolled: 1-line block ×3, first 2 shown]
	v_accvgpr_read_b32 v0, a144
	buffer_store_dword v1, off, s[0:3], 0 offset:288
	buffer_store_dword v1, off, s[0:3], 0 offset:292
	;; [unrolled: 1-line block ×4, first 2 shown]
	s_waitcnt vmcnt(4)
	ds_write_b128 v0, v[2:5]
.LBB47_267:
	s_or_b64 exec, exec, s[4:5]
	s_waitcnt lgkmcnt(0)
	; wave barrier
	s_waitcnt lgkmcnt(0)
	buffer_load_dword v48, off, s[0:3], 0 offset:304
	buffer_load_dword v49, off, s[0:3], 0 offset:308
	;; [unrolled: 1-line block ×40, first 2 shown]
	ds_read_b128 v[38:41], v1 offset:1056
	ds_read_b128 v[34:37], v1 offset:1072
	;; [unrolled: 1-line block ×10, first 2 shown]
	buffer_load_dword v83, off, s[0:3], 0 offset:476
	buffer_load_dword v82, off, s[0:3], 0 offset:472
	;; [unrolled: 1-line block ×8, first 2 shown]
	v_cmp_lt_u32_e32 vcc, 16, v254
	s_waitcnt vmcnt(44) lgkmcnt(9)
	v_mul_f64 v[90:91], v[38:39], v[50:51]
	v_fmac_f64_e32 v[90:91], v[40:41], v[48:49]
	v_add_f64 v[90:91], v[90:91], 0
	v_mul_f64 v[40:41], v[40:41], v[50:51]
	s_waitcnt vmcnt(40) lgkmcnt(8)
	v_mul_f64 v[92:93], v[34:35], v[44:45]
	v_fmac_f64_e32 v[92:93], v[36:37], v[42:43]
	s_waitcnt vmcnt(38) lgkmcnt(7)
	v_mul_f64 v[94:95], v[30:31], v[46:47]
	v_add_f64 v[90:91], v[90:91], v[92:93]
	s_waitcnt vmcnt(36) lgkmcnt(5)
	v_mul_f64 v[98:99], v[22:23], v[52:53]
	v_mul_f64 v[36:37], v[36:37], v[44:45]
	s_waitcnt vmcnt(34)
	v_fmac_f64_e32 v[98:99], v[24:25], v[54:55]
	v_fma_f64 v[34:35], v[34:35], v[42:43], -v[36:37]
	s_waitcnt vmcnt(32)
	v_mul_f64 v[96:97], v[26:27], v[56:57]
	v_mul_f64 v[24:25], v[24:25], v[52:53]
	s_waitcnt vmcnt(30) lgkmcnt(4)
	v_mul_f64 v[100:101], v[18:19], v[62:63]
	v_fma_f64 v[22:23], v[22:23], v[54:55], -v[24:25]
	s_waitcnt vmcnt(28) lgkmcnt(1)
	v_mul_f64 v[122:123], v[2:3], v[64:65]
	s_waitcnt vmcnt(25)
	v_mul_f64 v[104:105], v[6:7], v[68:69]
	s_waitcnt vmcnt(23)
	;; [unrolled: 2-line block ×3, first 2 shown]
	v_fmac_f64_e32 v[102:103], v[12:13], v[72:73]
	v_mul_f64 v[12:13], v[12:13], v[70:71]
	s_waitcnt vmcnt(19)
	v_fmac_f64_e32 v[94:95], v[32:33], v[80:81]
	v_add_f64 v[90:91], v[90:91], v[94:95]
	s_waitcnt vmcnt(17)
	v_fmac_f64_e32 v[96:97], v[28:29], v[78:79]
	v_add_f64 v[90:91], v[90:91], v[96:97]
	;; [unrolled: 3-line block ×3, first 2 shown]
	v_add_f64 v[90:91], v[90:91], v[100:101]
	s_waitcnt vmcnt(13)
	v_fmac_f64_e32 v[104:105], v[8:9], v[74:75]
	v_add_f64 v[90:91], v[90:91], v[102:103]
	v_add_f64 v[124:125], v[90:91], v[104:105]
	buffer_load_dword v91, off, s[0:3], 0 offset:508
	buffer_load_dword v90, off, s[0:3], 0 offset:504
	;; [unrolled: 1-line block ×72, first 2 shown]
	s_waitcnt vmcnt(62)
	v_fmac_f64_e32 v[122:123], v[4:5], v[66:67]
	v_add_f64 v[150:151], v[124:125], v[122:123]
	ds_read_b128 v[122:125], v1 offset:1216
	s_waitcnt lgkmcnt(1)
	v_mul_f64 v[152:153], v[14:15], v[86:87]
	v_fmac_f64_e32 v[152:153], v[16:17], v[88:89]
	buffer_load_dword v235, off, s[0:3], 0 offset:780
	buffer_load_dword v234, off, s[0:3], 0 offset:776
	;; [unrolled: 1-line block ×4, first 2 shown]
	v_add_f64 v[154:155], v[150:151], v[152:153]
	s_waitcnt lgkmcnt(0)
	v_mul_f64 v[156:157], v[122:123], v[82:83]
	ds_read_b128 v[150:153], v1 offset:1232
	v_fmac_f64_e32 v[156:157], v[124:125], v[84:85]
	v_add_f64 v[158:159], v[154:155], v[156:157]
	ds_read_b128 v[154:157], v1 offset:1248
	v_mul_f64 v[32:33], v[32:33], v[46:47]
	s_waitcnt lgkmcnt(1)
	v_mul_f64 v[160:161], v[150:151], v[94:95]
	v_fma_f64 v[30:31], v[30:31], v[80:81], -v[32:33]
	v_fmac_f64_e32 v[160:161], v[152:153], v[96:97]
	s_waitcnt lgkmcnt(0)
	v_mul_f64 v[164:165], v[154:155], v[90:91]
	v_add_f64 v[162:163], v[158:159], v[160:161]
	ds_read_b128 v[158:161], v1 offset:1264
	v_fmac_f64_e32 v[164:165], v[156:157], v[92:93]
	v_add_f64 v[166:167], v[162:163], v[164:165]
	ds_read_b128 v[162:165], v1 offset:1280
	v_mul_f64 v[28:29], v[28:29], v[56:57]
	s_waitcnt vmcnt(62) lgkmcnt(1)
	v_mul_f64 v[168:169], v[158:159], v[102:103]
	s_waitcnt vmcnt(60)
	v_fmac_f64_e32 v[168:169], v[160:161], v[104:105]
	v_add_f64 v[170:171], v[166:167], v[168:169]
	s_waitcnt lgkmcnt(0)
	v_mul_f64 v[172:173], v[162:163], v[98:99]
	ds_read_b128 v[166:169], v1 offset:1296
	v_fmac_f64_e32 v[172:173], v[164:165], v[100:101]
	v_add_f64 v[174:175], v[170:171], v[172:173]
	ds_read_b128 v[170:173], v1 offset:1312
	v_fma_f64 v[26:27], v[26:27], v[78:79], -v[28:29]
	s_waitcnt vmcnt(54) lgkmcnt(1)
	v_mul_f64 v[176:177], v[166:167], v[110:111]
	s_waitcnt vmcnt(52)
	v_fmac_f64_e32 v[176:177], v[168:169], v[112:113]
	v_add_f64 v[178:179], v[174:175], v[176:177]
	s_waitcnt lgkmcnt(0)
	v_mul_f64 v[180:181], v[170:171], v[106:107]
	ds_read_b128 v[174:177], v1 offset:1328
	v_fmac_f64_e32 v[180:181], v[172:173], v[108:109]
	v_add_f64 v[182:183], v[178:179], v[180:181]
	ds_read_b128 v[178:181], v1 offset:1344
	v_mul_f64 v[20:21], v[20:21], v[62:63]
	s_waitcnt vmcnt(46) lgkmcnt(1)
	v_mul_f64 v[184:185], v[174:175], v[118:119]
	s_waitcnt vmcnt(44)
	v_fmac_f64_e32 v[184:185], v[176:177], v[120:121]
	v_add_f64 v[186:187], v[182:183], v[184:185]
	s_waitcnt lgkmcnt(0)
	v_mul_f64 v[188:189], v[178:179], v[114:115]
	ds_read_b128 v[182:185], v1 offset:1360
	v_fmac_f64_e32 v[188:189], v[180:181], v[116:117]
	v_add_f64 v[190:191], v[186:187], v[188:189]
	ds_read_b128 v[186:189], v1 offset:1376
	v_fma_f64 v[18:19], v[18:19], v[76:77], -v[20:21]
	s_waitcnt vmcnt(38) lgkmcnt(1)
	v_mul_f64 v[192:193], v[182:183], v[130:131]
	s_waitcnt vmcnt(36)
	v_fmac_f64_e32 v[192:193], v[184:185], v[132:133]
	v_add_f64 v[198:199], v[190:191], v[192:193]
	s_waitcnt lgkmcnt(0)
	v_mul_f64 v[200:201], v[186:187], v[126:127]
	ds_read_b128 v[190:193], v1 offset:1392
	v_fmac_f64_e32 v[200:201], v[188:189], v[128:129]
	v_add_f64 v[202:203], v[198:199], v[200:201]
	ds_read_b128 v[198:201], v1 offset:1408
	v_fma_f64 v[10:11], v[10:11], v[72:73], -v[12:13]
	s_waitcnt vmcnt(30) lgkmcnt(1)
	v_mul_f64 v[204:205], v[190:191], v[138:139]
	s_waitcnt vmcnt(28)
	v_fmac_f64_e32 v[204:205], v[192:193], v[140:141]
	v_add_f64 v[214:215], v[202:203], v[204:205]
	s_waitcnt lgkmcnt(0)
	v_mul_f64 v[216:217], v[198:199], v[134:135]
	ds_read_b128 v[202:205], v1 offset:1424
	v_fmac_f64_e32 v[216:217], v[200:201], v[136:137]
	v_add_f64 v[218:219], v[214:215], v[216:217]
	ds_read_b128 v[214:217], v1 offset:1440
	v_mul_f64 v[8:9], v[8:9], v[68:69]
	s_waitcnt vmcnt(22) lgkmcnt(1)
	v_mul_f64 v[220:221], v[202:203], v[146:147]
	s_waitcnt vmcnt(20)
	v_fmac_f64_e32 v[220:221], v[204:205], v[148:149]
	v_add_f64 v[222:223], v[218:219], v[220:221]
	s_waitcnt lgkmcnt(0)
	v_mul_f64 v[224:225], v[214:215], v[142:143]
	ds_read_b128 v[218:221], v1 offset:1456
	v_fmac_f64_e32 v[224:225], v[216:217], v[144:145]
	v_add_f64 v[226:227], v[222:223], v[224:225]
	ds_read_b128 v[222:225], v1 offset:1472
	v_fma_f64 v[6:7], v[6:7], v[74:75], -v[8:9]
	s_waitcnt vmcnt(14) lgkmcnt(1)
	v_mul_f64 v[228:229], v[218:219], v[206:207]
	s_waitcnt vmcnt(12)
	v_fmac_f64_e32 v[228:229], v[220:221], v[208:209]
	v_add_f64 v[238:239], v[226:227], v[228:229]
	s_waitcnt lgkmcnt(0)
	v_mul_f64 v[240:241], v[222:223], v[194:195]
	v_fmac_f64_e32 v[240:241], v[224:225], v[196:197]
	v_add_f64 v[238:239], v[238:239], v[240:241]
	v_fma_f64 v[240:241], v[38:39], v[48:49], -v[40:41]
	v_add_f64 v[240:241], v[240:241], 0
	v_add_f64 v[34:35], v[240:241], v[34:35]
	;; [unrolled: 1-line block ×7, first 2 shown]
	v_mul_f64 v[4:5], v[4:5], v[64:65]
	v_add_f64 v[6:7], v[10:11], v[6:7]
	v_fma_f64 v[2:3], v[2:3], v[66:67], -v[4:5]
	v_mul_f64 v[4:5], v[16:17], v[86:87]
	v_add_f64 v[2:3], v[6:7], v[2:3]
	v_fma_f64 v[4:5], v[14:15], v[88:89], -v[4:5]
	v_add_f64 v[2:3], v[2:3], v[4:5]
	v_mul_f64 v[4:5], v[124:125], v[82:83]
	v_fma_f64 v[4:5], v[122:123], v[84:85], -v[4:5]
	v_add_f64 v[2:3], v[2:3], v[4:5]
	v_mul_f64 v[4:5], v[152:153], v[94:95]
	v_fma_f64 v[4:5], v[150:151], v[96:97], -v[4:5]
	v_add_f64 v[2:3], v[2:3], v[4:5]
	v_mul_f64 v[4:5], v[156:157], v[90:91]
	v_fma_f64 v[4:5], v[154:155], v[92:93], -v[4:5]
	v_add_f64 v[2:3], v[2:3], v[4:5]
	v_mul_f64 v[4:5], v[160:161], v[102:103]
	v_fma_f64 v[4:5], v[158:159], v[104:105], -v[4:5]
	v_add_f64 v[2:3], v[2:3], v[4:5]
	v_mul_f64 v[4:5], v[164:165], v[98:99]
	v_fma_f64 v[4:5], v[162:163], v[100:101], -v[4:5]
	v_add_f64 v[2:3], v[2:3], v[4:5]
	v_mul_f64 v[4:5], v[168:169], v[110:111]
	v_fma_f64 v[4:5], v[166:167], v[112:113], -v[4:5]
	v_add_f64 v[2:3], v[2:3], v[4:5]
	v_mul_f64 v[4:5], v[172:173], v[106:107]
	v_fma_f64 v[4:5], v[170:171], v[108:109], -v[4:5]
	v_add_f64 v[2:3], v[2:3], v[4:5]
	v_mul_f64 v[4:5], v[176:177], v[118:119]
	v_fma_f64 v[4:5], v[174:175], v[120:121], -v[4:5]
	v_add_f64 v[2:3], v[2:3], v[4:5]
	v_mul_f64 v[4:5], v[180:181], v[114:115]
	v_fma_f64 v[4:5], v[178:179], v[116:117], -v[4:5]
	v_add_f64 v[2:3], v[2:3], v[4:5]
	v_mul_f64 v[4:5], v[184:185], v[130:131]
	v_fma_f64 v[4:5], v[182:183], v[132:133], -v[4:5]
	v_add_f64 v[2:3], v[2:3], v[4:5]
	v_mul_f64 v[4:5], v[188:189], v[126:127]
	v_fma_f64 v[4:5], v[186:187], v[128:129], -v[4:5]
	v_add_f64 v[2:3], v[2:3], v[4:5]
	v_mul_f64 v[4:5], v[192:193], v[138:139]
	v_fma_f64 v[4:5], v[190:191], v[140:141], -v[4:5]
	v_add_f64 v[2:3], v[2:3], v[4:5]
	v_mul_f64 v[4:5], v[200:201], v[134:135]
	v_fma_f64 v[4:5], v[198:199], v[136:137], -v[4:5]
	v_add_f64 v[2:3], v[2:3], v[4:5]
	v_mul_f64 v[4:5], v[204:205], v[146:147]
	v_fma_f64 v[4:5], v[202:203], v[148:149], -v[4:5]
	v_add_f64 v[2:3], v[2:3], v[4:5]
	v_mul_f64 v[4:5], v[216:217], v[142:143]
	ds_read_b128 v[226:229], v1 offset:1488
	ds_read_b128 v[38:41], v1 offset:1504
	v_fma_f64 v[4:5], v[214:215], v[144:145], -v[4:5]
	v_add_f64 v[2:3], v[2:3], v[4:5]
	v_mul_f64 v[4:5], v[220:221], v[206:207]
	v_fma_f64 v[4:5], v[218:219], v[208:209], -v[4:5]
	v_add_f64 v[2:3], v[2:3], v[4:5]
	v_mul_f64 v[4:5], v[224:225], v[194:195]
	ds_read_b128 v[48:51], v1 offset:1520
	v_fma_f64 v[4:5], v[222:223], v[196:197], -v[4:5]
	v_add_f64 v[2:3], v[2:3], v[4:5]
	s_waitcnt vmcnt(6) lgkmcnt(2)
	v_mul_f64 v[4:5], v[228:229], v[230:231]
	v_mul_f64 v[242:243], v[226:227], v[230:231]
	s_waitcnt vmcnt(4)
	v_fma_f64 v[4:5], v[226:227], v[232:233], -v[4:5]
	v_fmac_f64_e32 v[242:243], v[228:229], v[232:233]
	v_add_f64 v[2:3], v[2:3], v[4:5]
	s_waitcnt lgkmcnt(1)
	v_mul_f64 v[4:5], v[40:41], v[210:211]
	v_add_f64 v[238:239], v[238:239], v[242:243]
	v_mul_f64 v[242:243], v[38:39], v[210:211]
	v_fma_f64 v[4:5], v[38:39], v[212:213], -v[4:5]
	v_fmac_f64_e32 v[242:243], v[40:41], v[212:213]
	v_add_f64 v[2:3], v[2:3], v[4:5]
	s_waitcnt vmcnt(2) lgkmcnt(0)
	v_mul_f64 v[4:5], v[50:51], v[234:235]
	v_add_f64 v[238:239], v[238:239], v[242:243]
	v_mul_f64 v[242:243], v[48:49], v[234:235]
	s_waitcnt vmcnt(0)
	v_fma_f64 v[4:5], v[48:49], v[236:237], -v[4:5]
	v_fmac_f64_e32 v[242:243], v[50:51], v[236:237]
	v_add_f64 v[2:3], v[2:3], v[4:5]
	v_add_f64 v[238:239], v[238:239], v[242:243]
	v_add_f64 v[2:3], v[60:61], -v[2:3]
	v_add_f64 v[4:5], v[58:59], -v[238:239]
	buffer_store_dword v3, off, s[0:3], 0 offset:292
	buffer_store_dword v2, off, s[0:3], 0 offset:288
	;; [unrolled: 1-line block ×4, first 2 shown]
	s_and_saveexec_b64 s[4:5], vcc
	s_cbranch_execz .LBB47_269
; %bb.268:
	v_accvgpr_read_b32 v0, a127
	buffer_load_dword v2, v0, s[0:3], 0 offen
	buffer_load_dword v3, v0, s[0:3], 0 offen offset:4
	buffer_load_dword v4, v0, s[0:3], 0 offen offset:8
	;; [unrolled: 1-line block ×3, first 2 shown]
	v_mov_b32_e32 v0, 0
	v_accvgpr_read_b32 v1, a144
	buffer_store_dword v0, off, s[0:3], 0 offset:272
	buffer_store_dword v0, off, s[0:3], 0 offset:276
	buffer_store_dword v0, off, s[0:3], 0 offset:280
	buffer_store_dword v0, off, s[0:3], 0 offset:284
	s_waitcnt vmcnt(4)
	ds_write_b128 v1, v[2:5]
.LBB47_269:
	s_or_b64 exec, exec, s[4:5]
	s_waitcnt lgkmcnt(0)
	; wave barrier
	s_waitcnt lgkmcnt(0)
	buffer_load_dword v106, off, s[0:3], 0 offset:288
	buffer_load_dword v107, off, s[0:3], 0 offset:292
	;; [unrolled: 1-line block ×49, first 2 shown]
	v_mov_b32_e32 v1, 0
	ds_read_b128 v[110:113], v1 offset:1040
	ds_read_b128 v[250:253], v1 offset:1056
	;; [unrolled: 1-line block ×10, first 2 shown]
	buffer_load_dword v158, off, s[0:3], 0 offset:480
	buffer_load_dword v173, off, s[0:3], 0 offset:476
	;; [unrolled: 1-line block ×69, first 2 shown]
	v_accvgpr_write_b32 a143, v254
	v_cmp_lt_u32_e32 vcc, 15, v254
	s_waitcnt vmcnt(62) lgkmcnt(9)
	v_mul_f64 v[34:35], v[110:111], v[108:109]
	v_fmac_f64_e32 v[34:35], v[112:113], v[106:107]
	v_add_f64 v[34:35], v[34:35], 0
	v_mul_f64 v[108:109], v[112:113], v[108:109]
	s_waitcnt lgkmcnt(8)
	v_mul_f64 v[36:37], v[250:251], v[116:117]
	v_fmac_f64_e32 v[36:37], v[252:253], v[114:115]
	s_waitcnt lgkmcnt(7)
	v_mul_f64 v[38:39], v[30:31], v[118:119]
	v_add_f64 v[34:35], v[34:35], v[36:37]
	s_waitcnt lgkmcnt(5)
	v_mul_f64 v[42:43], v[22:23], v[120:121]
	v_mul_f64 v[116:117], v[252:253], v[116:117]
	v_fmac_f64_e32 v[42:43], v[24:25], v[122:123]
	v_fma_f64 v[248:249], v[110:111], v[106:107], -v[108:109]
	v_mul_f64 v[40:41], v[26:27], v[124:125]
	v_fma_f64 v[250:251], v[250:251], v[114:115], -v[116:117]
	s_waitcnt lgkmcnt(3)
	v_mul_f64 v[46:47], v[14:15], v[126:127]
	v_mul_f64 v[24:25], v[24:25], v[120:121]
	v_fmac_f64_e32 v[46:47], v[16:17], v[128:129]
	v_fma_f64 v[22:23], v[22:23], v[122:123], -v[24:25]
	v_mul_f64 v[44:45], v[18:19], v[130:131]
	v_mul_f64 v[16:17], v[16:17], v[126:127]
	s_waitcnt lgkmcnt(1)
	v_mul_f64 v[50:51], v[6:7], v[132:133]
	v_fma_f64 v[14:15], v[14:15], v[128:129], -v[16:17]
	v_fmac_f64_e32 v[50:51], v[8:9], v[134:135]
	v_mul_f64 v[8:9], v[8:9], v[132:133]
	v_mul_f64 v[48:49], v[10:11], v[140:141]
	v_fma_f64 v[6:7], v[6:7], v[134:135], -v[8:9]
	s_waitcnt lgkmcnt(0)
	v_mul_f64 v[52:53], v[2:3], v[136:137]
	v_fmac_f64_e32 v[38:39], v[32:33], v[152:153]
	v_add_f64 v[34:35], v[34:35], v[38:39]
	v_fmac_f64_e32 v[40:41], v[28:29], v[150:151]
	v_add_f64 v[34:35], v[34:35], v[40:41]
	;; [unrolled: 2-line block ×3, first 2 shown]
	v_add_f64 v[34:35], v[34:35], v[44:45]
	v_fmac_f64_e32 v[48:49], v[12:13], v[146:147]
	v_add_f64 v[34:35], v[34:35], v[46:47]
	v_add_f64 v[34:35], v[34:35], v[48:49]
	v_fmac_f64_e32 v[52:53], v[4:5], v[144:145]
	v_add_f64 v[34:35], v[34:35], v[50:51]
	v_add_f64 v[42:43], v[34:35], v[52:53]
	ds_read_b128 v[38:41], v1 offset:1200
	ds_read_b128 v[34:37], v1 offset:1216
	buffer_load_dword v231, off, s[0:3], 0 offset:780
	buffer_load_dword v230, off, s[0:3], 0 offset:776
	;; [unrolled: 1-line block ×8, first 2 shown]
	ds_read_b128 v[110:113], v1 offset:1488
	ds_read_b128 v[106:109], v1 offset:1504
	s_waitcnt lgkmcnt(3)
	v_mul_f64 v[44:45], v[38:39], v[142:143]
	v_fmac_f64_e32 v[44:45], v[40:41], v[154:155]
	v_add_f64 v[46:47], v[42:43], v[44:45]
	ds_read_b128 v[42:45], v1 offset:1232
	s_waitcnt lgkmcnt(3)
	v_mul_f64 v[48:49], v[34:35], v[172:173]
	v_fmac_f64_e32 v[48:49], v[36:37], v[176:177]
	v_add_f64 v[50:51], v[46:47], v[48:49]
	;; [unrolled: 5-line block ×3, first 2 shown]
	ds_read_b128 v[50:53], v1 offset:1264
	s_waitcnt vmcnt(62) lgkmcnt(1)
	v_mul_f64 v[56:57], v[46:47], v[180:181]
	v_fmac_f64_e32 v[56:57], v[48:49], v[184:185]
	v_add_f64 v[58:59], v[54:55], v[56:57]
	ds_read_b128 v[54:57], v1 offset:1280
	s_waitcnt lgkmcnt(1)
	v_mul_f64 v[60:61], v[50:51], v[160:161]
	v_fmac_f64_e32 v[60:61], v[52:53], v[162:163]
	v_add_f64 v[62:63], v[58:59], v[60:61]
	ds_read_b128 v[58:61], v1 offset:1296
	s_waitcnt vmcnt(58) lgkmcnt(1)
	v_mul_f64 v[64:65], v[54:55], v[188:189]
	s_waitcnt vmcnt(56)
	v_fmac_f64_e32 v[64:65], v[56:57], v[192:193]
	v_add_f64 v[66:67], v[62:63], v[64:65]
	ds_read_b128 v[62:65], v1 offset:1312
	s_waitcnt lgkmcnt(1)
	v_mul_f64 v[68:69], v[58:59], v[164:165]
	v_fmac_f64_e32 v[68:69], v[60:61], v[166:167]
	v_add_f64 v[70:71], v[66:67], v[68:69]
	ds_read_b128 v[66:69], v1 offset:1328
	s_waitcnt vmcnt(50) lgkmcnt(1)
	v_mul_f64 v[72:73], v[62:63], v[198:199]
	s_waitcnt vmcnt(48)
	;; [unrolled: 11-line block ×5, first 2 shown]
	v_fmac_f64_e32 v[96:97], v[88:89], v[228:229]
	v_add_f64 v[98:99], v[94:95], v[96:97]
	ds_read_b128 v[94:97], v1 offset:1440
	s_waitcnt lgkmcnt(1)
	v_mul_f64 v[100:101], v[90:91], v[190:191]
	v_fmac_f64_e32 v[100:101], v[92:93], v[194:195]
	v_add_f64 v[196:197], v[98:99], v[100:101]
	ds_read_b128 v[98:101], v1 offset:1456
	ds_read_b128 v[102:105], v1 offset:1472
	;; [unrolled: 1-line block ×3, first 2 shown]
	buffer_load_dword v252, off, s[0:3], 0 offset:280
	buffer_load_dword v253, off, s[0:3], 0 offset:284
	s_waitcnt vmcnt(20) lgkmcnt(3)
	v_mul_f64 v[206:207], v[94:95], v[232:233]
	s_waitcnt vmcnt(18)
	v_fmac_f64_e32 v[206:207], v[96:97], v[236:237]
	v_add_f64 v[196:197], v[196:197], v[206:207]
	s_waitcnt lgkmcnt(2)
	v_mul_f64 v[206:207], v[98:99], v[200:201]
	v_fmac_f64_e32 v[206:207], v[100:101], v[204:205]
	v_add_f64 v[196:197], v[196:197], v[206:207]
	s_waitcnt vmcnt(12) lgkmcnt(1)
	v_mul_f64 v[206:207], v[102:103], v[238:239]
	s_waitcnt vmcnt(10)
	v_fmac_f64_e32 v[206:207], v[104:105], v[240:241]
	v_add_f64 v[196:197], v[196:197], v[206:207]
	v_mul_f64 v[206:207], v[110:111], v[216:217]
	v_fmac_f64_e32 v[206:207], v[112:113], v[220:221]
	v_add_f64 v[196:197], v[196:197], v[206:207]
	s_waitcnt vmcnt(4)
	v_mul_f64 v[206:207], v[106:107], v[242:243]
	v_mul_f64 v[32:33], v[32:33], v[118:119]
	s_waitcnt vmcnt(2)
	v_fmac_f64_e32 v[206:207], v[108:109], v[244:245]
	v_add_f64 v[196:197], v[196:197], v[206:207]
	s_waitcnt lgkmcnt(0)
	v_mul_f64 v[206:207], v[114:115], v[230:231]
	v_fmac_f64_e32 v[206:207], v[116:117], v[234:235]
	v_add_f64 v[246:247], v[196:197], v[206:207]
	v_add_f64 v[196:197], v[248:249], 0
	;; [unrolled: 1-line block ×3, first 2 shown]
	v_fma_f64 v[30:31], v[30:31], v[152:153], -v[32:33]
	v_mul_f64 v[28:29], v[28:29], v[124:125]
	v_add_f64 v[30:31], v[196:197], v[30:31]
	v_fma_f64 v[26:27], v[26:27], v[150:151], -v[28:29]
	v_add_f64 v[26:27], v[30:31], v[26:27]
	v_mul_f64 v[20:21], v[20:21], v[130:131]
	v_add_f64 v[22:23], v[26:27], v[22:23]
	v_fma_f64 v[18:19], v[18:19], v[148:149], -v[20:21]
	v_add_f64 v[18:19], v[22:23], v[18:19]
	;; [unrolled: 4-line block ×3, first 2 shown]
	v_mul_f64 v[4:5], v[4:5], v[136:137]
	v_add_f64 v[6:7], v[10:11], v[6:7]
	v_fma_f64 v[2:3], v[2:3], v[144:145], -v[4:5]
	v_mul_f64 v[4:5], v[40:41], v[142:143]
	v_add_f64 v[2:3], v[6:7], v[2:3]
	v_fma_f64 v[4:5], v[38:39], v[154:155], -v[4:5]
	v_add_f64 v[2:3], v[2:3], v[4:5]
	v_mul_f64 v[4:5], v[36:37], v[172:173]
	v_fma_f64 v[4:5], v[34:35], v[176:177], -v[4:5]
	v_add_f64 v[2:3], v[2:3], v[4:5]
	v_mul_f64 v[4:5], v[44:45], v[156:157]
	;; [unrolled: 3-line block ×20, first 2 shown]
	v_fma_f64 v[4:5], v[114:115], v[234:235], -v[4:5]
	v_add_f64 v[2:3], v[2:3], v[4:5]
	v_add_f64 v[2:3], v[138:139], -v[2:3]
	s_waitcnt vmcnt(0)
	v_add_f64 v[4:5], v[252:253], -v[246:247]
	buffer_store_dword v3, off, s[0:3], 0 offset:276
	buffer_store_dword v2, off, s[0:3], 0 offset:272
	;; [unrolled: 1-line block ×4, first 2 shown]
	s_and_saveexec_b64 s[4:5], vcc
	s_cbranch_execz .LBB47_271
; %bb.270:
	v_accvgpr_read_b32 v0, a128
	buffer_load_dword v2, v0, s[0:3], 0 offen
	buffer_load_dword v3, v0, s[0:3], 0 offen offset:4
	buffer_load_dword v4, v0, s[0:3], 0 offen offset:8
	;; [unrolled: 1-line block ×3, first 2 shown]
	v_accvgpr_read_b32 v0, a144
	buffer_store_dword v1, off, s[0:3], 0 offset:256
	buffer_store_dword v1, off, s[0:3], 0 offset:260
	;; [unrolled: 1-line block ×4, first 2 shown]
	s_waitcnt vmcnt(4)
	ds_write_b128 v0, v[2:5]
.LBB47_271:
	s_or_b64 exec, exec, s[4:5]
	s_waitcnt lgkmcnt(0)
	; wave barrier
	s_waitcnt lgkmcnt(0)
	buffer_load_dword v112, off, s[0:3], 0 offset:272
	buffer_load_dword v113, off, s[0:3], 0 offset:276
	;; [unrolled: 1-line block ×36, first 2 shown]
	ds_read_b128 v[102:105], v1 offset:1024
	ds_read_b128 v[106:109], v1 offset:1040
	;; [unrolled: 1-line block ×9, first 2 shown]
	buffer_load_dword v143, off, s[0:3], 0 offset:444
	buffer_load_dword v142, off, s[0:3], 0 offset:440
	buffer_load_dword v145, off, s[0:3], 0 offset:436
	buffer_load_dword v144, off, s[0:3], 0 offset:432
	buffer_load_dword v147, off, s[0:3], 0 offset:428
	buffer_load_dword v146, off, s[0:3], 0 offset:424
	buffer_load_dword v149, off, s[0:3], 0 offset:420
	buffer_load_dword v148, off, s[0:3], 0 offset:416
	buffer_load_dword v151, off, s[0:3], 0 offset:476
	buffer_load_dword v150, off, s[0:3], 0 offset:472
	buffer_load_dword v153, off, s[0:3], 0 offset:468
	buffer_load_dword v152, off, s[0:3], 0 offset:464
	buffer_load_dword v159, off, s[0:3], 0 offset:460
	buffer_load_dword v158, off, s[0:3], 0 offset:456
	buffer_load_dword v161, off, s[0:3], 0 offset:452
	buffer_load_dword v160, off, s[0:3], 0 offset:448
	buffer_load_dword v155, off, s[0:3], 0 offset:508
	buffer_load_dword v154, off, s[0:3], 0 offset:504
	buffer_load_dword v157, off, s[0:3], 0 offset:500
	buffer_load_dword v156, off, s[0:3], 0 offset:496
	buffer_load_dword v175, off, s[0:3], 0 offset:492
	buffer_load_dword v174, off, s[0:3], 0 offset:488
	buffer_load_dword v179, off, s[0:3], 0 offset:484
	buffer_load_dword v178, off, s[0:3], 0 offset:480
	buffer_load_dword v163, off, s[0:3], 0 offset:540
	buffer_load_dword v162, off, s[0:3], 0 offset:536
	buffer_load_dword v165, off, s[0:3], 0 offset:532
	buffer_load_dword v164, off, s[0:3], 0 offset:528
	buffer_load_dword v183, off, s[0:3], 0 offset:524
	buffer_load_dword v182, off, s[0:3], 0 offset:520
	buffer_load_dword v187, off, s[0:3], 0 offset:516
	buffer_load_dword v186, off, s[0:3], 0 offset:512
	buffer_load_dword v167, off, s[0:3], 0 offset:572
	buffer_load_dword v166, off, s[0:3], 0 offset:568
	buffer_load_dword v169, off, s[0:3], 0 offset:564
	buffer_load_dword v168, off, s[0:3], 0 offset:560
	buffer_load_dword v191, off, s[0:3], 0 offset:556
	buffer_load_dword v190, off, s[0:3], 0 offset:552
	buffer_load_dword v195, off, s[0:3], 0 offset:548
	buffer_load_dword v194, off, s[0:3], 0 offset:544
	buffer_load_dword v171, off, s[0:3], 0 offset:604
	buffer_load_dword v170, off, s[0:3], 0 offset:600
	buffer_load_dword v173, off, s[0:3], 0 offset:596
	buffer_load_dword v172, off, s[0:3], 0 offset:592
	buffer_load_dword v201, off, s[0:3], 0 offset:588
	buffer_load_dword v200, off, s[0:3], 0 offset:584
	buffer_load_dword v205, off, s[0:3], 0 offset:580
	buffer_load_dword v204, off, s[0:3], 0 offset:576
	buffer_load_dword v177, off, s[0:3], 0 offset:636
	buffer_load_dword v176, off, s[0:3], 0 offset:632
	buffer_load_dword v181, off, s[0:3], 0 offset:628
	buffer_load_dword v180, off, s[0:3], 0 offset:624
	buffer_load_dword v217, off, s[0:3], 0 offset:620
	buffer_load_dword v216, off, s[0:3], 0 offset:616
	buffer_load_dword v219, off, s[0:3], 0 offset:612
	buffer_load_dword v218, off, s[0:3], 0 offset:608
	buffer_load_dword v185, off, s[0:3], 0 offset:668
	buffer_load_dword v184, off, s[0:3], 0 offset:664
	buffer_load_dword v189, off, s[0:3], 0 offset:660
	buffer_load_dword v188, off, s[0:3], 0 offset:656
	buffer_load_dword v221, off, s[0:3], 0 offset:652
	buffer_load_dword v220, off, s[0:3], 0 offset:648
	buffer_load_dword v223, off, s[0:3], 0 offset:644
	buffer_load_dword v222, off, s[0:3], 0 offset:640
	buffer_load_dword v193, off, s[0:3], 0 offset:700
	buffer_load_dword v192, off, s[0:3], 0 offset:696
	buffer_load_dword v199, off, s[0:3], 0 offset:692
	buffer_load_dword v198, off, s[0:3], 0 offset:688
	buffer_load_dword v225, off, s[0:3], 0 offset:684
	buffer_load_dword v224, off, s[0:3], 0 offset:680
	buffer_load_dword v227, off, s[0:3], 0 offset:676
	buffer_load_dword v226, off, s[0:3], 0 offset:672
	buffer_load_dword v203, off, s[0:3], 0 offset:732
	buffer_load_dword v202, off, s[0:3], 0 offset:728
	buffer_load_dword v215, off, s[0:3], 0 offset:724
	buffer_load_dword v214, off, s[0:3], 0 offset:720
	buffer_load_dword v229, off, s[0:3], 0 offset:716
	buffer_load_dword v228, off, s[0:3], 0 offset:712
	v_accvgpr_read_b32 v212, a143
	v_cmp_lt_u32_e32 vcc, 14, v212
	s_waitcnt vmcnt(62) lgkmcnt(8)
	v_mul_f64 v[26:27], v[102:103], v[246:247]
	v_fmac_f64_e32 v[26:27], v[104:105], v[112:113]
	v_add_f64 v[26:27], v[26:27], 0
	v_mul_f64 v[104:105], v[104:105], v[246:247]
	s_waitcnt lgkmcnt(7)
	v_mul_f64 v[28:29], v[106:107], v[248:249]
	v_fmac_f64_e32 v[28:29], v[108:109], v[110:111]
	s_waitcnt lgkmcnt(6)
	v_mul_f64 v[30:31], v[114:115], v[244:245]
	v_add_f64 v[26:27], v[26:27], v[28:29]
	s_waitcnt lgkmcnt(4)
	v_mul_f64 v[34:35], v[18:19], v[118:119]
	v_fma_f64 v[246:247], v[102:103], v[112:113], -v[104:105]
	v_fmac_f64_e32 v[34:35], v[20:21], v[120:121]
	v_mul_f64 v[108:109], v[108:109], v[248:249]
	v_mul_f64 v[32:33], v[22:23], v[122:123]
	v_fma_f64 v[248:249], v[106:107], v[110:111], -v[108:109]
	s_waitcnt lgkmcnt(2)
	v_mul_f64 v[38:39], v[10:11], v[124:125]
	v_mul_f64 v[20:21], v[20:21], v[118:119]
	v_fmac_f64_e32 v[38:39], v[12:13], v[126:127]
	v_fma_f64 v[18:19], v[18:19], v[120:121], -v[20:21]
	v_mul_f64 v[36:37], v[14:15], v[130:131]
	v_mul_f64 v[12:13], v[12:13], v[124:125]
	s_waitcnt lgkmcnt(1)
	v_mul_f64 v[40:41], v[6:7], v[128:129]
	v_fma_f64 v[10:11], v[10:11], v[126:127], -v[12:13]
	v_fmac_f64_e32 v[30:31], v[116:117], v[250:251]
	v_add_f64 v[26:27], v[26:27], v[30:31]
	v_fmac_f64_e32 v[32:33], v[24:25], v[138:139]
	v_add_f64 v[26:27], v[26:27], v[32:33]
	;; [unrolled: 2-line block ×3, first 2 shown]
	v_add_f64 v[26:27], v[26:27], v[36:37]
	v_fmac_f64_e32 v[40:41], v[8:9], v[134:135]
	v_add_f64 v[30:31], v[26:27], v[38:39]
	v_add_f64 v[30:31], v[30:31], v[40:41]
	s_waitcnt lgkmcnt(0)
	v_mul_f64 v[32:33], v[2:3], v[132:133]
	v_fmac_f64_e32 v[32:33], v[4:5], v[140:141]
	ds_read_b128 v[26:29], v1 offset:1168
	v_add_f64 v[34:35], v[30:31], v[32:33]
	ds_read_b128 v[30:33], v1 offset:1184
	buffer_load_dword v231, off, s[0:3], 0 offset:708
	buffer_load_dword v230, off, s[0:3], 0 offset:704
	v_mul_f64 v[116:117], v[116:117], v[244:245]
	s_waitcnt lgkmcnt(1)
	v_mul_f64 v[36:37], v[26:27], v[146:147]
	v_fmac_f64_e32 v[36:37], v[28:29], v[148:149]
	v_add_f64 v[38:39], v[34:35], v[36:37]
	ds_read_b128 v[34:37], v1 offset:1200
	s_waitcnt lgkmcnt(1)
	v_mul_f64 v[40:41], v[30:31], v[142:143]
	v_fmac_f64_e32 v[40:41], v[32:33], v[144:145]
	v_add_f64 v[42:43], v[38:39], v[40:41]
	ds_read_b128 v[38:41], v1 offset:1216
	;; [unrolled: 5-line block ×4, first 2 shown]
	buffer_load_dword v233, off, s[0:3], 0 offset:764
	buffer_load_dword v235, off, s[0:3], 0 offset:748
	;; [unrolled: 1-line block ×12, first 2 shown]
	s_waitcnt vmcnt(62) lgkmcnt(1)
	v_mul_f64 v[52:53], v[42:43], v[174:175]
	v_fmac_f64_e32 v[52:53], v[44:45], v[178:179]
	v_add_f64 v[54:55], v[50:51], v[52:53]
	ds_read_b128 v[50:53], v1 offset:1264
	s_waitcnt lgkmcnt(1)
	v_mul_f64 v[56:57], v[46:47], v[154:155]
	v_fmac_f64_e32 v[56:57], v[48:49], v[156:157]
	v_add_f64 v[58:59], v[54:55], v[56:57]
	ds_read_b128 v[54:57], v1 offset:1280
	s_waitcnt lgkmcnt(1)
	v_mul_f64 v[60:61], v[50:51], v[182:183]
	s_waitcnt vmcnt(60)
	v_fmac_f64_e32 v[60:61], v[52:53], v[186:187]
	v_add_f64 v[62:63], v[58:59], v[60:61]
	ds_read_b128 v[58:61], v1 offset:1296
	s_waitcnt lgkmcnt(1)
	v_mul_f64 v[64:65], v[54:55], v[162:163]
	v_fmac_f64_e32 v[64:65], v[56:57], v[164:165]
	v_add_f64 v[66:67], v[62:63], v[64:65]
	ds_read_b128 v[62:65], v1 offset:1312
	s_waitcnt vmcnt(54) lgkmcnt(1)
	v_mul_f64 v[68:69], v[58:59], v[190:191]
	s_waitcnt vmcnt(52)
	v_fmac_f64_e32 v[68:69], v[60:61], v[194:195]
	v_add_f64 v[70:71], v[66:67], v[68:69]
	ds_read_b128 v[66:69], v1 offset:1328
	s_waitcnt lgkmcnt(1)
	v_mul_f64 v[72:73], v[62:63], v[166:167]
	v_fmac_f64_e32 v[72:73], v[64:65], v[168:169]
	v_add_f64 v[74:75], v[70:71], v[72:73]
	ds_read_b128 v[70:73], v1 offset:1344
	s_waitcnt vmcnt(46) lgkmcnt(1)
	;; [unrolled: 11-line block ×4, first 2 shown]
	v_mul_f64 v[92:93], v[82:83], v[220:221]
	s_waitcnt vmcnt(28)
	v_fmac_f64_e32 v[92:93], v[84:85], v[222:223]
	v_add_f64 v[98:99], v[90:91], v[92:93]
	ds_read_b128 v[90:93], v1 offset:1424
	ds_read_b128 v[94:97], v1 offset:1440
	s_waitcnt lgkmcnt(2)
	v_mul_f64 v[100:101], v[86:87], v[184:185]
	v_fmac_f64_e32 v[100:101], v[88:89], v[188:189]
	v_add_f64 v[98:99], v[98:99], v[100:101]
	s_waitcnt vmcnt(22) lgkmcnt(1)
	v_mul_f64 v[100:101], v[90:91], v[224:225]
	s_waitcnt vmcnt(20)
	v_fmac_f64_e32 v[100:101], v[92:93], v[226:227]
	v_add_f64 v[98:99], v[98:99], v[100:101]
	s_waitcnt lgkmcnt(0)
	v_mul_f64 v[100:101], v[94:95], v[192:193]
	v_fmac_f64_e32 v[100:101], v[96:97], v[198:199]
	v_add_f64 v[196:197], v[98:99], v[100:101]
	ds_read_b128 v[98:101], v1 offset:1456
	ds_read_b128 v[102:105], v1 offset:1472
	;; [unrolled: 1-line block ×3, first 2 shown]
	v_fma_f64 v[250:251], v[114:115], v[250:251], -v[116:117]
	ds_read_b128 v[114:117], v1 offset:1520
	s_waitcnt vmcnt(14) lgkmcnt(3)
	v_mul_f64 v[112:113], v[98:99], v[228:229]
	s_waitcnt lgkmcnt(2)
	v_mul_f64 v[110:111], v[102:103], v[202:203]
	s_waitcnt vmcnt(12)
	v_fmac_f64_e32 v[112:113], v[100:101], v[230:231]
	v_add_f64 v[112:113], v[196:197], v[112:113]
	v_fmac_f64_e32 v[110:111], v[104:105], v[214:215]
	v_add_f64 v[196:197], v[112:113], v[110:111]
	ds_read_b128 v[110:113], v1 offset:1504
	buffer_load_dword v254, off, s[0:3], 0 offset:256
	buffer_load_dword v255, off, s[0:3], 0 offset:260
	;; [unrolled: 1-line block ×4, first 2 shown]
	v_mul_f64 v[24:25], v[24:25], v[122:123]
	v_fma_f64 v[22:23], v[22:23], v[138:139], -v[24:25]
	v_mul_f64 v[16:17], v[16:17], v[130:131]
	s_waitcnt vmcnt(13) lgkmcnt(2)
	v_mul_f64 v[206:207], v[106:107], v[234:235]
	v_fma_f64 v[14:15], v[14:15], v[136:137], -v[16:17]
	s_waitcnt vmcnt(11)
	v_fmac_f64_e32 v[206:207], v[108:109], v[240:241]
	v_add_f64 v[196:197], v[196:197], v[206:207]
	s_waitcnt vmcnt(10) lgkmcnt(0)
	v_mul_f64 v[206:207], v[110:111], v[232:233]
	s_waitcnt vmcnt(8)
	v_fmac_f64_e32 v[206:207], v[112:113], v[238:239]
	v_add_f64 v[196:197], v[196:197], v[206:207]
	s_waitcnt vmcnt(6)
	v_mul_f64 v[206:207], v[114:115], v[236:237]
	v_mul_f64 v[8:9], v[8:9], v[128:129]
	s_waitcnt vmcnt(4)
	v_fmac_f64_e32 v[206:207], v[116:117], v[242:243]
	v_add_f64 v[244:245], v[196:197], v[206:207]
	v_add_f64 v[196:197], v[246:247], 0
	;; [unrolled: 1-line block ×8, first 2 shown]
	v_fma_f64 v[6:7], v[6:7], v[134:135], -v[8:9]
	v_mul_f64 v[4:5], v[4:5], v[132:133]
	v_add_f64 v[6:7], v[10:11], v[6:7]
	v_fma_f64 v[2:3], v[2:3], v[140:141], -v[4:5]
	v_mul_f64 v[4:5], v[28:29], v[146:147]
	v_add_f64 v[2:3], v[6:7], v[2:3]
	v_fma_f64 v[4:5], v[26:27], v[148:149], -v[4:5]
	v_add_f64 v[2:3], v[2:3], v[4:5]
	v_mul_f64 v[4:5], v[32:33], v[142:143]
	v_fma_f64 v[4:5], v[30:31], v[144:145], -v[4:5]
	v_add_f64 v[2:3], v[2:3], v[4:5]
	v_mul_f64 v[4:5], v[36:37], v[158:159]
	;; [unrolled: 3-line block ×22, first 2 shown]
	v_fma_f64 v[4:5], v[114:115], v[242:243], -v[4:5]
	v_add_f64 v[2:3], v[2:3], v[4:5]
	s_waitcnt vmcnt(2)
	v_add_f64 v[2:3], v[254:255], -v[2:3]
	s_waitcnt vmcnt(0)
	v_add_f64 v[4:5], v[252:253], -v[244:245]
	buffer_store_dword v3, off, s[0:3], 0 offset:260
	buffer_store_dword v2, off, s[0:3], 0 offset:256
	;; [unrolled: 1-line block ×4, first 2 shown]
	s_and_saveexec_b64 s[4:5], vcc
	s_cbranch_execz .LBB47_273
; %bb.272:
	v_accvgpr_read_b32 v0, a129
	buffer_load_dword v2, v0, s[0:3], 0 offen
	buffer_load_dword v3, v0, s[0:3], 0 offen offset:4
	buffer_load_dword v4, v0, s[0:3], 0 offen offset:8
	;; [unrolled: 1-line block ×3, first 2 shown]
	v_mov_b32_e32 v0, 0
	v_accvgpr_read_b32 v1, a144
	buffer_store_dword v0, off, s[0:3], 0 offset:240
	buffer_store_dword v0, off, s[0:3], 0 offset:244
	;; [unrolled: 1-line block ×4, first 2 shown]
	s_waitcnt vmcnt(4)
	ds_write_b128 v1, v[2:5]
.LBB47_273:
	s_or_b64 exec, exec, s[4:5]
	s_waitcnt lgkmcnt(0)
	; wave barrier
	s_waitcnt lgkmcnt(0)
	buffer_load_dword v94, off, s[0:3], 0 offset:256
	buffer_load_dword v95, off, s[0:3], 0 offset:260
	;; [unrolled: 1-line block ×52, first 2 shown]
	v_mov_b32_e32 v1, 0
	ds_read_b128 v[102:105], v1 offset:1008
	ds_read_b128 v[114:117], v1 offset:1024
	;; [unrolled: 1-line block ×10, first 2 shown]
	v_cmp_lt_u32_e32 vcc, 13, v212
	s_waitcnt vmcnt(48) lgkmcnt(9)
	v_mul_f64 v[26:27], v[102:103], v[96:97]
	v_fmac_f64_e32 v[26:27], v[104:105], v[94:95]
	v_add_f64 v[26:27], v[26:27], 0
	v_mul_f64 v[96:97], v[104:105], v[96:97]
	s_waitcnt vmcnt(44) lgkmcnt(8)
	v_mul_f64 v[28:29], v[114:115], v[100:101]
	v_fmac_f64_e32 v[28:29], v[116:117], v[98:99]
	s_waitcnt vmcnt(42) lgkmcnt(7)
	v_mul_f64 v[30:31], v[244:245], v[106:107]
	v_add_f64 v[26:27], v[26:27], v[28:29]
	s_waitcnt vmcnt(40) lgkmcnt(5)
	v_mul_f64 v[34:35], v[22:23], v[120:121]
	v_fma_f64 v[206:207], v[102:103], v[94:95], -v[96:97]
	s_waitcnt vmcnt(38)
	v_fmac_f64_e32 v[34:35], v[24:25], v[124:125]
	v_mul_f64 v[100:101], v[116:117], v[100:101]
	s_waitcnt vmcnt(36)
	v_mul_f64 v[32:33], v[250:251], v[110:111]
	v_fma_f64 v[208:209], v[114:115], v[98:99], -v[100:101]
	s_waitcnt vmcnt(34) lgkmcnt(3)
	v_mul_f64 v[38:39], v[14:15], v[118:119]
	v_mul_f64 v[106:107], v[246:247], v[106:107]
	s_waitcnt vmcnt(32)
	v_fmac_f64_e32 v[38:39], v[16:17], v[122:123]
	v_mul_f64 v[110:111], v[252:253], v[110:111]
	s_waitcnt vmcnt(30)
	v_mul_f64 v[36:37], v[18:19], v[130:131]
	v_mul_f64 v[24:25], v[24:25], v[120:121]
	v_fma_f64 v[22:23], v[22:23], v[124:125], -v[24:25]
	s_waitcnt vmcnt(27) lgkmcnt(2)
	v_mul_f64 v[40:41], v[10:11], v[128:129]
	s_waitcnt vmcnt(26) lgkmcnt(1)
	v_mul_f64 v[42:43], v[6:7], v[126:127]
	v_mul_f64 v[16:17], v[16:17], v[118:119]
	s_waitcnt vmcnt(24)
	v_fmac_f64_e32 v[30:31], v[246:247], v[108:109]
	v_add_f64 v[26:27], v[26:27], v[30:31]
	s_waitcnt vmcnt(22)
	v_fmac_f64_e32 v[32:33], v[252:253], v[112:113]
	v_add_f64 v[26:27], v[26:27], v[32:33]
	;; [unrolled: 3-line block ×3, first 2 shown]
	v_add_f64 v[26:27], v[26:27], v[36:37]
	s_waitcnt vmcnt(18)
	v_fmac_f64_e32 v[40:41], v[12:13], v[132:133]
	v_add_f64 v[26:27], v[26:27], v[38:39]
	v_add_f64 v[26:27], v[26:27], v[40:41]
	s_waitcnt vmcnt(16)
	v_fmac_f64_e32 v[42:43], v[8:9], v[138:139]
	v_add_f64 v[34:35], v[26:27], v[42:43]
	ds_read_b128 v[26:29], v1 offset:1168
	ds_read_b128 v[30:33], v1 offset:1184
	buffer_load_dword v155, off, s[0:3], 0 offset:492
	buffer_load_dword v154, off, s[0:3], 0 offset:488
	;; [unrolled: 1-line block ×56, first 2 shown]
	s_waitcnt vmcnt(62) lgkmcnt(2)
	v_mul_f64 v[36:37], v[2:3], v[142:143]
	v_fmac_f64_e32 v[36:37], v[4:5], v[144:145]
	v_add_f64 v[34:35], v[34:35], v[36:37]
	s_waitcnt lgkmcnt(1)
	v_mul_f64 v[36:37], v[26:27], v[136:137]
	v_fmac_f64_e32 v[36:37], v[28:29], v[140:141]
	v_add_f64 v[34:35], v[34:35], v[36:37]
	s_waitcnt lgkmcnt(0)
	v_mul_f64 v[36:37], v[30:31], v[146:147]
	s_waitcnt vmcnt(60)
	v_fmac_f64_e32 v[36:37], v[32:33], v[150:151]
	v_add_f64 v[42:43], v[34:35], v[36:37]
	ds_read_b128 v[34:37], v1 offset:1200
	buffer_load_dword v201, off, s[0:3], 0 offset:716
	buffer_load_dword v200, off, s[0:3], 0 offset:712
	;; [unrolled: 1-line block ×16, first 2 shown]
	ds_read_b128 v[38:41], v1 offset:1216
	buffer_load_dword v231, off, s[0:3], 0 offset:780
	buffer_load_dword v230, off, s[0:3], 0 offset:776
	;; [unrolled: 1-line block ×8, first 2 shown]
	ds_read_b128 v[98:101], v1 offset:1456
	s_waitcnt vmcnt(62) lgkmcnt(2)
	v_mul_f64 v[44:45], v[34:35], v[148:149]
	v_fmac_f64_e32 v[44:45], v[36:37], v[152:153]
	v_add_f64 v[46:47], v[42:43], v[44:45]
	ds_read_b128 v[42:45], v1 offset:1232
	v_fma_f64 v[248:249], v[244:245], v[108:109], -v[106:107]
	ds_read_b128 v[106:109], v1 offset:1488
	v_fma_f64 v[246:247], v[250:251], v[112:113], -v[110:111]
	v_mul_f64 v[20:21], v[20:21], v[130:131]
	v_fma_f64 v[18:19], v[18:19], v[134:135], -v[20:21]
	v_fma_f64 v[14:15], v[14:15], v[122:123], -v[16:17]
	v_mul_f64 v[12:13], v[12:13], v[128:129]
	v_fma_f64 v[10:11], v[10:11], v[132:133], -v[12:13]
	v_mul_f64 v[8:9], v[8:9], v[126:127]
	v_fma_f64 v[6:7], v[6:7], v[138:139], -v[8:9]
	v_mul_f64 v[4:5], v[4:5], v[142:143]
	s_waitcnt lgkmcnt(3)
	v_mul_f64 v[48:49], v[38:39], v[170:171]
	v_fma_f64 v[2:3], v[2:3], v[144:145], -v[4:5]
	v_fmac_f64_e32 v[48:49], v[40:41], v[174:175]
	v_add_f64 v[50:51], v[46:47], v[48:49]
	ds_read_b128 v[46:49], v1 offset:1248
	s_waitcnt lgkmcnt(2)
	v_mul_f64 v[52:53], v[42:43], v[154:155]
	v_fmac_f64_e32 v[52:53], v[44:45], v[156:157]
	v_add_f64 v[54:55], v[50:51], v[52:53]
	ds_read_b128 v[50:53], v1 offset:1264
	s_waitcnt lgkmcnt(1)
	v_mul_f64 v[56:57], v[46:47], v[178:179]
	;; [unrolled: 5-line block ×3, first 2 shown]
	v_fmac_f64_e32 v[60:61], v[52:53], v[160:161]
	v_add_f64 v[62:63], v[58:59], v[60:61]
	ds_read_b128 v[58:61], v1 offset:1296
	s_waitcnt vmcnt(58) lgkmcnt(1)
	v_mul_f64 v[64:65], v[54:55], v[186:187]
	s_waitcnt vmcnt(56)
	v_fmac_f64_e32 v[64:65], v[56:57], v[190:191]
	v_add_f64 v[66:67], v[62:63], v[64:65]
	ds_read_b128 v[62:65], v1 offset:1312
	s_waitcnt lgkmcnt(1)
	v_mul_f64 v[68:69], v[58:59], v[162:163]
	v_fmac_f64_e32 v[68:69], v[60:61], v[164:165]
	v_add_f64 v[70:71], v[66:67], v[68:69]
	ds_read_b128 v[66:69], v1 offset:1328
	s_waitcnt vmcnt(50) lgkmcnt(1)
	v_mul_f64 v[72:73], v[62:63], v[194:195]
	s_waitcnt vmcnt(48)
	v_fmac_f64_e32 v[72:73], v[64:65], v[198:199]
	v_add_f64 v[74:75], v[70:71], v[72:73]
	ds_read_b128 v[70:73], v1 offset:1344
	s_waitcnt lgkmcnt(1)
	v_mul_f64 v[76:77], v[66:67], v[166:167]
	;; [unrolled: 11-line block ×3, first 2 shown]
	v_fmac_f64_e32 v[84:85], v[76:77], v[176:177]
	v_add_f64 v[90:91], v[82:83], v[84:85]
	ds_read_b128 v[82:85], v1 offset:1392
	ds_read_b128 v[86:89], v1 offset:1408
	s_waitcnt vmcnt(34) lgkmcnt(2)
	v_mul_f64 v[92:93], v[78:79], v[218:219]
	s_waitcnt vmcnt(32)
	v_fmac_f64_e32 v[92:93], v[80:81], v[224:225]
	v_add_f64 v[90:91], v[90:91], v[92:93]
	s_waitcnt lgkmcnt(1)
	v_mul_f64 v[92:93], v[82:83], v[180:181]
	v_fmac_f64_e32 v[92:93], v[84:85], v[184:185]
	v_add_f64 v[90:91], v[90:91], v[92:93]
	s_waitcnt vmcnt(27) lgkmcnt(0)
	v_mul_f64 v[92:93], v[86:87], v[222:223]
	s_waitcnt vmcnt(25)
	v_fmac_f64_e32 v[92:93], v[88:89], v[226:227]
	v_add_f64 v[196:197], v[90:91], v[92:93]
	ds_read_b128 v[90:93], v1 offset:1424
	ds_read_b128 v[94:97], v1 offset:1440
	;; [unrolled: 1-line block ×3, first 2 shown]
	v_mul_f64 v[4:5], v[28:29], v[136:137]
	v_fma_f64 v[4:5], v[26:27], v[140:141], -v[4:5]
	s_waitcnt lgkmcnt(2)
	v_mul_f64 v[102:103], v[90:91], v[188:189]
	s_waitcnt vmcnt(24)
	v_fmac_f64_e32 v[102:103], v[92:93], v[192:193]
	s_waitcnt vmcnt(18) lgkmcnt(1)
	v_mul_f64 v[104:105], v[94:95], v[228:229]
	v_add_f64 v[102:103], v[196:197], v[102:103]
	s_waitcnt vmcnt(16)
	v_fmac_f64_e32 v[104:105], v[96:97], v[232:233]
	v_add_f64 v[102:103], v[102:103], v[104:105]
	v_mul_f64 v[104:105], v[98:99], v[200:201]
	v_fmac_f64_e32 v[104:105], v[100:101], v[204:205]
	v_add_f64 v[114:115], v[102:103], v[104:105]
	ds_read_b128 v[102:105], v1 offset:1472
	s_waitcnt vmcnt(10) lgkmcnt(0)
	v_mul_f64 v[116:117], v[102:103], v[236:237]
	s_waitcnt vmcnt(8)
	v_fmac_f64_e32 v[116:117], v[104:105], v[238:239]
	v_add_f64 v[114:115], v[114:115], v[116:117]
	v_mul_f64 v[116:117], v[106:107], v[216:217]
	v_fmac_f64_e32 v[116:117], v[108:109], v[220:221]
	v_add_f64 v[114:115], v[114:115], v[116:117]
	s_waitcnt vmcnt(2)
	v_mul_f64 v[116:117], v[110:111], v[240:241]
	s_waitcnt vmcnt(0)
	v_fmac_f64_e32 v[116:117], v[112:113], v[242:243]
	v_add_f64 v[196:197], v[114:115], v[116:117]
	ds_read_b128 v[114:117], v1 offset:1520
	buffer_load_dword v252, off, s[0:3], 0 offset:240
	buffer_load_dword v253, off, s[0:3], 0 offset:244
	s_waitcnt lgkmcnt(0)
	v_mul_f64 v[210:211], v[114:115], v[230:231]
	v_fmac_f64_e32 v[210:211], v[116:117], v[234:235]
	v_add_f64 v[244:245], v[196:197], v[210:211]
	v_add_f64 v[196:197], v[206:207], 0
	;; [unrolled: 1-line block ×4, first 2 shown]
	buffer_load_dword v248, off, s[0:3], 0 offset:248
	buffer_load_dword v249, off, s[0:3], 0 offset:252
	v_add_f64 v[196:197], v[196:197], v[246:247]
	v_add_f64 v[22:23], v[196:197], v[22:23]
	;; [unrolled: 1-line block ×8, first 2 shown]
	v_mul_f64 v[4:5], v[32:33], v[146:147]
	v_fma_f64 v[4:5], v[30:31], v[150:151], -v[4:5]
	v_add_f64 v[2:3], v[2:3], v[4:5]
	v_mul_f64 v[4:5], v[36:37], v[148:149]
	v_fma_f64 v[4:5], v[34:35], v[152:153], -v[4:5]
	v_add_f64 v[2:3], v[2:3], v[4:5]
	;; [unrolled: 3-line block ×22, first 2 shown]
	s_waitcnt vmcnt(2)
	v_add_f64 v[2:3], v[252:253], -v[2:3]
	s_waitcnt vmcnt(0)
	v_add_f64 v[4:5], v[248:249], -v[244:245]
	buffer_store_dword v3, off, s[0:3], 0 offset:244
	buffer_store_dword v2, off, s[0:3], 0 offset:240
	;; [unrolled: 1-line block ×4, first 2 shown]
	s_and_saveexec_b64 s[4:5], vcc
	s_cbranch_execz .LBB47_275
; %bb.274:
	v_accvgpr_read_b32 v0, a130
	buffer_load_dword v2, v0, s[0:3], 0 offen
	buffer_load_dword v3, v0, s[0:3], 0 offen offset:4
	buffer_load_dword v4, v0, s[0:3], 0 offen offset:8
	;; [unrolled: 1-line block ×3, first 2 shown]
	v_accvgpr_read_b32 v0, a144
	buffer_store_dword v1, off, s[0:3], 0 offset:224
	buffer_store_dword v1, off, s[0:3], 0 offset:228
	buffer_store_dword v1, off, s[0:3], 0 offset:232
	buffer_store_dword v1, off, s[0:3], 0 offset:236
	s_waitcnt vmcnt(4)
	ds_write_b128 v0, v[2:5]
.LBB47_275:
	s_or_b64 exec, exec, s[4:5]
	s_waitcnt lgkmcnt(0)
	; wave barrier
	s_waitcnt lgkmcnt(0)
	buffer_load_dword v86, off, s[0:3], 0 offset:240
	buffer_load_dword v87, off, s[0:3], 0 offset:244
	;; [unrolled: 1-line block ×42, first 2 shown]
	ds_read_b128 v[94:97], v1 offset:992
	ds_read_b128 v[106:109], v1 offset:1008
	;; [unrolled: 1-line block ×10, first 2 shown]
	buffer_load_dword v145, off, s[0:3], 0 offset:388
	buffer_load_dword v144, off, s[0:3], 0 offset:384
	ds_read_b128 v[6:9], v1 offset:1152
	buffer_load_dword v141, off, s[0:3], 0 offset:444
	buffer_load_dword v140, off, s[0:3], 0 offset:440
	;; [unrolled: 1-line block ×80, first 2 shown]
	s_waitcnt vmcnt(62) lgkmcnt(10)
	v_mul_f64 v[26:27], v[94:95], v[88:89]
	v_fmac_f64_e32 v[26:27], v[96:97], v[86:87]
	v_add_f64 v[26:27], v[26:27], 0
	v_mul_f64 v[88:89], v[96:97], v[88:89]
	s_waitcnt lgkmcnt(9)
	v_mul_f64 v[28:29], v[106:107], v[92:93]
	v_fmac_f64_e32 v[28:29], v[108:109], v[90:91]
	s_waitcnt lgkmcnt(8)
	v_mul_f64 v[30:31], v[114:115], v[98:99]
	v_add_f64 v[26:27], v[26:27], v[28:29]
	s_waitcnt lgkmcnt(6)
	v_mul_f64 v[34:35], v[248:249], v[110:111]
	v_fma_f64 v[206:207], v[94:95], v[86:87], -v[88:89]
	v_fmac_f64_e32 v[34:35], v[250:251], v[112:113]
	v_mul_f64 v[92:93], v[108:109], v[92:93]
	v_mul_f64 v[32:33], v[244:245], v[102:103]
	;; [unrolled: 1-line block ×3, first 2 shown]
	s_waitcnt lgkmcnt(4)
	v_mul_f64 v[38:39], v[18:19], v[118:119]
	v_mul_f64 v[102:103], v[246:247], v[102:103]
	v_fmac_f64_e32 v[38:39], v[20:21], v[120:121]
	v_mul_f64 v[110:111], v[250:251], v[110:111]
	v_mul_f64 v[36:37], v[22:23], v[122:123]
	v_fma_f64 v[248:249], v[248:249], v[112:113], -v[110:111]
	s_waitcnt lgkmcnt(2)
	v_mul_f64 v[42:43], v[10:11], v[124:125]
	v_add_f64 v[206:207], v[206:207], 0
	v_mul_f64 v[20:21], v[20:21], v[118:119]
	v_mul_f64 v[40:41], v[14:15], v[130:131]
	v_fma_f64 v[18:19], v[18:19], v[120:121], -v[20:21]
	s_waitcnt lgkmcnt(1)
	v_mul_f64 v[44:45], v[2:3], v[128:129]
	v_fmac_f64_e32 v[30:31], v[116:117], v[100:101]
	v_add_f64 v[26:27], v[26:27], v[30:31]
	v_fmac_f64_e32 v[32:33], v[246:247], v[104:105]
	v_add_f64 v[26:27], v[26:27], v[32:33]
	;; [unrolled: 2-line block ×3, first 2 shown]
	v_add_f64 v[26:27], v[26:27], v[36:37]
	v_fmac_f64_e32 v[40:41], v[16:17], v[132:133]
	v_add_f64 v[26:27], v[26:27], v[38:39]
	v_fmac_f64_e32 v[42:43], v[12:13], v[126:127]
	v_add_f64 v[26:27], v[26:27], v[40:41]
	v_add_f64 v[26:27], v[26:27], v[42:43]
	s_waitcnt lgkmcnt(0)
	v_mul_f64 v[32:33], v[6:7], v[136:137]
	v_fmac_f64_e32 v[44:45], v[4:5], v[144:145]
	v_add_f64 v[30:31], v[26:27], v[44:45]
	ds_read_b128 v[26:29], v1 offset:1168
	v_fmac_f64_e32 v[32:33], v[8:9], v[138:139]
	v_add_f64 v[34:35], v[30:31], v[32:33]
	ds_read_b128 v[30:33], v1 offset:1184
	v_fma_f64 v[208:209], v[114:115], v[100:101], -v[98:99]
	s_waitcnt lgkmcnt(1)
	v_mul_f64 v[36:37], v[26:27], v[146:147]
	v_fmac_f64_e32 v[36:37], v[28:29], v[162:163]
	v_add_f64 v[38:39], v[34:35], v[36:37]
	ds_read_b128 v[34:37], v1 offset:1200
	s_waitcnt lgkmcnt(1)
	v_mul_f64 v[40:41], v[30:31], v[140:141]
	v_fmac_f64_e32 v[40:41], v[32:33], v[142:143]
	v_add_f64 v[42:43], v[38:39], v[40:41]
	ds_read_b128 v[38:41], v1 offset:1216
	;; [unrolled: 5-line block ×4, first 2 shown]
	s_waitcnt vmcnt(58) lgkmcnt(1)
	v_mul_f64 v[52:53], v[42:43], v[174:175]
	s_waitcnt vmcnt(56)
	v_fmac_f64_e32 v[52:53], v[44:45], v[178:179]
	v_add_f64 v[54:55], v[50:51], v[52:53]
	ds_read_b128 v[50:53], v1 offset:1264
	buffer_load_dword v232, off, s[0:3], 0 offset:760
	buffer_load_dword v237, off, s[0:3], 0 offset:748
	;; [unrolled: 1-line block ×8, first 2 shown]
	s_waitcnt lgkmcnt(1)
	v_mul_f64 v[56:57], v[46:47], v[152:153]
	v_fmac_f64_e32 v[56:57], v[48:49], v[154:155]
	v_add_f64 v[58:59], v[54:55], v[56:57]
	ds_read_b128 v[54:57], v1 offset:1280
	s_waitcnt vmcnt(58) lgkmcnt(1)
	v_mul_f64 v[60:61], v[50:51], v[182:183]
	s_waitcnt vmcnt(56)
	v_fmac_f64_e32 v[60:61], v[52:53], v[186:187]
	buffer_load_dword v241, off, s[0:3], 0 offset:780
	buffer_load_dword v240, off, s[0:3], 0 offset:776
	;; [unrolled: 1-line block ×4, first 2 shown]
	v_add_f64 v[62:63], v[58:59], v[60:61]
	ds_read_b128 v[58:61], v1 offset:1296
	s_waitcnt lgkmcnt(1)
	v_mul_f64 v[64:65], v[54:55], v[156:157]
	v_fmac_f64_e32 v[64:65], v[56:57], v[158:159]
	v_add_f64 v[66:67], v[62:63], v[64:65]
	ds_read_b128 v[62:65], v1 offset:1312
	s_waitcnt vmcnt(54) lgkmcnt(1)
	v_mul_f64 v[68:69], v[58:59], v[190:191]
	s_waitcnt vmcnt(52)
	v_fmac_f64_e32 v[68:69], v[60:61], v[194:195]
	v_add_f64 v[70:71], v[66:67], v[68:69]
	ds_read_b128 v[66:69], v1 offset:1328
	s_waitcnt lgkmcnt(1)
	v_mul_f64 v[72:73], v[62:63], v[160:161]
	v_fmac_f64_e32 v[72:73], v[64:65], v[164:165]
	v_add_f64 v[74:75], v[70:71], v[72:73]
	ds_read_b128 v[70:73], v1 offset:1344
	s_waitcnt vmcnt(46) lgkmcnt(1)
	v_mul_f64 v[76:77], v[66:67], v[200:201]
	s_waitcnt vmcnt(44)
	v_fmac_f64_e32 v[76:77], v[68:69], v[204:205]
	v_add_f64 v[82:83], v[74:75], v[76:77]
	ds_read_b128 v[74:77], v1 offset:1360
	ds_read_b128 v[78:81], v1 offset:1376
	s_waitcnt lgkmcnt(2)
	v_mul_f64 v[84:85], v[70:71], v[168:169]
	v_fmac_f64_e32 v[84:85], v[72:73], v[172:173]
	v_add_f64 v[82:83], v[82:83], v[84:85]
	s_waitcnt vmcnt(38) lgkmcnt(1)
	v_mul_f64 v[84:85], v[74:75], v[216:217]
	s_waitcnt vmcnt(36)
	v_fmac_f64_e32 v[84:85], v[76:77], v[218:219]
	v_add_f64 v[82:83], v[82:83], v[84:85]
	s_waitcnt lgkmcnt(0)
	v_mul_f64 v[84:85], v[78:79], v[176:177]
	v_fmac_f64_e32 v[84:85], v[80:81], v[180:181]
	v_add_f64 v[196:197], v[82:83], v[84:85]
	ds_read_b128 v[82:85], v1 offset:1392
	ds_read_b128 v[86:89], v1 offset:1408
	;; [unrolled: 1-line block ×3, first 2 shown]
	v_fma_f64 v[246:247], v[244:245], v[104:105], -v[102:103]
	ds_read_b128 v[102:105], v1 offset:1488
	ds_read_b128 v[110:113], v1 offset:1504
	s_waitcnt vmcnt(30) lgkmcnt(4)
	v_mul_f64 v[94:95], v[82:83], v[220:221]
	s_waitcnt vmcnt(28)
	v_fmac_f64_e32 v[94:95], v[84:85], v[222:223]
	v_add_f64 v[94:95], v[196:197], v[94:95]
	v_fma_f64 v[196:197], v[106:107], v[90:91], -v[92:93]
	ds_read_b128 v[90:93], v1 offset:1424
	s_waitcnt lgkmcnt(4)
	v_mul_f64 v[96:97], v[86:87], v[184:185]
	v_fmac_f64_e32 v[96:97], v[88:89], v[188:189]
	v_add_f64 v[106:107], v[94:95], v[96:97]
	ds_read_b128 v[94:97], v1 offset:1440
	s_waitcnt vmcnt(22) lgkmcnt(1)
	v_mul_f64 v[108:109], v[90:91], v[224:225]
	s_waitcnt vmcnt(20)
	v_fmac_f64_e32 v[108:109], v[92:93], v[226:227]
	v_add_f64 v[106:107], v[106:107], v[108:109]
	v_add_f64 v[196:197], v[206:207], v[196:197]
	s_waitcnt lgkmcnt(0)
	v_mul_f64 v[108:109], v[94:95], v[192:193]
	v_fmac_f64_e32 v[108:109], v[96:97], v[198:199]
	v_add_f64 v[114:115], v[106:107], v[108:109]
	ds_read_b128 v[106:109], v1 offset:1472
	s_waitcnt vmcnt(14)
	v_mul_f64 v[116:117], v[98:99], v[228:229]
	s_waitcnt vmcnt(12)
	v_fmac_f64_e32 v[116:117], v[100:101], v[230:231]
	v_add_f64 v[114:115], v[114:115], v[116:117]
	v_add_f64 v[250:251], v[196:197], v[208:209]
	s_waitcnt lgkmcnt(0)
	v_mul_f64 v[116:117], v[106:107], v[202:203]
	v_fmac_f64_e32 v[116:117], v[108:109], v[214:215]
	v_add_f64 v[114:115], v[114:115], v[116:117]
	v_add_f64 v[196:197], v[250:251], v[246:247]
	v_mul_f64 v[24:25], v[24:25], v[122:123]
	v_add_f64 v[196:197], v[196:197], v[248:249]
	v_fma_f64 v[22:23], v[22:23], v[134:135], -v[24:25]
	v_add_f64 v[22:23], v[196:197], v[22:23]
	v_mul_f64 v[16:17], v[16:17], v[130:131]
	v_add_f64 v[18:19], v[22:23], v[18:19]
	v_fma_f64 v[14:15], v[14:15], v[132:133], -v[16:17]
	v_mul_f64 v[12:13], v[12:13], v[124:125]
	s_waitcnt vmcnt(9)
	v_mul_f64 v[116:117], v[102:103], v[236:237]
	v_add_f64 v[14:15], v[18:19], v[14:15]
	s_waitcnt vmcnt(7)
	v_fmac_f64_e32 v[116:117], v[104:105], v[238:239]
	v_add_f64 v[114:115], v[114:115], v[116:117]
	s_waitcnt vmcnt(5)
	v_mul_f64 v[116:117], v[110:111], v[232:233]
	s_waitcnt vmcnt(4)
	v_fmac_f64_e32 v[116:117], v[112:113], v[234:235]
	v_add_f64 v[210:211], v[114:115], v[116:117]
	ds_read_b128 v[114:117], v1 offset:1520
	buffer_load_dword v254, off, s[0:3], 0 offset:224
	buffer_load_dword v255, off, s[0:3], 0 offset:228
	buffer_load_dword v252, off, s[0:3], 0 offset:232
	buffer_load_dword v253, off, s[0:3], 0 offset:236
	v_fma_f64 v[10:11], v[10:11], v[126:127], -v[12:13]
	v_mul_f64 v[4:5], v[4:5], v[128:129]
	v_add_f64 v[10:11], v[14:15], v[10:11]
	v_fma_f64 v[2:3], v[2:3], v[144:145], -v[4:5]
	v_mul_f64 v[4:5], v[8:9], v[136:137]
	v_add_f64 v[2:3], v[10:11], v[2:3]
	v_fma_f64 v[4:5], v[6:7], v[138:139], -v[4:5]
	v_add_f64 v[2:3], v[2:3], v[4:5]
	v_mul_f64 v[4:5], v[28:29], v[146:147]
	v_fma_f64 v[4:5], v[26:27], v[162:163], -v[4:5]
	v_add_f64 v[2:3], v[2:3], v[4:5]
	v_mul_f64 v[4:5], v[32:33], v[140:141]
	;; [unrolled: 3-line block ×22, first 2 shown]
	v_fma_f64 v[4:5], v[110:111], v[234:235], -v[4:5]
	v_add_f64 v[2:3], v[2:3], v[4:5]
	s_waitcnt vmcnt(6) lgkmcnt(0)
	v_mul_f64 v[4:5], v[116:117], v[240:241]
	s_waitcnt vmcnt(4)
	v_fma_f64 v[4:5], v[114:115], v[242:243], -v[4:5]
	v_mul_f64 v[212:213], v[114:115], v[240:241]
	v_add_f64 v[2:3], v[2:3], v[4:5]
	v_fmac_f64_e32 v[212:213], v[116:117], v[242:243]
	s_waitcnt vmcnt(2)
	v_add_f64 v[2:3], v[254:255], -v[2:3]
	v_accvgpr_read_b32 v254, a143
	v_add_f64 v[244:245], v[210:211], v[212:213]
	v_cmp_lt_u32_e32 vcc, 12, v254
	s_waitcnt vmcnt(0)
	v_add_f64 v[4:5], v[252:253], -v[244:245]
	buffer_store_dword v3, off, s[0:3], 0 offset:228
	buffer_store_dword v2, off, s[0:3], 0 offset:224
	;; [unrolled: 1-line block ×4, first 2 shown]
	s_and_saveexec_b64 s[4:5], vcc
	s_cbranch_execz .LBB47_277
; %bb.276:
	v_accvgpr_read_b32 v0, a131
	buffer_load_dword v2, v0, s[0:3], 0 offen
	buffer_load_dword v3, v0, s[0:3], 0 offen offset:4
	buffer_load_dword v4, v0, s[0:3], 0 offen offset:8
	;; [unrolled: 1-line block ×3, first 2 shown]
	v_mov_b32_e32 v0, 0
	v_accvgpr_read_b32 v1, a144
	buffer_store_dword v0, off, s[0:3], 0 offset:208
	buffer_store_dword v0, off, s[0:3], 0 offset:212
	;; [unrolled: 1-line block ×4, first 2 shown]
	s_waitcnt vmcnt(4)
	ds_write_b128 v1, v[2:5]
.LBB47_277:
	s_or_b64 exec, exec, s[4:5]
	s_waitcnt lgkmcnt(0)
	; wave barrier
	s_waitcnt lgkmcnt(0)
	buffer_load_dword v82, off, s[0:3], 0 offset:224
	buffer_load_dword v83, off, s[0:3], 0 offset:228
	;; [unrolled: 1-line block ×54, first 2 shown]
	v_mov_b32_e32 v1, 0
	ds_read_b128 v[90:93], v1 offset:976
	ds_read_b128 v[106:109], v1 offset:992
	;; [unrolled: 1-line block ×9, first 2 shown]
	buffer_load_dword v149, off, s[0:3], 0 offset:452
	buffer_load_dword v148, off, s[0:3], 0 offset:448
	;; [unrolled: 1-line block ×62, first 2 shown]
	v_cmp_lt_u32_e32 vcc, 11, v254
	s_waitcnt vmcnt(62) lgkmcnt(8)
	v_mul_f64 v[14:15], v[90:91], v[84:85]
	v_fmac_f64_e32 v[14:15], v[92:93], v[82:83]
	v_add_f64 v[14:15], v[14:15], 0
	v_mul_f64 v[84:85], v[92:93], v[84:85]
	s_waitcnt lgkmcnt(7)
	v_mul_f64 v[16:17], v[106:107], v[88:89]
	v_fmac_f64_e32 v[16:17], v[108:109], v[86:87]
	s_waitcnt lgkmcnt(6)
	v_mul_f64 v[18:19], v[114:115], v[94:95]
	v_add_f64 v[14:15], v[14:15], v[16:17]
	s_waitcnt lgkmcnt(4)
	v_mul_f64 v[22:23], v[246:247], v[102:103]
	v_fma_f64 v[206:207], v[90:91], v[82:83], -v[84:85]
	v_fmac_f64_e32 v[22:23], v[248:249], v[104:105]
	v_mul_f64 v[88:89], v[108:109], v[88:89]
	v_mul_f64 v[20:21], v[242:243], v[98:99]
	v_fma_f64 v[208:209], v[106:107], v[86:87], -v[88:89]
	s_waitcnt lgkmcnt(2)
	v_mul_f64 v[26:27], v[10:11], v[118:119]
	v_mul_f64 v[94:95], v[116:117], v[94:95]
	v_fmac_f64_e32 v[26:27], v[12:13], v[120:121]
	v_mul_f64 v[98:99], v[244:245], v[98:99]
	v_mul_f64 v[24:25], v[250:251], v[110:111]
	;; [unrolled: 1-line block ×3, first 2 shown]
	s_waitcnt lgkmcnt(1)
	v_mul_f64 v[28:29], v[6:7], v[122:123]
	v_mul_f64 v[110:111], v[252:253], v[110:111]
	v_fmac_f64_e32 v[18:19], v[116:117], v[96:97]
	v_add_f64 v[14:15], v[14:15], v[18:19]
	v_fmac_f64_e32 v[20:21], v[244:245], v[100:101]
	v_add_f64 v[14:15], v[14:15], v[20:21]
	;; [unrolled: 2-line block ×3, first 2 shown]
	v_add_f64 v[14:15], v[14:15], v[24:25]
	v_fmac_f64_e32 v[28:29], v[8:9], v[126:127]
	v_add_f64 v[14:15], v[14:15], v[26:27]
	v_add_f64 v[18:19], v[14:15], v[28:29]
	ds_read_b128 v[14:17], v1 offset:1120
	s_waitcnt lgkmcnt(1)
	v_mul_f64 v[20:21], v[2:3], v[124:125]
	v_fmac_f64_e32 v[20:21], v[4:5], v[128:129]
	v_add_f64 v[22:23], v[18:19], v[20:21]
	ds_read_b128 v[18:21], v1 offset:1136
	s_waitcnt lgkmcnt(1)
	v_mul_f64 v[24:25], v[14:15], v[134:135]
	v_fmac_f64_e32 v[24:25], v[16:17], v[136:137]
	;; [unrolled: 5-line block ×5, first 2 shown]
	v_add_f64 v[38:39], v[34:35], v[36:37]
	ds_read_b128 v[34:37], v1 offset:1200
	s_waitcnt vmcnt(58) lgkmcnt(1)
	v_mul_f64 v[40:41], v[30:31], v[162:163]
	s_waitcnt vmcnt(56)
	v_fmac_f64_e32 v[40:41], v[32:33], v[166:167]
	v_add_f64 v[42:43], v[38:39], v[40:41]
	ds_read_b128 v[38:41], v1 offset:1216
	s_waitcnt lgkmcnt(1)
	v_mul_f64 v[44:45], v[34:35], v[142:143]
	v_fmac_f64_e32 v[44:45], v[36:37], v[148:149]
	v_add_f64 v[46:47], v[42:43], v[44:45]
	ds_read_b128 v[42:45], v1 offset:1232
	s_waitcnt vmcnt(50) lgkmcnt(1)
	v_mul_f64 v[48:49], v[38:39], v[170:171]
	s_waitcnt vmcnt(48)
	v_fmac_f64_e32 v[48:49], v[40:41], v[174:175]
	v_add_f64 v[50:51], v[46:47], v[48:49]
	ds_read_b128 v[46:49], v1 offset:1248
	buffer_load_dword v221, off, s[0:3], 0 offset:700
	buffer_load_dword v220, off, s[0:3], 0 offset:696
	;; [unrolled: 1-line block ×8, first 2 shown]
	s_waitcnt lgkmcnt(1)
	v_mul_f64 v[52:53], v[42:43], v[150:151]
	v_fmac_f64_e32 v[52:53], v[44:45], v[152:153]
	v_add_f64 v[54:55], v[50:51], v[52:53]
	ds_read_b128 v[50:53], v1 offset:1264
	s_waitcnt vmcnt(50) lgkmcnt(1)
	v_mul_f64 v[56:57], v[46:47], v[178:179]
	s_waitcnt vmcnt(48)
	v_fmac_f64_e32 v[56:57], v[48:49], v[182:183]
	buffer_load_dword v225, off, s[0:3], 0 offset:748
	buffer_load_dword v231, off, s[0:3], 0 offset:732
	;; [unrolled: 1-line block ×12, first 2 shown]
	v_add_f64 v[58:59], v[54:55], v[56:57]
	ds_read_b128 v[54:57], v1 offset:1280
	s_waitcnt lgkmcnt(1)
	v_mul_f64 v[60:61], v[50:51], v[154:155]
	v_fmac_f64_e32 v[60:61], v[52:53], v[156:157]
	v_add_f64 v[62:63], v[58:59], v[60:61]
	ds_read_b128 v[58:61], v1 offset:1296
	s_waitcnt vmcnt(54) lgkmcnt(1)
	v_mul_f64 v[64:65], v[54:55], v[186:187]
	s_waitcnt vmcnt(52)
	v_fmac_f64_e32 v[64:65], v[56:57], v[190:191]
	v_add_f64 v[66:67], v[62:63], v[64:65]
	ds_read_b128 v[62:65], v1 offset:1312
	s_waitcnt lgkmcnt(1)
	v_mul_f64 v[68:69], v[58:59], v[158:159]
	v_fmac_f64_e32 v[68:69], v[60:61], v[160:161]
	v_add_f64 v[70:71], v[66:67], v[68:69]
	ds_read_b128 v[66:69], v1 offset:1328
	s_waitcnt vmcnt(46) lgkmcnt(1)
	v_mul_f64 v[72:73], v[62:63], v[194:195]
	s_waitcnt vmcnt(44)
	v_fmac_f64_e32 v[72:73], v[64:65], v[198:199]
	v_add_f64 v[78:79], v[70:71], v[72:73]
	ds_read_b128 v[70:73], v1 offset:1344
	ds_read_b128 v[74:77], v1 offset:1360
	s_waitcnt lgkmcnt(2)
	v_mul_f64 v[80:81], v[66:67], v[164:165]
	v_fmac_f64_e32 v[80:81], v[68:69], v[168:169]
	v_add_f64 v[78:79], v[78:79], v[80:81]
	s_waitcnt vmcnt(38) lgkmcnt(1)
	v_mul_f64 v[80:81], v[70:71], v[200:201]
	s_waitcnt vmcnt(36)
	v_fmac_f64_e32 v[80:81], v[72:73], v[202:203]
	v_add_f64 v[78:79], v[78:79], v[80:81]
	s_waitcnt lgkmcnt(0)
	v_mul_f64 v[80:81], v[74:75], v[172:173]
	v_fmac_f64_e32 v[80:81], v[76:77], v[176:177]
	v_add_f64 v[196:197], v[78:79], v[80:81]
	ds_read_b128 v[78:81], v1 offset:1376
	ds_read_b128 v[82:85], v1 offset:1392
	;; [unrolled: 1-line block ×3, first 2 shown]
	v_fma_f64 v[210:211], v[242:243], v[100:101], -v[98:99]
	ds_read_b128 v[98:101], v1 offset:1456
	s_waitcnt vmcnt(30) lgkmcnt(3)
	v_mul_f64 v[90:91], v[78:79], v[204:205]
	s_waitcnt vmcnt(28)
	v_fmac_f64_e32 v[90:91], v[80:81], v[214:215]
	s_waitcnt lgkmcnt(2)
	v_mul_f64 v[92:93], v[82:83], v[180:181]
	v_add_f64 v[90:91], v[196:197], v[90:91]
	v_fmac_f64_e32 v[92:93], v[84:85], v[184:185]
	v_add_f64 v[90:91], v[90:91], v[92:93]
	v_fma_f64 v[196:197], v[114:115], v[96:97], -v[94:95]
	ds_read_b128 v[94:97], v1 offset:1440
	s_waitcnt vmcnt(22) lgkmcnt(2)
	v_mul_f64 v[92:93], v[86:87], v[216:217]
	s_waitcnt vmcnt(20)
	v_fmac_f64_e32 v[92:93], v[88:89], v[218:219]
	v_add_f64 v[106:107], v[90:91], v[92:93]
	ds_read_b128 v[90:93], v1 offset:1424
	buffer_load_dword v240, off, s[0:3], 0 offset:776
	v_fma_f64 v[212:213], v[246:247], v[104:105], -v[102:103]
	ds_read_b128 v[102:105], v1 offset:1472
	v_fma_f64 v[250:251], v[250:251], v[112:113], -v[110:111]
	s_waitcnt lgkmcnt(1)
	v_mul_f64 v[108:109], v[90:91], v[188:189]
	v_fmac_f64_e32 v[108:109], v[92:93], v[192:193]
	v_add_f64 v[106:107], v[106:107], v[108:109]
	ds_read_b128 v[110:113], v1 offset:1504
	v_add_f64 v[206:207], v[206:207], 0
	v_add_f64 v[206:207], v[206:207], v[208:209]
	;; [unrolled: 1-line block ×5, first 2 shown]
	v_mul_f64 v[12:13], v[12:13], v[118:119]
	v_add_f64 v[196:197], v[252:253], v[250:251]
	v_fma_f64 v[10:11], v[10:11], v[120:121], -v[12:13]
	v_mul_f64 v[8:9], v[8:9], v[122:123]
	v_add_f64 v[10:11], v[196:197], v[10:11]
	v_fma_f64 v[6:7], v[6:7], v[126:127], -v[8:9]
	;; [unrolled: 3-line block ×3, first 2 shown]
	v_mul_f64 v[4:5], v[16:17], v[134:135]
	v_add_f64 v[2:3], v[6:7], v[2:3]
	s_waitcnt vmcnt(19)
	v_mul_f64 v[108:109], v[94:95], v[220:221]
	v_fma_f64 v[4:5], v[14:15], v[136:137], -v[4:5]
	s_waitcnt vmcnt(17)
	v_fmac_f64_e32 v[108:109], v[96:97], v[222:223]
	v_add_f64 v[106:107], v[106:107], v[108:109]
	s_waitcnt vmcnt(15)
	v_mul_f64 v[108:109], v[98:99], v[226:227]
	s_waitcnt vmcnt(13)
	v_fmac_f64_e32 v[108:109], v[100:101], v[228:229]
	v_add_f64 v[114:115], v[106:107], v[108:109]
	ds_read_b128 v[106:109], v1 offset:1488
	buffer_load_dword v244, off, s[0:3], 0 offset:768
	buffer_load_dword v241, off, s[0:3], 0 offset:780
	;; [unrolled: 1-line block ×3, first 2 shown]
	s_waitcnt vmcnt(13) lgkmcnt(2)
	v_mul_f64 v[116:117], v[102:103], v[230:231]
	s_waitcnt vmcnt(11)
	v_fmac_f64_e32 v[116:117], v[104:105], v[236:237]
	v_add_f64 v[114:115], v[114:115], v[116:117]
	s_waitcnt vmcnt(10) lgkmcnt(0)
	v_mul_f64 v[116:117], v[106:107], v[224:225]
	s_waitcnt vmcnt(8)
	v_fmac_f64_e32 v[116:117], v[108:109], v[234:235]
	v_add_f64 v[114:115], v[114:115], v[116:117]
	s_waitcnt vmcnt(6)
	v_mul_f64 v[116:117], v[110:111], v[232:233]
	s_waitcnt vmcnt(4)
	v_fmac_f64_e32 v[116:117], v[112:113], v[238:239]
	v_add_f64 v[242:243], v[114:115], v[116:117]
	ds_read_b128 v[114:117], v1 offset:1520
	buffer_load_dword v248, off, s[0:3], 0 offset:208
	buffer_load_dword v249, off, s[0:3], 0 offset:212
	v_add_f64 v[2:3], v[2:3], v[4:5]
	v_mul_f64 v[4:5], v[20:21], v[130:131]
	v_fma_f64 v[4:5], v[18:19], v[132:133], -v[4:5]
	v_add_f64 v[2:3], v[2:3], v[4:5]
	v_mul_f64 v[4:5], v[24:25], v[144:145]
	v_fma_f64 v[4:5], v[22:23], v[146:147], -v[4:5]
	;; [unrolled: 3-line block ×22, first 2 shown]
	v_add_f64 v[2:3], v[2:3], v[4:5]
	s_waitcnt vmcnt(3) lgkmcnt(0)
	v_mul_f64 v[246:247], v[114:115], v[240:241]
	s_waitcnt vmcnt(2)
	v_fmac_f64_e32 v[246:247], v[116:117], v[244:245]
	v_add_f64 v[242:243], v[242:243], v[246:247]
	buffer_load_dword v246, off, s[0:3], 0 offset:216
	buffer_load_dword v247, off, s[0:3], 0 offset:220
	v_mul_f64 v[4:5], v[108:109], v[224:225]
	v_fma_f64 v[4:5], v[106:107], v[234:235], -v[4:5]
	v_add_f64 v[2:3], v[2:3], v[4:5]
	v_mul_f64 v[4:5], v[112:113], v[232:233]
	v_fma_f64 v[4:5], v[110:111], v[238:239], -v[4:5]
	v_add_f64 v[2:3], v[2:3], v[4:5]
	;; [unrolled: 3-line block ×3, first 2 shown]
	s_waitcnt vmcnt(2)
	v_add_f64 v[2:3], v[248:249], -v[2:3]
	s_waitcnt vmcnt(0)
	v_add_f64 v[4:5], v[246:247], -v[242:243]
	buffer_store_dword v3, off, s[0:3], 0 offset:212
	buffer_store_dword v2, off, s[0:3], 0 offset:208
	buffer_store_dword v5, off, s[0:3], 0 offset:220
	buffer_store_dword v4, off, s[0:3], 0 offset:216
	s_and_saveexec_b64 s[4:5], vcc
	s_cbranch_execz .LBB47_279
; %bb.278:
	v_accvgpr_read_b32 v0, a132
	buffer_load_dword v2, v0, s[0:3], 0 offen
	buffer_load_dword v3, v0, s[0:3], 0 offen offset:4
	buffer_load_dword v4, v0, s[0:3], 0 offen offset:8
	;; [unrolled: 1-line block ×3, first 2 shown]
	v_accvgpr_read_b32 v0, a144
	buffer_store_dword v1, off, s[0:3], 0 offset:192
	buffer_store_dword v1, off, s[0:3], 0 offset:196
	;; [unrolled: 1-line block ×4, first 2 shown]
	s_waitcnt vmcnt(4)
	ds_write_b128 v0, v[2:5]
.LBB47_279:
	s_or_b64 exec, exec, s[4:5]
	s_waitcnt lgkmcnt(0)
	; wave barrier
	s_waitcnt lgkmcnt(0)
	buffer_load_dword v84, off, s[0:3], 0 offset:208
	buffer_load_dword v85, off, s[0:3], 0 offset:212
	;; [unrolled: 1-line block ×34, first 2 shown]
	ds_read_b128 v[74:77], v1 offset:960
	ds_read_b128 v[78:81], v1 offset:976
	;; [unrolled: 1-line block ×8, first 2 shown]
	buffer_load_dword v125, off, s[0:3], 0 offset:324
	buffer_load_dword v124, off, s[0:3], 0 offset:320
	ds_read_b128 v[6:9], v1 offset:1088
	buffer_load_dword v127, off, s[0:3], 0 offset:380
	buffer_load_dword v126, off, s[0:3], 0 offset:376
	;; [unrolled: 1-line block ×80, first 2 shown]
	s_waitcnt vmcnt(62) lgkmcnt(8)
	v_mul_f64 v[10:11], v[74:75], v[106:107]
	v_fmac_f64_e32 v[10:11], v[76:77], v[84:85]
	v_add_f64 v[10:11], v[10:11], 0
	v_mul_f64 v[76:77], v[76:77], v[106:107]
	s_waitcnt lgkmcnt(7)
	v_mul_f64 v[12:13], v[78:79], v[96:97]
	v_fmac_f64_e32 v[12:13], v[80:81], v[82:83]
	s_waitcnt lgkmcnt(6)
	v_mul_f64 v[14:15], v[86:87], v[94:95]
	v_add_f64 v[10:11], v[10:11], v[12:13]
	s_waitcnt lgkmcnt(4)
	v_mul_f64 v[18:19], v[98:99], v[108:109]
	v_fma_f64 v[206:207], v[74:75], v[84:85], -v[76:77]
	v_fmac_f64_e32 v[18:19], v[100:101], v[114:115]
	v_mul_f64 v[80:81], v[80:81], v[96:97]
	v_mul_f64 v[16:17], v[90:91], v[116:117]
	v_fma_f64 v[208:209], v[78:79], v[82:83], -v[80:81]
	s_waitcnt lgkmcnt(2)
	v_mul_f64 v[22:23], v[110:111], v[240:241]
	v_mul_f64 v[100:101], v[100:101], v[108:109]
	v_fma_f64 v[212:213], v[98:99], v[114:115], -v[100:101]
	v_mul_f64 v[20:21], v[102:103], v[244:245]
	v_add_f64 v[206:207], v[206:207], 0
	s_waitcnt lgkmcnt(1)
	v_mul_f64 v[24:25], v[2:3], v[118:119]
	v_add_f64 v[206:207], v[206:207], v[208:209]
	v_fmac_f64_e32 v[14:15], v[88:89], v[250:251]
	v_add_f64 v[10:11], v[10:11], v[14:15]
	v_fmac_f64_e32 v[16:17], v[92:93], v[248:249]
	v_add_f64 v[10:11], v[10:11], v[16:17]
	v_fmac_f64_e32 v[20:21], v[104:105], v[246:247]
	v_add_f64 v[10:11], v[10:11], v[18:19]
	v_fmac_f64_e32 v[22:23], v[112:113], v[242:243]
	v_add_f64 v[10:11], v[10:11], v[20:21]
	v_add_f64 v[10:11], v[10:11], v[22:23]
	s_waitcnt lgkmcnt(0)
	v_mul_f64 v[16:17], v[6:7], v[120:121]
	v_fmac_f64_e32 v[16:17], v[8:9], v[122:123]
	v_fmac_f64_e32 v[24:25], v[4:5], v[124:125]
	v_add_f64 v[14:15], v[10:11], v[24:25]
	ds_read_b128 v[10:13], v1 offset:1104
	v_add_f64 v[18:19], v[14:15], v[16:17]
	ds_read_b128 v[14:17], v1 offset:1120
	v_mul_f64 v[88:89], v[88:89], v[94:95]
	v_mul_f64 v[92:93], v[92:93], v[116:117]
	s_waitcnt lgkmcnt(1)
	v_mul_f64 v[20:21], v[10:11], v[130:131]
	v_fmac_f64_e32 v[20:21], v[12:13], v[132:133]
	s_waitcnt lgkmcnt(0)
	v_mul_f64 v[24:25], v[14:15], v[126:127]
	v_add_f64 v[22:23], v[18:19], v[20:21]
	ds_read_b128 v[18:21], v1 offset:1136
	v_fmac_f64_e32 v[24:25], v[16:17], v[128:129]
	v_add_f64 v[26:27], v[22:23], v[24:25]
	ds_read_b128 v[22:25], v1 offset:1152
	v_fma_f64 v[210:211], v[90:91], v[248:249], -v[92:93]
	s_waitcnt lgkmcnt(1)
	v_mul_f64 v[28:29], v[18:19], v[142:143]
	v_fmac_f64_e32 v[28:29], v[20:21], v[144:145]
	v_add_f64 v[30:31], v[26:27], v[28:29]
	s_waitcnt lgkmcnt(0)
	v_mul_f64 v[32:33], v[22:23], v[134:135]
	ds_read_b128 v[26:29], v1 offset:1168
	v_fmac_f64_e32 v[32:33], v[24:25], v[136:137]
	v_add_f64 v[34:35], v[30:31], v[32:33]
	ds_read_b128 v[30:33], v1 offset:1184
	v_mul_f64 v[104:105], v[104:105], v[244:245]
	s_waitcnt vmcnt(58) lgkmcnt(1)
	v_mul_f64 v[36:37], v[26:27], v[158:159]
	s_waitcnt vmcnt(56)
	v_fmac_f64_e32 v[36:37], v[28:29], v[162:163]
	v_add_f64 v[38:39], v[34:35], v[36:37]
	s_waitcnt lgkmcnt(0)
	v_mul_f64 v[40:41], v[30:31], v[138:139]
	ds_read_b128 v[34:37], v1 offset:1200
	v_fmac_f64_e32 v[40:41], v[32:33], v[140:141]
	v_add_f64 v[42:43], v[38:39], v[40:41]
	ds_read_b128 v[38:41], v1 offset:1216
	v_mul_f64 v[112:113], v[112:113], v[240:241]
	s_waitcnt vmcnt(50) lgkmcnt(1)
	v_mul_f64 v[44:45], v[34:35], v[166:167]
	s_waitcnt vmcnt(48)
	v_fmac_f64_e32 v[44:45], v[36:37], v[170:171]
	v_add_f64 v[46:47], v[42:43], v[44:45]
	s_waitcnt lgkmcnt(0)
	v_mul_f64 v[48:49], v[38:39], v[146:147]
	v_fmac_f64_e32 v[48:49], v[40:41], v[148:149]
	ds_read_b128 v[42:45], v1 offset:1232
	v_add_f64 v[50:51], v[46:47], v[48:49]
	ds_read_b128 v[46:49], v1 offset:1248
	buffer_load_dword v217, off, s[0:3], 0 offset:700
	buffer_load_dword v219, off, s[0:3], 0 offset:684
	;; [unrolled: 1-line block ×12, first 2 shown]
	v_fma_f64 v[252:253], v[110:111], v[242:243], -v[112:113]
	s_waitcnt vmcnt(54) lgkmcnt(1)
	v_mul_f64 v[52:53], v[42:43], v[174:175]
	s_waitcnt vmcnt(52)
	v_fmac_f64_e32 v[52:53], v[44:45], v[178:179]
	v_add_f64 v[54:55], v[50:51], v[52:53]
	ds_read_b128 v[50:53], v1 offset:1264
	s_waitcnt lgkmcnt(1)
	v_mul_f64 v[56:57], v[46:47], v[150:151]
	v_fmac_f64_e32 v[56:57], v[48:49], v[152:153]
	buffer_load_dword v231, off, s[0:3], 0 offset:732
	buffer_load_dword v230, off, s[0:3], 0 offset:728
	;; [unrolled: 1-line block ×12, first 2 shown]
	v_add_f64 v[58:59], v[54:55], v[56:57]
	ds_read_b128 v[54:57], v1 offset:1280
	s_waitcnt vmcnt(58) lgkmcnt(1)
	v_mul_f64 v[60:61], v[50:51], v[182:183]
	s_waitcnt vmcnt(56)
	v_fmac_f64_e32 v[60:61], v[52:53], v[186:187]
	v_add_f64 v[62:63], v[58:59], v[60:61]
	ds_read_b128 v[58:61], v1 offset:1296
	s_waitcnt lgkmcnt(1)
	v_mul_f64 v[64:65], v[54:55], v[154:155]
	v_fmac_f64_e32 v[64:65], v[56:57], v[156:157]
	v_add_f64 v[70:71], v[62:63], v[64:65]
	ds_read_b128 v[62:65], v1 offset:1312
	ds_read_b128 v[66:69], v1 offset:1328
	s_waitcnt vmcnt(50) lgkmcnt(2)
	v_mul_f64 v[72:73], v[58:59], v[190:191]
	s_waitcnt vmcnt(48)
	v_fmac_f64_e32 v[72:73], v[60:61], v[192:193]
	v_add_f64 v[70:71], v[70:71], v[72:73]
	s_waitcnt lgkmcnt(1)
	v_mul_f64 v[72:73], v[62:63], v[160:161]
	v_fmac_f64_e32 v[72:73], v[64:65], v[164:165]
	v_add_f64 v[70:71], v[70:71], v[72:73]
	s_waitcnt vmcnt(42) lgkmcnt(0)
	v_mul_f64 v[72:73], v[66:67], v[194:195]
	s_waitcnt vmcnt(40)
	v_fmac_f64_e32 v[72:73], v[68:69], v[198:199]
	v_add_f64 v[196:197], v[70:71], v[72:73]
	ds_read_b128 v[70:73], v1 offset:1344
	ds_read_b128 v[74:77], v1 offset:1360
	;; [unrolled: 1-line block ×5, first 2 shown]
	s_waitcnt lgkmcnt(4)
	v_mul_f64 v[84:85], v[70:71], v[168:169]
	v_fmac_f64_e32 v[84:85], v[72:73], v[172:173]
	v_add_f64 v[82:83], v[196:197], v[84:85]
	s_waitcnt vmcnt(34) lgkmcnt(3)
	v_mul_f64 v[84:85], v[74:75], v[200:201]
	s_waitcnt vmcnt(32)
	v_fmac_f64_e32 v[84:85], v[76:77], v[202:203]
	v_add_f64 v[82:83], v[82:83], v[84:85]
	v_fma_f64 v[196:197], v[86:87], v[250:251], -v[88:89]
	ds_read_b128 v[86:89], v1 offset:1408
	s_waitcnt lgkmcnt(3)
	v_mul_f64 v[84:85], v[78:79], v[176:177]
	v_fmac_f64_e32 v[84:85], v[80:81], v[180:181]
	v_add_f64 v[96:97], v[82:83], v[84:85]
	ds_read_b128 v[82:85], v1 offset:1392
	v_fma_f64 v[250:251], v[102:103], v[246:247], -v[104:105]
	ds_read_b128 v[110:113], v1 offset:1504
	v_add_f64 v[196:197], v[206:207], v[196:197]
	v_add_f64 v[196:197], v[196:197], v[210:211]
	s_waitcnt vmcnt(26) lgkmcnt(1)
	v_mul_f64 v[94:95], v[82:83], v[204:205]
	s_waitcnt vmcnt(24)
	v_fmac_f64_e32 v[94:95], v[84:85], v[214:215]
	v_add_f64 v[94:95], v[96:97], v[94:95]
	v_mul_f64 v[96:97], v[86:87], v[184:185]
	v_fmac_f64_e32 v[96:97], v[88:89], v[188:189]
	v_add_f64 v[106:107], v[94:95], v[96:97]
	ds_read_b128 v[94:97], v1 offset:1440
	v_add_f64 v[254:255], v[196:197], v[212:213]
	v_add_f64 v[196:197], v[254:255], v[250:251]
	v_mul_f64 v[4:5], v[4:5], v[118:119]
	v_add_f64 v[196:197], v[196:197], v[252:253]
	ds_read_b128 v[102:105], v1 offset:1488
	v_fma_f64 v[2:3], v[2:3], v[124:125], -v[4:5]
	v_mul_f64 v[4:5], v[8:9], v[120:121]
	v_add_f64 v[2:3], v[196:197], v[2:3]
	v_fma_f64 v[4:5], v[6:7], v[122:123], -v[4:5]
	v_add_f64 v[2:3], v[2:3], v[4:5]
	v_mul_f64 v[4:5], v[12:13], v[130:131]
	v_fma_f64 v[4:5], v[10:11], v[132:133], -v[4:5]
	v_add_f64 v[2:3], v[2:3], v[4:5]
	v_mul_f64 v[4:5], v[16:17], v[126:127]
	s_waitcnt vmcnt(21)
	v_mul_f64 v[108:109], v[90:91], v[218:219]
	v_fma_f64 v[4:5], v[14:15], v[128:129], -v[4:5]
	s_waitcnt vmcnt(19)
	v_fmac_f64_e32 v[108:109], v[92:93], v[224:225]
	v_add_f64 v[106:107], v[106:107], v[108:109]
	s_waitcnt vmcnt(18) lgkmcnt(1)
	v_mul_f64 v[108:109], v[94:95], v[216:217]
	s_waitcnt vmcnt(16)
	v_fmac_f64_e32 v[108:109], v[96:97], v[222:223]
	v_add_f64 v[114:115], v[106:107], v[108:109]
	ds_read_b128 v[106:109], v1 offset:1472
	buffer_load_dword v243, off, s[0:3], 0 offset:780
	buffer_load_dword v242, off, s[0:3], 0 offset:776
	buffer_load_dword v245, off, s[0:3], 0 offset:772
	buffer_load_dword v244, off, s[0:3], 0 offset:768
	s_waitcnt vmcnt(18)
	v_mul_f64 v[116:117], v[98:99], v[220:221]
	s_waitcnt vmcnt(16)
	v_fmac_f64_e32 v[116:117], v[100:101], v[226:227]
	v_add_f64 v[114:115], v[114:115], v[116:117]
	s_waitcnt vmcnt(14) lgkmcnt(0)
	v_mul_f64 v[116:117], v[106:107], v[230:231]
	s_waitcnt vmcnt(12)
	v_fmac_f64_e32 v[116:117], v[108:109], v[232:233]
	v_add_f64 v[114:115], v[114:115], v[116:117]
	s_waitcnt vmcnt(9)
	v_mul_f64 v[116:117], v[102:103], v[236:237]
	s_waitcnt vmcnt(7)
	v_fmac_f64_e32 v[116:117], v[104:105], v[238:239]
	v_add_f64 v[114:115], v[114:115], v[116:117]
	s_waitcnt vmcnt(5)
	v_mul_f64 v[116:117], v[110:111], v[228:229]
	s_waitcnt vmcnt(4)
	v_fmac_f64_e32 v[116:117], v[112:113], v[234:235]
	v_add_f64 v[240:241], v[114:115], v[116:117]
	ds_read_b128 v[114:117], v1 offset:1520
	v_add_f64 v[2:3], v[2:3], v[4:5]
	v_mul_f64 v[4:5], v[20:21], v[142:143]
	v_fma_f64 v[4:5], v[18:19], v[144:145], -v[4:5]
	v_add_f64 v[2:3], v[2:3], v[4:5]
	v_mul_f64 v[4:5], v[24:25], v[134:135]
	v_fma_f64 v[4:5], v[22:23], v[136:137], -v[4:5]
	;; [unrolled: 3-line block ×21, first 2 shown]
	v_add_f64 v[2:3], v[2:3], v[4:5]
	s_waitcnt vmcnt(2) lgkmcnt(0)
	v_mul_f64 v[246:247], v[114:115], v[242:243]
	v_mul_f64 v[4:5], v[108:109], v[230:231]
	s_waitcnt vmcnt(0)
	v_fmac_f64_e32 v[246:247], v[116:117], v[244:245]
	v_add_f64 v[240:241], v[240:241], v[246:247]
	buffer_load_dword v248, off, s[0:3], 0 offset:192
	buffer_load_dword v249, off, s[0:3], 0 offset:196
	;; [unrolled: 1-line block ×4, first 2 shown]
	v_fma_f64 v[4:5], v[106:107], v[232:233], -v[4:5]
	v_add_f64 v[2:3], v[2:3], v[4:5]
	v_mul_f64 v[4:5], v[104:105], v[236:237]
	v_fma_f64 v[4:5], v[102:103], v[238:239], -v[4:5]
	v_add_f64 v[2:3], v[2:3], v[4:5]
	v_mul_f64 v[4:5], v[112:113], v[228:229]
	;; [unrolled: 3-line block ×3, first 2 shown]
	v_fma_f64 v[4:5], v[114:115], v[244:245], -v[4:5]
	v_add_f64 v[2:3], v[2:3], v[4:5]
	v_accvgpr_read_b32 v254, a143
	v_cmp_lt_u32_e32 vcc, 10, v254
	s_waitcnt vmcnt(2)
	v_add_f64 v[2:3], v[248:249], -v[2:3]
	s_waitcnt vmcnt(0)
	v_add_f64 v[4:5], v[246:247], -v[240:241]
	buffer_store_dword v3, off, s[0:3], 0 offset:196
	buffer_store_dword v2, off, s[0:3], 0 offset:192
	;; [unrolled: 1-line block ×4, first 2 shown]
	s_and_saveexec_b64 s[4:5], vcc
	s_cbranch_execz .LBB47_281
; %bb.280:
	v_accvgpr_read_b32 v0, a133
	buffer_load_dword v2, v0, s[0:3], 0 offen
	buffer_load_dword v3, v0, s[0:3], 0 offen offset:4
	buffer_load_dword v4, v0, s[0:3], 0 offen offset:8
	;; [unrolled: 1-line block ×3, first 2 shown]
	v_mov_b32_e32 v0, 0
	v_accvgpr_read_b32 v1, a144
	buffer_store_dword v0, off, s[0:3], 0 offset:176
	buffer_store_dword v0, off, s[0:3], 0 offset:180
	;; [unrolled: 1-line block ×4, first 2 shown]
	s_waitcnt vmcnt(4)
	ds_write_b128 v1, v[2:5]
.LBB47_281:
	s_or_b64 exec, exec, s[4:5]
	s_waitcnt lgkmcnt(0)
	; wave barrier
	s_waitcnt lgkmcnt(0)
	buffer_load_dword v66, off, s[0:3], 0 offset:192
	buffer_load_dword v67, off, s[0:3], 0 offset:196
	;; [unrolled: 1-line block ×55, first 2 shown]
	v_mov_b32_e32 v1, 0
	ds_read_b128 v[74:77], v1 offset:944
	ds_read_b128 v[86:89], v1 offset:960
	;; [unrolled: 1-line block ×9, first 2 shown]
	buffer_load_dword v136, off, s[0:3], 0 offset:416
	buffer_load_dword v155, off, s[0:3], 0 offset:412
	buffer_load_dword v154, off, s[0:3], 0 offset:408
	buffer_load_dword v159, off, s[0:3], 0 offset:404
	buffer_load_dword v158, off, s[0:3], 0 offset:400
	buffer_load_dword v143, off, s[0:3], 0 offset:460
	buffer_load_dword v142, off, s[0:3], 0 offset:456
	buffer_load_dword v145, off, s[0:3], 0 offset:452
	buffer_load_dword v144, off, s[0:3], 0 offset:448
	buffer_load_dword v163, off, s[0:3], 0 offset:444
	buffer_load_dword v162, off, s[0:3], 0 offset:440
	buffer_load_dword v167, off, s[0:3], 0 offset:436
	buffer_load_dword v166, off, s[0:3], 0 offset:432
	buffer_load_dword v147, off, s[0:3], 0 offset:492
	buffer_load_dword v146, off, s[0:3], 0 offset:488
	buffer_load_dword v149, off, s[0:3], 0 offset:484
	buffer_load_dword v148, off, s[0:3], 0 offset:480
	buffer_load_dword v171, off, s[0:3], 0 offset:476
	buffer_load_dword v170, off, s[0:3], 0 offset:472
	buffer_load_dword v175, off, s[0:3], 0 offset:468
	buffer_load_dword v174, off, s[0:3], 0 offset:464
	buffer_load_dword v151, off, s[0:3], 0 offset:524
	buffer_load_dword v150, off, s[0:3], 0 offset:520
	buffer_load_dword v153, off, s[0:3], 0 offset:516
	buffer_load_dword v152, off, s[0:3], 0 offset:512
	buffer_load_dword v179, off, s[0:3], 0 offset:508
	buffer_load_dword v178, off, s[0:3], 0 offset:504
	buffer_load_dword v183, off, s[0:3], 0 offset:500
	buffer_load_dword v182, off, s[0:3], 0 offset:496
	buffer_load_dword v157, off, s[0:3], 0 offset:556
	buffer_load_dword v156, off, s[0:3], 0 offset:552
	buffer_load_dword v161, off, s[0:3], 0 offset:548
	buffer_load_dword v160, off, s[0:3], 0 offset:544
	buffer_load_dword v187, off, s[0:3], 0 offset:540
	buffer_load_dword v186, off, s[0:3], 0 offset:536
	buffer_load_dword v189, off, s[0:3], 0 offset:532
	buffer_load_dword v188, off, s[0:3], 0 offset:528
	buffer_load_dword v165, off, s[0:3], 0 offset:588
	buffer_load_dword v164, off, s[0:3], 0 offset:584
	buffer_load_dword v169, off, s[0:3], 0 offset:580
	buffer_load_dword v168, off, s[0:3], 0 offset:576
	buffer_load_dword v191, off, s[0:3], 0 offset:572
	buffer_load_dword v190, off, s[0:3], 0 offset:568
	buffer_load_dword v193, off, s[0:3], 0 offset:564
	buffer_load_dword v192, off, s[0:3], 0 offset:560
	buffer_load_dword v173, off, s[0:3], 0 offset:620
	buffer_load_dword v172, off, s[0:3], 0 offset:616
	buffer_load_dword v177, off, s[0:3], 0 offset:612
	buffer_load_dword v176, off, s[0:3], 0 offset:608
	buffer_load_dword v195, off, s[0:3], 0 offset:604
	buffer_load_dword v194, off, s[0:3], 0 offset:600
	buffer_load_dword v199, off, s[0:3], 0 offset:596
	buffer_load_dword v198, off, s[0:3], 0 offset:592
	buffer_load_dword v181, off, s[0:3], 0 offset:652
	buffer_load_dword v180, off, s[0:3], 0 offset:648
	buffer_load_dword v185, off, s[0:3], 0 offset:644
	buffer_load_dword v184, off, s[0:3], 0 offset:640
	buffer_load_dword v201, off, s[0:3], 0 offset:636
	buffer_load_dword v200, off, s[0:3], 0 offset:632
	buffer_load_dword v203, off, s[0:3], 0 offset:628
	buffer_load_dword v202, off, s[0:3], 0 offset:624
	v_cmp_lt_u32_e32 vcc, 9, v254
	s_waitcnt vmcnt(62) lgkmcnt(8)
	v_mul_f64 v[6:7], v[74:75], v[68:69]
	v_fmac_f64_e32 v[6:7], v[76:77], v[66:67]
	v_add_f64 v[6:7], v[6:7], 0
	v_mul_f64 v[68:69], v[76:77], v[68:69]
	s_waitcnt lgkmcnt(7)
	v_mul_f64 v[8:9], v[86:87], v[72:73]
	v_fmac_f64_e32 v[8:9], v[88:89], v[70:71]
	s_waitcnt lgkmcnt(6)
	v_mul_f64 v[10:11], v[98:99], v[78:79]
	v_add_f64 v[6:7], v[6:7], v[8:9]
	s_waitcnt lgkmcnt(4)
	v_mul_f64 v[14:15], v[114:115], v[90:91]
	v_fma_f64 v[206:207], v[74:75], v[66:67], -v[68:69]
	v_fmac_f64_e32 v[14:15], v[116:117], v[92:93]
	v_mul_f64 v[72:73], v[88:89], v[72:73]
	v_mul_f64 v[12:13], v[110:111], v[82:83]
	;; [unrolled: 1-line block ×3, first 2 shown]
	s_waitcnt lgkmcnt(2)
	v_mul_f64 v[18:19], v[244:245], v[102:103]
	v_mul_f64 v[82:83], v[112:113], v[82:83]
	;; [unrolled: 1-line block ×4, first 2 shown]
	v_fma_f64 v[212:213], v[114:115], v[92:93], -v[90:91]
	s_waitcnt lgkmcnt(1)
	v_mul_f64 v[20:21], v[248:249], v[106:107]
	v_fmac_f64_e32 v[20:21], v[250:251], v[108:109]
	v_fmac_f64_e32 v[10:11], v[100:101], v[80:81]
	v_add_f64 v[6:7], v[6:7], v[10:11]
	v_fmac_f64_e32 v[12:13], v[112:113], v[84:85]
	v_add_f64 v[6:7], v[6:7], v[12:13]
	;; [unrolled: 2-line block ×4, first 2 shown]
	v_add_f64 v[6:7], v[6:7], v[18:19]
	v_add_f64 v[10:11], v[6:7], v[20:21]
	ds_read_b128 v[6:9], v1 offset:1088
	s_waitcnt lgkmcnt(1)
	v_mul_f64 v[12:13], v[2:3], v[118:119]
	v_fmac_f64_e32 v[12:13], v[4:5], v[120:121]
	v_add_f64 v[14:15], v[10:11], v[12:13]
	ds_read_b128 v[10:13], v1 offset:1104
	s_waitcnt lgkmcnt(1)
	v_mul_f64 v[16:17], v[6:7], v[126:127]
	v_fmac_f64_e32 v[16:17], v[8:9], v[128:129]
	;; [unrolled: 5-line block ×5, first 2 shown]
	v_add_f64 v[30:31], v[26:27], v[28:29]
	ds_read_b128 v[26:29], v1 offset:1168
	s_waitcnt vmcnt(58) lgkmcnt(1)
	v_mul_f64 v[32:33], v[22:23], v[154:155]
	s_waitcnt vmcnt(56)
	v_fmac_f64_e32 v[32:33], v[24:25], v[158:159]
	v_add_f64 v[34:35], v[30:31], v[32:33]
	ds_read_b128 v[30:33], v1 offset:1184
	s_waitcnt lgkmcnt(1)
	v_mul_f64 v[36:37], v[26:27], v[134:135]
	v_fmac_f64_e32 v[36:37], v[28:29], v[136:137]
	v_add_f64 v[38:39], v[34:35], v[36:37]
	ds_read_b128 v[34:37], v1 offset:1200
	s_waitcnt vmcnt(50) lgkmcnt(1)
	v_mul_f64 v[40:41], v[30:31], v[162:163]
	s_waitcnt vmcnt(48)
	v_fmac_f64_e32 v[40:41], v[32:33], v[166:167]
	v_add_f64 v[42:43], v[38:39], v[40:41]
	ds_read_b128 v[38:41], v1 offset:1216
	s_waitcnt lgkmcnt(1)
	v_mul_f64 v[44:45], v[34:35], v[142:143]
	v_fmac_f64_e32 v[44:45], v[36:37], v[144:145]
	v_add_f64 v[46:47], v[42:43], v[44:45]
	ds_read_b128 v[42:45], v1 offset:1232
	s_waitcnt vmcnt(42) lgkmcnt(1)
	v_mul_f64 v[48:49], v[38:39], v[170:171]
	s_waitcnt vmcnt(40)
	v_fmac_f64_e32 v[48:49], v[40:41], v[174:175]
	v_add_f64 v[50:51], v[46:47], v[48:49]
	ds_read_b128 v[46:49], v1 offset:1248
	buffer_load_dword v205, off, s[0:3], 0 offset:668
	buffer_load_dword v204, off, s[0:3], 0 offset:664
	;; [unrolled: 1-line block ×4, first 2 shown]
	s_waitcnt lgkmcnt(1)
	v_mul_f64 v[52:53], v[42:43], v[146:147]
	v_fmac_f64_e32 v[52:53], v[44:45], v[148:149]
	v_add_f64 v[54:55], v[50:51], v[52:53]
	ds_read_b128 v[50:53], v1 offset:1264
	buffer_load_dword v217, off, s[0:3], 0 offset:684
	buffer_load_dword v216, off, s[0:3], 0 offset:680
	;; [unrolled: 1-line block ×8, first 2 shown]
	s_waitcnt vmcnt(46) lgkmcnt(1)
	v_mul_f64 v[56:57], v[46:47], v[178:179]
	s_waitcnt vmcnt(44)
	v_fmac_f64_e32 v[56:57], v[48:49], v[182:183]
	v_add_f64 v[58:59], v[54:55], v[56:57]
	ds_read_b128 v[54:57], v1 offset:1280
	buffer_load_dword v227, off, s[0:3], 0 offset:716
	buffer_load_dword v226, off, s[0:3], 0 offset:712
	;; [unrolled: 1-line block ×12, first 2 shown]
	s_waitcnt lgkmcnt(1)
	v_mul_f64 v[60:61], v[50:51], v[150:151]
	v_fmac_f64_e32 v[60:61], v[52:53], v[152:153]
	v_add_f64 v[62:63], v[58:59], v[60:61]
	ds_read_b128 v[58:61], v1 offset:1296
	s_waitcnt vmcnt(50) lgkmcnt(1)
	v_mul_f64 v[64:65], v[54:55], v[186:187]
	s_waitcnt vmcnt(48)
	v_fmac_f64_e32 v[64:65], v[56:57], v[188:189]
	v_add_f64 v[62:63], v[62:63], v[64:65]
	buffer_load_dword v237, off, s[0:3], 0 offset:764
	buffer_load_dword v236, off, s[0:3], 0 offset:760
	;; [unrolled: 1-line block ×4, first 2 shown]
	s_waitcnt lgkmcnt(0)
	v_mul_f64 v[64:65], v[58:59], v[156:157]
	v_fmac_f64_e32 v[64:65], v[60:61], v[160:161]
	v_add_f64 v[196:197], v[62:63], v[64:65]
	ds_read_b128 v[62:65], v1 offset:1312
	ds_read_b128 v[66:69], v1 offset:1328
	v_fma_f64 v[208:209], v[98:99], v[80:81], -v[78:79]
	ds_read_b128 v[78:81], v1 offset:1376
	v_fma_f64 v[210:211], v[110:111], v[84:85], -v[82:83]
	ds_read_b128 v[82:85], v1 offset:1392
	s_waitcnt vmcnt(46) lgkmcnt(3)
	v_mul_f64 v[74:75], v[62:63], v[190:191]
	s_waitcnt vmcnt(44)
	v_fmac_f64_e32 v[74:75], v[64:65], v[192:193]
	v_add_f64 v[74:75], v[196:197], v[74:75]
	v_fma_f64 v[196:197], v[86:87], v[70:71], -v[72:73]
	ds_read_b128 v[70:73], v1 offset:1344
	s_waitcnt lgkmcnt(3)
	v_mul_f64 v[76:77], v[66:67], v[164:165]
	v_fmac_f64_e32 v[76:77], v[68:69], v[168:169]
	v_add_f64 v[86:87], v[74:75], v[76:77]
	ds_read_b128 v[74:77], v1 offset:1360
	s_waitcnt vmcnt(38) lgkmcnt(1)
	v_mul_f64 v[88:89], v[70:71], v[194:195]
	s_waitcnt vmcnt(36)
	v_fmac_f64_e32 v[88:89], v[72:73], v[198:199]
	v_add_f64 v[86:87], v[86:87], v[88:89]
	ds_read_b128 v[90:93], v1 offset:1424
	s_waitcnt lgkmcnt(1)
	v_mul_f64 v[88:89], v[74:75], v[172:173]
	v_fmac_f64_e32 v[88:89], v[76:77], v[176:177]
	v_add_f64 v[86:87], v[86:87], v[88:89]
	s_waitcnt vmcnt(30)
	v_mul_f64 v[88:89], v[78:79], v[200:201]
	s_waitcnt vmcnt(28)
	v_fmac_f64_e32 v[88:89], v[80:81], v[202:203]
	v_add_f64 v[86:87], v[86:87], v[88:89]
	v_mul_f64 v[88:89], v[82:83], v[180:181]
	v_fmac_f64_e32 v[88:89], v[84:85], v[184:185]
	v_add_f64 v[98:99], v[86:87], v[88:89]
	ds_read_b128 v[86:89], v1 offset:1408
	v_mul_f64 v[94:95], v[242:243], v[94:95]
	v_fma_f64 v[252:253], v[240:241], v[96:97], -v[94:95]
	ds_read_b128 v[94:97], v1 offset:1440
	v_mul_f64 v[102:103], v[246:247], v[102:103]
	v_fma_f64 v[246:247], v[244:245], v[104:105], -v[102:103]
	;; [unrolled: 3-line block ×3, first 2 shown]
	v_add_f64 v[206:207], v[206:207], 0
	v_add_f64 v[196:197], v[206:207], v[196:197]
	;; [unrolled: 1-line block ×7, first 2 shown]
	v_mul_f64 v[4:5], v[4:5], v[118:119]
	v_add_f64 v[196:197], v[252:253], v[250:251]
	v_fma_f64 v[2:3], v[2:3], v[120:121], -v[4:5]
	v_mul_f64 v[4:5], v[8:9], v[126:127]
	v_add_f64 v[2:3], v[196:197], v[2:3]
	v_fma_f64 v[4:5], v[6:7], v[128:129], -v[4:5]
	v_add_f64 v[2:3], v[2:3], v[4:5]
	ds_read_b128 v[106:109], v1 offset:1488
	v_mul_f64 v[4:5], v[12:13], v[122:123]
	v_fma_f64 v[4:5], v[10:11], v[124:125], -v[4:5]
	v_add_f64 v[2:3], v[2:3], v[4:5]
	s_waitcnt vmcnt(26) lgkmcnt(3)
	v_mul_f64 v[100:101], v[86:87], v[204:205]
	v_mul_f64 v[4:5], v[16:17], v[138:139]
	s_waitcnt vmcnt(24)
	v_fmac_f64_e32 v[100:101], v[88:89], v[214:215]
	v_add_f64 v[98:99], v[98:99], v[100:101]
	s_waitcnt vmcnt(22)
	v_mul_f64 v[100:101], v[90:91], v[216:217]
	s_waitcnt vmcnt(20)
	v_fmac_f64_e32 v[100:101], v[92:93], v[220:221]
	v_add_f64 v[98:99], v[98:99], v[100:101]
	s_waitcnt vmcnt(18) lgkmcnt(2)
	v_mul_f64 v[100:101], v[94:95], v[218:219]
	s_waitcnt vmcnt(16)
	v_fmac_f64_e32 v[100:101], v[96:97], v[222:223]
	v_add_f64 v[110:111], v[98:99], v[100:101]
	ds_read_b128 v[98:101], v1 offset:1456
	v_fma_f64 v[4:5], v[14:15], v[140:141], -v[4:5]
	v_add_f64 v[2:3], v[2:3], v[4:5]
	v_mul_f64 v[4:5], v[20:21], v[130:131]
	v_fma_f64 v[4:5], v[18:19], v[132:133], -v[4:5]
	s_waitcnt vmcnt(14) lgkmcnt(0)
	v_mul_f64 v[112:113], v[98:99], v[226:227]
	s_waitcnt vmcnt(12)
	v_fmac_f64_e32 v[112:113], v[100:101], v[228:229]
	v_add_f64 v[110:111], v[110:111], v[112:113]
	s_waitcnt vmcnt(9)
	v_mul_f64 v[112:113], v[102:103], v[232:233]
	s_waitcnt vmcnt(7)
	v_fmac_f64_e32 v[112:113], v[104:105], v[234:235]
	v_add_f64 v[110:111], v[110:111], v[112:113]
	s_waitcnt vmcnt(5)
	v_mul_f64 v[112:113], v[106:107], v[224:225]
	s_waitcnt vmcnt(4)
	v_fmac_f64_e32 v[112:113], v[108:109], v[230:231]
	v_add_f64 v[114:115], v[110:111], v[112:113]
	ds_read_b128 v[110:113], v1 offset:1504
	buffer_load_dword v242, off, s[0:3], 0 offset:776
	buffer_load_dword v243, off, s[0:3], 0 offset:780
	;; [unrolled: 1-line block ×4, first 2 shown]
	v_add_f64 v[2:3], v[2:3], v[4:5]
	v_mul_f64 v[4:5], v[24:25], v[154:155]
	v_fma_f64 v[4:5], v[22:23], v[158:159], -v[4:5]
	s_waitcnt vmcnt(6) lgkmcnt(0)
	v_mul_f64 v[116:117], v[110:111], v[236:237]
	s_waitcnt vmcnt(4)
	v_fmac_f64_e32 v[116:117], v[112:113], v[238:239]
	v_add_f64 v[240:241], v[114:115], v[116:117]
	ds_read_b128 v[114:117], v1 offset:1520
	v_add_f64 v[2:3], v[2:3], v[4:5]
	v_mul_f64 v[4:5], v[28:29], v[134:135]
	v_fma_f64 v[4:5], v[26:27], v[136:137], -v[4:5]
	v_add_f64 v[2:3], v[2:3], v[4:5]
	v_mul_f64 v[4:5], v[32:33], v[162:163]
	v_fma_f64 v[4:5], v[30:31], v[166:167], -v[4:5]
	;; [unrolled: 3-line block ×22, first 2 shown]
	v_add_f64 v[2:3], v[2:3], v[4:5]
	s_waitcnt vmcnt(2) lgkmcnt(0)
	v_mul_f64 v[248:249], v[114:115], v[242:243]
	v_mul_f64 v[4:5], v[116:117], v[242:243]
	s_waitcnt vmcnt(0)
	v_fmac_f64_e32 v[248:249], v[116:117], v[244:245]
	v_add_f64 v[240:241], v[240:241], v[248:249]
	buffer_load_dword v248, off, s[0:3], 0 offset:176
	buffer_load_dword v249, off, s[0:3], 0 offset:180
	buffer_load_dword v246, off, s[0:3], 0 offset:184
	buffer_load_dword v247, off, s[0:3], 0 offset:188
	v_fma_f64 v[4:5], v[114:115], v[244:245], -v[4:5]
	v_add_f64 v[2:3], v[2:3], v[4:5]
	s_waitcnt vmcnt(2)
	v_add_f64 v[2:3], v[248:249], -v[2:3]
	s_waitcnt vmcnt(0)
	v_add_f64 v[4:5], v[246:247], -v[240:241]
	buffer_store_dword v3, off, s[0:3], 0 offset:180
	buffer_store_dword v2, off, s[0:3], 0 offset:176
	;; [unrolled: 1-line block ×4, first 2 shown]
	s_and_saveexec_b64 s[4:5], vcc
	s_cbranch_execz .LBB47_283
; %bb.282:
	v_accvgpr_read_b32 v0, a134
	buffer_load_dword v2, v0, s[0:3], 0 offen
	buffer_load_dword v3, v0, s[0:3], 0 offen offset:4
	buffer_load_dword v4, v0, s[0:3], 0 offen offset:8
	;; [unrolled: 1-line block ×3, first 2 shown]
	v_accvgpr_read_b32 v0, a144
	buffer_store_dword v1, off, s[0:3], 0 offset:160
	buffer_store_dword v1, off, s[0:3], 0 offset:164
	;; [unrolled: 1-line block ×4, first 2 shown]
	s_waitcnt vmcnt(4)
	ds_write_b128 v0, v[2:5]
.LBB47_283:
	s_or_b64 exec, exec, s[4:5]
	s_waitcnt lgkmcnt(0)
	; wave barrier
	s_waitcnt lgkmcnt(0)
	buffer_load_dword v66, off, s[0:3], 0 offset:176
	buffer_load_dword v67, off, s[0:3], 0 offset:180
	;; [unrolled: 1-line block ×42, first 2 shown]
	ds_read_b128 v[78:81], v1 offset:928
	ds_read_b128 v[90:93], v1 offset:944
	;; [unrolled: 1-line block ×10, first 2 shown]
	buffer_load_dword v129, off, s[0:3], 0 offset:324
	buffer_load_dword v128, off, s[0:3], 0 offset:320
	ds_read_b128 v[6:9], v1 offset:1088
	buffer_load_dword v125, off, s[0:3], 0 offset:380
	buffer_load_dword v124, off, s[0:3], 0 offset:376
	;; [unrolled: 1-line block ×80, first 2 shown]
	s_waitcnt vmcnt(62) lgkmcnt(10)
	v_mul_f64 v[10:11], v[78:79], v[68:69]
	v_fmac_f64_e32 v[10:11], v[80:81], v[66:67]
	v_add_f64 v[10:11], v[10:11], 0
	v_mul_f64 v[68:69], v[80:81], v[68:69]
	s_waitcnt lgkmcnt(9)
	v_mul_f64 v[12:13], v[90:91], v[64:65]
	v_fmac_f64_e32 v[12:13], v[92:93], v[62:63]
	s_waitcnt lgkmcnt(8)
	v_mul_f64 v[14:15], v[102:103], v[70:71]
	v_add_f64 v[10:11], v[10:11], v[12:13]
	s_waitcnt lgkmcnt(6)
	v_mul_f64 v[18:19], v[114:115], v[82:83]
	v_mul_f64 v[64:65], v[92:93], v[64:65]
	v_fmac_f64_e32 v[18:19], v[116:117], v[84:85]
	v_fma_f64 v[208:209], v[90:91], v[62:63], -v[64:65]
	v_mul_f64 v[16:17], v[110:111], v[74:75]
	v_fma_f64 v[206:207], v[78:79], v[66:67], -v[68:69]
	s_waitcnt lgkmcnt(4)
	v_mul_f64 v[22:23], v[244:245], v[94:95]
	v_mul_f64 v[70:71], v[104:105], v[70:71]
	v_fmac_f64_e32 v[22:23], v[246:247], v[96:97]
	v_mul_f64 v[74:75], v[112:113], v[74:75]
	v_mul_f64 v[20:21], v[240:241], v[86:87]
	;; [unrolled: 1-line block ×3, first 2 shown]
	s_waitcnt lgkmcnt(2)
	v_mul_f64 v[26:27], v[252:253], v[106:107]
	v_fma_f64 v[212:213], v[114:115], v[84:85], -v[82:83]
	v_mul_f64 v[86:87], v[242:243], v[86:87]
	v_mul_f64 v[24:25], v[248:249], v[98:99]
	;; [unrolled: 1-line block ×3, first 2 shown]
	s_waitcnt lgkmcnt(1)
	v_mul_f64 v[28:29], v[118:119], v[4:5]
	v_fma_f64 v[246:247], v[244:245], v[96:97], -v[94:95]
	v_fmac_f64_e32 v[14:15], v[104:105], v[72:73]
	v_add_f64 v[10:11], v[10:11], v[14:15]
	v_fmac_f64_e32 v[16:17], v[112:113], v[76:77]
	v_add_f64 v[10:11], v[10:11], v[16:17]
	;; [unrolled: 2-line block ×3, first 2 shown]
	v_add_f64 v[10:11], v[10:11], v[20:21]
	v_fmac_f64_e32 v[24:25], v[250:251], v[100:101]
	v_add_f64 v[10:11], v[10:11], v[22:23]
	v_fmac_f64_e32 v[26:27], v[254:255], v[108:109]
	v_add_f64 v[10:11], v[10:11], v[24:25]
	v_add_f64 v[10:11], v[10:11], v[26:27]
	s_waitcnt lgkmcnt(0)
	v_mul_f64 v[16:17], v[6:7], v[2:3]
	v_fmac_f64_e32 v[28:29], v[120:121], v[128:129]
	v_add_f64 v[14:15], v[10:11], v[28:29]
	ds_read_b128 v[10:13], v1 offset:1104
	v_fmac_f64_e32 v[16:17], v[8:9], v[122:123]
	v_add_f64 v[18:19], v[14:15], v[16:17]
	ds_read_b128 v[14:17], v1 offset:1120
	v_fma_f64 v[210:211], v[110:111], v[76:77], -v[74:75]
	s_waitcnt lgkmcnt(1)
	v_mul_f64 v[20:21], v[10:11], v[130:131]
	v_fmac_f64_e32 v[20:21], v[12:13], v[146:147]
	v_add_f64 v[22:23], v[18:19], v[20:21]
	ds_read_b128 v[18:21], v1 offset:1136
	s_waitcnt lgkmcnt(1)
	v_mul_f64 v[24:25], v[14:15], v[124:125]
	v_fmac_f64_e32 v[24:25], v[16:17], v[126:127]
	v_add_f64 v[26:27], v[22:23], v[24:25]
	ds_read_b128 v[22:25], v1 offset:1152
	;; [unrolled: 5-line block ×4, first 2 shown]
	s_waitcnt vmcnt(58) lgkmcnt(1)
	v_mul_f64 v[36:37], v[26:27], v[158:159]
	s_waitcnt vmcnt(56)
	v_fmac_f64_e32 v[36:37], v[28:29], v[162:163]
	v_add_f64 v[38:39], v[34:35], v[36:37]
	ds_read_b128 v[34:37], v1 offset:1200
	s_waitcnt lgkmcnt(1)
	v_mul_f64 v[40:41], v[30:31], v[136:137]
	v_fmac_f64_e32 v[40:41], v[32:33], v[138:139]
	v_add_f64 v[42:43], v[38:39], v[40:41]
	ds_read_b128 v[38:41], v1 offset:1216
	s_waitcnt vmcnt(50) lgkmcnt(1)
	v_mul_f64 v[44:45], v[34:35], v[166:167]
	s_waitcnt vmcnt(48)
	v_fmac_f64_e32 v[44:45], v[36:37], v[170:171]
	v_add_f64 v[46:47], v[42:43], v[44:45]
	ds_read_b128 v[42:45], v1 offset:1232
	s_waitcnt lgkmcnt(1)
	v_mul_f64 v[48:49], v[38:39], v[140:141]
	v_fmac_f64_e32 v[48:49], v[40:41], v[142:143]
	v_add_f64 v[50:51], v[46:47], v[48:49]
	ds_read_b128 v[46:49], v1 offset:1248
	s_waitcnt vmcnt(42) lgkmcnt(1)
	v_mul_f64 v[52:53], v[42:43], v[174:175]
	s_waitcnt vmcnt(40)
	v_fmac_f64_e32 v[52:53], v[44:45], v[178:179]
	v_add_f64 v[54:55], v[50:51], v[52:53]
	ds_read_b128 v[50:53], v1 offset:1264
	s_waitcnt lgkmcnt(1)
	v_mul_f64 v[56:57], v[46:47], v[144:145]
	buffer_load_dword v217, off, s[0:3], 0 offset:684
	buffer_load_dword v216, off, s[0:3], 0 offset:680
	;; [unrolled: 1-line block ×4, first 2 shown]
	v_fmac_f64_e32 v[56:57], v[48:49], v[148:149]
	v_add_f64 v[58:59], v[54:55], v[56:57]
	ds_read_b128 v[54:57], v1 offset:1280
	buffer_load_dword v222, off, s[0:3], 0 offset:696
	buffer_load_dword v224, off, s[0:3], 0 offset:688
	;; [unrolled: 1-line block ×16, first 2 shown]
	s_waitcnt vmcnt(54) lgkmcnt(1)
	v_mul_f64 v[60:61], v[50:51], v[182:183]
	s_waitcnt vmcnt(52)
	v_fmac_f64_e32 v[60:61], v[52:53], v[186:187]
	v_add_f64 v[196:197], v[58:59], v[60:61]
	ds_read_b128 v[58:61], v1 offset:1296
	buffer_load_dword v236, off, s[0:3], 0 offset:760
	buffer_load_dword v238, off, s[0:3], 0 offset:752
	;; [unrolled: 1-line block ×4, first 2 shown]
	ds_read_b128 v[62:65], v1 offset:1312
	s_waitcnt lgkmcnt(2)
	v_mul_f64 v[66:67], v[54:55], v[152:153]
	v_fmac_f64_e32 v[66:67], v[56:57], v[156:157]
	s_waitcnt vmcnt(50) lgkmcnt(1)
	v_mul_f64 v[68:69], v[58:59], v[190:191]
	v_add_f64 v[66:67], v[196:197], v[66:67]
	s_waitcnt vmcnt(48)
	v_fmac_f64_e32 v[68:69], v[60:61], v[192:193]
	v_add_f64 v[66:67], v[66:67], v[68:69]
	v_fma_f64 v[196:197], v[102:103], v[72:73], -v[70:71]
	ds_read_b128 v[70:73], v1 offset:1344
	s_waitcnt lgkmcnt(1)
	v_mul_f64 v[68:69], v[62:63], v[160:161]
	v_fmac_f64_e32 v[68:69], v[64:65], v[164:165]
	v_add_f64 v[78:79], v[66:67], v[68:69]
	ds_read_b128 v[66:69], v1 offset:1328
	ds_read_b128 v[74:77], v1 offset:1360
	;; [unrolled: 1-line block ×3, first 2 shown]
	v_accvgpr_write_b32 a147, v3
	v_accvgpr_write_b32 a146, v2
	s_waitcnt vmcnt(42) lgkmcnt(2)
	v_mul_f64 v[80:81], v[66:67], v[194:195]
	s_waitcnt vmcnt(40)
	v_fmac_f64_e32 v[80:81], v[68:69], v[198:199]
	v_add_f64 v[78:79], v[78:79], v[80:81]
	v_mul_f64 v[80:81], v[70:71], v[168:169]
	v_fmac_f64_e32 v[80:81], v[72:73], v[172:173]
	v_add_f64 v[90:91], v[78:79], v[80:81]
	ds_read_b128 v[78:81], v1 offset:1376
	s_waitcnt vmcnt(34) lgkmcnt(2)
	v_mul_f64 v[92:93], v[74:75], v[200:201]
	s_waitcnt vmcnt(32)
	v_fmac_f64_e32 v[92:93], v[76:77], v[202:203]
	v_fma_f64 v[2:3], v[240:241], v[88:89], -v[86:87]
	ds_read_b128 v[86:89], v1 offset:1408
	ds_read_b128 v[94:97], v1 offset:1440
	v_add_f64 v[90:91], v[90:91], v[92:93]
	s_waitcnt lgkmcnt(2)
	v_mul_f64 v[92:93], v[78:79], v[176:177]
	v_fmac_f64_e32 v[92:93], v[80:81], v[180:181]
	v_add_f64 v[90:91], v[90:91], v[92:93]
	s_waitcnt vmcnt(26)
	v_mul_f64 v[92:93], v[82:83], v[204:205]
	s_waitcnt vmcnt(24)
	v_fmac_f64_e32 v[92:93], v[84:85], v[214:215]
	v_add_f64 v[90:91], v[90:91], v[92:93]
	s_waitcnt lgkmcnt(1)
	v_mul_f64 v[92:93], v[86:87], v[184:185]
	v_fmac_f64_e32 v[92:93], v[88:89], v[188:189]
	v_add_f64 v[102:103], v[90:91], v[92:93]
	ds_read_b128 v[90:93], v1 offset:1424
	v_mul_f64 v[98:99], v[250:251], v[98:99]
	v_fma_f64 v[250:251], v[248:249], v[100:101], -v[98:99]
	ds_read_b128 v[98:101], v1 offset:1456
	v_mul_f64 v[106:107], v[254:255], v[106:107]
	v_fma_f64 v[252:253], v[252:253], v[108:109], -v[106:107]
	v_add_f64 v[206:207], v[206:207], 0
	v_add_f64 v[206:207], v[206:207], v[208:209]
	v_add_f64 v[196:197], v[206:207], v[196:197]
	v_add_f64 v[196:197], v[196:197], v[210:211]
	v_add_f64 v[196:197], v[196:197], v[212:213]
	v_add_f64 v[2:3], v[196:197], v[2:3]
	v_add_f64 v[254:255], v[2:3], v[246:247]
	v_add_f64 v[2:3], v[254:255], v[250:251]
	v_mul_f64 v[4:5], v[120:121], v[4:5]
	v_add_f64 v[2:3], v[2:3], v[252:253]
	v_fma_f64 v[4:5], v[118:119], v[128:129], -v[4:5]
	v_add_f64 v[2:3], v[2:3], v[4:5]
	ds_read_b128 v[106:109], v1 offset:1488
	s_waitcnt vmcnt(13) lgkmcnt(1)
	v_mul_f64 v[112:113], v[98:99], v[226:227]
	v_mul_f64 v[104:105], v[90:91], v[216:217]
	s_waitcnt vmcnt(11)
	v_fmac_f64_e32 v[112:113], v[100:101], v[232:233]
	v_fmac_f64_e32 v[104:105], v[92:93], v[218:219]
	v_add_f64 v[102:103], v[102:103], v[104:105]
	v_mul_f64 v[104:105], v[94:95], v[222:223]
	v_fmac_f64_e32 v[104:105], v[96:97], v[224:225]
	v_add_f64 v[110:111], v[102:103], v[104:105]
	ds_read_b128 v[102:105], v1 offset:1472
	v_add_f64 v[110:111], v[110:111], v[112:113]
	s_waitcnt vmcnt(10) lgkmcnt(0)
	v_mul_f64 v[112:113], v[102:103], v[220:221]
	s_waitcnt vmcnt(8)
	v_fmac_f64_e32 v[112:113], v[104:105], v[230:231]
	v_add_f64 v[110:111], v[110:111], v[112:113]
	s_waitcnt vmcnt(6)
	v_mul_f64 v[112:113], v[106:107], v[228:229]
	s_waitcnt vmcnt(4)
	v_fmac_f64_e32 v[112:113], v[108:109], v[234:235]
	v_add_f64 v[114:115], v[110:111], v[112:113]
	ds_read_b128 v[110:113], v1 offset:1504
	buffer_load_dword v243, off, s[0:3], 0 offset:780
	buffer_load_dword v242, off, s[0:3], 0 offset:776
	;; [unrolled: 1-line block ×4, first 2 shown]
	s_waitcnt vmcnt(5) lgkmcnt(0)
	v_mul_f64 v[116:117], v[110:111], v[236:237]
	s_waitcnt vmcnt(4)
	v_fmac_f64_e32 v[116:117], v[112:113], v[238:239]
	v_add_f64 v[240:241], v[114:115], v[116:117]
	ds_read_b128 v[114:117], v1 offset:1520
	v_accvgpr_read_b32 v0, a146
	v_accvgpr_read_b32 v1, a147
	v_mul_f64 v[4:5], v[8:9], v[0:1]
	v_fma_f64 v[4:5], v[6:7], v[122:123], -v[4:5]
	v_add_f64 v[2:3], v[2:3], v[4:5]
	v_mul_f64 v[4:5], v[12:13], v[130:131]
	v_fma_f64 v[4:5], v[10:11], v[146:147], -v[4:5]
	v_add_f64 v[2:3], v[2:3], v[4:5]
	;; [unrolled: 3-line block ×22, first 2 shown]
	v_mul_f64 v[4:5], v[96:97], v[222:223]
	v_fma_f64 v[4:5], v[94:95], v[224:225], -v[4:5]
	s_waitcnt vmcnt(2) lgkmcnt(0)
	v_mul_f64 v[248:249], v[114:115], v[242:243]
	v_add_f64 v[2:3], v[2:3], v[4:5]
	s_waitcnt vmcnt(0)
	v_fmac_f64_e32 v[248:249], v[116:117], v[244:245]
	v_add_f64 v[240:241], v[240:241], v[248:249]
	buffer_load_dword v248, off, s[0:3], 0 offset:160
	buffer_load_dword v249, off, s[0:3], 0 offset:164
	;; [unrolled: 1-line block ×4, first 2 shown]
	v_mul_f64 v[4:5], v[100:101], v[226:227]
	v_fma_f64 v[4:5], v[98:99], v[232:233], -v[4:5]
	v_add_f64 v[2:3], v[2:3], v[4:5]
	v_mul_f64 v[4:5], v[104:105], v[220:221]
	v_fma_f64 v[4:5], v[102:103], v[230:231], -v[4:5]
	v_add_f64 v[2:3], v[2:3], v[4:5]
	;; [unrolled: 3-line block ×5, first 2 shown]
	v_accvgpr_read_b32 v0, a143
	v_cmp_lt_u32_e32 vcc, 8, v0
	s_waitcnt vmcnt(2)
	v_add_f64 v[2:3], v[248:249], -v[2:3]
	s_waitcnt vmcnt(0)
	v_add_f64 v[4:5], v[246:247], -v[240:241]
	buffer_store_dword v3, off, s[0:3], 0 offset:164
	buffer_store_dword v2, off, s[0:3], 0 offset:160
	;; [unrolled: 1-line block ×4, first 2 shown]
	s_and_saveexec_b64 s[4:5], vcc
	s_cbranch_execz .LBB47_285
; %bb.284:
	v_accvgpr_read_b32 v0, a135
	buffer_load_dword v2, v0, s[0:3], 0 offen
	buffer_load_dword v3, v0, s[0:3], 0 offen offset:4
	buffer_load_dword v4, v0, s[0:3], 0 offen offset:8
	;; [unrolled: 1-line block ×3, first 2 shown]
	v_mov_b32_e32 v0, 0
	v_accvgpr_read_b32 v1, a144
	buffer_store_dword v0, off, s[0:3], 0 offset:144
	buffer_store_dword v0, off, s[0:3], 0 offset:148
	;; [unrolled: 1-line block ×4, first 2 shown]
	s_waitcnt vmcnt(4)
	ds_write_b128 v1, v[2:5]
.LBB47_285:
	s_or_b64 exec, exec, s[4:5]
	s_waitcnt lgkmcnt(0)
	; wave barrier
	s_waitcnt lgkmcnt(0)
	buffer_load_dword v54, off, s[0:3], 0 offset:160
	buffer_load_dword v55, off, s[0:3], 0 offset:164
	;; [unrolled: 1-line block ×49, first 2 shown]
	s_waitcnt vmcnt(8)
	v_pk_mov_b32 v[2:3], v[0:1], v[0:1] op_sel:[0,1]
	v_mov_b32_e32 v1, 0
	ds_read_b128 v[62:65], v1 offset:912
	ds_read_b128 v[74:77], v1 offset:928
	;; [unrolled: 1-line block ×11, first 2 shown]
	s_waitcnt lgkmcnt(10)
	v_mul_f64 v[6:7], v[62:63], v[56:57]
	s_waitcnt lgkmcnt(9)
	v_mul_f64 v[8:9], v[74:75], v[60:61]
	v_fmac_f64_e32 v[6:7], v[64:65], v[54:55]
	s_waitcnt lgkmcnt(8)
	v_mul_f64 v[10:11], v[86:87], v[66:67]
	v_fmac_f64_e32 v[8:9], v[76:77], v[58:59]
	v_add_f64 v[6:7], v[6:7], 0
	s_waitcnt lgkmcnt(7)
	v_mul_f64 v[12:13], v[98:99], v[70:71]
	v_fmac_f64_e32 v[10:11], v[88:89], v[68:69]
	v_add_f64 v[6:7], v[6:7], v[8:9]
	;; [unrolled: 4-line block ×4, first 2 shown]
	buffer_load_dword v126, off, s[0:3], 0 offset:344
	buffer_load_dword v143, off, s[0:3], 0 offset:340
	;; [unrolled: 1-line block ×75, first 2 shown]
	s_waitcnt lgkmcnt(4)
	v_mul_f64 v[18:19], v[236:237], v[90:91]
	v_fmac_f64_e32 v[16:17], v[116:117], v[84:85]
	v_add_f64 v[6:7], v[6:7], v[14:15]
	s_waitcnt lgkmcnt(3)
	v_mul_f64 v[20:21], v[240:241], v[94:95]
	v_fmac_f64_e32 v[18:19], v[238:239], v[92:93]
	v_add_f64 v[6:7], v[6:7], v[16:17]
	;; [unrolled: 4-line block ×4, first 2 shown]
	v_add_f64 v[6:7], v[6:7], v[22:23]
	s_waitcnt vmcnt(62)
	v_fmac_f64_e32 v[24:25], v[250:251], v[108:109]
	v_add_f64 v[10:11], v[6:7], v[24:25]
	ds_read_b128 v[6:9], v1 offset:1088
	s_waitcnt lgkmcnt(1)
	v_mul_f64 v[12:13], v[118:119], v[4:5]
	v_fmac_f64_e32 v[12:13], v[120:121], v[2:3]
	v_add_f64 v[14:15], v[10:11], v[12:13]
	ds_read_b128 v[10:13], v1 offset:1104
	s_waitcnt lgkmcnt(1)
	v_mul_f64 v[16:17], v[6:7], v[126:127]
	v_fmac_f64_e32 v[16:17], v[8:9], v[142:143]
	v_add_f64 v[18:19], v[14:15], v[16:17]
	ds_read_b128 v[14:17], v1 offset:1120
	s_waitcnt lgkmcnt(1)
	v_mul_f64 v[20:21], v[10:11], v[122:123]
	v_fmac_f64_e32 v[20:21], v[12:13], v[124:125]
	v_add_f64 v[22:23], v[18:19], v[20:21]
	ds_read_b128 v[18:21], v1 offset:1136
	s_waitcnt lgkmcnt(1)
	v_mul_f64 v[24:25], v[14:15], v[146:147]
	v_fmac_f64_e32 v[24:25], v[16:17], v[150:151]
	v_add_f64 v[26:27], v[22:23], v[24:25]
	ds_read_b128 v[22:25], v1 offset:1152
	s_waitcnt lgkmcnt(1)
	v_mul_f64 v[28:29], v[18:19], v[128:129]
	v_fmac_f64_e32 v[28:29], v[20:21], v[130:131]
	v_add_f64 v[30:31], v[26:27], v[28:29]
	ds_read_b128 v[26:29], v1 offset:1168
	s_waitcnt vmcnt(58) lgkmcnt(1)
	v_mul_f64 v[32:33], v[22:23], v[154:155]
	s_waitcnt vmcnt(56)
	v_fmac_f64_e32 v[32:33], v[24:25], v[158:159]
	v_add_f64 v[34:35], v[30:31], v[32:33]
	ds_read_b128 v[30:33], v1 offset:1184
	s_waitcnt lgkmcnt(1)
	v_mul_f64 v[36:37], v[26:27], v[132:133]
	v_fmac_f64_e32 v[36:37], v[28:29], v[134:135]
	v_add_f64 v[38:39], v[34:35], v[36:37]
	ds_read_b128 v[34:37], v1 offset:1200
	s_waitcnt vmcnt(50) lgkmcnt(1)
	v_mul_f64 v[40:41], v[30:31], v[162:163]
	s_waitcnt vmcnt(48)
	v_fmac_f64_e32 v[40:41], v[32:33], v[166:167]
	v_add_f64 v[42:43], v[38:39], v[40:41]
	ds_read_b128 v[38:41], v1 offset:1216
	s_waitcnt lgkmcnt(1)
	v_mul_f64 v[44:45], v[34:35], v[136:137]
	;; [unrolled: 11-line block ×3, first 2 shown]
	buffer_load_dword v205, off, s[0:3], 0 offset:668
	buffer_load_dword v204, off, s[0:3], 0 offset:664
	;; [unrolled: 1-line block ×4, first 2 shown]
	v_fmac_f64_e32 v[52:53], v[44:45], v[144:145]
	v_add_f64 v[196:197], v[50:51], v[52:53]
	ds_read_b128 v[50:53], v1 offset:1264
	buffer_load_dword v216, off, s[0:3], 0 offset:680
	buffer_load_dword v218, off, s[0:3], 0 offset:672
	;; [unrolled: 1-line block ×20, first 2 shown]
	s_waitcnt vmcnt(58) lgkmcnt(1)
	v_mul_f64 v[206:207], v[46:47], v[178:179]
	s_waitcnt vmcnt(56)
	v_fmac_f64_e32 v[206:207], v[48:49], v[182:183]
	v_mul_f64 v[56:57], v[64:65], v[56:57]
	v_add_f64 v[196:197], v[196:197], v[206:207]
	v_fma_f64 v[206:207], v[62:63], v[54:55], -v[56:57]
	ds_read_b128 v[54:57], v1 offset:1280
	v_mul_f64 v[60:61], v[76:77], v[60:61]
	v_fma_f64 v[208:209], v[74:75], v[58:59], -v[60:61]
	ds_read_b128 v[58:61], v1 offset:1296
	s_waitcnt lgkmcnt(2)
	v_mul_f64 v[62:63], v[50:51], v[148:149]
	v_fmac_f64_e32 v[62:63], v[52:53], v[152:153]
	s_waitcnt vmcnt(50) lgkmcnt(1)
	v_mul_f64 v[64:65], v[54:55], v[186:187]
	v_add_f64 v[62:63], v[196:197], v[62:63]
	s_waitcnt vmcnt(48)
	v_fmac_f64_e32 v[64:65], v[56:57], v[188:189]
	v_add_f64 v[62:63], v[62:63], v[64:65]
	s_waitcnt lgkmcnt(0)
	v_mul_f64 v[64:65], v[58:59], v[156:157]
	v_fmac_f64_e32 v[64:65], v[60:61], v[160:161]
	v_add_f64 v[74:75], v[62:63], v[64:65]
	ds_read_b128 v[62:65], v1 offset:1312
	v_mul_f64 v[66:67], v[88:89], v[66:67]
	v_fma_f64 v[196:197], v[86:87], v[68:69], -v[66:67]
	ds_read_b128 v[66:69], v1 offset:1328
	v_mul_f64 v[70:71], v[100:101], v[70:71]
	s_waitcnt vmcnt(42) lgkmcnt(1)
	v_mul_f64 v[76:77], v[62:63], v[190:191]
	s_waitcnt vmcnt(40)
	v_fmac_f64_e32 v[76:77], v[64:65], v[192:193]
	v_add_f64 v[74:75], v[74:75], v[76:77]
	v_fma_f64 v[210:211], v[98:99], v[72:73], -v[70:71]
	ds_read_b128 v[70:73], v1 offset:1344
	s_waitcnt lgkmcnt(1)
	v_mul_f64 v[76:77], v[66:67], v[164:165]
	v_fmac_f64_e32 v[76:77], v[68:69], v[168:169]
	v_add_f64 v[86:87], v[74:75], v[76:77]
	ds_read_b128 v[74:77], v1 offset:1360
	v_mul_f64 v[78:79], v[112:113], v[78:79]
	v_fma_f64 v[212:213], v[110:111], v[80:81], -v[78:79]
	ds_read_b128 v[78:81], v1 offset:1376
	s_waitcnt vmcnt(34) lgkmcnt(2)
	v_mul_f64 v[88:89], v[70:71], v[194:195]
	v_mul_f64 v[82:83], v[116:117], v[82:83]
	s_waitcnt vmcnt(32)
	v_fmac_f64_e32 v[88:89], v[72:73], v[198:199]
	v_fma_f64 v[252:253], v[114:115], v[84:85], -v[82:83]
	ds_read_b128 v[82:85], v1 offset:1392
	v_add_f64 v[86:87], v[86:87], v[88:89]
	s_waitcnt lgkmcnt(2)
	v_mul_f64 v[88:89], v[74:75], v[172:173]
	v_fmac_f64_e32 v[88:89], v[76:77], v[176:177]
	v_add_f64 v[86:87], v[86:87], v[88:89]
	s_waitcnt vmcnt(26) lgkmcnt(1)
	v_mul_f64 v[88:89], v[78:79], v[200:201]
	s_waitcnt vmcnt(24)
	v_fmac_f64_e32 v[88:89], v[80:81], v[202:203]
	v_add_f64 v[86:87], v[86:87], v[88:89]
	s_waitcnt lgkmcnt(0)
	v_mul_f64 v[88:89], v[82:83], v[180:181]
	v_fmac_f64_e32 v[88:89], v[84:85], v[184:185]
	v_add_f64 v[98:99], v[86:87], v[88:89]
	ds_read_b128 v[86:89], v1 offset:1408
	v_mul_f64 v[90:91], v[238:239], v[90:91]
	v_fma_f64 v[254:255], v[236:237], v[92:93], -v[90:91]
	ds_read_b128 v[90:93], v1 offset:1424
	v_accvgpr_write_b32 a147, v3
	v_mul_f64 v[94:95], v[242:243], v[94:95]
	v_accvgpr_write_b32 a146, v2
	v_fma_f64 v[2:3], v[240:241], v[96:97], -v[94:95]
	ds_read_b128 v[94:97], v1 offset:1440
	v_mul_f64 v[102:103], v[246:247], v[102:103]
	v_fma_f64 v[246:247], v[244:245], v[104:105], -v[102:103]
	ds_read_b128 v[102:105], v1 offset:1472
	v_mul_f64 v[106:107], v[250:251], v[106:107]
	v_fma_f64 v[250:251], v[248:249], v[108:109], -v[106:107]
	ds_read_b128 v[106:109], v1 offset:1488
	v_add_f64 v[206:207], v[206:207], 0
	v_add_f64 v[206:207], v[206:207], v[208:209]
	;; [unrolled: 1-line block ×6, first 2 shown]
	s_waitcnt vmcnt(22) lgkmcnt(4)
	v_mul_f64 v[100:101], v[86:87], v[204:205]
	v_add_f64 v[196:197], v[196:197], v[254:255]
	s_waitcnt vmcnt(20)
	v_fmac_f64_e32 v[100:101], v[88:89], v[214:215]
	v_add_f64 v[98:99], v[98:99], v[100:101]
	v_add_f64 v[2:3], v[196:197], v[2:3]
	s_waitcnt vmcnt(17) lgkmcnt(3)
	v_mul_f64 v[100:101], v[90:91], v[216:217]
	s_waitcnt vmcnt(16)
	v_fmac_f64_e32 v[100:101], v[92:93], v[218:219]
	v_add_f64 v[110:111], v[98:99], v[100:101]
	ds_read_b128 v[98:101], v1 offset:1456
	s_waitcnt vmcnt(14) lgkmcnt(3)
	v_mul_f64 v[112:113], v[94:95], v[222:223]
	s_waitcnt vmcnt(12)
	v_fmac_f64_e32 v[112:113], v[96:97], v[226:227]
	buffer_load_dword v237, off, s[0:3], 0 offset:764
	buffer_load_dword v236, off, s[0:3], 0 offset:760
	buffer_load_dword v239, off, s[0:3], 0 offset:756
	buffer_load_dword v238, off, s[0:3], 0 offset:752
	v_add_f64 v[110:111], v[110:111], v[112:113]
	s_waitcnt vmcnt(14) lgkmcnt(0)
	v_mul_f64 v[112:113], v[98:99], v[224:225]
	s_waitcnt vmcnt(12)
	v_fmac_f64_e32 v[112:113], v[100:101], v[228:229]
	v_add_f64 v[110:111], v[110:111], v[112:113]
	s_waitcnt vmcnt(9)
	v_mul_f64 v[112:113], v[102:103], v[232:233]
	s_waitcnt vmcnt(7)
	v_fmac_f64_e32 v[112:113], v[104:105], v[234:235]
	v_add_f64 v[110:111], v[110:111], v[112:113]
	s_waitcnt vmcnt(5)
	v_mul_f64 v[112:113], v[106:107], v[220:221]
	s_waitcnt vmcnt(4)
	v_fmac_f64_e32 v[112:113], v[108:109], v[230:231]
	v_add_f64 v[114:115], v[110:111], v[112:113]
	ds_read_b128 v[110:113], v1 offset:1504
	buffer_load_dword v242, off, s[0:3], 0 offset:776
	buffer_load_dword v243, off, s[0:3], 0 offset:780
	;; [unrolled: 1-line block ×4, first 2 shown]
	v_add_f64 v[252:253], v[2:3], v[246:247]
	v_mul_f64 v[4:5], v[120:121], v[4:5]
	v_accvgpr_read_b32 v120, a146
	v_accvgpr_read_b32 v121, a147
	v_add_f64 v[2:3], v[252:253], v[250:251]
	v_fma_f64 v[4:5], v[118:119], v[120:121], -v[4:5]
	v_add_f64 v[2:3], v[2:3], v[4:5]
	v_mul_f64 v[4:5], v[8:9], v[126:127]
	v_fma_f64 v[4:5], v[6:7], v[142:143], -v[4:5]
	v_add_f64 v[2:3], v[2:3], v[4:5]
	v_mul_f64 v[4:5], v[12:13], v[122:123]
	;; [unrolled: 3-line block ×20, first 2 shown]
	s_waitcnt vmcnt(6) lgkmcnt(0)
	v_mul_f64 v[116:117], v[110:111], v[236:237]
	v_fma_f64 v[4:5], v[82:83], v[184:185], -v[4:5]
	s_waitcnt vmcnt(4)
	v_fmac_f64_e32 v[116:117], v[112:113], v[238:239]
	v_add_f64 v[240:241], v[114:115], v[116:117]
	ds_read_b128 v[114:117], v1 offset:1520
	v_add_f64 v[2:3], v[2:3], v[4:5]
	v_mul_f64 v[4:5], v[88:89], v[204:205]
	v_fma_f64 v[4:5], v[86:87], v[214:215], -v[4:5]
	v_add_f64 v[2:3], v[2:3], v[4:5]
	v_mul_f64 v[4:5], v[92:93], v[216:217]
	v_fma_f64 v[4:5], v[90:91], v[218:219], -v[4:5]
	v_add_f64 v[2:3], v[2:3], v[4:5]
	s_waitcnt vmcnt(2) lgkmcnt(0)
	v_mul_f64 v[248:249], v[114:115], v[242:243]
	v_mul_f64 v[4:5], v[96:97], v[222:223]
	s_waitcnt vmcnt(0)
	v_fmac_f64_e32 v[248:249], v[116:117], v[244:245]
	v_add_f64 v[240:241], v[240:241], v[248:249]
	buffer_load_dword v248, off, s[0:3], 0 offset:144
	buffer_load_dword v249, off, s[0:3], 0 offset:148
	;; [unrolled: 1-line block ×4, first 2 shown]
	v_fma_f64 v[4:5], v[94:95], v[226:227], -v[4:5]
	v_add_f64 v[2:3], v[2:3], v[4:5]
	v_mul_f64 v[4:5], v[100:101], v[224:225]
	v_fma_f64 v[4:5], v[98:99], v[228:229], -v[4:5]
	v_add_f64 v[2:3], v[2:3], v[4:5]
	v_mul_f64 v[4:5], v[104:105], v[232:233]
	;; [unrolled: 3-line block ×5, first 2 shown]
	v_fma_f64 v[4:5], v[114:115], v[244:245], -v[4:5]
	v_add_f64 v[2:3], v[2:3], v[4:5]
	v_accvgpr_read_b32 v0, a143
	v_cmp_lt_u32_e32 vcc, 7, v0
	s_waitcnt vmcnt(2)
	v_add_f64 v[2:3], v[248:249], -v[2:3]
	s_waitcnt vmcnt(0)
	v_add_f64 v[4:5], v[246:247], -v[240:241]
	buffer_store_dword v3, off, s[0:3], 0 offset:148
	buffer_store_dword v2, off, s[0:3], 0 offset:144
	;; [unrolled: 1-line block ×4, first 2 shown]
	s_and_saveexec_b64 s[4:5], vcc
	s_cbranch_execz .LBB47_287
; %bb.286:
	v_accvgpr_read_b32 v0, a136
	buffer_load_dword v2, v0, s[0:3], 0 offen
	buffer_load_dword v3, v0, s[0:3], 0 offen offset:4
	buffer_load_dword v4, v0, s[0:3], 0 offen offset:8
	;; [unrolled: 1-line block ×3, first 2 shown]
	v_accvgpr_read_b32 v0, a144
	buffer_store_dword v1, off, s[0:3], 0 offset:128
	buffer_store_dword v1, off, s[0:3], 0 offset:132
	;; [unrolled: 1-line block ×4, first 2 shown]
	s_waitcnt vmcnt(4)
	ds_write_b128 v0, v[2:5]
.LBB47_287:
	s_or_b64 exec, exec, s[4:5]
	s_waitcnt lgkmcnt(0)
	; wave barrier
	s_waitcnt lgkmcnt(0)
	buffer_load_dword v56, off, s[0:3], 0 offset:144
	buffer_load_dword v57, off, s[0:3], 0 offset:148
	;; [unrolled: 1-line block ×42, first 2 shown]
	ds_read_b128 v[78:81], v1 offset:896
	ds_read_b128 v[90:93], v1 offset:912
	;; [unrolled: 1-line block ×10, first 2 shown]
	buffer_load_dword v105, off, s[0:3], 0 offset:292
	buffer_load_dword v104, off, s[0:3], 0 offset:288
	ds_read_b128 v[106:109], v1 offset:1056
	buffer_load_dword v3, off, s[0:3], 0 offset:348
	buffer_load_dword v2, off, s[0:3], 0 offset:344
	s_waitcnt vmcnt(38) lgkmcnt(9)
	v_mul_f64 v[4:5], v[90:91], v[62:63]
	v_fmac_f64_e32 v[4:5], v[92:93], v[54:55]
	s_waitcnt vmcnt(36) lgkmcnt(8)
	v_mul_f64 v[6:7], v[114:115], v[58:59]
	v_mul_f64 v[58:59], v[116:117], v[58:59]
	s_waitcnt vmcnt(34) lgkmcnt(6)
	v_mul_f64 v[10:11], v[240:241], v[70:71]
	v_mul_f64 v[70:71], v[242:243], v[70:71]
	s_waitcnt vmcnt(32)
	v_fmac_f64_e32 v[10:11], v[242:243], v[72:73]
	v_fma_f64 v[240:241], v[240:241], v[72:73], -v[70:71]
	s_waitcnt vmcnt(30)
	v_mul_f64 v[8:9], v[236:237], v[64:65]
	s_waitcnt vmcnt(28) lgkmcnt(4)
	v_mul_f64 v[14:15], v[248:249], v[82:83]
	v_mul_f64 v[82:83], v[250:251], v[82:83]
	s_waitcnt vmcnt(26)
	v_fmac_f64_e32 v[14:15], v[250:251], v[84:85]
	v_fma_f64 v[248:249], v[248:249], v[84:85], -v[82:83]
	s_waitcnt vmcnt(24)
	v_mul_f64 v[12:13], v[244:245], v[74:75]
	v_mul_f64 v[74:75], v[246:247], v[74:75]
	s_waitcnt vmcnt(22) lgkmcnt(2)
	v_mul_f64 v[18:19], v[206:207], v[94:95]
	v_mul_f64 v[94:95], v[208:209], v[94:95]
	s_waitcnt vmcnt(19)
	v_mul_f64 v[16:17], v[252:253], v[86:87]
	v_mul_f64 v[86:87], v[254:255], v[86:87]
	s_waitcnt vmcnt(17) lgkmcnt(1)
	v_mul_f64 v[20:21], v[98:99], v[102:103]
	s_waitcnt vmcnt(15)
	v_fmac_f64_e32 v[6:7], v[116:117], v[68:69]
	s_waitcnt vmcnt(13)
	v_fmac_f64_e32 v[8:9], v[238:239], v[66:67]
	;; [unrolled: 2-line block ×3, first 2 shown]
	v_fma_f64 v[246:247], v[244:245], v[76:77], -v[74:75]
	s_waitcnt vmcnt(9)
	v_fmac_f64_e32 v[16:17], v[254:255], v[88:89]
	s_waitcnt vmcnt(8)
	v_fmac_f64_e32 v[18:19], v[208:209], v[96:97]
	v_fma_f64 v[254:255], v[252:253], v[88:89], -v[86:87]
	v_fma_f64 v[206:207], v[206:207], v[96:97], -v[94:95]
	s_waitcnt vmcnt(2)
	v_fmac_f64_e32 v[20:21], v[100:101], v[104:105]
	v_mul_f64 v[100:101], v[100:101], v[102:103]
	s_waitcnt vmcnt(0)
	v_pk_mov_b32 v[22:23], v[2:3], v[2:3] op_sel:[0,1]
	buffer_load_dword v3, off, s[0:3], 0 offset:340
	buffer_load_dword v2, off, s[0:3], 0 offset:336
	;; [unrolled: 1-line block ×78, first 2 shown]
	ds_read_b128 v[118:121], v1 offset:1072
	v_accvgpr_write_b32 a147, v23
	v_accvgpr_write_b32 a146, v22
	v_fma_f64 v[250:251], v[98:99], v[104:105], -v[100:101]
	s_waitcnt vmcnt(62)
	v_pk_mov_b32 v[24:25], v[2:3], v[2:3] op_sel:[0,1]
	v_mul_f64 v[2:3], v[78:79], v[60:61]
	v_fmac_f64_e32 v[2:3], v[80:81], v[56:57]
	v_add_f64 v[2:3], v[2:3], 0
	v_add_f64 v[2:3], v[2:3], v[4:5]
	;; [unrolled: 1-line block ×9, first 2 shown]
	s_waitcnt lgkmcnt(1)
	v_mul_f64 v[8:9], v[106:107], v[110:111]
	v_add_f64 v[6:7], v[2:3], v[20:21]
	v_fmac_f64_e32 v[8:9], v[108:109], v[112:113]
	v_add_f64 v[10:11], v[6:7], v[8:9]
	ds_read_b128 v[6:9], v1 offset:1088
	s_waitcnt lgkmcnt(1)
	v_mul_f64 v[12:13], v[118:119], v[122:123]
	v_fmac_f64_e32 v[12:13], v[120:121], v[138:139]
	v_add_f64 v[14:15], v[10:11], v[12:13]
	ds_read_b128 v[10:13], v1 offset:1104
	s_waitcnt lgkmcnt(1)
	v_mul_f64 v[16:17], v[6:7], v[22:23]
	;; [unrolled: 5-line block ×3, first 2 shown]
	v_fmac_f64_e32 v[20:21], v[12:13], v[146:147]
	v_add_f64 v[22:23], v[18:19], v[20:21]
	ds_read_b128 v[18:21], v1 offset:1136
	v_accvgpr_write_b32 a149, v25
	v_accvgpr_write_b32 a148, v24
	s_waitcnt lgkmcnt(1)
	v_mul_f64 v[24:25], v[14:15], v[124:125]
	v_fmac_f64_e32 v[24:25], v[16:17], v[126:127]
	v_add_f64 v[26:27], v[22:23], v[24:25]
	ds_read_b128 v[22:25], v1 offset:1152
	s_waitcnt vmcnt(58) lgkmcnt(1)
	v_mul_f64 v[28:29], v[18:19], v[150:151]
	s_waitcnt vmcnt(56)
	v_fmac_f64_e32 v[28:29], v[20:21], v[154:155]
	v_add_f64 v[30:31], v[26:27], v[28:29]
	ds_read_b128 v[26:29], v1 offset:1168
	s_waitcnt lgkmcnt(1)
	v_mul_f64 v[32:33], v[22:23], v[128:129]
	v_fmac_f64_e32 v[32:33], v[24:25], v[130:131]
	v_add_f64 v[34:35], v[30:31], v[32:33]
	ds_read_b128 v[30:33], v1 offset:1184
	s_waitcnt vmcnt(50) lgkmcnt(1)
	v_mul_f64 v[36:37], v[26:27], v[158:159]
	s_waitcnt vmcnt(48)
	v_fmac_f64_e32 v[36:37], v[28:29], v[162:163]
	v_add_f64 v[38:39], v[34:35], v[36:37]
	ds_read_b128 v[34:37], v1 offset:1200
	;; [unrolled: 11-line block ×4, first 2 shown]
	buffer_load_dword v200, off, s[0:3], 0 offset:664
	buffer_load_dword v205, off, s[0:3], 0 offset:652
	;; [unrolled: 1-line block ×28, first 2 shown]
	s_waitcnt lgkmcnt(1)
	v_mul_f64 v[210:211], v[46:47], v[144:145]
	v_fmac_f64_e32 v[210:211], v[48:49], v[148:149]
	v_mul_f64 v[60:61], v[80:81], v[60:61]
	v_add_f64 v[196:197], v[196:197], v[210:211]
	s_waitcnt vmcnt(54) lgkmcnt(0)
	v_mul_f64 v[210:211], v[50:51], v[182:183]
	v_fma_f64 v[212:213], v[78:79], v[56:57], -v[60:61]
	v_mul_f64 v[56:57], v[92:93], v[62:63]
	v_fma_f64 v[2:3], v[90:91], v[54:55], -v[56:57]
	s_waitcnt vmcnt(52)
	v_fmac_f64_e32 v[210:211], v[52:53], v[184:185]
	ds_read_b128 v[54:57], v1 offset:1280
	v_add_f64 v[4:5], v[196:197], v[210:211]
	v_fma_f64 v[196:197], v[114:115], v[68:69], -v[58:59]
	ds_read_b128 v[58:61], v1 offset:1296
	v_mul_f64 v[62:63], v[238:239], v[64:65]
	v_fma_f64 v[210:211], v[236:237], v[66:67], -v[62:63]
	ds_read_b128 v[62:65], v1 offset:1312
	ds_read_b128 v[70:73], v1 offset:1344
	s_waitcnt lgkmcnt(3)
	v_mul_f64 v[68:69], v[54:55], v[152:153]
	v_fmac_f64_e32 v[68:69], v[56:57], v[156:157]
	s_waitcnt vmcnt(46) lgkmcnt(2)
	v_mul_f64 v[66:67], v[58:59], v[186:187]
	v_add_f64 v[4:5], v[4:5], v[68:69]
	s_waitcnt vmcnt(44)
	v_fmac_f64_e32 v[66:67], v[60:61], v[188:189]
	v_add_f64 v[4:5], v[4:5], v[66:67]
	s_waitcnt lgkmcnt(1)
	v_mul_f64 v[66:67], v[62:63], v[160:161]
	v_fmac_f64_e32 v[66:67], v[64:65], v[164:165]
	v_add_f64 v[4:5], v[4:5], v[66:67]
	ds_read_b128 v[66:69], v1 offset:1328
	ds_read_b128 v[74:77], v1 offset:1360
	;; [unrolled: 1-line block ×5, first 2 shown]
	s_waitcnt vmcnt(38) lgkmcnt(4)
	v_mul_f64 v[78:79], v[66:67], v[190:191]
	s_waitcnt vmcnt(36)
	v_fmac_f64_e32 v[78:79], v[68:69], v[192:193]
	v_add_f64 v[4:5], v[4:5], v[78:79]
	v_mul_f64 v[78:79], v[70:71], v[168:169]
	v_fmac_f64_e32 v[78:79], v[72:73], v[172:173]
	v_add_f64 v[4:5], v[4:5], v[78:79]
	s_waitcnt vmcnt(30) lgkmcnt(3)
	v_mul_f64 v[78:79], v[74:75], v[194:195]
	s_waitcnt vmcnt(28)
	v_fmac_f64_e32 v[78:79], v[76:77], v[198:199]
	v_add_f64 v[4:5], v[4:5], v[78:79]
	ds_read_b128 v[78:81], v1 offset:1376
	v_mul_f64 v[108:109], v[108:109], v[110:111]
	v_fma_f64 v[252:253], v[106:107], v[112:113], -v[108:109]
	v_mul_f64 v[120:121], v[120:121], v[122:123]
	v_fma_f64 v[118:119], v[118:119], v[138:139], -v[120:121]
	s_waitcnt lgkmcnt(0)
	v_mul_f64 v[90:91], v[78:79], v[176:177]
	v_fmac_f64_e32 v[90:91], v[80:81], v[180:181]
	v_add_f64 v[4:5], v[4:5], v[90:91]
	ds_read_b128 v[98:101], v1 offset:1456
	ds_read_b128 v[106:109], v1 offset:1488
	s_waitcnt vmcnt(9) lgkmcnt(1)
	v_mul_f64 v[110:111], v[98:99], v[228:229]
	v_mul_f64 v[90:91], v[82:83], v[204:205]
	s_waitcnt vmcnt(7)
	v_fmac_f64_e32 v[110:111], v[100:101], v[232:233]
	v_fmac_f64_e32 v[90:91], v[84:85], v[214:215]
	v_add_f64 v[4:5], v[4:5], v[90:91]
	v_mul_f64 v[90:91], v[86:87], v[200:201]
	v_fmac_f64_e32 v[90:91], v[88:89], v[202:203]
	v_add_f64 v[4:5], v[4:5], v[90:91]
	ds_read_b128 v[90:93], v1 offset:1424
	v_mul_f64 v[102:103], v[94:95], v[222:223]
	v_fmac_f64_e32 v[102:103], v[96:97], v[224:225]
	s_waitcnt lgkmcnt(0)
	v_mul_f64 v[114:115], v[90:91], v[216:217]
	v_fmac_f64_e32 v[114:115], v[92:93], v[218:219]
	v_add_f64 v[4:5], v[4:5], v[114:115]
	v_add_f64 v[4:5], v[4:5], v[102:103]
	ds_read_b128 v[102:105], v1 offset:1472
	buffer_load_dword v236, off, s[0:3], 0 offset:760
	buffer_load_dword v237, off, s[0:3], 0 offset:764
	;; [unrolled: 1-line block ×4, first 2 shown]
	v_add_f64 v[4:5], v[4:5], v[110:111]
	s_waitcnt vmcnt(9) lgkmcnt(0)
	v_mul_f64 v[110:111], v[102:103], v[220:221]
	s_waitcnt vmcnt(8)
	v_fmac_f64_e32 v[110:111], v[104:105], v[226:227]
	v_add_f64 v[4:5], v[4:5], v[110:111]
	s_waitcnt vmcnt(6)
	v_mul_f64 v[110:111], v[106:107], v[230:231]
	s_waitcnt vmcnt(4)
	v_fmac_f64_e32 v[110:111], v[108:109], v[234:235]
	v_add_f64 v[4:5], v[4:5], v[110:111]
	ds_read_b128 v[110:113], v1 offset:1504
	buffer_load_dword v243, off, s[0:3], 0 offset:780
	buffer_load_dword v242, off, s[0:3], 0 offset:776
	;; [unrolled: 1-line block ×4, first 2 shown]
	s_waitcnt vmcnt(6) lgkmcnt(0)
	v_mul_f64 v[114:115], v[110:111], v[236:237]
	s_waitcnt vmcnt(4)
	v_fmac_f64_e32 v[114:115], v[112:113], v[238:239]
	v_add_f64 v[4:5], v[4:5], v[114:115]
	ds_read_b128 v[114:117], v1 offset:1520
	v_accvgpr_read_b32 v0, a146
	v_accvgpr_read_b32 v1, a147
	v_mul_f64 v[8:9], v[8:9], v[0:1]
	v_accvgpr_read_b32 v0, a148
	v_accvgpr_read_b32 v1, a149
	v_fma_f64 v[6:7], v[6:7], v[0:1], -v[8:9]
	s_waitcnt vmcnt(2) lgkmcnt(0)
	v_mul_f64 v[208:209], v[114:115], v[242:243]
	v_accvgpr_read_b32 v0, a143
	s_waitcnt vmcnt(0)
	v_fmac_f64_e32 v[208:209], v[116:117], v[244:245]
	v_add_f64 v[4:5], v[4:5], v[208:209]
	v_add_f64 v[208:209], v[212:213], 0
	;; [unrolled: 1-line block ×8, first 2 shown]
	buffer_load_dword v248, off, s[0:3], 0 offset:128
	buffer_load_dword v249, off, s[0:3], 0 offset:132
	;; [unrolled: 1-line block ×4, first 2 shown]
	v_add_f64 v[2:3], v[2:3], v[254:255]
	v_add_f64 v[254:255], v[2:3], v[206:207]
	;; [unrolled: 1-line block ×6, first 2 shown]
	v_mul_f64 v[6:7], v[12:13], v[142:143]
	v_fma_f64 v[6:7], v[10:11], v[146:147], -v[6:7]
	v_add_f64 v[2:3], v[2:3], v[6:7]
	v_mul_f64 v[6:7], v[16:17], v[124:125]
	v_fma_f64 v[6:7], v[14:15], v[126:127], -v[6:7]
	v_add_f64 v[2:3], v[2:3], v[6:7]
	;; [unrolled: 3-line block ×27, first 2 shown]
	s_waitcnt vmcnt(2)
	v_add_f64 v[2:3], v[248:249], -v[2:3]
	v_cmp_lt_u32_e32 vcc, 6, v0
	s_waitcnt vmcnt(0)
	v_add_f64 v[4:5], v[246:247], -v[4:5]
	buffer_store_dword v3, off, s[0:3], 0 offset:132
	buffer_store_dword v2, off, s[0:3], 0 offset:128
	;; [unrolled: 1-line block ×4, first 2 shown]
	s_and_saveexec_b64 s[4:5], vcc
	s_cbranch_execz .LBB47_289
; %bb.288:
	v_accvgpr_read_b32 v0, a137
	buffer_load_dword v2, v0, s[0:3], 0 offen
	buffer_load_dword v3, v0, s[0:3], 0 offen offset:4
	buffer_load_dword v4, v0, s[0:3], 0 offen offset:8
	;; [unrolled: 1-line block ×3, first 2 shown]
	v_mov_b32_e32 v0, 0
	v_accvgpr_read_b32 v1, a144
	buffer_store_dword v0, off, s[0:3], 0 offset:112
	buffer_store_dword v0, off, s[0:3], 0 offset:116
	;; [unrolled: 1-line block ×4, first 2 shown]
	s_waitcnt vmcnt(4)
	ds_write_b128 v1, v[2:5]
.LBB47_289:
	s_or_b64 exec, exec, s[4:5]
	s_waitcnt lgkmcnt(0)
	; wave barrier
	s_waitcnt lgkmcnt(0)
	buffer_load_dword v54, off, s[0:3], 0 offset:128
	buffer_load_dword v55, off, s[0:3], 0 offset:132
	;; [unrolled: 1-line block ×46, first 2 shown]
	v_mov_b32_e32 v1, 0
	buffer_load_dword v255, off, s[0:3], 0 offset:324
	buffer_load_dword v254, off, s[0:3], 0 offset:320
	;; [unrolled: 1-line block ×3, first 2 shown]
	ds_read_b128 v[94:97], v1 offset:880
	ds_read_b128 v[108:111], v1 offset:896
	;; [unrolled: 1-line block ×11, first 2 shown]
	v_accvgpr_read_b32 v0, a143
	v_cmp_lt_u32_e32 vcc, 5, v0
	s_waitcnt vmcnt(41) lgkmcnt(9)
	v_mul_f64 v[4:5], v[108:109], v[62:63]
	v_fmac_f64_e32 v[4:5], v[110:111], v[58:59]
	s_waitcnt vmcnt(39) lgkmcnt(8)
	v_mul_f64 v[6:7], v[112:113], v[60:61]
	v_mul_f64 v[62:63], v[110:111], v[62:63]
	s_waitcnt vmcnt(37) lgkmcnt(6)
	v_mul_f64 v[10:11], v[238:239], v[64:65]
	s_waitcnt vmcnt(35)
	v_fmac_f64_e32 v[10:11], v[240:241], v[66:67]
	s_waitcnt vmcnt(33)
	v_mul_f64 v[8:9], v[204:205], v[68:69]
	s_waitcnt vmcnt(31) lgkmcnt(4)
	v_mul_f64 v[14:15], v[246:247], v[74:75]
	v_mul_f64 v[74:75], v[248:249], v[74:75]
	s_waitcnt vmcnt(29)
	v_fmac_f64_e32 v[14:15], v[248:249], v[76:77]
	v_fma_f64 v[246:247], v[246:247], v[76:77], -v[74:75]
	s_waitcnt vmcnt(27)
	v_mul_f64 v[12:13], v[242:243], v[70:71]
	s_waitcnt vmcnt(25) lgkmcnt(2)
	v_mul_f64 v[18:19], v[208:209], v[86:87]
	v_mul_f64 v[86:87], v[210:211], v[86:87]
	s_waitcnt vmcnt(22)
	v_mul_f64 v[16:17], v[250:251], v[78:79]
	v_mul_f64 v[78:79], v[252:253], v[78:79]
	s_waitcnt vmcnt(20) lgkmcnt(1)
	v_mul_f64 v[20:21], v[116:117], v[90:91]
	v_mul_f64 v[90:91], v[118:119], v[90:91]
	s_waitcnt vmcnt(18)
	v_fmac_f64_e32 v[6:7], v[114:115], v[84:85]
	s_waitcnt vmcnt(16)
	v_fmac_f64_e32 v[8:9], v[206:207], v[82:83]
	;; [unrolled: 2-line block ×5, first 2 shown]
	v_fma_f64 v[248:249], v[250:251], v[80:81], -v[78:79]
	v_fma_f64 v[252:253], v[208:209], v[88:89], -v[86:87]
	s_waitcnt vmcnt(5)
	v_fmac_f64_e32 v[20:21], v[118:119], v[92:93]
	v_fma_f64 v[118:119], v[116:117], v[92:93], -v[90:91]
	s_waitcnt vmcnt(3)
	v_pk_mov_b32 v[22:23], v[2:3], v[2:3] op_sel:[0,1]
	v_mul_f64 v[2:3], v[94:95], v[56:57]
	v_fmac_f64_e32 v[2:3], v[96:97], v[54:55]
	v_add_f64 v[2:3], v[2:3], 0
	v_add_f64 v[2:3], v[2:3], v[4:5]
	buffer_load_dword v106, off, s[0:3], 0 offset:312
	buffer_load_dword v197, off, s[0:3], 0 offset:308
	;; [unrolled: 1-line block ×75, first 2 shown]
	v_add_f64 v[2:3], v[2:3], v[6:7]
	v_add_f64 v[2:3], v[2:3], v[8:9]
	;; [unrolled: 1-line block ×3, first 2 shown]
	ds_read_b128 v[234:237], v1 offset:1056
	ds_read_b128 v[120:123], v1 offset:1072
	v_add_f64 v[2:3], v[2:3], v[12:13]
	v_add_f64 v[2:3], v[2:3], v[14:15]
	;; [unrolled: 1-line block ×5, first 2 shown]
	s_waitcnt lgkmcnt(0)
	v_mul_f64 v[12:13], v[120:121], v[22:23]
	s_waitcnt vmcnt(62)
	v_fmac_f64_e32 v[12:13], v[122:123], v[254:255]
	v_accvgpr_write_b32 a147, v23
	v_accvgpr_write_b32 a146, v22
	v_mul_f64 v[56:57], v[96:97], v[56:57]
	v_mul_f64 v[8:9], v[234:235], v[106:107]
	v_fmac_f64_e32 v[8:9], v[236:237], v[196:197]
	v_pk_mov_b32 v[24:25], v[4:5], v[4:5] op_sel:[0,1]
	v_mul_f64 v[4:5], v[98:99], v[102:103]
	v_fmac_f64_e32 v[4:5], v[100:101], v[104:105]
	v_add_f64 v[6:7], v[2:3], v[4:5]
	v_add_f64 v[10:11], v[6:7], v[8:9]
	ds_read_b128 v[6:9], v1 offset:1088
	v_add_f64 v[14:15], v[10:11], v[12:13]
	ds_read_b128 v[10:13], v1 offset:1104
	v_accvgpr_write_b32 a149, v25
	v_accvgpr_write_b32 a148, v24
	s_waitcnt lgkmcnt(1)
	v_mul_f64 v[16:17], v[6:7], v[138:139]
	v_fmac_f64_e32 v[16:17], v[8:9], v[142:143]
	s_waitcnt lgkmcnt(0)
	v_mul_f64 v[20:21], v[10:11], v[24:25]
	v_add_f64 v[18:19], v[14:15], v[16:17]
	ds_read_b128 v[14:17], v1 offset:1120
	v_fmac_f64_e32 v[20:21], v[12:13], v[124:125]
	v_add_f64 v[22:23], v[18:19], v[20:21]
	ds_read_b128 v[18:21], v1 offset:1136
	v_fma_f64 v[2:3], v[94:95], v[54:55], -v[56:57]
	s_waitcnt vmcnt(58) lgkmcnt(1)
	v_mul_f64 v[24:25], v[14:15], v[146:147]
	s_waitcnt vmcnt(56)
	v_fmac_f64_e32 v[24:25], v[16:17], v[150:151]
	v_add_f64 v[26:27], v[22:23], v[24:25]
	s_waitcnt lgkmcnt(0)
	v_mul_f64 v[28:29], v[18:19], v[126:127]
	ds_read_b128 v[22:25], v1 offset:1152
	v_fmac_f64_e32 v[28:29], v[20:21], v[128:129]
	v_add_f64 v[30:31], v[26:27], v[28:29]
	ds_read_b128 v[26:29], v1 offset:1168
	v_fma_f64 v[94:95], v[108:109], v[58:59], -v[62:63]
	s_waitcnt vmcnt(50) lgkmcnt(1)
	v_mul_f64 v[32:33], v[22:23], v[154:155]
	s_waitcnt vmcnt(48)
	v_fmac_f64_e32 v[32:33], v[24:25], v[158:159]
	v_add_f64 v[34:35], v[30:31], v[32:33]
	s_waitcnt lgkmcnt(0)
	v_mul_f64 v[36:37], v[26:27], v[130:131]
	ds_read_b128 v[30:33], v1 offset:1184
	v_fmac_f64_e32 v[36:37], v[28:29], v[132:133]
	v_add_f64 v[38:39], v[34:35], v[36:37]
	ds_read_b128 v[34:37], v1 offset:1200
	v_mul_f64 v[58:59], v[114:115], v[60:61]
	s_waitcnt vmcnt(42) lgkmcnt(1)
	v_mul_f64 v[40:41], v[30:31], v[162:163]
	s_waitcnt vmcnt(40)
	v_fmac_f64_e32 v[40:41], v[32:33], v[166:167]
	v_add_f64 v[42:43], v[38:39], v[40:41]
	s_waitcnt lgkmcnt(0)
	v_mul_f64 v[44:45], v[34:35], v[134:135]
	ds_read_b128 v[38:41], v1 offset:1216
	v_fmac_f64_e32 v[44:45], v[36:37], v[136:137]
	v_add_f64 v[46:47], v[42:43], v[44:45]
	ds_read_b128 v[42:45], v1 offset:1232
	v_fma_f64 v[96:97], v[112:113], v[84:85], -v[58:59]
	s_waitcnt vmcnt(34) lgkmcnt(1)
	v_mul_f64 v[48:49], v[38:39], v[170:171]
	s_waitcnt vmcnt(32)
	v_fmac_f64_e32 v[48:49], v[40:41], v[174:175]
	v_add_f64 v[50:51], v[46:47], v[48:49]
	s_waitcnt lgkmcnt(0)
	v_mul_f64 v[52:53], v[42:43], v[140:141]
	v_fmac_f64_e32 v[52:53], v[44:45], v[144:145]
	ds_read_b128 v[46:49], v1 offset:1248
	v_add_f64 v[200:201], v[50:51], v[52:53]
	ds_read_b128 v[50:53], v1 offset:1264
	buffer_load_dword v195, off, s[0:3], 0 offset:636
	buffer_load_dword v194, off, s[0:3], 0 offset:632
	buffer_load_dword v199, off, s[0:3], 0 offset:628
	buffer_load_dword v198, off, s[0:3], 0 offset:624
	v_mul_f64 v[58:59], v[206:207], v[68:69]
	s_waitcnt vmcnt(30) lgkmcnt(1)
	v_mul_f64 v[202:203], v[46:47], v[178:179]
	s_waitcnt vmcnt(28)
	v_fmac_f64_e32 v[202:203], v[48:49], v[180:181]
	v_add_f64 v[212:213], v[200:201], v[202:203]
	buffer_load_dword v202, off, s[0:3], 0 offset:648
	buffer_load_dword v214, off, s[0:3], 0 offset:640
	buffer_load_dword v203, off, s[0:3], 0 offset:652
	buffer_load_dword v215, off, s[0:3], 0 offset:644
	buffer_load_dword v201, off, s[0:3], 0 offset:684
	buffer_load_dword v217, off, s[0:3], 0 offset:668
	buffer_load_dword v216, off, s[0:3], 0 offset:664
	buffer_load_dword v221, off, s[0:3], 0 offset:660
	buffer_load_dword v220, off, s[0:3], 0 offset:656
	buffer_load_dword v200, off, s[0:3], 0 offset:680
	buffer_load_dword v219, off, s[0:3], 0 offset:676
	buffer_load_dword v218, off, s[0:3], 0 offset:672
	ds_read_b128 v[54:57], v1 offset:1280
	buffer_load_dword v223, off, s[0:3], 0 offset:700
	buffer_load_dword v222, off, s[0:3], 0 offset:696
	;; [unrolled: 1-line block ×4, first 2 shown]
	s_waitcnt lgkmcnt(1)
	v_mul_f64 v[4:5], v[50:51], v[148:149]
	buffer_load_dword v226, off, s[0:3], 0 offset:712
	buffer_load_dword v228, off, s[0:3], 0 offset:704
	;; [unrolled: 1-line block ×8, first 2 shown]
	v_fmac_f64_e32 v[4:5], v[52:53], v[152:153]
	v_add_f64 v[4:5], v[212:213], v[4:5]
	buffer_load_dword v206, off, s[0:3], 0 offset:744
	buffer_load_dword v212, off, s[0:3], 0 offset:736
	;; [unrolled: 1-line block ×4, first 2 shown]
	v_fma_f64 v[108:109], v[204:205], v[82:83], -v[58:59]
	s_waitcnt vmcnt(50) lgkmcnt(0)
	v_mul_f64 v[58:59], v[54:55], v[182:183]
	s_waitcnt vmcnt(48)
	v_fmac_f64_e32 v[58:59], v[56:57], v[184:185]
	v_add_f64 v[4:5], v[4:5], v[58:59]
	ds_read_b128 v[58:61], v1 offset:1296
	v_mul_f64 v[62:63], v[240:241], v[64:65]
	v_fma_f64 v[240:241], v[238:239], v[66:67], -v[62:63]
	ds_read_b128 v[62:65], v1 offset:1312
	v_mul_f64 v[66:67], v[244:245], v[70:71]
	v_fma_f64 v[204:205], v[242:243], v[72:73], -v[66:67]
	ds_read_b128 v[66:69], v1 offset:1328
	ds_read_b128 v[74:77], v1 offset:1360
	s_waitcnt lgkmcnt(3)
	v_mul_f64 v[82:83], v[58:59], v[156:157]
	v_fmac_f64_e32 v[82:83], v[60:61], v[160:161]
	s_waitcnt vmcnt(42) lgkmcnt(2)
	v_mul_f64 v[70:71], v[62:63], v[186:187]
	v_add_f64 v[4:5], v[4:5], v[82:83]
	s_waitcnt vmcnt(40)
	v_fmac_f64_e32 v[70:71], v[64:65], v[188:189]
	v_add_f64 v[4:5], v[4:5], v[70:71]
	s_waitcnt lgkmcnt(1)
	v_mul_f64 v[70:71], v[66:67], v[164:165]
	v_fmac_f64_e32 v[70:71], v[68:69], v[168:169]
	v_add_f64 v[4:5], v[4:5], v[70:71]
	ds_read_b128 v[70:73], v1 offset:1344
	ds_read_b128 v[78:81], v1 offset:1376
	;; [unrolled: 1-line block ×4, first 2 shown]
	v_mul_f64 v[100:101], v[100:101], v[102:103]
	s_waitcnt vmcnt(34) lgkmcnt(3)
	v_mul_f64 v[82:83], v[70:71], v[190:191]
	s_waitcnt vmcnt(32)
	v_fmac_f64_e32 v[82:83], v[72:73], v[192:193]
	v_add_f64 v[4:5], v[4:5], v[82:83]
	v_mul_f64 v[82:83], v[74:75], v[172:173]
	v_fmac_f64_e32 v[82:83], v[76:77], v[176:177]
	v_add_f64 v[4:5], v[4:5], v[82:83]
	v_mul_f64 v[102:103], v[236:237], v[106:107]
	v_fma_f64 v[250:251], v[98:99], v[104:105], -v[100:101]
	ds_read_b128 v[98:101], v1 offset:1456
	v_fma_f64 v[102:103], v[234:235], v[196:197], -v[102:103]
	v_accvgpr_write_b32 a151, v103
	v_accvgpr_write_b32 a150, v102
	ds_read_b128 v[102:105], v1 offset:1472
	ds_read_b128 v[234:237], v1 offset:1488
	v_add_f64 v[2:3], v[2:3], 0
	v_add_f64 v[2:3], v[2:3], v[94:95]
	;; [unrolled: 1-line block ×7, first 2 shown]
	ds_read_b128 v[86:89], v1 offset:1408
	v_add_f64 v[2:3], v[2:3], v[248:249]
	v_add_f64 v[2:3], v[2:3], v[252:253]
	;; [unrolled: 1-line block ×3, first 2 shown]
	v_accvgpr_read_b32 v94, a146
	v_add_f64 v[252:253], v[2:3], v[250:251]
	v_accvgpr_read_b32 v2, a150
	v_accvgpr_read_b32 v95, a147
	;; [unrolled: 1-line block ×3, first 2 shown]
	v_mul_f64 v[94:95], v[122:123], v[94:95]
	v_add_f64 v[2:3], v[252:253], v[2:3]
	v_fma_f64 v[94:95], v[120:121], v[254:255], -v[94:95]
	v_mul_f64 v[8:9], v[8:9], v[138:139]
	v_add_f64 v[2:3], v[2:3], v[94:95]
	v_fma_f64 v[6:7], v[6:7], v[142:143], -v[8:9]
	v_add_f64 v[2:3], v[2:3], v[6:7]
	v_accvgpr_read_b32 v6, a148
	s_waitcnt vmcnt(30) lgkmcnt(6)
	v_mul_f64 v[82:83], v[78:79], v[194:195]
	v_accvgpr_read_b32 v7, a149
	s_waitcnt vmcnt(28)
	v_fmac_f64_e32 v[82:83], v[80:81], v[198:199]
	v_add_f64 v[4:5], v[4:5], v[82:83]
	ds_read_b128 v[82:85], v1 offset:1392
	v_mul_f64 v[6:7], v[12:13], v[6:7]
	v_fma_f64 v[6:7], v[10:11], v[124:125], -v[6:7]
	s_waitcnt vmcnt(9) lgkmcnt(4)
	v_mul_f64 v[106:107], v[98:99], v[226:227]
	s_waitcnt vmcnt(8)
	v_fmac_f64_e32 v[106:107], v[100:101], v[228:229]
	s_waitcnt lgkmcnt(0)
	v_mul_f64 v[110:111], v[82:83], v[202:203]
	v_fmac_f64_e32 v[110:111], v[84:85], v[214:215]
	v_add_f64 v[4:5], v[4:5], v[110:111]
	v_mul_f64 v[110:111], v[86:87], v[216:217]
	v_fmac_f64_e32 v[110:111], v[88:89], v[220:221]
	v_add_f64 v[4:5], v[4:5], v[110:111]
	;; [unrolled: 3-line block ×4, first 2 shown]
	v_add_f64 v[4:5], v[4:5], v[106:107]
	s_waitcnt vmcnt(6)
	v_mul_f64 v[106:107], v[102:103], v[230:231]
	s_waitcnt vmcnt(4)
	v_fmac_f64_e32 v[106:107], v[104:105], v[232:233]
	v_add_f64 v[4:5], v[4:5], v[106:107]
	s_waitcnt vmcnt(1)
	v_mul_f64 v[106:107], v[234:235], v[206:207]
	s_waitcnt vmcnt(0)
	v_fmac_f64_e32 v[106:107], v[236:237], v[212:213]
	v_add_f64 v[4:5], v[4:5], v[106:107]
	buffer_load_dword v107, off, s[0:3], 0 offset:764
	buffer_load_dword v106, off, s[0:3], 0 offset:760
	;; [unrolled: 1-line block ×4, first 2 shown]
	ds_read_b128 v[110:113], v1 offset:1504
	buffer_load_dword v242, off, s[0:3], 0 offset:776
	buffer_load_dword v243, off, s[0:3], 0 offset:780
	;; [unrolled: 1-line block ×4, first 2 shown]
	v_add_f64 v[2:3], v[2:3], v[6:7]
	v_mul_f64 v[6:7], v[16:17], v[146:147]
	v_fma_f64 v[6:7], v[14:15], v[150:151], -v[6:7]
	v_add_f64 v[2:3], v[2:3], v[6:7]
	v_mul_f64 v[6:7], v[20:21], v[126:127]
	v_fma_f64 v[6:7], v[18:19], v[128:129], -v[6:7]
	;; [unrolled: 3-line block ×24, first 2 shown]
	v_add_f64 v[2:3], v[2:3], v[6:7]
	s_waitcnt vmcnt(6) lgkmcnt(0)
	v_mul_f64 v[114:115], v[110:111], v[106:107]
	v_mul_f64 v[6:7], v[112:113], v[106:107]
	s_waitcnt vmcnt(4)
	v_fmac_f64_e32 v[114:115], v[112:113], v[238:239]
	v_add_f64 v[4:5], v[4:5], v[114:115]
	ds_read_b128 v[114:117], v1 offset:1520
	buffer_load_dword v248, off, s[0:3], 0 offset:112
	buffer_load_dword v249, off, s[0:3], 0 offset:116
	;; [unrolled: 1-line block ×4, first 2 shown]
	v_fma_f64 v[6:7], v[110:111], v[238:239], -v[6:7]
	v_add_f64 v[2:3], v[2:3], v[6:7]
	s_waitcnt vmcnt(6) lgkmcnt(0)
	v_mul_f64 v[6:7], v[116:117], v[242:243]
	v_mul_f64 v[196:197], v[114:115], v[242:243]
	s_waitcnt vmcnt(4)
	v_fma_f64 v[6:7], v[114:115], v[244:245], -v[6:7]
	v_fmac_f64_e32 v[196:197], v[116:117], v[244:245]
	v_add_f64 v[2:3], v[2:3], v[6:7]
	v_add_f64 v[4:5], v[4:5], v[196:197]
	s_waitcnt vmcnt(2)
	v_add_f64 v[2:3], v[248:249], -v[2:3]
	s_waitcnt vmcnt(0)
	v_add_f64 v[4:5], v[246:247], -v[4:5]
	buffer_store_dword v3, off, s[0:3], 0 offset:116
	buffer_store_dword v2, off, s[0:3], 0 offset:112
	;; [unrolled: 1-line block ×4, first 2 shown]
	s_and_saveexec_b64 s[4:5], vcc
	s_cbranch_execz .LBB47_291
; %bb.290:
	v_accvgpr_read_b32 v0, a138
	buffer_load_dword v2, v0, s[0:3], 0 offen
	buffer_load_dword v3, v0, s[0:3], 0 offen offset:4
	buffer_load_dword v4, v0, s[0:3], 0 offen offset:8
	;; [unrolled: 1-line block ×3, first 2 shown]
	v_accvgpr_read_b32 v0, a144
	buffer_store_dword v1, off, s[0:3], 0 offset:96
	buffer_store_dword v1, off, s[0:3], 0 offset:100
	;; [unrolled: 1-line block ×4, first 2 shown]
	s_waitcnt vmcnt(4)
	ds_write_b128 v0, v[2:5]
.LBB47_291:
	s_or_b64 exec, exec, s[4:5]
	s_waitcnt lgkmcnt(0)
	; wave barrier
	s_waitcnt lgkmcnt(0)
	buffer_load_dword v58, off, s[0:3], 0 offset:112
	buffer_load_dword v59, off, s[0:3], 0 offset:116
	buffer_load_dword v60, off, s[0:3], 0 offset:120
	buffer_load_dword v61, off, s[0:3], 0 offset:124
	buffer_load_dword v56, off, s[0:3], 0 offset:128
	buffer_load_dword v57, off, s[0:3], 0 offset:132
	buffer_load_dword v62, off, s[0:3], 0 offset:136
	buffer_load_dword v63, off, s[0:3], 0 offset:140
	buffer_load_dword v54, off, s[0:3], 0 offset:152
	buffer_load_dword v55, off, s[0:3], 0 offset:156
	buffer_load_dword v65, off, s[0:3], 0 offset:188
	buffer_load_dword v64, off, s[0:3], 0 offset:184
	buffer_load_dword v67, off, s[0:3], 0 offset:180
	buffer_load_dword v66, off, s[0:3], 0 offset:176
	buffer_load_dword v69, off, s[0:3], 0 offset:172
	buffer_load_dword v68, off, s[0:3], 0 offset:168
	buffer_load_dword v71, off, s[0:3], 0 offset:220
	buffer_load_dword v70, off, s[0:3], 0 offset:216
	buffer_load_dword v73, off, s[0:3], 0 offset:212
	buffer_load_dword v72, off, s[0:3], 0 offset:208
	buffer_load_dword v75, off, s[0:3], 0 offset:204
	buffer_load_dword v74, off, s[0:3], 0 offset:200
	buffer_load_dword v79, off, s[0:3], 0 offset:252
	buffer_load_dword v78, off, s[0:3], 0 offset:248
	buffer_load_dword v80, off, s[0:3], 0 offset:240
	buffer_load_dword v77, off, s[0:3], 0 offset:236
	buffer_load_dword v76, off, s[0:3], 0 offset:232
	buffer_load_dword v87, off, s[0:3], 0 offset:268
	buffer_load_dword v86, off, s[0:3], 0 offset:264
	buffer_load_dword v100, off, s[0:3], 0 offset:144
	buffer_load_dword v101, off, s[0:3], 0 offset:148
	buffer_load_dword v99, off, s[0:3], 0 offset:164
	buffer_load_dword v98, off, s[0:3], 0 offset:160
	buffer_load_dword v95, off, s[0:3], 0 offset:196
	buffer_load_dword v94, off, s[0:3], 0 offset:192
	buffer_load_dword v89, off, s[0:3], 0 offset:228
	buffer_load_dword v88, off, s[0:3], 0 offset:224
	buffer_load_dword v81, off, s[0:3], 0 offset:244
	buffer_load_dword v96, off, s[0:3], 0 offset:280
	buffer_load_dword v102, off, s[0:3], 0 offset:272
	buffer_load_dword v103, off, s[0:3], 0 offset:276
	buffer_load_dword v97, off, s[0:3], 0 offset:284
	ds_read_b128 v[110:113], v1 offset:864
	ds_read_b128 v[114:117], v1 offset:880
	ds_read_b128 v[204:207], v1 offset:896
	ds_read_b128 v[208:211], v1 offset:912
	ds_read_b128 v[232:235], v1 offset:928
	ds_read_b128 v[236:239], v1 offset:944
	ds_read_b128 v[240:243], v1 offset:960
	ds_read_b128 v[244:247], v1 offset:976
	ds_read_b128 v[248:251], v1 offset:992
	ds_read_b128 v[82:85], v1 offset:1008
	buffer_load_dword v223, off, s[0:3], 0 offset:260
	buffer_load_dword v222, off, s[0:3], 0 offset:256
	ds_read_b128 v[90:93], v1 offset:1024
	buffer_load_dword v105, off, s[0:3], 0 offset:316
	buffer_load_dword v104, off, s[0:3], 0 offset:312
	;; [unrolled: 1-line block ×6, first 2 shown]
	s_waitcnt vmcnt(46) lgkmcnt(10)
	v_mul_f64 v[2:3], v[110:111], v[60:61]
	v_fmac_f64_e32 v[2:3], v[112:113], v[58:59]
	v_add_f64 v[2:3], v[2:3], 0
	v_mul_f64 v[60:61], v[112:113], v[60:61]
	s_waitcnt vmcnt(42) lgkmcnt(9)
	v_mul_f64 v[4:5], v[114:115], v[62:63]
	v_fmac_f64_e32 v[4:5], v[116:117], v[56:57]
	v_add_f64 v[2:3], v[2:3], v[4:5]
	buffer_load_dword v225, off, s[0:3], 0 offset:292
	buffer_load_dword v224, off, s[0:3], 0 offset:288
	;; [unrolled: 1-line block ×4, first 2 shown]
	s_waitcnt vmcnt(44) lgkmcnt(8)
	v_mul_f64 v[6:7], v[204:205], v[54:55]
	s_waitcnt vmcnt(42) lgkmcnt(6)
	v_mul_f64 v[10:11], v[232:233], v[64:65]
	s_waitcnt vmcnt(40)
	v_fmac_f64_e32 v[10:11], v[234:235], v[66:67]
	v_mul_f64 v[54:55], v[206:207], v[54:55]
	s_waitcnt vmcnt(38)
	v_mul_f64 v[8:9], v[208:209], v[68:69]
	s_waitcnt vmcnt(36) lgkmcnt(4)
	v_mul_f64 v[14:15], v[240:241], v[70:71]
	s_waitcnt vmcnt(34)
	v_fmac_f64_e32 v[14:15], v[242:243], v[72:73]
	s_waitcnt vmcnt(32)
	v_mul_f64 v[12:13], v[236:237], v[74:75]
	s_waitcnt vmcnt(30) lgkmcnt(2)
	v_mul_f64 v[18:19], v[248:249], v[78:79]
	v_mul_f64 v[78:79], v[250:251], v[78:79]
	s_waitcnt vmcnt(27)
	v_mul_f64 v[16:17], v[244:245], v[76:77]
	s_waitcnt vmcnt(25) lgkmcnt(1)
	v_mul_f64 v[20:21], v[82:83], v[86:87]
	s_waitcnt vmcnt(23)
	v_fmac_f64_e32 v[6:7], v[206:207], v[100:101]
	v_add_f64 v[2:3], v[2:3], v[6:7]
	s_waitcnt vmcnt(21)
	v_fmac_f64_e32 v[8:9], v[210:211], v[98:99]
	v_add_f64 v[2:3], v[2:3], v[8:9]
	;; [unrolled: 3-line block ×3, first 2 shown]
	v_add_f64 v[2:3], v[2:3], v[12:13]
	s_waitcnt vmcnt(17)
	v_fmac_f64_e32 v[16:17], v[246:247], v[88:89]
	v_add_f64 v[2:3], v[2:3], v[14:15]
	s_waitcnt vmcnt(16)
	v_fmac_f64_e32 v[18:19], v[250:251], v[80:81]
	v_add_f64 v[2:3], v[2:3], v[16:17]
	v_add_f64 v[2:3], v[2:3], v[18:19]
	v_fma_f64 v[54:55], v[204:205], v[100:101], -v[54:55]
	s_waitcnt vmcnt(10)
	v_fmac_f64_e32 v[20:21], v[84:85], v[222:223]
	v_add_f64 v[2:3], v[2:3], v[20:21]
	v_fma_f64 v[248:249], v[248:249], v[80:81], -v[78:79]
	v_mul_f64 v[84:85], v[84:85], v[86:87]
	v_fma_f64 v[250:251], v[82:83], v[222:223], -v[84:85]
	s_waitcnt vmcnt(0)
	v_pk_mov_b32 v[18:19], v[4:5], v[4:5] op_sel:[0,1]
	buffer_load_dword v5, off, s[0:3], 0 offset:340
	buffer_load_dword v4, off, s[0:3], 0 offset:336
	v_accvgpr_write_b32 a147, v19
	v_accvgpr_write_b32 a146, v18
	s_waitcnt vmcnt(0)
	v_pk_mov_b32 v[22:23], v[4:5], v[4:5] op_sel:[0,1]
	buffer_load_dword v135, off, s[0:3], 0 offset:332
	buffer_load_dword v134, off, s[0:3], 0 offset:328
	;; [unrolled: 1-line block ×6, first 2 shown]
	v_accvgpr_write_b32 a149, v23
	v_accvgpr_write_b32 a148, v22
	s_waitcnt vmcnt(0)
	v_pk_mov_b32 v[26:27], v[4:5], v[4:5] op_sel:[0,1]
	buffer_load_dword v5, off, s[0:3], 0 offset:372
	buffer_load_dword v4, off, s[0:3], 0 offset:368
	v_accvgpr_write_b32 a151, v27
	v_accvgpr_write_b32 a150, v26
	s_waitcnt vmcnt(0)
	v_pk_mov_b32 v[28:29], v[4:5], v[4:5] op_sel:[0,1]
	buffer_load_dword v143, off, s[0:3], 0 offset:364
	buffer_load_dword v142, off, s[0:3], 0 offset:360
	;; [unrolled: 1-line block ×60, first 2 shown]
	ds_read_b128 v[252:255], v1 offset:1040
	ds_read_b128 v[118:121], v1 offset:1056
	;; [unrolled: 1-line block ×5, first 2 shown]
	v_accvgpr_write_b32 a153, v29
	s_waitcnt lgkmcnt(3)
	v_mul_f64 v[8:9], v[118:119], v[104:105]
	v_fmac_f64_e32 v[8:9], v[120:121], v[106:107]
	s_waitcnt lgkmcnt(2)
	v_mul_f64 v[12:13], v[126:127], v[134:135]
	v_fmac_f64_e32 v[12:13], v[128:129], v[138:139]
	s_waitcnt lgkmcnt(1)
	v_mul_f64 v[16:17], v[190:191], v[18:19]
	v_fmac_f64_e32 v[16:17], v[192:193], v[22:23]
	v_accvgpr_write_b32 a152, v28
	v_mul_f64 v[104:105], v[120:121], v[104:105]
	s_waitcnt vmcnt(46)
	v_pk_mov_b32 v[42:43], v[4:5], v[4:5] op_sel:[0,1]
	v_mul_f64 v[4:5], v[90:91], v[96:97]
	v_fmac_f64_e32 v[4:5], v[92:93], v[102:103]
	v_add_f64 v[2:3], v[2:3], v[4:5]
	v_mul_f64 v[4:5], v[252:253], v[108:109]
	v_fmac_f64_e32 v[4:5], v[254:255], v[224:225]
	v_add_f64 v[6:7], v[2:3], v[4:5]
	v_add_f64 v[10:11], v[6:7], v[8:9]
	;; [unrolled: 1-line block ×4, first 2 shown]
	ds_read_b128 v[14:17], v1 offset:1120
	s_waitcnt lgkmcnt(1)
	v_mul_f64 v[20:21], v[122:123], v[142:143]
	v_fmac_f64_e32 v[20:21], v[124:125], v[146:147]
	v_add_f64 v[22:23], v[18:19], v[20:21]
	ds_read_b128 v[18:21], v1 offset:1136
	s_waitcnt lgkmcnt(1)
	v_mul_f64 v[24:25], v[14:15], v[26:27]
	v_fmac_f64_e32 v[24:25], v[16:17], v[28:29]
	v_add_f64 v[26:27], v[22:23], v[24:25]
	;; [unrolled: 5-line block ×4, first 2 shown]
	ds_read_b128 v[30:33], v1 offset:1184
	s_waitcnt vmcnt(42) lgkmcnt(1)
	v_mul_f64 v[36:37], v[26:27], v[158:159]
	s_waitcnt vmcnt(40)
	v_fmac_f64_e32 v[36:37], v[28:29], v[162:163]
	v_add_f64 v[38:39], v[34:35], v[36:37]
	ds_read_b128 v[34:37], v1 offset:1200
	s_waitcnt lgkmcnt(1)
	v_mul_f64 v[40:41], v[30:31], v[42:43]
	v_accvgpr_write_b32 a155, v43
	v_fmac_f64_e32 v[40:41], v[32:33], v[132:133]
	v_accvgpr_write_b32 a154, v42
	v_add_f64 v[42:43], v[38:39], v[40:41]
	ds_read_b128 v[38:41], v1 offset:1216
	s_waitcnt vmcnt(34) lgkmcnt(1)
	v_mul_f64 v[44:45], v[34:35], v[166:167]
	s_waitcnt vmcnt(32)
	v_fmac_f64_e32 v[44:45], v[36:37], v[170:171]
	v_add_f64 v[46:47], v[42:43], v[44:45]
	ds_read_b128 v[42:45], v1 offset:1232
	s_waitcnt lgkmcnt(1)
	v_mul_f64 v[48:49], v[38:39], v[136:137]
	v_fmac_f64_e32 v[48:49], v[40:41], v[140:141]
	v_add_f64 v[50:51], v[46:47], v[48:49]
	ds_read_b128 v[46:49], v1 offset:1248
	s_waitcnt vmcnt(26) lgkmcnt(1)
	v_mul_f64 v[52:53], v[42:43], v[174:175]
	s_waitcnt vmcnt(24)
	v_fmac_f64_e32 v[52:53], v[44:45], v[176:177]
	v_add_f64 v[2:3], v[50:51], v[52:53]
	ds_read_b128 v[50:53], v1 offset:1264
	buffer_load_dword v13, off, s[0:3], 0 offset:620
	buffer_load_dword v12, off, s[0:3], 0 offset:616
	;; [unrolled: 1-line block ×20, first 2 shown]
	s_waitcnt lgkmcnt(1)
	v_mul_f64 v[4:5], v[46:47], v[144:145]
	v_fma_f64 v[6:7], v[110:111], v[58:59], -v[60:61]
	v_mul_f64 v[58:59], v[116:117], v[62:63]
	v_fmac_f64_e32 v[4:5], v[48:49], v[148:149]
	v_fma_f64 v[226:227], v[114:115], v[56:57], -v[58:59]
	v_mul_f64 v[56:57], v[210:211], v[68:69]
	v_add_f64 v[58:59], v[2:3], v[4:5]
	v_mul_f64 v[2:3], v[234:235], v[64:65]
	v_fma_f64 v[56:57], v[208:209], v[98:99], -v[56:57]
	buffer_load_dword v204, off, s[0:3], 0 offset:696
	buffer_load_dword v208, off, s[0:3], 0 offset:688
	;; [unrolled: 1-line block ×12, first 2 shown]
	v_fma_f64 v[2:3], v[232:233], v[66:67], -v[2:3]
	buffer_load_dword v233, off, s[0:3], 0 offset:748
	buffer_load_dword v232, off, s[0:3], 0 offset:744
	;; [unrolled: 1-line block ×4, first 2 shown]
	ds_read_b128 v[8:11], v1 offset:1280
	s_waitcnt vmcnt(54) lgkmcnt(1)
	v_mul_f64 v[4:5], v[50:51], v[178:179]
	s_waitcnt vmcnt(52)
	v_fmac_f64_e32 v[4:5], v[52:53], v[180:181]
	v_add_f64 v[4:5], v[58:59], v[4:5]
	v_mul_f64 v[58:59], v[238:239], v[74:75]
	v_fma_f64 v[94:95], v[236:237], v[94:95], -v[58:59]
	ds_read_b128 v[58:61], v1 offset:1296
	s_waitcnt lgkmcnt(1)
	v_mul_f64 v[62:63], v[8:9], v[152:153]
	v_fmac_f64_e32 v[62:63], v[10:11], v[156:157]
	v_add_f64 v[4:5], v[4:5], v[62:63]
	ds_read_b128 v[62:65], v1 offset:1312
	v_mul_f64 v[66:67], v[242:243], v[70:71]
	s_waitcnt vmcnt(46) lgkmcnt(1)
	v_mul_f64 v[70:71], v[58:59], v[182:183]
	v_fma_f64 v[240:241], v[240:241], v[72:73], -v[66:67]
	ds_read_b128 v[66:69], v1 offset:1328
	s_waitcnt vmcnt(44)
	v_fmac_f64_e32 v[70:71], v[60:61], v[184:185]
	v_add_f64 v[4:5], v[4:5], v[70:71]
	v_mul_f64 v[70:71], v[246:247], v[76:77]
	v_fma_f64 v[246:247], v[244:245], v[88:89], -v[70:71]
	ds_read_b128 v[70:73], v1 offset:1344
	ds_read_b128 v[78:81], v1 offset:1376
	s_waitcnt lgkmcnt(3)
	v_mul_f64 v[74:75], v[62:63], v[160:161]
	v_fmac_f64_e32 v[74:75], v[64:65], v[164:165]
	v_add_f64 v[4:5], v[4:5], v[74:75]
	s_waitcnt vmcnt(38) lgkmcnt(2)
	v_mul_f64 v[74:75], v[66:67], v[186:187]
	s_waitcnt vmcnt(36)
	v_fmac_f64_e32 v[74:75], v[68:69], v[188:189]
	v_add_f64 v[4:5], v[4:5], v[74:75]
	s_waitcnt lgkmcnt(1)
	v_mul_f64 v[74:75], v[70:71], v[168:169]
	v_fmac_f64_e32 v[74:75], v[72:73], v[172:173]
	v_add_f64 v[4:5], v[4:5], v[74:75]
	ds_read_b128 v[74:77], v1 offset:1360
	ds_read_b128 v[82:85], v1 offset:1392
	v_mul_f64 v[92:93], v[92:93], v[96:97]
	v_fma_f64 v[102:103], v[90:91], v[102:103], -v[92:93]
	v_add_f64 v[6:7], v[6:7], 0
	v_add_f64 v[6:7], v[6:7], v[226:227]
	;; [unrolled: 1-line block ×3, first 2 shown]
	ds_read_b128 v[98:101], v1 offset:1440
	v_add_f64 v[6:7], v[6:7], v[56:57]
	v_add_f64 v[2:3], v[6:7], v[2:3]
	;; [unrolled: 1-line block ×7, first 2 shown]
	v_mul_f64 v[6:7], v[128:129], v[134:135]
	v_fma_f64 v[6:7], v[126:127], v[138:139], -v[6:7]
	ds_read_b128 v[90:93], v1 offset:1424
	s_waitcnt vmcnt(25) lgkmcnt(2)
	v_mul_f64 v[96:97], v[82:83], v[202:203]
	s_waitcnt vmcnt(23)
	v_fmac_f64_e32 v[96:97], v[84:85], v[218:219]
	v_mul_f64 v[88:89], v[74:75], v[12:13]
	v_fmac_f64_e32 v[88:89], v[76:77], v[130:131]
	v_mul_f64 v[86:87], v[78:79], v[198:199]
	v_add_f64 v[4:5], v[4:5], v[88:89]
	v_fmac_f64_e32 v[86:87], v[80:81], v[200:201]
	v_add_f64 v[4:5], v[4:5], v[86:87]
	ds_read_b128 v[86:89], v1 offset:1408
	v_add_f64 v[4:5], v[4:5], v[96:97]
	s_waitcnt vmcnt(18) lgkmcnt(1)
	v_mul_f64 v[110:111], v[90:91], v[214:215]
	s_waitcnt vmcnt(16)
	v_fmac_f64_e32 v[110:111], v[92:93], v[220:221]
	s_waitcnt lgkmcnt(0)
	v_mul_f64 v[96:97], v[86:87], v[194:195]
	v_fmac_f64_e32 v[96:97], v[88:89], v[216:217]
	v_add_f64 v[4:5], v[4:5], v[96:97]
	v_mul_f64 v[96:97], v[254:255], v[108:109]
	v_fma_f64 v[96:97], v[252:253], v[224:225], -v[96:97]
	ds_read_b128 v[222:225], v1 offset:1456
	v_fma_f64 v[252:253], v[118:119], v[106:107], -v[104:105]
	ds_read_b128 v[118:121], v1 offset:1472
	ds_read_b128 v[106:109], v1 offset:1488
	buffer_load_dword v236, off, s[0:3], 0 offset:760
	buffer_load_dword v237, off, s[0:3], 0 offset:764
	buffer_load_dword v238, off, s[0:3], 0 offset:752
	buffer_load_dword v239, off, s[0:3], 0 offset:756
	v_add_f64 v[4:5], v[4:5], v[110:111]
	ds_read_b128 v[110:113], v1 offset:1504
	buffer_load_dword v243, off, s[0:3], 0 offset:780
	buffer_load_dword v242, off, s[0:3], 0 offset:776
	;; [unrolled: 1-line block ×4, first 2 shown]
	ds_read_b128 v[114:117], v1 offset:1520
	buffer_load_dword v248, off, s[0:3], 0 offset:96
	buffer_load_dword v249, off, s[0:3], 0 offset:100
	buffer_load_dword v246, off, s[0:3], 0 offset:104
	buffer_load_dword v247, off, s[0:3], 0 offset:108
	v_add_f64 v[254:255], v[2:3], v[102:103]
	v_add_f64 v[2:3], v[254:255], v[96:97]
	v_accvgpr_read_b32 v0, a146
	v_add_f64 v[2:3], v[2:3], v[252:253]
	v_accvgpr_read_b32 v1, a147
	v_add_f64 v[2:3], v[2:3], v[6:7]
	v_mul_f64 v[6:7], v[192:193], v[0:1]
	v_accvgpr_read_b32 v0, a148
	v_accvgpr_read_b32 v1, a149
	v_fma_f64 v[6:7], v[190:191], v[0:1], -v[6:7]
	v_add_f64 v[2:3], v[2:3], v[6:7]
	v_mul_f64 v[6:7], v[124:125], v[142:143]
	v_accvgpr_read_b32 v0, a150
	v_fma_f64 v[6:7], v[122:123], v[146:147], -v[6:7]
	v_accvgpr_read_b32 v1, a151
	v_add_f64 v[2:3], v[2:3], v[6:7]
	v_mul_f64 v[6:7], v[16:17], v[0:1]
	v_accvgpr_read_b32 v0, a152
	v_accvgpr_read_b32 v1, a153
	v_fma_f64 v[6:7], v[14:15], v[0:1], -v[6:7]
	v_add_f64 v[2:3], v[2:3], v[6:7]
	v_mul_f64 v[6:7], v[20:21], v[150:151]
	v_fma_f64 v[6:7], v[18:19], v[154:155], -v[6:7]
	v_add_f64 v[2:3], v[2:3], v[6:7]
	v_mul_f64 v[6:7], v[24:25], v[212:213]
	;; [unrolled: 3-line block ×3, first 2 shown]
	v_accvgpr_read_b32 v0, a154
	v_fma_f64 v[6:7], v[26:27], v[162:163], -v[6:7]
	v_accvgpr_read_b32 v1, a155
	v_add_f64 v[2:3], v[2:3], v[6:7]
	v_mul_f64 v[6:7], v[32:33], v[0:1]
	v_fma_f64 v[6:7], v[30:31], v[132:133], -v[6:7]
	v_add_f64 v[2:3], v[2:3], v[6:7]
	v_mul_f64 v[6:7], v[36:37], v[166:167]
	v_fma_f64 v[6:7], v[34:35], v[170:171], -v[6:7]
	;; [unrolled: 3-line block ×16, first 2 shown]
	v_add_f64 v[2:3], v[2:3], v[6:7]
	s_waitcnt vmcnt(25)
	v_mul_f64 v[6:7], v[100:101], v[204:205]
	v_mul_f64 v[104:105], v[98:99], v[204:205]
	s_waitcnt vmcnt(24)
	v_fma_f64 v[6:7], v[98:99], v[208:209], -v[6:7]
	v_fmac_f64_e32 v[104:105], v[100:101], v[208:209]
	v_add_f64 v[2:3], v[2:3], v[6:7]
	s_waitcnt vmcnt(21) lgkmcnt(4)
	v_mul_f64 v[6:7], v[224:225], v[228:229]
	v_add_f64 v[4:5], v[4:5], v[104:105]
	v_mul_f64 v[104:105], v[222:223], v[228:229]
	s_waitcnt vmcnt(19)
	v_fma_f64 v[6:7], v[222:223], v[230:231], -v[6:7]
	v_fmac_f64_e32 v[104:105], v[224:225], v[230:231]
	v_add_f64 v[2:3], v[2:3], v[6:7]
	s_waitcnt vmcnt(17) lgkmcnt(3)
	v_mul_f64 v[6:7], v[120:121], v[206:207]
	v_add_f64 v[4:5], v[4:5], v[104:105]
	;; [unrolled: 8-line block ×5, first 2 shown]
	v_mul_f64 v[104:105], v[114:115], v[242:243]
	s_waitcnt vmcnt(4)
	v_fma_f64 v[6:7], v[114:115], v[244:245], -v[6:7]
	v_fmac_f64_e32 v[104:105], v[116:117], v[244:245]
	v_add_f64 v[2:3], v[2:3], v[6:7]
	v_accvgpr_read_b32 v0, a143
	v_add_f64 v[4:5], v[4:5], v[104:105]
	s_waitcnt vmcnt(2)
	v_add_f64 v[2:3], v[248:249], -v[2:3]
	v_cmp_lt_u32_e32 vcc, 4, v0
	s_waitcnt vmcnt(0)
	v_add_f64 v[4:5], v[246:247], -v[4:5]
	buffer_store_dword v3, off, s[0:3], 0 offset:100
	buffer_store_dword v2, off, s[0:3], 0 offset:96
	buffer_store_dword v5, off, s[0:3], 0 offset:108
	buffer_store_dword v4, off, s[0:3], 0 offset:104
	s_and_saveexec_b64 s[4:5], vcc
	s_cbranch_execz .LBB47_293
; %bb.292:
	v_accvgpr_read_b32 v0, a139
	buffer_load_dword v2, v0, s[0:3], 0 offen
	buffer_load_dword v3, v0, s[0:3], 0 offen offset:4
	buffer_load_dword v4, v0, s[0:3], 0 offen offset:8
	;; [unrolled: 1-line block ×3, first 2 shown]
	v_mov_b32_e32 v0, 0
	v_accvgpr_read_b32 v1, a144
	buffer_store_dword v0, off, s[0:3], 0 offset:80
	buffer_store_dword v0, off, s[0:3], 0 offset:84
	;; [unrolled: 1-line block ×4, first 2 shown]
	s_waitcnt vmcnt(4)
	ds_write_b128 v1, v[2:5]
.LBB47_293:
	s_or_b64 exec, exec, s[4:5]
	s_waitcnt lgkmcnt(0)
	; wave barrier
	s_waitcnt lgkmcnt(0)
	buffer_load_dword v50, off, s[0:3], 0 offset:96
	buffer_load_dword v51, off, s[0:3], 0 offset:100
	;; [unrolled: 1-line block ×54, first 2 shown]
	v_mov_b32_e32 v1, 0
	ds_read_b128 v[102:105], v1 offset:848
	ds_read_b128 v[106:109], v1 offset:864
	ds_read_b128 v[110:113], v1 offset:880
	ds_read_b128 v[114:117], v1 offset:896
	ds_read_b128 v[204:207], v1 offset:912
	ds_read_b128 v[208:211], v1 offset:928
	ds_read_b128 v[234:237], v1 offset:944
	ds_read_b128 v[238:241], v1 offset:960
	ds_read_b128 v[242:245], v1 offset:976
	v_accvgpr_read_b32 v0, a143
	v_cmp_lt_u32_e32 vcc, 3, v0
	s_waitcnt vmcnt(46) lgkmcnt(7)
	v_mul_f64 v[4:5], v[106:107], v[58:59]
	v_fmac_f64_e32 v[4:5], v[108:109], v[52:53]
	s_waitcnt vmcnt(44) lgkmcnt(6)
	v_mul_f64 v[6:7], v[110:111], v[214:215]
	s_waitcnt vmcnt(42) lgkmcnt(4)
	v_mul_f64 v[10:11], v[204:205], v[62:63]
	s_waitcnt vmcnt(40)
	v_fmac_f64_e32 v[10:11], v[206:207], v[60:61]
	s_waitcnt vmcnt(38)
	v_mul_f64 v[8:9], v[114:115], v[64:65]
	s_waitcnt vmcnt(36) lgkmcnt(2)
	v_mul_f64 v[14:15], v[234:235], v[66:67]
	s_waitcnt vmcnt(34)
	v_fmac_f64_e32 v[14:15], v[236:237], v[70:71]
	s_waitcnt vmcnt(32)
	;; [unrolled: 6-line block ×3, first 2 shown]
	v_fmac_f64_e32 v[8:9], v[116:117], v[80:81]
	s_waitcnt vmcnt(24)
	v_fmac_f64_e32 v[12:13], v[210:211], v[78:79]
	s_waitcnt vmcnt(22)
	v_fmac_f64_e32 v[16:17], v[240:241], v[72:73]
	s_waitcnt vmcnt(0)
	v_pk_mov_b32 v[18:19], v[2:3], v[2:3] op_sel:[0,1]
	v_mul_f64 v[2:3], v[102:103], v[56:57]
	v_fmac_f64_e32 v[2:3], v[104:105], v[50:51]
	v_add_f64 v[2:3], v[2:3], 0
	v_add_f64 v[2:3], v[2:3], v[4:5]
	buffer_load_dword v5, off, s[0:3], 0 offset:324
	buffer_load_dword v4, off, s[0:3], 0 offset:320
	v_add_f64 v[2:3], v[2:3], v[6:7]
	v_add_f64 v[2:3], v[2:3], v[8:9]
	;; [unrolled: 1-line block ×5, first 2 shown]
	s_waitcnt lgkmcnt(0)
	v_mul_f64 v[6:7], v[242:243], v[74:75]
	v_add_f64 v[2:3], v[2:3], v[16:17]
	v_fmac_f64_e32 v[6:7], v[244:245], v[84:85]
	v_add_f64 v[2:3], v[2:3], v[6:7]
	v_accvgpr_write_b32 a147, v19
	v_accvgpr_write_b32 a146, v18
	v_mul_f64 v[74:75], v[244:245], v[74:75]
	s_waitcnt vmcnt(0)
	v_pk_mov_b32 v[12:13], v[4:5], v[4:5] op_sel:[0,1]
	buffer_load_dword v55, off, s[0:3], 0 offset:316
	buffer_load_dword v54, off, s[0:3], 0 offset:312
	buffer_load_dword v201, off, s[0:3], 0 offset:308
	buffer_load_dword v200, off, s[0:3], 0 offset:304
	buffer_load_dword v5, off, s[0:3], 0 offset:364
	buffer_load_dword v4, off, s[0:3], 0 offset:360
	v_accvgpr_write_b32 a149, v13
	v_accvgpr_write_b32 a148, v12
	s_waitcnt vmcnt(0)
	v_pk_mov_b32 v[20:21], v[4:5], v[4:5] op_sel:[0,1]
	buffer_load_dword v5, off, s[0:3], 0 offset:356
	buffer_load_dword v4, off, s[0:3], 0 offset:352
	;; [unrolled: 1-line block ×54, first 2 shown]
	ds_read_b128 v[246:249], v1 offset:992
	ds_read_b128 v[250:253], v1 offset:1008
	;; [unrolled: 1-line block ×6, first 2 shown]
	s_waitcnt lgkmcnt(5)
	v_mul_f64 v[6:7], v[246:247], v[90:91]
	v_fmac_f64_e32 v[6:7], v[248:249], v[92:93]
	v_add_f64 v[2:3], v[2:3], v[6:7]
	s_waitcnt lgkmcnt(4)
	v_mul_f64 v[6:7], v[250:251], v[86:87]
	v_fmac_f64_e32 v[6:7], v[252:253], v[88:89]
	v_add_f64 v[2:3], v[2:3], v[6:7]
	;; [unrolled: 4-line block ×4, first 2 shown]
	s_waitcnt lgkmcnt(1)
	v_mul_f64 v[6:7], v[218:219], v[54:55]
	v_fmac_f64_e32 v[6:7], v[220:221], v[200:201]
	s_waitcnt lgkmcnt(0)
	v_mul_f64 v[10:11], v[126:127], v[18:19]
	v_add_f64 v[2:3], v[2:3], v[6:7]
	ds_read_b128 v[130:133], v1 offset:1088
	v_fmac_f64_e32 v[10:11], v[128:129], v[12:13]
	v_add_f64 v[2:3], v[2:3], v[10:11]
	ds_read_b128 v[10:13], v1 offset:1104
	v_accvgpr_write_b32 a151, v21
	v_accvgpr_write_b32 a150, v20
	s_waitcnt vmcnt(52)
	v_accvgpr_write_b32 a153, v5
	s_waitcnt vmcnt(50) lgkmcnt(1)
	v_mul_f64 v[14:15], v[130:131], v[138:139]
	s_waitcnt lgkmcnt(0)
	v_mul_f64 v[18:19], v[10:11], v[20:21]
	s_waitcnt vmcnt(48)
	v_fmac_f64_e32 v[14:15], v[132:133], v[142:143]
	v_add_f64 v[2:3], v[2:3], v[14:15]
	ds_read_b128 v[14:17], v1 offset:1120
	v_fmac_f64_e32 v[18:19], v[12:13], v[4:5]
	v_add_f64 v[2:3], v[2:3], v[18:19]
	ds_read_b128 v[18:21], v1 offset:1136
	v_accvgpr_write_b32 a152, v4
	s_waitcnt vmcnt(42) lgkmcnt(1)
	v_mul_f64 v[22:23], v[14:15], v[146:147]
	s_waitcnt vmcnt(40)
	v_fmac_f64_e32 v[22:23], v[16:17], v[150:151]
	v_add_f64 v[2:3], v[2:3], v[22:23]
	s_waitcnt lgkmcnt(0)
	v_mul_f64 v[26:27], v[18:19], v[254:255]
	ds_read_b128 v[22:25], v1 offset:1152
	v_fmac_f64_e32 v[26:27], v[20:21], v[212:213]
	v_add_f64 v[2:3], v[2:3], v[26:27]
	ds_read_b128 v[26:29], v1 offset:1168
	v_mul_f64 v[4:5], v[104:105], v[56:57]
	s_waitcnt vmcnt(34) lgkmcnt(1)
	v_mul_f64 v[30:31], v[22:23], v[154:155]
	s_waitcnt vmcnt(32)
	v_fmac_f64_e32 v[30:31], v[24:25], v[158:159]
	v_add_f64 v[2:3], v[2:3], v[30:31]
	s_waitcnt lgkmcnt(0)
	v_mul_f64 v[34:35], v[26:27], v[8:9]
	ds_read_b128 v[30:33], v1 offset:1184
	v_fmac_f64_e32 v[34:35], v[28:29], v[196:197]
	v_add_f64 v[2:3], v[2:3], v[34:35]
	ds_read_b128 v[34:37], v1 offset:1200
	v_mul_f64 v[6:7], v[108:109], v[58:59]
	s_waitcnt vmcnt(26) lgkmcnt(1)
	v_mul_f64 v[38:39], v[30:31], v[162:163]
	s_waitcnt vmcnt(24)
	v_fmac_f64_e32 v[38:39], v[32:33], v[164:165]
	v_add_f64 v[2:3], v[2:3], v[38:39]
	s_waitcnt lgkmcnt(0)
	v_mul_f64 v[42:43], v[34:35], v[134:135]
	v_fmac_f64_e32 v[42:43], v[36:37], v[136:137]
	ds_read_b128 v[38:41], v1 offset:1216
	v_add_f64 v[2:3], v[2:3], v[42:43]
	ds_read_b128 v[42:45], v1 offset:1232
	buffer_load_dword v179, off, s[0:3], 0 offset:588
	buffer_load_dword v181, off, s[0:3], 0 offset:572
	;; [unrolled: 1-line block ×8, first 2 shown]
	v_fma_f64 v[4:5], v[102:103], v[50:51], -v[4:5]
	s_waitcnt vmcnt(26) lgkmcnt(1)
	v_mul_f64 v[46:47], v[38:39], v[166:167]
	s_waitcnt vmcnt(24)
	v_fmac_f64_e32 v[46:47], v[40:41], v[168:169]
	v_add_f64 v[2:3], v[2:3], v[46:47]
	ds_read_b128 v[46:49], v1 offset:1248
	buffer_load_dword v187, off, s[0:3], 0 offset:604
	buffer_load_dword v186, off, s[0:3], 0 offset:600
	buffer_load_dword v189, off, s[0:3], 0 offset:596
	buffer_load_dword v188, off, s[0:3], 0 offset:592
	s_waitcnt lgkmcnt(1)
	v_mul_f64 v[190:191], v[42:43], v[140:141]
	v_fmac_f64_e32 v[190:191], v[44:45], v[144:145]
	v_add_f64 v[2:3], v[2:3], v[190:191]
	buffer_load_dword v191, off, s[0:3], 0 offset:620
	buffer_load_dword v190, off, s[0:3], 0 offset:616
	;; [unrolled: 1-line block ×12, first 2 shown]
	v_fma_f64 v[102:103], v[106:107], v[52:53], -v[6:7]
	v_mul_f64 v[6:7], v[112:113], v[214:215]
	v_fma_f64 v[104:105], v[110:111], v[82:83], -v[6:7]
	buffer_load_dword v215, off, s[0:3], 0 offset:668
	buffer_load_dword v214, off, s[0:3], 0 offset:664
	;; [unrolled: 1-line block ×4, first 2 shown]
	v_mul_f64 v[6:7], v[116:117], v[64:65]
	v_fma_f64 v[106:107], v[114:115], v[80:81], -v[6:7]
	buffer_load_dword v7, off, s[0:3], 0 offset:684
	buffer_load_dword v6, off, s[0:3], 0 offset:680
	buffer_load_dword v223, off, s[0:3], 0 offset:676
	buffer_load_dword v222, off, s[0:3], 0 offset:672
	v_mul_f64 v[50:51], v[206:207], v[62:63]
	buffer_load_dword v207, off, s[0:3], 0 offset:716
	buffer_load_dword v225, off, s[0:3], 0 offset:700
	;; [unrolled: 1-line block ×12, first 2 shown]
	v_fma_f64 v[108:109], v[204:205], v[60:61], -v[50:51]
	ds_read_b128 v[50:53], v1 offset:1264
	v_mul_f64 v[60:61], v[210:211], v[76:77]
	v_fma_f64 v[204:205], v[208:209], v[78:79], -v[60:61]
	ds_read_b128 v[208:211], v1 offset:1280
	s_waitcnt vmcnt(54) lgkmcnt(2)
	v_mul_f64 v[58:59], v[46:47], v[170:171]
	s_waitcnt vmcnt(52)
	v_fmac_f64_e32 v[58:59], v[48:49], v[172:173]
	v_add_f64 v[2:3], v[2:3], v[58:59]
	s_waitcnt lgkmcnt(1)
	v_mul_f64 v[58:59], v[50:51], v[148:149]
	v_fmac_f64_e32 v[58:59], v[52:53], v[152:153]
	v_add_f64 v[2:3], v[2:3], v[58:59]
	s_waitcnt vmcnt(46) lgkmcnt(0)
	v_mul_f64 v[58:59], v[208:209], v[174:175]
	s_waitcnt vmcnt(44)
	v_fmac_f64_e32 v[58:59], v[210:211], v[176:177]
	v_add_f64 v[2:3], v[2:3], v[58:59]
	ds_read_b128 v[58:61], v1 offset:1296
	v_mul_f64 v[62:63], v[236:237], v[66:67]
	v_fma_f64 v[234:235], v[234:235], v[70:71], -v[62:63]
	ds_read_b128 v[62:65], v1 offset:1312
	v_mul_f64 v[66:67], v[240:241], v[68:69]
	v_fma_f64 v[240:241], v[238:239], v[72:73], -v[66:67]
	ds_read_b128 v[66:69], v1 offset:1328
	s_waitcnt lgkmcnt(2)
	v_mul_f64 v[70:71], v[58:59], v[156:157]
	v_fmac_f64_e32 v[70:71], v[60:61], v[160:161]
	v_add_f64 v[2:3], v[2:3], v[70:71]
	v_fma_f64 v[236:237], v[242:243], v[84:85], -v[74:75]
	ds_read_b128 v[74:77], v1 offset:1360
	v_mul_f64 v[78:79], v[248:249], v[90:91]
	v_fma_f64 v[246:247], v[246:247], v[92:93], -v[78:79]
	v_mul_f64 v[86:87], v[252:253], v[86:87]
	v_fma_f64 v[248:249], v[250:251], v[88:89], -v[86:87]
	;; [unrolled: 2-line block ×4, first 2 shown]
	v_accvgpr_write_b32 a155, v55
	v_accvgpr_write_b32 a154, v54
	v_add_f64 v[4:5], v[4:5], 0
	v_add_f64 v[4:5], v[4:5], v[102:103]
	;; [unrolled: 1-line block ×9, first 2 shown]
	ds_read_b128 v[78:81], v1 offset:1376
	v_add_f64 v[4:5], v[4:5], v[246:247]
	v_add_f64 v[4:5], v[4:5], v[248:249]
	v_accvgpr_read_b32 v102, a146
	v_accvgpr_read_b32 v103, a147
	;; [unrolled: 1-line block ×3, first 2 shown]
	v_mul_f64 v[102:103], v[128:129], v[102:103]
	v_accvgpr_read_b32 v105, a149
	s_waitcnt vmcnt(41) lgkmcnt(3)
	v_mul_f64 v[70:71], v[62:63], v[180:181]
	v_fma_f64 v[102:103], v[126:127], v[104:105], -v[102:103]
	s_waitcnt vmcnt(39)
	v_fmac_f64_e32 v[70:71], v[64:65], v[184:185]
	v_add_f64 v[2:3], v[2:3], v[70:71]
	s_waitcnt vmcnt(38) lgkmcnt(2)
	v_mul_f64 v[70:71], v[66:67], v[178:179]
	s_waitcnt vmcnt(36)
	v_fmac_f64_e32 v[70:71], v[68:69], v[182:183]
	v_add_f64 v[2:3], v[2:3], v[70:71]
	ds_read_b128 v[70:73], v1 offset:1344
	ds_read_b128 v[86:89], v1 offset:1408
	v_mul_f64 v[8:9], v[28:29], v[8:9]
	v_fma_f64 v[8:9], v[26:27], v[196:197], -v[8:9]
	ds_read_b128 v[94:97], v1 offset:1440
	s_waitcnt vmcnt(34) lgkmcnt(2)
	v_mul_f64 v[82:83], v[70:71], v[186:187]
	s_waitcnt vmcnt(32)
	v_fmac_f64_e32 v[82:83], v[72:73], v[188:189]
	v_add_f64 v[2:3], v[2:3], v[82:83]
	s_waitcnt vmcnt(30)
	v_mul_f64 v[82:83], v[74:75], v[190:191]
	s_waitcnt vmcnt(28)
	v_fmac_f64_e32 v[82:83], v[76:77], v[194:195]
	v_add_f64 v[2:3], v[2:3], v[82:83]
	s_waitcnt vmcnt(26)
	v_mul_f64 v[82:83], v[78:79], v[192:193]
	s_waitcnt vmcnt(24)
	v_fmac_f64_e32 v[82:83], v[80:81], v[198:199]
	v_add_f64 v[2:3], v[2:3], v[82:83]
	ds_read_b128 v[82:85], v1 offset:1392
	s_waitcnt vmcnt(9) lgkmcnt(1)
	v_mul_f64 v[54:55], v[94:95], v[224:225]
	s_waitcnt vmcnt(7)
	v_fmac_f64_e32 v[54:55], v[96:97], v[230:231]
	s_waitcnt lgkmcnt(0)
	v_mul_f64 v[90:91], v[82:83], v[56:57]
	v_fmac_f64_e32 v[90:91], v[84:85], v[202:203]
	v_add_f64 v[110:111], v[2:3], v[90:91]
	v_mul_f64 v[90:91], v[120:121], v[98:99]
	v_fma_f64 v[252:253], v[118:119], v[100:101], -v[90:91]
	ds_read_b128 v[90:93], v1 offset:1424
	v_mul_f64 v[98:99], v[86:87], v[214:215]
	v_fmac_f64_e32 v[98:99], v[88:89], v[216:217]
	v_add_f64 v[98:99], v[110:111], v[98:99]
	ds_read_b128 v[118:121], v1 offset:1472
	s_waitcnt lgkmcnt(1)
	v_mul_f64 v[100:101], v[90:91], v[6:7]
	v_fmac_f64_e32 v[100:101], v[92:93], v[222:223]
	v_add_f64 v[110:111], v[98:99], v[100:101]
	ds_read_b128 v[98:101], v1 offset:1456
	v_add_f64 v[54:55], v[110:111], v[54:55]
	buffer_load_dword v2, off, s[0:3], 0 offset:744
	v_add_f64 v[4:5], v[4:5], v[252:253]
	v_add_f64 v[252:253], v[4:5], v[250:251]
	s_waitcnt vmcnt(7) lgkmcnt(0)
	v_mul_f64 v[110:111], v[98:99], v[206:207]
	s_waitcnt vmcnt(5)
	v_fmac_f64_e32 v[110:111], v[100:101], v[228:229]
	v_add_f64 v[54:55], v[54:55], v[110:111]
	s_waitcnt vmcnt(3)
	v_mul_f64 v[110:111], v[118:119], v[226:227]
	s_waitcnt vmcnt(1)
	v_fmac_f64_e32 v[110:111], v[120:121], v[232:233]
	v_add_f64 v[110:111], v[54:55], v[110:111]
	buffer_load_dword v54, off, s[0:3], 0 offset:736
	buffer_load_dword v3, off, s[0:3], 0 offset:748
	;; [unrolled: 1-line block ×3, first 2 shown]
	ds_read_b128 v[122:125], v1 offset:1488
	buffer_load_dword v219, off, s[0:3], 0 offset:764
	buffer_load_dword v218, off, s[0:3], 0 offset:760
	;; [unrolled: 1-line block ×4, first 2 shown]
	v_accvgpr_read_b32 v4, a154
	v_accvgpr_read_b32 v5, a155
	v_add_f64 v[4:5], v[252:253], v[4:5]
	v_add_f64 v[4:5], v[4:5], v[102:103]
	v_mul_f64 v[102:103], v[132:133], v[138:139]
	v_fma_f64 v[102:103], v[130:131], v[142:143], -v[102:103]
	v_add_f64 v[4:5], v[4:5], v[102:103]
	v_accvgpr_read_b32 v102, a150
	v_accvgpr_read_b32 v103, a151
	v_mul_f64 v[12:13], v[12:13], v[102:103]
	v_accvgpr_read_b32 v102, a152
	v_accvgpr_read_b32 v103, a153
	v_fma_f64 v[10:11], v[10:11], v[102:103], -v[12:13]
	v_add_f64 v[4:5], v[4:5], v[10:11]
	v_mul_f64 v[10:11], v[16:17], v[146:147]
	v_fma_f64 v[10:11], v[14:15], v[150:151], -v[10:11]
	v_add_f64 v[4:5], v[4:5], v[10:11]
	v_mul_f64 v[10:11], v[20:21], v[254:255]
	;; [unrolled: 3-line block ×3, first 2 shown]
	v_fma_f64 v[10:11], v[22:23], v[158:159], -v[10:11]
	v_add_f64 v[4:5], v[4:5], v[10:11]
	v_add_f64 v[4:5], v[4:5], v[8:9]
	v_mul_f64 v[8:9], v[32:33], v[162:163]
	v_fma_f64 v[8:9], v[30:31], v[164:165], -v[8:9]
	v_add_f64 v[4:5], v[4:5], v[8:9]
	v_mul_f64 v[8:9], v[36:37], v[134:135]
	v_fma_f64 v[8:9], v[34:35], v[136:137], -v[8:9]
	;; [unrolled: 3-line block ×15, first 2 shown]
	v_mul_f64 v[6:7], v[92:93], v[6:7]
	v_add_f64 v[4:5], v[4:5], v[8:9]
	v_fma_f64 v[6:7], v[90:91], v[222:223], -v[6:7]
	v_add_f64 v[4:5], v[4:5], v[6:7]
	v_mul_f64 v[6:7], v[96:97], v[224:225]
	v_fma_f64 v[6:7], v[94:95], v[230:231], -v[6:7]
	v_add_f64 v[4:5], v[4:5], v[6:7]
	v_mul_f64 v[6:7], v[100:101], v[206:207]
	s_waitcnt vmcnt(5) lgkmcnt(0)
	v_mul_f64 v[112:113], v[122:123], v[2:3]
	s_waitcnt vmcnt(4)
	v_fmac_f64_e32 v[112:113], v[124:125], v[54:55]
	v_add_f64 v[114:115], v[110:111], v[112:113]
	ds_read_b128 v[110:113], v1 offset:1504
	buffer_load_dword v242, off, s[0:3], 0 offset:776
	buffer_load_dword v243, off, s[0:3], 0 offset:780
	;; [unrolled: 1-line block ×4, first 2 shown]
	v_fma_f64 v[6:7], v[98:99], v[228:229], -v[6:7]
	v_add_f64 v[4:5], v[4:5], v[6:7]
	v_mul_f64 v[6:7], v[120:121], v[226:227]
	s_waitcnt vmcnt(6) lgkmcnt(0)
	v_mul_f64 v[116:117], v[110:111], v[218:219]
	s_waitcnt vmcnt(4)
	v_fmac_f64_e32 v[116:117], v[112:113], v[238:239]
	v_add_f64 v[200:201], v[114:115], v[116:117]
	ds_read_b128 v[114:117], v1 offset:1520
	buffer_load_dword v248, off, s[0:3], 0 offset:80
	buffer_load_dword v249, off, s[0:3], 0 offset:84
	;; [unrolled: 1-line block ×4, first 2 shown]
	v_fma_f64 v[6:7], v[118:119], v[232:233], -v[6:7]
	v_mul_f64 v[2:3], v[124:125], v[2:3]
	v_add_f64 v[4:5], v[4:5], v[6:7]
	v_fma_f64 v[2:3], v[122:123], v[54:55], -v[2:3]
	v_add_f64 v[2:3], v[4:5], v[2:3]
	v_mul_f64 v[4:5], v[112:113], v[218:219]
	v_fma_f64 v[4:5], v[110:111], v[238:239], -v[4:5]
	v_add_f64 v[2:3], v[2:3], v[4:5]
	s_waitcnt vmcnt(6) lgkmcnt(0)
	v_mul_f64 v[4:5], v[116:117], v[242:243]
	v_mul_f64 v[220:221], v[114:115], v[242:243]
	s_waitcnt vmcnt(4)
	v_fma_f64 v[4:5], v[114:115], v[244:245], -v[4:5]
	v_fmac_f64_e32 v[220:221], v[116:117], v[244:245]
	v_add_f64 v[2:3], v[2:3], v[4:5]
	v_add_f64 v[200:201], v[200:201], v[220:221]
	s_waitcnt vmcnt(2)
	v_add_f64 v[2:3], v[248:249], -v[2:3]
	s_waitcnt vmcnt(0)
	v_add_f64 v[4:5], v[246:247], -v[200:201]
	buffer_store_dword v3, off, s[0:3], 0 offset:84
	buffer_store_dword v2, off, s[0:3], 0 offset:80
	;; [unrolled: 1-line block ×4, first 2 shown]
	s_and_saveexec_b64 s[4:5], vcc
	s_cbranch_execz .LBB47_295
; %bb.294:
	v_accvgpr_read_b32 v0, a140
	buffer_load_dword v2, v0, s[0:3], 0 offen
	buffer_load_dword v3, v0, s[0:3], 0 offen offset:4
	buffer_load_dword v4, v0, s[0:3], 0 offen offset:8
	;; [unrolled: 1-line block ×3, first 2 shown]
	v_accvgpr_read_b32 v0, a144
	buffer_store_dword v1, off, s[0:3], 0 offset:64
	buffer_store_dword v1, off, s[0:3], 0 offset:68
	buffer_store_dword v1, off, s[0:3], 0 offset:72
	buffer_store_dword v1, off, s[0:3], 0 offset:76
	s_waitcnt vmcnt(4)
	ds_write_b128 v0, v[2:5]
.LBB47_295:
	s_or_b64 exec, exec, s[4:5]
	s_waitcnt lgkmcnt(0)
	; wave barrier
	s_waitcnt lgkmcnt(0)
	buffer_load_dword v184, off, s[0:3], 0 offset:80
	buffer_load_dword v185, off, s[0:3], 0 offset:84
	;; [unrolled: 1-line block ×36, first 2 shown]
	ds_read_b128 v[82:85], v1 offset:832
	ds_read_b128 v[78:81], v1 offset:848
	ds_read_b128 v[74:77], v1 offset:864
	ds_read_b128 v[70:73], v1 offset:880
	ds_read_b128 v[62:65], v1 offset:896
	ds_read_b128 v[50:53], v1 offset:912
	ds_read_b128 v[54:57], v1 offset:928
	ds_read_b128 v[58:61], v1 offset:944
	ds_read_b128 v[66:69], v1 offset:960
	buffer_load_dword v235, off, s[0:3], 0 offset:252
	buffer_load_dword v234, off, s[0:3], 0 offset:248
	;; [unrolled: 1-line block ×19, first 2 shown]
	s_waitcnt vmcnt(51) lgkmcnt(8)
	v_mul_f64 v[2:3], v[82:83], v[192:193]
	v_fmac_f64_e32 v[2:3], v[84:85], v[184:185]
	v_add_f64 v[2:3], v[2:3], 0
	s_waitcnt vmcnt(47) lgkmcnt(7)
	v_mul_f64 v[4:5], v[78:79], v[198:199]
	v_fmac_f64_e32 v[4:5], v[80:81], v[194:195]
	v_add_f64 v[2:3], v[2:3], v[4:5]
	buffer_load_dword v244, off, s[0:3], 0 offset:304
	buffer_load_dword v99, off, s[0:3], 0 offset:300
	;; [unrolled: 1-line block ×7, first 2 shown]
	s_waitcnt vmcnt(52) lgkmcnt(6)
	v_mul_f64 v[6:7], v[74:75], v[202:203]
	s_waitcnt vmcnt(50) lgkmcnt(4)
	v_mul_f64 v[10:11], v[62:63], v[222:223]
	s_waitcnt vmcnt(48)
	v_fmac_f64_e32 v[10:11], v[64:65], v[224:225]
	v_mul_f64 v[80:81], v[80:81], v[198:199]
	s_waitcnt vmcnt(46)
	v_mul_f64 v[8:9], v[70:71], v[214:215]
	v_fma_f64 v[78:79], v[78:79], v[194:195], -v[80:81]
	s_waitcnt vmcnt(44) lgkmcnt(2)
	v_mul_f64 v[14:15], v[54:55], v[104:105]
	v_mul_f64 v[64:65], v[64:65], v[222:223]
	s_waitcnt vmcnt(42)
	v_fmac_f64_e32 v[14:15], v[56:57], v[108:109]
	v_fma_f64 v[222:223], v[62:63], v[224:225], -v[64:65]
	s_waitcnt vmcnt(40)
	v_mul_f64 v[12:13], v[50:51], v[112:113]
	s_waitcnt vmcnt(38) lgkmcnt(1)
	v_mul_f64 v[16:17], v[58:59], v[106:107]
	s_waitcnt vmcnt(36)
	v_fmac_f64_e32 v[6:7], v[76:77], v[200:201]
	v_add_f64 v[2:3], v[2:3], v[6:7]
	s_waitcnt vmcnt(34)
	v_fmac_f64_e32 v[8:9], v[72:73], v[116:117]
	v_add_f64 v[2:3], v[2:3], v[8:9]
	;; [unrolled: 3-line block ×3, first 2 shown]
	v_add_f64 v[2:3], v[2:3], v[12:13]
	s_waitcnt vmcnt(30)
	v_fmac_f64_e32 v[16:17], v[60:61], v[110:111]
	v_add_f64 v[2:3], v[2:3], v[14:15]
	v_add_f64 v[2:3], v[2:3], v[16:17]
	v_mul_f64 v[76:77], v[76:77], v[202:203]
	v_fma_f64 v[80:81], v[74:75], v[200:201], -v[76:77]
	v_mul_f64 v[72:73], v[72:73], v[214:215]
	v_mul_f64 v[52:53], v[52:53], v[112:113]
	v_mul_f64 v[60:61], v[60:61], v[106:107]
	v_fma_f64 v[116:117], v[70:71], v[116:117], -v[72:73]
	s_waitcnt vmcnt(0)
	v_pk_mov_b32 v[18:19], v[4:5], v[4:5] op_sel:[0,1]
	buffer_load_dword v5, off, s[0:3], 0 offset:340
	buffer_load_dword v4, off, s[0:3], 0 offset:336
	v_accvgpr_write_b32 a147, v19
	v_accvgpr_write_b32 a146, v18
	s_waitcnt vmcnt(0)
	v_pk_mov_b32 v[20:21], v[4:5], v[4:5] op_sel:[0,1]
	buffer_load_dword v135, off, s[0:3], 0 offset:332
	buffer_load_dword v134, off, s[0:3], 0 offset:328
	;; [unrolled: 1-line block ×6, first 2 shown]
	v_accvgpr_write_b32 a149, v21
	v_accvgpr_write_b32 a148, v20
	s_waitcnt vmcnt(0)
	v_pk_mov_b32 v[26:27], v[4:5], v[4:5] op_sel:[0,1]
	buffer_load_dword v5, off, s[0:3], 0 offset:372
	buffer_load_dword v4, off, s[0:3], 0 offset:368
	v_accvgpr_write_b32 a151, v27
	v_accvgpr_write_b32 a150, v26
	s_waitcnt vmcnt(0)
	v_pk_mov_b32 v[28:29], v[4:5], v[4:5] op_sel:[0,1]
	buffer_load_dword v143, off, s[0:3], 0 offset:364
	buffer_load_dword v142, off, s[0:3], 0 offset:360
	;; [unrolled: 1-line block ×6, first 2 shown]
	v_accvgpr_write_b32 a153, v29
	v_accvgpr_write_b32 a152, v28
	s_waitcnt vmcnt(0)
	v_pk_mov_b32 v[34:35], v[4:5], v[4:5] op_sel:[0,1]
	buffer_load_dword v5, off, s[0:3], 0 offset:404
	buffer_load_dword v4, off, s[0:3], 0 offset:400
	;; [unrolled: 1-line block ×38, first 2 shown]
	ds_read_b128 v[206:209], v1 offset:976
	ds_read_b128 v[210:213], v1 offset:992
	;; [unrolled: 1-line block ×9, first 2 shown]
	v_accvgpr_write_b32 a155, v35
	s_waitcnt lgkmcnt(3)
	v_mul_f64 v[8:9], v[94:95], v[242:243]
	v_fmac_f64_e32 v[8:9], v[96:97], v[244:245]
	s_waitcnt lgkmcnt(2)
	v_mul_f64 v[12:13], v[130:131], v[134:135]
	v_fmac_f64_e32 v[12:13], v[132:133], v[138:139]
	;; [unrolled: 3-line block ×3, first 2 shown]
	v_accvgpr_write_b32 a154, v34
	v_mul_f64 v[70:71], v[208:209], v[238:239]
	v_mul_f64 v[96:97], v[96:97], v[242:243]
	s_waitcnt vmcnt(36)
	v_pk_mov_b32 v[36:37], v[4:5], v[4:5] op_sel:[0,1]
	v_mul_f64 v[4:5], v[66:67], v[102:103]
	v_fmac_f64_e32 v[4:5], v[68:69], v[204:205]
	v_add_f64 v[2:3], v[2:3], v[4:5]
	v_mul_f64 v[4:5], v[206:207], v[238:239]
	v_fmac_f64_e32 v[4:5], v[208:209], v[240:241]
	v_add_f64 v[2:3], v[2:3], v[4:5]
	;; [unrolled: 3-line block ×6, first 2 shown]
	v_add_f64 v[10:11], v[6:7], v[8:9]
	v_add_f64 v[14:15], v[10:11], v[12:13]
	;; [unrolled: 1-line block ×3, first 2 shown]
	ds_read_b128 v[14:17], v1 offset:1120
	s_waitcnt lgkmcnt(1)
	v_mul_f64 v[20:21], v[122:123], v[142:143]
	v_fmac_f64_e32 v[20:21], v[124:125], v[146:147]
	v_add_f64 v[22:23], v[18:19], v[20:21]
	ds_read_b128 v[18:21], v1 offset:1136
	s_waitcnt lgkmcnt(1)
	v_mul_f64 v[24:25], v[14:15], v[26:27]
	v_fmac_f64_e32 v[24:25], v[16:17], v[28:29]
	v_add_f64 v[26:27], v[22:23], v[24:25]
	ds_read_b128 v[22:25], v1 offset:1152
	s_waitcnt vmcnt(34) lgkmcnt(1)
	v_mul_f64 v[28:29], v[18:19], v[150:151]
	s_waitcnt vmcnt(32)
	v_fmac_f64_e32 v[28:29], v[20:21], v[154:155]
	v_add_f64 v[30:31], v[26:27], v[28:29]
	ds_read_b128 v[26:29], v1 offset:1168
	s_waitcnt lgkmcnt(1)
	v_mul_f64 v[32:33], v[22:23], v[34:35]
	v_fmac_f64_e32 v[32:33], v[24:25], v[36:37]
	v_accvgpr_write_b32 a157, v37
	v_accvgpr_write_b32 a156, v36
	v_add_f64 v[34:35], v[30:31], v[32:33]
	ds_read_b128 v[30:33], v1 offset:1184
	s_waitcnt vmcnt(26) lgkmcnt(1)
	v_mul_f64 v[36:37], v[26:27], v[158:159]
	s_waitcnt vmcnt(24)
	v_fmac_f64_e32 v[36:37], v[28:29], v[160:161]
	v_add_f64 v[38:39], v[34:35], v[36:37]
	ds_read_b128 v[34:37], v1 offset:1200
	s_waitcnt lgkmcnt(1)
	v_mul_f64 v[40:41], v[30:31], v[196:197]
	v_fmac_f64_e32 v[40:41], v[32:33], v[254:255]
	v_add_f64 v[42:43], v[38:39], v[40:41]
	ds_read_b128 v[38:41], v1 offset:1216
	s_waitcnt vmcnt(18) lgkmcnt(1)
	v_mul_f64 v[44:45], v[34:35], v[162:163]
	s_waitcnt vmcnt(16)
	v_fmac_f64_e32 v[44:45], v[36:37], v[164:165]
	v_add_f64 v[46:47], v[42:43], v[44:45]
	ds_read_b128 v[42:45], v1 offset:1232
	buffer_load_dword v175, off, s[0:3], 0 offset:556
	buffer_load_dword v174, off, s[0:3], 0 offset:552
	;; [unrolled: 1-line block ×4, first 2 shown]
	s_waitcnt lgkmcnt(1)
	v_mul_f64 v[48:49], v[38:39], v[136:137]
	v_fmac_f64_e32 v[48:49], v[40:41], v[140:141]
	v_add_f64 v[178:179], v[46:47], v[48:49]
	ds_read_b128 v[46:49], v1 offset:1248
	buffer_load_dword v181, off, s[0:3], 0 offset:572
	buffer_load_dword v180, off, s[0:3], 0 offset:568
	;; [unrolled: 1-line block ×4, first 2 shown]
	s_waitcnt vmcnt(18) lgkmcnt(1)
	v_mul_f64 v[186:187], v[42:43], v[166:167]
	s_waitcnt vmcnt(16)
	v_fmac_f64_e32 v[186:187], v[44:45], v[168:169]
	v_add_f64 v[2:3], v[178:179], v[186:187]
	buffer_load_dword v179, off, s[0:3], 0 offset:604
	buffer_load_dword v187, off, s[0:3], 0 offset:588
	;; [unrolled: 1-line block ×8, first 2 shown]
	v_mul_f64 v[4:5], v[84:85], v[192:193]
	v_fma_f64 v[10:11], v[82:83], v[184:185], -v[4:5]
	buffer_load_dword v184, off, s[0:3], 0 offset:632
	buffer_load_dword v193, off, s[0:3], 0 offset:620
	;; [unrolled: 1-line block ×20, first 2 shown]
	s_waitcnt lgkmcnt(0)
	v_mul_f64 v[8:9], v[46:47], v[144:145]
	v_fmac_f64_e32 v[8:9], v[48:49], v[148:149]
	v_fma_f64 v[6:7], v[50:51], v[114:115], -v[52:53]
	buffer_load_dword v225, off, s[0:3], 0 offset:700
	buffer_load_dword v224, off, s[0:3], 0 offset:696
	;; [unrolled: 1-line block ×12, first 2 shown]
	v_add_f64 v[2:3], v[2:3], v[8:9]
	ds_read_b128 v[50:53], v1 offset:1264
	v_mul_f64 v[8:9], v[56:57], v[104:105]
	v_fma_f64 v[8:9], v[54:55], v[108:109], -v[8:9]
	ds_read_b128 v[54:57], v1 offset:1280
	v_fma_f64 v[4:5], v[58:59], v[110:111], -v[60:61]
	ds_read_b128 v[58:61], v1 offset:1296
	s_waitcnt vmcnt(50) lgkmcnt(2)
	v_mul_f64 v[62:63], v[50:51], v[170:171]
	s_waitcnt vmcnt(48)
	v_fmac_f64_e32 v[62:63], v[52:53], v[172:173]
	s_waitcnt lgkmcnt(1)
	v_mul_f64 v[12:13], v[54:55], v[152:153]
	v_add_f64 v[2:3], v[2:3], v[62:63]
	ds_read_b128 v[62:65], v1 offset:1312
	v_fmac_f64_e32 v[12:13], v[56:57], v[156:157]
	v_add_f64 v[2:3], v[2:3], v[12:13]
	v_fma_f64 v[240:241], v[206:207], v[240:241], -v[70:71]
	v_mul_f64 v[82:83], v[212:213], v[234:235]
	v_mul_f64 v[88:89], v[88:89], v[246:247]
	v_fma_f64 v[246:247], v[86:87], v[248:249], -v[88:89]
	ds_read_b128 v[86:89], v1 offset:1424
	v_mul_f64 v[92:93], v[92:93], v[98:99]
	v_add_f64 v[10:11], v[10:11], 0
	v_add_f64 v[10:11], v[10:11], v[78:79]
	;; [unrolled: 1-line block ×8, first 2 shown]
	v_mul_f64 v[6:7], v[132:133], v[134:135]
	v_fma_f64 v[6:7], v[130:131], v[138:139], -v[6:7]
	ds_read_b128 v[70:73], v1 offset:1344
	ds_read_b128 v[206:209], v1 offset:1408
	s_waitcnt vmcnt(46) lgkmcnt(4)
	v_mul_f64 v[12:13], v[58:59], v[174:175]
	s_waitcnt vmcnt(44)
	v_fmac_f64_e32 v[12:13], v[60:61], v[176:177]
	v_add_f64 v[2:3], v[2:3], v[12:13]
	v_mul_f64 v[12:13], v[68:69], v[102:103]
	v_fma_f64 v[12:13], v[66:67], v[204:205], -v[12:13]
	ds_read_b128 v[66:69], v1 offset:1328
	s_waitcnt vmcnt(42) lgkmcnt(4)
	v_mul_f64 v[74:75], v[62:63], v[180:181]
	s_waitcnt vmcnt(40)
	v_fmac_f64_e32 v[74:75], v[64:65], v[182:183]
	v_add_f64 v[2:3], v[2:3], v[74:75]
	v_fma_f64 v[204:205], v[210:211], v[236:237], -v[82:83]
	s_waitcnt vmcnt(37) lgkmcnt(0)
	v_mul_f64 v[74:75], v[66:67], v[186:187]
	s_waitcnt vmcnt(35)
	v_fmac_f64_e32 v[74:75], v[68:69], v[190:191]
	v_add_f64 v[2:3], v[2:3], v[74:75]
	s_waitcnt vmcnt(34)
	v_mul_f64 v[74:75], v[70:71], v[178:179]
	s_waitcnt vmcnt(32)
	v_fmac_f64_e32 v[74:75], v[72:73], v[188:189]
	v_add_f64 v[2:3], v[2:3], v[74:75]
	ds_read_b128 v[74:77], v1 offset:1360
	ds_read_b128 v[210:213], v1 offset:1376
	v_add_f64 v[4:5], v[4:5], v[12:13]
	v_add_f64 v[4:5], v[4:5], v[240:241]
	;; [unrolled: 1-line block ×3, first 2 shown]
	s_waitcnt vmcnt(29) lgkmcnt(1)
	v_mul_f64 v[82:83], v[74:75], v[192:193]
	s_waitcnt vmcnt(27)
	v_fmac_f64_e32 v[82:83], v[76:77], v[198:199]
	v_add_f64 v[2:3], v[2:3], v[82:83]
	v_mul_f64 v[82:83], v[120:121], v[250:251]
	v_fma_f64 v[118:119], v[118:119], v[252:253], -v[82:83]
	ds_read_b128 v[82:85], v1 offset:1392
	s_waitcnt vmcnt(25) lgkmcnt(1)
	v_mul_f64 v[102:103], v[210:211], v[184:185]
	s_waitcnt vmcnt(24)
	v_fmac_f64_e32 v[102:103], v[212:213], v[194:195]
	v_add_f64 v[2:3], v[2:3], v[102:103]
	v_fma_f64 v[250:251], v[90:91], v[100:101], -v[92:93]
	s_waitcnt vmcnt(21) lgkmcnt(0)
	v_mul_f64 v[102:103], v[82:83], v[202:203]
	s_waitcnt vmcnt(19)
	v_fmac_f64_e32 v[102:103], v[84:85], v[218:219]
	v_add_f64 v[2:3], v[2:3], v[102:103]
	s_waitcnt vmcnt(18)
	v_mul_f64 v[102:103], v[206:207], v[200:201]
	s_waitcnt vmcnt(16)
	v_fmac_f64_e32 v[102:103], v[208:209], v[216:217]
	v_add_f64 v[2:3], v[2:3], v[102:103]
	ds_read_b128 v[98:101], v1 offset:1440
	s_waitcnt vmcnt(14)
	v_mul_f64 v[102:103], v[86:87], v[214:215]
	s_waitcnt vmcnt(12)
	v_fmac_f64_e32 v[102:103], v[88:89], v[220:221]
	v_add_f64 v[2:3], v[2:3], v[102:103]
	ds_read_b128 v[90:93], v1 offset:1456
	ds_read_b128 v[102:105], v1 offset:1472
	buffer_load_dword v121, off, s[0:3], 0 offset:748
	buffer_load_dword v120, off, s[0:3], 0 offset:744
	;; [unrolled: 1-line block ×4, first 2 shown]
	ds_read_b128 v[106:109], v1 offset:1488
	buffer_load_dword v236, off, s[0:3], 0 offset:760
	buffer_load_dword v237, off, s[0:3], 0 offset:764
	;; [unrolled: 1-line block ×4, first 2 shown]
	v_fma_f64 v[252:253], v[94:95], v[244:245], -v[96:97]
	ds_read_b128 v[110:113], v1 offset:1504
	buffer_load_dword v243, off, s[0:3], 0 offset:780
	buffer_load_dword v242, off, s[0:3], 0 offset:776
	;; [unrolled: 1-line block ×4, first 2 shown]
	s_waitcnt vmcnt(22) lgkmcnt(4)
	v_mul_f64 v[94:95], v[98:99], v[224:225]
	s_waitcnt vmcnt(20)
	v_fmac_f64_e32 v[94:95], v[100:101], v[226:227]
	v_add_f64 v[2:3], v[2:3], v[94:95]
	s_waitcnt vmcnt(17) lgkmcnt(3)
	v_mul_f64 v[94:95], v[90:91], v[230:231]
	s_waitcnt vmcnt(15)
	v_fmac_f64_e32 v[94:95], v[92:93], v[232:233]
	v_add_f64 v[2:3], v[2:3], v[94:95]
	;; [unrolled: 5-line block ×3, first 2 shown]
	v_add_f64 v[4:5], v[4:5], v[118:119]
	v_add_f64 v[118:119], v[4:5], v[246:247]
	;; [unrolled: 1-line block ×5, first 2 shown]
	s_waitcnt vmcnt(10) lgkmcnt(1)
	v_mul_f64 v[94:95], v[106:107], v[120:121]
	s_waitcnt vmcnt(8)
	v_fmac_f64_e32 v[94:95], v[108:109], v[234:235]
	v_add_f64 v[2:3], v[2:3], v[94:95]
	s_waitcnt vmcnt(6) lgkmcnt(0)
	v_mul_f64 v[94:95], v[110:111], v[236:237]
	s_waitcnt vmcnt(4)
	v_fmac_f64_e32 v[94:95], v[112:113], v[238:239]
	v_add_f64 v[2:3], v[2:3], v[94:95]
	ds_read_b128 v[94:97], v1 offset:1520
	v_accvgpr_read_b32 v0, a146
	v_accvgpr_read_b32 v1, a147
	v_mul_f64 v[6:7], v[128:129], v[0:1]
	v_accvgpr_read_b32 v0, a148
	s_waitcnt vmcnt(2) lgkmcnt(0)
	v_mul_f64 v[248:249], v[94:95], v[242:243]
	s_waitcnt vmcnt(0)
	v_fmac_f64_e32 v[248:249], v[96:97], v[244:245]
	v_add_f64 v[2:3], v[2:3], v[248:249]
	buffer_load_dword v248, off, s[0:3], 0 offset:64
	buffer_load_dword v249, off, s[0:3], 0 offset:68
	;; [unrolled: 1-line block ×4, first 2 shown]
	v_accvgpr_read_b32 v1, a149
	v_fma_f64 v[6:7], v[126:127], v[0:1], -v[6:7]
	v_add_f64 v[4:5], v[4:5], v[6:7]
	v_mul_f64 v[6:7], v[124:125], v[142:143]
	v_accvgpr_read_b32 v0, a150
	v_fma_f64 v[6:7], v[122:123], v[146:147], -v[6:7]
	v_accvgpr_read_b32 v1, a151
	v_add_f64 v[4:5], v[4:5], v[6:7]
	v_mul_f64 v[6:7], v[16:17], v[0:1]
	v_accvgpr_read_b32 v0, a152
	v_accvgpr_read_b32 v1, a153
	v_fma_f64 v[6:7], v[14:15], v[0:1], -v[6:7]
	v_add_f64 v[4:5], v[4:5], v[6:7]
	v_mul_f64 v[6:7], v[20:21], v[150:151]
	v_accvgpr_read_b32 v0, a154
	v_fma_f64 v[6:7], v[18:19], v[154:155], -v[6:7]
	v_accvgpr_read_b32 v1, a155
	v_add_f64 v[4:5], v[4:5], v[6:7]
	v_mul_f64 v[6:7], v[24:25], v[0:1]
	v_accvgpr_read_b32 v0, a156
	v_accvgpr_read_b32 v1, a157
	v_fma_f64 v[6:7], v[22:23], v[0:1], -v[6:7]
	v_add_f64 v[4:5], v[4:5], v[6:7]
	v_mul_f64 v[6:7], v[28:29], v[158:159]
	v_fma_f64 v[6:7], v[26:27], v[160:161], -v[6:7]
	v_add_f64 v[4:5], v[4:5], v[6:7]
	v_mul_f64 v[6:7], v[32:33], v[196:197]
	;; [unrolled: 3-line block ×23, first 2 shown]
	v_fma_f64 v[6:7], v[94:95], v[244:245], -v[6:7]
	v_add_f64 v[4:5], v[4:5], v[6:7]
	v_accvgpr_read_b32 v0, a143
	s_waitcnt vmcnt(2)
	v_add_f64 v[4:5], v[248:249], -v[4:5]
	v_cmp_lt_u32_e32 vcc, 2, v0
	s_waitcnt vmcnt(0)
	v_add_f64 v[2:3], v[246:247], -v[2:3]
	buffer_store_dword v5, off, s[0:3], 0 offset:68
	buffer_store_dword v4, off, s[0:3], 0 offset:64
	buffer_store_dword v3, off, s[0:3], 0 offset:76
	buffer_store_dword v2, off, s[0:3], 0 offset:72
	s_and_saveexec_b64 s[4:5], vcc
	s_cbranch_execz .LBB47_297
; %bb.296:
	v_accvgpr_read_b32 v0, a141
	buffer_load_dword v2, v0, s[0:3], 0 offen
	buffer_load_dword v3, v0, s[0:3], 0 offen offset:4
	buffer_load_dword v4, v0, s[0:3], 0 offen offset:8
	;; [unrolled: 1-line block ×3, first 2 shown]
	v_mov_b32_e32 v0, 0
	v_accvgpr_read_b32 v1, a144
	buffer_store_dword v0, off, s[0:3], 0 offset:48
	buffer_store_dword v0, off, s[0:3], 0 offset:52
	;; [unrolled: 1-line block ×4, first 2 shown]
	s_waitcnt vmcnt(4)
	ds_write_b128 v1, v[2:5]
.LBB47_297:
	s_or_b64 exec, exec, s[4:5]
	s_waitcnt lgkmcnt(0)
	; wave barrier
	s_waitcnt lgkmcnt(0)
	buffer_load_dword v56, off, s[0:3], 0 offset:64
	buffer_load_dword v57, off, s[0:3], 0 offset:68
	;; [unrolled: 1-line block ×36, first 2 shown]
	v_mov_b32_e32 v128, 0
	buffer_load_dword v87, off, s[0:3], 0 offset:236
	buffer_load_dword v86, off, s[0:3], 0 offset:232
	;; [unrolled: 1-line block ×18, first 2 shown]
	ds_read_b128 v[110:113], v128 offset:816
	ds_read_b128 v[114:117], v128 offset:832
	;; [unrolled: 1-line block ×9, first 2 shown]
	s_waitcnt vmcnt(50) lgkmcnt(8)
	v_mul_f64 v[2:3], v[110:111], v[58:59]
	v_fmac_f64_e32 v[2:3], v[112:113], v[56:57]
	v_add_f64 v[2:3], v[2:3], 0
	s_waitcnt vmcnt(46) lgkmcnt(7)
	v_mul_f64 v[4:5], v[114:115], v[54:55]
	v_fmac_f64_e32 v[4:5], v[116:117], v[52:53]
	v_add_f64 v[2:3], v[2:3], v[4:5]
	buffer_load_dword v105, off, s[0:3], 0 offset:292
	buffer_load_dword v104, off, s[0:3], 0 offset:288
	;; [unrolled: 1-line block ×8, first 2 shown]
	s_waitcnt vmcnt(52) lgkmcnt(6)
	v_mul_f64 v[6:7], v[194:195], v[50:51]
	s_waitcnt vmcnt(50) lgkmcnt(4)
	v_mul_f64 v[10:11], v[202:203], v[60:61]
	s_waitcnt vmcnt(48)
	v_fmac_f64_e32 v[10:11], v[204:205], v[62:63]
	v_mul_f64 v[50:51], v[196:197], v[50:51]
	s_waitcnt vmcnt(46)
	v_mul_f64 v[8:9], v[198:199], v[64:65]
	v_mul_f64 v[54:55], v[116:117], v[54:55]
	s_waitcnt vmcnt(44) lgkmcnt(2)
	v_mul_f64 v[14:15], v[210:211], v[74:75]
	s_waitcnt vmcnt(42)
	v_fmac_f64_e32 v[14:15], v[212:213], v[72:73]
	s_waitcnt vmcnt(40)
	v_mul_f64 v[12:13], v[206:207], v[76:77]
	s_waitcnt vmcnt(38) lgkmcnt(1)
	v_mul_f64 v[16:17], v[232:233], v[68:69]
	s_waitcnt vmcnt(36)
	v_fmac_f64_e32 v[6:7], v[196:197], v[82:83]
	v_add_f64 v[2:3], v[2:3], v[6:7]
	s_waitcnt vmcnt(34)
	v_fmac_f64_e32 v[8:9], v[200:201], v[80:81]
	v_add_f64 v[2:3], v[2:3], v[8:9]
	;; [unrolled: 3-line block ×3, first 2 shown]
	v_add_f64 v[2:3], v[2:3], v[12:13]
	v_add_f64 v[2:3], v[2:3], v[14:15]
	s_waitcnt vmcnt(30)
	v_fmac_f64_e32 v[16:17], v[234:235], v[70:71]
	v_add_f64 v[2:3], v[2:3], v[16:17]
	s_waitcnt vmcnt(0)
	v_pk_mov_b32 v[14:15], v[4:5], v[4:5] op_sel:[0,1]
	buffer_load_dword v5, off, s[0:3], 0 offset:324
	buffer_load_dword v4, off, s[0:3], 0 offset:320
	v_accvgpr_write_b32 a147, v15
	v_accvgpr_write_b32 a146, v14
	s_waitcnt vmcnt(0)
	v_pk_mov_b32 v[18:19], v[4:5], v[4:5] op_sel:[0,1]
	buffer_load_dword v107, off, s[0:3], 0 offset:316
	buffer_load_dword v106, off, s[0:3], 0 offset:312
	buffer_load_dword v109, off, s[0:3], 0 offset:308
	buffer_load_dword v108, off, s[0:3], 0 offset:304
	buffer_load_dword v5, off, s[0:3], 0 offset:364
	buffer_load_dword v4, off, s[0:3], 0 offset:360
	v_accvgpr_write_b32 a149, v19
	v_accvgpr_write_b32 a148, v18
	s_waitcnt vmcnt(0)
	v_pk_mov_b32 v[22:23], v[4:5], v[4:5] op_sel:[0,1]
	buffer_load_dword v5, off, s[0:3], 0 offset:356
	buffer_load_dword v4, off, s[0:3], 0 offset:352
	v_accvgpr_write_b32 a151, v23
	v_accvgpr_write_b32 a150, v22
	s_waitcnt vmcnt(0)
	v_pk_mov_b32 v[24:25], v[4:5], v[4:5] op_sel:[0,1]
	buffer_load_dword v139, off, s[0:3], 0 offset:348
	buffer_load_dword v138, off, s[0:3], 0 offset:344
	buffer_load_dword v143, off, s[0:3], 0 offset:340
	buffer_load_dword v142, off, s[0:3], 0 offset:336
	buffer_load_dword v5, off, s[0:3], 0 offset:396
	buffer_load_dword v4, off, s[0:3], 0 offset:392
	v_accvgpr_write_b32 a153, v25
	v_accvgpr_write_b32 a152, v24
	;; [unrolled: 16-line block ×3, first 2 shown]
	s_waitcnt vmcnt(0)
	v_pk_mov_b32 v[38:39], v[4:5], v[4:5] op_sel:[0,1]
	buffer_load_dword v5, off, s[0:3], 0 offset:420
	buffer_load_dword v4, off, s[0:3], 0 offset:416
	;; [unrolled: 1-line block ×30, first 2 shown]
	ds_read_b128 v[240:243], v128 offset:960
	ds_read_b128 v[244:247], v128 offset:976
	;; [unrolled: 1-line block ×10, first 2 shown]
	v_accvgpr_write_b32 a159, v39
	s_waitcnt lgkmcnt(3)
	v_mul_f64 v[8:9], v[226:227], v[106:107]
	v_fmac_f64_e32 v[8:9], v[228:229], v[108:109]
	s_waitcnt lgkmcnt(2)
	v_mul_f64 v[12:13], v[130:131], v[14:15]
	v_fmac_f64_e32 v[12:13], v[132:133], v[18:19]
	;; [unrolled: 3-line block ×4, first 2 shown]
	v_accvgpr_write_b32 a158, v38
	s_waitcnt vmcnt(28)
	v_pk_mov_b32 v[40:41], v[4:5], v[4:5] op_sel:[0,1]
	v_mul_f64 v[4:5], v[236:237], v[66:67]
	v_fmac_f64_e32 v[4:5], v[238:239], v[84:85]
	v_add_f64 v[2:3], v[2:3], v[4:5]
	v_mul_f64 v[4:5], v[240:241], v[90:91]
	v_fmac_f64_e32 v[4:5], v[242:243], v[92:93]
	v_add_f64 v[2:3], v[2:3], v[4:5]
	;; [unrolled: 3-line block ×7, first 2 shown]
	v_add_f64 v[10:11], v[6:7], v[8:9]
	v_add_f64 v[14:15], v[10:11], v[12:13]
	;; [unrolled: 1-line block ×3, first 2 shown]
	ds_read_b128 v[14:17], v128 offset:1120
	v_add_f64 v[22:23], v[18:19], v[20:21]
	ds_read_b128 v[18:21], v128 offset:1136
	v_accvgpr_write_b32 a161, v41
	v_accvgpr_write_b32 a160, v40
	s_waitcnt lgkmcnt(1)
	v_mul_f64 v[24:25], v[14:15], v[146:147]
	v_fmac_f64_e32 v[24:25], v[16:17], v[150:151]
	v_add_f64 v[26:27], v[22:23], v[24:25]
	ds_read_b128 v[22:25], v128 offset:1152
	s_waitcnt lgkmcnt(1)
	v_mul_f64 v[28:29], v[18:19], v[30:31]
	v_fmac_f64_e32 v[28:29], v[20:21], v[32:33]
	v_add_f64 v[30:31], v[26:27], v[28:29]
	ds_read_b128 v[26:29], v128 offset:1168
	s_waitcnt vmcnt(26) lgkmcnt(1)
	v_mul_f64 v[32:33], v[22:23], v[154:155]
	s_waitcnt vmcnt(24)
	v_fmac_f64_e32 v[32:33], v[24:25], v[156:157]
	v_add_f64 v[34:35], v[30:31], v[32:33]
	ds_read_b128 v[30:33], v128 offset:1184
	s_waitcnt lgkmcnt(1)
	v_mul_f64 v[36:37], v[26:27], v[38:39]
	v_fmac_f64_e32 v[36:37], v[28:29], v[40:41]
	v_add_f64 v[38:39], v[34:35], v[36:37]
	ds_read_b128 v[34:37], v128 offset:1200
	s_waitcnt vmcnt(18) lgkmcnt(1)
	v_mul_f64 v[40:41], v[30:31], v[158:159]
	s_waitcnt vmcnt(16)
	;; [unrolled: 11-line block ×3, first 2 shown]
	v_fmac_f64_e32 v[48:49], v[40:41], v[164:165]
	v_add_f64 v[172:173], v[46:47], v[48:49]
	ds_read_b128 v[46:49], v128 offset:1248
	s_waitcnt lgkmcnt(1)
	v_mul_f64 v[176:177], v[42:43], v[140:141]
	buffer_load_dword v171, off, s[0:3], 0 offset:540
	buffer_load_dword v170, off, s[0:3], 0 offset:536
	;; [unrolled: 1-line block ×4, first 2 shown]
	v_fmac_f64_e32 v[176:177], v[44:45], v[144:145]
	v_add_f64 v[2:3], v[172:173], v[176:177]
	buffer_load_dword v177, off, s[0:3], 0 offset:556
	buffer_load_dword v176, off, s[0:3], 0 offset:552
	;; [unrolled: 1-line block ×20, first 2 shown]
	v_mul_f64 v[4:5], v[112:113], v[58:59]
	v_fma_f64 v[112:113], v[194:195], v[82:83], -v[50:51]
	v_mul_f64 v[50:51], v[200:201], v[64:65]
	v_fma_f64 v[10:11], v[110:111], v[56:57], -v[4:5]
	v_fma_f64 v[110:111], v[114:115], v[52:53], -v[54:55]
	;; [unrolled: 1-line block ×3, first 2 shown]
	buffer_load_dword v195, off, s[0:3], 0 offset:636
	buffer_load_dword v194, off, s[0:3], 0 offset:632
	;; [unrolled: 1-line block ×4, first 2 shown]
	v_mul_f64 v[50:51], v[204:205], v[60:61]
	buffer_load_dword v201, off, s[0:3], 0 offset:652
	buffer_load_dword v200, off, s[0:3], 0 offset:648
	;; [unrolled: 1-line block ×8, first 2 shown]
	v_mul_f64 v[54:55], v[208:209], v[76:77]
	v_fma_f64 v[116:117], v[202:203], v[62:63], -v[50:51]
	v_fma_f64 v[202:203], v[206:207], v[78:79], -v[54:55]
	v_mul_f64 v[54:55], v[212:213], v[74:75]
	ds_read_b128 v[50:53], v128 offset:1264
	v_fma_f64 v[6:7], v[210:211], v[72:73], -v[54:55]
	v_mul_f64 v[54:55], v[234:235], v[68:69]
	buffer_load_dword v213, off, s[0:3], 0 offset:684
	buffer_load_dword v212, off, s[0:3], 0 offset:680
	;; [unrolled: 1-line block ×12, first 2 shown]
	v_fma_f64 v[4:5], v[232:233], v[70:71], -v[54:55]
	buffer_load_dword v233, off, s[0:3], 0 offset:732
	buffer_load_dword v232, off, s[0:3], 0 offset:728
	;; [unrolled: 1-line block ×4, first 2 shown]
	ds_read_b128 v[54:57], v128 offset:1280
	ds_read_b128 v[58:61], v128 offset:1296
	s_waitcnt vmcnt(54) lgkmcnt(3)
	v_mul_f64 v[8:9], v[46:47], v[166:167]
	s_waitcnt vmcnt(52)
	v_fmac_f64_e32 v[8:9], v[48:49], v[168:169]
	v_add_f64 v[2:3], v[2:3], v[8:9]
	s_waitcnt lgkmcnt(2)
	v_mul_f64 v[8:9], v[50:51], v[148:149]
	ds_read_b128 v[62:65], v128 offset:1312
	v_fmac_f64_e32 v[8:9], v[52:53], v[152:153]
	v_add_f64 v[2:3], v[2:3], v[8:9]
	v_mul_f64 v[8:9], v[238:239], v[66:67]
	v_mul_f64 v[70:71], v[246:247], v[86:87]
	;; [unrolled: 1-line block ×3, first 2 shown]
	v_fma_f64 v[8:9], v[236:237], v[84:85], -v[8:9]
	v_mul_f64 v[0:1], v[216:217], v[0:1]
	v_add_f64 v[10:11], v[10:11], 0
	v_add_f64 v[10:11], v[10:11], v[110:111]
	;; [unrolled: 1-line block ×9, first 2 shown]
	v_accvgpr_read_b32 v6, a146
	v_accvgpr_read_b32 v7, a147
	;; [unrolled: 1-line block ×3, first 2 shown]
	v_mul_f64 v[6:7], v[132:133], v[6:7]
	v_accvgpr_read_b32 v9, a149
	v_fma_f64 v[6:7], v[130:131], v[8:9], -v[6:7]
	v_accvgpr_read_b32 v8, a152
	v_accvgpr_read_b32 v9, a153
	s_waitcnt vmcnt(50) lgkmcnt(2)
	v_mul_f64 v[12:13], v[54:55], v[170:171]
	s_waitcnt vmcnt(48)
	v_fmac_f64_e32 v[12:13], v[56:57], v[174:175]
	s_waitcnt vmcnt(46) lgkmcnt(1)
	v_mul_f64 v[66:67], v[58:59], v[176:177]
	v_add_f64 v[2:3], v[2:3], v[12:13]
	s_waitcnt vmcnt(44)
	v_fmac_f64_e32 v[66:67], v[60:61], v[178:179]
	v_add_f64 v[2:3], v[2:3], v[66:67]
	ds_read_b128 v[66:69], v128 offset:1328
	s_waitcnt vmcnt(41) lgkmcnt(1)
	v_mul_f64 v[74:75], v[62:63], v[182:183]
	v_mul_f64 v[12:13], v[242:243], v[90:91]
	v_fma_f64 v[242:243], v[244:245], v[88:89], -v[70:71]
	s_waitcnt vmcnt(39)
	v_fmac_f64_e32 v[74:75], v[64:65], v[186:187]
	ds_read_b128 v[70:73], v128 offset:1344
	v_add_f64 v[2:3], v[2:3], v[74:75]
	v_mul_f64 v[74:75], v[250:251], v[100:101]
	v_fma_f64 v[248:249], v[248:249], v[102:103], -v[74:75]
	ds_read_b128 v[74:77], v128 offset:1360
	s_waitcnt vmcnt(38) lgkmcnt(2)
	v_mul_f64 v[78:79], v[66:67], v[172:173]
	s_waitcnt vmcnt(36)
	v_fmac_f64_e32 v[78:79], v[68:69], v[184:185]
	v_add_f64 v[2:3], v[2:3], v[78:79]
	s_waitcnt vmcnt(33) lgkmcnt(1)
	v_mul_f64 v[78:79], v[70:71], v[190:191]
	s_waitcnt vmcnt(31)
	v_fmac_f64_e32 v[78:79], v[72:73], v[192:193]
	v_add_f64 v[2:3], v[2:3], v[78:79]
	;; [unrolled: 5-line block ×3, first 2 shown]
	ds_read_b128 v[78:81], v128 offset:1376
	v_fma_f64 v[250:251], v[252:253], v[98:99], -v[82:83]
	ds_read_b128 v[82:85], v128 offset:1392
	ds_read_b128 v[86:89], v128 offset:1408
	v_fma_f64 v[252:253], v[214:215], v[126:127], -v[0:1]
	s_waitcnt vmcnt(26) lgkmcnt(2)
	v_mul_f64 v[90:91], v[78:79], v[194:195]
	s_waitcnt vmcnt(24)
	v_fmac_f64_e32 v[90:91], v[80:81], v[198:199]
	v_add_f64 v[0:1], v[2:3], v[90:91]
	s_waitcnt vmcnt(22) lgkmcnt(1)
	v_mul_f64 v[2:3], v[82:83], v[200:201]
	s_waitcnt vmcnt(20)
	v_fmac_f64_e32 v[2:3], v[84:85], v[204:205]
	v_fma_f64 v[12:13], v[240:241], v[92:93], -v[12:13]
	ds_read_b128 v[90:93], v128 offset:1424
	v_add_f64 v[0:1], v[0:1], v[2:3]
	s_waitcnt vmcnt(18) lgkmcnt(1)
	v_mul_f64 v[2:3], v[86:87], v[196:197]
	s_waitcnt vmcnt(16)
	v_fmac_f64_e32 v[2:3], v[88:89], v[218:219]
	v_add_f64 v[0:1], v[0:1], v[2:3]
	v_mul_f64 v[2:3], v[222:223], v[94:95]
	v_mul_f64 v[98:99], v[228:229], v[106:107]
	v_fma_f64 v[254:255], v[220:221], v[104:105], -v[2:3]
	ds_read_b128 v[94:97], v128 offset:1440
	v_fma_f64 v[214:215], v[226:227], v[108:109], -v[98:99]
	ds_read_b128 v[98:101], v128 offset:1456
	ds_read_b128 v[102:105], v128 offset:1472
	buffer_load_dword v126, off, s[0:3], 0 offset:744
	buffer_load_dword v127, off, s[0:3], 0 offset:748
	;; [unrolled: 1-line block ×4, first 2 shown]
	ds_read_b128 v[106:109], v128 offset:1488
	buffer_load_dword v239, off, s[0:3], 0 offset:764
	buffer_load_dword v238, off, s[0:3], 0 offset:760
	;; [unrolled: 1-line block ×4, first 2 shown]
	s_waitcnt vmcnt(22) lgkmcnt(4)
	v_mul_f64 v[2:3], v[90:91], v[212:213]
	s_waitcnt vmcnt(20)
	v_fmac_f64_e32 v[2:3], v[92:93], v[224:225]
	v_add_f64 v[0:1], v[0:1], v[2:3]
	s_waitcnt vmcnt(17) lgkmcnt(3)
	v_mul_f64 v[2:3], v[94:95], v[206:207]
	s_waitcnt vmcnt(15)
	v_fmac_f64_e32 v[2:3], v[96:97], v[230:231]
	v_add_f64 v[0:1], v[0:1], v[2:3]
	;; [unrolled: 5-line block ×4, first 2 shown]
	v_add_f64 v[4:5], v[4:5], v[12:13]
	v_add_f64 v[4:5], v[4:5], v[242:243]
	v_add_f64 v[4:5], v[4:5], v[248:249]
	v_add_f64 v[4:5], v[4:5], v[250:251]
	v_add_f64 v[4:5], v[4:5], v[252:253]
	v_add_f64 v[252:253], v[4:5], v[254:255]
	v_add_f64 v[4:5], v[252:253], v[214:215]
	v_add_f64 v[4:5], v[4:5], v[6:7]
	v_mul_f64 v[6:7], v[124:125], v[138:139]
	v_fma_f64 v[6:7], v[122:123], v[142:143], -v[6:7]
	v_add_f64 v[4:5], v[4:5], v[6:7]
	v_accvgpr_read_b32 v6, a150
	v_accvgpr_read_b32 v7, a151
	v_mul_f64 v[6:7], v[120:121], v[6:7]
	v_fma_f64 v[6:7], v[118:119], v[8:9], -v[6:7]
	v_add_f64 v[4:5], v[4:5], v[6:7]
	v_mul_f64 v[6:7], v[16:17], v[146:147]
	v_fma_f64 v[6:7], v[14:15], v[150:151], -v[6:7]
	v_add_f64 v[4:5], v[4:5], v[6:7]
	v_accvgpr_read_b32 v6, a154
	v_accvgpr_read_b32 v7, a155
	;; [unrolled: 1-line block ×3, first 2 shown]
	v_mul_f64 v[6:7], v[20:21], v[6:7]
	v_accvgpr_read_b32 v9, a157
	v_fma_f64 v[6:7], v[18:19], v[8:9], -v[6:7]
	v_add_f64 v[4:5], v[4:5], v[6:7]
	v_mul_f64 v[6:7], v[24:25], v[154:155]
	v_fma_f64 v[6:7], v[22:23], v[156:157], -v[6:7]
	v_add_f64 v[4:5], v[4:5], v[6:7]
	v_accvgpr_read_b32 v6, a158
	v_accvgpr_read_b32 v7, a159
	;; [unrolled: 1-line block ×3, first 2 shown]
	v_mul_f64 v[6:7], v[28:29], v[6:7]
	v_accvgpr_read_b32 v9, a161
	v_fma_f64 v[6:7], v[26:27], v[8:9], -v[6:7]
	v_add_f64 v[4:5], v[4:5], v[6:7]
	v_mul_f64 v[6:7], v[32:33], v[158:159]
	v_fma_f64 v[6:7], v[30:31], v[160:161], -v[6:7]
	v_add_f64 v[4:5], v[4:5], v[6:7]
	v_mul_f64 v[6:7], v[36:37], v[134:135]
	;; [unrolled: 3-line block ×9, first 2 shown]
	v_fma_f64 v[6:7], v[62:63], v[186:187], -v[6:7]
	v_add_f64 v[4:5], v[4:5], v[6:7]
	s_waitcnt vmcnt(6) lgkmcnt(0)
	v_mul_f64 v[2:3], v[106:107], v[126:127]
	v_mul_f64 v[6:7], v[68:69], v[172:173]
	s_waitcnt vmcnt(4)
	v_fmac_f64_e32 v[2:3], v[108:109], v[236:237]
	v_add_f64 v[216:217], v[0:1], v[2:3]
	ds_read_b128 v[0:3], v128 offset:1504
	buffer_load_dword v244, off, s[0:3], 0 offset:776
	buffer_load_dword v245, off, s[0:3], 0 offset:780
	;; [unrolled: 1-line block ×4, first 2 shown]
	v_fma_f64 v[6:7], v[66:67], v[184:185], -v[6:7]
	v_add_f64 v[4:5], v[4:5], v[6:7]
	v_mul_f64 v[6:7], v[72:73], v[190:191]
	s_waitcnt vmcnt(6) lgkmcnt(0)
	v_mul_f64 v[220:221], v[0:1], v[238:239]
	s_waitcnt vmcnt(4)
	v_fmac_f64_e32 v[220:221], v[2:3], v[240:241]
	v_add_f64 v[216:217], v[216:217], v[220:221]
	ds_read_b128 v[220:223], v128 offset:1520
	buffer_load_dword v250, off, s[0:3], 0 offset:48
	buffer_load_dword v251, off, s[0:3], 0 offset:52
	;; [unrolled: 1-line block ×4, first 2 shown]
	v_fma_f64 v[6:7], v[70:71], v[192:193], -v[6:7]
	v_add_f64 v[4:5], v[4:5], v[6:7]
	v_mul_f64 v[6:7], v[76:77], v[180:181]
	v_fma_f64 v[6:7], v[74:75], v[188:189], -v[6:7]
	v_add_f64 v[4:5], v[4:5], v[6:7]
	v_mul_f64 v[6:7], v[80:81], v[194:195]
	v_fma_f64 v[6:7], v[78:79], v[198:199], -v[6:7]
	v_add_f64 v[4:5], v[4:5], v[6:7]
	v_mul_f64 v[6:7], v[84:85], v[200:201]
	v_fma_f64 v[6:7], v[82:83], v[204:205], -v[6:7]
	v_add_f64 v[4:5], v[4:5], v[6:7]
	v_mul_f64 v[6:7], v[88:89], v[196:197]
	v_fma_f64 v[6:7], v[86:87], v[218:219], -v[6:7]
	v_add_f64 v[4:5], v[4:5], v[6:7]
	v_mul_f64 v[6:7], v[92:93], v[212:213]
	v_fma_f64 v[6:7], v[90:91], v[224:225], -v[6:7]
	v_add_f64 v[4:5], v[4:5], v[6:7]
	v_mul_f64 v[6:7], v[96:97], v[206:207]
	v_fma_f64 v[6:7], v[94:95], v[230:231], -v[6:7]
	v_add_f64 v[4:5], v[4:5], v[6:7]
	v_mul_f64 v[6:7], v[100:101], v[208:209]
	v_fma_f64 v[6:7], v[98:99], v[210:211], -v[6:7]
	v_add_f64 v[4:5], v[4:5], v[6:7]
	v_mul_f64 v[6:7], v[104:105], v[232:233]
	v_fma_f64 v[6:7], v[102:103], v[234:235], -v[6:7]
	v_add_f64 v[4:5], v[4:5], v[6:7]
	v_mul_f64 v[6:7], v[108:109], v[126:127]
	v_fma_f64 v[6:7], v[106:107], v[236:237], -v[6:7]
	v_mul_f64 v[2:3], v[2:3], v[238:239]
	v_add_f64 v[4:5], v[4:5], v[6:7]
	v_fma_f64 v[0:1], v[0:1], v[240:241], -v[2:3]
	v_add_f64 v[0:1], v[4:5], v[0:1]
	s_waitcnt vmcnt(6) lgkmcnt(0)
	v_mul_f64 v[2:3], v[222:223], v[244:245]
	v_mul_f64 v[226:227], v[220:221], v[244:245]
	s_waitcnt vmcnt(4)
	v_fma_f64 v[2:3], v[220:221], v[246:247], -v[2:3]
	v_fmac_f64_e32 v[226:227], v[222:223], v[246:247]
	v_add_f64 v[0:1], v[0:1], v[2:3]
	v_add_f64 v[216:217], v[216:217], v[226:227]
	s_waitcnt vmcnt(2)
	v_add_f64 v[0:1], v[250:251], -v[0:1]
	s_waitcnt vmcnt(0)
	v_add_f64 v[2:3], v[248:249], -v[216:217]
	buffer_store_dword v1, off, s[0:3], 0 offset:52
	buffer_store_dword v0, off, s[0:3], 0 offset:48
	;; [unrolled: 1-line block ×4, first 2 shown]
	v_accvgpr_read_b32 v0, a143
	v_cmp_lt_u32_e32 vcc, 1, v0
	s_and_saveexec_b64 s[4:5], vcc
	s_cbranch_execz .LBB47_299
; %bb.298:
	v_accvgpr_read_b32 v0, a142
	buffer_load_dword v2, v0, s[0:3], 0 offen
	buffer_load_dword v3, v0, s[0:3], 0 offen offset:4
	buffer_load_dword v4, v0, s[0:3], 0 offen offset:8
	;; [unrolled: 1-line block ×3, first 2 shown]
	v_accvgpr_read_b32 v0, a144
	buffer_store_dword v128, off, s[0:3], 0 offset:32
	buffer_store_dword v128, off, s[0:3], 0 offset:36
	;; [unrolled: 1-line block ×4, first 2 shown]
	s_waitcnt vmcnt(4)
	ds_write_b128 v0, v[2:5]
.LBB47_299:
	s_or_b64 exec, exec, s[4:5]
	s_waitcnt lgkmcnt(0)
	; wave barrier
	s_waitcnt lgkmcnt(0)
	buffer_load_dword v60, off, s[0:3], 0 offset:48
	buffer_load_dword v61, off, s[0:3], 0 offset:52
	;; [unrolled: 1-line block ×42, first 2 shown]
	ds_read_b128 v[114:117], v128 offset:800
	ds_read_b128 v[180:183], v128 offset:816
	;; [unrolled: 1-line block ×10, first 2 shown]
	buffer_load_dword v1, off, s[0:3], 0 offset:196
	buffer_load_dword v0, off, s[0:3], 0 offset:192
	ds_read_b128 v[62:65], v128 offset:960
	buffer_load_dword v101, off, s[0:3], 0 offset:252
	buffer_load_dword v100, off, s[0:3], 0 offset:248
	;; [unrolled: 1-line block ×6, first 2 shown]
	s_waitcnt vmcnt(46) lgkmcnt(10)
	v_mul_f64 v[2:3], v[114:115], v[66:67]
	v_fmac_f64_e32 v[2:3], v[116:117], v[60:61]
	v_add_f64 v[2:3], v[2:3], 0
	s_waitcnt vmcnt(42) lgkmcnt(9)
	v_mul_f64 v[4:5], v[180:181], v[58:59]
	v_fmac_f64_e32 v[4:5], v[182:183], v[50:51]
	v_add_f64 v[2:3], v[2:3], v[4:5]
	buffer_load_dword v225, off, s[0:3], 0 offset:228
	buffer_load_dword v224, off, s[0:3], 0 offset:224
	;; [unrolled: 1-line block ×20, first 2 shown]
	s_waitcnt vmcnt(60) lgkmcnt(8)
	v_mul_f64 v[6:7], v[184:185], v[52:53]
	s_waitcnt vmcnt(58) lgkmcnt(6)
	v_mul_f64 v[10:11], v[196:197], v[68:69]
	s_waitcnt vmcnt(56)
	v_fmac_f64_e32 v[10:11], v[198:199], v[70:71]
	s_waitcnt vmcnt(54)
	v_mul_f64 v[8:9], v[192:193], v[72:73]
	s_waitcnt vmcnt(52) lgkmcnt(4)
	v_mul_f64 v[14:15], v[204:205], v[74:75]
	s_waitcnt vmcnt(50)
	v_fmac_f64_e32 v[14:15], v[206:207], v[76:77]
	s_waitcnt vmcnt(48)
	v_mul_f64 v[12:13], v[200:201], v[230:231]
	s_waitcnt vmcnt(46) lgkmcnt(2)
	v_mul_f64 v[18:19], v[236:237], v[82:83]
	s_waitcnt vmcnt(43)
	v_mul_f64 v[16:17], v[208:209], v[86:87]
	s_waitcnt vmcnt(41) lgkmcnt(1)
	v_mul_f64 v[20:21], v[54:55], v[80:81]
	s_waitcnt vmcnt(39)
	v_fmac_f64_e32 v[6:7], v[186:187], v[96:97]
	v_add_f64 v[2:3], v[2:3], v[6:7]
	s_waitcnt vmcnt(37)
	v_fmac_f64_e32 v[8:9], v[194:195], v[92:93]
	v_add_f64 v[2:3], v[2:3], v[8:9]
	;; [unrolled: 3-line block ×3, first 2 shown]
	v_add_f64 v[2:3], v[2:3], v[12:13]
	s_waitcnt vmcnt(33)
	v_fmac_f64_e32 v[16:17], v[210:211], v[88:89]
	v_add_f64 v[2:3], v[2:3], v[14:15]
	v_add_f64 v[2:3], v[2:3], v[16:17]
	s_waitcnt vmcnt(32)
	v_fmac_f64_e32 v[18:19], v[238:239], v[84:85]
	v_add_f64 v[2:3], v[2:3], v[18:19]
	s_waitcnt vmcnt(26)
	v_fmac_f64_e32 v[20:21], v[56:57], v[0:1]
	v_add_f64 v[2:3], v[2:3], v[20:21]
	v_mul_f64 v[56:57], v[56:57], v[80:81]
	v_fma_f64 v[0:1], v[54:55], v[0:1], -v[56:57]
	s_waitcnt vmcnt(0)
	v_pk_mov_b32 v[8:9], v[4:5], v[4:5] op_sel:[0,1]
	buffer_load_dword v5, off, s[0:3], 0 offset:340
	buffer_load_dword v4, off, s[0:3], 0 offset:336
	v_accvgpr_write_b32 a147, v9
	v_accvgpr_write_b32 a146, v8
	s_waitcnt vmcnt(0)
	v_pk_mov_b32 v[16:17], v[4:5], v[4:5] op_sel:[0,1]
	buffer_load_dword v13, off, s[0:3], 0 offset:332
	buffer_load_dword v12, off, s[0:3], 0 offset:328
	;; [unrolled: 1-line block ×6, first 2 shown]
	v_accvgpr_write_b32 a149, v17
	v_accvgpr_write_b32 a148, v16
	s_waitcnt vmcnt(0)
	v_pk_mov_b32 v[24:25], v[4:5], v[4:5] op_sel:[0,1]
	buffer_load_dword v5, off, s[0:3], 0 offset:372
	buffer_load_dword v4, off, s[0:3], 0 offset:368
	v_accvgpr_write_b32 a151, v25
	v_accvgpr_write_b32 a150, v24
	s_waitcnt vmcnt(0)
	v_pk_mov_b32 v[26:27], v[4:5], v[4:5] op_sel:[0,1]
	buffer_load_dword v143, off, s[0:3], 0 offset:364
	buffer_load_dword v142, off, s[0:3], 0 offset:360
	;; [unrolled: 1-line block ×6, first 2 shown]
	v_accvgpr_write_b32 a153, v27
	v_accvgpr_write_b32 a152, v26
	s_waitcnt vmcnt(0)
	v_pk_mov_b32 v[32:33], v[4:5], v[4:5] op_sel:[0,1]
	buffer_load_dword v5, off, s[0:3], 0 offset:404
	buffer_load_dword v4, off, s[0:3], 0 offset:400
	;; [unrolled: 1-line block ×38, first 2 shown]
	ds_read_b128 v[240:243], v128 offset:976
	ds_read_b128 v[244:247], v128 offset:992
	;; [unrolled: 1-line block ×9, first 2 shown]
	v_accvgpr_write_b32 a155, v33
	v_accvgpr_write_b32 a154, v32
	s_waitcnt lgkmcnt(2)
	v_mul_f64 v[10:11], v[122:123], v[12:13]
	v_fmac_f64_e32 v[10:11], v[124:125], v[138:139]
	s_waitcnt lgkmcnt(1)
	v_mul_f64 v[14:15], v[130:131], v[8:9]
	v_fmac_f64_e32 v[14:15], v[132:133], v[16:17]
	ds_read_b128 v[42:45], v128 offset:1232
	s_waitcnt vmcnt(36)
	v_accvgpr_write_b32 a157, v5
	v_accvgpr_write_b32 a156, v4
	s_waitcnt vmcnt(28)
	v_pk_mov_b32 v[40:41], v[6:7], v[6:7] op_sel:[0,1]
	v_mul_f64 v[6:7], v[62:63], v[94:95]
	v_fmac_f64_e32 v[6:7], v[64:65], v[98:99]
	v_add_f64 v[2:3], v[2:3], v[6:7]
	v_mul_f64 v[6:7], v[240:241], v[104:105]
	v_fmac_f64_e32 v[6:7], v[242:243], v[224:225]
	v_add_f64 v[2:3], v[2:3], v[6:7]
	v_mul_f64 v[6:7], v[244:245], v[100:101]
	v_fmac_f64_e32 v[6:7], v[246:247], v[102:103]
	v_add_f64 v[2:3], v[2:3], v[6:7]
	v_mul_f64 v[6:7], v[248:249], v[226:227]
	v_fmac_f64_e32 v[6:7], v[250:251], v[228:229]
	v_add_f64 v[2:3], v[2:3], v[6:7]
	v_mul_f64 v[6:7], v[252:253], v[110:111]
	v_fmac_f64_e32 v[6:7], v[254:255], v[112:113]
	v_add_f64 v[2:3], v[2:3], v[6:7]
	v_mul_f64 v[6:7], v[118:119], v[78:79]
	v_fmac_f64_e32 v[6:7], v[120:121], v[90:91]
	v_add_f64 v[2:3], v[2:3], v[6:7]
	v_mul_f64 v[6:7], v[220:221], v[106:107]
	v_fmac_f64_e32 v[6:7], v[222:223], v[108:109]
	v_add_f64 v[2:3], v[2:3], v[6:7]
	v_add_f64 v[2:3], v[2:3], v[10:11]
	v_add_f64 v[2:3], v[2:3], v[14:15]
	ds_read_b128 v[14:17], v128 offset:1120
	s_waitcnt lgkmcnt(2)
	v_mul_f64 v[18:19], v[134:135], v[142:143]
	v_fmac_f64_e32 v[18:19], v[136:137], v[146:147]
	v_add_f64 v[2:3], v[2:3], v[18:19]
	ds_read_b128 v[18:21], v128 offset:1136
	s_waitcnt lgkmcnt(1)
	v_mul_f64 v[22:23], v[14:15], v[24:25]
	v_fmac_f64_e32 v[22:23], v[16:17], v[26:27]
	;; [unrolled: 5-line block ×4, first 2 shown]
	v_add_f64 v[2:3], v[2:3], v[30:31]
	ds_read_b128 v[30:33], v128 offset:1184
	s_waitcnt vmcnt(26) lgkmcnt(1)
	v_mul_f64 v[34:35], v[26:27], v[158:159]
	s_waitcnt vmcnt(24)
	v_fmac_f64_e32 v[34:35], v[28:29], v[160:161]
	v_add_f64 v[2:3], v[2:3], v[34:35]
	ds_read_b128 v[34:37], v128 offset:1200
	s_waitcnt lgkmcnt(1)
	v_mul_f64 v[38:39], v[30:31], v[212:213]
	v_fmac_f64_e32 v[38:39], v[32:33], v[40:41]
	v_accvgpr_write_b32 a159, v41
	v_accvgpr_write_b32 a158, v40
	v_add_f64 v[2:3], v[2:3], v[38:39]
	ds_read_b128 v[38:41], v128 offset:1216
	s_waitcnt vmcnt(18) lgkmcnt(1)
	v_mul_f64 v[46:47], v[34:35], v[162:163]
	s_waitcnt vmcnt(16)
	v_fmac_f64_e32 v[46:47], v[36:37], v[164:165]
	v_add_f64 v[2:3], v[2:3], v[46:47]
	v_mul_f64 v[6:7], v[182:183], v[58:59]
	s_waitcnt lgkmcnt(0)
	v_mul_f64 v[46:47], v[38:39], v[126:127]
	v_fmac_f64_e32 v[46:47], v[40:41], v[140:141]
	v_add_f64 v[2:3], v[2:3], v[46:47]
	s_waitcnt vmcnt(10)
	v_mul_f64 v[46:47], v[42:43], v[166:167]
	s_waitcnt vmcnt(8)
	v_fmac_f64_e32 v[46:47], v[44:45], v[168:169]
	v_add_f64 v[2:3], v[2:3], v[46:47]
	ds_read_b128 v[46:49], v128 offset:1248
	buffer_load_dword v175, off, s[0:3], 0 offset:556
	buffer_load_dword v174, off, s[0:3], 0 offset:552
	;; [unrolled: 1-line block ×5, first 2 shown]
	v_fma_f64 v[58:59], v[180:181], v[50:51], -v[6:7]
	buffer_load_dword v180, off, s[0:3], 0 offset:560
	buffer_load_dword v177, off, s[0:3], 0 offset:572
	;; [unrolled: 1-line block ×3, first 2 shown]
	v_mul_f64 v[4:5], v[116:117], v[66:67]
	v_mul_f64 v[6:7], v[186:187], v[52:53]
	v_fma_f64 v[4:5], v[114:115], v[60:61], -v[4:5]
	v_fma_f64 v[60:61], v[184:185], v[96:97], -v[6:7]
	buffer_load_dword v185, off, s[0:3], 0 offset:588
	buffer_load_dword v184, off, s[0:3], 0 offset:584
	;; [unrolled: 1-line block ×16, first 2 shown]
	v_mul_f64 v[6:7], v[194:195], v[72:73]
	v_fma_f64 v[92:93], v[192:193], v[92:93], -v[6:7]
	v_mul_f64 v[6:7], v[198:199], v[68:69]
	v_fma_f64 v[96:97], v[196:197], v[70:71], -v[6:7]
	buffer_load_dword v197, off, s[0:3], 0 offset:652
	buffer_load_dword v196, off, s[0:3], 0 offset:648
	;; [unrolled: 1-line block ×8, first 2 shown]
	v_mul_f64 v[50:51], v[206:207], v[74:75]
	v_mul_f64 v[6:7], v[202:203], v[230:231]
	v_fma_f64 v[204:205], v[204:205], v[76:77], -v[50:51]
	v_mul_f64 v[50:51], v[210:211], v[86:87]
	v_fma_f64 v[198:199], v[200:201], v[232:233], -v[6:7]
	v_fma_f64 v[200:201], v[208:209], v[88:89], -v[50:51]
	buffer_load_dword v207, off, s[0:3], 0 offset:700
	buffer_load_dword v209, off, s[0:3], 0 offset:684
	;; [unrolled: 1-line block ×12, first 2 shown]
	v_mul_f64 v[66:67], v[238:239], v[82:83]
	ds_read_b128 v[50:53], v128 offset:1264
	v_fma_f64 v[202:203], v[236:237], v[84:85], -v[66:67]
	buffer_load_dword v236, off, s[0:3], 0 offset:728
	buffer_load_dword v238, off, s[0:3], 0 offset:720
	;; [unrolled: 1-line block ×4, first 2 shown]
	ds_read_b128 v[54:57], v128 offset:1280
	s_waitcnt lgkmcnt(2)
	v_mul_f64 v[66:67], v[46:47], v[144:145]
	v_fmac_f64_e32 v[66:67], v[48:49], v[148:149]
	s_waitcnt vmcnt(50) lgkmcnt(1)
	v_mul_f64 v[6:7], v[50:51], v[170:171]
	v_add_f64 v[2:3], v[2:3], v[66:67]
	s_waitcnt vmcnt(48)
	v_fmac_f64_e32 v[6:7], v[52:53], v[172:173]
	v_mul_f64 v[64:65], v[64:65], v[94:95]
	v_add_f64 v[2:3], v[2:3], v[6:7]
	v_fma_f64 v[94:95], v[62:63], v[98:99], -v[64:65]
	ds_read_b128 v[62:65], v128 offset:1312
	s_waitcnt lgkmcnt(1)
	v_mul_f64 v[6:7], v[54:55], v[152:153]
	v_fmac_f64_e32 v[6:7], v[56:57], v[156:157]
	v_add_f64 v[2:3], v[2:3], v[6:7]
	ds_read_b128 v[6:9], v128 offset:1296
	v_mul_f64 v[74:75], v[246:247], v[100:101]
	v_fma_f64 v[244:245], v[244:245], v[102:103], -v[74:75]
	ds_read_b128 v[74:77], v128 offset:1360
	v_mul_f64 v[82:83], v[250:251], v[226:227]
	v_fma_f64 v[228:229], v[248:249], v[228:229], -v[82:83]
	ds_read_b128 v[86:89], v128 offset:1408
	v_mul_f64 v[78:79], v[120:121], v[78:79]
	v_add_f64 v[4:5], v[4:5], 0
	v_add_f64 v[4:5], v[4:5], v[58:59]
	;; [unrolled: 1-line block ×10, first 2 shown]
	ds_read_b128 v[82:85], v128 offset:1392
	v_add_f64 v[0:1], v[0:1], v[94:95]
	v_mul_f64 v[4:5], v[124:125], v[12:13]
	v_fma_f64 v[4:5], v[122:123], v[138:139], -v[4:5]
	v_accvgpr_read_b32 v12, a148
	v_accvgpr_read_b32 v13, a149
	ds_read_b128 v[98:101], v128 offset:1456
	s_waitcnt vmcnt(46) lgkmcnt(4)
	v_mul_f64 v[66:67], v[6:7], v[174:175]
	s_waitcnt vmcnt(44)
	v_fmac_f64_e32 v[66:67], v[8:9], v[178:179]
	v_add_f64 v[2:3], v[2:3], v[66:67]
	v_mul_f64 v[66:67], v[242:243], v[104:105]
	v_fma_f64 v[240:241], v[240:241], v[224:225], -v[66:67]
	ds_read_b128 v[66:69], v128 offset:1328
	s_waitcnt vmcnt(41)
	v_mul_f64 v[70:71], v[62:63], v[176:177]
	s_waitcnt vmcnt(40)
	v_fmac_f64_e32 v[70:71], v[64:65], v[180:181]
	v_add_f64 v[2:3], v[2:3], v[70:71]
	ds_read_b128 v[70:73], v128 offset:1344
	s_waitcnt vmcnt(38) lgkmcnt(1)
	v_mul_f64 v[80:81], v[66:67], v[184:185]
	s_waitcnt vmcnt(36)
	v_fmac_f64_e32 v[80:81], v[68:69], v[188:189]
	ds_read_b128 v[224:227], v128 offset:1376
	v_add_f64 v[2:3], v[2:3], v[80:81]
	s_waitcnt vmcnt(34) lgkmcnt(1)
	v_mul_f64 v[80:81], v[70:71], v[186:187]
	s_waitcnt vmcnt(32)
	v_fmac_f64_e32 v[80:81], v[72:73], v[190:191]
	v_add_f64 v[2:3], v[2:3], v[80:81]
	s_waitcnt vmcnt(29)
	v_mul_f64 v[80:81], v[74:75], v[216:217]
	s_waitcnt vmcnt(27)
	v_fmac_f64_e32 v[80:81], v[76:77], v[218:219]
	v_add_f64 v[2:3], v[2:3], v[80:81]
	s_waitcnt vmcnt(25) lgkmcnt(0)
	v_mul_f64 v[80:81], v[224:225], v[182:183]
	s_waitcnt vmcnt(24)
	v_fmac_f64_e32 v[80:81], v[226:227], v[214:215]
	v_add_f64 v[2:3], v[2:3], v[80:81]
	v_mul_f64 v[80:81], v[254:255], v[110:111]
	v_fma_f64 v[248:249], v[252:253], v[112:113], -v[80:81]
	s_waitcnt vmcnt(22)
	v_mul_f64 v[80:81], v[82:83], v[196:197]
	s_waitcnt vmcnt(20)
	v_fmac_f64_e32 v[80:81], v[84:85], v[10:11]
	v_add_f64 v[2:3], v[2:3], v[80:81]
	v_fma_f64 v[252:253], v[118:119], v[90:91], -v[78:79]
	ds_read_b128 v[78:81], v128 offset:1424
	s_waitcnt vmcnt(17)
	v_mul_f64 v[90:91], v[86:87], v[192:193]
	ds_read_b128 v[118:121], v128 offset:1440
	s_waitcnt vmcnt(16)
	v_fmac_f64_e32 v[90:91], v[88:89], v[194:195]
	v_add_f64 v[2:3], v[2:3], v[90:91]
	v_mul_f64 v[90:91], v[222:223], v[106:107]
	v_fma_f64 v[254:255], v[220:221], v[108:109], -v[90:91]
	s_waitcnt vmcnt(13) lgkmcnt(1)
	v_mul_f64 v[90:91], v[78:79], v[208:209]
	s_waitcnt vmcnt(11)
	v_fmac_f64_e32 v[90:91], v[80:81], v[232:233]
	ds_read_b128 v[102:105], v128 offset:1472
	v_add_f64 v[2:3], v[2:3], v[90:91]
	s_waitcnt vmcnt(10) lgkmcnt(1)
	v_mul_f64 v[90:91], v[118:119], v[206:207]
	s_waitcnt vmcnt(8)
	v_fmac_f64_e32 v[90:91], v[120:121], v[230:231]
	v_add_f64 v[2:3], v[2:3], v[90:91]
	s_waitcnt vmcnt(6)
	v_mul_f64 v[90:91], v[98:99], v[210:211]
	s_waitcnt vmcnt(4)
	v_fmac_f64_e32 v[90:91], v[100:101], v[234:235]
	v_add_f64 v[2:3], v[2:3], v[90:91]
	s_waitcnt vmcnt(1) lgkmcnt(0)
	v_mul_f64 v[90:91], v[102:103], v[236:237]
	s_waitcnt vmcnt(0)
	v_fmac_f64_e32 v[90:91], v[104:105], v[238:239]
	v_add_f64 v[110:111], v[2:3], v[90:91]
	buffer_load_dword v91, off, s[0:3], 0 offset:748
	buffer_load_dword v90, off, s[0:3], 0 offset:744
	;; [unrolled: 1-line block ×4, first 2 shown]
	ds_read_b128 v[106:109], v128 offset:1488
	buffer_load_dword v222, off, s[0:3], 0 offset:760
	buffer_load_dword v223, off, s[0:3], 0 offset:764
	;; [unrolled: 1-line block ×4, first 2 shown]
	v_add_f64 v[0:1], v[0:1], v[240:241]
	v_add_f64 v[0:1], v[0:1], v[244:245]
	;; [unrolled: 1-line block ×7, first 2 shown]
	v_accvgpr_read_b32 v4, a146
	v_accvgpr_read_b32 v5, a147
	v_mul_f64 v[4:5], v[132:133], v[4:5]
	v_fma_f64 v[4:5], v[130:131], v[12:13], -v[4:5]
	v_add_f64 v[0:1], v[0:1], v[4:5]
	v_mul_f64 v[4:5], v[136:137], v[142:143]
	v_fma_f64 v[4:5], v[134:135], v[146:147], -v[4:5]
	v_add_f64 v[0:1], v[0:1], v[4:5]
	v_accvgpr_read_b32 v4, a150
	v_accvgpr_read_b32 v5, a151
	;; [unrolled: 1-line block ×3, first 2 shown]
	v_mul_f64 v[4:5], v[16:17], v[4:5]
	v_accvgpr_read_b32 v13, a153
	v_fma_f64 v[4:5], v[14:15], v[12:13], -v[4:5]
	v_add_f64 v[0:1], v[0:1], v[4:5]
	v_mul_f64 v[4:5], v[20:21], v[150:151]
	v_fma_f64 v[4:5], v[18:19], v[154:155], -v[4:5]
	v_add_f64 v[0:1], v[0:1], v[4:5]
	v_accvgpr_read_b32 v4, a154
	v_accvgpr_read_b32 v5, a155
	;; [unrolled: 1-line block ×3, first 2 shown]
	v_mul_f64 v[4:5], v[24:25], v[4:5]
	v_accvgpr_read_b32 v13, a157
	v_fma_f64 v[4:5], v[22:23], v[12:13], -v[4:5]
	v_add_f64 v[0:1], v[0:1], v[4:5]
	v_mul_f64 v[4:5], v[28:29], v[158:159]
	v_fma_f64 v[4:5], v[26:27], v[160:161], -v[4:5]
	v_accvgpr_read_b32 v12, a158
	v_add_f64 v[0:1], v[0:1], v[4:5]
	v_mul_f64 v[4:5], v[32:33], v[212:213]
	v_accvgpr_read_b32 v13, a159
	v_fma_f64 v[4:5], v[30:31], v[12:13], -v[4:5]
	v_add_f64 v[0:1], v[0:1], v[4:5]
	v_mul_f64 v[4:5], v[36:37], v[162:163]
	v_fma_f64 v[4:5], v[34:35], v[164:165], -v[4:5]
	v_add_f64 v[0:1], v[0:1], v[4:5]
	v_mul_f64 v[4:5], v[40:41], v[126:127]
	;; [unrolled: 3-line block ×12, first 2 shown]
	v_fma_f64 v[4:5], v[224:225], v[214:215], -v[4:5]
	s_waitcnt vmcnt(6) lgkmcnt(0)
	v_mul_f64 v[112:113], v[106:107], v[90:91]
	v_add_f64 v[0:1], v[0:1], v[4:5]
	s_waitcnt vmcnt(4)
	v_fmac_f64_e32 v[112:113], v[108:109], v[2:3]
	v_add_f64 v[114:115], v[110:111], v[112:113]
	ds_read_b128 v[110:113], v128 offset:1504
	buffer_load_dword v221, off, s[0:3], 0 offset:780
	buffer_load_dword v220, off, s[0:3], 0 offset:776
	;; [unrolled: 1-line block ×4, first 2 shown]
	v_mul_f64 v[4:5], v[84:85], v[196:197]
	v_fma_f64 v[4:5], v[82:83], v[10:11], -v[4:5]
	v_add_f64 v[0:1], v[0:1], v[4:5]
	s_waitcnt vmcnt(6) lgkmcnt(0)
	v_mul_f64 v[116:117], v[110:111], v[222:223]
	s_waitcnt vmcnt(4)
	v_fmac_f64_e32 v[116:117], v[112:113], v[242:243]
	v_add_f64 v[250:251], v[114:115], v[116:117]
	ds_read_b128 v[114:117], v128 offset:1520
	v_mul_f64 v[4:5], v[88:89], v[192:193]
	v_fma_f64 v[4:5], v[86:87], v[194:195], -v[4:5]
	v_add_f64 v[0:1], v[0:1], v[4:5]
	v_mul_f64 v[4:5], v[80:81], v[208:209]
	v_fma_f64 v[4:5], v[78:79], v[232:233], -v[4:5]
	v_add_f64 v[0:1], v[0:1], v[4:5]
	;; [unrolled: 3-line block ×7, first 2 shown]
	s_waitcnt vmcnt(2) lgkmcnt(0)
	v_mul_f64 v[128:129], v[114:115], v[220:221]
	v_mul_f64 v[2:3], v[116:117], v[220:221]
	s_waitcnt vmcnt(0)
	v_fmac_f64_e32 v[128:129], v[116:117], v[246:247]
	v_add_f64 v[128:129], v[250:251], v[128:129]
	buffer_load_dword v250, off, s[0:3], 0 offset:32
	buffer_load_dword v251, off, s[0:3], 0 offset:36
	;; [unrolled: 1-line block ×4, first 2 shown]
	v_fma_f64 v[2:3], v[114:115], v[246:247], -v[2:3]
	v_add_f64 v[0:1], v[0:1], v[2:3]
	s_waitcnt vmcnt(2)
	v_add_f64 v[0:1], v[250:251], -v[0:1]
	s_waitcnt vmcnt(0)
	v_add_f64 v[2:3], v[248:249], -v[128:129]
	buffer_store_dword v1, off, s[0:3], 0 offset:36
	buffer_store_dword v0, off, s[0:3], 0 offset:32
	;; [unrolled: 1-line block ×4, first 2 shown]
	v_accvgpr_read_b32 v0, a143
	v_cmp_ne_u32_e32 vcc, 0, v0
	s_and_saveexec_b64 s[4:5], vcc
	s_cbranch_execz .LBB47_301
; %bb.300:
	buffer_load_dword v0, off, s[0:3], 0 offset:16
	buffer_load_dword v1, off, s[0:3], 0 offset:20
	;; [unrolled: 1-line block ×4, first 2 shown]
	v_mov_b32_e32 v4, 0
	v_accvgpr_read_b32 v5, a144
	buffer_store_dword v4, off, s[0:3], 0 offset:16
	buffer_store_dword v4, off, s[0:3], 0 offset:20
	;; [unrolled: 1-line block ×4, first 2 shown]
	s_waitcnt vmcnt(4)
	ds_write_b128 v5, v[0:3]
.LBB47_301:
	s_or_b64 exec, exec, s[4:5]
	s_waitcnt lgkmcnt(0)
	; wave barrier
	s_waitcnt lgkmcnt(0)
	buffer_load_dword v44, off, s[0:3], 0 offset:32
	buffer_load_dword v45, off, s[0:3], 0 offset:36
	;; [unrolled: 1-line block ×42, first 2 shown]
	v_mov_b32_e32 v20, 0
	buffer_load_dword v101, off, s[0:3], 0 offset:180
	buffer_load_dword v100, off, s[0:3], 0 offset:176
	;; [unrolled: 1-line block ×7, first 2 shown]
	ds_read_b128 v[110:113], v20 offset:784
	ds_read_b128 v[130:133], v20 offset:800
	;; [unrolled: 1-line block ×11, first 2 shown]
	s_and_b64 vcc, exec, s[20:21]
	s_waitcnt vmcnt(45) lgkmcnt(10)
	v_mul_f64 v[0:1], v[110:111], v[46:47]
	v_fmac_f64_e32 v[0:1], v[112:113], v[44:45]
	v_add_f64 v[0:1], v[0:1], 0
	v_mul_f64 v[46:47], v[112:113], v[46:47]
	s_waitcnt vmcnt(41) lgkmcnt(9)
	v_mul_f64 v[2:3], v[130:131], v[56:57]
	v_fmac_f64_e32 v[2:3], v[132:133], v[48:49]
	v_add_f64 v[0:1], v[0:1], v[2:3]
	buffer_load_dword v94, off, s[0:3], 0 offset:216
	buffer_load_dword v115, off, s[0:3], 0 offset:212
	;; [unrolled: 1-line block ×21, first 2 shown]
	s_waitcnt vmcnt(60) lgkmcnt(8)
	v_mul_f64 v[4:5], v[134:135], v[50:51]
	s_waitcnt vmcnt(58) lgkmcnt(6)
	v_mul_f64 v[8:9], v[142:143], v[58:59]
	s_waitcnt vmcnt(56)
	v_fmac_f64_e32 v[8:9], v[144:145], v[60:61]
	v_mul_f64 v[56:57], v[132:133], v[56:57]
	s_waitcnt vmcnt(54)
	v_mul_f64 v[6:7], v[138:139], v[62:63]
	s_waitcnt vmcnt(52) lgkmcnt(4)
	v_mul_f64 v[12:13], v[152:153], v[64:65]
	s_waitcnt vmcnt(50)
	v_fmac_f64_e32 v[12:13], v[154:155], v[66:67]
	s_waitcnt vmcnt(48)
	v_mul_f64 v[10:11], v[148:149], v[68:69]
	s_waitcnt vmcnt(46) lgkmcnt(2)
	v_mul_f64 v[16:17], v[166:167], v[72:73]
	s_waitcnt vmcnt(43)
	v_mul_f64 v[14:15], v[162:163], v[76:77]
	s_waitcnt vmcnt(41) lgkmcnt(1)
	v_mul_f64 v[18:19], v[174:175], v[70:71]
	s_waitcnt vmcnt(39)
	v_fmac_f64_e32 v[4:5], v[136:137], v[86:87]
	v_add_f64 v[0:1], v[0:1], v[4:5]
	s_waitcnt vmcnt(37)
	v_fmac_f64_e32 v[6:7], v[140:141], v[84:85]
	v_add_f64 v[0:1], v[0:1], v[6:7]
	;; [unrolled: 3-line block ×3, first 2 shown]
	v_add_f64 v[0:1], v[0:1], v[10:11]
	v_add_f64 v[0:1], v[0:1], v[12:13]
	s_waitcnt vmcnt(33)
	v_fmac_f64_e32 v[14:15], v[164:165], v[78:79]
	v_add_f64 v[0:1], v[0:1], v[14:15]
	s_waitcnt vmcnt(32)
	v_fmac_f64_e32 v[16:17], v[168:169], v[74:75]
	;; [unrolled: 3-line block ×3, first 2 shown]
	v_add_f64 v[0:1], v[0:1], v[18:19]
	s_waitcnt vmcnt(0)
	v_pk_mov_b32 v[12:13], v[2:3], v[2:3] op_sel:[0,1]
	buffer_load_dword v3, off, s[0:3], 0 offset:324
	buffer_load_dword v2, off, s[0:3], 0 offset:320
	v_accvgpr_write_b32 a145, v13
	v_accvgpr_write_b32 a144, v12
	s_waitcnt vmcnt(0)
	v_pk_mov_b32 v[14:15], v[2:3], v[2:3] op_sel:[0,1]
	buffer_load_dword v103, off, s[0:3], 0 offset:316
	buffer_load_dword v102, off, s[0:3], 0 offset:312
	;; [unrolled: 1-line block ×6, first 2 shown]
	v_accvgpr_write_b32 a147, v15
	v_accvgpr_write_b32 a146, v14
	s_waitcnt vmcnt(0)
	v_pk_mov_b32 v[22:23], v[2:3], v[2:3] op_sel:[0,1]
	buffer_load_dword v3, off, s[0:3], 0 offset:356
	buffer_load_dword v2, off, s[0:3], 0 offset:352
	v_accvgpr_write_b32 a151, v23
	v_accvgpr_write_b32 a150, v22
	s_waitcnt vmcnt(0)
	v_pk_mov_b32 v[24:25], v[2:3], v[2:3] op_sel:[0,1]
	buffer_load_dword v3, off, s[0:3], 0 offset:348
	buffer_load_dword v2, off, s[0:3], 0 offset:344
	;; [unrolled: 6-line block ×3, first 2 shown]
	buffer_load_dword v3, off, s[0:3], 0 offset:396
	buffer_load_dword v2, off, s[0:3], 0 offset:392
	v_accvgpr_write_b32 a149, v17
	v_accvgpr_write_b32 a148, v16
	s_waitcnt vmcnt(0)
	v_pk_mov_b32 v[28:29], v[2:3], v[2:3] op_sel:[0,1]
	buffer_load_dword v3, off, s[0:3], 0 offset:388
	buffer_load_dword v2, off, s[0:3], 0 offset:384
	v_accvgpr_write_b32 a155, v29
	v_accvgpr_write_b32 a154, v28
	s_waitcnt vmcnt(0)
	v_pk_mov_b32 v[30:31], v[2:3], v[2:3] op_sel:[0,1]
	buffer_load_dword v241, off, s[0:3], 0 offset:380
	buffer_load_dword v240, off, s[0:3], 0 offset:376
	buffer_load_dword v245, off, s[0:3], 0 offset:372
	buffer_load_dword v244, off, s[0:3], 0 offset:368
	buffer_load_dword v3, off, s[0:3], 0 offset:428
	buffer_load_dword v2, off, s[0:3], 0 offset:424
	v_accvgpr_write_b32 a157, v31
	v_accvgpr_write_b32 a156, v30
	s_waitcnt vmcnt(0)
	v_pk_mov_b32 v[36:37], v[2:3], v[2:3] op_sel:[0,1]
	buffer_load_dword v3, off, s[0:3], 0 offset:420
	buffer_load_dword v2, off, s[0:3], 0 offset:416
	v_accvgpr_write_b32 a159, v37
	v_accvgpr_write_b32 a158, v36
	s_waitcnt vmcnt(0)
	v_pk_mov_b32 v[38:39], v[2:3], v[2:3] op_sel:[0,1]
	buffer_load_dword v249, off, s[0:3], 0 offset:412
	buffer_load_dword v248, off, s[0:3], 0 offset:408
	buffer_load_dword v251, off, s[0:3], 0 offset:404
	buffer_load_dword v250, off, s[0:3], 0 offset:400
	;; [unrolled: 16-line block ×3, first 2 shown]
	buffer_load_dword v3, off, s[0:3], 0 offset:492
	buffer_load_dword v2, off, s[0:3], 0 offset:488
	;; [unrolled: 1-line block ×16, first 2 shown]
	ds_read_b128 v[178:181], v20 offset:960
	ds_read_b128 v[182:185], v20 offset:976
	;; [unrolled: 1-line block ×12, first 2 shown]
	s_waitcnt lgkmcnt(5)
	v_mul_f64 v[6:7], v[202:203], v[102:103]
	v_fmac_f64_e32 v[6:7], v[204:205], v[104:105]
	s_waitcnt lgkmcnt(4)
	v_mul_f64 v[10:11], v[226:227], v[12:13]
	v_fmac_f64_e32 v[10:11], v[228:229], v[14:15]
	s_waitcnt lgkmcnt(3)
	v_mul_f64 v[14:15], v[222:223], v[16:17]
	ds_read_b128 v[116:119], v20 offset:1152
	v_fmac_f64_e32 v[14:15], v[224:225], v[236:237]
	s_waitcnt lgkmcnt(3)
	v_mul_f64 v[18:19], v[218:219], v[22:23]
	v_fmac_f64_e32 v[18:19], v[220:221], v[24:25]
	s_waitcnt lgkmcnt(2)
	v_mul_f64 v[22:23], v[214:215], v[240:241]
	;; [unrolled: 3-line block ×3, first 2 shown]
	v_fmac_f64_e32 v[26:27], v[122:123], v[30:31]
	v_accvgpr_write_b32 a165, v129
	v_accvgpr_write_b32 a164, v128
	s_waitcnt vmcnt(14)
	v_pk_mov_b32 v[146:147], v[2:3], v[2:3] op_sel:[0,1]
	v_mul_f64 v[2:3], v[52:53], v[82:83]
	v_fmac_f64_e32 v[2:3], v[54:55], v[88:89]
	v_add_f64 v[0:1], v[0:1], v[2:3]
	v_mul_f64 v[2:3], v[178:179], v[94:95]
	v_fmac_f64_e32 v[2:3], v[180:181], v[114:115]
	v_add_f64 v[0:1], v[0:1], v[2:3]
	;; [unrolled: 3-line block ×7, first 2 shown]
	v_add_f64 v[8:9], v[4:5], v[6:7]
	v_add_f64 v[12:13], v[8:9], v[10:11]
	v_add_f64 v[16:17], v[12:13], v[14:15]
	v_add_f64 v[0:1], v[16:17], v[18:19]
	v_add_f64 v[24:25], v[0:1], v[22:23]
	v_add_f64 v[28:29], v[24:25], v[26:27]
	ds_read_b128 v[24:27], v20 offset:1168
	s_waitcnt lgkmcnt(1)
	v_mul_f64 v[30:31], v[116:117], v[248:249]
	v_fmac_f64_e32 v[30:31], v[118:119], v[250:251]
	v_add_f64 v[32:33], v[28:29], v[30:31]
	ds_read_b128 v[28:31], v20 offset:1184
	s_waitcnt lgkmcnt(1)
	v_mul_f64 v[34:35], v[24:25], v[36:37]
	v_fmac_f64_e32 v[34:35], v[26:27], v[38:39]
	v_add_f64 v[36:37], v[32:33], v[34:35]
	;; [unrolled: 5-line block ×4, first 2 shown]
	ds_read_b128 v[40:43], v20 offset:1232
	s_waitcnt vmcnt(10) lgkmcnt(1)
	v_mul_f64 v[128:129], v[36:37], v[232:233]
	s_waitcnt vmcnt(8)
	v_fmac_f64_e32 v[128:129], v[38:39], v[234:235]
	v_fma_f64 v[16:17], v[110:111], v[44:45], -v[46:47]
	ds_read_b128 v[44:47], v20 offset:1248
	v_add_f64 v[2:3], v[126:127], v[128:129]
	buffer_load_dword v127, off, s[0:3], 0 offset:540
	buffer_load_dword v126, off, s[0:3], 0 offset:536
	;; [unrolled: 1-line block ×4, first 2 shown]
	v_fma_f64 v[110:111], v[130:131], v[48:49], -v[56:57]
	buffer_load_dword v130, off, s[0:3], 0 offset:552
	buffer_load_dword v132, off, s[0:3], 0 offset:544
	;; [unrolled: 1-line block ×4, first 2 shown]
	v_mul_f64 v[48:49], v[136:137], v[50:51]
	v_fma_f64 v[86:87], v[134:135], v[86:87], -v[48:49]
	v_mul_f64 v[48:49], v[140:141], v[62:63]
	v_fma_f64 v[84:85], v[138:139], v[84:85], -v[48:49]
	buffer_load_dword v135, off, s[0:3], 0 offset:588
	buffer_load_dword v137, off, s[0:3], 0 offset:572
	;; [unrolled: 1-line block ×8, first 2 shown]
	v_mul_f64 v[50:51], v[144:145], v[58:59]
	s_waitcnt lgkmcnt(1)
	v_mul_f64 v[48:49], v[40:41], v[146:147]
	v_pk_mov_b32 v[22:23], v[146:147], v[146:147] op_sel:[0,1]
	v_fma_f64 v[12:13], v[142:143], v[60:61], -v[50:51]
	buffer_load_dword v143, off, s[0:3], 0 offset:604
	buffer_load_dword v142, off, s[0:3], 0 offset:600
	;; [unrolled: 1-line block ×5, first 2 shown]
	v_mul_f64 v[6:7], v[150:151], v[68:69]
	buffer_load_dword v150, off, s[0:3], 0 offset:608
	buffer_load_dword v145, off, s[0:3], 0 offset:620
	;; [unrolled: 1-line block ×3, first 2 shown]
	v_mul_f64 v[50:51], v[154:155], v[64:65]
	v_fma_f64 v[8:9], v[148:149], v[80:81], -v[6:7]
	v_fma_f64 v[6:7], v[152:153], v[66:67], -v[50:51]
	buffer_load_dword v148, off, s[0:3], 0 offset:648
	buffer_load_dword v155, off, s[0:3], 0 offset:636
	;; [unrolled: 1-line block ×12, first 2 shown]
	v_mul_f64 v[10:11], v[164:165], v[76:77]
	v_mul_f64 v[50:51], v[168:169], v[72:73]
	v_fma_f64 v[10:11], v[162:163], v[78:79], -v[10:11]
	v_fma_f64 v[4:5], v[166:167], v[74:75], -v[50:51]
	buffer_load_dword v165, off, s[0:3], 0 offset:684
	buffer_load_dword v164, off, s[0:3], 0 offset:680
	;; [unrolled: 1-line block ×12, first 2 shown]
	v_fmac_f64_e32 v[48:49], v[42:43], v[238:239]
	v_add_f64 v[2:3], v[2:3], v[48:49]
	v_mul_f64 v[48:49], v[176:177], v[70:71]
	v_fma_f64 v[0:1], v[174:175], v[100:101], -v[48:49]
	buffer_load_dword v175, off, s[0:3], 0 offset:732
	buffer_load_dword v174, off, s[0:3], 0 offset:728
	buffer_load_dword v177, off, s[0:3], 0 offset:724
	buffer_load_dword v176, off, s[0:3], 0 offset:720
	ds_read_b128 v[48:51], v20 offset:1264
	v_mul_f64 v[18:19], v[54:55], v[82:83]
	v_fma_f64 v[18:19], v[52:53], v[88:89], -v[18:19]
	ds_read_b128 v[52:55], v20 offset:1280
	s_waitcnt vmcnt(54) lgkmcnt(2)
	v_mul_f64 v[14:15], v[44:45], v[230:231]
	s_waitcnt vmcnt(52)
	v_fmac_f64_e32 v[14:15], v[46:47], v[124:125]
	v_add_f64 v[2:3], v[2:3], v[14:15]
	s_waitcnt lgkmcnt(1)
	v_mul_f64 v[14:15], v[48:49], v[242:243]
	v_fmac_f64_e32 v[14:15], v[50:51], v[246:247]
	ds_read_b128 v[56:59], v20 offset:1296
	ds_read_b128 v[60:63], v20 offset:1312
	v_add_f64 v[2:3], v[2:3], v[14:15]
	v_mul_f64 v[64:65], v[184:185], v[90:91]
	v_mul_f64 v[72:73], v[188:189], v[206:207]
	v_fma_f64 v[186:187], v[186:187], v[208:209], -v[72:73]
	v_mul_f64 v[88:89], v[196:197], v[210:211]
	v_fma_f64 v[196:197], v[194:195], v[212:213], -v[88:89]
	;; [unrolled: 2-line block ×4, first 2 shown]
	ds_read_b128 v[96:99], v20 offset:1456
	v_add_f64 v[16:17], v[16:17], 0
	v_add_f64 v[16:17], v[16:17], v[110:111]
	;; [unrolled: 1-line block ×3, first 2 shown]
	ds_read_b128 v[72:75], v20 offset:1360
	v_add_f64 v[16:17], v[16:17], v[84:85]
	v_add_f64 v[12:13], v[16:17], v[12:13]
	;; [unrolled: 1-line block ×6, first 2 shown]
	ds_read_b128 v[208:211], v20 offset:1408
	v_add_f64 v[0:1], v[4:5], v[0:1]
	v_add_f64 v[0:1], v[0:1], v[18:19]
	v_accvgpr_read_b32 v4, a144
	v_accvgpr_read_b32 v5, a145
	;; [unrolled: 1-line block ×3, first 2 shown]
	v_mul_f64 v[4:5], v[228:229], v[4:5]
	v_accvgpr_read_b32 v7, a147
	v_fma_f64 v[4:5], v[226:227], v[6:7], -v[4:5]
	v_accvgpr_read_b32 v6, a152
	v_accvgpr_read_b32 v7, a153
	s_waitcnt vmcnt(50) lgkmcnt(5)
	v_mul_f64 v[14:15], v[52:53], v[126:127]
	s_waitcnt vmcnt(48)
	v_fmac_f64_e32 v[14:15], v[54:55], v[128:129]
	v_add_f64 v[2:3], v[2:3], v[14:15]
	v_mul_f64 v[14:15], v[180:181], v[94:95]
	v_fma_f64 v[14:15], v[178:179], v[114:115], -v[14:15]
	v_fma_f64 v[178:179], v[182:183], v[92:93], -v[64:65]
	ds_read_b128 v[64:67], v20 offset:1328
	s_waitcnt vmcnt(45) lgkmcnt(5)
	v_mul_f64 v[68:69], v[56:57], v[130:131]
	s_waitcnt vmcnt(44)
	v_fmac_f64_e32 v[68:69], v[58:59], v[132:133]
	v_add_f64 v[2:3], v[2:3], v[68:69]
	s_waitcnt vmcnt(41) lgkmcnt(4)
	v_mul_f64 v[68:69], v[60:61], v[136:137]
	s_waitcnt vmcnt(39)
	v_fmac_f64_e32 v[68:69], v[62:63], v[140:141]
	v_add_f64 v[2:3], v[2:3], v[68:69]
	s_waitcnt vmcnt(38) lgkmcnt(0)
	v_mul_f64 v[68:69], v[64:65], v[134:135]
	s_waitcnt vmcnt(36)
	v_fmac_f64_e32 v[68:69], v[66:67], v[138:139]
	v_add_f64 v[2:3], v[2:3], v[68:69]
	ds_read_b128 v[68:71], v20 offset:1344
	s_waitcnt vmcnt(29)
	v_mul_f64 v[80:81], v[72:73], v[144:145]
	s_waitcnt vmcnt(28)
	v_fmac_f64_e32 v[80:81], v[74:75], v[150:151]
	ds_read_b128 v[92:95], v20 offset:1424
	v_add_f64 v[0:1], v[0:1], v[14:15]
	s_waitcnt lgkmcnt(1)
	v_mul_f64 v[76:77], v[68:69], v[142:143]
	v_fmac_f64_e32 v[76:77], v[70:71], v[146:147]
	v_add_f64 v[2:3], v[2:3], v[76:77]
	v_mul_f64 v[76:77], v[192:193], v[106:107]
	v_fma_f64 v[192:193], v[190:191], v[108:109], -v[76:77]
	ds_read_b128 v[76:79], v20 offset:1376
	v_add_f64 v[2:3], v[2:3], v[80:81]
	ds_read_b128 v[80:83], v20 offset:1392
	v_add_f64 v[0:1], v[0:1], v[178:179]
	v_add_f64 v[0:1], v[0:1], v[186:187]
	s_waitcnt vmcnt(25) lgkmcnt(1)
	v_mul_f64 v[88:89], v[76:77], v[154:155]
	s_waitcnt vmcnt(23)
	v_fmac_f64_e32 v[88:89], v[78:79], v[158:159]
	v_add_f64 v[2:3], v[2:3], v[88:89]
	s_waitcnt vmcnt(21) lgkmcnt(0)
	v_mul_f64 v[88:89], v[80:81], v[148:149]
	s_waitcnt vmcnt(20)
	v_fmac_f64_e32 v[88:89], v[82:83], v[152:153]
	v_add_f64 v[2:3], v[2:3], v[88:89]
	s_waitcnt vmcnt(18)
	v_mul_f64 v[88:89], v[208:209], v[156:157]
	s_waitcnt vmcnt(16)
	v_fmac_f64_e32 v[88:89], v[210:211], v[160:161]
	v_add_f64 v[2:3], v[2:3], v[88:89]
	ds_read_b128 v[88:91], v20 offset:1440
	s_waitcnt vmcnt(14)
	v_mul_f64 v[100:101], v[92:93], v[164:165]
	s_waitcnt vmcnt(12)
	v_fmac_f64_e32 v[100:101], v[94:95], v[166:167]
	v_add_f64 v[2:3], v[2:3], v[100:101]
	v_add_f64 v[0:1], v[0:1], v[192:193]
	s_waitcnt vmcnt(9) lgkmcnt(0)
	v_mul_f64 v[100:101], v[88:89], v[170:171]
	s_waitcnt vmcnt(7)
	v_fmac_f64_e32 v[100:101], v[90:91], v[172:173]
	v_add_f64 v[2:3], v[2:3], v[100:101]
	s_waitcnt vmcnt(5)
	v_mul_f64 v[100:101], v[96:97], v[162:163]
	s_waitcnt vmcnt(4)
	v_fmac_f64_e32 v[100:101], v[98:99], v[168:169]
	v_add_f64 v[2:3], v[2:3], v[100:101]
	ds_read_b128 v[100:103], v20 offset:1472
	v_add_f64 v[202:203], v[0:1], v[196:197]
	v_add_f64 v[0:1], v[202:203], v[198:199]
	;; [unrolled: 1-line block ×4, first 2 shown]
	s_waitcnt vmcnt(2) lgkmcnt(0)
	v_mul_f64 v[104:105], v[100:101], v[174:175]
	s_waitcnt vmcnt(0)
	v_fmac_f64_e32 v[104:105], v[102:103], v[176:177]
	v_add_f64 v[108:109], v[2:3], v[104:105]
	buffer_load_dword v2, off, s[0:3], 0 offset:744
	buffer_load_dword v3, off, s[0:3], 0 offset:748
	;; [unrolled: 1-line block ×4, first 2 shown]
	ds_read_b128 v[104:107], v20 offset:1488
	buffer_load_dword v183, off, s[0:3], 0 offset:764
	buffer_load_dword v182, off, s[0:3], 0 offset:760
	;; [unrolled: 1-line block ×4, first 2 shown]
	ds_read_b128 v[204:207], v20 offset:1504
	buffer_load_dword v188, off, s[0:3], 0 offset:776
	buffer_load_dword v189, off, s[0:3], 0 offset:780
	;; [unrolled: 1-line block ×4, first 2 shown]
	v_accvgpr_read_b32 v4, a148
	v_accvgpr_read_b32 v5, a149
	v_mul_f64 v[4:5], v[224:225], v[4:5]
	v_fma_f64 v[4:5], v[222:223], v[236:237], -v[4:5]
	v_add_f64 v[0:1], v[0:1], v[4:5]
	v_accvgpr_read_b32 v4, a150
	v_accvgpr_read_b32 v5, a151
	v_mul_f64 v[4:5], v[220:221], v[4:5]
	v_fma_f64 v[4:5], v[218:219], v[6:7], -v[4:5]
	v_add_f64 v[0:1], v[0:1], v[4:5]
	v_mul_f64 v[4:5], v[216:217], v[240:241]
	v_fma_f64 v[4:5], v[214:215], v[244:245], -v[4:5]
	v_add_f64 v[0:1], v[0:1], v[4:5]
	v_accvgpr_read_b32 v4, a154
	v_accvgpr_read_b32 v5, a155
	v_accvgpr_read_b32 v6, a156
	v_mul_f64 v[4:5], v[122:123], v[4:5]
	v_accvgpr_read_b32 v7, a157
	v_fma_f64 v[4:5], v[120:121], v[6:7], -v[4:5]
	v_add_f64 v[0:1], v[0:1], v[4:5]
	v_mul_f64 v[4:5], v[118:119], v[248:249]
	v_fma_f64 v[4:5], v[116:117], v[250:251], -v[4:5]
	v_add_f64 v[0:1], v[0:1], v[4:5]
	v_accvgpr_read_b32 v4, a158
	v_accvgpr_read_b32 v5, a159
	v_accvgpr_read_b32 v6, a160
	v_mul_f64 v[4:5], v[26:27], v[4:5]
	v_accvgpr_read_b32 v7, a161
	;; [unrolled: 10-line block ×3, first 2 shown]
	v_fma_f64 v[4:5], v[32:33], v[6:7], -v[4:5]
	v_add_f64 v[0:1], v[0:1], v[4:5]
	v_mul_f64 v[4:5], v[38:39], v[232:233]
	v_fma_f64 v[4:5], v[36:37], v[234:235], -v[4:5]
	v_add_f64 v[0:1], v[0:1], v[4:5]
	v_mul_f64 v[4:5], v[42:43], v[22:23]
	;; [unrolled: 3-line block ×11, first 2 shown]
	v_fma_f64 v[4:5], v[76:77], v[158:159], -v[4:5]
	v_add_f64 v[0:1], v[0:1], v[4:5]
	s_waitcnt vmcnt(10) lgkmcnt(1)
	v_mul_f64 v[112:113], v[104:105], v[2:3]
	v_mul_f64 v[4:5], v[82:83], v[148:149]
	s_waitcnt vmcnt(8)
	v_fmac_f64_e32 v[112:113], v[106:107], v[180:181]
	v_add_f64 v[108:109], v[108:109], v[112:113]
	s_waitcnt vmcnt(6) lgkmcnt(0)
	v_mul_f64 v[112:113], v[204:205], v[182:183]
	s_waitcnt vmcnt(4)
	v_fmac_f64_e32 v[112:113], v[206:207], v[184:185]
	v_add_f64 v[108:109], v[108:109], v[112:113]
	ds_read_b128 v[112:115], v20 offset:1520
	v_fma_f64 v[4:5], v[80:81], v[152:153], -v[4:5]
	v_add_f64 v[0:1], v[0:1], v[4:5]
	v_mul_f64 v[4:5], v[210:211], v[156:157]
	v_fma_f64 v[4:5], v[208:209], v[160:161], -v[4:5]
	s_waitcnt vmcnt(2) lgkmcnt(0)
	v_mul_f64 v[194:195], v[112:113], v[188:189]
	s_waitcnt vmcnt(0)
	v_fmac_f64_e32 v[194:195], v[114:115], v[190:191]
	v_add_f64 v[108:109], v[108:109], v[194:195]
	buffer_load_dword v194, off, s[0:3], 0 offset:16
	buffer_load_dword v195, off, s[0:3], 0 offset:20
	;; [unrolled: 1-line block ×4, first 2 shown]
	v_add_f64 v[0:1], v[0:1], v[4:5]
	v_mul_f64 v[4:5], v[94:95], v[164:165]
	v_fma_f64 v[4:5], v[92:93], v[166:167], -v[4:5]
	v_add_f64 v[0:1], v[0:1], v[4:5]
	v_mul_f64 v[4:5], v[90:91], v[170:171]
	v_fma_f64 v[4:5], v[88:89], v[172:173], -v[4:5]
	;; [unrolled: 3-line block ×4, first 2 shown]
	v_mul_f64 v[2:3], v[106:107], v[2:3]
	v_add_f64 v[0:1], v[0:1], v[4:5]
	v_fma_f64 v[2:3], v[104:105], v[180:181], -v[2:3]
	v_add_f64 v[0:1], v[0:1], v[2:3]
	v_mul_f64 v[2:3], v[206:207], v[182:183]
	v_fma_f64 v[2:3], v[204:205], v[184:185], -v[2:3]
	v_add_f64 v[0:1], v[0:1], v[2:3]
	v_mul_f64 v[2:3], v[114:115], v[188:189]
	v_fma_f64 v[2:3], v[112:113], v[190:191], -v[2:3]
	v_add_f64 v[0:1], v[0:1], v[2:3]
	s_waitcnt vmcnt(2)
	v_add_f64 v[0:1], v[194:195], -v[0:1]
	s_waitcnt vmcnt(0)
	v_add_f64 v[2:3], v[192:193], -v[108:109]
	buffer_store_dword v1, off, s[0:3], 0 offset:20
	buffer_store_dword v0, off, s[0:3], 0 offset:16
	;; [unrolled: 1-line block ×4, first 2 shown]
	s_cbranch_vccz .LBB47_397
; %bb.302:
	v_pk_mov_b32 v[0:1], s[10:11], s[10:11] op_sel:[0,1]
	flat_load_dword v0, v[0:1] offset:184
	s_waitcnt vmcnt(0) lgkmcnt(0)
	v_add_u32_e32 v0, -1, v0
	v_cmp_ne_u32_e32 vcc, 46, v0
	s_and_saveexec_b64 s[4:5], vcc
	s_cbranch_execz .LBB47_304
; %bb.303:
	v_mov_b32_e32 v1, 16
	v_accvgpr_read_b32 v9, a97
	v_lshl_add_u32 v0, v0, 4, v1
	buffer_load_dword v1, v9, s[0:3], 0 offen offset:4
	buffer_load_dword v2, v9, s[0:3], 0 offen offset:8
	buffer_load_dword v3, v9, s[0:3], 0 offen offset:12
	buffer_load_dword v4, v0, s[0:3], 0 offen
	buffer_load_dword v5, v0, s[0:3], 0 offen offset:4
	buffer_load_dword v6, v0, s[0:3], 0 offen offset:8
	buffer_load_dword v7, v0, s[0:3], 0 offen offset:12
	buffer_load_dword v8, v9, s[0:3], 0 offen
	s_waitcnt vmcnt(4)
	buffer_store_dword v4, v9, s[0:3], 0 offen
	s_waitcnt vmcnt(4)
	buffer_store_dword v5, v9, s[0:3], 0 offen offset:4
	s_waitcnt vmcnt(4)
	buffer_store_dword v6, v9, s[0:3], 0 offen offset:8
	s_waitcnt vmcnt(4)
	buffer_store_dword v7, v9, s[0:3], 0 offen offset:12
	buffer_store_dword v3, v0, s[0:3], 0 offen offset:12
	buffer_store_dword v2, v0, s[0:3], 0 offen offset:8
	buffer_store_dword v1, v0, s[0:3], 0 offen offset:4
	s_waitcnt vmcnt(7)
	buffer_store_dword v8, v0, s[0:3], 0 offen
.LBB47_304:
	s_or_b64 exec, exec, s[4:5]
	v_pk_mov_b32 v[0:1], s[10:11], s[10:11] op_sel:[0,1]
	flat_load_dword v0, v[0:1] offset:180
	s_waitcnt vmcnt(0) lgkmcnt(0)
	v_add_u32_e32 v0, -1, v0
	v_cmp_ne_u32_e32 vcc, 45, v0
	s_and_saveexec_b64 s[4:5], vcc
	s_cbranch_execz .LBB47_306
; %bb.305:
	v_mov_b32_e32 v1, 16
	v_accvgpr_read_b32 v9, a98
	v_lshl_add_u32 v0, v0, 4, v1
	buffer_load_dword v1, v9, s[0:3], 0 offen offset:4
	buffer_load_dword v2, v9, s[0:3], 0 offen offset:8
	buffer_load_dword v3, v9, s[0:3], 0 offen offset:12
	buffer_load_dword v4, v0, s[0:3], 0 offen
	buffer_load_dword v5, v0, s[0:3], 0 offen offset:4
	buffer_load_dword v6, v0, s[0:3], 0 offen offset:8
	buffer_load_dword v7, v0, s[0:3], 0 offen offset:12
	buffer_load_dword v8, v9, s[0:3], 0 offen
	s_waitcnt vmcnt(4)
	buffer_store_dword v4, v9, s[0:3], 0 offen
	s_waitcnt vmcnt(4)
	buffer_store_dword v5, v9, s[0:3], 0 offen offset:4
	s_waitcnt vmcnt(4)
	buffer_store_dword v6, v9, s[0:3], 0 offen offset:8
	s_waitcnt vmcnt(4)
	buffer_store_dword v7, v9, s[0:3], 0 offen offset:12
	buffer_store_dword v3, v0, s[0:3], 0 offen offset:12
	buffer_store_dword v2, v0, s[0:3], 0 offen offset:8
	buffer_store_dword v1, v0, s[0:3], 0 offen offset:4
	s_waitcnt vmcnt(7)
	buffer_store_dword v8, v0, s[0:3], 0 offen
.LBB47_306:
	s_or_b64 exec, exec, s[4:5]
	;; [unrolled: 34-line block ×46, first 2 shown]
	v_pk_mov_b32 v[0:1], s[10:11], s[10:11] op_sel:[0,1]
	flat_load_dword v0, v[0:1]
	s_waitcnt vmcnt(0) lgkmcnt(0)
	v_add_u32_e32 v0, -1, v0
	v_cmp_ne_u32_e32 vcc, 0, v0
	s_and_saveexec_b64 s[4:5], vcc
	s_cbranch_execz .LBB47_396
; %bb.395:
	v_mov_b32_e32 v1, 16
	v_lshl_add_u32 v0, v0, 4, v1
	buffer_load_dword v1, v0, s[0:3], 0 offen
	buffer_load_dword v2, v0, s[0:3], 0 offen offset:4
	buffer_load_dword v3, v0, s[0:3], 0 offen offset:8
	;; [unrolled: 1-line block ×3, first 2 shown]
	buffer_load_dword v5, off, s[0:3], 0 offset:28
	buffer_load_dword v6, off, s[0:3], 0 offset:24
	;; [unrolled: 1-line block ×4, first 2 shown]
	s_waitcnt vmcnt(7)
	buffer_store_dword v1, off, s[0:3], 0 offset:16
	s_waitcnt vmcnt(7)
	buffer_store_dword v2, off, s[0:3], 0 offset:20
	;; [unrolled: 2-line block ×4, first 2 shown]
	s_waitcnt vmcnt(7)
	buffer_store_dword v5, v0, s[0:3], 0 offen offset:12
	s_waitcnt vmcnt(7)
	buffer_store_dword v6, v0, s[0:3], 0 offen offset:8
	;; [unrolled: 2-line block ×3, first 2 shown]
	s_waitcnt vmcnt(7)
	buffer_store_dword v8, v0, s[0:3], 0 offen
.LBB47_396:
	s_or_b64 exec, exec, s[4:5]
.LBB47_397:
	buffer_load_dword v0, off, s[0:3], 0 offset:16
	buffer_load_dword v1, off, s[0:3], 0 offset:20
	;; [unrolled: 1-line block ×4, first 2 shown]
	v_accvgpr_read_b32 v4, a78
	v_accvgpr_read_b32 v5, a79
	s_waitcnt vmcnt(0)
	global_store_dwordx4 v[4:5], v[0:3], off
	s_nop 0
	v_accvgpr_read_b32 v3, a142
	buffer_load_dword v0, v3, s[0:3], 0 offen
	buffer_load_dword v1, v3, s[0:3], 0 offen offset:4
	buffer_load_dword v2, v3, s[0:3], 0 offen offset:8
	s_nop 0
	buffer_load_dword v3, v3, s[0:3], 0 offen offset:12
	v_accvgpr_read_b32 v4, a72
	v_accvgpr_read_b32 v5, a73
	s_waitcnt vmcnt(0)
	global_store_dwordx4 v[4:5], v[0:3], off
	s_nop 0
	v_accvgpr_read_b32 v3, a141
	buffer_load_dword v0, v3, s[0:3], 0 offen
	buffer_load_dword v1, v3, s[0:3], 0 offen offset:4
	buffer_load_dword v2, v3, s[0:3], 0 offen offset:8
	s_nop 0
	buffer_load_dword v3, v3, s[0:3], 0 offen offset:12
	;; [unrolled: 11-line block ×6, first 2 shown]
	v_accvgpr_read_b32 v4, a38
	v_accvgpr_read_b32 v5, a39
	s_waitcnt vmcnt(0)
	global_store_dwordx4 v[4:5], v[0:3], off
	v_accvgpr_read_b32 v4, a136
	buffer_load_dword v0, v4, s[0:3], 0 offen
	buffer_load_dword v1, v4, s[0:3], 0 offen offset:4
	buffer_load_dword v2, v4, s[0:3], 0 offen offset:8
	buffer_load_dword v3, v4, s[0:3], 0 offen offset:12
	v_accvgpr_read_b32 v4, a94
	v_accvgpr_read_b32 v5, a95
	s_waitcnt vmcnt(0)
	global_store_dwordx4 v[4:5], v[0:3], off
	v_accvgpr_read_b32 v4, a135
	buffer_load_dword v0, v4, s[0:3], 0 offen
	buffer_load_dword v1, v4, s[0:3], 0 offen offset:4
	buffer_load_dword v2, v4, s[0:3], 0 offen offset:8
	buffer_load_dword v3, v4, s[0:3], 0 offen offset:12
	;; [unrolled: 9-line block ×41, first 2 shown]
	v_accvgpr_read_b32 v5, a1
	v_accvgpr_read_b32 v4, a0
	s_waitcnt vmcnt(0)
	global_store_dwordx4 v[4:5], v[0:3], off
	s_endpgm
	.section	.rodata,"a",@progbits
	.p2align	6, 0x0
	.amdhsa_kernel _ZN9rocsolver6v33100L18getri_kernel_smallILi48E19rocblas_complex_numIdEPS3_EEvT1_iilPiilS6_bb
		.amdhsa_group_segment_fixed_size 1544
		.amdhsa_private_segment_fixed_size 800
		.amdhsa_kernarg_size 60
		.amdhsa_user_sgpr_count 8
		.amdhsa_user_sgpr_private_segment_buffer 1
		.amdhsa_user_sgpr_dispatch_ptr 0
		.amdhsa_user_sgpr_queue_ptr 0
		.amdhsa_user_sgpr_kernarg_segment_ptr 1
		.amdhsa_user_sgpr_dispatch_id 0
		.amdhsa_user_sgpr_flat_scratch_init 1
		.amdhsa_user_sgpr_kernarg_preload_length 0
		.amdhsa_user_sgpr_kernarg_preload_offset 0
		.amdhsa_user_sgpr_private_segment_size 0
		.amdhsa_uses_dynamic_stack 0
		.amdhsa_system_sgpr_private_segment_wavefront_offset 1
		.amdhsa_system_sgpr_workgroup_id_x 1
		.amdhsa_system_sgpr_workgroup_id_y 0
		.amdhsa_system_sgpr_workgroup_id_z 0
		.amdhsa_system_sgpr_workgroup_info 0
		.amdhsa_system_vgpr_workitem_id 0
		.amdhsa_next_free_vgpr 422
		.amdhsa_next_free_sgpr 23
		.amdhsa_accum_offset 256
		.amdhsa_reserve_vcc 1
		.amdhsa_reserve_flat_scratch 1
		.amdhsa_float_round_mode_32 0
		.amdhsa_float_round_mode_16_64 0
		.amdhsa_float_denorm_mode_32 3
		.amdhsa_float_denorm_mode_16_64 3
		.amdhsa_dx10_clamp 1
		.amdhsa_ieee_mode 1
		.amdhsa_fp16_overflow 0
		.amdhsa_tg_split 0
		.amdhsa_exception_fp_ieee_invalid_op 0
		.amdhsa_exception_fp_denorm_src 0
		.amdhsa_exception_fp_ieee_div_zero 0
		.amdhsa_exception_fp_ieee_overflow 0
		.amdhsa_exception_fp_ieee_underflow 0
		.amdhsa_exception_fp_ieee_inexact 0
		.amdhsa_exception_int_div_zero 0
	.end_amdhsa_kernel
	.section	.text._ZN9rocsolver6v33100L18getri_kernel_smallILi48E19rocblas_complex_numIdEPS3_EEvT1_iilPiilS6_bb,"axG",@progbits,_ZN9rocsolver6v33100L18getri_kernel_smallILi48E19rocblas_complex_numIdEPS3_EEvT1_iilPiilS6_bb,comdat
.Lfunc_end47:
	.size	_ZN9rocsolver6v33100L18getri_kernel_smallILi48E19rocblas_complex_numIdEPS3_EEvT1_iilPiilS6_bb, .Lfunc_end47-_ZN9rocsolver6v33100L18getri_kernel_smallILi48E19rocblas_complex_numIdEPS3_EEvT1_iilPiilS6_bb
                                        ; -- End function
	.section	.AMDGPU.csdata,"",@progbits
; Kernel info:
; codeLenInByte = 146928
; NumSgprs: 29
; NumVgprs: 256
; NumAgprs: 166
; TotalNumVgprs: 422
; ScratchSize: 800
; MemoryBound: 0
; FloatMode: 240
; IeeeMode: 1
; LDSByteSize: 1544 bytes/workgroup (compile time only)
; SGPRBlocks: 3
; VGPRBlocks: 52
; NumSGPRsForWavesPerEU: 29
; NumVGPRsForWavesPerEU: 422
; AccumOffset: 256
; Occupancy: 1
; WaveLimiterHint : 1
; COMPUTE_PGM_RSRC2:SCRATCH_EN: 1
; COMPUTE_PGM_RSRC2:USER_SGPR: 8
; COMPUTE_PGM_RSRC2:TRAP_HANDLER: 0
; COMPUTE_PGM_RSRC2:TGID_X_EN: 1
; COMPUTE_PGM_RSRC2:TGID_Y_EN: 0
; COMPUTE_PGM_RSRC2:TGID_Z_EN: 0
; COMPUTE_PGM_RSRC2:TIDIG_COMP_CNT: 0
; COMPUTE_PGM_RSRC3_GFX90A:ACCUM_OFFSET: 63
; COMPUTE_PGM_RSRC3_GFX90A:TG_SPLIT: 0
	.section	.text._ZN9rocsolver6v33100L18getri_kernel_smallILi49E19rocblas_complex_numIdEPS3_EEvT1_iilPiilS6_bb,"axG",@progbits,_ZN9rocsolver6v33100L18getri_kernel_smallILi49E19rocblas_complex_numIdEPS3_EEvT1_iilPiilS6_bb,comdat
	.globl	_ZN9rocsolver6v33100L18getri_kernel_smallILi49E19rocblas_complex_numIdEPS3_EEvT1_iilPiilS6_bb ; -- Begin function _ZN9rocsolver6v33100L18getri_kernel_smallILi49E19rocblas_complex_numIdEPS3_EEvT1_iilPiilS6_bb
	.p2align	8
	.type	_ZN9rocsolver6v33100L18getri_kernel_smallILi49E19rocblas_complex_numIdEPS3_EEvT1_iilPiilS6_bb,@function
_ZN9rocsolver6v33100L18getri_kernel_smallILi49E19rocblas_complex_numIdEPS3_EEvT1_iilPiilS6_bb: ; @_ZN9rocsolver6v33100L18getri_kernel_smallILi49E19rocblas_complex_numIdEPS3_EEvT1_iilPiilS6_bb
; %bb.0:
	s_add_u32 flat_scratch_lo, s6, s9
	s_addc_u32 flat_scratch_hi, s7, 0
	s_add_u32 s0, s0, s9
	v_mov_b32_e32 v254, v0
	s_addc_u32 s1, s1, 0
	v_cmp_gt_u32_e32 vcc, 49, v254
	s_and_saveexec_b64 s[6:7], vcc
	s_cbranch_execz .LBB48_210
; %bb.1:
	s_load_dword s22, s[4:5], 0x38
	s_load_dwordx4 s[16:19], s[4:5], 0x10
	s_load_dwordx4 s[12:15], s[4:5], 0x28
                                        ; implicit-def: $sgpr10_sgpr11
	s_waitcnt lgkmcnt(0)
	s_bitcmp1_b32 s22, 8
	s_cselect_b64 s[20:21], -1, 0
	s_ashr_i32 s9, s8, 31
	s_bfe_u32 s6, s22, 0x10008
	s_cmp_eq_u32 s6, 0
	s_cbranch_scc1 .LBB48_3
; %bb.2:
	s_load_dword s6, s[4:5], 0x20
	s_mul_i32 s7, s8, s13
	s_mul_hi_u32 s10, s8, s12
	s_mul_i32 s11, s9, s12
	s_add_i32 s10, s10, s7
	s_add_i32 s11, s10, s11
	s_mul_i32 s10, s8, s12
	s_waitcnt lgkmcnt(0)
	s_ashr_i32 s7, s6, 31
	s_lshl_b64 s[10:11], s[10:11], 2
	s_add_u32 s10, s18, s10
	s_addc_u32 s11, s19, s11
	s_lshl_b64 s[6:7], s[6:7], 2
	s_add_u32 s10, s10, s6
	s_addc_u32 s11, s11, s7
.LBB48_3:
	s_load_dwordx4 s[4:7], s[4:5], 0x0
	s_mul_i32 s12, s8, s17
	s_mul_hi_u32 s13, s8, s16
	s_add_i32 s17, s13, s12
	v_lshlrev_b32_e32 v1, 4, v254
	s_waitcnt lgkmcnt(0)
	s_ashr_i32 s13, s6, 31
	s_mov_b32 s12, s6
	s_mul_i32 s6, s9, s16
	s_add_i32 s17, s17, s6
	s_mul_i32 s16, s8, s16
	s_lshl_b64 s[16:17], s[16:17], 4
	s_add_u32 s6, s4, s16
	s_addc_u32 s16, s5, s17
	s_lshl_b64 s[4:5], s[12:13], 4
	s_add_u32 s4, s6, s4
	s_addc_u32 s5, s16, s5
	v_mov_b32_e32 v0, s5
	v_add_co_u32_e32 v6, vcc, s4, v1
	global_load_dwordx4 v[2:5], v1, s[4:5]
	s_ashr_i32 s13, s7, 31
	s_mov_b32 s12, s7
	v_addc_co_u32_e32 v7, vcc, 0, v0, vcc
	s_lshl_b64 s[12:13], s[12:13], 4
	v_accvgpr_write_b32 a0, v6
	s_add_i32 s6, s7, s7
	v_mov_b32_e32 v0, s13
	v_add_co_u32_e32 v10, vcc, s12, v6
	v_accvgpr_write_b32 a1, v7
	v_add_u32_e32 v6, s6, v254
	v_addc_co_u32_e32 v11, vcc, v7, v0, vcc
	v_ashrrev_i32_e32 v7, 31, v6
	v_accvgpr_write_b32 a2, v10
	v_lshlrev_b64 v[8:9], 4, v[6:7]
	v_accvgpr_write_b32 a3, v11
	global_load_dwordx4 v[10:13], v[10:11], off
	v_mov_b32_e32 v0, s5
	v_add_co_u32_e32 v8, vcc, s4, v8
	v_add_u32_e32 v6, s7, v6
	v_addc_co_u32_e32 v9, vcc, v0, v9, vcc
	global_load_dwordx4 v[14:17], v[8:9], off
	v_accvgpr_write_b32 a4, v8
	v_ashrrev_i32_e32 v7, 31, v6
	v_accvgpr_write_b32 a5, v9
	v_lshlrev_b64 v[8:9], 4, v[6:7]
	v_add_co_u32_e32 v8, vcc, s4, v8
	v_add_u32_e32 v6, s7, v6
	v_addc_co_u32_e32 v9, vcc, v0, v9, vcc
	v_accvgpr_write_b32 a6, v8
	v_ashrrev_i32_e32 v7, 31, v6
	v_accvgpr_write_b32 a7, v9
	global_load_dwordx4 v[18:21], v[8:9], off
	v_add_u32_e32 v8, s7, v6
	v_lshlrev_b64 v[6:7], 4, v[6:7]
	v_add_co_u32_e32 v22, vcc, s4, v6
	v_addc_co_u32_e32 v23, vcc, v0, v7, vcc
	v_accvgpr_write_b32 a10, v22
	v_ashrrev_i32_e32 v9, 31, v8
	v_accvgpr_write_b32 a11, v23
	global_load_dwordx4 v[22:25], v[22:23], off
	v_lshlrev_b64 v[6:7], 4, v[8:9]
	v_mov_b32_e32 v28, s5
	v_add_u32_e32 v26, s7, v8
	v_add_co_u32_e32 v32, vcc, s4, v6
	v_ashrrev_i32_e32 v27, 31, v26
	v_addc_co_u32_e32 v33, vcc, v28, v7, vcc
	v_add_u32_e32 v8, s7, v26
	v_lshlrev_b64 v[6:7], 4, v[26:27]
	global_load_dwordx4 v[26:29], v[32:33], off
	v_accvgpr_write_b32 a12, v32
	v_mov_b32_e32 v30, s5
	v_accvgpr_write_b32 a13, v33
	v_add_co_u32_e32 v32, vcc, s4, v6
	v_addc_co_u32_e32 v33, vcc, v30, v7, vcc
	v_accvgpr_write_b32 a8, v32
	v_ashrrev_i32_e32 v9, 31, v8
	v_accvgpr_write_b32 a9, v33
	global_load_dwordx4 v[30:33], v[32:33], off
	v_lshlrev_b64 v[6:7], 4, v[8:9]
	v_add_co_u32_e32 v34, vcc, s4, v6
	v_add_u32_e32 v38, s7, v8
	v_addc_co_u32_e32 v35, vcc, v0, v7, vcc
	v_ashrrev_i32_e32 v39, 31, v38
	v_accvgpr_write_b32 a14, v34
	v_lshlrev_b64 v[6:7], 4, v[38:39]
	v_accvgpr_write_b32 a15, v35
	global_load_dwordx4 v[34:37], v[34:35], off
	v_add_co_u32_e32 v6, vcc, s4, v6
	v_addc_co_u32_e32 v7, vcc, v0, v7, vcc
	v_accvgpr_write_b32 a17, v7
	v_accvgpr_write_b32 a16, v6
	global_load_dwordx4 v[6:9], v[6:7], off
	s_waitcnt vmcnt(8)
	buffer_store_dword v5, off, s[0:3], 0 offset:28
	buffer_store_dword v4, off, s[0:3], 0 offset:24
	buffer_store_dword v3, off, s[0:3], 0 offset:20
	buffer_store_dword v2, off, s[0:3], 0 offset:16
	s_waitcnt vmcnt(11)
	buffer_store_dword v13, off, s[0:3], 0 offset:44
	buffer_store_dword v12, off, s[0:3], 0 offset:40
	buffer_store_dword v11, off, s[0:3], 0 offset:36
	buffer_store_dword v10, off, s[0:3], 0 offset:32
	;; [unrolled: 5-line block ×4, first 2 shown]
	v_add_u32_e32 v2, s7, v38
	v_ashrrev_i32_e32 v3, 31, v2
	v_lshlrev_b64 v[4:5], 4, v[2:3]
	v_add_co_u32_e32 v10, vcc, s4, v4
	v_addc_co_u32_e32 v11, vcc, v0, v5, vcc
	v_add_u32_e32 v2, s7, v2
	v_ashrrev_i32_e32 v3, 31, v2
	v_accvgpr_write_b32 a19, v11
	v_lshlrev_b64 v[4:5], 4, v[2:3]
	v_accvgpr_write_b32 a18, v10
	global_load_dwordx4 v[10:13], v[10:11], off
	v_add_co_u32_e32 v4, vcc, s4, v4
	v_addc_co_u32_e32 v5, vcc, v0, v5, vcc
	global_load_dwordx4 v[14:17], v[4:5], off
	v_add_u32_e32 v2, s7, v2
	v_accvgpr_write_b32 a21, v5
	v_ashrrev_i32_e32 v3, 31, v2
	v_accvgpr_write_b32 a20, v4
	v_lshlrev_b64 v[4:5], 4, v[2:3]
	v_add_co_u32_e32 v18, vcc, s4, v4
	v_addc_co_u32_e32 v19, vcc, v0, v5, vcc
	s_waitcnt vmcnt(22)
	buffer_store_dword v25, off, s[0:3], 0 offset:92
	buffer_store_dword v24, off, s[0:3], 0 offset:88
	;; [unrolled: 1-line block ×4, first 2 shown]
	s_waitcnt vmcnt(25)
	buffer_store_dword v29, off, s[0:3], 0 offset:108
	buffer_store_dword v28, off, s[0:3], 0 offset:104
	;; [unrolled: 1-line block ×4, first 2 shown]
	v_add_u32_e32 v2, s7, v2
	v_accvgpr_write_b32 a23, v19
	v_ashrrev_i32_e32 v3, 31, v2
	v_accvgpr_write_b32 a22, v18
	global_load_dwordx4 v[18:21], v[18:19], off
	v_lshlrev_b64 v[4:5], 4, v[2:3]
	v_add_co_u32_e32 v4, vcc, s4, v4
	v_addc_co_u32_e32 v5, vcc, v0, v5, vcc
	global_load_dwordx4 v[22:25], v[4:5], off
	v_add_u32_e32 v2, s7, v2
	v_accvgpr_write_b32 a25, v5
	v_ashrrev_i32_e32 v3, 31, v2
	v_accvgpr_write_b32 a24, v4
	v_lshlrev_b64 v[4:5], 4, v[2:3]
	v_add_co_u32_e32 v26, vcc, s4, v4
	s_waitcnt vmcnt(30)
	buffer_store_dword v33, off, s[0:3], 0 offset:124
	buffer_store_dword v32, off, s[0:3], 0 offset:120
	;; [unrolled: 1-line block ×4, first 2 shown]
	s_waitcnt vmcnt(33)
	buffer_store_dword v37, off, s[0:3], 0 offset:140
	buffer_store_dword v36, off, s[0:3], 0 offset:136
	;; [unrolled: 1-line block ×4, first 2 shown]
	s_waitcnt vmcnt(36)
	buffer_store_dword v9, off, s[0:3], 0 offset:156
	v_addc_co_u32_e32 v27, vcc, v0, v5, vcc
	v_add_u32_e32 v2, s7, v2
	v_accvgpr_write_b32 a26, v26
	v_ashrrev_i32_e32 v3, 31, v2
	v_accvgpr_write_b32 a27, v27
	global_load_dwordx4 v[26:29], v[26:27], off
	v_lshlrev_b64 v[4:5], 4, v[2:3]
	v_add_co_u32_e32 v4, vcc, s4, v4
	v_addc_co_u32_e32 v5, vcc, v0, v5, vcc
	v_add_u32_e32 v2, s7, v2
	v_accvgpr_write_b32 a29, v5
	global_load_dwordx4 v[30:33], v[4:5], off
	v_ashrrev_i32_e32 v3, 31, v2
	v_accvgpr_write_b32 a28, v4
	v_lshlrev_b64 v[4:5], 4, v[2:3]
	v_add_co_u32_e32 v34, vcc, s4, v4
	v_addc_co_u32_e32 v35, vcc, v0, v5, vcc
	v_add_u32_e32 v2, s7, v2
	v_accvgpr_write_b32 a30, v34
	v_ashrrev_i32_e32 v3, 31, v2
	v_accvgpr_write_b32 a31, v35
	global_load_dwordx4 v[34:37], v[34:35], off
	v_lshlrev_b64 v[4:5], 4, v[2:3]
	v_add_co_u32_e32 v4, vcc, s4, v4
	v_addc_co_u32_e32 v5, vcc, v0, v5, vcc
	global_load_dwordx4 v[38:41], v[4:5], off
	v_add_u32_e32 v2, s7, v2
	v_accvgpr_write_b32 a33, v5
	v_ashrrev_i32_e32 v3, 31, v2
	v_accvgpr_write_b32 a32, v4
	v_lshlrev_b64 v[4:5], 4, v[2:3]
	v_add_co_u32_e32 v42, vcc, s4, v4
	v_addc_co_u32_e32 v43, vcc, v0, v5, vcc
	v_add_u32_e32 v2, s7, v2
	v_accvgpr_write_b32 a34, v42
	v_ashrrev_i32_e32 v3, 31, v2
	v_accvgpr_write_b32 a35, v43
	global_load_dwordx4 v[42:45], v[42:43], off
	v_lshlrev_b64 v[4:5], 4, v[2:3]
	v_add_co_u32_e32 v4, vcc, s4, v4
	v_addc_co_u32_e32 v5, vcc, v0, v5, vcc
	global_load_dwordx4 v[46:49], v[4:5], off
	v_add_u32_e32 v2, s7, v2
	v_accvgpr_write_b32 a37, v5
	v_ashrrev_i32_e32 v3, 31, v2
	v_accvgpr_write_b32 a36, v4
	v_lshlrev_b64 v[4:5], 4, v[2:3]
	v_add_co_u32_e32 v50, vcc, s4, v4
	v_addc_co_u32_e32 v51, vcc, v0, v5, vcc
	v_add_u32_e32 v2, s7, v2
	v_accvgpr_write_b32 a38, v50
	v_ashrrev_i32_e32 v3, 31, v2
	v_accvgpr_write_b32 a39, v51
	global_load_dwordx4 v[50:53], v[50:51], off
	v_lshlrev_b64 v[4:5], 4, v[2:3]
	v_add_co_u32_e32 v4, vcc, s4, v4
	v_addc_co_u32_e32 v5, vcc, v0, v5, vcc
	global_load_dwordx4 v[54:57], v[4:5], off
	v_add_u32_e32 v2, s7, v2
	v_accvgpr_write_b32 a41, v5
	v_ashrrev_i32_e32 v3, 31, v2
	v_accvgpr_write_b32 a40, v4
	v_lshlrev_b64 v[4:5], 4, v[2:3]
	v_add_co_u32_e32 v58, vcc, s4, v4
	v_addc_co_u32_e32 v59, vcc, v0, v5, vcc
	v_add_u32_e32 v2, s7, v2
	v_accvgpr_write_b32 a42, v58
	v_ashrrev_i32_e32 v3, 31, v2
	v_accvgpr_write_b32 a43, v59
	global_load_dwordx4 v[58:61], v[58:59], off
	v_lshlrev_b64 v[4:5], 4, v[2:3]
	v_add_co_u32_e32 v4, vcc, s4, v4
	v_addc_co_u32_e32 v5, vcc, v0, v5, vcc
	global_load_dwordx4 v[62:65], v[4:5], off
	v_add_u32_e32 v2, s7, v2
	v_accvgpr_write_b32 a45, v5
	v_ashrrev_i32_e32 v3, 31, v2
	v_accvgpr_write_b32 a44, v4
	v_lshlrev_b64 v[4:5], 4, v[2:3]
	v_add_co_u32_e32 v66, vcc, s4, v4
	v_addc_co_u32_e32 v67, vcc, v0, v5, vcc
	v_add_u32_e32 v2, s7, v2
	v_accvgpr_write_b32 a46, v66
	v_ashrrev_i32_e32 v3, 31, v2
	v_accvgpr_write_b32 a47, v67
	global_load_dwordx4 v[66:69], v[66:67], off
	v_lshlrev_b64 v[4:5], 4, v[2:3]
	v_add_co_u32_e32 v4, vcc, s4, v4
	v_addc_co_u32_e32 v5, vcc, v0, v5, vcc
	global_load_dwordx4 v[70:73], v[4:5], off
	v_add_u32_e32 v2, s7, v2
	v_accvgpr_write_b32 a49, v5
	v_ashrrev_i32_e32 v3, 31, v2
	v_accvgpr_write_b32 a48, v4
	v_lshlrev_b64 v[4:5], 4, v[2:3]
	v_add_co_u32_e32 v74, vcc, s4, v4
	v_addc_co_u32_e32 v75, vcc, v0, v5, vcc
	v_add_u32_e32 v2, s7, v2
	v_accvgpr_write_b32 a50, v74
	v_ashrrev_i32_e32 v3, 31, v2
	v_accvgpr_write_b32 a51, v75
	global_load_dwordx4 v[74:77], v[74:75], off
	v_lshlrev_b64 v[4:5], 4, v[2:3]
	v_add_co_u32_e32 v4, vcc, s4, v4
	v_addc_co_u32_e32 v5, vcc, v0, v5, vcc
	global_load_dwordx4 v[78:81], v[4:5], off
	v_add_u32_e32 v2, s7, v2
	v_accvgpr_write_b32 a53, v5
	v_ashrrev_i32_e32 v3, 31, v2
	v_accvgpr_write_b32 a52, v4
	v_lshlrev_b64 v[4:5], 4, v[2:3]
	v_add_co_u32_e32 v4, vcc, s4, v4
	v_add_u32_e32 v86, s7, v2
	v_addc_co_u32_e32 v5, vcc, v0, v5, vcc
	v_ashrrev_i32_e32 v87, 31, v86
	v_lshlrev_b64 v[2:3], 4, v[86:87]
	global_load_dwordx4 v[82:85], v[4:5], off
	v_add_co_u32_e32 v2, vcc, s4, v2
	v_addc_co_u32_e32 v3, vcc, v0, v3, vcc
	v_accvgpr_write_b32 a55, v5
	v_accvgpr_write_b32 a57, v3
	;; [unrolled: 1-line block ×4, first 2 shown]
	global_load_dwordx4 v[2:5], v[2:3], off
	s_nop 0
	buffer_store_dword v8, off, s[0:3], 0 offset:152
	buffer_store_dword v7, off, s[0:3], 0 offset:148
	buffer_store_dword v6, off, s[0:3], 0 offset:144
	s_waitcnt vmcnt(39)
	buffer_store_dword v10, off, s[0:3], 0 offset:160
	buffer_store_dword v11, off, s[0:3], 0 offset:164
	buffer_store_dword v12, off, s[0:3], 0 offset:168
	buffer_store_dword v13, off, s[0:3], 0 offset:172
	s_waitcnt vmcnt(42)
	buffer_store_dword v14, off, s[0:3], 0 offset:176
	;; [unrolled: 5-line block ×15, first 2 shown]
	buffer_store_dword v68, off, s[0:3], 0 offset:392
	buffer_store_dword v67, off, s[0:3], 0 offset:388
	;; [unrolled: 1-line block ×11, first 2 shown]
	s_waitcnt vmcnt(62)
	buffer_store_dword v81, off, s[0:3], 0 offset:444
	buffer_store_dword v80, off, s[0:3], 0 offset:440
	;; [unrolled: 1-line block ×9, first 2 shown]
	v_add_u32_e32 v6, s7, v86
	v_ashrrev_i32_e32 v7, 31, v6
	v_lshlrev_b64 v[8:9], 4, v[6:7]
	v_add_u32_e32 v14, s7, v6
	v_add_co_u32_e32 v8, vcc, s4, v8
	v_ashrrev_i32_e32 v15, 31, v14
	v_addc_co_u32_e32 v9, vcc, v0, v9, vcc
	v_lshlrev_b64 v[6:7], 4, v[14:15]
	v_add_co_u32_e32 v10, vcc, s4, v6
	v_accvgpr_write_b32 a61, v9
	v_addc_co_u32_e32 v11, vcc, v0, v7, vcc
	v_accvgpr_write_b32 a60, v8
	global_load_dwordx4 v[6:9], v[8:9], off
	v_add_u32_e32 v14, s7, v14
	v_accvgpr_write_b32 a63, v11
	v_ashrrev_i32_e32 v15, 31, v14
	v_accvgpr_write_b32 a62, v10
	global_load_dwordx4 v[10:13], v[10:11], off
	v_lshlrev_b64 v[16:17], 4, v[14:15]
	v_add_u32_e32 v22, s7, v14
	v_add_co_u32_e32 v16, vcc, s4, v16
	v_ashrrev_i32_e32 v23, 31, v22
	v_addc_co_u32_e32 v17, vcc, v0, v17, vcc
	v_lshlrev_b64 v[14:15], 4, v[22:23]
	v_add_co_u32_e32 v18, vcc, s4, v14
	v_accvgpr_write_b32 a65, v17
	v_addc_co_u32_e32 v19, vcc, v0, v15, vcc
	v_accvgpr_write_b32 a64, v16
	global_load_dwordx4 v[14:17], v[16:17], off
	v_add_u32_e32 v22, s7, v22
	v_accvgpr_write_b32 a67, v19
	v_ashrrev_i32_e32 v23, 31, v22
	v_accvgpr_write_b32 a66, v18
	global_load_dwordx4 v[18:21], v[18:19], off
	;; [unrolled: 16-line block ×9, first 2 shown]
	v_lshlrev_b64 v[80:81], 4, v[78:79]
	v_add_co_u32_e32 v80, vcc, s4, v80
	v_addc_co_u32_e32 v81, vcc, v0, v81, vcc
	v_add_u32_e32 v78, s7, v78
	v_ashrrev_i32_e32 v79, 31, v78
	v_accvgpr_write_b32 a97, v81
	v_lshlrev_b64 v[82:83], 4, v[78:79]
	v_accvgpr_write_b32 a96, v80
	global_load_dwordx4 v[78:81], v[80:81], off
	v_add_co_u32_e32 v82, vcc, s4, v82
	v_addc_co_u32_e32 v83, vcc, v0, v83, vcc
	v_accvgpr_write_b32 a58, v82
	v_accvgpr_write_b32 a59, v83
	global_load_dwordx4 v[82:85], v[82:83], off
	v_mov_b32_e32 v0, 16
	buffer_store_dword v4, off, s[0:3], 0 offset:472
	buffer_store_dword v3, off, s[0:3], 0 offset:468
	buffer_store_dword v2, off, s[0:3], 0 offset:464
	s_waitcnt vmcnt(22)
	buffer_store_dword v9, off, s[0:3], 0 offset:492
	buffer_store_dword v8, off, s[0:3], 0 offset:488
	buffer_store_dword v7, off, s[0:3], 0 offset:484
	buffer_store_dword v6, off, s[0:3], 0 offset:480
	s_waitcnt vmcnt(25)
	buffer_store_dword v13, off, s[0:3], 0 offset:508
	;; [unrolled: 5-line block ×15, first 2 shown]
	buffer_store_dword v64, off, s[0:3], 0 offset:712
	buffer_store_dword v63, off, s[0:3], 0 offset:708
	;; [unrolled: 1-line block ×11, first 2 shown]
	s_waitcnt vmcnt(62)
	buffer_store_dword v77, off, s[0:3], 0 offset:764
	buffer_store_dword v76, off, s[0:3], 0 offset:760
	;; [unrolled: 1-line block ×12, first 2 shown]
	v_add_u32_e32 v2, 16, v0
	v_accvgpr_write_b32 a145, v2
	v_add_u32_e32 v2, 32, v0
	v_accvgpr_write_b32 a144, v2
	;; [unrolled: 2-line block ×46, first 2 shown]
	v_add_u32_e32 v2, 0x2f0, v0
	v_add_u32_e32 v0, 0x300, v0
	v_accvgpr_write_b32 a99, v2
	v_accvgpr_write_b32 a98, v0
	s_bitcmp0_b32 s22, 0
	s_mov_b64 s[6:7], -1
	s_cbranch_scc1 .LBB48_208
; %bb.4:
	v_cmp_eq_u32_e64 s[4:5], 0, v254
	s_and_saveexec_b64 s[6:7], s[4:5]
	s_cbranch_execz .LBB48_6
; %bb.5:
	v_mov_b32_e32 v0, 0
	ds_write_b32 v0, v0 offset:1568
.LBB48_6:
	s_or_b64 exec, exec, s[6:7]
	v_mov_b32_e32 v0, 16
	v_lshl_add_u32 v12, v254, 4, v0
	s_waitcnt lgkmcnt(0)
	; wave barrier
	s_waitcnt lgkmcnt(0)
	buffer_load_dword v2, v12, s[0:3], 0 offen
	buffer_load_dword v3, v12, s[0:3], 0 offen offset:4
	buffer_load_dword v4, v12, s[0:3], 0 offen offset:8
	;; [unrolled: 1-line block ×3, first 2 shown]
	s_waitcnt vmcnt(2)
	v_cmp_eq_f64_e32 vcc, 0, v[2:3]
	s_waitcnt vmcnt(0)
	v_cmp_eq_f64_e64 s[6:7], 0, v[4:5]
	s_and_b64 s[6:7], vcc, s[6:7]
	s_and_saveexec_b64 s[12:13], s[6:7]
	s_cbranch_execz .LBB48_10
; %bb.7:
	v_mov_b32_e32 v2, 0
	ds_read_b32 v0, v2 offset:1568
	v_add_u32_e32 v3, 1, v254
	s_waitcnt lgkmcnt(0)
	v_readfirstlane_b32 s6, v0
	s_cmp_eq_u32 s6, 0
	s_cselect_b64 s[16:17], -1, 0
	v_cmp_gt_i32_e32 vcc, s6, v3
	s_or_b64 s[16:17], s[16:17], vcc
	s_and_b64 exec, exec, s[16:17]
	s_cbranch_execz .LBB48_10
; %bb.8:
	s_mov_b64 s[16:17], 0
	v_mov_b32_e32 v4, s6
.LBB48_9:                               ; =>This Inner Loop Header: Depth=1
	ds_cmpst_rtn_b32 v4, v2, v4, v3 offset:1568
	s_waitcnt lgkmcnt(0)
	v_cmp_ne_u32_e32 vcc, 0, v4
	v_cmp_le_i32_e64 s[6:7], v4, v3
	s_and_b64 s[6:7], vcc, s[6:7]
	s_and_b64 s[6:7], exec, s[6:7]
	s_or_b64 s[16:17], s[6:7], s[16:17]
	s_andn2_b64 exec, exec, s[16:17]
	s_cbranch_execnz .LBB48_9
.LBB48_10:
	s_or_b64 exec, exec, s[12:13]
	v_mov_b32_e32 v3, 0
	s_waitcnt lgkmcnt(0)
	; wave barrier
	ds_read_b32 v2, v3 offset:1568
	s_and_saveexec_b64 s[6:7], s[4:5]
	s_cbranch_execz .LBB48_12
; %bb.11:
	s_lshl_b64 s[12:13], s[8:9], 2
	s_add_u32 s12, s14, s12
	s_addc_u32 s13, s15, s13
	s_waitcnt lgkmcnt(0)
	global_store_dword v3, v2, s[12:13]
.LBB48_12:
	s_or_b64 exec, exec, s[6:7]
	s_waitcnt lgkmcnt(0)
	v_cmp_ne_u32_e32 vcc, 0, v2
	s_mov_b64 s[6:7], 0
	s_cbranch_vccnz .LBB48_208
; %bb.13:
	buffer_load_dword v7, v12, s[0:3], 0 offen offset:4
	buffer_load_dword v6, v12, s[0:3], 0 offen
	buffer_load_dword v9, v12, s[0:3], 0 offen offset:12
	buffer_load_dword v8, v12, s[0:3], 0 offen offset:8
                                        ; implicit-def: $vgpr10_vgpr11
	s_waitcnt vmcnt(3)
	v_xor_b32_e32 v0, 0x80000000, v7
	s_waitcnt vmcnt(2)
	v_cmp_gt_f64_e32 vcc, 0, v[6:7]
	s_waitcnt vmcnt(1)
	v_xor_b32_e32 v4, 0x80000000, v9
	v_cndmask_b32_e32 v3, v7, v0, vcc
	s_waitcnt vmcnt(0)
	v_cmp_gt_f64_e32 vcc, 0, v[8:9]
	v_mov_b32_e32 v2, v6
	v_cndmask_b32_e32 v5, v9, v4, vcc
	v_mov_b32_e32 v4, v8
	v_cmp_ngt_f64_e32 vcc, v[2:3], v[4:5]
                                        ; implicit-def: $vgpr4_vgpr5
	s_and_saveexec_b64 s[6:7], vcc
	s_xor_b64 s[6:7], exec, s[6:7]
	s_cbranch_execz .LBB48_15
; %bb.14:
	v_div_scale_f64 v[2:3], s[12:13], v[8:9], v[8:9], v[6:7]
	v_rcp_f64_e32 v[4:5], v[2:3]
	v_div_scale_f64 v[10:11], vcc, v[6:7], v[8:9], v[6:7]
	v_fma_f64 v[14:15], -v[2:3], v[4:5], 1.0
	v_fmac_f64_e32 v[4:5], v[4:5], v[14:15]
	v_fma_f64 v[14:15], -v[2:3], v[4:5], 1.0
	v_fmac_f64_e32 v[4:5], v[4:5], v[14:15]
	v_mul_f64 v[14:15], v[10:11], v[4:5]
	v_fma_f64 v[2:3], -v[2:3], v[14:15], v[10:11]
	v_div_fmas_f64 v[2:3], v[2:3], v[4:5], v[14:15]
	v_div_fixup_f64 v[2:3], v[2:3], v[8:9], v[6:7]
	v_fmac_f64_e32 v[8:9], v[6:7], v[2:3]
	v_div_scale_f64 v[4:5], s[12:13], v[8:9], v[8:9], 1.0
	v_rcp_f64_e32 v[6:7], v[4:5]
	v_fma_f64 v[10:11], -v[4:5], v[6:7], 1.0
	v_fmac_f64_e32 v[6:7], v[6:7], v[10:11]
	v_fma_f64 v[10:11], -v[4:5], v[6:7], 1.0
	v_fmac_f64_e32 v[6:7], v[6:7], v[10:11]
	v_div_scale_f64 v[10:11], vcc, 1.0, v[8:9], 1.0
	v_mul_f64 v[14:15], v[10:11], v[6:7]
	v_fma_f64 v[4:5], -v[4:5], v[14:15], v[10:11]
	s_nop 1
	v_div_fmas_f64 v[4:5], v[4:5], v[6:7], v[14:15]
	v_div_fixup_f64 v[4:5], v[4:5], v[8:9], 1.0
	v_mul_f64 v[10:11], v[2:3], v[4:5]
	v_xor_b32_e32 v5, 0x80000000, v5
	v_xor_b32_e32 v3, 0x80000000, v11
	v_mov_b32_e32 v2, v10
                                        ; implicit-def: $vgpr6_vgpr7
                                        ; implicit-def: $vgpr8_vgpr9
.LBB48_15:
	s_andn2_saveexec_b64 s[6:7], s[6:7]
	s_cbranch_execz .LBB48_17
; %bb.16:
	v_div_scale_f64 v[2:3], s[12:13], v[6:7], v[6:7], v[8:9]
	v_rcp_f64_e32 v[4:5], v[2:3]
	v_div_scale_f64 v[10:11], vcc, v[8:9], v[6:7], v[8:9]
	v_fma_f64 v[14:15], -v[2:3], v[4:5], 1.0
	v_fmac_f64_e32 v[4:5], v[4:5], v[14:15]
	v_fma_f64 v[14:15], -v[2:3], v[4:5], 1.0
	v_fmac_f64_e32 v[4:5], v[4:5], v[14:15]
	v_mul_f64 v[14:15], v[10:11], v[4:5]
	v_fma_f64 v[2:3], -v[2:3], v[14:15], v[10:11]
	v_div_fmas_f64 v[2:3], v[2:3], v[4:5], v[14:15]
	v_div_fixup_f64 v[4:5], v[2:3], v[6:7], v[8:9]
	v_fmac_f64_e32 v[6:7], v[8:9], v[4:5]
	v_div_scale_f64 v[2:3], s[12:13], v[6:7], v[6:7], 1.0
	v_rcp_f64_e32 v[8:9], v[2:3]
	v_fma_f64 v[10:11], -v[2:3], v[8:9], 1.0
	v_fmac_f64_e32 v[8:9], v[8:9], v[10:11]
	v_fma_f64 v[10:11], -v[2:3], v[8:9], 1.0
	v_fmac_f64_e32 v[8:9], v[8:9], v[10:11]
	v_div_scale_f64 v[10:11], vcc, 1.0, v[6:7], 1.0
	v_mul_f64 v[14:15], v[10:11], v[8:9]
	v_fma_f64 v[2:3], -v[2:3], v[14:15], v[10:11]
	s_nop 1
	v_div_fmas_f64 v[2:3], v[2:3], v[8:9], v[14:15]
	v_div_fixup_f64 v[10:11], v[2:3], v[6:7], 1.0
	v_xor_b32_e32 v3, 0x80000000, v11
	v_mov_b32_e32 v2, v10
	v_mul_f64 v[4:5], v[4:5], -v[10:11]
.LBB48_17:
	s_or_b64 exec, exec, s[6:7]
	buffer_store_dword v11, v12, s[0:3], 0 offen offset:4
	buffer_store_dword v10, v12, s[0:3], 0 offen
	buffer_store_dword v5, v12, s[0:3], 0 offen offset:12
	buffer_store_dword v4, v12, s[0:3], 0 offen offset:8
	v_accvgpr_read_b32 v0, a145
	buffer_load_dword v11, v0, s[0:3], 0 offen offset:12
	buffer_load_dword v10, v0, s[0:3], 0 offen offset:8
	;; [unrolled: 1-line block ×3, first 2 shown]
	buffer_load_dword v8, v0, s[0:3], 0 offen
	v_xor_b32_e32 v5, 0x80000000, v5
	v_add_u32_e32 v6, 0x310, v1
	ds_write_b128 v1, v[2:5]
	s_waitcnt vmcnt(0)
	ds_write_b128 v1, v[8:11] offset:784
	s_waitcnt lgkmcnt(0)
	; wave barrier
	s_waitcnt lgkmcnt(0)
	s_and_saveexec_b64 s[6:7], s[4:5]
	s_cbranch_execz .LBB48_19
; %bb.18:
	buffer_load_dword v14, v12, s[0:3], 0 offen offset:8
	buffer_load_dword v15, v12, s[0:3], 0 offen offset:12
	buffer_load_dword v16, v12, s[0:3], 0 offen
	buffer_load_dword v17, v12, s[0:3], 0 offen offset:4
	ds_read_b128 v[2:5], v6
	v_mov_b32_e32 v0, 0
	ds_read_b128 v[8:11], v0 offset:16
	s_waitcnt vmcnt(2) lgkmcnt(1)
	v_mul_f64 v[18:19], v[4:5], v[14:15]
	v_mul_f64 v[14:15], v[2:3], v[14:15]
	s_waitcnt vmcnt(0)
	v_fmac_f64_e32 v[14:15], v[4:5], v[16:17]
	v_fma_f64 v[2:3], v[2:3], v[16:17], -v[18:19]
	v_add_f64 v[4:5], v[14:15], 0
	v_add_f64 v[2:3], v[2:3], 0
	s_waitcnt lgkmcnt(0)
	v_mul_f64 v[14:15], v[4:5], v[10:11]
	v_mul_f64 v[10:11], v[2:3], v[10:11]
	v_fma_f64 v[2:3], v[2:3], v[8:9], -v[14:15]
	v_fmac_f64_e32 v[10:11], v[4:5], v[8:9]
	buffer_store_dword v2, off, s[0:3], 0 offset:32
	buffer_store_dword v3, off, s[0:3], 0 offset:36
	;; [unrolled: 1-line block ×4, first 2 shown]
.LBB48_19:
	s_or_b64 exec, exec, s[6:7]
	v_accvgpr_read_b32 v0, a144
	s_waitcnt lgkmcnt(0)
	; wave barrier
	buffer_load_dword v2, v0, s[0:3], 0 offen
	buffer_load_dword v3, v0, s[0:3], 0 offen offset:4
	buffer_load_dword v4, v0, s[0:3], 0 offen offset:8
	;; [unrolled: 1-line block ×3, first 2 shown]
	v_cmp_gt_u32_e32 vcc, 2, v254
	s_waitcnt vmcnt(0)
	ds_write_b128 v6, v[2:5]
	s_waitcnt lgkmcnt(0)
	; wave barrier
	s_waitcnt lgkmcnt(0)
	s_and_saveexec_b64 s[6:7], vcc
	s_cbranch_execz .LBB48_23
; %bb.20:
	buffer_load_dword v8, v12, s[0:3], 0 offen offset:8
	buffer_load_dword v9, v12, s[0:3], 0 offen offset:12
	buffer_load_dword v10, v12, s[0:3], 0 offen
	buffer_load_dword v11, v12, s[0:3], 0 offen offset:4
	ds_read_b128 v[2:5], v6
	s_waitcnt vmcnt(2) lgkmcnt(0)
	v_mul_f64 v[12:13], v[4:5], v[8:9]
	v_mul_f64 v[8:9], v[2:3], v[8:9]
	s_waitcnt vmcnt(0)
	v_fma_f64 v[2:3], v[2:3], v[10:11], -v[12:13]
	v_fmac_f64_e32 v[8:9], v[4:5], v[10:11]
	v_add_f64 v[4:5], v[2:3], 0
	v_add_f64 v[2:3], v[8:9], 0
	s_and_saveexec_b64 s[12:13], s[4:5]
	s_cbranch_execz .LBB48_22
; %bb.21:
	buffer_load_dword v12, off, s[0:3], 0 offset:40
	buffer_load_dword v13, off, s[0:3], 0 offset:44
	buffer_load_dword v14, off, s[0:3], 0 offset:32
	buffer_load_dword v15, off, s[0:3], 0 offset:36
	v_mov_b32_e32 v0, 0
	ds_read_b128 v[8:11], v0 offset:800
	s_waitcnt vmcnt(2) lgkmcnt(0)
	v_mul_f64 v[16:17], v[8:9], v[12:13]
	v_mul_f64 v[12:13], v[10:11], v[12:13]
	s_waitcnt vmcnt(0)
	v_fmac_f64_e32 v[16:17], v[10:11], v[14:15]
	v_fma_f64 v[8:9], v[8:9], v[14:15], -v[12:13]
	v_add_f64 v[2:3], v[2:3], v[16:17]
	v_add_f64 v[4:5], v[4:5], v[8:9]
.LBB48_22:
	s_or_b64 exec, exec, s[12:13]
	v_mov_b32_e32 v0, 0
	ds_read_b128 v[8:11], v0 offset:32
	s_waitcnt lgkmcnt(0)
	v_mul_f64 v[12:13], v[2:3], v[10:11]
	v_mul_f64 v[10:11], v[4:5], v[10:11]
	v_fma_f64 v[4:5], v[4:5], v[8:9], -v[12:13]
	v_fmac_f64_e32 v[10:11], v[2:3], v[8:9]
	buffer_store_dword v5, off, s[0:3], 0 offset:52
	buffer_store_dword v4, off, s[0:3], 0 offset:48
	;; [unrolled: 1-line block ×4, first 2 shown]
.LBB48_23:
	s_or_b64 exec, exec, s[6:7]
	v_accvgpr_read_b32 v0, a143
	s_waitcnt lgkmcnt(0)
	; wave barrier
	buffer_load_dword v2, v0, s[0:3], 0 offen
	buffer_load_dword v3, v0, s[0:3], 0 offen offset:4
	buffer_load_dword v4, v0, s[0:3], 0 offen offset:8
	;; [unrolled: 1-line block ×3, first 2 shown]
	v_cmp_gt_u32_e32 vcc, 3, v254
	v_add_u32_e32 v7, -1, v254
	s_waitcnt vmcnt(0)
	ds_write_b128 v6, v[2:5]
	s_waitcnt lgkmcnt(0)
	; wave barrier
	s_waitcnt lgkmcnt(0)
	s_and_saveexec_b64 s[4:5], vcc
	s_cbranch_execz .LBB48_27
; %bb.24:
	v_pk_mov_b32 v[2:3], 0, 0
	v_add_u32_e32 v8, -1, v254
	v_add_u32_e32 v9, 0x310, v1
	v_add_u32_e32 v10, 16, v1
	s_mov_b64 s[6:7], 0
	v_pk_mov_b32 v[4:5], v[2:3], v[2:3] op_sel:[0,1]
.LBB48_25:                              ; =>This Inner Loop Header: Depth=1
	buffer_load_dword v16, v10, s[0:3], 0 offen offset:8
	buffer_load_dword v17, v10, s[0:3], 0 offen offset:12
	buffer_load_dword v18, v10, s[0:3], 0 offen
	buffer_load_dword v19, v10, s[0:3], 0 offen offset:4
	ds_read_b128 v[12:15], v9
	v_add_u32_e32 v8, 1, v8
	v_cmp_lt_u32_e32 vcc, 1, v8
	v_add_u32_e32 v9, 16, v9
	v_add_u32_e32 v10, 16, v10
	s_or_b64 s[6:7], vcc, s[6:7]
	s_waitcnt vmcnt(2) lgkmcnt(0)
	v_mul_f64 v[20:21], v[14:15], v[16:17]
	v_mul_f64 v[16:17], v[12:13], v[16:17]
	s_waitcnt vmcnt(0)
	v_fma_f64 v[12:13], v[12:13], v[18:19], -v[20:21]
	v_fmac_f64_e32 v[16:17], v[14:15], v[18:19]
	v_add_f64 v[4:5], v[4:5], v[12:13]
	v_add_f64 v[2:3], v[2:3], v[16:17]
	s_andn2_b64 exec, exec, s[6:7]
	s_cbranch_execnz .LBB48_25
; %bb.26:
	s_or_b64 exec, exec, s[6:7]
	v_mov_b32_e32 v0, 0
	ds_read_b128 v[8:11], v0 offset:48
	s_waitcnt lgkmcnt(0)
	v_mul_f64 v[12:13], v[2:3], v[10:11]
	v_mul_f64 v[10:11], v[4:5], v[10:11]
	v_fma_f64 v[4:5], v[4:5], v[8:9], -v[12:13]
	v_fmac_f64_e32 v[10:11], v[2:3], v[8:9]
	buffer_store_dword v5, off, s[0:3], 0 offset:68
	buffer_store_dword v4, off, s[0:3], 0 offset:64
	buffer_store_dword v11, off, s[0:3], 0 offset:76
	buffer_store_dword v10, off, s[0:3], 0 offset:72
.LBB48_27:
	s_or_b64 exec, exec, s[4:5]
	v_accvgpr_read_b32 v0, a142
	s_waitcnt lgkmcnt(0)
	; wave barrier
	buffer_load_dword v2, v0, s[0:3], 0 offen
	buffer_load_dword v3, v0, s[0:3], 0 offen offset:4
	buffer_load_dword v4, v0, s[0:3], 0 offen offset:8
	buffer_load_dword v5, v0, s[0:3], 0 offen offset:12
	v_cmp_gt_u32_e32 vcc, 4, v254
	s_waitcnt vmcnt(0)
	ds_write_b128 v6, v[2:5]
	s_waitcnt lgkmcnt(0)
	; wave barrier
	s_waitcnt lgkmcnt(0)
	s_and_saveexec_b64 s[4:5], vcc
	s_cbranch_execz .LBB48_31
; %bb.28:
	v_pk_mov_b32 v[2:3], 0, 0
	v_add_u32_e32 v8, -1, v254
	v_add_u32_e32 v9, 0x310, v1
	v_add_u32_e32 v10, 16, v1
	s_mov_b64 s[6:7], 0
	v_pk_mov_b32 v[4:5], v[2:3], v[2:3] op_sel:[0,1]
.LBB48_29:                              ; =>This Inner Loop Header: Depth=1
	buffer_load_dword v16, v10, s[0:3], 0 offen offset:8
	buffer_load_dword v17, v10, s[0:3], 0 offen offset:12
	buffer_load_dword v18, v10, s[0:3], 0 offen
	buffer_load_dword v19, v10, s[0:3], 0 offen offset:4
	ds_read_b128 v[12:15], v9
	v_add_u32_e32 v8, 1, v8
	v_cmp_lt_u32_e32 vcc, 2, v8
	v_add_u32_e32 v9, 16, v9
	v_add_u32_e32 v10, 16, v10
	s_or_b64 s[6:7], vcc, s[6:7]
	s_waitcnt vmcnt(2) lgkmcnt(0)
	v_mul_f64 v[20:21], v[14:15], v[16:17]
	v_mul_f64 v[16:17], v[12:13], v[16:17]
	s_waitcnt vmcnt(0)
	v_fma_f64 v[12:13], v[12:13], v[18:19], -v[20:21]
	v_fmac_f64_e32 v[16:17], v[14:15], v[18:19]
	v_add_f64 v[4:5], v[4:5], v[12:13]
	v_add_f64 v[2:3], v[2:3], v[16:17]
	s_andn2_b64 exec, exec, s[6:7]
	s_cbranch_execnz .LBB48_29
; %bb.30:
	s_or_b64 exec, exec, s[6:7]
	v_mov_b32_e32 v0, 0
	ds_read_b128 v[8:11], v0 offset:64
	s_waitcnt lgkmcnt(0)
	v_mul_f64 v[12:13], v[2:3], v[10:11]
	v_mul_f64 v[10:11], v[4:5], v[10:11]
	v_fma_f64 v[4:5], v[4:5], v[8:9], -v[12:13]
	v_fmac_f64_e32 v[10:11], v[2:3], v[8:9]
	buffer_store_dword v5, off, s[0:3], 0 offset:84
	buffer_store_dword v4, off, s[0:3], 0 offset:80
	buffer_store_dword v11, off, s[0:3], 0 offset:92
	buffer_store_dword v10, off, s[0:3], 0 offset:88
.LBB48_31:
	s_or_b64 exec, exec, s[4:5]
	v_accvgpr_read_b32 v0, a141
	s_waitcnt lgkmcnt(0)
	; wave barrier
	buffer_load_dword v2, v0, s[0:3], 0 offen
	buffer_load_dword v3, v0, s[0:3], 0 offen offset:4
	buffer_load_dword v4, v0, s[0:3], 0 offen offset:8
	buffer_load_dword v5, v0, s[0:3], 0 offen offset:12
	v_cmp_gt_u32_e32 vcc, 5, v254
	;; [unrolled: 58-line block ×19, first 2 shown]
	s_waitcnt vmcnt(0)
	ds_write_b128 v6, v[2:5]
	s_waitcnt lgkmcnt(0)
	; wave barrier
	s_waitcnt lgkmcnt(0)
	s_and_saveexec_b64 s[4:5], vcc
	s_cbranch_execz .LBB48_103
; %bb.100:
	v_pk_mov_b32 v[2:3], 0, 0
	v_add_u32_e32 v8, -1, v254
	v_add_u32_e32 v9, 0x310, v1
	v_add_u32_e32 v10, 16, v1
	s_mov_b64 s[6:7], 0
	v_pk_mov_b32 v[4:5], v[2:3], v[2:3] op_sel:[0,1]
.LBB48_101:                             ; =>This Inner Loop Header: Depth=1
	buffer_load_dword v16, v10, s[0:3], 0 offen offset:8
	buffer_load_dword v17, v10, s[0:3], 0 offen offset:12
	buffer_load_dword v18, v10, s[0:3], 0 offen
	buffer_load_dword v19, v10, s[0:3], 0 offen offset:4
	ds_read_b128 v[12:15], v9
	v_add_u32_e32 v8, 1, v8
	v_cmp_lt_u32_e32 vcc, 20, v8
	v_add_u32_e32 v9, 16, v9
	v_add_u32_e32 v10, 16, v10
	s_or_b64 s[6:7], vcc, s[6:7]
	s_waitcnt vmcnt(2) lgkmcnt(0)
	v_mul_f64 v[20:21], v[14:15], v[16:17]
	v_mul_f64 v[16:17], v[12:13], v[16:17]
	s_waitcnt vmcnt(0)
	v_fma_f64 v[12:13], v[12:13], v[18:19], -v[20:21]
	v_fmac_f64_e32 v[16:17], v[14:15], v[18:19]
	v_add_f64 v[4:5], v[4:5], v[12:13]
	v_add_f64 v[2:3], v[2:3], v[16:17]
	s_andn2_b64 exec, exec, s[6:7]
	s_cbranch_execnz .LBB48_101
; %bb.102:
	s_or_b64 exec, exec, s[6:7]
	v_mov_b32_e32 v0, 0
	ds_read_b128 v[8:11], v0 offset:352
	s_waitcnt lgkmcnt(0)
	v_mul_f64 v[12:13], v[2:3], v[10:11]
	v_mul_f64 v[10:11], v[4:5], v[10:11]
	v_fma_f64 v[4:5], v[4:5], v[8:9], -v[12:13]
	v_fmac_f64_e32 v[10:11], v[2:3], v[8:9]
	buffer_store_dword v5, off, s[0:3], 0 offset:372
	buffer_store_dword v4, off, s[0:3], 0 offset:368
	buffer_store_dword v11, off, s[0:3], 0 offset:380
	buffer_store_dword v10, off, s[0:3], 0 offset:376
.LBB48_103:
	s_or_b64 exec, exec, s[4:5]
	v_accvgpr_read_b32 v0, a123
	s_waitcnt lgkmcnt(0)
	; wave barrier
	buffer_load_dword v2, v0, s[0:3], 0 offen
	buffer_load_dword v3, v0, s[0:3], 0 offen offset:4
	buffer_load_dword v4, v0, s[0:3], 0 offen offset:8
	buffer_load_dword v5, v0, s[0:3], 0 offen offset:12
	v_cmp_gt_u32_e32 vcc, 23, v254
	s_waitcnt vmcnt(0)
	ds_write_b128 v6, v[2:5]
	s_waitcnt lgkmcnt(0)
	; wave barrier
	s_waitcnt lgkmcnt(0)
	s_and_saveexec_b64 s[4:5], vcc
	s_cbranch_execz .LBB48_107
; %bb.104:
	v_pk_mov_b32 v[2:3], 0, 0
	v_add_u32_e32 v8, -1, v254
	v_add_u32_e32 v9, 0x310, v1
	v_add_u32_e32 v10, 16, v1
	s_mov_b64 s[6:7], 0
	v_pk_mov_b32 v[4:5], v[2:3], v[2:3] op_sel:[0,1]
.LBB48_105:                             ; =>This Inner Loop Header: Depth=1
	buffer_load_dword v16, v10, s[0:3], 0 offen offset:8
	buffer_load_dword v17, v10, s[0:3], 0 offen offset:12
	buffer_load_dword v18, v10, s[0:3], 0 offen
	buffer_load_dword v19, v10, s[0:3], 0 offen offset:4
	ds_read_b128 v[12:15], v9
	v_add_u32_e32 v8, 1, v8
	v_cmp_lt_u32_e32 vcc, 21, v8
	v_add_u32_e32 v9, 16, v9
	v_add_u32_e32 v10, 16, v10
	s_or_b64 s[6:7], vcc, s[6:7]
	s_waitcnt vmcnt(2) lgkmcnt(0)
	v_mul_f64 v[20:21], v[14:15], v[16:17]
	v_mul_f64 v[16:17], v[12:13], v[16:17]
	s_waitcnt vmcnt(0)
	v_fma_f64 v[12:13], v[12:13], v[18:19], -v[20:21]
	v_fmac_f64_e32 v[16:17], v[14:15], v[18:19]
	v_add_f64 v[4:5], v[4:5], v[12:13]
	v_add_f64 v[2:3], v[2:3], v[16:17]
	s_andn2_b64 exec, exec, s[6:7]
	s_cbranch_execnz .LBB48_105
; %bb.106:
	s_or_b64 exec, exec, s[6:7]
	v_mov_b32_e32 v0, 0
	ds_read_b128 v[8:11], v0 offset:368
	s_waitcnt lgkmcnt(0)
	v_mul_f64 v[12:13], v[2:3], v[10:11]
	v_mul_f64 v[10:11], v[4:5], v[10:11]
	v_fma_f64 v[4:5], v[4:5], v[8:9], -v[12:13]
	v_fmac_f64_e32 v[10:11], v[2:3], v[8:9]
	buffer_store_dword v5, off, s[0:3], 0 offset:388
	buffer_store_dword v4, off, s[0:3], 0 offset:384
	buffer_store_dword v11, off, s[0:3], 0 offset:396
	buffer_store_dword v10, off, s[0:3], 0 offset:392
.LBB48_107:
	s_or_b64 exec, exec, s[4:5]
	v_accvgpr_read_b32 v0, a122
	s_waitcnt lgkmcnt(0)
	; wave barrier
	buffer_load_dword v2, v0, s[0:3], 0 offen
	buffer_load_dword v3, v0, s[0:3], 0 offen offset:4
	buffer_load_dword v4, v0, s[0:3], 0 offen offset:8
	buffer_load_dword v5, v0, s[0:3], 0 offen offset:12
	v_cmp_gt_u32_e32 vcc, 24, v254
	;; [unrolled: 58-line block ×25, first 2 shown]
	s_waitcnt vmcnt(0)
	ds_write_b128 v6, v[2:5]
	s_waitcnt lgkmcnt(0)
	; wave barrier
	s_waitcnt lgkmcnt(0)
	s_and_saveexec_b64 s[4:5], vcc
	s_cbranch_execz .LBB48_203
; %bb.200:
	v_pk_mov_b32 v[2:3], 0, 0
	v_add_u32_e32 v8, -1, v254
	v_add_u32_e32 v9, 0x310, v1
	v_add_u32_e32 v10, 16, v1
	s_mov_b64 s[6:7], 0
	v_pk_mov_b32 v[4:5], v[2:3], v[2:3] op_sel:[0,1]
.LBB48_201:                             ; =>This Inner Loop Header: Depth=1
	buffer_load_dword v16, v10, s[0:3], 0 offen offset:8
	buffer_load_dword v17, v10, s[0:3], 0 offen offset:12
	buffer_load_dword v18, v10, s[0:3], 0 offen
	buffer_load_dword v19, v10, s[0:3], 0 offen offset:4
	ds_read_b128 v[12:15], v9
	v_add_u32_e32 v8, 1, v8
	v_cmp_lt_u32_e32 vcc, 45, v8
	v_add_u32_e32 v9, 16, v9
	v_add_u32_e32 v10, 16, v10
	s_or_b64 s[6:7], vcc, s[6:7]
	s_waitcnt vmcnt(2) lgkmcnt(0)
	v_mul_f64 v[20:21], v[14:15], v[16:17]
	v_mul_f64 v[16:17], v[12:13], v[16:17]
	s_waitcnt vmcnt(0)
	v_fma_f64 v[12:13], v[12:13], v[18:19], -v[20:21]
	v_fmac_f64_e32 v[16:17], v[14:15], v[18:19]
	v_add_f64 v[4:5], v[4:5], v[12:13]
	v_add_f64 v[2:3], v[2:3], v[16:17]
	s_andn2_b64 exec, exec, s[6:7]
	s_cbranch_execnz .LBB48_201
; %bb.202:
	s_or_b64 exec, exec, s[6:7]
	v_mov_b32_e32 v0, 0
	ds_read_b128 v[8:11], v0 offset:752
	s_waitcnt lgkmcnt(0)
	v_mul_f64 v[12:13], v[2:3], v[10:11]
	v_mul_f64 v[10:11], v[4:5], v[10:11]
	v_fma_f64 v[4:5], v[4:5], v[8:9], -v[12:13]
	v_fmac_f64_e32 v[10:11], v[2:3], v[8:9]
	buffer_store_dword v5, off, s[0:3], 0 offset:772
	buffer_store_dword v4, off, s[0:3], 0 offset:768
	buffer_store_dword v11, off, s[0:3], 0 offset:780
	buffer_store_dword v10, off, s[0:3], 0 offset:776
.LBB48_203:
	s_or_b64 exec, exec, s[4:5]
	v_accvgpr_read_b32 v0, a98
	s_waitcnt lgkmcnt(0)
	; wave barrier
	buffer_load_dword v2, v0, s[0:3], 0 offen
	buffer_load_dword v3, v0, s[0:3], 0 offen offset:4
	buffer_load_dword v4, v0, s[0:3], 0 offen offset:8
	;; [unrolled: 1-line block ×3, first 2 shown]
	v_cmp_ne_u32_e32 vcc, 48, v254
	s_waitcnt vmcnt(0)
	ds_write_b128 v6, v[2:5]
	s_waitcnt lgkmcnt(0)
	; wave barrier
	s_waitcnt lgkmcnt(0)
	s_and_saveexec_b64 s[4:5], vcc
	s_cbranch_execz .LBB48_207
; %bb.204:
	v_pk_mov_b32 v[2:3], 0, 0
	v_add_u32_e32 v6, 0x310, v1
	v_add_u32_e32 v1, 16, v1
	s_mov_b64 s[6:7], 0
	v_pk_mov_b32 v[4:5], v[2:3], v[2:3] op_sel:[0,1]
.LBB48_205:                             ; =>This Inner Loop Header: Depth=1
	buffer_load_dword v12, v1, s[0:3], 0 offen offset:8
	buffer_load_dword v13, v1, s[0:3], 0 offen offset:12
	buffer_load_dword v14, v1, s[0:3], 0 offen
	buffer_load_dword v15, v1, s[0:3], 0 offen offset:4
	ds_read_b128 v[8:11], v6
	v_add_u32_e32 v7, 1, v7
	v_cmp_lt_u32_e32 vcc, 46, v7
	v_add_u32_e32 v6, 16, v6
	v_add_u32_e32 v1, 16, v1
	s_or_b64 s[6:7], vcc, s[6:7]
	s_waitcnt vmcnt(2) lgkmcnt(0)
	v_mul_f64 v[16:17], v[10:11], v[12:13]
	v_mul_f64 v[12:13], v[8:9], v[12:13]
	s_waitcnt vmcnt(0)
	v_fma_f64 v[8:9], v[8:9], v[14:15], -v[16:17]
	v_fmac_f64_e32 v[12:13], v[10:11], v[14:15]
	v_add_f64 v[4:5], v[4:5], v[8:9]
	v_add_f64 v[2:3], v[2:3], v[12:13]
	s_andn2_b64 exec, exec, s[6:7]
	s_cbranch_execnz .LBB48_205
; %bb.206:
	s_or_b64 exec, exec, s[6:7]
	v_mov_b32_e32 v0, 0
	ds_read_b128 v[6:9], v0 offset:768
	s_waitcnt lgkmcnt(0)
	v_mul_f64 v[10:11], v[2:3], v[8:9]
	v_mul_f64 v[8:9], v[4:5], v[8:9]
	v_fma_f64 v[4:5], v[4:5], v[6:7], -v[10:11]
	v_fmac_f64_e32 v[8:9], v[2:3], v[6:7]
	buffer_store_dword v5, off, s[0:3], 0 offset:788
	buffer_store_dword v4, off, s[0:3], 0 offset:784
	;; [unrolled: 1-line block ×4, first 2 shown]
.LBB48_207:
	s_or_b64 exec, exec, s[4:5]
	s_mov_b64 s[6:7], -1
	s_waitcnt lgkmcnt(0)
	; wave barrier
.LBB48_208:
	s_and_b64 vcc, exec, s[6:7]
	s_cbranch_vccz .LBB48_210
; %bb.209:
	s_lshl_b64 s[4:5], s[8:9], 2
	s_add_u32 s4, s14, s4
	s_addc_u32 s5, s15, s5
	v_mov_b32_e32 v0, 0
	global_load_dword v0, v0, s[4:5]
	s_waitcnt vmcnt(0)
	v_cmp_ne_u32_e32 vcc, 0, v0
	s_cbranch_vccz .LBB48_211
.LBB48_210:
	s_endpgm
.LBB48_211:
	v_mov_b32_e32 v0, 0x310
	v_lshl_add_u32 v0, v254, 4, v0
	v_accvgpr_write_b32 a147, v0
	v_cmp_eq_u32_e32 vcc, 48, v254
	s_and_saveexec_b64 s[4:5], vcc
	s_cbranch_execz .LBB48_213
; %bb.212:
	v_accvgpr_read_b32 v0, a99
	buffer_load_dword v2, v0, s[0:3], 0 offen
	buffer_load_dword v3, v0, s[0:3], 0 offen offset:4
	buffer_load_dword v4, v0, s[0:3], 0 offen offset:8
	;; [unrolled: 1-line block ×3, first 2 shown]
	v_mov_b32_e32 v0, 0
	v_accvgpr_read_b32 v1, a147
	buffer_store_dword v0, off, s[0:3], 0 offset:768
	buffer_store_dword v0, off, s[0:3], 0 offset:772
	;; [unrolled: 1-line block ×4, first 2 shown]
	s_waitcnt vmcnt(4)
	ds_write_b128 v1, v[2:5]
.LBB48_213:
	s_or_b64 exec, exec, s[4:5]
	s_waitcnt lgkmcnt(0)
	; wave barrier
	s_waitcnt lgkmcnt(0)
	buffer_load_dword v6, off, s[0:3], 0 offset:792
	buffer_load_dword v7, off, s[0:3], 0 offset:796
	;; [unrolled: 1-line block ×8, first 2 shown]
	v_mov_b32_e32 v1, 0
	ds_read_b128 v[2:5], v1 offset:1552
	v_cmp_lt_u32_e32 vcc, 46, v254
	s_waitcnt vmcnt(6) lgkmcnt(0)
	v_mul_f64 v[14:15], v[2:3], v[6:7]
	v_mul_f64 v[6:7], v[4:5], v[6:7]
	s_waitcnt vmcnt(4)
	v_fma_f64 v[2:3], v[2:3], v[8:9], -v[6:7]
	v_fmac_f64_e32 v[14:15], v[4:5], v[8:9]
	v_add_f64 v[2:3], v[2:3], 0
	v_add_f64 v[4:5], v[14:15], 0
	s_waitcnt vmcnt(2)
	v_add_f64 v[2:3], v[10:11], -v[2:3]
	s_waitcnt vmcnt(0)
	v_add_f64 v[4:5], v[12:13], -v[4:5]
	buffer_store_dword v2, off, s[0:3], 0 offset:768
	buffer_store_dword v3, off, s[0:3], 0 offset:772
	;; [unrolled: 1-line block ×4, first 2 shown]
	s_and_saveexec_b64 s[4:5], vcc
	s_cbranch_execz .LBB48_215
; %bb.214:
	v_accvgpr_read_b32 v0, a100
	buffer_load_dword v2, v0, s[0:3], 0 offen
	buffer_load_dword v3, v0, s[0:3], 0 offen offset:4
	buffer_load_dword v4, v0, s[0:3], 0 offen offset:8
	;; [unrolled: 1-line block ×3, first 2 shown]
	v_accvgpr_read_b32 v0, a147
	buffer_store_dword v1, off, s[0:3], 0 offset:752
	buffer_store_dword v1, off, s[0:3], 0 offset:756
	;; [unrolled: 1-line block ×4, first 2 shown]
	s_waitcnt vmcnt(4)
	ds_write_b128 v0, v[2:5]
.LBB48_215:
	s_or_b64 exec, exec, s[4:5]
	s_waitcnt lgkmcnt(0)
	; wave barrier
	s_waitcnt lgkmcnt(0)
	buffer_load_dword v10, off, s[0:3], 0 offset:776
	buffer_load_dword v11, off, s[0:3], 0 offset:780
	;; [unrolled: 1-line block ×12, first 2 shown]
	ds_read_b128 v[2:5], v1 offset:1536
	ds_read_b128 v[6:9], v1 offset:1552
	v_cmp_lt_u32_e32 vcc, 45, v254
	s_waitcnt vmcnt(10) lgkmcnt(1)
	v_mul_f64 v[22:23], v[2:3], v[10:11]
	v_mul_f64 v[10:11], v[4:5], v[10:11]
	s_waitcnt vmcnt(8) lgkmcnt(0)
	v_mul_f64 v[24:25], v[6:7], v[12:13]
	v_mul_f64 v[12:13], v[8:9], v[12:13]
	s_waitcnt vmcnt(6)
	v_fma_f64 v[2:3], v[2:3], v[14:15], -v[10:11]
	v_fmac_f64_e32 v[22:23], v[4:5], v[14:15]
	s_waitcnt vmcnt(4)
	v_fma_f64 v[4:5], v[6:7], v[16:17], -v[12:13]
	v_add_f64 v[2:3], v[2:3], 0
	v_fmac_f64_e32 v[24:25], v[8:9], v[16:17]
	v_add_f64 v[6:7], v[22:23], 0
	v_add_f64 v[2:3], v[2:3], v[4:5]
	;; [unrolled: 1-line block ×3, first 2 shown]
	s_waitcnt vmcnt(2)
	v_add_f64 v[2:3], v[18:19], -v[2:3]
	s_waitcnt vmcnt(0)
	v_add_f64 v[4:5], v[20:21], -v[6:7]
	buffer_store_dword v2, off, s[0:3], 0 offset:752
	buffer_store_dword v3, off, s[0:3], 0 offset:756
	buffer_store_dword v4, off, s[0:3], 0 offset:760
	buffer_store_dword v5, off, s[0:3], 0 offset:764
	s_and_saveexec_b64 s[4:5], vcc
	s_cbranch_execz .LBB48_217
; %bb.216:
	v_accvgpr_read_b32 v0, a101
	buffer_load_dword v2, v0, s[0:3], 0 offen
	buffer_load_dword v3, v0, s[0:3], 0 offen offset:4
	buffer_load_dword v4, v0, s[0:3], 0 offen offset:8
	;; [unrolled: 1-line block ×3, first 2 shown]
	v_mov_b32_e32 v0, 0
	v_accvgpr_read_b32 v1, a147
	buffer_store_dword v0, off, s[0:3], 0 offset:736
	buffer_store_dword v0, off, s[0:3], 0 offset:740
	;; [unrolled: 1-line block ×4, first 2 shown]
	s_waitcnt vmcnt(4)
	ds_write_b128 v1, v[2:5]
.LBB48_217:
	s_or_b64 exec, exec, s[4:5]
	s_waitcnt lgkmcnt(0)
	; wave barrier
	s_waitcnt lgkmcnt(0)
	buffer_load_dword v14, off, s[0:3], 0 offset:760
	buffer_load_dword v15, off, s[0:3], 0 offset:764
	;; [unrolled: 1-line block ×16, first 2 shown]
	v_mov_b32_e32 v1, 0
	ds_read_b128 v[2:5], v1 offset:1520
	ds_read_b128 v[6:9], v1 offset:1536
	;; [unrolled: 1-line block ×3, first 2 shown]
	v_cmp_lt_u32_e32 vcc, 44, v254
	s_waitcnt vmcnt(14) lgkmcnt(2)
	v_mul_f64 v[30:31], v[2:3], v[14:15]
	v_mul_f64 v[14:15], v[4:5], v[14:15]
	s_waitcnt vmcnt(12) lgkmcnt(1)
	v_mul_f64 v[32:33], v[6:7], v[16:17]
	v_mul_f64 v[16:17], v[8:9], v[16:17]
	;; [unrolled: 3-line block ×3, first 2 shown]
	s_waitcnt vmcnt(8)
	v_fma_f64 v[2:3], v[2:3], v[20:21], -v[14:15]
	v_fmac_f64_e32 v[30:31], v[4:5], v[20:21]
	s_waitcnt vmcnt(6)
	v_fma_f64 v[4:5], v[6:7], v[22:23], -v[16:17]
	v_add_f64 v[2:3], v[2:3], 0
	v_fmac_f64_e32 v[32:33], v[8:9], v[22:23]
	s_waitcnt vmcnt(4)
	v_fma_f64 v[6:7], v[10:11], v[24:25], -v[18:19]
	v_add_f64 v[8:9], v[30:31], 0
	v_add_f64 v[2:3], v[2:3], v[4:5]
	v_fmac_f64_e32 v[34:35], v[12:13], v[24:25]
	v_add_f64 v[8:9], v[8:9], v[32:33]
	v_add_f64 v[2:3], v[2:3], v[6:7]
	;; [unrolled: 1-line block ×3, first 2 shown]
	s_waitcnt vmcnt(2)
	v_add_f64 v[2:3], v[26:27], -v[2:3]
	s_waitcnt vmcnt(0)
	v_add_f64 v[4:5], v[28:29], -v[4:5]
	buffer_store_dword v2, off, s[0:3], 0 offset:736
	buffer_store_dword v3, off, s[0:3], 0 offset:740
	buffer_store_dword v4, off, s[0:3], 0 offset:744
	buffer_store_dword v5, off, s[0:3], 0 offset:748
	s_and_saveexec_b64 s[4:5], vcc
	s_cbranch_execz .LBB48_219
; %bb.218:
	v_accvgpr_read_b32 v0, a102
	buffer_load_dword v2, v0, s[0:3], 0 offen
	buffer_load_dword v3, v0, s[0:3], 0 offen offset:4
	buffer_load_dword v4, v0, s[0:3], 0 offen offset:8
	;; [unrolled: 1-line block ×3, first 2 shown]
	v_accvgpr_read_b32 v0, a147
	buffer_store_dword v1, off, s[0:3], 0 offset:720
	buffer_store_dword v1, off, s[0:3], 0 offset:724
	;; [unrolled: 1-line block ×4, first 2 shown]
	s_waitcnt vmcnt(4)
	ds_write_b128 v0, v[2:5]
.LBB48_219:
	s_or_b64 exec, exec, s[4:5]
	s_waitcnt lgkmcnt(0)
	; wave barrier
	s_waitcnt lgkmcnt(0)
	buffer_load_dword v18, off, s[0:3], 0 offset:744
	buffer_load_dword v19, off, s[0:3], 0 offset:748
	;; [unrolled: 1-line block ×20, first 2 shown]
	ds_read_b128 v[2:5], v1 offset:1504
	ds_read_b128 v[6:9], v1 offset:1520
	;; [unrolled: 1-line block ×4, first 2 shown]
	v_cmp_lt_u32_e32 vcc, 43, v254
	s_waitcnt vmcnt(18) lgkmcnt(3)
	v_mul_f64 v[38:39], v[2:3], v[18:19]
	v_mul_f64 v[18:19], v[4:5], v[18:19]
	s_waitcnt vmcnt(16) lgkmcnt(2)
	v_mul_f64 v[40:41], v[6:7], v[20:21]
	v_mul_f64 v[20:21], v[8:9], v[20:21]
	s_waitcnt vmcnt(14) lgkmcnt(1)
	v_mul_f64 v[42:43], v[10:11], v[22:23]
	v_mul_f64 v[22:23], v[12:13], v[22:23]
	s_waitcnt vmcnt(12) lgkmcnt(0)
	v_mul_f64 v[44:45], v[14:15], v[24:25]
	v_mul_f64 v[24:25], v[16:17], v[24:25]
	s_waitcnt vmcnt(10)
	v_fma_f64 v[2:3], v[2:3], v[26:27], -v[18:19]
	v_fmac_f64_e32 v[38:39], v[4:5], v[26:27]
	s_waitcnt vmcnt(8)
	v_fma_f64 v[4:5], v[6:7], v[28:29], -v[20:21]
	v_add_f64 v[2:3], v[2:3], 0
	v_fmac_f64_e32 v[40:41], v[8:9], v[28:29]
	s_waitcnt vmcnt(6)
	v_fma_f64 v[6:7], v[10:11], v[30:31], -v[22:23]
	v_add_f64 v[10:11], v[38:39], 0
	v_add_f64 v[2:3], v[2:3], v[4:5]
	v_fmac_f64_e32 v[42:43], v[12:13], v[30:31]
	s_waitcnt vmcnt(4)
	v_fma_f64 v[8:9], v[14:15], v[32:33], -v[24:25]
	v_add_f64 v[10:11], v[10:11], v[40:41]
	v_add_f64 v[2:3], v[2:3], v[6:7]
	v_fmac_f64_e32 v[44:45], v[16:17], v[32:33]
	v_add_f64 v[4:5], v[10:11], v[42:43]
	v_add_f64 v[2:3], v[2:3], v[8:9]
	;; [unrolled: 1-line block ×3, first 2 shown]
	s_waitcnt vmcnt(2)
	v_add_f64 v[2:3], v[34:35], -v[2:3]
	s_waitcnt vmcnt(0)
	v_add_f64 v[4:5], v[36:37], -v[4:5]
	buffer_store_dword v2, off, s[0:3], 0 offset:720
	buffer_store_dword v3, off, s[0:3], 0 offset:724
	buffer_store_dword v4, off, s[0:3], 0 offset:728
	buffer_store_dword v5, off, s[0:3], 0 offset:732
	s_and_saveexec_b64 s[4:5], vcc
	s_cbranch_execz .LBB48_221
; %bb.220:
	v_accvgpr_read_b32 v0, a103
	buffer_load_dword v2, v0, s[0:3], 0 offen
	buffer_load_dword v3, v0, s[0:3], 0 offen offset:4
	buffer_load_dword v4, v0, s[0:3], 0 offen offset:8
	;; [unrolled: 1-line block ×3, first 2 shown]
	v_mov_b32_e32 v0, 0
	v_accvgpr_read_b32 v1, a147
	buffer_store_dword v0, off, s[0:3], 0 offset:704
	buffer_store_dword v0, off, s[0:3], 0 offset:708
	;; [unrolled: 1-line block ×4, first 2 shown]
	s_waitcnt vmcnt(4)
	ds_write_b128 v1, v[2:5]
.LBB48_221:
	s_or_b64 exec, exec, s[4:5]
	s_waitcnt lgkmcnt(0)
	; wave barrier
	s_waitcnt lgkmcnt(0)
	buffer_load_dword v22, off, s[0:3], 0 offset:728
	buffer_load_dword v23, off, s[0:3], 0 offset:732
	;; [unrolled: 1-line block ×24, first 2 shown]
	v_mov_b32_e32 v1, 0
	ds_read_b128 v[2:5], v1 offset:1488
	ds_read_b128 v[6:9], v1 offset:1504
	;; [unrolled: 1-line block ×5, first 2 shown]
	v_cmp_lt_u32_e32 vcc, 42, v254
	s_waitcnt vmcnt(22) lgkmcnt(4)
	v_mul_f64 v[46:47], v[2:3], v[22:23]
	v_mul_f64 v[22:23], v[4:5], v[22:23]
	s_waitcnt vmcnt(20) lgkmcnt(3)
	v_mul_f64 v[48:49], v[6:7], v[24:25]
	v_mul_f64 v[24:25], v[8:9], v[24:25]
	;; [unrolled: 3-line block ×4, first 2 shown]
	s_waitcnt vmcnt(13) lgkmcnt(0)
	v_mul_f64 v[54:55], v[18:19], v[28:29]
	s_waitcnt vmcnt(11)
	v_fma_f64 v[2:3], v[2:3], v[34:35], -v[22:23]
	v_fmac_f64_e32 v[46:47], v[4:5], v[34:35]
	s_waitcnt vmcnt(9)
	v_fma_f64 v[4:5], v[6:7], v[36:37], -v[24:25]
	v_add_f64 v[2:3], v[2:3], 0
	v_fmac_f64_e32 v[48:49], v[8:9], v[36:37]
	s_waitcnt vmcnt(7)
	v_fmac_f64_e32 v[50:51], v[12:13], v[38:39]
	v_fma_f64 v[6:7], v[10:11], v[38:39], -v[26:27]
	v_add_f64 v[12:13], v[46:47], 0
	v_add_f64 v[2:3], v[2:3], v[4:5]
	v_mul_f64 v[28:29], v[20:21], v[28:29]
	s_waitcnt vmcnt(5)
	v_fma_f64 v[8:9], v[14:15], v[40:41], -v[32:33]
	v_add_f64 v[12:13], v[12:13], v[48:49]
	v_add_f64 v[2:3], v[2:3], v[6:7]
	v_fmac_f64_e32 v[52:53], v[16:17], v[40:41]
	s_waitcnt vmcnt(4)
	v_fma_f64 v[10:11], v[18:19], v[30:31], -v[28:29]
	v_add_f64 v[4:5], v[12:13], v[50:51]
	v_add_f64 v[2:3], v[2:3], v[8:9]
	v_fmac_f64_e32 v[54:55], v[20:21], v[30:31]
	v_add_f64 v[4:5], v[4:5], v[52:53]
	v_add_f64 v[2:3], v[2:3], v[10:11]
	;; [unrolled: 1-line block ×3, first 2 shown]
	s_waitcnt vmcnt(2)
	v_add_f64 v[2:3], v[42:43], -v[2:3]
	s_waitcnt vmcnt(0)
	v_add_f64 v[4:5], v[44:45], -v[4:5]
	buffer_store_dword v3, off, s[0:3], 0 offset:708
	buffer_store_dword v2, off, s[0:3], 0 offset:704
	;; [unrolled: 1-line block ×4, first 2 shown]
	s_and_saveexec_b64 s[4:5], vcc
	s_cbranch_execz .LBB48_223
; %bb.222:
	v_accvgpr_read_b32 v0, a104
	buffer_load_dword v2, v0, s[0:3], 0 offen
	buffer_load_dword v3, v0, s[0:3], 0 offen offset:4
	buffer_load_dword v4, v0, s[0:3], 0 offen offset:8
	;; [unrolled: 1-line block ×3, first 2 shown]
	v_accvgpr_read_b32 v0, a147
	buffer_store_dword v1, off, s[0:3], 0 offset:688
	buffer_store_dword v1, off, s[0:3], 0 offset:692
	;; [unrolled: 1-line block ×4, first 2 shown]
	s_waitcnt vmcnt(4)
	ds_write_b128 v0, v[2:5]
.LBB48_223:
	s_or_b64 exec, exec, s[4:5]
	s_waitcnt lgkmcnt(0)
	; wave barrier
	s_waitcnt lgkmcnt(0)
	buffer_load_dword v26, off, s[0:3], 0 offset:712
	buffer_load_dword v27, off, s[0:3], 0 offset:716
	;; [unrolled: 1-line block ×28, first 2 shown]
	ds_read_b128 v[2:5], v1 offset:1472
	ds_read_b128 v[6:9], v1 offset:1488
	;; [unrolled: 1-line block ×6, first 2 shown]
	v_cmp_lt_u32_e32 vcc, 41, v254
	s_waitcnt vmcnt(26) lgkmcnt(5)
	v_mul_f64 v[54:55], v[2:3], v[26:27]
	v_mul_f64 v[26:27], v[4:5], v[26:27]
	s_waitcnt vmcnt(24) lgkmcnt(4)
	v_mul_f64 v[56:57], v[6:7], v[28:29]
	v_mul_f64 v[28:29], v[8:9], v[28:29]
	;; [unrolled: 3-line block ×4, first 2 shown]
	s_waitcnt vmcnt(17)
	v_mul_f64 v[60:61], v[14:15], v[36:37]
	v_mul_f64 v[36:37], v[16:17], v[36:37]
	s_waitcnt vmcnt(15) lgkmcnt(0)
	v_mul_f64 v[64:65], v[22:23], v[38:39]
	v_mul_f64 v[38:39], v[24:25], v[38:39]
	s_waitcnt vmcnt(14)
	v_fmac_f64_e32 v[62:63], v[20:21], v[34:35]
	s_waitcnt vmcnt(12)
	v_fma_f64 v[2:3], v[2:3], v[40:41], -v[26:27]
	v_fmac_f64_e32 v[54:55], v[4:5], v[40:41]
	s_waitcnt vmcnt(10)
	v_fma_f64 v[4:5], v[6:7], v[42:43], -v[28:29]
	v_add_f64 v[2:3], v[2:3], 0
	v_fmac_f64_e32 v[56:57], v[8:9], v[42:43]
	s_waitcnt vmcnt(8)
	v_fma_f64 v[6:7], v[10:11], v[44:45], -v[30:31]
	s_waitcnt vmcnt(6)
	v_fma_f64 v[8:9], v[14:15], v[46:47], -v[36:37]
	v_add_f64 v[14:15], v[54:55], 0
	v_add_f64 v[2:3], v[2:3], v[4:5]
	v_fmac_f64_e32 v[58:59], v[12:13], v[44:45]
	v_add_f64 v[14:15], v[14:15], v[56:57]
	v_add_f64 v[2:3], v[2:3], v[6:7]
	v_fmac_f64_e32 v[60:61], v[16:17], v[46:47]
	v_fma_f64 v[10:11], v[18:19], v[34:35], -v[32:33]
	v_add_f64 v[4:5], v[14:15], v[58:59]
	v_add_f64 v[2:3], v[2:3], v[8:9]
	s_waitcnt vmcnt(4)
	v_fma_f64 v[12:13], v[22:23], v[48:49], -v[38:39]
	v_add_f64 v[4:5], v[4:5], v[60:61]
	v_add_f64 v[2:3], v[2:3], v[10:11]
	v_fmac_f64_e32 v[64:65], v[24:25], v[48:49]
	v_add_f64 v[4:5], v[4:5], v[62:63]
	v_add_f64 v[2:3], v[2:3], v[12:13]
	;; [unrolled: 1-line block ×3, first 2 shown]
	s_waitcnt vmcnt(2)
	v_add_f64 v[2:3], v[50:51], -v[2:3]
	s_waitcnt vmcnt(0)
	v_add_f64 v[4:5], v[52:53], -v[4:5]
	buffer_store_dword v3, off, s[0:3], 0 offset:692
	buffer_store_dword v2, off, s[0:3], 0 offset:688
	;; [unrolled: 1-line block ×4, first 2 shown]
	s_and_saveexec_b64 s[4:5], vcc
	s_cbranch_execz .LBB48_225
; %bb.224:
	v_accvgpr_read_b32 v0, a105
	buffer_load_dword v2, v0, s[0:3], 0 offen
	buffer_load_dword v3, v0, s[0:3], 0 offen offset:4
	buffer_load_dword v4, v0, s[0:3], 0 offen offset:8
	;; [unrolled: 1-line block ×3, first 2 shown]
	v_mov_b32_e32 v0, 0
	v_accvgpr_read_b32 v1, a147
	buffer_store_dword v0, off, s[0:3], 0 offset:672
	buffer_store_dword v0, off, s[0:3], 0 offset:676
	;; [unrolled: 1-line block ×4, first 2 shown]
	s_waitcnt vmcnt(4)
	ds_write_b128 v1, v[2:5]
.LBB48_225:
	s_or_b64 exec, exec, s[4:5]
	s_waitcnt lgkmcnt(0)
	; wave barrier
	s_waitcnt lgkmcnt(0)
	buffer_load_dword v30, off, s[0:3], 0 offset:696
	buffer_load_dword v31, off, s[0:3], 0 offset:700
	;; [unrolled: 1-line block ×32, first 2 shown]
	v_mov_b32_e32 v1, 0
	ds_read_b128 v[2:5], v1 offset:1456
	ds_read_b128 v[6:9], v1 offset:1472
	;; [unrolled: 1-line block ×7, first 2 shown]
	v_cmp_lt_u32_e32 vcc, 40, v254
	s_waitcnt vmcnt(30) lgkmcnt(6)
	v_mul_f64 v[62:63], v[2:3], v[30:31]
	v_mul_f64 v[30:31], v[4:5], v[30:31]
	s_waitcnt vmcnt(28) lgkmcnt(5)
	v_mul_f64 v[64:65], v[6:7], v[32:33]
	v_mul_f64 v[32:33], v[8:9], v[32:33]
	;; [unrolled: 3-line block ×4, first 2 shown]
	s_waitcnt vmcnt(21)
	v_mul_f64 v[68:69], v[14:15], v[40:41]
	v_mul_f64 v[40:41], v[16:17], v[40:41]
	s_waitcnt vmcnt(17) lgkmcnt(1)
	v_mul_f64 v[72:73], v[22:23], v[46:47]
	v_mul_f64 v[46:47], v[24:25], v[46:47]
	s_waitcnt vmcnt(16) lgkmcnt(0)
	v_mul_f64 v[74:75], v[26:27], v[42:43]
	v_mul_f64 v[42:43], v[28:29], v[42:43]
	s_waitcnt vmcnt(13)
	v_fma_f64 v[2:3], v[2:3], v[48:49], -v[30:31]
	v_fmac_f64_e32 v[62:63], v[4:5], v[48:49]
	s_waitcnt vmcnt(11)
	v_fma_f64 v[4:5], v[6:7], v[50:51], -v[32:33]
	v_add_f64 v[2:3], v[2:3], 0
	v_fmac_f64_e32 v[64:65], v[8:9], v[50:51]
	s_waitcnt vmcnt(9)
	v_fma_f64 v[6:7], v[10:11], v[52:53], -v[34:35]
	s_waitcnt vmcnt(7)
	v_fmac_f64_e32 v[68:69], v[16:17], v[54:55]
	v_add_f64 v[16:17], v[62:63], 0
	v_add_f64 v[2:3], v[2:3], v[4:5]
	v_fmac_f64_e32 v[66:67], v[12:13], v[52:53]
	v_fma_f64 v[8:9], v[14:15], v[54:55], -v[40:41]
	v_add_f64 v[16:17], v[16:17], v[64:65]
	v_add_f64 v[2:3], v[2:3], v[6:7]
	v_fma_f64 v[10:11], v[18:19], v[38:39], -v[36:37]
	v_add_f64 v[4:5], v[16:17], v[66:67]
	v_add_f64 v[2:3], v[2:3], v[8:9]
	v_fmac_f64_e32 v[70:71], v[20:21], v[38:39]
	s_waitcnt vmcnt(5)
	v_fma_f64 v[12:13], v[22:23], v[56:57], -v[46:47]
	v_add_f64 v[4:5], v[4:5], v[68:69]
	v_add_f64 v[2:3], v[2:3], v[10:11]
	v_fmac_f64_e32 v[72:73], v[24:25], v[56:57]
	s_waitcnt vmcnt(4)
	v_fma_f64 v[14:15], v[26:27], v[44:45], -v[42:43]
	v_add_f64 v[4:5], v[4:5], v[70:71]
	v_add_f64 v[2:3], v[2:3], v[12:13]
	v_fmac_f64_e32 v[74:75], v[28:29], v[44:45]
	v_add_f64 v[4:5], v[4:5], v[72:73]
	v_add_f64 v[2:3], v[2:3], v[14:15]
	;; [unrolled: 1-line block ×3, first 2 shown]
	s_waitcnt vmcnt(2)
	v_add_f64 v[2:3], v[58:59], -v[2:3]
	s_waitcnt vmcnt(0)
	v_add_f64 v[4:5], v[60:61], -v[4:5]
	buffer_store_dword v3, off, s[0:3], 0 offset:676
	buffer_store_dword v2, off, s[0:3], 0 offset:672
	buffer_store_dword v5, off, s[0:3], 0 offset:684
	buffer_store_dword v4, off, s[0:3], 0 offset:680
	s_and_saveexec_b64 s[4:5], vcc
	s_cbranch_execz .LBB48_227
; %bb.226:
	v_accvgpr_read_b32 v0, a106
	buffer_load_dword v2, v0, s[0:3], 0 offen
	buffer_load_dword v3, v0, s[0:3], 0 offen offset:4
	buffer_load_dword v4, v0, s[0:3], 0 offen offset:8
	;; [unrolled: 1-line block ×3, first 2 shown]
	v_accvgpr_read_b32 v0, a147
	buffer_store_dword v1, off, s[0:3], 0 offset:656
	buffer_store_dword v1, off, s[0:3], 0 offset:660
	;; [unrolled: 1-line block ×4, first 2 shown]
	s_waitcnt vmcnt(4)
	ds_write_b128 v0, v[2:5]
.LBB48_227:
	s_or_b64 exec, exec, s[4:5]
	s_waitcnt lgkmcnt(0)
	; wave barrier
	s_waitcnt lgkmcnt(0)
	buffer_load_dword v34, off, s[0:3], 0 offset:680
	buffer_load_dword v35, off, s[0:3], 0 offset:684
	;; [unrolled: 1-line block ×36, first 2 shown]
	ds_read_b128 v[2:5], v1 offset:1440
	ds_read_b128 v[6:9], v1 offset:1456
	;; [unrolled: 1-line block ×8, first 2 shown]
	v_cmp_lt_u32_e32 vcc, 39, v254
	s_waitcnt vmcnt(34) lgkmcnt(7)
	v_mul_f64 v[70:71], v[2:3], v[34:35]
	v_mul_f64 v[34:35], v[4:5], v[34:35]
	s_waitcnt vmcnt(32) lgkmcnt(6)
	v_mul_f64 v[72:73], v[6:7], v[36:37]
	v_mul_f64 v[36:37], v[8:9], v[36:37]
	;; [unrolled: 3-line block ×4, first 2 shown]
	s_waitcnt vmcnt(25)
	v_mul_f64 v[76:77], v[14:15], v[44:45]
	v_mul_f64 v[44:45], v[16:17], v[44:45]
	s_waitcnt vmcnt(23) lgkmcnt(1)
	v_mul_f64 v[82:83], v[26:27], v[46:47]
	v_mul_f64 v[46:47], v[28:29], v[46:47]
	s_waitcnt vmcnt(20)
	v_mul_f64 v[80:81], v[22:23], v[50:51]
	v_mul_f64 v[50:51], v[24:25], v[50:51]
	s_waitcnt vmcnt(18) lgkmcnt(0)
	v_mul_f64 v[84:85], v[30:31], v[52:53]
	s_waitcnt vmcnt(17)
	v_fmac_f64_e32 v[78:79], v[20:21], v[42:43]
	s_waitcnt vmcnt(16)
	v_fmac_f64_e32 v[82:83], v[28:29], v[48:49]
	s_waitcnt vmcnt(14)
	v_fma_f64 v[2:3], v[2:3], v[54:55], -v[34:35]
	v_fmac_f64_e32 v[70:71], v[4:5], v[54:55]
	s_waitcnt vmcnt(12)
	v_fma_f64 v[4:5], v[6:7], v[56:57], -v[36:37]
	v_add_f64 v[2:3], v[2:3], 0
	v_fmac_f64_e32 v[72:73], v[8:9], v[56:57]
	s_waitcnt vmcnt(10)
	v_fma_f64 v[6:7], v[10:11], v[58:59], -v[38:39]
	s_waitcnt vmcnt(8)
	v_fmac_f64_e32 v[76:77], v[16:17], v[60:61]
	v_add_f64 v[16:17], v[70:71], 0
	v_add_f64 v[2:3], v[2:3], v[4:5]
	v_fmac_f64_e32 v[74:75], v[12:13], v[58:59]
	v_fma_f64 v[8:9], v[14:15], v[60:61], -v[44:45]
	v_add_f64 v[16:17], v[16:17], v[72:73]
	v_add_f64 v[2:3], v[2:3], v[6:7]
	v_fma_f64 v[10:11], v[18:19], v[42:43], -v[40:41]
	v_add_f64 v[4:5], v[16:17], v[74:75]
	v_add_f64 v[2:3], v[2:3], v[8:9]
	s_waitcnt vmcnt(6)
	v_fma_f64 v[12:13], v[22:23], v[62:63], -v[50:51]
	v_add_f64 v[4:5], v[4:5], v[76:77]
	v_add_f64 v[2:3], v[2:3], v[10:11]
	v_fmac_f64_e32 v[80:81], v[24:25], v[62:63]
	v_fma_f64 v[14:15], v[26:27], v[48:49], -v[46:47]
	v_add_f64 v[4:5], v[4:5], v[78:79]
	v_add_f64 v[2:3], v[2:3], v[12:13]
	v_mul_f64 v[6:7], v[32:33], v[52:53]
	v_add_f64 v[4:5], v[4:5], v[80:81]
	v_add_f64 v[2:3], v[2:3], v[14:15]
	s_waitcnt vmcnt(4)
	v_fma_f64 v[6:7], v[30:31], v[64:65], -v[6:7]
	v_fmac_f64_e32 v[84:85], v[32:33], v[64:65]
	v_add_f64 v[4:5], v[4:5], v[82:83]
	v_add_f64 v[2:3], v[2:3], v[6:7]
	;; [unrolled: 1-line block ×3, first 2 shown]
	s_waitcnt vmcnt(2)
	v_add_f64 v[2:3], v[66:67], -v[2:3]
	s_waitcnt vmcnt(0)
	v_add_f64 v[4:5], v[68:69], -v[4:5]
	buffer_store_dword v3, off, s[0:3], 0 offset:660
	buffer_store_dword v2, off, s[0:3], 0 offset:656
	buffer_store_dword v5, off, s[0:3], 0 offset:668
	buffer_store_dword v4, off, s[0:3], 0 offset:664
	s_and_saveexec_b64 s[4:5], vcc
	s_cbranch_execz .LBB48_229
; %bb.228:
	v_accvgpr_read_b32 v0, a107
	buffer_load_dword v2, v0, s[0:3], 0 offen
	buffer_load_dword v3, v0, s[0:3], 0 offen offset:4
	buffer_load_dword v4, v0, s[0:3], 0 offen offset:8
	;; [unrolled: 1-line block ×3, first 2 shown]
	v_mov_b32_e32 v0, 0
	v_accvgpr_read_b32 v1, a147
	buffer_store_dword v0, off, s[0:3], 0 offset:640
	buffer_store_dword v0, off, s[0:3], 0 offset:644
	;; [unrolled: 1-line block ×4, first 2 shown]
	s_waitcnt vmcnt(4)
	ds_write_b128 v1, v[2:5]
.LBB48_229:
	s_or_b64 exec, exec, s[4:5]
	s_waitcnt lgkmcnt(0)
	; wave barrier
	s_waitcnt lgkmcnt(0)
	buffer_load_dword v38, off, s[0:3], 0 offset:664
	buffer_load_dword v39, off, s[0:3], 0 offset:668
	;; [unrolled: 1-line block ×40, first 2 shown]
	v_mov_b32_e32 v1, 0
	ds_read_b128 v[2:5], v1 offset:1424
	ds_read_b128 v[6:9], v1 offset:1440
	;; [unrolled: 1-line block ×9, first 2 shown]
	v_cmp_lt_u32_e32 vcc, 38, v254
	s_waitcnt vmcnt(38) lgkmcnt(8)
	v_mul_f64 v[78:79], v[2:3], v[38:39]
	v_mul_f64 v[38:39], v[4:5], v[38:39]
	s_waitcnt vmcnt(36) lgkmcnt(7)
	v_mul_f64 v[80:81], v[6:7], v[40:41]
	v_mul_f64 v[40:41], v[8:9], v[40:41]
	;; [unrolled: 3-line block ×3, first 2 shown]
	s_waitcnt vmcnt(32) lgkmcnt(4)
	v_mul_f64 v[86:87], v[18:19], v[44:45]
	s_waitcnt vmcnt(30)
	v_fmac_f64_e32 v[86:87], v[20:21], v[46:47]
	s_waitcnt vmcnt(28)
	v_mul_f64 v[84:85], v[14:15], v[48:49]
	v_mul_f64 v[48:49], v[16:17], v[48:49]
	s_waitcnt vmcnt(26) lgkmcnt(2)
	v_mul_f64 v[90:91], v[26:27], v[50:51]
	s_waitcnt vmcnt(24)
	v_fmac_f64_e32 v[90:91], v[28:29], v[52:53]
	s_waitcnt vmcnt(22)
	v_mul_f64 v[88:89], v[22:23], v[54:55]
	s_waitcnt vmcnt(18) lgkmcnt(1)
	v_mul_f64 v[92:93], v[30:31], v[60:61]
	s_waitcnt vmcnt(17) lgkmcnt(0)
	v_mul_f64 v[94:95], v[34:35], v[56:57]
	s_waitcnt vmcnt(15)
	v_fma_f64 v[2:3], v[2:3], v[62:63], -v[38:39]
	v_fmac_f64_e32 v[78:79], v[4:5], v[62:63]
	s_waitcnt vmcnt(13)
	v_fma_f64 v[4:5], v[6:7], v[64:65], -v[40:41]
	v_add_f64 v[2:3], v[2:3], 0
	s_waitcnt vmcnt(11)
	v_fma_f64 v[6:7], v[10:11], v[66:67], -v[42:43]
	v_add_f64 v[2:3], v[2:3], v[4:5]
	v_fmac_f64_e32 v[80:81], v[8:9], v[64:65]
	s_waitcnt vmcnt(9)
	v_fma_f64 v[8:9], v[14:15], v[68:69], -v[48:49]
	v_add_f64 v[2:3], v[2:3], v[6:7]
	v_mul_f64 v[6:7], v[20:21], v[44:45]
	v_add_f64 v[2:3], v[2:3], v[8:9]
	v_fma_f64 v[6:7], v[18:19], v[46:47], -v[6:7]
	v_add_f64 v[2:3], v[2:3], v[6:7]
	v_mul_f64 v[6:7], v[24:25], v[54:55]
	v_add_f64 v[10:11], v[78:79], 0
	s_waitcnt vmcnt(7)
	v_fma_f64 v[6:7], v[22:23], v[70:71], -v[6:7]
	v_fmac_f64_e32 v[82:83], v[12:13], v[66:67]
	v_add_f64 v[10:11], v[10:11], v[80:81]
	v_add_f64 v[2:3], v[2:3], v[6:7]
	v_mul_f64 v[6:7], v[28:29], v[50:51]
	v_fmac_f64_e32 v[84:85], v[16:17], v[68:69]
	v_add_f64 v[4:5], v[10:11], v[82:83]
	v_fma_f64 v[6:7], v[26:27], v[52:53], -v[6:7]
	v_add_f64 v[4:5], v[4:5], v[84:85]
	v_add_f64 v[2:3], v[2:3], v[6:7]
	v_mul_f64 v[6:7], v[32:33], v[60:61]
	v_fmac_f64_e32 v[88:89], v[24:25], v[70:71]
	v_add_f64 v[4:5], v[4:5], v[86:87]
	s_waitcnt vmcnt(5)
	v_fma_f64 v[6:7], v[30:31], v[72:73], -v[6:7]
	v_add_f64 v[4:5], v[4:5], v[88:89]
	v_add_f64 v[2:3], v[2:3], v[6:7]
	v_mul_f64 v[6:7], v[36:37], v[56:57]
	v_fmac_f64_e32 v[92:93], v[32:33], v[72:73]
	v_add_f64 v[4:5], v[4:5], v[90:91]
	s_waitcnt vmcnt(4)
	v_fma_f64 v[6:7], v[34:35], v[58:59], -v[6:7]
	v_fmac_f64_e32 v[94:95], v[36:37], v[58:59]
	v_add_f64 v[4:5], v[4:5], v[92:93]
	v_add_f64 v[2:3], v[2:3], v[6:7]
	;; [unrolled: 1-line block ×3, first 2 shown]
	s_waitcnt vmcnt(2)
	v_add_f64 v[2:3], v[74:75], -v[2:3]
	s_waitcnt vmcnt(0)
	v_add_f64 v[4:5], v[76:77], -v[4:5]
	buffer_store_dword v3, off, s[0:3], 0 offset:644
	buffer_store_dword v2, off, s[0:3], 0 offset:640
	;; [unrolled: 1-line block ×4, first 2 shown]
	s_and_saveexec_b64 s[4:5], vcc
	s_cbranch_execz .LBB48_231
; %bb.230:
	v_accvgpr_read_b32 v0, a108
	buffer_load_dword v2, v0, s[0:3], 0 offen
	buffer_load_dword v3, v0, s[0:3], 0 offen offset:4
	buffer_load_dword v4, v0, s[0:3], 0 offen offset:8
	;; [unrolled: 1-line block ×3, first 2 shown]
	v_accvgpr_read_b32 v0, a147
	buffer_store_dword v1, off, s[0:3], 0 offset:624
	buffer_store_dword v1, off, s[0:3], 0 offset:628
	;; [unrolled: 1-line block ×4, first 2 shown]
	s_waitcnt vmcnt(4)
	ds_write_b128 v0, v[2:5]
.LBB48_231:
	s_or_b64 exec, exec, s[4:5]
	s_waitcnt lgkmcnt(0)
	; wave barrier
	s_waitcnt lgkmcnt(0)
	buffer_load_dword v4, off, s[0:3], 0 offset:640
	buffer_load_dword v5, off, s[0:3], 0 offset:644
	;; [unrolled: 1-line block ×44, first 2 shown]
	ds_read_b128 v[6:9], v1 offset:1408
	ds_read_b128 v[10:13], v1 offset:1424
	;; [unrolled: 1-line block ×10, first 2 shown]
	v_cmp_lt_u32_e32 vcc, 37, v254
	s_waitcnt vmcnt(40) lgkmcnt(9)
	v_mul_f64 v[86:87], v[6:7], v[46:47]
	v_mul_f64 v[46:47], v[8:9], v[46:47]
	s_waitcnt vmcnt(38) lgkmcnt(8)
	v_mul_f64 v[88:89], v[10:11], v[48:49]
	v_mul_f64 v[48:49], v[12:13], v[48:49]
	v_fmac_f64_e32 v[86:87], v[8:9], v[4:5]
	v_fma_f64 v[4:5], v[6:7], v[4:5], -v[46:47]
	s_waitcnt vmcnt(36) lgkmcnt(7)
	v_mul_f64 v[90:91], v[14:15], v[2:3]
	v_add_f64 v[4:5], v[4:5], 0
	v_mul_f64 v[2:3], v[16:17], v[2:3]
	v_add_f64 v[8:9], v[86:87], 0
	s_waitcnt vmcnt(30) lgkmcnt(6)
	v_mul_f64 v[92:93], v[18:19], v[54:55]
	s_waitcnt lgkmcnt(5)
	v_mul_f64 v[94:95], v[22:23], v[50:51]
	v_fmac_f64_e32 v[94:95], v[24:25], v[52:53]
	s_waitcnt vmcnt(28) lgkmcnt(3)
	v_mul_f64 v[98:99], v[30:31], v[56:57]
	s_waitcnt vmcnt(26)
	v_fmac_f64_e32 v[98:99], v[32:33], v[58:59]
	s_waitcnt vmcnt(24)
	v_mul_f64 v[96:97], v[26:27], v[60:61]
	s_waitcnt vmcnt(22) lgkmcnt(1)
	v_mul_f64 v[102:103], v[38:39], v[62:63]
	s_waitcnt vmcnt(20)
	v_fmac_f64_e32 v[102:103], v[40:41], v[64:65]
	s_waitcnt vmcnt(18)
	v_mul_f64 v[100:101], v[34:35], v[66:67]
	s_waitcnt vmcnt(16) lgkmcnt(0)
	v_mul_f64 v[104:105], v[42:43], v[68:69]
	s_waitcnt vmcnt(14)
	v_fma_f64 v[6:7], v[10:11], v[70:71], -v[48:49]
	v_add_f64 v[4:5], v[4:5], v[6:7]
	s_waitcnt vmcnt(12)
	v_fma_f64 v[2:3], v[14:15], v[72:73], -v[2:3]
	v_add_f64 v[2:3], v[4:5], v[2:3]
	v_mul_f64 v[4:5], v[20:21], v[54:55]
	s_waitcnt vmcnt(10)
	v_fma_f64 v[4:5], v[18:19], v[74:75], -v[4:5]
	v_add_f64 v[2:3], v[2:3], v[4:5]
	v_mul_f64 v[4:5], v[24:25], v[50:51]
	v_fma_f64 v[4:5], v[22:23], v[52:53], -v[4:5]
	v_add_f64 v[2:3], v[2:3], v[4:5]
	v_mul_f64 v[4:5], v[28:29], v[60:61]
	s_waitcnt vmcnt(8)
	v_fma_f64 v[4:5], v[26:27], v[76:77], -v[4:5]
	v_fmac_f64_e32 v[88:89], v[12:13], v[70:71]
	v_add_f64 v[2:3], v[2:3], v[4:5]
	v_mul_f64 v[4:5], v[32:33], v[56:57]
	v_fmac_f64_e32 v[90:91], v[16:17], v[72:73]
	v_add_f64 v[8:9], v[8:9], v[88:89]
	v_fma_f64 v[4:5], v[30:31], v[58:59], -v[4:5]
	v_fmac_f64_e32 v[92:93], v[20:21], v[74:75]
	v_add_f64 v[6:7], v[8:9], v[90:91]
	v_add_f64 v[2:3], v[2:3], v[4:5]
	v_mul_f64 v[4:5], v[36:37], v[66:67]
	v_add_f64 v[6:7], v[6:7], v[92:93]
	s_waitcnt vmcnt(6)
	v_fma_f64 v[4:5], v[34:35], v[78:79], -v[4:5]
	v_fmac_f64_e32 v[96:97], v[28:29], v[76:77]
	v_add_f64 v[6:7], v[6:7], v[94:95]
	v_add_f64 v[2:3], v[2:3], v[4:5]
	v_mul_f64 v[4:5], v[40:41], v[62:63]
	v_add_f64 v[6:7], v[6:7], v[96:97]
	v_fma_f64 v[4:5], v[38:39], v[64:65], -v[4:5]
	v_fmac_f64_e32 v[100:101], v[36:37], v[78:79]
	v_add_f64 v[6:7], v[6:7], v[98:99]
	v_add_f64 v[2:3], v[2:3], v[4:5]
	v_mul_f64 v[4:5], v[44:45], v[68:69]
	v_add_f64 v[6:7], v[6:7], v[100:101]
	s_waitcnt vmcnt(4)
	v_fma_f64 v[4:5], v[42:43], v[80:81], -v[4:5]
	v_fmac_f64_e32 v[104:105], v[44:45], v[80:81]
	v_add_f64 v[6:7], v[6:7], v[102:103]
	v_add_f64 v[2:3], v[2:3], v[4:5]
	;; [unrolled: 1-line block ×3, first 2 shown]
	s_waitcnt vmcnt(2)
	v_add_f64 v[2:3], v[82:83], -v[2:3]
	s_waitcnt vmcnt(0)
	v_add_f64 v[4:5], v[84:85], -v[6:7]
	buffer_store_dword v3, off, s[0:3], 0 offset:628
	buffer_store_dword v2, off, s[0:3], 0 offset:624
	;; [unrolled: 1-line block ×4, first 2 shown]
	s_and_saveexec_b64 s[4:5], vcc
	s_cbranch_execz .LBB48_233
; %bb.232:
	v_accvgpr_read_b32 v0, a109
	buffer_load_dword v2, v0, s[0:3], 0 offen
	buffer_load_dword v3, v0, s[0:3], 0 offen offset:4
	buffer_load_dword v4, v0, s[0:3], 0 offen offset:8
	;; [unrolled: 1-line block ×3, first 2 shown]
	v_mov_b32_e32 v0, 0
	v_accvgpr_read_b32 v1, a147
	buffer_store_dword v0, off, s[0:3], 0 offset:608
	buffer_store_dword v0, off, s[0:3], 0 offset:612
	;; [unrolled: 1-line block ×4, first 2 shown]
	s_waitcnt vmcnt(4)
	ds_write_b128 v1, v[2:5]
.LBB48_233:
	s_or_b64 exec, exec, s[4:5]
	v_mov_b32_e32 v1, 0
	s_waitcnt lgkmcnt(0)
	; wave barrier
	s_waitcnt lgkmcnt(0)
	ds_read_b128 v[14:17], v1 offset:1392
	ds_read_b128 v[10:13], v1 offset:1408
	;; [unrolled: 1-line block ×4, first 2 shown]
	buffer_load_dword v48, off, s[0:3], 0 offset:608
	buffer_load_dword v49, off, s[0:3], 0 offset:612
	;; [unrolled: 1-line block ×20, first 2 shown]
	v_cmp_lt_u32_e32 vcc, 36, v254
	s_waitcnt vmcnt(12) lgkmcnt(3)
	v_mul_f64 v[18:19], v[14:15], v[56:57]
	v_fmac_f64_e32 v[18:19], v[16:17], v[50:51]
	v_add_f64 v[18:19], v[18:19], 0
	v_mul_f64 v[16:17], v[16:17], v[56:57]
	s_waitcnt vmcnt(8) lgkmcnt(2)
	v_mul_f64 v[20:21], v[10:11], v[58:59]
	v_fmac_f64_e32 v[20:21], v[12:13], v[52:53]
	v_add_f64 v[18:19], v[18:19], v[20:21]
	v_fma_f64 v[14:15], v[14:15], v[50:51], -v[16:17]
	s_waitcnt vmcnt(4) lgkmcnt(1)
	v_mul_f64 v[20:21], v[6:7], v[60:61]
	v_fmac_f64_e32 v[20:21], v[8:9], v[54:55]
	v_add_f64 v[18:19], v[18:19], v[20:21]
	s_waitcnt vmcnt(0) lgkmcnt(0)
	v_mul_f64 v[20:21], v[2:3], v[64:65]
	v_fmac_f64_e32 v[20:21], v[4:5], v[62:63]
	v_add_f64 v[22:23], v[18:19], v[20:21]
	ds_read_b128 v[18:21], v1 offset:1456
	buffer_load_dword v67, off, s[0:3], 0 offset:692
	buffer_load_dword v66, off, s[0:3], 0 offset:688
	;; [unrolled: 1-line block ×4, first 2 shown]
	v_mul_f64 v[12:13], v[12:13], v[58:59]
	v_add_f64 v[14:15], v[14:15], 0
	v_fma_f64 v[10:11], v[10:11], v[52:53], -v[12:13]
	v_mul_f64 v[8:9], v[8:9], v[60:61]
	v_add_f64 v[10:11], v[14:15], v[10:11]
	v_fma_f64 v[6:7], v[6:7], v[54:55], -v[8:9]
	;; [unrolled: 3-line block ×3, first 2 shown]
	v_add_f64 v[2:3], v[6:7], v[2:3]
	s_waitcnt vmcnt(0) lgkmcnt(0)
	v_mul_f64 v[24:25], v[18:19], v[68:69]
	v_fmac_f64_e32 v[24:25], v[20:21], v[66:67]
	v_add_f64 v[26:27], v[22:23], v[24:25]
	ds_read_b128 v[22:25], v1 offset:1472
	buffer_load_dword v71, off, s[0:3], 0 offset:708
	buffer_load_dword v70, off, s[0:3], 0 offset:704
	buffer_load_dword v73, off, s[0:3], 0 offset:716
	buffer_load_dword v72, off, s[0:3], 0 offset:712
	v_mul_f64 v[4:5], v[20:21], v[68:69]
	v_fma_f64 v[4:5], v[18:19], v[66:67], -v[4:5]
	v_add_f64 v[2:3], v[2:3], v[4:5]
	s_waitcnt vmcnt(0) lgkmcnt(0)
	v_mul_f64 v[28:29], v[22:23], v[72:73]
	v_fmac_f64_e32 v[28:29], v[24:25], v[70:71]
	v_add_f64 v[30:31], v[26:27], v[28:29]
	ds_read_b128 v[26:29], v1 offset:1488
	buffer_load_dword v75, off, s[0:3], 0 offset:724
	buffer_load_dword v74, off, s[0:3], 0 offset:720
	buffer_load_dword v77, off, s[0:3], 0 offset:732
	buffer_load_dword v76, off, s[0:3], 0 offset:728
	v_mul_f64 v[4:5], v[24:25], v[72:73]
	v_fma_f64 v[4:5], v[22:23], v[70:71], -v[4:5]
	;; [unrolled: 12-line block ×6, first 2 shown]
	v_add_f64 v[2:3], v[2:3], v[4:5]
	s_waitcnt vmcnt(0) lgkmcnt(0)
	v_mul_f64 v[4:5], v[44:45], v[92:93]
	v_mul_f64 v[96:97], v[42:43], v[92:93]
	v_fma_f64 v[4:5], v[42:43], v[90:91], -v[4:5]
	v_fmac_f64_e32 v[96:97], v[44:45], v[90:91]
	v_add_f64 v[2:3], v[2:3], v[4:5]
	v_add_f64 v[94:95], v[94:95], v[96:97]
	v_add_f64 v[2:3], v[48:49], -v[2:3]
	v_add_f64 v[4:5], v[46:47], -v[94:95]
	buffer_store_dword v3, off, s[0:3], 0 offset:612
	buffer_store_dword v2, off, s[0:3], 0 offset:608
	buffer_store_dword v5, off, s[0:3], 0 offset:620
	buffer_store_dword v4, off, s[0:3], 0 offset:616
	s_and_saveexec_b64 s[4:5], vcc
	s_cbranch_execz .LBB48_235
; %bb.234:
	v_accvgpr_read_b32 v0, a110
	buffer_load_dword v2, v0, s[0:3], 0 offen
	buffer_load_dword v3, v0, s[0:3], 0 offen offset:4
	buffer_load_dword v4, v0, s[0:3], 0 offen offset:8
	;; [unrolled: 1-line block ×3, first 2 shown]
	v_accvgpr_read_b32 v0, a147
	buffer_store_dword v1, off, s[0:3], 0 offset:592
	buffer_store_dword v1, off, s[0:3], 0 offset:596
	buffer_store_dword v1, off, s[0:3], 0 offset:600
	buffer_store_dword v1, off, s[0:3], 0 offset:604
	s_waitcnt vmcnt(4)
	ds_write_b128 v0, v[2:5]
.LBB48_235:
	s_or_b64 exec, exec, s[4:5]
	s_waitcnt lgkmcnt(0)
	; wave barrier
	s_waitcnt lgkmcnt(0)
	ds_read_b128 v[14:17], v1 offset:1376
	ds_read_b128 v[10:13], v1 offset:1392
	;; [unrolled: 1-line block ×4, first 2 shown]
	buffer_load_dword v48, off, s[0:3], 0 offset:592
	buffer_load_dword v49, off, s[0:3], 0 offset:596
	;; [unrolled: 1-line block ×20, first 2 shown]
	v_cmp_lt_u32_e32 vcc, 35, v254
	s_waitcnt vmcnt(12) lgkmcnt(3)
	v_mul_f64 v[18:19], v[14:15], v[56:57]
	v_fmac_f64_e32 v[18:19], v[16:17], v[50:51]
	v_add_f64 v[18:19], v[18:19], 0
	v_mul_f64 v[16:17], v[16:17], v[56:57]
	s_waitcnt vmcnt(8) lgkmcnt(2)
	v_mul_f64 v[20:21], v[10:11], v[58:59]
	v_fmac_f64_e32 v[20:21], v[12:13], v[52:53]
	v_add_f64 v[18:19], v[18:19], v[20:21]
	v_fma_f64 v[14:15], v[14:15], v[50:51], -v[16:17]
	s_waitcnt vmcnt(4) lgkmcnt(1)
	v_mul_f64 v[20:21], v[6:7], v[60:61]
	v_fmac_f64_e32 v[20:21], v[8:9], v[54:55]
	v_add_f64 v[18:19], v[18:19], v[20:21]
	s_waitcnt vmcnt(0) lgkmcnt(0)
	v_mul_f64 v[20:21], v[2:3], v[64:65]
	v_fmac_f64_e32 v[20:21], v[4:5], v[62:63]
	v_add_f64 v[22:23], v[18:19], v[20:21]
	ds_read_b128 v[18:21], v1 offset:1440
	buffer_load_dword v67, off, s[0:3], 0 offset:676
	buffer_load_dword v66, off, s[0:3], 0 offset:672
	;; [unrolled: 1-line block ×4, first 2 shown]
	v_mul_f64 v[12:13], v[12:13], v[58:59]
	v_add_f64 v[14:15], v[14:15], 0
	v_fma_f64 v[10:11], v[10:11], v[52:53], -v[12:13]
	v_mul_f64 v[8:9], v[8:9], v[60:61]
	v_add_f64 v[10:11], v[14:15], v[10:11]
	v_fma_f64 v[6:7], v[6:7], v[54:55], -v[8:9]
	;; [unrolled: 3-line block ×3, first 2 shown]
	v_add_f64 v[2:3], v[6:7], v[2:3]
	s_waitcnt vmcnt(0) lgkmcnt(0)
	v_mul_f64 v[24:25], v[18:19], v[68:69]
	v_fmac_f64_e32 v[24:25], v[20:21], v[66:67]
	v_add_f64 v[26:27], v[22:23], v[24:25]
	ds_read_b128 v[22:25], v1 offset:1456
	buffer_load_dword v71, off, s[0:3], 0 offset:692
	buffer_load_dword v70, off, s[0:3], 0 offset:688
	buffer_load_dword v73, off, s[0:3], 0 offset:700
	buffer_load_dword v72, off, s[0:3], 0 offset:696
	v_mul_f64 v[4:5], v[20:21], v[68:69]
	v_fma_f64 v[4:5], v[18:19], v[66:67], -v[4:5]
	v_add_f64 v[2:3], v[2:3], v[4:5]
	s_waitcnt vmcnt(0) lgkmcnt(0)
	v_mul_f64 v[28:29], v[22:23], v[72:73]
	v_fmac_f64_e32 v[28:29], v[24:25], v[70:71]
	v_add_f64 v[30:31], v[26:27], v[28:29]
	ds_read_b128 v[26:29], v1 offset:1472
	buffer_load_dword v75, off, s[0:3], 0 offset:708
	buffer_load_dword v74, off, s[0:3], 0 offset:704
	buffer_load_dword v77, off, s[0:3], 0 offset:716
	buffer_load_dword v76, off, s[0:3], 0 offset:712
	v_mul_f64 v[4:5], v[24:25], v[72:73]
	v_fma_f64 v[4:5], v[22:23], v[70:71], -v[4:5]
	;; [unrolled: 12-line block ×7, first 2 shown]
	v_add_f64 v[2:3], v[2:3], v[4:5]
	s_waitcnt vmcnt(0) lgkmcnt(0)
	v_mul_f64 v[4:5], v[96:97], v[102:103]
	v_mul_f64 v[104:105], v[94:95], v[102:103]
	v_fma_f64 v[4:5], v[94:95], v[100:101], -v[4:5]
	v_fmac_f64_e32 v[104:105], v[96:97], v[100:101]
	v_add_f64 v[2:3], v[2:3], v[4:5]
	v_add_f64 v[98:99], v[98:99], v[104:105]
	v_add_f64 v[2:3], v[48:49], -v[2:3]
	v_add_f64 v[4:5], v[46:47], -v[98:99]
	buffer_store_dword v3, off, s[0:3], 0 offset:596
	buffer_store_dword v2, off, s[0:3], 0 offset:592
	;; [unrolled: 1-line block ×4, first 2 shown]
	s_and_saveexec_b64 s[4:5], vcc
	s_cbranch_execz .LBB48_237
; %bb.236:
	v_accvgpr_read_b32 v0, a111
	buffer_load_dword v2, v0, s[0:3], 0 offen
	buffer_load_dword v3, v0, s[0:3], 0 offen offset:4
	buffer_load_dword v4, v0, s[0:3], 0 offen offset:8
	;; [unrolled: 1-line block ×3, first 2 shown]
	v_mov_b32_e32 v0, 0
	v_accvgpr_read_b32 v1, a147
	buffer_store_dword v0, off, s[0:3], 0 offset:576
	buffer_store_dword v0, off, s[0:3], 0 offset:580
	;; [unrolled: 1-line block ×4, first 2 shown]
	s_waitcnt vmcnt(4)
	ds_write_b128 v1, v[2:5]
.LBB48_237:
	s_or_b64 exec, exec, s[4:5]
	s_waitcnt lgkmcnt(0)
	; wave barrier
	s_waitcnt lgkmcnt(0)
	buffer_load_dword v2, off, s[0:3], 0 offset:592
	buffer_load_dword v3, off, s[0:3], 0 offset:596
	;; [unrolled: 1-line block ×56, first 2 shown]
	v_mov_b32_e32 v1, 0
	ds_read_b128 v[30:33], v1 offset:1360
	ds_read_b128 v[34:37], v1 offset:1376
	ds_read_b128 v[38:41], v1 offset:1392
	ds_read_b128 v[42:45], v1 offset:1408
	ds_read_b128 v[46:49], v1 offset:1424
	ds_read_b128 v[50:53], v1 offset:1440
	ds_read_b128 v[54:57], v1 offset:1456
	ds_read_b128 v[58:61], v1 offset:1472
	ds_read_b128 v[78:81], v1 offset:1552
	v_cmp_lt_u32_e32 vcc, 34, v254
	s_waitcnt vmcnt(52) lgkmcnt(8)
	v_mul_f64 v[62:63], v[30:31], v[6:7]
	v_fmac_f64_e32 v[62:63], v[32:33], v[2:3]
	v_mul_f64 v[6:7], v[32:33], v[6:7]
	v_add_f64 v[62:63], v[62:63], 0
	s_waitcnt vmcnt(48) lgkmcnt(7)
	v_mul_f64 v[64:65], v[34:35], v[8:9]
	v_fmac_f64_e32 v[64:65], v[36:37], v[4:5]
	s_waitcnt vmcnt(46) lgkmcnt(6)
	v_mul_f64 v[66:67], v[38:39], v[10:11]
	v_fma_f64 v[2:3], v[30:31], v[2:3], -v[6:7]
	v_mul_f64 v[6:7], v[36:37], v[8:9]
	s_waitcnt vmcnt(44) lgkmcnt(5)
	v_mul_f64 v[68:69], v[42:43], v[12:13]
	v_add_f64 v[62:63], v[62:63], v[64:65]
	v_add_f64 v[2:3], v[2:3], 0
	v_fma_f64 v[4:5], v[34:35], v[4:5], -v[6:7]
	v_add_f64 v[2:3], v[2:3], v[4:5]
	v_mul_f64 v[4:5], v[40:41], v[10:11]
	s_waitcnt vmcnt(37) lgkmcnt(4)
	v_mul_f64 v[70:71], v[46:47], v[20:21]
	s_waitcnt lgkmcnt(3)
	v_mul_f64 v[72:73], v[50:51], v[18:19]
	s_waitcnt vmcnt(35)
	v_fmac_f64_e32 v[70:71], v[48:49], v[22:23]
	s_waitcnt lgkmcnt(2)
	v_mul_f64 v[74:75], v[54:55], v[14:15]
	s_waitcnt vmcnt(33)
	v_fmac_f64_e32 v[66:67], v[40:41], v[28:29]
	v_add_f64 v[62:63], v[62:63], v[66:67]
	s_waitcnt vmcnt(31)
	v_fmac_f64_e32 v[68:69], v[44:45], v[26:27]
	v_add_f64 v[62:63], v[62:63], v[68:69]
	v_fma_f64 v[4:5], v[38:39], v[28:29], -v[4:5]
	s_waitcnt vmcnt(29)
	v_fmac_f64_e32 v[72:73], v[52:53], v[24:25]
	v_add_f64 v[62:63], v[62:63], v[70:71]
	v_add_f64 v[2:3], v[2:3], v[4:5]
	v_mul_f64 v[4:5], v[44:45], v[12:13]
	s_waitcnt vmcnt(28)
	v_fmac_f64_e32 v[74:75], v[56:57], v[16:17]
	v_add_f64 v[62:63], v[62:63], v[72:73]
	v_fma_f64 v[4:5], v[42:43], v[26:27], -v[4:5]
	v_add_f64 v[66:67], v[62:63], v[74:75]
	ds_read_b128 v[62:65], v1 offset:1488
	s_waitcnt vmcnt(24) lgkmcnt(2)
	v_mul_f64 v[68:69], v[58:59], v[86:87]
	v_add_f64 v[2:3], v[2:3], v[4:5]
	v_mul_f64 v[4:5], v[48:49], v[20:21]
	s_waitcnt vmcnt(22)
	v_fmac_f64_e32 v[68:69], v[60:61], v[88:89]
	v_fma_f64 v[4:5], v[46:47], v[22:23], -v[4:5]
	v_add_f64 v[70:71], v[66:67], v[68:69]
	ds_read_b128 v[66:69], v1 offset:1504
	v_add_f64 v[2:3], v[2:3], v[4:5]
	v_mul_f64 v[4:5], v[52:53], v[18:19]
	v_fma_f64 v[4:5], v[50:51], v[24:25], -v[4:5]
	v_add_f64 v[2:3], v[2:3], v[4:5]
	v_mul_f64 v[4:5], v[56:57], v[14:15]
	s_waitcnt vmcnt(21) lgkmcnt(1)
	v_mul_f64 v[72:73], v[62:63], v[82:83]
	v_fma_f64 v[4:5], v[54:55], v[16:17], -v[4:5]
	s_waitcnt vmcnt(20)
	v_fmac_f64_e32 v[72:73], v[64:65], v[84:85]
	v_add_f64 v[2:3], v[2:3], v[4:5]
	v_mul_f64 v[4:5], v[60:61], v[86:87]
	v_add_f64 v[74:75], v[70:71], v[72:73]
	ds_read_b128 v[70:73], v1 offset:1520
	s_waitcnt vmcnt(16) lgkmcnt(1)
	v_mul_f64 v[76:77], v[66:67], v[94:95]
	v_fma_f64 v[4:5], v[58:59], v[88:89], -v[4:5]
	s_waitcnt vmcnt(14)
	v_fmac_f64_e32 v[76:77], v[68:69], v[96:97]
	v_add_f64 v[2:3], v[2:3], v[4:5]
	v_mul_f64 v[4:5], v[64:65], v[82:83]
	v_add_f64 v[110:111], v[74:75], v[76:77]
	ds_read_b128 v[74:77], v1 offset:1536
	v_fma_f64 v[4:5], v[62:63], v[84:85], -v[4:5]
	v_add_f64 v[2:3], v[2:3], v[4:5]
	v_mul_f64 v[4:5], v[68:69], v[94:95]
	v_fma_f64 v[4:5], v[66:67], v[96:97], -v[4:5]
	v_add_f64 v[2:3], v[2:3], v[4:5]
	s_waitcnt vmcnt(13) lgkmcnt(1)
	v_mul_f64 v[4:5], v[72:73], v[90:91]
	v_mul_f64 v[112:113], v[70:71], v[90:91]
	s_waitcnt vmcnt(12)
	v_fma_f64 v[4:5], v[70:71], v[92:93], -v[4:5]
	v_fmac_f64_e32 v[112:113], v[72:73], v[92:93]
	v_add_f64 v[2:3], v[2:3], v[4:5]
	s_waitcnt vmcnt(8) lgkmcnt(0)
	v_mul_f64 v[4:5], v[76:77], v[102:103]
	v_add_f64 v[110:111], v[110:111], v[112:113]
	v_mul_f64 v[112:113], v[74:75], v[102:103]
	s_waitcnt vmcnt(6)
	v_fma_f64 v[4:5], v[74:75], v[104:105], -v[4:5]
	v_fmac_f64_e32 v[112:113], v[76:77], v[104:105]
	v_add_f64 v[2:3], v[2:3], v[4:5]
	s_waitcnt vmcnt(5)
	v_mul_f64 v[4:5], v[80:81], v[98:99]
	v_add_f64 v[110:111], v[110:111], v[112:113]
	v_mul_f64 v[112:113], v[78:79], v[98:99]
	s_waitcnt vmcnt(4)
	v_fma_f64 v[4:5], v[78:79], v[100:101], -v[4:5]
	v_fmac_f64_e32 v[112:113], v[80:81], v[100:101]
	v_add_f64 v[2:3], v[2:3], v[4:5]
	v_add_f64 v[110:111], v[110:111], v[112:113]
	s_waitcnt vmcnt(2)
	v_add_f64 v[2:3], v[106:107], -v[2:3]
	s_waitcnt vmcnt(0)
	v_add_f64 v[4:5], v[108:109], -v[110:111]
	buffer_store_dword v3, off, s[0:3], 0 offset:580
	buffer_store_dword v2, off, s[0:3], 0 offset:576
	;; [unrolled: 1-line block ×4, first 2 shown]
	s_and_saveexec_b64 s[4:5], vcc
	s_cbranch_execz .LBB48_239
; %bb.238:
	v_accvgpr_read_b32 v0, a112
	buffer_load_dword v2, v0, s[0:3], 0 offen
	buffer_load_dword v3, v0, s[0:3], 0 offen offset:4
	buffer_load_dword v4, v0, s[0:3], 0 offen offset:8
	buffer_load_dword v5, v0, s[0:3], 0 offen offset:12
	v_accvgpr_read_b32 v0, a147
	buffer_store_dword v1, off, s[0:3], 0 offset:560
	buffer_store_dword v1, off, s[0:3], 0 offset:564
	;; [unrolled: 1-line block ×4, first 2 shown]
	s_waitcnt vmcnt(4)
	ds_write_b128 v0, v[2:5]
.LBB48_239:
	s_or_b64 exec, exec, s[4:5]
	s_waitcnt lgkmcnt(0)
	; wave barrier
	s_waitcnt lgkmcnt(0)
	buffer_load_dword v2, off, s[0:3], 0 offset:576
	buffer_load_dword v3, off, s[0:3], 0 offset:580
	;; [unrolled: 1-line block ×60, first 2 shown]
	ds_read_b128 v[30:33], v1 offset:1344
	ds_read_b128 v[34:37], v1 offset:1360
	;; [unrolled: 1-line block ×8, first 2 shown]
	v_cmp_lt_u32_e32 vcc, 33, v254
	ds_read_b128 v[82:85], v1 offset:1552
	s_waitcnt vmcnt(56) lgkmcnt(8)
	v_mul_f64 v[62:63], v[30:31], v[6:7]
	v_fmac_f64_e32 v[62:63], v[32:33], v[2:3]
	v_add_f64 v[62:63], v[62:63], 0
	v_mul_f64 v[6:7], v[32:33], v[6:7]
	s_waitcnt vmcnt(52) lgkmcnt(7)
	v_mul_f64 v[64:65], v[34:35], v[8:9]
	v_fmac_f64_e32 v[64:65], v[36:37], v[4:5]
	s_waitcnt vmcnt(50) lgkmcnt(6)
	v_mul_f64 v[66:67], v[38:39], v[10:11]
	v_add_f64 v[62:63], v[62:63], v[64:65]
	s_waitcnt vmcnt(48) lgkmcnt(4)
	v_mul_f64 v[70:71], v[46:47], v[12:13]
	v_fma_f64 v[2:3], v[30:31], v[2:3], -v[6:7]
	s_waitcnt vmcnt(46)
	v_fmac_f64_e32 v[70:71], v[48:49], v[14:15]
	v_mul_f64 v[6:7], v[36:37], v[8:9]
	s_waitcnt vmcnt(44)
	v_mul_f64 v[68:69], v[42:43], v[16:17]
	v_add_f64 v[2:3], v[2:3], 0
	v_fma_f64 v[4:5], v[34:35], v[4:5], -v[6:7]
	v_add_f64 v[2:3], v[2:3], v[4:5]
	s_waitcnt vmcnt(40) lgkmcnt(3)
	v_mul_f64 v[72:73], v[50:51], v[22:23]
	v_mul_f64 v[4:5], v[40:41], v[10:11]
	s_waitcnt vmcnt(38)
	v_fmac_f64_e32 v[66:67], v[40:41], v[28:29]
	v_add_f64 v[62:63], v[62:63], v[66:67]
	s_waitcnt vmcnt(36)
	v_fmac_f64_e32 v[68:69], v[44:45], v[26:27]
	v_add_f64 v[62:63], v[62:63], v[68:69]
	;; [unrolled: 3-line block ×3, first 2 shown]
	s_waitcnt vmcnt(33) lgkmcnt(2)
	v_mul_f64 v[64:65], v[54:55], v[18:19]
	v_add_f64 v[62:63], v[62:63], v[72:73]
	s_waitcnt vmcnt(32)
	v_fmac_f64_e32 v[64:65], v[56:57], v[20:21]
	v_add_f64 v[66:67], v[62:63], v[64:65]
	ds_read_b128 v[62:65], v1 offset:1472
	v_fma_f64 v[4:5], v[38:39], v[28:29], -v[4:5]
	v_add_f64 v[2:3], v[2:3], v[4:5]
	v_mul_f64 v[4:5], v[44:45], v[16:17]
	v_fma_f64 v[4:5], v[42:43], v[26:27], -v[4:5]
	s_waitcnt vmcnt(28) lgkmcnt(2)
	v_mul_f64 v[68:69], v[58:59], v[90:91]
	v_add_f64 v[2:3], v[2:3], v[4:5]
	v_mul_f64 v[4:5], v[48:49], v[12:13]
	s_waitcnt vmcnt(26)
	v_fmac_f64_e32 v[68:69], v[60:61], v[92:93]
	v_fma_f64 v[4:5], v[46:47], v[14:15], -v[4:5]
	v_add_f64 v[70:71], v[66:67], v[68:69]
	ds_read_b128 v[66:69], v1 offset:1488
	s_waitcnt vmcnt(25) lgkmcnt(1)
	v_mul_f64 v[72:73], v[62:63], v[86:87]
	v_add_f64 v[2:3], v[2:3], v[4:5]
	v_mul_f64 v[4:5], v[52:53], v[22:23]
	s_waitcnt vmcnt(24)
	v_fmac_f64_e32 v[72:73], v[64:65], v[88:89]
	v_fma_f64 v[4:5], v[50:51], v[24:25], -v[4:5]
	v_add_f64 v[74:75], v[70:71], v[72:73]
	ds_read_b128 v[70:73], v1 offset:1504
	v_add_f64 v[2:3], v[2:3], v[4:5]
	v_mul_f64 v[4:5], v[56:57], v[18:19]
	v_fma_f64 v[4:5], v[54:55], v[20:21], -v[4:5]
	v_add_f64 v[2:3], v[2:3], v[4:5]
	v_mul_f64 v[4:5], v[60:61], v[90:91]
	s_waitcnt vmcnt(20) lgkmcnt(1)
	v_mul_f64 v[76:77], v[66:67], v[98:99]
	v_fma_f64 v[4:5], v[58:59], v[92:93], -v[4:5]
	s_waitcnt vmcnt(18)
	v_fmac_f64_e32 v[76:77], v[68:69], v[100:101]
	v_add_f64 v[2:3], v[2:3], v[4:5]
	v_mul_f64 v[4:5], v[64:65], v[86:87]
	v_add_f64 v[78:79], v[74:75], v[76:77]
	ds_read_b128 v[74:77], v1 offset:1520
	s_waitcnt vmcnt(17) lgkmcnt(1)
	v_mul_f64 v[80:81], v[70:71], v[94:95]
	v_fma_f64 v[4:5], v[62:63], v[88:89], -v[4:5]
	s_waitcnt vmcnt(16)
	v_fmac_f64_e32 v[80:81], v[72:73], v[96:97]
	v_add_f64 v[2:3], v[2:3], v[4:5]
	v_mul_f64 v[4:5], v[68:69], v[98:99]
	v_add_f64 v[118:119], v[78:79], v[80:81]
	ds_read_b128 v[78:81], v1 offset:1536
	v_fma_f64 v[4:5], v[66:67], v[100:101], -v[4:5]
	v_add_f64 v[2:3], v[2:3], v[4:5]
	v_mul_f64 v[4:5], v[72:73], v[94:95]
	v_fma_f64 v[4:5], v[70:71], v[96:97], -v[4:5]
	v_add_f64 v[2:3], v[2:3], v[4:5]
	s_waitcnt vmcnt(12) lgkmcnt(1)
	v_mul_f64 v[4:5], v[76:77], v[106:107]
	v_mul_f64 v[120:121], v[74:75], v[106:107]
	s_waitcnt vmcnt(10)
	v_fma_f64 v[4:5], v[74:75], v[108:109], -v[4:5]
	v_fmac_f64_e32 v[120:121], v[76:77], v[108:109]
	v_add_f64 v[2:3], v[2:3], v[4:5]
	s_waitcnt vmcnt(9) lgkmcnt(0)
	v_mul_f64 v[4:5], v[80:81], v[102:103]
	v_add_f64 v[118:119], v[118:119], v[120:121]
	v_mul_f64 v[120:121], v[78:79], v[102:103]
	s_waitcnt vmcnt(8)
	v_fma_f64 v[4:5], v[78:79], v[104:105], -v[4:5]
	v_fmac_f64_e32 v[120:121], v[80:81], v[104:105]
	v_add_f64 v[2:3], v[2:3], v[4:5]
	s_waitcnt vmcnt(6)
	v_mul_f64 v[4:5], v[84:85], v[110:111]
	v_add_f64 v[118:119], v[118:119], v[120:121]
	v_mul_f64 v[120:121], v[82:83], v[110:111]
	s_waitcnt vmcnt(4)
	v_fma_f64 v[4:5], v[82:83], v[112:113], -v[4:5]
	v_fmac_f64_e32 v[120:121], v[84:85], v[112:113]
	v_add_f64 v[2:3], v[2:3], v[4:5]
	v_add_f64 v[118:119], v[118:119], v[120:121]
	s_waitcnt vmcnt(2)
	v_add_f64 v[2:3], v[114:115], -v[2:3]
	s_waitcnt vmcnt(0)
	v_add_f64 v[4:5], v[116:117], -v[118:119]
	buffer_store_dword v3, off, s[0:3], 0 offset:564
	buffer_store_dword v2, off, s[0:3], 0 offset:560
	;; [unrolled: 1-line block ×4, first 2 shown]
	s_and_saveexec_b64 s[4:5], vcc
	s_cbranch_execz .LBB48_241
; %bb.240:
	v_accvgpr_read_b32 v0, a113
	buffer_load_dword v2, v0, s[0:3], 0 offen
	buffer_load_dword v3, v0, s[0:3], 0 offen offset:4
	buffer_load_dword v4, v0, s[0:3], 0 offen offset:8
	;; [unrolled: 1-line block ×3, first 2 shown]
	v_mov_b32_e32 v0, 0
	v_accvgpr_read_b32 v1, a147
	buffer_store_dword v0, off, s[0:3], 0 offset:544
	buffer_store_dword v0, off, s[0:3], 0 offset:548
	;; [unrolled: 1-line block ×4, first 2 shown]
	s_waitcnt vmcnt(4)
	ds_write_b128 v1, v[2:5]
.LBB48_241:
	s_or_b64 exec, exec, s[4:5]
	s_waitcnt lgkmcnt(0)
	; wave barrier
	s_waitcnt lgkmcnt(0)
	buffer_load_dword v2, off, s[0:3], 0 offset:560
	buffer_load_dword v3, off, s[0:3], 0 offset:564
	;; [unrolled: 1-line block ×64, first 2 shown]
	v_mov_b32_e32 v1, 0
	ds_read_b128 v[38:41], v1 offset:1328
	ds_read_b128 v[42:45], v1 offset:1344
	;; [unrolled: 1-line block ×7, first 2 shown]
	v_cmp_lt_u32_e32 vcc, 32, v254
	s_waitcnt vmcnt(60) lgkmcnt(6)
	v_mul_f64 v[62:63], v[38:39], v[4:5]
	v_fmac_f64_e32 v[62:63], v[40:41], v[2:3]
	s_waitcnt vmcnt(58) lgkmcnt(5)
	v_mul_f64 v[64:65], v[42:43], v[6:7]
	v_add_f64 v[62:63], v[62:63], 0
	s_waitcnt vmcnt(56) lgkmcnt(4)
	v_mul_f64 v[66:67], v[46:47], v[8:9]
	v_mul_f64 v[4:5], v[40:41], v[4:5]
	s_waitcnt vmcnt(54) lgkmcnt(2)
	v_mul_f64 v[70:71], v[54:55], v[10:11]
	v_fma_f64 v[2:3], v[38:39], v[2:3], -v[4:5]
	v_mul_f64 v[4:5], v[44:45], v[6:7]
	s_waitcnt vmcnt(51)
	v_mul_f64 v[68:69], v[50:51], v[14:15]
	v_add_f64 v[2:3], v[2:3], 0
	s_waitcnt vmcnt(49)
	v_fmac_f64_e32 v[64:65], v[44:45], v[20:21]
	v_add_f64 v[62:63], v[62:63], v[64:65]
	s_waitcnt vmcnt(47)
	v_fmac_f64_e32 v[66:67], v[48:49], v[18:19]
	;; [unrolled: 3-line block ×4, first 2 shown]
	v_add_f64 v[66:67], v[62:63], v[70:71]
	ds_read_b128 v[62:65], v1 offset:1424
	s_waitcnt vmcnt(40) lgkmcnt(2)
	v_mul_f64 v[68:69], v[58:59], v[26:27]
	v_fma_f64 v[4:5], v[42:43], v[20:21], -v[4:5]
	s_waitcnt vmcnt(38)
	v_fmac_f64_e32 v[68:69], v[60:61], v[28:29]
	v_add_f64 v[70:71], v[66:67], v[68:69]
	ds_read_b128 v[66:69], v1 offset:1440
	s_waitcnt vmcnt(37) lgkmcnt(1)
	v_mul_f64 v[72:73], v[62:63], v[22:23]
	s_waitcnt vmcnt(36)
	v_fmac_f64_e32 v[72:73], v[64:65], v[24:25]
	v_add_f64 v[2:3], v[2:3], v[4:5]
	v_mul_f64 v[4:5], v[48:49], v[8:9]
	v_add_f64 v[74:75], v[70:71], v[72:73]
	ds_read_b128 v[70:73], v1 offset:1456
	s_waitcnt vmcnt(32) lgkmcnt(1)
	v_mul_f64 v[76:77], v[66:67], v[34:35]
	v_fma_f64 v[4:5], v[46:47], v[18:19], -v[4:5]
	s_waitcnt vmcnt(30)
	v_fmac_f64_e32 v[76:77], v[68:69], v[36:37]
	v_add_f64 v[2:3], v[2:3], v[4:5]
	v_mul_f64 v[4:5], v[52:53], v[14:15]
	v_add_f64 v[78:79], v[74:75], v[76:77]
	ds_read_b128 v[74:77], v1 offset:1472
	v_fma_f64 v[4:5], v[50:51], v[16:17], -v[4:5]
	v_add_f64 v[2:3], v[2:3], v[4:5]
	v_mul_f64 v[4:5], v[56:57], v[10:11]
	v_fma_f64 v[4:5], v[54:55], v[12:13], -v[4:5]
	s_waitcnt vmcnt(29) lgkmcnt(1)
	v_mul_f64 v[80:81], v[70:71], v[30:31]
	v_add_f64 v[2:3], v[2:3], v[4:5]
	v_mul_f64 v[4:5], v[60:61], v[26:27]
	s_waitcnt vmcnt(28)
	v_fmac_f64_e32 v[80:81], v[72:73], v[32:33]
	v_fma_f64 v[4:5], v[58:59], v[28:29], -v[4:5]
	v_add_f64 v[82:83], v[78:79], v[80:81]
	ds_read_b128 v[78:81], v1 offset:1488
	s_waitcnt vmcnt(24) lgkmcnt(1)
	v_mul_f64 v[84:85], v[74:75], v[102:103]
	v_add_f64 v[2:3], v[2:3], v[4:5]
	v_mul_f64 v[4:5], v[64:65], v[22:23]
	s_waitcnt vmcnt(22)
	v_fmac_f64_e32 v[84:85], v[76:77], v[104:105]
	v_fma_f64 v[4:5], v[62:63], v[24:25], -v[4:5]
	v_add_f64 v[86:87], v[82:83], v[84:85]
	ds_read_b128 v[82:85], v1 offset:1504
	v_add_f64 v[2:3], v[2:3], v[4:5]
	v_mul_f64 v[4:5], v[68:69], v[34:35]
	v_fma_f64 v[4:5], v[66:67], v[36:37], -v[4:5]
	v_add_f64 v[2:3], v[2:3], v[4:5]
	v_mul_f64 v[4:5], v[72:73], v[30:31]
	s_waitcnt vmcnt(21) lgkmcnt(1)
	v_mul_f64 v[88:89], v[78:79], v[98:99]
	v_fma_f64 v[4:5], v[70:71], v[32:33], -v[4:5]
	s_waitcnt vmcnt(20)
	v_fmac_f64_e32 v[88:89], v[80:81], v[100:101]
	v_add_f64 v[2:3], v[2:3], v[4:5]
	v_mul_f64 v[4:5], v[76:77], v[102:103]
	v_add_f64 v[90:91], v[86:87], v[88:89]
	ds_read_b128 v[86:89], v1 offset:1520
	s_waitcnt vmcnt(16) lgkmcnt(1)
	v_mul_f64 v[92:93], v[82:83], v[110:111]
	v_fma_f64 v[4:5], v[74:75], v[104:105], -v[4:5]
	s_waitcnt vmcnt(14)
	v_fmac_f64_e32 v[92:93], v[84:85], v[112:113]
	v_add_f64 v[2:3], v[2:3], v[4:5]
	v_mul_f64 v[4:5], v[80:81], v[98:99]
	v_add_f64 v[126:127], v[90:91], v[92:93]
	ds_read_b128 v[90:93], v1 offset:1536
	v_fma_f64 v[4:5], v[78:79], v[100:101], -v[4:5]
	v_add_f64 v[2:3], v[2:3], v[4:5]
	v_mul_f64 v[4:5], v[84:85], v[110:111]
	v_fma_f64 v[4:5], v[82:83], v[112:113], -v[4:5]
	v_add_f64 v[2:3], v[2:3], v[4:5]
	s_waitcnt vmcnt(13) lgkmcnt(1)
	v_mul_f64 v[4:5], v[88:89], v[106:107]
	v_mul_f64 v[128:129], v[86:87], v[106:107]
	s_waitcnt vmcnt(12)
	v_fma_f64 v[4:5], v[86:87], v[108:109], -v[4:5]
	v_fmac_f64_e32 v[128:129], v[88:89], v[108:109]
	v_add_f64 v[2:3], v[2:3], v[4:5]
	s_waitcnt vmcnt(8) lgkmcnt(0)
	v_mul_f64 v[4:5], v[92:93], v[118:119]
	v_add_f64 v[126:127], v[126:127], v[128:129]
	v_mul_f64 v[128:129], v[90:91], v[118:119]
	s_waitcnt vmcnt(6)
	v_fma_f64 v[4:5], v[90:91], v[120:121], -v[4:5]
	v_fmac_f64_e32 v[128:129], v[92:93], v[120:121]
	v_add_f64 v[2:3], v[2:3], v[4:5]
	s_waitcnt vmcnt(5)
	v_mul_f64 v[4:5], v[96:97], v[114:115]
	v_add_f64 v[126:127], v[126:127], v[128:129]
	v_mul_f64 v[128:129], v[94:95], v[114:115]
	s_waitcnt vmcnt(4)
	v_fma_f64 v[4:5], v[94:95], v[116:117], -v[4:5]
	v_fmac_f64_e32 v[128:129], v[96:97], v[116:117]
	v_add_f64 v[2:3], v[2:3], v[4:5]
	v_add_f64 v[126:127], v[126:127], v[128:129]
	s_waitcnt vmcnt(2)
	v_add_f64 v[2:3], v[122:123], -v[2:3]
	s_waitcnt vmcnt(0)
	v_add_f64 v[4:5], v[124:125], -v[126:127]
	buffer_store_dword v3, off, s[0:3], 0 offset:548
	buffer_store_dword v2, off, s[0:3], 0 offset:544
	;; [unrolled: 1-line block ×4, first 2 shown]
	s_and_saveexec_b64 s[4:5], vcc
	s_cbranch_execz .LBB48_243
; %bb.242:
	v_accvgpr_read_b32 v0, a114
	buffer_load_dword v2, v0, s[0:3], 0 offen
	buffer_load_dword v3, v0, s[0:3], 0 offen offset:4
	buffer_load_dword v4, v0, s[0:3], 0 offen offset:8
	;; [unrolled: 1-line block ×3, first 2 shown]
	v_accvgpr_read_b32 v0, a147
	buffer_store_dword v1, off, s[0:3], 0 offset:528
	buffer_store_dword v1, off, s[0:3], 0 offset:532
	;; [unrolled: 1-line block ×4, first 2 shown]
	s_waitcnt vmcnt(4)
	ds_write_b128 v0, v[2:5]
.LBB48_243:
	s_or_b64 exec, exec, s[4:5]
	s_waitcnt lgkmcnt(0)
	; wave barrier
	s_waitcnt lgkmcnt(0)
	buffer_load_dword v2, off, s[0:3], 0 offset:544
	buffer_load_dword v3, off, s[0:3], 0 offset:548
	;; [unrolled: 1-line block ×64, first 2 shown]
	ds_read_b128 v[46:49], v1 offset:1312
	ds_read_b128 v[50:53], v1 offset:1328
	;; [unrolled: 1-line block ×4, first 2 shown]
	buffer_load_dword v130, off, s[0:3], 0 offset:528
	buffer_load_dword v131, off, s[0:3], 0 offset:532
	;; [unrolled: 1-line block ×4, first 2 shown]
	v_cmp_lt_u32_e32 vcc, 31, v254
	ds_read_b128 v[106:109], v1 offset:1552
	s_waitcnt vmcnt(62) lgkmcnt(4)
	v_mul_f64 v[62:63], v[46:47], v[4:5]
	v_fmac_f64_e32 v[62:63], v[48:49], v[2:3]
	v_add_f64 v[62:63], v[62:63], 0
	s_waitcnt lgkmcnt(2)
	v_mul_f64 v[66:67], v[54:55], v[6:7]
	v_mul_f64 v[4:5], v[48:49], v[4:5]
	v_fma_f64 v[2:3], v[46:47], v[2:3], -v[4:5]
	s_waitcnt vmcnt(58) lgkmcnt(1)
	v_mul_f64 v[68:69], v[58:59], v[12:13]
	v_add_f64 v[2:3], v[2:3], 0
	s_waitcnt vmcnt(56)
	v_mul_f64 v[64:65], v[50:51], v[18:19]
	v_mul_f64 v[4:5], v[52:53], v[18:19]
	s_waitcnt vmcnt(53)
	v_fmac_f64_e32 v[66:67], v[56:57], v[16:17]
	s_waitcnt vmcnt(52)
	v_fmac_f64_e32 v[64:65], v[52:53], v[20:21]
	v_add_f64 v[70:71], v[62:63], v[64:65]
	ds_read_b128 v[62:65], v1 offset:1376
	v_add_f64 v[66:67], v[70:71], v[66:67]
	s_waitcnt vmcnt(50)
	v_fmac_f64_e32 v[68:69], v[60:61], v[14:15]
	v_add_f64 v[70:71], v[66:67], v[68:69]
	ds_read_b128 v[66:69], v1 offset:1392
	s_waitcnt vmcnt(49) lgkmcnt(1)
	v_mul_f64 v[72:73], v[62:63], v[8:9]
	s_waitcnt vmcnt(48)
	v_fmac_f64_e32 v[72:73], v[64:65], v[10:11]
	v_add_f64 v[74:75], v[70:71], v[72:73]
	ds_read_b128 v[70:73], v1 offset:1408
	s_waitcnt vmcnt(44) lgkmcnt(1)
	v_mul_f64 v[76:77], v[66:67], v[26:27]
	;; [unrolled: 6-line block ×3, first 2 shown]
	s_waitcnt vmcnt(40)
	v_fmac_f64_e32 v[80:81], v[72:73], v[24:25]
	v_add_f64 v[82:83], v[78:79], v[80:81]
	ds_read_b128 v[78:81], v1 offset:1440
	v_fma_f64 v[4:5], v[50:51], v[20:21], -v[4:5]
	v_add_f64 v[2:3], v[2:3], v[4:5]
	v_mul_f64 v[4:5], v[56:57], v[6:7]
	s_waitcnt vmcnt(36) lgkmcnt(1)
	v_mul_f64 v[84:85], v[74:75], v[34:35]
	v_fma_f64 v[4:5], v[54:55], v[16:17], -v[4:5]
	s_waitcnt vmcnt(34)
	v_fmac_f64_e32 v[84:85], v[76:77], v[36:37]
	v_add_f64 v[2:3], v[2:3], v[4:5]
	v_mul_f64 v[4:5], v[60:61], v[12:13]
	v_add_f64 v[86:87], v[82:83], v[84:85]
	ds_read_b128 v[82:85], v1 offset:1456
	s_waitcnt vmcnt(33) lgkmcnt(1)
	v_mul_f64 v[88:89], v[78:79], v[30:31]
	v_fma_f64 v[4:5], v[58:59], v[14:15], -v[4:5]
	s_waitcnt vmcnt(32)
	v_fmac_f64_e32 v[88:89], v[80:81], v[32:33]
	v_add_f64 v[2:3], v[2:3], v[4:5]
	v_mul_f64 v[4:5], v[64:65], v[8:9]
	v_add_f64 v[90:91], v[86:87], v[88:89]
	ds_read_b128 v[86:89], v1 offset:1472
	v_fma_f64 v[4:5], v[62:63], v[10:11], -v[4:5]
	v_add_f64 v[2:3], v[2:3], v[4:5]
	v_mul_f64 v[4:5], v[68:69], v[26:27]
	v_fma_f64 v[4:5], v[66:67], v[28:29], -v[4:5]
	s_waitcnt vmcnt(28) lgkmcnt(1)
	v_mul_f64 v[92:93], v[82:83], v[42:43]
	v_add_f64 v[2:3], v[2:3], v[4:5]
	v_mul_f64 v[4:5], v[72:73], v[22:23]
	s_waitcnt vmcnt(26)
	v_fmac_f64_e32 v[92:93], v[84:85], v[44:45]
	v_fma_f64 v[4:5], v[70:71], v[24:25], -v[4:5]
	v_add_f64 v[94:95], v[90:91], v[92:93]
	ds_read_b128 v[90:93], v1 offset:1488
	s_waitcnt vmcnt(25) lgkmcnt(1)
	v_mul_f64 v[96:97], v[86:87], v[38:39]
	v_add_f64 v[2:3], v[2:3], v[4:5]
	v_mul_f64 v[4:5], v[76:77], v[34:35]
	s_waitcnt vmcnt(24)
	v_fmac_f64_e32 v[96:97], v[88:89], v[40:41]
	v_fma_f64 v[4:5], v[74:75], v[36:37], -v[4:5]
	v_add_f64 v[98:99], v[94:95], v[96:97]
	ds_read_b128 v[94:97], v1 offset:1504
	v_add_f64 v[2:3], v[2:3], v[4:5]
	v_mul_f64 v[4:5], v[80:81], v[30:31]
	v_fma_f64 v[4:5], v[78:79], v[32:33], -v[4:5]
	v_add_f64 v[2:3], v[2:3], v[4:5]
	v_mul_f64 v[4:5], v[84:85], v[42:43]
	s_waitcnt vmcnt(20) lgkmcnt(1)
	v_mul_f64 v[100:101], v[90:91], v[114:115]
	v_fma_f64 v[4:5], v[82:83], v[44:45], -v[4:5]
	s_waitcnt vmcnt(18)
	v_fmac_f64_e32 v[100:101], v[92:93], v[116:117]
	v_add_f64 v[2:3], v[2:3], v[4:5]
	v_mul_f64 v[4:5], v[88:89], v[38:39]
	v_add_f64 v[102:103], v[98:99], v[100:101]
	ds_read_b128 v[98:101], v1 offset:1520
	s_waitcnt vmcnt(17) lgkmcnt(1)
	v_mul_f64 v[104:105], v[94:95], v[110:111]
	v_fma_f64 v[4:5], v[86:87], v[40:41], -v[4:5]
	s_waitcnt vmcnt(16)
	v_fmac_f64_e32 v[104:105], v[96:97], v[112:113]
	v_add_f64 v[2:3], v[2:3], v[4:5]
	v_mul_f64 v[4:5], v[92:93], v[114:115]
	v_add_f64 v[134:135], v[102:103], v[104:105]
	ds_read_b128 v[102:105], v1 offset:1536
	v_fma_f64 v[4:5], v[90:91], v[116:117], -v[4:5]
	v_add_f64 v[2:3], v[2:3], v[4:5]
	v_mul_f64 v[4:5], v[96:97], v[110:111]
	v_fma_f64 v[4:5], v[94:95], v[112:113], -v[4:5]
	v_add_f64 v[2:3], v[2:3], v[4:5]
	s_waitcnt vmcnt(12) lgkmcnt(1)
	v_mul_f64 v[4:5], v[100:101], v[122:123]
	v_mul_f64 v[136:137], v[98:99], v[122:123]
	s_waitcnt vmcnt(10)
	v_fma_f64 v[4:5], v[98:99], v[124:125], -v[4:5]
	v_fmac_f64_e32 v[136:137], v[100:101], v[124:125]
	v_add_f64 v[2:3], v[2:3], v[4:5]
	s_waitcnt vmcnt(9) lgkmcnt(0)
	v_mul_f64 v[4:5], v[104:105], v[118:119]
	v_add_f64 v[134:135], v[134:135], v[136:137]
	v_mul_f64 v[136:137], v[102:103], v[118:119]
	s_waitcnt vmcnt(8)
	v_fma_f64 v[4:5], v[102:103], v[120:121], -v[4:5]
	v_fmac_f64_e32 v[136:137], v[104:105], v[120:121]
	v_add_f64 v[2:3], v[2:3], v[4:5]
	s_waitcnt vmcnt(6)
	v_mul_f64 v[4:5], v[108:109], v[126:127]
	v_add_f64 v[134:135], v[134:135], v[136:137]
	v_mul_f64 v[136:137], v[106:107], v[126:127]
	s_waitcnt vmcnt(4)
	v_fma_f64 v[4:5], v[106:107], v[128:129], -v[4:5]
	v_fmac_f64_e32 v[136:137], v[108:109], v[128:129]
	v_add_f64 v[2:3], v[2:3], v[4:5]
	v_add_f64 v[134:135], v[134:135], v[136:137]
	s_waitcnt vmcnt(2)
	v_add_f64 v[2:3], v[130:131], -v[2:3]
	s_waitcnt vmcnt(0)
	v_add_f64 v[4:5], v[132:133], -v[134:135]
	buffer_store_dword v3, off, s[0:3], 0 offset:532
	buffer_store_dword v2, off, s[0:3], 0 offset:528
	buffer_store_dword v5, off, s[0:3], 0 offset:540
	buffer_store_dword v4, off, s[0:3], 0 offset:536
	s_and_saveexec_b64 s[4:5], vcc
	s_cbranch_execz .LBB48_245
; %bb.244:
	v_accvgpr_read_b32 v0, a115
	buffer_load_dword v2, v0, s[0:3], 0 offen
	buffer_load_dword v3, v0, s[0:3], 0 offen offset:4
	buffer_load_dword v4, v0, s[0:3], 0 offen offset:8
	;; [unrolled: 1-line block ×3, first 2 shown]
	v_mov_b32_e32 v0, 0
	v_accvgpr_read_b32 v1, a147
	buffer_store_dword v0, off, s[0:3], 0 offset:512
	buffer_store_dword v0, off, s[0:3], 0 offset:516
	;; [unrolled: 1-line block ×4, first 2 shown]
	s_waitcnt vmcnt(4)
	ds_write_b128 v1, v[2:5]
.LBB48_245:
	s_or_b64 exec, exec, s[4:5]
	s_waitcnt lgkmcnt(0)
	; wave barrier
	s_waitcnt lgkmcnt(0)
	buffer_load_dword v2, off, s[0:3], 0 offset:528
	buffer_load_dword v3, off, s[0:3], 0 offset:532
	;; [unrolled: 1-line block ×68, first 2 shown]
	v_mov_b32_e32 v1, 0
	buffer_load_dword v138, off, s[0:3], 0 offset:512
	buffer_load_dword v139, off, s[0:3], 0 offset:516
	;; [unrolled: 1-line block ×3, first 2 shown]
	ds_read_b128 v[46:49], v1 offset:1296
	ds_read_b128 v[50:53], v1 offset:1312
	buffer_load_dword v141, off, s[0:3], 0 offset:524
	ds_read_b128 v[54:57], v1 offset:1328
	ds_read_b128 v[58:61], v1 offset:1344
	;; [unrolled: 1-line block ×3, first 2 shown]
	v_cmp_lt_u32_e32 vcc, 30, v254
	s_waitcnt vmcnt(62) lgkmcnt(4)
	v_mul_f64 v[62:63], v[46:47], v[6:7]
	v_fmac_f64_e32 v[62:63], v[48:49], v[2:3]
	v_add_f64 v[62:63], v[62:63], 0
	v_mul_f64 v[6:7], v[48:49], v[6:7]
	s_waitcnt lgkmcnt(3)
	v_mul_f64 v[64:65], v[50:51], v[10:11]
	v_fmac_f64_e32 v[64:65], v[52:53], v[4:5]
	v_add_f64 v[62:63], v[62:63], v[64:65]
	v_fma_f64 v[2:3], v[46:47], v[2:3], -v[6:7]
	s_waitcnt vmcnt(60) lgkmcnt(2)
	v_mul_f64 v[64:65], v[54:55], v[12:13]
	v_fmac_f64_e32 v[64:65], v[56:57], v[8:9]
	v_add_f64 v[66:67], v[62:63], v[64:65]
	ds_read_b128 v[62:65], v1 offset:1360
	s_waitcnt vmcnt(56) lgkmcnt(2)
	v_mul_f64 v[68:69], v[58:59], v[18:19]
	v_mul_f64 v[6:7], v[52:53], v[10:11]
	s_waitcnt vmcnt(54)
	v_fmac_f64_e32 v[68:69], v[60:61], v[20:21]
	v_add_f64 v[70:71], v[66:67], v[68:69]
	ds_read_b128 v[66:69], v1 offset:1376
	s_waitcnt vmcnt(53) lgkmcnt(1)
	v_mul_f64 v[72:73], v[62:63], v[14:15]
	s_waitcnt vmcnt(52)
	v_fmac_f64_e32 v[72:73], v[64:65], v[16:17]
	v_add_f64 v[74:75], v[70:71], v[72:73]
	ds_read_b128 v[70:73], v1 offset:1392
	s_waitcnt vmcnt(48) lgkmcnt(1)
	;; [unrolled: 6-line block ×4, first 2 shown]
	v_mul_f64 v[84:85], v[74:75], v[34:35]
	s_waitcnt vmcnt(38)
	v_fmac_f64_e32 v[84:85], v[76:77], v[36:37]
	v_add_f64 v[2:3], v[2:3], 0
	v_fma_f64 v[4:5], v[50:51], v[4:5], -v[6:7]
	v_add_f64 v[86:87], v[82:83], v[84:85]
	ds_read_b128 v[82:85], v1 offset:1440
	v_add_f64 v[2:3], v[2:3], v[4:5]
	v_mul_f64 v[4:5], v[56:57], v[12:13]
	v_fma_f64 v[4:5], v[54:55], v[8:9], -v[4:5]
	v_add_f64 v[2:3], v[2:3], v[4:5]
	v_mul_f64 v[4:5], v[60:61], v[18:19]
	s_waitcnt vmcnt(37) lgkmcnt(1)
	v_mul_f64 v[88:89], v[78:79], v[30:31]
	v_fma_f64 v[4:5], v[58:59], v[20:21], -v[4:5]
	s_waitcnt vmcnt(36)
	v_fmac_f64_e32 v[88:89], v[80:81], v[32:33]
	v_add_f64 v[2:3], v[2:3], v[4:5]
	v_mul_f64 v[4:5], v[64:65], v[14:15]
	v_add_f64 v[90:91], v[86:87], v[88:89]
	ds_read_b128 v[86:89], v1 offset:1456
	s_waitcnt vmcnt(32) lgkmcnt(1)
	v_mul_f64 v[92:93], v[82:83], v[42:43]
	v_fma_f64 v[4:5], v[62:63], v[16:17], -v[4:5]
	s_waitcnt vmcnt(30)
	v_fmac_f64_e32 v[92:93], v[84:85], v[44:45]
	v_add_f64 v[2:3], v[2:3], v[4:5]
	v_mul_f64 v[4:5], v[68:69], v[26:27]
	v_add_f64 v[94:95], v[90:91], v[92:93]
	ds_read_b128 v[90:93], v1 offset:1472
	v_fma_f64 v[4:5], v[66:67], v[28:29], -v[4:5]
	v_add_f64 v[2:3], v[2:3], v[4:5]
	v_mul_f64 v[4:5], v[72:73], v[22:23]
	v_fma_f64 v[4:5], v[70:71], v[24:25], -v[4:5]
	s_waitcnt vmcnt(29) lgkmcnt(1)
	v_mul_f64 v[96:97], v[86:87], v[38:39]
	v_add_f64 v[2:3], v[2:3], v[4:5]
	v_mul_f64 v[4:5], v[76:77], v[34:35]
	s_waitcnt vmcnt(28)
	v_fmac_f64_e32 v[96:97], v[88:89], v[40:41]
	v_fma_f64 v[4:5], v[74:75], v[36:37], -v[4:5]
	v_add_f64 v[98:99], v[94:95], v[96:97]
	ds_read_b128 v[94:97], v1 offset:1488
	s_waitcnt vmcnt(24) lgkmcnt(1)
	v_mul_f64 v[100:101], v[90:91], v[118:119]
	v_add_f64 v[2:3], v[2:3], v[4:5]
	v_mul_f64 v[4:5], v[80:81], v[30:31]
	s_waitcnt vmcnt(22)
	v_fmac_f64_e32 v[100:101], v[92:93], v[120:121]
	v_fma_f64 v[4:5], v[78:79], v[32:33], -v[4:5]
	v_add_f64 v[102:103], v[98:99], v[100:101]
	ds_read_b128 v[98:101], v1 offset:1504
	v_add_f64 v[2:3], v[2:3], v[4:5]
	v_mul_f64 v[4:5], v[84:85], v[42:43]
	v_fma_f64 v[4:5], v[82:83], v[44:45], -v[4:5]
	v_add_f64 v[2:3], v[2:3], v[4:5]
	v_mul_f64 v[4:5], v[88:89], v[38:39]
	s_waitcnt vmcnt(21) lgkmcnt(1)
	v_mul_f64 v[104:105], v[94:95], v[114:115]
	v_fma_f64 v[4:5], v[86:87], v[40:41], -v[4:5]
	s_waitcnt vmcnt(20)
	v_fmac_f64_e32 v[104:105], v[96:97], v[116:117]
	v_add_f64 v[2:3], v[2:3], v[4:5]
	v_mul_f64 v[4:5], v[92:93], v[118:119]
	v_add_f64 v[106:107], v[102:103], v[104:105]
	ds_read_b128 v[102:105], v1 offset:1520
	s_waitcnt vmcnt(16) lgkmcnt(1)
	v_mul_f64 v[108:109], v[98:99], v[126:127]
	v_fma_f64 v[4:5], v[90:91], v[120:121], -v[4:5]
	s_waitcnt vmcnt(14)
	v_fmac_f64_e32 v[108:109], v[100:101], v[128:129]
	v_add_f64 v[2:3], v[2:3], v[4:5]
	v_mul_f64 v[4:5], v[96:97], v[114:115]
	v_add_f64 v[142:143], v[106:107], v[108:109]
	ds_read_b128 v[106:109], v1 offset:1536
	v_fma_f64 v[4:5], v[94:95], v[116:117], -v[4:5]
	v_add_f64 v[2:3], v[2:3], v[4:5]
	v_mul_f64 v[4:5], v[100:101], v[126:127]
	v_fma_f64 v[4:5], v[98:99], v[128:129], -v[4:5]
	v_add_f64 v[2:3], v[2:3], v[4:5]
	s_waitcnt vmcnt(13) lgkmcnt(1)
	v_mul_f64 v[4:5], v[104:105], v[122:123]
	v_mul_f64 v[144:145], v[102:103], v[122:123]
	s_waitcnt vmcnt(12)
	v_fma_f64 v[4:5], v[102:103], v[124:125], -v[4:5]
	v_fmac_f64_e32 v[144:145], v[104:105], v[124:125]
	v_add_f64 v[2:3], v[2:3], v[4:5]
	s_waitcnt vmcnt(8) lgkmcnt(0)
	v_mul_f64 v[4:5], v[108:109], v[134:135]
	v_add_f64 v[142:143], v[142:143], v[144:145]
	v_mul_f64 v[144:145], v[106:107], v[134:135]
	s_waitcnt vmcnt(6)
	v_fma_f64 v[4:5], v[106:107], v[136:137], -v[4:5]
	v_fmac_f64_e32 v[144:145], v[108:109], v[136:137]
	v_add_f64 v[2:3], v[2:3], v[4:5]
	s_waitcnt vmcnt(5)
	v_mul_f64 v[4:5], v[112:113], v[130:131]
	v_add_f64 v[142:143], v[142:143], v[144:145]
	v_mul_f64 v[144:145], v[110:111], v[130:131]
	s_waitcnt vmcnt(4)
	v_fma_f64 v[4:5], v[110:111], v[132:133], -v[4:5]
	v_fmac_f64_e32 v[144:145], v[112:113], v[132:133]
	v_add_f64 v[2:3], v[2:3], v[4:5]
	v_add_f64 v[142:143], v[142:143], v[144:145]
	s_waitcnt vmcnt(2)
	v_add_f64 v[2:3], v[138:139], -v[2:3]
	s_waitcnt vmcnt(0)
	v_add_f64 v[4:5], v[140:141], -v[142:143]
	buffer_store_dword v3, off, s[0:3], 0 offset:516
	buffer_store_dword v2, off, s[0:3], 0 offset:512
	;; [unrolled: 1-line block ×4, first 2 shown]
	s_and_saveexec_b64 s[4:5], vcc
	s_cbranch_execz .LBB48_247
; %bb.246:
	v_accvgpr_read_b32 v0, a116
	buffer_load_dword v2, v0, s[0:3], 0 offen
	buffer_load_dword v3, v0, s[0:3], 0 offen offset:4
	buffer_load_dword v4, v0, s[0:3], 0 offen offset:8
	;; [unrolled: 1-line block ×3, first 2 shown]
	v_accvgpr_read_b32 v0, a147
	buffer_store_dword v1, off, s[0:3], 0 offset:496
	buffer_store_dword v1, off, s[0:3], 0 offset:500
	;; [unrolled: 1-line block ×4, first 2 shown]
	s_waitcnt vmcnt(4)
	ds_write_b128 v0, v[2:5]
.LBB48_247:
	s_or_b64 exec, exec, s[4:5]
	s_waitcnt lgkmcnt(0)
	; wave barrier
	s_waitcnt lgkmcnt(0)
	buffer_load_dword v2, off, s[0:3], 0 offset:512
	buffer_load_dword v3, off, s[0:3], 0 offset:516
	;; [unrolled: 1-line block ×72, first 2 shown]
	ds_read_b128 v[52:55], v1 offset:1280
	buffer_load_dword v146, off, s[0:3], 0 offset:496
	buffer_load_dword v147, off, s[0:3], 0 offset:500
	;; [unrolled: 1-line block ×4, first 2 shown]
	ds_read_b128 v[56:59], v1 offset:1296
	ds_read_b128 v[60:63], v1 offset:1312
	;; [unrolled: 1-line block ×3, first 2 shown]
	v_cmp_lt_u32_e32 vcc, 29, v254
	ds_read_b128 v[124:127], v1 offset:1552
	s_waitcnt vmcnt(62) lgkmcnt(4)
	v_mul_f64 v[68:69], v[52:53], v[8:9]
	v_fmac_f64_e32 v[68:69], v[54:55], v[2:3]
	v_add_f64 v[68:69], v[68:69], 0
	v_mul_f64 v[8:9], v[54:55], v[8:9]
	s_waitcnt lgkmcnt(3)
	v_mul_f64 v[70:71], v[56:57], v[10:11]
	v_fmac_f64_e32 v[70:71], v[58:59], v[4:5]
	v_add_f64 v[68:69], v[68:69], v[70:71]
	v_fma_f64 v[2:3], v[52:53], v[2:3], -v[8:9]
	s_waitcnt lgkmcnt(2)
	v_mul_f64 v[70:71], v[60:61], v[12:13]
	v_fmac_f64_e32 v[70:71], v[62:63], v[6:7]
	v_add_f64 v[72:73], v[68:69], v[70:71]
	ds_read_b128 v[68:71], v1 offset:1344
	s_waitcnt vmcnt(60) lgkmcnt(2)
	v_mul_f64 v[74:75], v[64:65], v[18:19]
	v_mul_f64 v[8:9], v[58:59], v[10:11]
	s_waitcnt vmcnt(58)
	v_fmac_f64_e32 v[74:75], v[66:67], v[20:21]
	v_add_f64 v[76:77], v[72:73], v[74:75]
	ds_read_b128 v[72:75], v1 offset:1360
	s_waitcnt vmcnt(57) lgkmcnt(1)
	v_mul_f64 v[78:79], v[68:69], v[14:15]
	s_waitcnt vmcnt(56)
	v_fmac_f64_e32 v[78:79], v[70:71], v[16:17]
	v_add_f64 v[80:81], v[76:77], v[78:79]
	ds_read_b128 v[76:79], v1 offset:1376
	s_waitcnt vmcnt(52) lgkmcnt(1)
	;; [unrolled: 6-line block ×4, first 2 shown]
	v_mul_f64 v[90:91], v[80:81], v[34:35]
	s_waitcnt vmcnt(42)
	v_fmac_f64_e32 v[90:91], v[82:83], v[36:37]
	v_add_f64 v[2:3], v[2:3], 0
	v_fma_f64 v[4:5], v[56:57], v[4:5], -v[8:9]
	v_add_f64 v[92:93], v[88:89], v[90:91]
	ds_read_b128 v[88:91], v1 offset:1424
	s_waitcnt vmcnt(41) lgkmcnt(1)
	v_mul_f64 v[94:95], v[84:85], v[30:31]
	v_add_f64 v[2:3], v[2:3], v[4:5]
	v_mul_f64 v[4:5], v[62:63], v[12:13]
	s_waitcnt vmcnt(40)
	v_fmac_f64_e32 v[94:95], v[86:87], v[32:33]
	v_fma_f64 v[4:5], v[60:61], v[6:7], -v[4:5]
	v_add_f64 v[96:97], v[92:93], v[94:95]
	ds_read_b128 v[92:95], v1 offset:1440
	v_add_f64 v[2:3], v[2:3], v[4:5]
	v_mul_f64 v[4:5], v[66:67], v[18:19]
	v_fma_f64 v[4:5], v[64:65], v[20:21], -v[4:5]
	v_add_f64 v[2:3], v[2:3], v[4:5]
	v_mul_f64 v[4:5], v[70:71], v[14:15]
	s_waitcnt vmcnt(36) lgkmcnt(1)
	v_mul_f64 v[98:99], v[88:89], v[42:43]
	v_fma_f64 v[4:5], v[68:69], v[16:17], -v[4:5]
	s_waitcnt vmcnt(34)
	v_fmac_f64_e32 v[98:99], v[90:91], v[44:45]
	v_add_f64 v[2:3], v[2:3], v[4:5]
	v_mul_f64 v[4:5], v[74:75], v[26:27]
	v_add_f64 v[100:101], v[96:97], v[98:99]
	ds_read_b128 v[96:99], v1 offset:1456
	s_waitcnt vmcnt(33) lgkmcnt(1)
	v_mul_f64 v[102:103], v[92:93], v[38:39]
	v_fma_f64 v[4:5], v[72:73], v[28:29], -v[4:5]
	s_waitcnt vmcnt(32)
	v_fmac_f64_e32 v[102:103], v[94:95], v[40:41]
	v_add_f64 v[2:3], v[2:3], v[4:5]
	v_mul_f64 v[4:5], v[78:79], v[22:23]
	v_add_f64 v[104:105], v[100:101], v[102:103]
	ds_read_b128 v[100:103], v1 offset:1472
	v_fma_f64 v[4:5], v[76:77], v[24:25], -v[4:5]
	v_add_f64 v[2:3], v[2:3], v[4:5]
	v_mul_f64 v[4:5], v[82:83], v[34:35]
	v_fma_f64 v[4:5], v[80:81], v[36:37], -v[4:5]
	s_waitcnt vmcnt(28) lgkmcnt(1)
	v_mul_f64 v[106:107], v[96:97], v[50:51]
	v_add_f64 v[2:3], v[2:3], v[4:5]
	v_mul_f64 v[4:5], v[86:87], v[30:31]
	s_waitcnt vmcnt(26)
	v_fmac_f64_e32 v[106:107], v[98:99], v[116:117]
	v_fma_f64 v[4:5], v[84:85], v[32:33], -v[4:5]
	v_add_f64 v[108:109], v[104:105], v[106:107]
	ds_read_b128 v[104:107], v1 offset:1488
	s_waitcnt vmcnt(25) lgkmcnt(1)
	v_mul_f64 v[110:111], v[100:101], v[46:47]
	v_add_f64 v[2:3], v[2:3], v[4:5]
	v_mul_f64 v[4:5], v[90:91], v[42:43]
	s_waitcnt vmcnt(24)
	v_fmac_f64_e32 v[110:111], v[102:103], v[48:49]
	v_fma_f64 v[4:5], v[88:89], v[44:45], -v[4:5]
	v_add_f64 v[112:113], v[108:109], v[110:111]
	ds_read_b128 v[108:111], v1 offset:1504
	v_add_f64 v[2:3], v[2:3], v[4:5]
	v_mul_f64 v[4:5], v[94:95], v[38:39]
	v_fma_f64 v[4:5], v[92:93], v[40:41], -v[4:5]
	v_add_f64 v[2:3], v[2:3], v[4:5]
	v_mul_f64 v[4:5], v[98:99], v[50:51]
	s_waitcnt vmcnt(20) lgkmcnt(1)
	v_mul_f64 v[114:115], v[104:105], v[130:131]
	v_fma_f64 v[4:5], v[96:97], v[116:117], -v[4:5]
	s_waitcnt vmcnt(18)
	v_fmac_f64_e32 v[114:115], v[106:107], v[132:133]
	v_add_f64 v[2:3], v[2:3], v[4:5]
	v_mul_f64 v[4:5], v[102:103], v[46:47]
	v_add_f64 v[120:121], v[112:113], v[114:115]
	ds_read_b128 v[112:115], v1 offset:1520
	s_waitcnt vmcnt(17) lgkmcnt(1)
	v_mul_f64 v[122:123], v[108:109], v[118:119]
	v_fma_f64 v[4:5], v[100:101], v[48:49], -v[4:5]
	s_waitcnt vmcnt(16)
	v_fmac_f64_e32 v[122:123], v[110:111], v[128:129]
	v_add_f64 v[2:3], v[2:3], v[4:5]
	v_mul_f64 v[4:5], v[106:107], v[130:131]
	v_add_f64 v[150:151], v[120:121], v[122:123]
	ds_read_b128 v[120:123], v1 offset:1536
	v_fma_f64 v[4:5], v[104:105], v[132:133], -v[4:5]
	v_add_f64 v[2:3], v[2:3], v[4:5]
	v_mul_f64 v[4:5], v[110:111], v[118:119]
	v_fma_f64 v[4:5], v[108:109], v[128:129], -v[4:5]
	v_add_f64 v[2:3], v[2:3], v[4:5]
	s_waitcnt vmcnt(12) lgkmcnt(1)
	v_mul_f64 v[4:5], v[114:115], v[138:139]
	v_mul_f64 v[152:153], v[112:113], v[138:139]
	s_waitcnt vmcnt(10)
	v_fma_f64 v[4:5], v[112:113], v[140:141], -v[4:5]
	v_fmac_f64_e32 v[152:153], v[114:115], v[140:141]
	v_add_f64 v[2:3], v[2:3], v[4:5]
	s_waitcnt vmcnt(9) lgkmcnt(0)
	v_mul_f64 v[4:5], v[122:123], v[134:135]
	v_add_f64 v[150:151], v[150:151], v[152:153]
	v_mul_f64 v[152:153], v[120:121], v[134:135]
	s_waitcnt vmcnt(8)
	v_fma_f64 v[4:5], v[120:121], v[136:137], -v[4:5]
	v_fmac_f64_e32 v[152:153], v[122:123], v[136:137]
	v_add_f64 v[2:3], v[2:3], v[4:5]
	s_waitcnt vmcnt(6)
	v_mul_f64 v[4:5], v[126:127], v[142:143]
	v_add_f64 v[150:151], v[150:151], v[152:153]
	v_mul_f64 v[152:153], v[124:125], v[142:143]
	s_waitcnt vmcnt(4)
	v_fma_f64 v[4:5], v[124:125], v[144:145], -v[4:5]
	v_fmac_f64_e32 v[152:153], v[126:127], v[144:145]
	v_add_f64 v[2:3], v[2:3], v[4:5]
	v_add_f64 v[150:151], v[150:151], v[152:153]
	s_waitcnt vmcnt(2)
	v_add_f64 v[2:3], v[146:147], -v[2:3]
	s_waitcnt vmcnt(0)
	v_add_f64 v[4:5], v[148:149], -v[150:151]
	buffer_store_dword v3, off, s[0:3], 0 offset:500
	buffer_store_dword v2, off, s[0:3], 0 offset:496
	;; [unrolled: 1-line block ×4, first 2 shown]
	s_and_saveexec_b64 s[4:5], vcc
	s_cbranch_execz .LBB48_249
; %bb.248:
	v_accvgpr_read_b32 v0, a117
	buffer_load_dword v2, v0, s[0:3], 0 offen
	buffer_load_dword v3, v0, s[0:3], 0 offen offset:4
	buffer_load_dword v4, v0, s[0:3], 0 offen offset:8
	;; [unrolled: 1-line block ×3, first 2 shown]
	v_mov_b32_e32 v0, 0
	v_accvgpr_read_b32 v1, a147
	buffer_store_dword v0, off, s[0:3], 0 offset:480
	buffer_store_dword v0, off, s[0:3], 0 offset:484
	buffer_store_dword v0, off, s[0:3], 0 offset:488
	buffer_store_dword v0, off, s[0:3], 0 offset:492
	s_waitcnt vmcnt(4)
	ds_write_b128 v1, v[2:5]
.LBB48_249:
	s_or_b64 exec, exec, s[4:5]
	s_waitcnt lgkmcnt(0)
	; wave barrier
	s_waitcnt lgkmcnt(0)
	buffer_load_dword v2, off, s[0:3], 0 offset:496
	buffer_load_dword v3, off, s[0:3], 0 offset:500
	;; [unrolled: 1-line block ×76, first 2 shown]
	v_mov_b32_e32 v1, 0
	ds_read_b128 v[54:57], v1 offset:1264
	buffer_load_dword v154, off, s[0:3], 0 offset:480
	buffer_load_dword v155, off, s[0:3], 0 offset:484
	;; [unrolled: 1-line block ×4, first 2 shown]
	ds_read_b128 v[58:61], v1 offset:1280
	ds_read_b128 v[62:65], v1 offset:1296
	ds_read_b128 v[66:69], v1 offset:1312
	ds_read_b128 v[128:131], v1 offset:1552
	v_cmp_lt_u32_e32 vcc, 28, v254
	s_waitcnt vmcnt(62) lgkmcnt(4)
	v_mul_f64 v[70:71], v[54:55], v[8:9]
	v_fmac_f64_e32 v[70:71], v[56:57], v[2:3]
	v_add_f64 v[70:71], v[70:71], 0
	v_mul_f64 v[8:9], v[56:57], v[8:9]
	s_waitcnt lgkmcnt(3)
	v_mul_f64 v[72:73], v[58:59], v[10:11]
	v_fmac_f64_e32 v[72:73], v[60:61], v[4:5]
	v_add_f64 v[70:71], v[70:71], v[72:73]
	v_fma_f64 v[2:3], v[54:55], v[2:3], -v[8:9]
	s_waitcnt lgkmcnt(2)
	v_mul_f64 v[72:73], v[62:63], v[12:13]
	v_fmac_f64_e32 v[72:73], v[64:65], v[6:7]
	v_add_f64 v[74:75], v[70:71], v[72:73]
	ds_read_b128 v[70:73], v1 offset:1328
	s_waitcnt lgkmcnt(2)
	v_mul_f64 v[76:77], v[66:67], v[18:19]
	v_mul_f64 v[8:9], v[60:61], v[10:11]
	v_fmac_f64_e32 v[76:77], v[68:69], v[20:21]
	v_add_f64 v[78:79], v[74:75], v[76:77]
	ds_read_b128 v[74:77], v1 offset:1344
	s_waitcnt vmcnt(61) lgkmcnt(1)
	v_mul_f64 v[80:81], v[70:71], v[14:15]
	s_waitcnt vmcnt(60)
	v_fmac_f64_e32 v[80:81], v[72:73], v[16:17]
	v_add_f64 v[82:83], v[78:79], v[80:81]
	ds_read_b128 v[78:81], v1 offset:1360
	s_waitcnt vmcnt(56) lgkmcnt(1)
	v_mul_f64 v[84:85], v[74:75], v[26:27]
	s_waitcnt vmcnt(54)
	;; [unrolled: 6-line block ×4, first 2 shown]
	v_fmac_f64_e32 v[92:93], v[84:85], v[36:37]
	v_add_f64 v[94:95], v[90:91], v[92:93]
	ds_read_b128 v[90:93], v1 offset:1408
	v_add_f64 v[2:3], v[2:3], 0
	v_fma_f64 v[4:5], v[58:59], v[4:5], -v[8:9]
	s_waitcnt vmcnt(45) lgkmcnt(1)
	v_mul_f64 v[96:97], v[86:87], v[30:31]
	v_add_f64 v[2:3], v[2:3], v[4:5]
	v_mul_f64 v[4:5], v[64:65], v[12:13]
	s_waitcnt vmcnt(44)
	v_fmac_f64_e32 v[96:97], v[88:89], v[32:33]
	v_fma_f64 v[4:5], v[62:63], v[6:7], -v[4:5]
	v_add_f64 v[98:99], v[94:95], v[96:97]
	ds_read_b128 v[94:97], v1 offset:1424
	s_waitcnt vmcnt(40) lgkmcnt(1)
	v_mul_f64 v[100:101], v[90:91], v[42:43]
	v_add_f64 v[2:3], v[2:3], v[4:5]
	v_mul_f64 v[4:5], v[68:69], v[18:19]
	s_waitcnt vmcnt(38)
	v_fmac_f64_e32 v[100:101], v[92:93], v[44:45]
	v_fma_f64 v[4:5], v[66:67], v[20:21], -v[4:5]
	v_add_f64 v[102:103], v[98:99], v[100:101]
	ds_read_b128 v[98:101], v1 offset:1440
	v_add_f64 v[2:3], v[2:3], v[4:5]
	v_mul_f64 v[4:5], v[72:73], v[14:15]
	v_fma_f64 v[4:5], v[70:71], v[16:17], -v[4:5]
	v_add_f64 v[2:3], v[2:3], v[4:5]
	v_mul_f64 v[4:5], v[76:77], v[26:27]
	s_waitcnt vmcnt(37) lgkmcnt(1)
	v_mul_f64 v[104:105], v[94:95], v[38:39]
	v_fma_f64 v[4:5], v[74:75], v[28:29], -v[4:5]
	s_waitcnt vmcnt(36)
	v_fmac_f64_e32 v[104:105], v[96:97], v[40:41]
	v_add_f64 v[2:3], v[2:3], v[4:5]
	v_mul_f64 v[4:5], v[80:81], v[22:23]
	v_add_f64 v[106:107], v[102:103], v[104:105]
	ds_read_b128 v[102:105], v1 offset:1456
	s_waitcnt vmcnt(32) lgkmcnt(1)
	v_mul_f64 v[108:109], v[98:99], v[50:51]
	v_fma_f64 v[4:5], v[78:79], v[24:25], -v[4:5]
	s_waitcnt vmcnt(30)
	v_fmac_f64_e32 v[108:109], v[100:101], v[52:53]
	v_add_f64 v[2:3], v[2:3], v[4:5]
	v_mul_f64 v[4:5], v[84:85], v[34:35]
	v_add_f64 v[110:111], v[106:107], v[108:109]
	ds_read_b128 v[106:109], v1 offset:1472
	v_fma_f64 v[4:5], v[82:83], v[36:37], -v[4:5]
	v_add_f64 v[2:3], v[2:3], v[4:5]
	v_mul_f64 v[4:5], v[88:89], v[30:31]
	v_fma_f64 v[4:5], v[86:87], v[32:33], -v[4:5]
	s_waitcnt vmcnt(29) lgkmcnt(1)
	v_mul_f64 v[112:113], v[102:103], v[46:47]
	v_add_f64 v[2:3], v[2:3], v[4:5]
	v_mul_f64 v[4:5], v[92:93], v[42:43]
	s_waitcnt vmcnt(28)
	v_fmac_f64_e32 v[112:113], v[104:105], v[48:49]
	v_fma_f64 v[4:5], v[90:91], v[44:45], -v[4:5]
	v_add_f64 v[114:115], v[110:111], v[112:113]
	ds_read_b128 v[110:113], v1 offset:1488
	s_waitcnt vmcnt(24) lgkmcnt(1)
	v_mul_f64 v[116:117], v[106:107], v[134:135]
	v_add_f64 v[2:3], v[2:3], v[4:5]
	v_mul_f64 v[4:5], v[96:97], v[38:39]
	s_waitcnt vmcnt(22)
	v_fmac_f64_e32 v[116:117], v[108:109], v[136:137]
	v_fma_f64 v[4:5], v[94:95], v[40:41], -v[4:5]
	v_add_f64 v[120:121], v[114:115], v[116:117]
	ds_read_b128 v[114:117], v1 offset:1504
	v_add_f64 v[2:3], v[2:3], v[4:5]
	v_mul_f64 v[4:5], v[100:101], v[50:51]
	v_fma_f64 v[4:5], v[98:99], v[52:53], -v[4:5]
	v_add_f64 v[2:3], v[2:3], v[4:5]
	v_mul_f64 v[4:5], v[104:105], v[46:47]
	s_waitcnt vmcnt(21) lgkmcnt(1)
	v_mul_f64 v[122:123], v[110:111], v[118:119]
	v_fma_f64 v[4:5], v[102:103], v[48:49], -v[4:5]
	s_waitcnt vmcnt(20)
	v_fmac_f64_e32 v[122:123], v[112:113], v[132:133]
	v_add_f64 v[2:3], v[2:3], v[4:5]
	v_mul_f64 v[4:5], v[108:109], v[134:135]
	v_add_f64 v[124:125], v[120:121], v[122:123]
	ds_read_b128 v[120:123], v1 offset:1520
	s_waitcnt vmcnt(16) lgkmcnt(1)
	v_mul_f64 v[126:127], v[114:115], v[142:143]
	v_fma_f64 v[4:5], v[106:107], v[136:137], -v[4:5]
	s_waitcnt vmcnt(14)
	v_fmac_f64_e32 v[126:127], v[116:117], v[144:145]
	v_add_f64 v[2:3], v[2:3], v[4:5]
	v_mul_f64 v[4:5], v[112:113], v[118:119]
	v_add_f64 v[158:159], v[124:125], v[126:127]
	ds_read_b128 v[124:127], v1 offset:1536
	v_fma_f64 v[4:5], v[110:111], v[132:133], -v[4:5]
	v_add_f64 v[2:3], v[2:3], v[4:5]
	v_mul_f64 v[4:5], v[116:117], v[142:143]
	v_fma_f64 v[4:5], v[114:115], v[144:145], -v[4:5]
	v_add_f64 v[2:3], v[2:3], v[4:5]
	s_waitcnt vmcnt(13) lgkmcnt(1)
	v_mul_f64 v[4:5], v[122:123], v[138:139]
	v_mul_f64 v[160:161], v[120:121], v[138:139]
	s_waitcnt vmcnt(12)
	v_fma_f64 v[4:5], v[120:121], v[140:141], -v[4:5]
	v_fmac_f64_e32 v[160:161], v[122:123], v[140:141]
	v_add_f64 v[2:3], v[2:3], v[4:5]
	s_waitcnt vmcnt(8) lgkmcnt(0)
	v_mul_f64 v[4:5], v[126:127], v[150:151]
	v_add_f64 v[158:159], v[158:159], v[160:161]
	v_mul_f64 v[160:161], v[124:125], v[150:151]
	s_waitcnt vmcnt(6)
	v_fma_f64 v[4:5], v[124:125], v[152:153], -v[4:5]
	v_fmac_f64_e32 v[160:161], v[126:127], v[152:153]
	v_add_f64 v[2:3], v[2:3], v[4:5]
	s_waitcnt vmcnt(5)
	v_mul_f64 v[4:5], v[130:131], v[146:147]
	v_add_f64 v[158:159], v[158:159], v[160:161]
	v_mul_f64 v[160:161], v[128:129], v[146:147]
	s_waitcnt vmcnt(4)
	v_fma_f64 v[4:5], v[128:129], v[148:149], -v[4:5]
	v_fmac_f64_e32 v[160:161], v[130:131], v[148:149]
	v_add_f64 v[2:3], v[2:3], v[4:5]
	v_add_f64 v[158:159], v[158:159], v[160:161]
	s_waitcnt vmcnt(2)
	v_add_f64 v[2:3], v[154:155], -v[2:3]
	s_waitcnt vmcnt(0)
	v_add_f64 v[4:5], v[156:157], -v[158:159]
	buffer_store_dword v3, off, s[0:3], 0 offset:484
	buffer_store_dword v2, off, s[0:3], 0 offset:480
	;; [unrolled: 1-line block ×4, first 2 shown]
	s_and_saveexec_b64 s[4:5], vcc
	s_cbranch_execz .LBB48_251
; %bb.250:
	v_accvgpr_read_b32 v0, a118
	buffer_load_dword v2, v0, s[0:3], 0 offen
	buffer_load_dword v3, v0, s[0:3], 0 offen offset:4
	buffer_load_dword v4, v0, s[0:3], 0 offen offset:8
	buffer_load_dword v5, v0, s[0:3], 0 offen offset:12
	v_accvgpr_read_b32 v0, a147
	buffer_store_dword v1, off, s[0:3], 0 offset:464
	buffer_store_dword v1, off, s[0:3], 0 offset:468
	;; [unrolled: 1-line block ×4, first 2 shown]
	s_waitcnt vmcnt(4)
	ds_write_b128 v0, v[2:5]
.LBB48_251:
	s_or_b64 exec, exec, s[4:5]
	s_waitcnt lgkmcnt(0)
	; wave barrier
	s_waitcnt lgkmcnt(0)
	buffer_load_dword v2, off, s[0:3], 0 offset:480
	buffer_load_dword v3, off, s[0:3], 0 offset:484
	;; [unrolled: 1-line block ×76, first 2 shown]
	ds_read_b128 v[54:57], v1 offset:1248
	buffer_load_dword v159, off, s[0:3], 0 offset:796
	buffer_load_dword v158, off, s[0:3], 0 offset:792
	;; [unrolled: 1-line block ×8, first 2 shown]
	ds_read_b128 v[58:61], v1 offset:1264
	ds_read_b128 v[62:65], v1 offset:1280
	;; [unrolled: 1-line block ×3, first 2 shown]
	v_cmp_lt_u32_e32 vcc, 27, v254
	ds_read_b128 v[132:135], v1 offset:1552
	s_waitcnt vmcnt(62) lgkmcnt(4)
	v_mul_f64 v[70:71], v[54:55], v[8:9]
	v_fmac_f64_e32 v[70:71], v[56:57], v[2:3]
	v_add_f64 v[70:71], v[70:71], 0
	v_mul_f64 v[8:9], v[56:57], v[8:9]
	s_waitcnt lgkmcnt(3)
	v_mul_f64 v[72:73], v[58:59], v[10:11]
	v_fmac_f64_e32 v[72:73], v[60:61], v[4:5]
	v_add_f64 v[70:71], v[70:71], v[72:73]
	v_fma_f64 v[2:3], v[54:55], v[2:3], -v[8:9]
	s_waitcnt lgkmcnt(2)
	v_mul_f64 v[72:73], v[62:63], v[12:13]
	v_fmac_f64_e32 v[72:73], v[64:65], v[6:7]
	v_add_f64 v[74:75], v[70:71], v[72:73]
	ds_read_b128 v[70:73], v1 offset:1312
	v_mul_f64 v[8:9], v[60:61], v[10:11]
	v_add_f64 v[2:3], v[2:3], 0
	s_waitcnt lgkmcnt(2)
	v_mul_f64 v[76:77], v[66:67], v[18:19]
	v_fma_f64 v[4:5], v[58:59], v[4:5], -v[8:9]
	v_fmac_f64_e32 v[76:77], v[68:69], v[20:21]
	v_add_f64 v[78:79], v[74:75], v[76:77]
	ds_read_b128 v[74:77], v1 offset:1328
	s_waitcnt lgkmcnt(1)
	v_mul_f64 v[80:81], v[70:71], v[14:15]
	v_fmac_f64_e32 v[80:81], v[72:73], v[16:17]
	v_add_f64 v[82:83], v[78:79], v[80:81]
	ds_read_b128 v[78:81], v1 offset:1344
	s_waitcnt vmcnt(58) lgkmcnt(1)
	v_mul_f64 v[84:85], v[74:75], v[26:27]
	s_waitcnt vmcnt(56)
	v_fmac_f64_e32 v[84:85], v[76:77], v[28:29]
	v_add_f64 v[86:87], v[82:83], v[84:85]
	ds_read_b128 v[82:85], v1 offset:1360
	s_waitcnt lgkmcnt(1)
	v_mul_f64 v[88:89], v[78:79], v[22:23]
	v_fmac_f64_e32 v[88:89], v[80:81], v[24:25]
	v_add_f64 v[90:91], v[86:87], v[88:89]
	ds_read_b128 v[86:89], v1 offset:1376
	s_waitcnt vmcnt(50) lgkmcnt(1)
	v_mul_f64 v[92:93], v[82:83], v[34:35]
	s_waitcnt vmcnt(48)
	v_fmac_f64_e32 v[92:93], v[84:85], v[36:37]
	v_add_f64 v[94:95], v[90:91], v[92:93]
	ds_read_b128 v[90:93], v1 offset:1392
	s_waitcnt lgkmcnt(1)
	v_mul_f64 v[96:97], v[86:87], v[30:31]
	v_fmac_f64_e32 v[96:97], v[88:89], v[32:33]
	v_add_f64 v[98:99], v[94:95], v[96:97]
	ds_read_b128 v[94:97], v1 offset:1408
	v_add_f64 v[2:3], v[2:3], v[4:5]
	v_mul_f64 v[4:5], v[64:65], v[12:13]
	v_fma_f64 v[4:5], v[62:63], v[6:7], -v[4:5]
	s_waitcnt vmcnt(42) lgkmcnt(1)
	v_mul_f64 v[100:101], v[90:91], v[42:43]
	v_add_f64 v[2:3], v[2:3], v[4:5]
	v_mul_f64 v[4:5], v[68:69], v[18:19]
	s_waitcnt vmcnt(40)
	v_fmac_f64_e32 v[100:101], v[92:93], v[44:45]
	v_fma_f64 v[4:5], v[66:67], v[20:21], -v[4:5]
	v_add_f64 v[102:103], v[98:99], v[100:101]
	ds_read_b128 v[98:101], v1 offset:1424
	s_waitcnt lgkmcnt(1)
	v_mul_f64 v[104:105], v[94:95], v[38:39]
	v_add_f64 v[2:3], v[2:3], v[4:5]
	v_mul_f64 v[4:5], v[72:73], v[14:15]
	v_fmac_f64_e32 v[104:105], v[96:97], v[40:41]
	v_fma_f64 v[4:5], v[70:71], v[16:17], -v[4:5]
	v_add_f64 v[106:107], v[102:103], v[104:105]
	ds_read_b128 v[102:105], v1 offset:1440
	v_add_f64 v[2:3], v[2:3], v[4:5]
	v_mul_f64 v[4:5], v[76:77], v[26:27]
	v_fma_f64 v[4:5], v[74:75], v[28:29], -v[4:5]
	v_add_f64 v[2:3], v[2:3], v[4:5]
	v_mul_f64 v[4:5], v[80:81], v[22:23]
	s_waitcnt vmcnt(34) lgkmcnt(1)
	v_mul_f64 v[108:109], v[98:99], v[50:51]
	v_fma_f64 v[4:5], v[78:79], v[24:25], -v[4:5]
	s_waitcnt vmcnt(32)
	v_fmac_f64_e32 v[108:109], v[100:101], v[52:53]
	v_add_f64 v[2:3], v[2:3], v[4:5]
	v_mul_f64 v[4:5], v[84:85], v[34:35]
	v_add_f64 v[110:111], v[106:107], v[108:109]
	ds_read_b128 v[106:109], v1 offset:1456
	s_waitcnt lgkmcnt(1)
	v_mul_f64 v[112:113], v[102:103], v[46:47]
	v_fma_f64 v[4:5], v[82:83], v[36:37], -v[4:5]
	v_fmac_f64_e32 v[112:113], v[104:105], v[48:49]
	v_add_f64 v[2:3], v[2:3], v[4:5]
	v_mul_f64 v[4:5], v[88:89], v[30:31]
	v_add_f64 v[114:115], v[110:111], v[112:113]
	ds_read_b128 v[110:113], v1 offset:1472
	v_fma_f64 v[4:5], v[86:87], v[32:33], -v[4:5]
	v_add_f64 v[2:3], v[2:3], v[4:5]
	v_mul_f64 v[4:5], v[92:93], v[42:43]
	v_fma_f64 v[4:5], v[90:91], v[44:45], -v[4:5]
	s_waitcnt vmcnt(26) lgkmcnt(1)
	v_mul_f64 v[116:117], v[106:107], v[138:139]
	v_add_f64 v[2:3], v[2:3], v[4:5]
	v_mul_f64 v[4:5], v[96:97], v[38:39]
	s_waitcnt vmcnt(24)
	v_fmac_f64_e32 v[116:117], v[108:109], v[140:141]
	v_fma_f64 v[4:5], v[94:95], v[40:41], -v[4:5]
	v_add_f64 v[120:121], v[114:115], v[116:117]
	ds_read_b128 v[114:117], v1 offset:1488
	s_waitcnt lgkmcnt(1)
	v_mul_f64 v[122:123], v[110:111], v[118:119]
	v_add_f64 v[2:3], v[2:3], v[4:5]
	v_mul_f64 v[4:5], v[100:101], v[50:51]
	v_fmac_f64_e32 v[122:123], v[112:113], v[136:137]
	v_fma_f64 v[4:5], v[98:99], v[52:53], -v[4:5]
	v_add_f64 v[124:125], v[120:121], v[122:123]
	ds_read_b128 v[120:123], v1 offset:1504
	v_add_f64 v[2:3], v[2:3], v[4:5]
	v_mul_f64 v[4:5], v[104:105], v[46:47]
	v_fma_f64 v[4:5], v[102:103], v[48:49], -v[4:5]
	v_add_f64 v[2:3], v[2:3], v[4:5]
	v_mul_f64 v[4:5], v[108:109], v[138:139]
	s_waitcnt vmcnt(18) lgkmcnt(1)
	v_mul_f64 v[126:127], v[114:115], v[146:147]
	v_fma_f64 v[4:5], v[106:107], v[140:141], -v[4:5]
	s_waitcnt vmcnt(16)
	v_fmac_f64_e32 v[126:127], v[116:117], v[148:149]
	v_add_f64 v[2:3], v[2:3], v[4:5]
	v_mul_f64 v[4:5], v[112:113], v[118:119]
	v_add_f64 v[128:129], v[124:125], v[126:127]
	ds_read_b128 v[124:127], v1 offset:1520
	s_waitcnt lgkmcnt(1)
	v_mul_f64 v[130:131], v[120:121], v[142:143]
	v_fma_f64 v[4:5], v[110:111], v[136:137], -v[4:5]
	v_fmac_f64_e32 v[130:131], v[122:123], v[144:145]
	v_add_f64 v[2:3], v[2:3], v[4:5]
	v_mul_f64 v[4:5], v[116:117], v[146:147]
	v_add_f64 v[166:167], v[128:129], v[130:131]
	ds_read_b128 v[128:131], v1 offset:1536
	v_fma_f64 v[4:5], v[114:115], v[148:149], -v[4:5]
	v_add_f64 v[2:3], v[2:3], v[4:5]
	v_mul_f64 v[4:5], v[122:123], v[142:143]
	v_fma_f64 v[4:5], v[120:121], v[144:145], -v[4:5]
	v_add_f64 v[2:3], v[2:3], v[4:5]
	s_waitcnt vmcnt(10) lgkmcnt(1)
	v_mul_f64 v[4:5], v[126:127], v[154:155]
	v_mul_f64 v[168:169], v[124:125], v[154:155]
	s_waitcnt vmcnt(8)
	v_fma_f64 v[4:5], v[124:125], v[156:157], -v[4:5]
	v_fmac_f64_e32 v[168:169], v[126:127], v[156:157]
	v_add_f64 v[2:3], v[2:3], v[4:5]
	s_waitcnt lgkmcnt(0)
	v_mul_f64 v[4:5], v[130:131], v[150:151]
	v_add_f64 v[166:167], v[166:167], v[168:169]
	v_mul_f64 v[168:169], v[128:129], v[150:151]
	v_fma_f64 v[4:5], v[128:129], v[152:153], -v[4:5]
	v_fmac_f64_e32 v[168:169], v[130:131], v[152:153]
	v_add_f64 v[2:3], v[2:3], v[4:5]
	s_waitcnt vmcnt(6)
	v_mul_f64 v[4:5], v[134:135], v[158:159]
	v_add_f64 v[166:167], v[166:167], v[168:169]
	v_mul_f64 v[168:169], v[132:133], v[158:159]
	s_waitcnt vmcnt(4)
	v_fma_f64 v[4:5], v[132:133], v[160:161], -v[4:5]
	v_fmac_f64_e32 v[168:169], v[134:135], v[160:161]
	v_add_f64 v[2:3], v[2:3], v[4:5]
	v_add_f64 v[166:167], v[166:167], v[168:169]
	s_waitcnt vmcnt(2)
	v_add_f64 v[2:3], v[162:163], -v[2:3]
	s_waitcnt vmcnt(0)
	v_add_f64 v[4:5], v[164:165], -v[166:167]
	buffer_store_dword v3, off, s[0:3], 0 offset:468
	buffer_store_dword v2, off, s[0:3], 0 offset:464
	buffer_store_dword v5, off, s[0:3], 0 offset:476
	buffer_store_dword v4, off, s[0:3], 0 offset:472
	s_and_saveexec_b64 s[4:5], vcc
	s_cbranch_execz .LBB48_253
; %bb.252:
	v_accvgpr_read_b32 v0, a119
	buffer_load_dword v2, v0, s[0:3], 0 offen
	buffer_load_dword v3, v0, s[0:3], 0 offen offset:4
	buffer_load_dword v4, v0, s[0:3], 0 offen offset:8
	;; [unrolled: 1-line block ×3, first 2 shown]
	v_mov_b32_e32 v0, 0
	v_accvgpr_read_b32 v1, a147
	buffer_store_dword v0, off, s[0:3], 0 offset:448
	buffer_store_dword v0, off, s[0:3], 0 offset:452
	;; [unrolled: 1-line block ×4, first 2 shown]
	s_waitcnt vmcnt(4)
	ds_write_b128 v1, v[2:5]
.LBB48_253:
	s_or_b64 exec, exec, s[4:5]
	s_waitcnt lgkmcnt(0)
	; wave barrier
	s_waitcnt lgkmcnt(0)
	buffer_load_dword v4, off, s[0:3], 0 offset:448
	buffer_load_dword v5, off, s[0:3], 0 offset:452
	buffer_load_dword v2, off, s[0:3], 0 offset:456
	buffer_load_dword v3, off, s[0:3], 0 offset:460
	buffer_load_dword v6, off, s[0:3], 0 offset:464
	buffer_load_dword v7, off, s[0:3], 0 offset:468
	buffer_load_dword v12, off, s[0:3], 0 offset:472
	buffer_load_dword v13, off, s[0:3], 0 offset:476
	buffer_load_dword v8, off, s[0:3], 0 offset:480
	buffer_load_dword v9, off, s[0:3], 0 offset:484
	buffer_load_dword v14, off, s[0:3], 0 offset:488
	buffer_load_dword v15, off, s[0:3], 0 offset:492
	buffer_load_dword v10, off, s[0:3], 0 offset:496
	buffer_load_dword v11, off, s[0:3], 0 offset:500
	buffer_load_dword v16, off, s[0:3], 0 offset:504
	buffer_load_dword v17, off, s[0:3], 0 offset:508
	buffer_load_dword v19, off, s[0:3], 0 offset:540
	buffer_load_dword v18, off, s[0:3], 0 offset:536
	buffer_load_dword v21, off, s[0:3], 0 offset:532
	buffer_load_dword v20, off, s[0:3], 0 offset:528
	buffer_load_dword v23, off, s[0:3], 0 offset:524
	buffer_load_dword v22, off, s[0:3], 0 offset:520
	buffer_load_dword v25, off, s[0:3], 0 offset:516
	buffer_load_dword v24, off, s[0:3], 0 offset:512
	buffer_load_dword v27, off, s[0:3], 0 offset:572
	buffer_load_dword v26, off, s[0:3], 0 offset:568
	buffer_load_dword v29, off, s[0:3], 0 offset:564
	buffer_load_dword v28, off, s[0:3], 0 offset:560
	buffer_load_dword v31, off, s[0:3], 0 offset:556
	buffer_load_dword v30, off, s[0:3], 0 offset:552
	buffer_load_dword v33, off, s[0:3], 0 offset:548
	buffer_load_dword v32, off, s[0:3], 0 offset:544
	buffer_load_dword v35, off, s[0:3], 0 offset:604
	buffer_load_dword v34, off, s[0:3], 0 offset:600
	buffer_load_dword v37, off, s[0:3], 0 offset:596
	buffer_load_dword v36, off, s[0:3], 0 offset:592
	buffer_load_dword v39, off, s[0:3], 0 offset:588
	buffer_load_dword v38, off, s[0:3], 0 offset:584
	buffer_load_dword v41, off, s[0:3], 0 offset:580
	buffer_load_dword v40, off, s[0:3], 0 offset:576
	buffer_load_dword v43, off, s[0:3], 0 offset:636
	buffer_load_dword v42, off, s[0:3], 0 offset:632
	buffer_load_dword v45, off, s[0:3], 0 offset:628
	buffer_load_dword v44, off, s[0:3], 0 offset:624
	buffer_load_dword v47, off, s[0:3], 0 offset:620
	buffer_load_dword v46, off, s[0:3], 0 offset:616
	buffer_load_dword v49, off, s[0:3], 0 offset:612
	buffer_load_dword v48, off, s[0:3], 0 offset:608
	buffer_load_dword v51, off, s[0:3], 0 offset:668
	buffer_load_dword v50, off, s[0:3], 0 offset:664
	buffer_load_dword v53, off, s[0:3], 0 offset:660
	buffer_load_dword v52, off, s[0:3], 0 offset:656
	buffer_load_dword v55, off, s[0:3], 0 offset:652
	buffer_load_dword v54, off, s[0:3], 0 offset:648
	buffer_load_dword v57, off, s[0:3], 0 offset:644
	buffer_load_dword v56, off, s[0:3], 0 offset:640
	buffer_load_dword v59, off, s[0:3], 0 offset:700
	buffer_load_dword v58, off, s[0:3], 0 offset:696
	buffer_load_dword v61, off, s[0:3], 0 offset:692
	buffer_load_dword v60, off, s[0:3], 0 offset:688
	buffer_load_dword v63, off, s[0:3], 0 offset:684
	buffer_load_dword v62, off, s[0:3], 0 offset:680
	buffer_load_dword v65, off, s[0:3], 0 offset:676
	buffer_load_dword v64, off, s[0:3], 0 offset:672
	buffer_load_dword v119, off, s[0:3], 0 offset:732
	buffer_load_dword v118, off, s[0:3], 0 offset:728
	buffer_load_dword v153, off, s[0:3], 0 offset:724
	buffer_load_dword v152, off, s[0:3], 0 offset:720
	buffer_load_dword v155, off, s[0:3], 0 offset:716
	buffer_load_dword v154, off, s[0:3], 0 offset:712
	buffer_load_dword v157, off, s[0:3], 0 offset:708
	buffer_load_dword v156, off, s[0:3], 0 offset:704
	buffer_load_dword v159, off, s[0:3], 0 offset:764
	buffer_load_dword v158, off, s[0:3], 0 offset:760
	buffer_load_dword v161, off, s[0:3], 0 offset:756
	buffer_load_dword v160, off, s[0:3], 0 offset:752
	buffer_load_dword v163, off, s[0:3], 0 offset:748
	buffer_load_dword v162, off, s[0:3], 0 offset:744
	buffer_load_dword v165, off, s[0:3], 0 offset:740
	buffer_load_dword v164, off, s[0:3], 0 offset:736
	buffer_load_dword v167, off, s[0:3], 0 offset:780
	buffer_load_dword v166, off, s[0:3], 0 offset:776
	buffer_load_dword v169, off, s[0:3], 0 offset:772
	buffer_load_dword v168, off, s[0:3], 0 offset:768
	v_mov_b32_e32 v1, 0
	ds_read_b128 v[66:69], v1 offset:1232
	buffer_load_dword v171, off, s[0:3], 0 offset:796
	buffer_load_dword v170, off, s[0:3], 0 offset:792
	;; [unrolled: 1-line block ×4, first 2 shown]
	ds_read_b128 v[70:73], v1 offset:1248
	ds_read_b128 v[74:77], v1 offset:1264
	;; [unrolled: 1-line block ×4, first 2 shown]
	v_cmp_lt_u32_e32 vcc, 26, v254
	s_waitcnt vmcnt(62) lgkmcnt(4)
	v_mul_f64 v[82:83], v[66:67], v[12:13]
	v_fmac_f64_e32 v[82:83], v[68:69], v[6:7]
	s_waitcnt lgkmcnt(3)
	v_mul_f64 v[84:85], v[70:71], v[14:15]
	v_add_f64 v[82:83], v[82:83], 0
	v_fmac_f64_e32 v[84:85], v[72:73], v[8:9]
	v_add_f64 v[82:83], v[82:83], v[84:85]
	s_waitcnt lgkmcnt(2)
	v_mul_f64 v[84:85], v[74:75], v[16:17]
	v_fmac_f64_e32 v[84:85], v[76:77], v[10:11]
	v_add_f64 v[86:87], v[82:83], v[84:85]
	ds_read_b128 v[82:85], v1 offset:1296
	v_mul_f64 v[12:13], v[68:69], v[12:13]
	s_waitcnt lgkmcnt(2)
	v_mul_f64 v[88:89], v[78:79], v[22:23]
	v_fma_f64 v[6:7], v[66:67], v[6:7], -v[12:13]
	v_fmac_f64_e32 v[88:89], v[80:81], v[24:25]
	v_add_f64 v[90:91], v[86:87], v[88:89]
	ds_read_b128 v[86:89], v1 offset:1312
	s_waitcnt lgkmcnt(1)
	v_mul_f64 v[92:93], v[82:83], v[18:19]
	v_fmac_f64_e32 v[92:93], v[84:85], v[20:21]
	v_add_f64 v[94:95], v[90:91], v[92:93]
	ds_read_b128 v[90:93], v1 offset:1328
	s_waitcnt vmcnt(58) lgkmcnt(1)
	v_mul_f64 v[96:97], v[86:87], v[30:31]
	s_waitcnt vmcnt(56)
	v_fmac_f64_e32 v[96:97], v[88:89], v[32:33]
	v_add_f64 v[98:99], v[94:95], v[96:97]
	ds_read_b128 v[94:97], v1 offset:1344
	s_waitcnt lgkmcnt(1)
	v_mul_f64 v[100:101], v[90:91], v[26:27]
	v_fmac_f64_e32 v[100:101], v[92:93], v[28:29]
	v_add_f64 v[102:103], v[98:99], v[100:101]
	ds_read_b128 v[98:101], v1 offset:1360
	s_waitcnt vmcnt(50) lgkmcnt(1)
	v_mul_f64 v[104:105], v[94:95], v[38:39]
	s_waitcnt vmcnt(48)
	v_fmac_f64_e32 v[104:105], v[96:97], v[40:41]
	v_add_f64 v[106:107], v[102:103], v[104:105]
	ds_read_b128 v[102:105], v1 offset:1376
	s_waitcnt lgkmcnt(1)
	v_mul_f64 v[108:109], v[98:99], v[34:35]
	v_fmac_f64_e32 v[108:109], v[100:101], v[36:37]
	v_mul_f64 v[12:13], v[72:73], v[14:15]
	v_add_f64 v[110:111], v[106:107], v[108:109]
	ds_read_b128 v[106:109], v1 offset:1392
	s_waitcnt vmcnt(42) lgkmcnt(1)
	v_mul_f64 v[112:113], v[102:103], v[46:47]
	v_add_f64 v[6:7], v[6:7], 0
	v_fma_f64 v[8:9], v[70:71], v[8:9], -v[12:13]
	s_waitcnt vmcnt(40)
	v_fmac_f64_e32 v[112:113], v[104:105], v[48:49]
	v_add_f64 v[6:7], v[6:7], v[8:9]
	v_mul_f64 v[8:9], v[76:77], v[16:17]
	v_add_f64 v[114:115], v[110:111], v[112:113]
	ds_read_b128 v[110:113], v1 offset:1408
	v_fma_f64 v[8:9], v[74:75], v[10:11], -v[8:9]
	v_add_f64 v[6:7], v[6:7], v[8:9]
	v_mul_f64 v[8:9], v[80:81], v[22:23]
	v_fma_f64 v[8:9], v[78:79], v[24:25], -v[8:9]
	s_waitcnt lgkmcnt(1)
	v_mul_f64 v[116:117], v[106:107], v[42:43]
	v_add_f64 v[6:7], v[6:7], v[8:9]
	v_mul_f64 v[8:9], v[84:85], v[18:19]
	v_fmac_f64_e32 v[116:117], v[108:109], v[44:45]
	v_fma_f64 v[8:9], v[82:83], v[20:21], -v[8:9]
	v_add_f64 v[120:121], v[114:115], v[116:117]
	ds_read_b128 v[114:117], v1 offset:1424
	s_waitcnt vmcnt(34) lgkmcnt(1)
	v_mul_f64 v[122:123], v[110:111], v[54:55]
	v_add_f64 v[6:7], v[6:7], v[8:9]
	v_mul_f64 v[8:9], v[88:89], v[30:31]
	s_waitcnt vmcnt(32)
	v_fmac_f64_e32 v[122:123], v[112:113], v[56:57]
	v_fma_f64 v[8:9], v[86:87], v[32:33], -v[8:9]
	v_add_f64 v[124:125], v[120:121], v[122:123]
	ds_read_b128 v[120:123], v1 offset:1440
	v_add_f64 v[6:7], v[6:7], v[8:9]
	v_mul_f64 v[8:9], v[92:93], v[26:27]
	v_fma_f64 v[8:9], v[90:91], v[28:29], -v[8:9]
	v_add_f64 v[6:7], v[6:7], v[8:9]
	v_mul_f64 v[8:9], v[96:97], v[38:39]
	s_waitcnt lgkmcnt(1)
	v_mul_f64 v[126:127], v[114:115], v[50:51]
	v_fma_f64 v[8:9], v[94:95], v[40:41], -v[8:9]
	v_fmac_f64_e32 v[126:127], v[116:117], v[52:53]
	v_add_f64 v[6:7], v[6:7], v[8:9]
	v_mul_f64 v[8:9], v[100:101], v[34:35]
	v_add_f64 v[128:129], v[124:125], v[126:127]
	ds_read_b128 v[124:127], v1 offset:1456
	s_waitcnt vmcnt(26) lgkmcnt(1)
	v_mul_f64 v[130:131], v[120:121], v[62:63]
	v_fma_f64 v[8:9], v[98:99], v[36:37], -v[8:9]
	s_waitcnt vmcnt(24)
	v_fmac_f64_e32 v[130:131], v[122:123], v[64:65]
	v_add_f64 v[6:7], v[6:7], v[8:9]
	v_mul_f64 v[8:9], v[104:105], v[46:47]
	v_add_f64 v[132:133], v[128:129], v[130:131]
	ds_read_b128 v[128:131], v1 offset:1472
	v_fma_f64 v[8:9], v[102:103], v[48:49], -v[8:9]
	v_add_f64 v[6:7], v[6:7], v[8:9]
	v_mul_f64 v[8:9], v[108:109], v[42:43]
	v_fma_f64 v[8:9], v[106:107], v[44:45], -v[8:9]
	s_waitcnt lgkmcnt(1)
	v_mul_f64 v[134:135], v[124:125], v[58:59]
	v_add_f64 v[6:7], v[6:7], v[8:9]
	v_mul_f64 v[8:9], v[112:113], v[54:55]
	v_fmac_f64_e32 v[134:135], v[126:127], v[60:61]
	v_fma_f64 v[8:9], v[110:111], v[56:57], -v[8:9]
	v_add_f64 v[136:137], v[132:133], v[134:135]
	ds_read_b128 v[132:135], v1 offset:1488
	s_waitcnt vmcnt(18) lgkmcnt(1)
	v_mul_f64 v[138:139], v[128:129], v[154:155]
	v_add_f64 v[6:7], v[6:7], v[8:9]
	v_mul_f64 v[8:9], v[116:117], v[50:51]
	s_waitcnt vmcnt(16)
	v_fmac_f64_e32 v[138:139], v[130:131], v[156:157]
	v_fma_f64 v[8:9], v[114:115], v[52:53], -v[8:9]
	v_add_f64 v[140:141], v[136:137], v[138:139]
	ds_read_b128 v[136:139], v1 offset:1504
	v_add_f64 v[6:7], v[6:7], v[8:9]
	v_mul_f64 v[8:9], v[122:123], v[62:63]
	v_fma_f64 v[8:9], v[120:121], v[64:65], -v[8:9]
	v_add_f64 v[6:7], v[6:7], v[8:9]
	v_mul_f64 v[8:9], v[126:127], v[58:59]
	s_waitcnt lgkmcnt(1)
	v_mul_f64 v[142:143], v[132:133], v[118:119]
	v_fma_f64 v[8:9], v[124:125], v[60:61], -v[8:9]
	v_fmac_f64_e32 v[142:143], v[134:135], v[152:153]
	v_add_f64 v[6:7], v[6:7], v[8:9]
	v_mul_f64 v[8:9], v[130:131], v[154:155]
	v_add_f64 v[144:145], v[140:141], v[142:143]
	ds_read_b128 v[140:143], v1 offset:1520
	s_waitcnt vmcnt(10) lgkmcnt(1)
	v_mul_f64 v[146:147], v[136:137], v[162:163]
	v_fma_f64 v[8:9], v[128:129], v[156:157], -v[8:9]
	s_waitcnt vmcnt(8)
	v_fmac_f64_e32 v[146:147], v[138:139], v[164:165]
	v_add_f64 v[6:7], v[6:7], v[8:9]
	v_mul_f64 v[8:9], v[134:135], v[118:119]
	v_add_f64 v[174:175], v[144:145], v[146:147]
	ds_read_b128 v[144:147], v1 offset:1536
	v_fma_f64 v[8:9], v[132:133], v[152:153], -v[8:9]
	v_add_f64 v[6:7], v[6:7], v[8:9]
	v_mul_f64 v[8:9], v[138:139], v[162:163]
	v_fma_f64 v[8:9], v[136:137], v[164:165], -v[8:9]
	v_add_f64 v[6:7], v[6:7], v[8:9]
	s_waitcnt lgkmcnt(1)
	v_mul_f64 v[8:9], v[142:143], v[158:159]
	v_mul_f64 v[176:177], v[140:141], v[158:159]
	v_fma_f64 v[8:9], v[140:141], v[160:161], -v[8:9]
	v_fmac_f64_e32 v[176:177], v[142:143], v[160:161]
	v_add_f64 v[6:7], v[6:7], v[8:9]
	s_waitcnt vmcnt(6) lgkmcnt(0)
	v_mul_f64 v[8:9], v[146:147], v[166:167]
	v_add_f64 v[174:175], v[174:175], v[176:177]
	v_mul_f64 v[176:177], v[144:145], v[166:167]
	s_waitcnt vmcnt(4)
	v_fma_f64 v[8:9], v[144:145], v[168:169], -v[8:9]
	v_fmac_f64_e32 v[176:177], v[146:147], v[168:169]
	v_add_f64 v[6:7], v[6:7], v[8:9]
	s_waitcnt vmcnt(2)
	v_mul_f64 v[8:9], v[150:151], v[170:171]
	v_add_f64 v[174:175], v[174:175], v[176:177]
	v_mul_f64 v[176:177], v[148:149], v[170:171]
	s_waitcnt vmcnt(0)
	v_fma_f64 v[8:9], v[148:149], v[172:173], -v[8:9]
	v_fmac_f64_e32 v[176:177], v[150:151], v[172:173]
	v_add_f64 v[6:7], v[6:7], v[8:9]
	v_add_f64 v[174:175], v[174:175], v[176:177]
	v_add_f64 v[4:5], v[4:5], -v[6:7]
	v_add_f64 v[2:3], v[2:3], -v[174:175]
	buffer_store_dword v5, off, s[0:3], 0 offset:452
	buffer_store_dword v4, off, s[0:3], 0 offset:448
	;; [unrolled: 1-line block ×4, first 2 shown]
	s_and_saveexec_b64 s[4:5], vcc
	s_cbranch_execz .LBB48_255
; %bb.254:
	v_accvgpr_read_b32 v0, a120
	buffer_load_dword v2, v0, s[0:3], 0 offen
	buffer_load_dword v3, v0, s[0:3], 0 offen offset:4
	buffer_load_dword v4, v0, s[0:3], 0 offen offset:8
	;; [unrolled: 1-line block ×3, first 2 shown]
	v_accvgpr_read_b32 v0, a147
	buffer_store_dword v1, off, s[0:3], 0 offset:432
	buffer_store_dword v1, off, s[0:3], 0 offset:436
	;; [unrolled: 1-line block ×4, first 2 shown]
	s_waitcnt vmcnt(4)
	ds_write_b128 v0, v[2:5]
.LBB48_255:
	s_or_b64 exec, exec, s[4:5]
	s_waitcnt lgkmcnt(0)
	; wave barrier
	s_waitcnt lgkmcnt(0)
	ds_read_b128 v[14:17], v1 offset:1216
	ds_read_b128 v[10:13], v1 offset:1232
	;; [unrolled: 1-line block ×4, first 2 shown]
	buffer_load_dword v20, off, s[0:3], 0 offset:432
	buffer_load_dword v21, off, s[0:3], 0 offset:436
	;; [unrolled: 1-line block ×92, first 2 shown]
	s_waitcnt vmcnt(62) lgkmcnt(3)
	v_mul_f64 v[86:87], v[14:15], v[28:29]
	v_fmac_f64_e32 v[86:87], v[16:17], v[22:23]
	s_waitcnt lgkmcnt(2)
	v_mul_f64 v[88:89], v[10:11], v[30:31]
	v_add_f64 v[86:87], v[86:87], 0
	v_fmac_f64_e32 v[88:89], v[12:13], v[24:25]
	v_add_f64 v[86:87], v[86:87], v[88:89]
	s_waitcnt lgkmcnt(1)
	v_mul_f64 v[88:89], v[6:7], v[32:33]
	v_fmac_f64_e32 v[88:89], v[8:9], v[26:27]
	v_add_f64 v[90:91], v[86:87], v[88:89]
	ds_read_b128 v[86:89], v1 offset:1280
	v_mul_f64 v[16:17], v[16:17], v[28:29]
	v_fma_f64 v[14:15], v[14:15], v[22:23], -v[16:17]
	s_waitcnt lgkmcnt(1)
	v_mul_f64 v[92:93], v[2:3], v[38:39]
	v_mul_f64 v[12:13], v[12:13], v[30:31]
	v_fmac_f64_e32 v[92:93], v[4:5], v[40:41]
	v_add_f64 v[94:95], v[90:91], v[92:93]
	ds_read_b128 v[90:93], v1 offset:1296
	s_waitcnt lgkmcnt(1)
	v_mul_f64 v[96:97], v[86:87], v[34:35]
	v_fmac_f64_e32 v[96:97], v[88:89], v[36:37]
	v_add_f64 v[98:99], v[94:95], v[96:97]
	ds_read_b128 v[94:97], v1 offset:1312
	s_waitcnt lgkmcnt(1)
	v_mul_f64 v[100:101], v[90:91], v[46:47]
	s_waitcnt vmcnt(60)
	v_fmac_f64_e32 v[100:101], v[92:93], v[48:49]
	v_add_f64 v[102:103], v[98:99], v[100:101]
	ds_read_b128 v[98:101], v1 offset:1328
	s_waitcnt lgkmcnt(1)
	v_mul_f64 v[104:105], v[94:95], v[42:43]
	v_fmac_f64_e32 v[104:105], v[96:97], v[44:45]
	v_add_f64 v[106:107], v[102:103], v[104:105]
	ds_read_b128 v[102:105], v1 offset:1344
	s_waitcnt vmcnt(54) lgkmcnt(1)
	v_mul_f64 v[108:109], v[98:99], v[54:55]
	s_waitcnt vmcnt(52)
	v_fmac_f64_e32 v[108:109], v[100:101], v[56:57]
	v_add_f64 v[110:111], v[106:107], v[108:109]
	ds_read_b128 v[106:109], v1 offset:1360
	s_waitcnt lgkmcnt(1)
	v_mul_f64 v[112:113], v[102:103], v[50:51]
	v_fmac_f64_e32 v[112:113], v[104:105], v[52:53]
	v_add_f64 v[114:115], v[110:111], v[112:113]
	ds_read_b128 v[110:113], v1 offset:1376
	s_waitcnt vmcnt(46) lgkmcnt(1)
	v_mul_f64 v[116:117], v[106:107], v[62:63]
	s_waitcnt vmcnt(44)
	v_fmac_f64_e32 v[116:117], v[108:109], v[64:65]
	v_add_f64 v[120:121], v[114:115], v[116:117]
	ds_read_b128 v[114:117], v1 offset:1392
	s_waitcnt lgkmcnt(1)
	v_mul_f64 v[122:123], v[110:111], v[58:59]
	v_fmac_f64_e32 v[122:123], v[112:113], v[60:61]
	v_add_f64 v[14:15], v[14:15], 0
	v_fma_f64 v[10:11], v[10:11], v[24:25], -v[12:13]
	v_mul_f64 v[8:9], v[8:9], v[32:33]
	v_add_f64 v[124:125], v[120:121], v[122:123]
	ds_read_b128 v[120:123], v1 offset:1408
	v_add_f64 v[10:11], v[14:15], v[10:11]
	v_fma_f64 v[6:7], v[6:7], v[26:27], -v[8:9]
	v_mul_f64 v[4:5], v[4:5], v[38:39]
	v_add_f64 v[6:7], v[10:11], v[6:7]
	v_fma_f64 v[2:3], v[2:3], v[40:41], -v[4:5]
	v_mul_f64 v[4:5], v[88:89], v[34:35]
	v_add_f64 v[2:3], v[6:7], v[2:3]
	v_fma_f64 v[4:5], v[86:87], v[36:37], -v[4:5]
	s_waitcnt vmcnt(38) lgkmcnt(1)
	v_mul_f64 v[126:127], v[114:115], v[70:71]
	v_add_f64 v[2:3], v[2:3], v[4:5]
	v_mul_f64 v[4:5], v[92:93], v[46:47]
	s_waitcnt vmcnt(36)
	v_fmac_f64_e32 v[126:127], v[116:117], v[72:73]
	v_fma_f64 v[4:5], v[90:91], v[48:49], -v[4:5]
	v_add_f64 v[128:129], v[124:125], v[126:127]
	ds_read_b128 v[124:127], v1 offset:1424
	s_waitcnt lgkmcnt(1)
	v_mul_f64 v[130:131], v[120:121], v[66:67]
	v_add_f64 v[2:3], v[2:3], v[4:5]
	v_mul_f64 v[4:5], v[96:97], v[42:43]
	v_fmac_f64_e32 v[130:131], v[122:123], v[68:69]
	v_fma_f64 v[4:5], v[94:95], v[44:45], -v[4:5]
	v_add_f64 v[132:133], v[128:129], v[130:131]
	ds_read_b128 v[128:131], v1 offset:1440
	v_add_f64 v[2:3], v[2:3], v[4:5]
	v_mul_f64 v[4:5], v[100:101], v[54:55]
	v_fma_f64 v[4:5], v[98:99], v[56:57], -v[4:5]
	v_add_f64 v[2:3], v[2:3], v[4:5]
	v_mul_f64 v[4:5], v[104:105], v[50:51]
	s_waitcnt vmcnt(30) lgkmcnt(1)
	v_mul_f64 v[134:135], v[124:125], v[78:79]
	v_fma_f64 v[4:5], v[102:103], v[52:53], -v[4:5]
	s_waitcnt vmcnt(28)
	v_fmac_f64_e32 v[134:135], v[126:127], v[80:81]
	v_add_f64 v[2:3], v[2:3], v[4:5]
	v_mul_f64 v[4:5], v[108:109], v[62:63]
	v_add_f64 v[136:137], v[132:133], v[134:135]
	ds_read_b128 v[132:135], v1 offset:1456
	s_waitcnt lgkmcnt(1)
	v_mul_f64 v[138:139], v[128:129], v[74:75]
	v_fma_f64 v[4:5], v[106:107], v[64:65], -v[4:5]
	v_fmac_f64_e32 v[138:139], v[130:131], v[76:77]
	v_add_f64 v[2:3], v[2:3], v[4:5]
	v_mul_f64 v[4:5], v[112:113], v[58:59]
	v_add_f64 v[140:141], v[136:137], v[138:139]
	ds_read_b128 v[136:139], v1 offset:1472
	v_fma_f64 v[4:5], v[110:111], v[60:61], -v[4:5]
	v_add_f64 v[2:3], v[2:3], v[4:5]
	v_mul_f64 v[4:5], v[116:117], v[70:71]
	v_fma_f64 v[4:5], v[114:115], v[72:73], -v[4:5]
	s_waitcnt vmcnt(22) lgkmcnt(1)
	v_mul_f64 v[142:143], v[132:133], v[118:119]
	v_add_f64 v[2:3], v[2:3], v[4:5]
	v_mul_f64 v[4:5], v[122:123], v[66:67]
	s_waitcnt vmcnt(20)
	v_fmac_f64_e32 v[142:143], v[134:135], v[160:161]
	v_fma_f64 v[4:5], v[120:121], v[68:69], -v[4:5]
	v_add_f64 v[144:145], v[140:141], v[142:143]
	ds_read_b128 v[140:143], v1 offset:1488
	s_waitcnt lgkmcnt(1)
	v_mul_f64 v[146:147], v[136:137], v[82:83]
	v_add_f64 v[2:3], v[2:3], v[4:5]
	v_mul_f64 v[4:5], v[126:127], v[78:79]
	v_fmac_f64_e32 v[146:147], v[138:139], v[84:85]
	v_fma_f64 v[4:5], v[124:125], v[80:81], -v[4:5]
	v_add_f64 v[148:149], v[144:145], v[146:147]
	ds_read_b128 v[144:147], v1 offset:1504
	v_add_f64 v[2:3], v[2:3], v[4:5]
	v_mul_f64 v[4:5], v[130:131], v[74:75]
	v_fma_f64 v[4:5], v[128:129], v[76:77], -v[4:5]
	v_add_f64 v[2:3], v[2:3], v[4:5]
	v_mul_f64 v[4:5], v[134:135], v[118:119]
	s_waitcnt vmcnt(14) lgkmcnt(1)
	v_mul_f64 v[150:151], v[140:141], v[166:167]
	v_fma_f64 v[4:5], v[132:133], v[160:161], -v[4:5]
	s_waitcnt vmcnt(12)
	v_fmac_f64_e32 v[150:151], v[142:143], v[168:169]
	v_add_f64 v[2:3], v[2:3], v[4:5]
	v_mul_f64 v[4:5], v[138:139], v[82:83]
	v_add_f64 v[152:153], v[148:149], v[150:151]
	ds_read_b128 v[148:151], v1 offset:1520
	s_waitcnt lgkmcnt(1)
	v_mul_f64 v[154:155], v[144:145], v[162:163]
	v_fma_f64 v[4:5], v[136:137], v[84:85], -v[4:5]
	v_fmac_f64_e32 v[154:155], v[146:147], v[164:165]
	v_add_f64 v[2:3], v[2:3], v[4:5]
	v_mul_f64 v[4:5], v[142:143], v[166:167]
	v_add_f64 v[182:183], v[152:153], v[154:155]
	ds_read_b128 v[152:155], v1 offset:1536
	ds_read_b128 v[156:159], v1 offset:1552
	v_fma_f64 v[4:5], v[140:141], v[168:169], -v[4:5]
	v_add_f64 v[2:3], v[2:3], v[4:5]
	v_mul_f64 v[4:5], v[146:147], v[162:163]
	v_fma_f64 v[4:5], v[144:145], v[164:165], -v[4:5]
	v_add_f64 v[2:3], v[2:3], v[4:5]
	s_waitcnt vmcnt(6) lgkmcnt(2)
	v_mul_f64 v[4:5], v[150:151], v[174:175]
	v_mul_f64 v[184:185], v[148:149], v[174:175]
	s_waitcnt vmcnt(4)
	v_fma_f64 v[4:5], v[148:149], v[176:177], -v[4:5]
	v_fmac_f64_e32 v[184:185], v[150:151], v[176:177]
	v_add_f64 v[2:3], v[2:3], v[4:5]
	s_waitcnt lgkmcnt(1)
	v_mul_f64 v[4:5], v[154:155], v[170:171]
	v_add_f64 v[182:183], v[182:183], v[184:185]
	v_mul_f64 v[184:185], v[152:153], v[170:171]
	v_fma_f64 v[4:5], v[152:153], v[172:173], -v[4:5]
	v_fmac_f64_e32 v[184:185], v[154:155], v[172:173]
	v_add_f64 v[2:3], v[2:3], v[4:5]
	s_waitcnt vmcnt(2) lgkmcnt(0)
	v_mul_f64 v[4:5], v[158:159], v[178:179]
	v_add_f64 v[182:183], v[182:183], v[184:185]
	v_mul_f64 v[184:185], v[156:157], v[178:179]
	s_waitcnt vmcnt(0)
	v_fma_f64 v[4:5], v[156:157], v[180:181], -v[4:5]
	v_fmac_f64_e32 v[184:185], v[158:159], v[180:181]
	v_add_f64 v[2:3], v[2:3], v[4:5]
	v_add_f64 v[182:183], v[182:183], v[184:185]
	v_add_f64 v[2:3], v[20:21], -v[2:3]
	v_cmp_lt_u32_e32 vcc, 25, v254
	v_add_f64 v[4:5], v[18:19], -v[182:183]
	buffer_store_dword v3, off, s[0:3], 0 offset:436
	buffer_store_dword v2, off, s[0:3], 0 offset:432
	;; [unrolled: 1-line block ×4, first 2 shown]
	s_and_saveexec_b64 s[4:5], vcc
	s_cbranch_execz .LBB48_257
; %bb.256:
	v_accvgpr_read_b32 v0, a121
	buffer_load_dword v2, v0, s[0:3], 0 offen
	buffer_load_dword v3, v0, s[0:3], 0 offen offset:4
	buffer_load_dword v4, v0, s[0:3], 0 offen offset:8
	buffer_load_dword v5, v0, s[0:3], 0 offen offset:12
	v_mov_b32_e32 v0, 0
	v_accvgpr_read_b32 v1, a147
	buffer_store_dword v0, off, s[0:3], 0 offset:416
	buffer_store_dword v0, off, s[0:3], 0 offset:420
	;; [unrolled: 1-line block ×4, first 2 shown]
	s_waitcnt vmcnt(4)
	ds_write_b128 v1, v[2:5]
.LBB48_257:
	s_or_b64 exec, exec, s[4:5]
	s_waitcnt lgkmcnt(0)
	; wave barrier
	s_waitcnt lgkmcnt(0)
	buffer_load_dword v9, off, s[0:3], 0 offset:444
	buffer_load_dword v6, off, s[0:3], 0 offset:456
	;; [unrolled: 1-line block ×64, first 2 shown]
	v_mov_b32_e32 v1, 0
	ds_read_b128 v[74:77], v1 offset:1200
	ds_read_b128 v[78:81], v1 offset:1216
	buffer_load_dword v67, off, s[0:3], 0 offset:700
	buffer_load_dword v66, off, s[0:3], 0 offset:696
	;; [unrolled: 1-line block ×8, first 2 shown]
	ds_read_b128 v[82:85], v1 offset:1232
	ds_read_b128 v[86:89], v1 offset:1248
	buffer_load_dword v119, off, s[0:3], 0 offset:732
	buffer_load_dword v118, off, s[0:3], 0 offset:728
	;; [unrolled: 1-line block ×24, first 2 shown]
	ds_read_b128 v[164:167], v1 offset:1552
	v_cmp_lt_u32_e32 vcc, 24, v254
	s_waitcnt vmcnt(62) lgkmcnt(1)
	v_mul_f64 v[96:97], v[86:87], v[22:23]
	v_fmac_f64_e32 v[96:97], v[88:89], v[24:25]
	v_mul_f64 v[92:93], v[78:79], v[6:7]
	v_mul_f64 v[90:91], v[74:75], v[8:9]
	;; [unrolled: 1-line block ×3, first 2 shown]
	v_fmac_f64_e32 v[90:91], v[76:77], v[10:11]
	v_add_f64 v[90:91], v[90:91], 0
	v_fma_f64 v[8:9], v[74:75], v[10:11], -v[8:9]
	v_mul_f64 v[6:7], v[80:81], v[6:7]
	v_add_f64 v[8:9], v[8:9], 0
	v_fmac_f64_e32 v[92:93], v[80:81], v[14:15]
	v_add_f64 v[90:91], v[90:91], v[92:93]
	v_mul_f64 v[92:93], v[82:83], v[16:17]
	v_fmac_f64_e32 v[92:93], v[84:85], v[12:13]
	v_add_f64 v[94:95], v[90:91], v[92:93]
	ds_read_b128 v[90:93], v1 offset:1264
	v_add_f64 v[98:99], v[94:95], v[96:97]
	ds_read_b128 v[94:97], v1 offset:1280
	v_fma_f64 v[6:7], v[78:79], v[14:15], -v[6:7]
	v_add_f64 v[6:7], v[8:9], v[6:7]
	s_waitcnt lgkmcnt(1)
	v_mul_f64 v[100:101], v[90:91], v[18:19]
	v_fmac_f64_e32 v[100:101], v[92:93], v[20:21]
	v_add_f64 v[102:103], v[98:99], v[100:101]
	ds_read_b128 v[98:101], v1 offset:1296
	s_waitcnt lgkmcnt(1)
	v_mul_f64 v[104:105], v[94:95], v[30:31]
	v_fmac_f64_e32 v[104:105], v[96:97], v[32:33]
	v_add_f64 v[106:107], v[102:103], v[104:105]
	ds_read_b128 v[102:105], v1 offset:1312
	;; [unrolled: 5-line block ×3, first 2 shown]
	s_waitcnt vmcnt(58) lgkmcnt(1)
	v_mul_f64 v[112:113], v[102:103], v[38:39]
	s_waitcnt vmcnt(56)
	v_fmac_f64_e32 v[112:113], v[104:105], v[40:41]
	v_add_f64 v[114:115], v[110:111], v[112:113]
	ds_read_b128 v[110:113], v1 offset:1344
	s_waitcnt lgkmcnt(1)
	v_mul_f64 v[116:117], v[106:107], v[34:35]
	v_fmac_f64_e32 v[116:117], v[108:109], v[36:37]
	v_add_f64 v[120:121], v[114:115], v[116:117]
	ds_read_b128 v[114:117], v1 offset:1360
	s_waitcnt vmcnt(50) lgkmcnt(1)
	v_mul_f64 v[122:123], v[110:111], v[46:47]
	s_waitcnt vmcnt(48)
	v_fmac_f64_e32 v[122:123], v[112:113], v[48:49]
	v_add_f64 v[124:125], v[120:121], v[122:123]
	ds_read_b128 v[120:123], v1 offset:1376
	v_mul_f64 v[8:9], v[84:85], v[16:17]
	s_waitcnt lgkmcnt(1)
	v_mul_f64 v[126:127], v[114:115], v[42:43]
	v_fma_f64 v[8:9], v[82:83], v[12:13], -v[8:9]
	v_fmac_f64_e32 v[126:127], v[116:117], v[44:45]
	v_add_f64 v[6:7], v[6:7], v[8:9]
	v_mul_f64 v[8:9], v[88:89], v[22:23]
	v_add_f64 v[128:129], v[124:125], v[126:127]
	ds_read_b128 v[124:127], v1 offset:1392
	s_waitcnt vmcnt(42) lgkmcnt(1)
	v_mul_f64 v[130:131], v[120:121], v[54:55]
	v_fma_f64 v[8:9], v[86:87], v[24:25], -v[8:9]
	s_waitcnt vmcnt(40)
	v_fmac_f64_e32 v[130:131], v[122:123], v[56:57]
	v_add_f64 v[6:7], v[6:7], v[8:9]
	v_mul_f64 v[8:9], v[92:93], v[18:19]
	v_add_f64 v[132:133], v[128:129], v[130:131]
	ds_read_b128 v[128:131], v1 offset:1408
	v_fma_f64 v[8:9], v[90:91], v[20:21], -v[8:9]
	v_add_f64 v[6:7], v[6:7], v[8:9]
	v_mul_f64 v[8:9], v[96:97], v[30:31]
	v_fma_f64 v[8:9], v[94:95], v[32:33], -v[8:9]
	s_waitcnt lgkmcnt(1)
	v_mul_f64 v[134:135], v[124:125], v[50:51]
	v_add_f64 v[6:7], v[6:7], v[8:9]
	v_mul_f64 v[8:9], v[100:101], v[26:27]
	v_fmac_f64_e32 v[134:135], v[126:127], v[52:53]
	v_fma_f64 v[8:9], v[98:99], v[28:29], -v[8:9]
	v_add_f64 v[136:137], v[132:133], v[134:135]
	ds_read_b128 v[132:135], v1 offset:1424
	s_waitcnt vmcnt(34) lgkmcnt(1)
	v_mul_f64 v[138:139], v[128:129], v[62:63]
	v_add_f64 v[6:7], v[6:7], v[8:9]
	v_mul_f64 v[8:9], v[104:105], v[38:39]
	s_waitcnt vmcnt(32)
	v_fmac_f64_e32 v[138:139], v[130:131], v[64:65]
	v_fma_f64 v[8:9], v[102:103], v[40:41], -v[8:9]
	v_add_f64 v[140:141], v[136:137], v[138:139]
	ds_read_b128 v[136:139], v1 offset:1440
	v_add_f64 v[6:7], v[6:7], v[8:9]
	v_mul_f64 v[8:9], v[108:109], v[34:35]
	v_fma_f64 v[8:9], v[106:107], v[36:37], -v[8:9]
	v_add_f64 v[6:7], v[6:7], v[8:9]
	v_mul_f64 v[8:9], v[112:113], v[46:47]
	s_waitcnt lgkmcnt(1)
	v_mul_f64 v[142:143], v[132:133], v[58:59]
	v_fma_f64 v[8:9], v[110:111], v[48:49], -v[8:9]
	v_fmac_f64_e32 v[142:143], v[134:135], v[60:61]
	v_add_f64 v[6:7], v[6:7], v[8:9]
	v_mul_f64 v[8:9], v[116:117], v[42:43]
	v_add_f64 v[144:145], v[140:141], v[142:143]
	ds_read_b128 v[140:143], v1 offset:1456
	s_waitcnt vmcnt(26) lgkmcnt(1)
	v_mul_f64 v[146:147], v[136:137], v[70:71]
	v_fma_f64 v[8:9], v[114:115], v[44:45], -v[8:9]
	s_waitcnt vmcnt(24)
	v_fmac_f64_e32 v[146:147], v[138:139], v[72:73]
	v_add_f64 v[6:7], v[6:7], v[8:9]
	v_mul_f64 v[8:9], v[122:123], v[54:55]
	v_add_f64 v[148:149], v[144:145], v[146:147]
	ds_read_b128 v[144:147], v1 offset:1472
	v_fma_f64 v[8:9], v[120:121], v[56:57], -v[8:9]
	v_add_f64 v[6:7], v[6:7], v[8:9]
	v_mul_f64 v[8:9], v[126:127], v[50:51]
	v_fma_f64 v[8:9], v[124:125], v[52:53], -v[8:9]
	s_waitcnt lgkmcnt(1)
	v_mul_f64 v[150:151], v[140:141], v[66:67]
	v_add_f64 v[6:7], v[6:7], v[8:9]
	v_mul_f64 v[8:9], v[130:131], v[62:63]
	v_fmac_f64_e32 v[150:151], v[142:143], v[68:69]
	v_fma_f64 v[8:9], v[128:129], v[64:65], -v[8:9]
	v_add_f64 v[152:153], v[148:149], v[150:151]
	ds_read_b128 v[148:151], v1 offset:1488
	s_waitcnt vmcnt(18) lgkmcnt(1)
	v_mul_f64 v[154:155], v[144:145], v[170:171]
	v_add_f64 v[6:7], v[6:7], v[8:9]
	v_mul_f64 v[8:9], v[134:135], v[58:59]
	s_waitcnt vmcnt(16)
	v_fmac_f64_e32 v[154:155], v[146:147], v[172:173]
	v_fma_f64 v[8:9], v[132:133], v[60:61], -v[8:9]
	v_add_f64 v[156:157], v[152:153], v[154:155]
	ds_read_b128 v[152:155], v1 offset:1504
	v_add_f64 v[6:7], v[6:7], v[8:9]
	v_mul_f64 v[8:9], v[138:139], v[70:71]
	v_fma_f64 v[8:9], v[136:137], v[72:73], -v[8:9]
	v_add_f64 v[6:7], v[6:7], v[8:9]
	v_mul_f64 v[8:9], v[142:143], v[66:67]
	s_waitcnt lgkmcnt(1)
	v_mul_f64 v[158:159], v[148:149], v[118:119]
	v_fma_f64 v[8:9], v[140:141], v[68:69], -v[8:9]
	v_fmac_f64_e32 v[158:159], v[150:151], v[168:169]
	v_add_f64 v[6:7], v[6:7], v[8:9]
	v_mul_f64 v[8:9], v[146:147], v[170:171]
	v_add_f64 v[160:161], v[156:157], v[158:159]
	ds_read_b128 v[156:159], v1 offset:1520
	s_waitcnt vmcnt(10) lgkmcnt(1)
	v_mul_f64 v[162:163], v[152:153], v[178:179]
	v_fma_f64 v[8:9], v[144:145], v[172:173], -v[8:9]
	s_waitcnt vmcnt(8)
	v_fmac_f64_e32 v[162:163], v[154:155], v[180:181]
	v_add_f64 v[6:7], v[6:7], v[8:9]
	v_mul_f64 v[8:9], v[150:151], v[118:119]
	v_add_f64 v[190:191], v[160:161], v[162:163]
	ds_read_b128 v[160:163], v1 offset:1536
	v_fma_f64 v[8:9], v[148:149], v[168:169], -v[8:9]
	v_add_f64 v[6:7], v[6:7], v[8:9]
	v_mul_f64 v[8:9], v[154:155], v[178:179]
	v_fma_f64 v[8:9], v[152:153], v[180:181], -v[8:9]
	v_add_f64 v[6:7], v[6:7], v[8:9]
	s_waitcnt lgkmcnt(1)
	v_mul_f64 v[8:9], v[158:159], v[174:175]
	v_mul_f64 v[192:193], v[156:157], v[174:175]
	v_fma_f64 v[8:9], v[156:157], v[176:177], -v[8:9]
	v_fmac_f64_e32 v[192:193], v[158:159], v[176:177]
	v_add_f64 v[6:7], v[6:7], v[8:9]
	s_waitcnt vmcnt(2) lgkmcnt(0)
	v_mul_f64 v[8:9], v[162:163], v[186:187]
	v_add_f64 v[190:191], v[190:191], v[192:193]
	v_mul_f64 v[192:193], v[160:161], v[186:187]
	s_waitcnt vmcnt(0)
	v_fma_f64 v[8:9], v[160:161], v[188:189], -v[8:9]
	v_fmac_f64_e32 v[192:193], v[162:163], v[188:189]
	v_add_f64 v[6:7], v[6:7], v[8:9]
	v_mul_f64 v[8:9], v[166:167], v[182:183]
	v_add_f64 v[190:191], v[190:191], v[192:193]
	v_mul_f64 v[192:193], v[164:165], v[182:183]
	v_fma_f64 v[8:9], v[164:165], v[184:185], -v[8:9]
	v_fmac_f64_e32 v[192:193], v[166:167], v[184:185]
	v_add_f64 v[6:7], v[6:7], v[8:9]
	v_add_f64 v[190:191], v[190:191], v[192:193]
	v_add_f64 v[4:5], v[4:5], -v[6:7]
	v_add_f64 v[2:3], v[2:3], -v[190:191]
	buffer_store_dword v5, off, s[0:3], 0 offset:420
	buffer_store_dword v4, off, s[0:3], 0 offset:416
	;; [unrolled: 1-line block ×4, first 2 shown]
	s_and_saveexec_b64 s[4:5], vcc
	s_cbranch_execz .LBB48_259
; %bb.258:
	v_accvgpr_read_b32 v0, a122
	buffer_load_dword v2, v0, s[0:3], 0 offen
	buffer_load_dword v3, v0, s[0:3], 0 offen offset:4
	buffer_load_dword v4, v0, s[0:3], 0 offen offset:8
	;; [unrolled: 1-line block ×3, first 2 shown]
	v_accvgpr_read_b32 v0, a147
	buffer_store_dword v1, off, s[0:3], 0 offset:400
	buffer_store_dword v1, off, s[0:3], 0 offset:404
	;; [unrolled: 1-line block ×4, first 2 shown]
	s_waitcnt vmcnt(4)
	ds_write_b128 v0, v[2:5]
.LBB48_259:
	s_or_b64 exec, exec, s[4:5]
	s_waitcnt lgkmcnt(0)
	; wave barrier
	s_waitcnt lgkmcnt(0)
	buffer_load_dword v22, off, s[0:3], 0 offset:416
	buffer_load_dword v23, off, s[0:3], 0 offset:420
	;; [unrolled: 1-line block ×16, first 2 shown]
	ds_read_b128 v[2:5], v1 offset:1184
	ds_read_b128 v[6:9], v1 offset:1200
	;; [unrolled: 1-line block ×4, first 2 shown]
	buffer_load_dword v35, off, s[0:3], 0 offset:492
	buffer_load_dword v34, off, s[0:3], 0 offset:488
	;; [unrolled: 1-line block ×48, first 2 shown]
	v_cmp_lt_u32_e32 vcc, 23, v254
	s_waitcnt vmcnt(42) lgkmcnt(0)
	v_mul_f64 v[104:105], v[14:15], v[38:39]
	s_waitcnt vmcnt(40)
	v_fmac_f64_e32 v[104:105], v[16:17], v[40:41]
	v_mul_f64 v[82:83], v[2:3], v[24:25]
	v_fmac_f64_e32 v[82:83], v[4:5], v[22:23]
	v_add_f64 v[82:83], v[82:83], 0
	v_mul_f64 v[4:5], v[4:5], v[24:25]
	v_mul_f64 v[84:85], v[6:7], v[32:33]
	v_fma_f64 v[2:3], v[2:3], v[22:23], -v[4:5]
	v_mul_f64 v[98:99], v[10:11], v[26:27]
	v_fmac_f64_e32 v[98:99], v[12:13], v[30:31]
	v_fmac_f64_e32 v[84:85], v[8:9], v[28:29]
	v_add_f64 v[100:101], v[82:83], v[84:85]
	buffer_load_dword v83, off, s[0:3], 0 offset:684
	buffer_load_dword v82, off, s[0:3], 0 offset:680
	buffer_load_dword v85, off, s[0:3], 0 offset:676
	buffer_load_dword v84, off, s[0:3], 0 offset:672
	buffer_load_dword v87, off, s[0:3], 0 offset:668
	buffer_load_dword v86, off, s[0:3], 0 offset:664
	buffer_load_dword v89, off, s[0:3], 0 offset:660
	buffer_load_dword v88, off, s[0:3], 0 offset:656
	buffer_load_dword v91, off, s[0:3], 0 offset:716
	buffer_load_dword v90, off, s[0:3], 0 offset:712
	buffer_load_dword v93, off, s[0:3], 0 offset:708
	buffer_load_dword v92, off, s[0:3], 0 offset:704
	buffer_load_dword v95, off, s[0:3], 0 offset:700
	buffer_load_dword v94, off, s[0:3], 0 offset:696
	buffer_load_dword v97, off, s[0:3], 0 offset:692
	buffer_load_dword v96, off, s[0:3], 0 offset:688
	buffer_load_dword v119, off, s[0:3], 0 offset:748
	buffer_load_dword v118, off, s[0:3], 0 offset:744
	buffer_load_dword v181, off, s[0:3], 0 offset:740
	buffer_load_dword v180, off, s[0:3], 0 offset:736
	buffer_load_dword v183, off, s[0:3], 0 offset:732
	buffer_load_dword v182, off, s[0:3], 0 offset:728
	buffer_load_dword v185, off, s[0:3], 0 offset:724
	buffer_load_dword v184, off, s[0:3], 0 offset:720
	buffer_load_dword v187, off, s[0:3], 0 offset:780
	buffer_load_dword v186, off, s[0:3], 0 offset:776
	buffer_load_dword v189, off, s[0:3], 0 offset:772
	buffer_load_dword v188, off, s[0:3], 0 offset:768
	buffer_load_dword v191, off, s[0:3], 0 offset:764
	buffer_load_dword v190, off, s[0:3], 0 offset:760
	buffer_load_dword v193, off, s[0:3], 0 offset:756
	buffer_load_dword v192, off, s[0:3], 0 offset:752
	v_add_f64 v[102:103], v[100:101], v[98:99]
	ds_read_b128 v[98:101], v1 offset:1248
	buffer_load_dword v195, off, s[0:3], 0 offset:796
	buffer_load_dword v194, off, s[0:3], 0 offset:792
	;; [unrolled: 1-line block ×4, first 2 shown]
	v_add_f64 v[106:107], v[102:103], v[104:105]
	ds_read_b128 v[102:105], v1 offset:1264
	v_mul_f64 v[4:5], v[8:9], v[32:33]
	s_waitcnt lgkmcnt(1)
	v_mul_f64 v[108:109], v[98:99], v[34:35]
	v_fmac_f64_e32 v[108:109], v[100:101], v[36:37]
	v_add_f64 v[110:111], v[106:107], v[108:109]
	ds_read_b128 v[106:109], v1 offset:1280
	s_waitcnt vmcnt(62) lgkmcnt(1)
	v_mul_f64 v[112:113], v[102:103], v[46:47]
	v_fmac_f64_e32 v[112:113], v[104:105], v[48:49]
	v_add_f64 v[114:115], v[110:111], v[112:113]
	ds_read_b128 v[110:113], v1 offset:1296
	s_waitcnt lgkmcnt(1)
	v_mul_f64 v[116:117], v[106:107], v[42:43]
	v_fmac_f64_e32 v[116:117], v[108:109], v[44:45]
	v_add_f64 v[120:121], v[114:115], v[116:117]
	ds_read_b128 v[114:117], v1 offset:1312
	s_waitcnt lgkmcnt(1)
	v_mul_f64 v[122:123], v[110:111], v[54:55]
	s_waitcnt vmcnt(60)
	v_fmac_f64_e32 v[122:123], v[112:113], v[56:57]
	v_add_f64 v[124:125], v[120:121], v[122:123]
	ds_read_b128 v[120:123], v1 offset:1328
	s_waitcnt lgkmcnt(1)
	v_mul_f64 v[126:127], v[114:115], v[50:51]
	v_fmac_f64_e32 v[126:127], v[116:117], v[52:53]
	v_add_f64 v[128:129], v[124:125], v[126:127]
	ds_read_b128 v[124:127], v1 offset:1344
	s_waitcnt vmcnt(54) lgkmcnt(1)
	v_mul_f64 v[130:131], v[120:121], v[62:63]
	s_waitcnt vmcnt(52)
	v_fmac_f64_e32 v[130:131], v[122:123], v[64:65]
	v_add_f64 v[132:133], v[128:129], v[130:131]
	ds_read_b128 v[128:131], v1 offset:1360
	s_waitcnt lgkmcnt(1)
	v_mul_f64 v[134:135], v[124:125], v[58:59]
	v_fmac_f64_e32 v[134:135], v[126:127], v[60:61]
	v_add_f64 v[2:3], v[2:3], 0
	v_fma_f64 v[4:5], v[6:7], v[28:29], -v[4:5]
	v_add_f64 v[136:137], v[132:133], v[134:135]
	ds_read_b128 v[132:135], v1 offset:1376
	v_add_f64 v[2:3], v[2:3], v[4:5]
	v_mul_f64 v[4:5], v[12:13], v[26:27]
	v_fma_f64 v[4:5], v[10:11], v[30:31], -v[4:5]
	v_add_f64 v[2:3], v[2:3], v[4:5]
	v_mul_f64 v[4:5], v[16:17], v[38:39]
	s_waitcnt vmcnt(46) lgkmcnt(1)
	v_mul_f64 v[138:139], v[128:129], v[70:71]
	v_fma_f64 v[4:5], v[14:15], v[40:41], -v[4:5]
	s_waitcnt vmcnt(44)
	v_fmac_f64_e32 v[138:139], v[130:131], v[72:73]
	v_add_f64 v[2:3], v[2:3], v[4:5]
	v_mul_f64 v[4:5], v[100:101], v[34:35]
	v_add_f64 v[140:141], v[136:137], v[138:139]
	ds_read_b128 v[136:139], v1 offset:1392
	s_waitcnt lgkmcnt(1)
	v_mul_f64 v[142:143], v[132:133], v[66:67]
	v_fma_f64 v[4:5], v[98:99], v[36:37], -v[4:5]
	v_fmac_f64_e32 v[142:143], v[134:135], v[68:69]
	v_add_f64 v[2:3], v[2:3], v[4:5]
	v_mul_f64 v[4:5], v[104:105], v[46:47]
	v_add_f64 v[144:145], v[140:141], v[142:143]
	ds_read_b128 v[140:143], v1 offset:1408
	v_fma_f64 v[4:5], v[102:103], v[48:49], -v[4:5]
	v_add_f64 v[2:3], v[2:3], v[4:5]
	v_mul_f64 v[4:5], v[108:109], v[42:43]
	v_fma_f64 v[4:5], v[106:107], v[44:45], -v[4:5]
	s_waitcnt vmcnt(38) lgkmcnt(1)
	v_mul_f64 v[146:147], v[136:137], v[78:79]
	v_add_f64 v[2:3], v[2:3], v[4:5]
	v_mul_f64 v[4:5], v[112:113], v[54:55]
	s_waitcnt vmcnt(36)
	v_fmac_f64_e32 v[146:147], v[138:139], v[80:81]
	v_fma_f64 v[4:5], v[110:111], v[56:57], -v[4:5]
	v_add_f64 v[148:149], v[144:145], v[146:147]
	ds_read_b128 v[144:147], v1 offset:1424
	s_waitcnt lgkmcnt(1)
	v_mul_f64 v[150:151], v[140:141], v[74:75]
	v_add_f64 v[2:3], v[2:3], v[4:5]
	v_mul_f64 v[4:5], v[116:117], v[50:51]
	v_fmac_f64_e32 v[150:151], v[142:143], v[76:77]
	v_fma_f64 v[4:5], v[114:115], v[52:53], -v[4:5]
	v_add_f64 v[152:153], v[148:149], v[150:151]
	ds_read_b128 v[148:151], v1 offset:1440
	v_add_f64 v[2:3], v[2:3], v[4:5]
	v_mul_f64 v[4:5], v[122:123], v[62:63]
	v_fma_f64 v[4:5], v[120:121], v[64:65], -v[4:5]
	v_add_f64 v[2:3], v[2:3], v[4:5]
	v_mul_f64 v[4:5], v[126:127], v[58:59]
	s_waitcnt vmcnt(30) lgkmcnt(1)
	v_mul_f64 v[154:155], v[144:145], v[86:87]
	v_fma_f64 v[4:5], v[124:125], v[60:61], -v[4:5]
	s_waitcnt vmcnt(28)
	v_fmac_f64_e32 v[154:155], v[146:147], v[88:89]
	v_add_f64 v[2:3], v[2:3], v[4:5]
	v_mul_f64 v[4:5], v[130:131], v[70:71]
	v_add_f64 v[156:157], v[152:153], v[154:155]
	ds_read_b128 v[152:155], v1 offset:1456
	s_waitcnt lgkmcnt(1)
	v_mul_f64 v[158:159], v[148:149], v[82:83]
	v_fma_f64 v[4:5], v[128:129], v[72:73], -v[4:5]
	v_fmac_f64_e32 v[158:159], v[150:151], v[84:85]
	v_add_f64 v[2:3], v[2:3], v[4:5]
	v_mul_f64 v[4:5], v[134:135], v[66:67]
	v_add_f64 v[160:161], v[156:157], v[158:159]
	ds_read_b128 v[156:159], v1 offset:1472
	v_fma_f64 v[4:5], v[132:133], v[68:69], -v[4:5]
	v_add_f64 v[2:3], v[2:3], v[4:5]
	v_mul_f64 v[4:5], v[138:139], v[78:79]
	v_fma_f64 v[4:5], v[136:137], v[80:81], -v[4:5]
	s_waitcnt vmcnt(22) lgkmcnt(1)
	v_mul_f64 v[162:163], v[152:153], v[94:95]
	v_add_f64 v[2:3], v[2:3], v[4:5]
	v_mul_f64 v[4:5], v[142:143], v[74:75]
	s_waitcnt vmcnt(20)
	v_fmac_f64_e32 v[162:163], v[154:155], v[96:97]
	v_fma_f64 v[4:5], v[140:141], v[76:77], -v[4:5]
	v_add_f64 v[164:165], v[160:161], v[162:163]
	ds_read_b128 v[160:163], v1 offset:1488
	s_waitcnt lgkmcnt(1)
	v_mul_f64 v[166:167], v[156:157], v[90:91]
	v_add_f64 v[2:3], v[2:3], v[4:5]
	v_mul_f64 v[4:5], v[146:147], v[86:87]
	v_fmac_f64_e32 v[166:167], v[158:159], v[92:93]
	v_fma_f64 v[4:5], v[144:145], v[88:89], -v[4:5]
	v_add_f64 v[168:169], v[164:165], v[166:167]
	ds_read_b128 v[164:167], v1 offset:1504
	v_add_f64 v[2:3], v[2:3], v[4:5]
	v_mul_f64 v[4:5], v[150:151], v[82:83]
	v_fma_f64 v[4:5], v[148:149], v[84:85], -v[4:5]
	v_add_f64 v[2:3], v[2:3], v[4:5]
	v_mul_f64 v[4:5], v[154:155], v[94:95]
	s_waitcnt vmcnt(14) lgkmcnt(1)
	v_mul_f64 v[170:171], v[160:161], v[182:183]
	v_fma_f64 v[4:5], v[152:153], v[96:97], -v[4:5]
	s_waitcnt vmcnt(12)
	v_fmac_f64_e32 v[170:171], v[162:163], v[184:185]
	v_add_f64 v[2:3], v[2:3], v[4:5]
	v_mul_f64 v[4:5], v[158:159], v[90:91]
	v_add_f64 v[172:173], v[168:169], v[170:171]
	ds_read_b128 v[168:171], v1 offset:1520
	s_waitcnt lgkmcnt(1)
	v_mul_f64 v[174:175], v[164:165], v[118:119]
	v_fma_f64 v[4:5], v[156:157], v[92:93], -v[4:5]
	v_fmac_f64_e32 v[174:175], v[166:167], v[180:181]
	v_add_f64 v[2:3], v[2:3], v[4:5]
	v_mul_f64 v[4:5], v[162:163], v[182:183]
	v_add_f64 v[198:199], v[172:173], v[174:175]
	ds_read_b128 v[172:175], v1 offset:1536
	v_fma_f64 v[4:5], v[160:161], v[184:185], -v[4:5]
	v_add_f64 v[2:3], v[2:3], v[4:5]
	v_mul_f64 v[4:5], v[166:167], v[118:119]
	ds_read_b128 v[176:179], v1 offset:1552
	v_fma_f64 v[4:5], v[164:165], v[180:181], -v[4:5]
	v_add_f64 v[2:3], v[2:3], v[4:5]
	s_waitcnt vmcnt(6) lgkmcnt(2)
	v_mul_f64 v[4:5], v[170:171], v[190:191]
	v_mul_f64 v[200:201], v[168:169], v[190:191]
	s_waitcnt vmcnt(4)
	v_fma_f64 v[4:5], v[168:169], v[192:193], -v[4:5]
	v_fmac_f64_e32 v[200:201], v[170:171], v[192:193]
	v_add_f64 v[2:3], v[2:3], v[4:5]
	s_waitcnt lgkmcnt(1)
	v_mul_f64 v[4:5], v[174:175], v[186:187]
	v_add_f64 v[198:199], v[198:199], v[200:201]
	v_mul_f64 v[200:201], v[172:173], v[186:187]
	v_fma_f64 v[4:5], v[172:173], v[188:189], -v[4:5]
	v_fmac_f64_e32 v[200:201], v[174:175], v[188:189]
	v_add_f64 v[2:3], v[2:3], v[4:5]
	s_waitcnt vmcnt(2) lgkmcnt(0)
	v_mul_f64 v[4:5], v[178:179], v[194:195]
	v_add_f64 v[198:199], v[198:199], v[200:201]
	v_mul_f64 v[200:201], v[176:177], v[194:195]
	s_waitcnt vmcnt(0)
	v_fma_f64 v[4:5], v[176:177], v[196:197], -v[4:5]
	v_fmac_f64_e32 v[200:201], v[178:179], v[196:197]
	v_add_f64 v[2:3], v[2:3], v[4:5]
	v_add_f64 v[198:199], v[198:199], v[200:201]
	v_add_f64 v[2:3], v[20:21], -v[2:3]
	v_add_f64 v[4:5], v[18:19], -v[198:199]
	buffer_store_dword v3, off, s[0:3], 0 offset:404
	buffer_store_dword v2, off, s[0:3], 0 offset:400
	buffer_store_dword v5, off, s[0:3], 0 offset:412
	buffer_store_dword v4, off, s[0:3], 0 offset:408
	s_and_saveexec_b64 s[4:5], vcc
	s_cbranch_execz .LBB48_261
; %bb.260:
	v_accvgpr_read_b32 v0, a123
	buffer_load_dword v2, v0, s[0:3], 0 offen
	buffer_load_dword v3, v0, s[0:3], 0 offen offset:4
	buffer_load_dword v4, v0, s[0:3], 0 offen offset:8
	;; [unrolled: 1-line block ×3, first 2 shown]
	v_mov_b32_e32 v0, 0
	v_accvgpr_read_b32 v1, a147
	buffer_store_dword v0, off, s[0:3], 0 offset:384
	buffer_store_dword v0, off, s[0:3], 0 offset:388
	;; [unrolled: 1-line block ×4, first 2 shown]
	s_waitcnt vmcnt(4)
	ds_write_b128 v1, v[2:5]
.LBB48_261:
	s_or_b64 exec, exec, s[4:5]
	s_waitcnt lgkmcnt(0)
	; wave barrier
	s_waitcnt lgkmcnt(0)
	buffer_load_dword v22, off, s[0:3], 0 offset:400
	buffer_load_dword v23, off, s[0:3], 0 offset:404
	buffer_load_dword v26, off, s[0:3], 0 offset:408
	buffer_load_dword v27, off, s[0:3], 0 offset:412
	buffer_load_dword v24, off, s[0:3], 0 offset:416
	buffer_load_dword v25, off, s[0:3], 0 offset:420
	buffer_load_dword v28, off, s[0:3], 0 offset:424
	buffer_load_dword v29, off, s[0:3], 0 offset:428
	buffer_load_dword v30, off, s[0:3], 0 offset:440
	buffer_load_dword v31, off, s[0:3], 0 offset:444
	buffer_load_dword v37, off, s[0:3], 0 offset:476
	buffer_load_dword v39, off, s[0:3], 0 offset:468
	buffer_load_dword v41, off, s[0:3], 0 offset:460
	buffer_load_dword v40, off, s[0:3], 0 offset:456
	buffer_load_dword v44, off, s[0:3], 0 offset:432
	buffer_load_dword v45, off, s[0:3], 0 offset:436
	buffer_load_dword v43, off, s[0:3], 0 offset:452
	buffer_load_dword v42, off, s[0:3], 0 offset:448
	buffer_load_dword v36, off, s[0:3], 0 offset:472
	buffer_load_dword v38, off, s[0:3], 0 offset:464
	buffer_load_dword v34, off, s[0:3], 0 offset:384
	buffer_load_dword v35, off, s[0:3], 0 offset:388
	buffer_load_dword v32, off, s[0:3], 0 offset:392
	buffer_load_dword v33, off, s[0:3], 0 offset:396
	buffer_load_dword v47, off, s[0:3], 0 offset:508
	buffer_load_dword v46, off, s[0:3], 0 offset:504
	buffer_load_dword v49, off, s[0:3], 0 offset:500
	buffer_load_dword v48, off, s[0:3], 0 offset:496
	buffer_load_dword v51, off, s[0:3], 0 offset:492
	buffer_load_dword v50, off, s[0:3], 0 offset:488
	buffer_load_dword v53, off, s[0:3], 0 offset:484
	buffer_load_dword v52, off, s[0:3], 0 offset:480
	buffer_load_dword v55, off, s[0:3], 0 offset:540
	buffer_load_dword v54, off, s[0:3], 0 offset:536
	buffer_load_dword v57, off, s[0:3], 0 offset:532
	buffer_load_dword v56, off, s[0:3], 0 offset:528
	buffer_load_dword v59, off, s[0:3], 0 offset:524
	buffer_load_dword v58, off, s[0:3], 0 offset:520
	buffer_load_dword v61, off, s[0:3], 0 offset:516
	buffer_load_dword v60, off, s[0:3], 0 offset:512
	buffer_load_dword v63, off, s[0:3], 0 offset:572
	buffer_load_dword v62, off, s[0:3], 0 offset:568
	buffer_load_dword v65, off, s[0:3], 0 offset:564
	buffer_load_dword v64, off, s[0:3], 0 offset:560
	buffer_load_dword v67, off, s[0:3], 0 offset:556
	buffer_load_dword v66, off, s[0:3], 0 offset:552
	buffer_load_dword v69, off, s[0:3], 0 offset:548
	buffer_load_dword v68, off, s[0:3], 0 offset:544
	buffer_load_dword v71, off, s[0:3], 0 offset:604
	buffer_load_dword v70, off, s[0:3], 0 offset:600
	buffer_load_dword v73, off, s[0:3], 0 offset:596
	buffer_load_dword v72, off, s[0:3], 0 offset:592
	buffer_load_dword v75, off, s[0:3], 0 offset:588
	buffer_load_dword v74, off, s[0:3], 0 offset:584
	buffer_load_dword v77, off, s[0:3], 0 offset:580
	buffer_load_dword v76, off, s[0:3], 0 offset:576
	buffer_load_dword v79, off, s[0:3], 0 offset:636
	buffer_load_dword v78, off, s[0:3], 0 offset:632
	buffer_load_dword v81, off, s[0:3], 0 offset:628
	buffer_load_dword v80, off, s[0:3], 0 offset:624
	buffer_load_dword v83, off, s[0:3], 0 offset:620
	buffer_load_dword v82, off, s[0:3], 0 offset:616
	buffer_load_dword v85, off, s[0:3], 0 offset:612
	buffer_load_dword v84, off, s[0:3], 0 offset:608
	v_mov_b32_e32 v1, 0
	ds_read_b128 v[18:21], v1 offset:1168
	ds_read_b128 v[14:17], v1 offset:1184
	;; [unrolled: 1-line block ×5, first 2 shown]
	v_cmp_lt_u32_e32 vcc, 22, v254
	s_waitcnt vmcnt(60) lgkmcnt(4)
	v_mul_f64 v[86:87], v[18:19], v[26:27]
	v_fmac_f64_e32 v[86:87], v[20:21], v[22:23]
	v_add_f64 v[86:87], v[86:87], 0
	v_mul_f64 v[20:21], v[20:21], v[26:27]
	s_waitcnt vmcnt(56) lgkmcnt(3)
	v_mul_f64 v[88:89], v[14:15], v[28:29]
	v_fmac_f64_e32 v[88:89], v[16:17], v[24:25]
	s_waitcnt vmcnt(54) lgkmcnt(2)
	v_mul_f64 v[90:91], v[10:11], v[30:31]
	v_add_f64 v[86:87], v[86:87], v[88:89]
	v_fma_f64 v[18:19], v[18:19], v[22:23], -v[20:21]
	v_mul_f64 v[16:17], v[16:17], v[28:29]
	s_waitcnt vmcnt(50) lgkmcnt(1)
	v_mul_f64 v[102:103], v[6:7], v[40:41]
	v_add_f64 v[18:19], v[18:19], 0
	s_waitcnt vmcnt(48)
	v_fmac_f64_e32 v[90:91], v[12:13], v[44:45]
	v_add_f64 v[104:105], v[86:87], v[90:91]
	buffer_load_dword v87, off, s[0:3], 0 offset:668
	buffer_load_dword v86, off, s[0:3], 0 offset:664
	;; [unrolled: 1-line block ×40, first 2 shown]
	s_waitcnt vmcnt(62)
	v_fmac_f64_e32 v[102:103], v[8:9], v[42:43]
	v_add_f64 v[106:107], v[104:105], v[102:103]
	ds_read_b128 v[102:105], v1 offset:1248
	s_waitcnt lgkmcnt(1)
	v_mul_f64 v[108:109], v[2:3], v[36:37]
	v_fmac_f64_e32 v[108:109], v[4:5], v[38:39]
	v_add_f64 v[110:111], v[106:107], v[108:109]
	ds_read_b128 v[106:109], v1 offset:1264
	s_waitcnt lgkmcnt(1)
	v_mul_f64 v[112:113], v[102:103], v[50:51]
	;; [unrolled: 5-line block ×5, first 2 shown]
	v_fmac_f64_e32 v[126:127], v[116:117], v[56:57]
	v_add_f64 v[128:129], v[124:125], v[126:127]
	ds_read_b128 v[124:127], v1 offset:1328
	s_waitcnt vmcnt(58) lgkmcnt(1)
	v_mul_f64 v[130:131], v[120:121], v[66:67]
	s_waitcnt vmcnt(56)
	v_fmac_f64_e32 v[130:131], v[122:123], v[68:69]
	v_add_f64 v[132:133], v[128:129], v[130:131]
	ds_read_b128 v[128:131], v1 offset:1344
	s_waitcnt lgkmcnt(1)
	v_mul_f64 v[134:135], v[124:125], v[62:63]
	v_fmac_f64_e32 v[134:135], v[126:127], v[64:65]
	v_add_f64 v[136:137], v[132:133], v[134:135]
	ds_read_b128 v[132:135], v1 offset:1360
	s_waitcnt vmcnt(50) lgkmcnt(1)
	v_mul_f64 v[138:139], v[128:129], v[74:75]
	s_waitcnt vmcnt(48)
	v_fmac_f64_e32 v[138:139], v[130:131], v[76:77]
	v_add_f64 v[140:141], v[136:137], v[138:139]
	ds_read_b128 v[136:139], v1 offset:1376
	v_fma_f64 v[14:15], v[14:15], v[24:25], -v[16:17]
	v_mul_f64 v[12:13], v[12:13], v[30:31]
	v_add_f64 v[14:15], v[18:19], v[14:15]
	v_fma_f64 v[10:11], v[10:11], v[44:45], -v[12:13]
	v_mul_f64 v[8:9], v[8:9], v[40:41]
	s_waitcnt lgkmcnt(1)
	v_mul_f64 v[142:143], v[132:133], v[70:71]
	v_add_f64 v[10:11], v[14:15], v[10:11]
	v_fma_f64 v[6:7], v[6:7], v[42:43], -v[8:9]
	v_mul_f64 v[4:5], v[4:5], v[36:37]
	v_fmac_f64_e32 v[142:143], v[134:135], v[72:73]
	v_add_f64 v[6:7], v[10:11], v[6:7]
	v_fma_f64 v[2:3], v[2:3], v[38:39], -v[4:5]
	v_mul_f64 v[4:5], v[104:105], v[50:51]
	v_add_f64 v[144:145], v[140:141], v[142:143]
	ds_read_b128 v[140:143], v1 offset:1392
	s_waitcnt vmcnt(42) lgkmcnt(1)
	v_mul_f64 v[146:147], v[136:137], v[82:83]
	v_add_f64 v[2:3], v[6:7], v[2:3]
	v_fma_f64 v[4:5], v[102:103], v[52:53], -v[4:5]
	s_waitcnt vmcnt(40)
	v_fmac_f64_e32 v[146:147], v[138:139], v[84:85]
	v_add_f64 v[2:3], v[2:3], v[4:5]
	v_mul_f64 v[4:5], v[108:109], v[46:47]
	v_add_f64 v[148:149], v[144:145], v[146:147]
	ds_read_b128 v[144:147], v1 offset:1408
	v_fma_f64 v[4:5], v[106:107], v[48:49], -v[4:5]
	v_add_f64 v[2:3], v[2:3], v[4:5]
	v_mul_f64 v[4:5], v[112:113], v[58:59]
	v_fma_f64 v[4:5], v[110:111], v[60:61], -v[4:5]
	s_waitcnt lgkmcnt(1)
	v_mul_f64 v[150:151], v[140:141], v[78:79]
	v_add_f64 v[2:3], v[2:3], v[4:5]
	v_mul_f64 v[4:5], v[116:117], v[54:55]
	v_fmac_f64_e32 v[150:151], v[142:143], v[80:81]
	v_fma_f64 v[4:5], v[114:115], v[56:57], -v[4:5]
	v_add_f64 v[152:153], v[148:149], v[150:151]
	ds_read_b128 v[148:151], v1 offset:1424
	s_waitcnt vmcnt(34) lgkmcnt(1)
	v_mul_f64 v[154:155], v[144:145], v[90:91]
	v_add_f64 v[2:3], v[2:3], v[4:5]
	v_mul_f64 v[4:5], v[122:123], v[66:67]
	s_waitcnt vmcnt(32)
	v_fmac_f64_e32 v[154:155], v[146:147], v[92:93]
	v_fma_f64 v[4:5], v[120:121], v[68:69], -v[4:5]
	v_add_f64 v[156:157], v[152:153], v[154:155]
	ds_read_b128 v[152:155], v1 offset:1440
	v_add_f64 v[2:3], v[2:3], v[4:5]
	v_mul_f64 v[4:5], v[126:127], v[62:63]
	v_fma_f64 v[4:5], v[124:125], v[64:65], -v[4:5]
	v_add_f64 v[2:3], v[2:3], v[4:5]
	v_mul_f64 v[4:5], v[130:131], v[74:75]
	s_waitcnt lgkmcnt(1)
	v_mul_f64 v[158:159], v[148:149], v[86:87]
	v_fma_f64 v[4:5], v[128:129], v[76:77], -v[4:5]
	v_fmac_f64_e32 v[158:159], v[150:151], v[88:89]
	v_add_f64 v[2:3], v[2:3], v[4:5]
	v_mul_f64 v[4:5], v[134:135], v[70:71]
	v_add_f64 v[160:161], v[156:157], v[158:159]
	ds_read_b128 v[156:159], v1 offset:1456
	s_waitcnt vmcnt(26) lgkmcnt(1)
	v_mul_f64 v[162:163], v[152:153], v[98:99]
	v_fma_f64 v[4:5], v[132:133], v[72:73], -v[4:5]
	s_waitcnt vmcnt(24)
	v_fmac_f64_e32 v[162:163], v[154:155], v[100:101]
	v_add_f64 v[2:3], v[2:3], v[4:5]
	v_mul_f64 v[4:5], v[138:139], v[82:83]
	v_add_f64 v[164:165], v[160:161], v[162:163]
	ds_read_b128 v[160:163], v1 offset:1472
	v_fma_f64 v[4:5], v[136:137], v[84:85], -v[4:5]
	v_add_f64 v[2:3], v[2:3], v[4:5]
	v_mul_f64 v[4:5], v[142:143], v[78:79]
	v_fma_f64 v[4:5], v[140:141], v[80:81], -v[4:5]
	s_waitcnt lgkmcnt(1)
	v_mul_f64 v[166:167], v[156:157], v[94:95]
	v_add_f64 v[2:3], v[2:3], v[4:5]
	v_mul_f64 v[4:5], v[146:147], v[90:91]
	v_fmac_f64_e32 v[166:167], v[158:159], v[96:97]
	v_fma_f64 v[4:5], v[144:145], v[92:93], -v[4:5]
	v_add_f64 v[168:169], v[164:165], v[166:167]
	ds_read_b128 v[164:167], v1 offset:1488
	s_waitcnt vmcnt(18) lgkmcnt(1)
	v_mul_f64 v[170:171], v[160:161], v[186:187]
	v_add_f64 v[2:3], v[2:3], v[4:5]
	v_mul_f64 v[4:5], v[150:151], v[86:87]
	s_waitcnt vmcnt(16)
	v_fmac_f64_e32 v[170:171], v[162:163], v[188:189]
	v_fma_f64 v[4:5], v[148:149], v[88:89], -v[4:5]
	v_add_f64 v[172:173], v[168:169], v[170:171]
	ds_read_b128 v[168:171], v1 offset:1504
	v_add_f64 v[2:3], v[2:3], v[4:5]
	v_mul_f64 v[4:5], v[154:155], v[98:99]
	v_fma_f64 v[4:5], v[152:153], v[100:101], -v[4:5]
	v_add_f64 v[2:3], v[2:3], v[4:5]
	v_mul_f64 v[4:5], v[158:159], v[94:95]
	s_waitcnt lgkmcnt(1)
	v_mul_f64 v[174:175], v[164:165], v[118:119]
	v_fma_f64 v[4:5], v[156:157], v[96:97], -v[4:5]
	v_fmac_f64_e32 v[174:175], v[166:167], v[184:185]
	v_add_f64 v[2:3], v[2:3], v[4:5]
	v_mul_f64 v[4:5], v[162:163], v[186:187]
	v_add_f64 v[176:177], v[172:173], v[174:175]
	ds_read_b128 v[172:175], v1 offset:1520
	s_waitcnt vmcnt(10) lgkmcnt(1)
	v_mul_f64 v[178:179], v[168:169], v[194:195]
	v_fma_f64 v[4:5], v[160:161], v[188:189], -v[4:5]
	s_waitcnt vmcnt(8)
	v_fmac_f64_e32 v[178:179], v[170:171], v[196:197]
	v_add_f64 v[2:3], v[2:3], v[4:5]
	v_mul_f64 v[4:5], v[166:167], v[118:119]
	v_add_f64 v[206:207], v[176:177], v[178:179]
	ds_read_b128 v[176:179], v1 offset:1536
	ds_read_b128 v[180:183], v1 offset:1552
	v_fma_f64 v[4:5], v[164:165], v[184:185], -v[4:5]
	v_add_f64 v[2:3], v[2:3], v[4:5]
	v_mul_f64 v[4:5], v[170:171], v[194:195]
	v_fma_f64 v[4:5], v[168:169], v[196:197], -v[4:5]
	v_add_f64 v[2:3], v[2:3], v[4:5]
	s_waitcnt lgkmcnt(2)
	v_mul_f64 v[4:5], v[174:175], v[190:191]
	v_mul_f64 v[208:209], v[172:173], v[190:191]
	v_fma_f64 v[4:5], v[172:173], v[192:193], -v[4:5]
	v_fmac_f64_e32 v[208:209], v[174:175], v[192:193]
	v_add_f64 v[2:3], v[2:3], v[4:5]
	s_waitcnt vmcnt(2) lgkmcnt(1)
	v_mul_f64 v[4:5], v[178:179], v[202:203]
	v_add_f64 v[206:207], v[206:207], v[208:209]
	v_mul_f64 v[208:209], v[176:177], v[202:203]
	s_waitcnt vmcnt(0)
	v_fma_f64 v[4:5], v[176:177], v[204:205], -v[4:5]
	v_fmac_f64_e32 v[208:209], v[178:179], v[204:205]
	v_add_f64 v[2:3], v[2:3], v[4:5]
	s_waitcnt lgkmcnt(0)
	v_mul_f64 v[4:5], v[182:183], v[198:199]
	v_add_f64 v[206:207], v[206:207], v[208:209]
	v_mul_f64 v[208:209], v[180:181], v[198:199]
	v_fma_f64 v[4:5], v[180:181], v[200:201], -v[4:5]
	v_fmac_f64_e32 v[208:209], v[182:183], v[200:201]
	v_add_f64 v[2:3], v[2:3], v[4:5]
	v_add_f64 v[206:207], v[206:207], v[208:209]
	v_add_f64 v[2:3], v[34:35], -v[2:3]
	v_add_f64 v[4:5], v[32:33], -v[206:207]
	buffer_store_dword v3, off, s[0:3], 0 offset:388
	buffer_store_dword v2, off, s[0:3], 0 offset:384
	;; [unrolled: 1-line block ×4, first 2 shown]
	s_and_saveexec_b64 s[4:5], vcc
	s_cbranch_execz .LBB48_263
; %bb.262:
	v_accvgpr_read_b32 v0, a124
	buffer_load_dword v2, v0, s[0:3], 0 offen
	buffer_load_dword v3, v0, s[0:3], 0 offen offset:4
	buffer_load_dword v4, v0, s[0:3], 0 offen offset:8
	;; [unrolled: 1-line block ×3, first 2 shown]
	v_accvgpr_read_b32 v0, a147
	buffer_store_dword v1, off, s[0:3], 0 offset:368
	buffer_store_dword v1, off, s[0:3], 0 offset:372
	;; [unrolled: 1-line block ×4, first 2 shown]
	s_waitcnt vmcnt(4)
	ds_write_b128 v0, v[2:5]
.LBB48_263:
	s_or_b64 exec, exec, s[4:5]
	s_waitcnt lgkmcnt(0)
	; wave barrier
	s_waitcnt lgkmcnt(0)
	buffer_load_dword v26, off, s[0:3], 0 offset:384
	buffer_load_dword v27, off, s[0:3], 0 offset:388
	;; [unrolled: 1-line block ×24, first 2 shown]
	ds_read_b128 v[22:25], v1 offset:1152
	ds_read_b128 v[18:21], v1 offset:1168
	;; [unrolled: 1-line block ×6, first 2 shown]
	buffer_load_dword v51, off, s[0:3], 0 offset:492
	buffer_load_dword v50, off, s[0:3], 0 offset:488
	;; [unrolled: 1-line block ×40, first 2 shown]
	v_cmp_lt_u32_e32 vcc, 21, v254
	s_waitcnt vmcnt(34) lgkmcnt(0)
	v_mul_f64 v[122:123], v[14:15], v[54:55]
	s_waitcnt vmcnt(32)
	v_fmac_f64_e32 v[122:123], v[16:17], v[56:57]
	v_mul_f64 v[90:91], v[22:23], v[28:29]
	v_fmac_f64_e32 v[90:91], v[24:25], v[26:27]
	v_mul_f64 v[92:93], v[18:19], v[30:31]
	v_add_f64 v[90:91], v[90:91], 0
	v_mul_f64 v[94:95], v[10:11], v[32:33]
	v_mul_f64 v[24:25], v[24:25], v[28:29]
	;; [unrolled: 1-line block ×3, first 2 shown]
	v_fma_f64 v[22:23], v[22:23], v[26:27], -v[24:25]
	v_add_f64 v[22:23], v[22:23], 0
	v_mul_f64 v[96:97], v[6:7], v[42:43]
	v_fmac_f64_e32 v[92:93], v[20:21], v[48:49]
	v_add_f64 v[90:91], v[90:91], v[92:93]
	v_fmac_f64_e32 v[94:95], v[12:13], v[46:47]
	v_add_f64 v[90:91], v[90:91], v[94:95]
	;; [unrolled: 2-line block ×3, first 2 shown]
	buffer_load_dword v91, off, s[0:3], 0 offset:652
	buffer_load_dword v90, off, s[0:3], 0 offset:648
	;; [unrolled: 1-line block ×40, first 2 shown]
	v_fmac_f64_e32 v[114:115], v[4:5], v[40:41]
	v_add_f64 v[120:121], v[116:117], v[114:115]
	ds_read_b128 v[114:117], v1 offset:1248
	buffer_load_dword v211, off, s[0:3], 0 offset:796
	buffer_load_dword v210, off, s[0:3], 0 offset:792
	;; [unrolled: 1-line block ×4, first 2 shown]
	v_add_f64 v[124:125], v[120:121], v[122:123]
	ds_read_b128 v[120:123], v1 offset:1264
	v_mul_f64 v[20:21], v[20:21], v[30:31]
	s_waitcnt lgkmcnt(1)
	v_mul_f64 v[126:127], v[114:115], v[50:51]
	v_fmac_f64_e32 v[126:127], v[116:117], v[52:53]
	v_add_f64 v[128:129], v[124:125], v[126:127]
	ds_read_b128 v[124:127], v1 offset:1280
	s_waitcnt vmcnt(62) lgkmcnt(1)
	v_mul_f64 v[130:131], v[120:121], v[62:63]
	v_fmac_f64_e32 v[130:131], v[122:123], v[64:65]
	v_add_f64 v[132:133], v[128:129], v[130:131]
	ds_read_b128 v[128:131], v1 offset:1296
	s_waitcnt lgkmcnt(1)
	v_mul_f64 v[134:135], v[124:125], v[58:59]
	v_fmac_f64_e32 v[134:135], v[126:127], v[60:61]
	v_add_f64 v[136:137], v[132:133], v[134:135]
	ds_read_b128 v[132:135], v1 offset:1312
	s_waitcnt lgkmcnt(1)
	v_mul_f64 v[138:139], v[128:129], v[70:71]
	s_waitcnt vmcnt(60)
	v_fmac_f64_e32 v[138:139], v[130:131], v[72:73]
	v_add_f64 v[140:141], v[136:137], v[138:139]
	ds_read_b128 v[136:139], v1 offset:1328
	s_waitcnt lgkmcnt(1)
	v_mul_f64 v[142:143], v[132:133], v[66:67]
	v_fmac_f64_e32 v[142:143], v[134:135], v[68:69]
	v_add_f64 v[144:145], v[140:141], v[142:143]
	ds_read_b128 v[140:143], v1 offset:1344
	s_waitcnt vmcnt(54) lgkmcnt(1)
	v_mul_f64 v[146:147], v[136:137], v[78:79]
	s_waitcnt vmcnt(52)
	v_fmac_f64_e32 v[146:147], v[138:139], v[80:81]
	v_add_f64 v[148:149], v[144:145], v[146:147]
	ds_read_b128 v[144:147], v1 offset:1360
	s_waitcnt lgkmcnt(1)
	v_mul_f64 v[150:151], v[140:141], v[74:75]
	v_fmac_f64_e32 v[150:151], v[142:143], v[76:77]
	v_fma_f64 v[18:19], v[18:19], v[48:49], -v[20:21]
	v_mul_f64 v[12:13], v[12:13], v[32:33]
	v_add_f64 v[152:153], v[148:149], v[150:151]
	ds_read_b128 v[148:151], v1 offset:1376
	v_add_f64 v[18:19], v[22:23], v[18:19]
	v_fma_f64 v[10:11], v[10:11], v[46:47], -v[12:13]
	v_mul_f64 v[8:9], v[8:9], v[42:43]
	v_add_f64 v[10:11], v[18:19], v[10:11]
	v_fma_f64 v[6:7], v[6:7], v[44:45], -v[8:9]
	v_mul_f64 v[4:5], v[4:5], v[38:39]
	;; [unrolled: 3-line block ×3, first 2 shown]
	s_waitcnt vmcnt(46) lgkmcnt(1)
	v_mul_f64 v[154:155], v[144:145], v[86:87]
	v_add_f64 v[2:3], v[6:7], v[2:3]
	v_fma_f64 v[4:5], v[14:15], v[56:57], -v[4:5]
	s_waitcnt vmcnt(44)
	v_fmac_f64_e32 v[154:155], v[146:147], v[88:89]
	v_add_f64 v[2:3], v[2:3], v[4:5]
	v_mul_f64 v[4:5], v[116:117], v[50:51]
	v_add_f64 v[156:157], v[152:153], v[154:155]
	ds_read_b128 v[152:155], v1 offset:1392
	s_waitcnt lgkmcnt(1)
	v_mul_f64 v[158:159], v[148:149], v[82:83]
	v_fma_f64 v[4:5], v[114:115], v[52:53], -v[4:5]
	v_fmac_f64_e32 v[158:159], v[150:151], v[84:85]
	v_add_f64 v[2:3], v[2:3], v[4:5]
	v_mul_f64 v[4:5], v[122:123], v[62:63]
	v_add_f64 v[160:161], v[156:157], v[158:159]
	ds_read_b128 v[156:159], v1 offset:1408
	v_fma_f64 v[4:5], v[120:121], v[64:65], -v[4:5]
	v_add_f64 v[2:3], v[2:3], v[4:5]
	v_mul_f64 v[4:5], v[126:127], v[58:59]
	v_fma_f64 v[4:5], v[124:125], v[60:61], -v[4:5]
	s_waitcnt vmcnt(38) lgkmcnt(1)
	v_mul_f64 v[162:163], v[152:153], v[94:95]
	v_add_f64 v[2:3], v[2:3], v[4:5]
	v_mul_f64 v[4:5], v[130:131], v[70:71]
	s_waitcnt vmcnt(36)
	v_fmac_f64_e32 v[162:163], v[154:155], v[96:97]
	v_fma_f64 v[4:5], v[128:129], v[72:73], -v[4:5]
	v_add_f64 v[164:165], v[160:161], v[162:163]
	ds_read_b128 v[160:163], v1 offset:1424
	s_waitcnt lgkmcnt(1)
	v_mul_f64 v[166:167], v[156:157], v[90:91]
	v_add_f64 v[2:3], v[2:3], v[4:5]
	v_mul_f64 v[4:5], v[134:135], v[66:67]
	v_fmac_f64_e32 v[166:167], v[158:159], v[92:93]
	v_fma_f64 v[4:5], v[132:133], v[68:69], -v[4:5]
	v_add_f64 v[168:169], v[164:165], v[166:167]
	ds_read_b128 v[164:167], v1 offset:1440
	v_add_f64 v[2:3], v[2:3], v[4:5]
	v_mul_f64 v[4:5], v[138:139], v[78:79]
	v_fma_f64 v[4:5], v[136:137], v[80:81], -v[4:5]
	v_add_f64 v[2:3], v[2:3], v[4:5]
	v_mul_f64 v[4:5], v[142:143], v[74:75]
	s_waitcnt vmcnt(30) lgkmcnt(1)
	v_mul_f64 v[170:171], v[160:161], v[102:103]
	v_fma_f64 v[4:5], v[140:141], v[76:77], -v[4:5]
	s_waitcnt vmcnt(28)
	v_fmac_f64_e32 v[170:171], v[162:163], v[104:105]
	v_add_f64 v[2:3], v[2:3], v[4:5]
	v_mul_f64 v[4:5], v[146:147], v[86:87]
	v_add_f64 v[172:173], v[168:169], v[170:171]
	ds_read_b128 v[168:171], v1 offset:1456
	s_waitcnt lgkmcnt(1)
	v_mul_f64 v[174:175], v[164:165], v[98:99]
	v_fma_f64 v[4:5], v[144:145], v[88:89], -v[4:5]
	v_fmac_f64_e32 v[174:175], v[166:167], v[100:101]
	v_add_f64 v[2:3], v[2:3], v[4:5]
	v_mul_f64 v[4:5], v[150:151], v[82:83]
	v_add_f64 v[176:177], v[172:173], v[174:175]
	ds_read_b128 v[172:175], v1 offset:1472
	v_fma_f64 v[4:5], v[148:149], v[84:85], -v[4:5]
	v_add_f64 v[2:3], v[2:3], v[4:5]
	v_mul_f64 v[4:5], v[154:155], v[94:95]
	v_fma_f64 v[4:5], v[152:153], v[96:97], -v[4:5]
	s_waitcnt vmcnt(22) lgkmcnt(1)
	v_mul_f64 v[178:179], v[168:169], v[110:111]
	v_add_f64 v[2:3], v[2:3], v[4:5]
	v_mul_f64 v[4:5], v[158:159], v[90:91]
	s_waitcnt vmcnt(20)
	v_fmac_f64_e32 v[178:179], v[170:171], v[112:113]
	v_fma_f64 v[4:5], v[156:157], v[92:93], -v[4:5]
	v_add_f64 v[180:181], v[176:177], v[178:179]
	ds_read_b128 v[176:179], v1 offset:1488
	s_waitcnt lgkmcnt(1)
	v_mul_f64 v[182:183], v[172:173], v[106:107]
	v_add_f64 v[2:3], v[2:3], v[4:5]
	v_mul_f64 v[4:5], v[162:163], v[102:103]
	v_fmac_f64_e32 v[182:183], v[174:175], v[108:109]
	v_fma_f64 v[4:5], v[160:161], v[104:105], -v[4:5]
	v_add_f64 v[184:185], v[180:181], v[182:183]
	ds_read_b128 v[180:183], v1 offset:1504
	v_add_f64 v[2:3], v[2:3], v[4:5]
	v_mul_f64 v[4:5], v[166:167], v[98:99]
	v_fma_f64 v[4:5], v[164:165], v[100:101], -v[4:5]
	v_add_f64 v[2:3], v[2:3], v[4:5]
	v_mul_f64 v[4:5], v[170:171], v[110:111]
	s_waitcnt vmcnt(14) lgkmcnt(1)
	v_mul_f64 v[186:187], v[176:177], v[198:199]
	v_fma_f64 v[4:5], v[168:169], v[112:113], -v[4:5]
	s_waitcnt vmcnt(12)
	v_fmac_f64_e32 v[186:187], v[178:179], v[200:201]
	v_add_f64 v[2:3], v[2:3], v[4:5]
	v_mul_f64 v[4:5], v[174:175], v[106:107]
	v_add_f64 v[188:189], v[184:185], v[186:187]
	ds_read_b128 v[184:187], v1 offset:1520
	s_waitcnt lgkmcnt(1)
	v_mul_f64 v[190:191], v[180:181], v[118:119]
	v_fma_f64 v[4:5], v[172:173], v[108:109], -v[4:5]
	v_fmac_f64_e32 v[190:191], v[182:183], v[196:197]
	v_add_f64 v[2:3], v[2:3], v[4:5]
	v_mul_f64 v[4:5], v[178:179], v[198:199]
	v_add_f64 v[214:215], v[188:189], v[190:191]
	ds_read_b128 v[188:191], v1 offset:1536
	v_fma_f64 v[4:5], v[176:177], v[200:201], -v[4:5]
	v_add_f64 v[2:3], v[2:3], v[4:5]
	v_mul_f64 v[4:5], v[182:183], v[118:119]
	ds_read_b128 v[192:195], v1 offset:1552
	v_fma_f64 v[4:5], v[180:181], v[196:197], -v[4:5]
	v_add_f64 v[2:3], v[2:3], v[4:5]
	s_waitcnt vmcnt(6) lgkmcnt(2)
	v_mul_f64 v[4:5], v[186:187], v[206:207]
	v_mul_f64 v[216:217], v[184:185], v[206:207]
	s_waitcnt vmcnt(4)
	v_fma_f64 v[4:5], v[184:185], v[208:209], -v[4:5]
	v_fmac_f64_e32 v[216:217], v[186:187], v[208:209]
	v_add_f64 v[2:3], v[2:3], v[4:5]
	s_waitcnt lgkmcnt(1)
	v_mul_f64 v[4:5], v[190:191], v[202:203]
	v_add_f64 v[214:215], v[214:215], v[216:217]
	v_mul_f64 v[216:217], v[188:189], v[202:203]
	v_fma_f64 v[4:5], v[188:189], v[204:205], -v[4:5]
	v_fmac_f64_e32 v[216:217], v[190:191], v[204:205]
	v_add_f64 v[2:3], v[2:3], v[4:5]
	s_waitcnt vmcnt(2) lgkmcnt(0)
	v_mul_f64 v[4:5], v[194:195], v[210:211]
	v_add_f64 v[214:215], v[214:215], v[216:217]
	v_mul_f64 v[216:217], v[192:193], v[210:211]
	s_waitcnt vmcnt(0)
	v_fma_f64 v[4:5], v[192:193], v[212:213], -v[4:5]
	v_fmac_f64_e32 v[216:217], v[194:195], v[212:213]
	v_add_f64 v[2:3], v[2:3], v[4:5]
	v_add_f64 v[214:215], v[214:215], v[216:217]
	v_add_f64 v[2:3], v[36:37], -v[2:3]
	v_add_f64 v[4:5], v[34:35], -v[214:215]
	buffer_store_dword v3, off, s[0:3], 0 offset:372
	buffer_store_dword v2, off, s[0:3], 0 offset:368
	;; [unrolled: 1-line block ×4, first 2 shown]
	s_and_saveexec_b64 s[4:5], vcc
	s_cbranch_execz .LBB48_265
; %bb.264:
	v_accvgpr_read_b32 v0, a125
	buffer_load_dword v2, v0, s[0:3], 0 offen
	buffer_load_dword v3, v0, s[0:3], 0 offen offset:4
	buffer_load_dword v4, v0, s[0:3], 0 offen offset:8
	;; [unrolled: 1-line block ×3, first 2 shown]
	v_mov_b32_e32 v0, 0
	v_accvgpr_read_b32 v1, a147
	buffer_store_dword v0, off, s[0:3], 0 offset:352
	buffer_store_dword v0, off, s[0:3], 0 offset:356
	;; [unrolled: 1-line block ×4, first 2 shown]
	s_waitcnt vmcnt(4)
	ds_write_b128 v1, v[2:5]
.LBB48_265:
	s_or_b64 exec, exec, s[4:5]
	s_waitcnt lgkmcnt(0)
	; wave barrier
	s_waitcnt lgkmcnt(0)
	buffer_load_dword v30, off, s[0:3], 0 offset:368
	buffer_load_dword v31, off, s[0:3], 0 offset:372
	;; [unrolled: 1-line block ×56, first 2 shown]
	v_mov_b32_e32 v1, 0
	ds_read_b128 v[26:29], v1 offset:1136
	ds_read_b128 v[22:25], v1 offset:1152
	;; [unrolled: 1-line block ×7, first 2 shown]
	v_cmp_lt_u32_e32 vcc, 20, v254
	s_waitcnt vmcnt(52) lgkmcnt(6)
	v_mul_f64 v[86:87], v[26:27], v[34:35]
	v_fmac_f64_e32 v[86:87], v[28:29], v[30:31]
	v_add_f64 v[86:87], v[86:87], 0
	v_mul_f64 v[28:29], v[28:29], v[34:35]
	s_waitcnt vmcnt(48) lgkmcnt(5)
	v_mul_f64 v[88:89], v[22:23], v[36:37]
	v_fmac_f64_e32 v[88:89], v[24:25], v[32:33]
	s_waitcnt vmcnt(46) lgkmcnt(4)
	v_mul_f64 v[90:91], v[18:19], v[38:39]
	v_add_f64 v[86:87], v[86:87], v[88:89]
	s_waitcnt vmcnt(44) lgkmcnt(2)
	v_mul_f64 v[94:95], v[10:11], v[40:41]
	v_fma_f64 v[26:27], v[26:27], v[30:31], -v[28:29]
	s_waitcnt vmcnt(42)
	v_fmac_f64_e32 v[94:95], v[12:13], v[42:43]
	v_mul_f64 v[24:25], v[24:25], v[36:37]
	s_waitcnt vmcnt(40)
	v_mul_f64 v[92:93], v[14:15], v[48:49]
	v_add_f64 v[26:27], v[26:27], 0
	v_fma_f64 v[22:23], v[22:23], v[32:33], -v[24:25]
	v_add_f64 v[22:23], v[26:27], v[22:23]
	s_waitcnt vmcnt(36) lgkmcnt(1)
	v_mul_f64 v[110:111], v[6:7], v[54:55]
	v_mul_f64 v[12:13], v[12:13], v[40:41]
	s_waitcnt vmcnt(34)
	v_fmac_f64_e32 v[90:91], v[20:21], v[60:61]
	v_add_f64 v[86:87], v[86:87], v[90:91]
	s_waitcnt vmcnt(32)
	v_fmac_f64_e32 v[92:93], v[16:17], v[58:59]
	v_add_f64 v[86:87], v[86:87], v[92:93]
	v_add_f64 v[116:117], v[86:87], v[94:95]
	buffer_load_dword v87, off, s[0:3], 0 offset:604
	buffer_load_dword v86, off, s[0:3], 0 offset:600
	;; [unrolled: 1-line block ×56, first 2 shown]
	ds_read_b128 v[126:129], v1 offset:1248
	ds_read_b128 v[130:133], v1 offset:1264
	v_mul_f64 v[20:21], v[20:21], v[38:39]
	v_fma_f64 v[18:19], v[18:19], v[60:61], -v[20:21]
	v_mul_f64 v[16:17], v[16:17], v[48:49]
	s_waitcnt vmcnt(62)
	v_fmac_f64_e32 v[110:111], v[8:9], v[56:57]
	v_add_f64 v[18:19], v[22:23], v[18:19]
	v_fma_f64 v[14:15], v[14:15], v[58:59], -v[16:17]
	v_add_f64 v[110:111], v[116:117], v[110:111]
	s_waitcnt lgkmcnt(2)
	v_mul_f64 v[116:117], v[2:3], v[50:51]
	v_add_f64 v[14:15], v[18:19], v[14:15]
	v_fma_f64 v[10:11], v[10:11], v[42:43], -v[12:13]
	v_mul_f64 v[8:9], v[8:9], v[54:55]
	v_fmac_f64_e32 v[116:117], v[4:5], v[52:53]
	ds_read_b128 v[134:137], v1 offset:1280
	ds_read_b128 v[138:141], v1 offset:1296
	v_add_f64 v[10:11], v[14:15], v[10:11]
	v_fma_f64 v[6:7], v[6:7], v[56:57], -v[8:9]
	v_mul_f64 v[4:5], v[4:5], v[50:51]
	v_add_f64 v[6:7], v[10:11], v[6:7]
	v_fma_f64 v[2:3], v[2:3], v[52:53], -v[4:5]
	s_waitcnt lgkmcnt(3)
	v_mul_f64 v[4:5], v[128:129], v[66:67]
	v_add_f64 v[110:111], v[110:111], v[116:117]
	v_mul_f64 v[116:117], v[126:127], v[66:67]
	v_add_f64 v[2:3], v[6:7], v[2:3]
	v_fma_f64 v[4:5], v[126:127], v[68:69], -v[4:5]
	v_fmac_f64_e32 v[116:117], v[128:129], v[68:69]
	v_add_f64 v[2:3], v[2:3], v[4:5]
	s_waitcnt lgkmcnt(2)
	v_mul_f64 v[4:5], v[132:133], v[62:63]
	v_add_f64 v[110:111], v[110:111], v[116:117]
	v_mul_f64 v[116:117], v[130:131], v[62:63]
	ds_read_b128 v[142:145], v1 offset:1312
	ds_read_b128 v[146:149], v1 offset:1328
	v_fma_f64 v[4:5], v[130:131], v[64:65], -v[4:5]
	v_fmac_f64_e32 v[116:117], v[132:133], v[64:65]
	v_add_f64 v[2:3], v[2:3], v[4:5]
	s_waitcnt lgkmcnt(3)
	v_mul_f64 v[4:5], v[136:137], v[74:75]
	v_add_f64 v[110:111], v[110:111], v[116:117]
	v_mul_f64 v[116:117], v[134:135], v[74:75]
	v_fma_f64 v[4:5], v[134:135], v[76:77], -v[4:5]
	v_fmac_f64_e32 v[116:117], v[136:137], v[76:77]
	v_add_f64 v[2:3], v[2:3], v[4:5]
	s_waitcnt lgkmcnt(2)
	v_mul_f64 v[4:5], v[140:141], v[70:71]
	v_add_f64 v[110:111], v[110:111], v[116:117]
	v_mul_f64 v[116:117], v[138:139], v[70:71]
	ds_read_b128 v[150:153], v1 offset:1344
	ds_read_b128 v[154:157], v1 offset:1360
	v_fma_f64 v[4:5], v[138:139], v[72:73], -v[4:5]
	v_fmac_f64_e32 v[116:117], v[140:141], v[72:73]
	v_add_f64 v[2:3], v[2:3], v[4:5]
	s_waitcnt vmcnt(58) lgkmcnt(3)
	v_mul_f64 v[4:5], v[144:145], v[82:83]
	v_add_f64 v[110:111], v[110:111], v[116:117]
	v_mul_f64 v[116:117], v[142:143], v[82:83]
	s_waitcnt vmcnt(56)
	v_fma_f64 v[4:5], v[142:143], v[84:85], -v[4:5]
	v_fmac_f64_e32 v[116:117], v[144:145], v[84:85]
	v_add_f64 v[2:3], v[2:3], v[4:5]
	s_waitcnt lgkmcnt(2)
	v_mul_f64 v[4:5], v[148:149], v[78:79]
	v_add_f64 v[110:111], v[110:111], v[116:117]
	v_mul_f64 v[116:117], v[146:147], v[78:79]
	ds_read_b128 v[158:161], v1 offset:1376
	ds_read_b128 v[162:165], v1 offset:1392
	v_fma_f64 v[4:5], v[146:147], v[80:81], -v[4:5]
	v_fmac_f64_e32 v[116:117], v[148:149], v[80:81]
	v_add_f64 v[2:3], v[2:3], v[4:5]
	s_waitcnt vmcnt(50) lgkmcnt(3)
	v_mul_f64 v[4:5], v[152:153], v[90:91]
	v_add_f64 v[110:111], v[110:111], v[116:117]
	v_mul_f64 v[116:117], v[150:151], v[90:91]
	s_waitcnt vmcnt(48)
	;; [unrolled: 17-line block ×7, first 2 shown]
	v_fma_f64 v[4:5], v[190:191], v[216:217], -v[4:5]
	v_fmac_f64_e32 v[116:117], v[192:193], v[216:217]
	v_add_f64 v[2:3], v[2:3], v[4:5]
	s_waitcnt lgkmcnt(2)
	v_mul_f64 v[4:5], v[196:197], v[210:211]
	v_add_f64 v[110:111], v[110:111], v[116:117]
	v_mul_f64 v[116:117], v[194:195], v[210:211]
	v_fma_f64 v[4:5], v[194:195], v[212:213], -v[4:5]
	v_fmac_f64_e32 v[116:117], v[196:197], v[212:213]
	v_add_f64 v[2:3], v[2:3], v[4:5]
	s_waitcnt vmcnt(2) lgkmcnt(1)
	v_mul_f64 v[4:5], v[200:201], v[222:223]
	v_add_f64 v[110:111], v[110:111], v[116:117]
	v_mul_f64 v[116:117], v[198:199], v[222:223]
	s_waitcnt vmcnt(0)
	v_fma_f64 v[4:5], v[198:199], v[224:225], -v[4:5]
	v_fmac_f64_e32 v[116:117], v[200:201], v[224:225]
	v_add_f64 v[2:3], v[2:3], v[4:5]
	s_waitcnt lgkmcnt(0)
	v_mul_f64 v[4:5], v[204:205], v[218:219]
	v_add_f64 v[110:111], v[110:111], v[116:117]
	v_mul_f64 v[116:117], v[202:203], v[218:219]
	v_fma_f64 v[4:5], v[202:203], v[220:221], -v[4:5]
	v_fmac_f64_e32 v[116:117], v[204:205], v[220:221]
	v_add_f64 v[2:3], v[2:3], v[4:5]
	v_add_f64 v[110:111], v[110:111], v[116:117]
	v_add_f64 v[2:3], v[46:47], -v[2:3]
	v_add_f64 v[4:5], v[44:45], -v[110:111]
	buffer_store_dword v3, off, s[0:3], 0 offset:356
	buffer_store_dword v2, off, s[0:3], 0 offset:352
	;; [unrolled: 1-line block ×4, first 2 shown]
	s_and_saveexec_b64 s[4:5], vcc
	s_cbranch_execz .LBB48_267
; %bb.266:
	v_accvgpr_read_b32 v0, a126
	buffer_load_dword v2, v0, s[0:3], 0 offen
	buffer_load_dword v3, v0, s[0:3], 0 offen offset:4
	buffer_load_dword v4, v0, s[0:3], 0 offen offset:8
	;; [unrolled: 1-line block ×3, first 2 shown]
	v_accvgpr_read_b32 v0, a147
	buffer_store_dword v1, off, s[0:3], 0 offset:336
	buffer_store_dword v1, off, s[0:3], 0 offset:340
	;; [unrolled: 1-line block ×4, first 2 shown]
	s_waitcnt vmcnt(4)
	ds_write_b128 v0, v[2:5]
.LBB48_267:
	s_or_b64 exec, exec, s[4:5]
	s_waitcnt lgkmcnt(0)
	; wave barrier
	s_waitcnt lgkmcnt(0)
	buffer_load_dword v34, off, s[0:3], 0 offset:352
	buffer_load_dword v35, off, s[0:3], 0 offset:356
	buffer_load_dword v38, off, s[0:3], 0 offset:360
	buffer_load_dword v39, off, s[0:3], 0 offset:364
	buffer_load_dword v36, off, s[0:3], 0 offset:368
	buffer_load_dword v37, off, s[0:3], 0 offset:372
	buffer_load_dword v40, off, s[0:3], 0 offset:376
	buffer_load_dword v41, off, s[0:3], 0 offset:380
	buffer_load_dword v42, off, s[0:3], 0 offset:392
	buffer_load_dword v43, off, s[0:3], 0 offset:396
	buffer_load_dword v49, off, s[0:3], 0 offset:412
	buffer_load_dword v48, off, s[0:3], 0 offset:408
	buffer_load_dword v51, off, s[0:3], 0 offset:460
	buffer_load_dword v50, off, s[0:3], 0 offset:456
	buffer_load_dword v53, off, s[0:3], 0 offset:452
	buffer_load_dword v55, off, s[0:3], 0 offset:444
	buffer_load_dword v54, off, s[0:3], 0 offset:440
	buffer_load_dword v57, off, s[0:3], 0 offset:428
	buffer_load_dword v56, off, s[0:3], 0 offset:424
	buffer_load_dword v59, off, s[0:3], 0 offset:420
	buffer_load_dword v58, off, s[0:3], 0 offset:416
	buffer_load_dword v64, off, s[0:3], 0 offset:384
	buffer_load_dword v65, off, s[0:3], 0 offset:388
	buffer_load_dword v63, off, s[0:3], 0 offset:404
	buffer_load_dword v62, off, s[0:3], 0 offset:400
	buffer_load_dword v61, off, s[0:3], 0 offset:436
	buffer_load_dword v60, off, s[0:3], 0 offset:432
	buffer_load_dword v52, off, s[0:3], 0 offset:448
	buffer_load_dword v46, off, s[0:3], 0 offset:336
	buffer_load_dword v47, off, s[0:3], 0 offset:340
	buffer_load_dword v44, off, s[0:3], 0 offset:344
	buffer_load_dword v45, off, s[0:3], 0 offset:348
	ds_read_b128 v[30:33], v1 offset:1120
	ds_read_b128 v[26:29], v1 offset:1136
	;; [unrolled: 1-line block ×8, first 2 shown]
	buffer_load_dword v67, off, s[0:3], 0 offset:492
	buffer_load_dword v66, off, s[0:3], 0 offset:488
	buffer_load_dword v69, off, s[0:3], 0 offset:484
	buffer_load_dword v68, off, s[0:3], 0 offset:480
	buffer_load_dword v71, off, s[0:3], 0 offset:476
	buffer_load_dword v70, off, s[0:3], 0 offset:472
	buffer_load_dword v73, off, s[0:3], 0 offset:468
	buffer_load_dword v72, off, s[0:3], 0 offset:464
	buffer_load_dword v75, off, s[0:3], 0 offset:524
	buffer_load_dword v74, off, s[0:3], 0 offset:520
	buffer_load_dword v77, off, s[0:3], 0 offset:516
	buffer_load_dword v76, off, s[0:3], 0 offset:512
	buffer_load_dword v79, off, s[0:3], 0 offset:508
	buffer_load_dword v78, off, s[0:3], 0 offset:504
	buffer_load_dword v81, off, s[0:3], 0 offset:500
	buffer_load_dword v80, off, s[0:3], 0 offset:496
	buffer_load_dword v83, off, s[0:3], 0 offset:556
	buffer_load_dword v82, off, s[0:3], 0 offset:552
	buffer_load_dword v85, off, s[0:3], 0 offset:548
	buffer_load_dword v84, off, s[0:3], 0 offset:544
	buffer_load_dword v87, off, s[0:3], 0 offset:540
	buffer_load_dword v86, off, s[0:3], 0 offset:536
	buffer_load_dword v89, off, s[0:3], 0 offset:532
	buffer_load_dword v88, off, s[0:3], 0 offset:528
	v_cmp_lt_u32_e32 vcc, 19, v254
	s_waitcnt vmcnt(52) lgkmcnt(7)
	v_mul_f64 v[90:91], v[30:31], v[38:39]
	v_fmac_f64_e32 v[90:91], v[32:33], v[34:35]
	v_add_f64 v[90:91], v[90:91], 0
	v_mul_f64 v[32:33], v[32:33], v[38:39]
	s_waitcnt vmcnt(48) lgkmcnt(6)
	v_mul_f64 v[92:93], v[26:27], v[40:41]
	v_fmac_f64_e32 v[92:93], v[28:29], v[36:37]
	s_waitcnt vmcnt(46) lgkmcnt(5)
	v_mul_f64 v[94:95], v[22:23], v[42:43]
	v_add_f64 v[90:91], v[90:91], v[92:93]
	s_waitcnt vmcnt(44) lgkmcnt(4)
	v_mul_f64 v[96:97], v[18:19], v[48:49]
	v_fma_f64 v[30:31], v[30:31], v[34:35], -v[32:33]
	s_waitcnt vmcnt(42) lgkmcnt(1)
	v_mul_f64 v[124:125], v[2:3], v[50:51]
	v_mul_f64 v[28:29], v[28:29], v[40:41]
	s_waitcnt vmcnt(18) lgkmcnt(0)
	v_mul_f64 v[138:139], v[14:15], v[70:71]
	v_mul_f64 v[100:101], v[6:7], v[54:55]
	s_waitcnt vmcnt(16)
	v_fmac_f64_e32 v[138:139], v[16:17], v[72:73]
	v_mul_f64 v[98:99], v[10:11], v[56:57]
	v_add_f64 v[30:31], v[30:31], 0
	v_fmac_f64_e32 v[98:99], v[12:13], v[58:59]
	v_fma_f64 v[26:27], v[26:27], v[36:37], -v[28:29]
	v_fmac_f64_e32 v[94:95], v[24:25], v[64:65]
	v_add_f64 v[90:91], v[90:91], v[94:95]
	v_fmac_f64_e32 v[96:97], v[20:21], v[62:63]
	v_add_f64 v[90:91], v[90:91], v[96:97]
	;; [unrolled: 2-line block ×3, first 2 shown]
	v_add_f64 v[126:127], v[90:91], v[100:101]
	buffer_load_dword v91, off, s[0:3], 0 offset:588
	buffer_load_dword v90, off, s[0:3], 0 offset:584
	;; [unrolled: 1-line block ×56, first 2 shown]
	v_fmac_f64_e32 v[124:125], v[4:5], v[52:53]
	v_add_f64 v[136:137], v[126:127], v[124:125]
	ds_read_b128 v[124:127], v1 offset:1248
	buffer_load_dword v227, off, s[0:3], 0 offset:796
	buffer_load_dword v226, off, s[0:3], 0 offset:792
	;; [unrolled: 1-line block ×4, first 2 shown]
	v_add_f64 v[140:141], v[136:137], v[138:139]
	ds_read_b128 v[136:139], v1 offset:1264
	v_mul_f64 v[24:25], v[24:25], v[42:43]
	s_waitcnt lgkmcnt(1)
	v_mul_f64 v[142:143], v[124:125], v[66:67]
	v_fmac_f64_e32 v[142:143], v[126:127], v[68:69]
	v_add_f64 v[144:145], v[140:141], v[142:143]
	ds_read_b128 v[140:143], v1 offset:1280
	s_waitcnt vmcnt(62) lgkmcnt(1)
	v_mul_f64 v[146:147], v[136:137], v[78:79]
	v_fmac_f64_e32 v[146:147], v[138:139], v[80:81]
	v_add_f64 v[148:149], v[144:145], v[146:147]
	ds_read_b128 v[144:147], v1 offset:1296
	s_waitcnt lgkmcnt(1)
	v_mul_f64 v[150:151], v[140:141], v[74:75]
	v_fmac_f64_e32 v[150:151], v[142:143], v[76:77]
	v_add_f64 v[152:153], v[148:149], v[150:151]
	ds_read_b128 v[148:151], v1 offset:1312
	s_waitcnt lgkmcnt(1)
	v_mul_f64 v[154:155], v[144:145], v[86:87]
	s_waitcnt vmcnt(60)
	v_fmac_f64_e32 v[154:155], v[146:147], v[88:89]
	v_add_f64 v[156:157], v[152:153], v[154:155]
	ds_read_b128 v[152:155], v1 offset:1328
	s_waitcnt lgkmcnt(1)
	v_mul_f64 v[158:159], v[148:149], v[82:83]
	v_fmac_f64_e32 v[158:159], v[150:151], v[84:85]
	v_add_f64 v[160:161], v[156:157], v[158:159]
	ds_read_b128 v[156:159], v1 offset:1344
	v_add_f64 v[26:27], v[30:31], v[26:27]
	v_fma_f64 v[22:23], v[22:23], v[64:65], -v[24:25]
	s_waitcnt vmcnt(54) lgkmcnt(1)
	v_mul_f64 v[162:163], v[152:153], v[94:95]
	v_mul_f64 v[20:21], v[20:21], v[48:49]
	s_waitcnt vmcnt(52)
	v_fmac_f64_e32 v[162:163], v[154:155], v[96:97]
	v_add_f64 v[164:165], v[160:161], v[162:163]
	ds_read_b128 v[160:163], v1 offset:1360
	s_waitcnt lgkmcnt(1)
	v_mul_f64 v[166:167], v[156:157], v[90:91]
	v_fmac_f64_e32 v[166:167], v[158:159], v[92:93]
	v_add_f64 v[22:23], v[26:27], v[22:23]
	v_fma_f64 v[18:19], v[18:19], v[62:63], -v[20:21]
	v_mul_f64 v[12:13], v[12:13], v[56:57]
	v_add_f64 v[168:169], v[164:165], v[166:167]
	ds_read_b128 v[164:167], v1 offset:1376
	v_add_f64 v[18:19], v[22:23], v[18:19]
	v_fma_f64 v[10:11], v[10:11], v[58:59], -v[12:13]
	v_mul_f64 v[8:9], v[8:9], v[54:55]
	v_add_f64 v[10:11], v[18:19], v[10:11]
	v_fma_f64 v[6:7], v[6:7], v[60:61], -v[8:9]
	v_mul_f64 v[4:5], v[4:5], v[50:51]
	;; [unrolled: 3-line block ×3, first 2 shown]
	s_waitcnt vmcnt(46) lgkmcnt(1)
	v_mul_f64 v[170:171], v[160:161], v[102:103]
	v_add_f64 v[2:3], v[6:7], v[2:3]
	v_fma_f64 v[4:5], v[14:15], v[72:73], -v[4:5]
	s_waitcnt vmcnt(44)
	v_fmac_f64_e32 v[170:171], v[162:163], v[104:105]
	v_add_f64 v[2:3], v[2:3], v[4:5]
	v_mul_f64 v[4:5], v[126:127], v[66:67]
	v_add_f64 v[172:173], v[168:169], v[170:171]
	ds_read_b128 v[168:171], v1 offset:1392
	s_waitcnt lgkmcnt(1)
	v_mul_f64 v[174:175], v[164:165], v[98:99]
	v_fma_f64 v[4:5], v[124:125], v[68:69], -v[4:5]
	v_fmac_f64_e32 v[174:175], v[166:167], v[100:101]
	v_add_f64 v[2:3], v[2:3], v[4:5]
	v_mul_f64 v[4:5], v[138:139], v[78:79]
	v_add_f64 v[176:177], v[172:173], v[174:175]
	ds_read_b128 v[172:175], v1 offset:1408
	v_fma_f64 v[4:5], v[136:137], v[80:81], -v[4:5]
	v_add_f64 v[2:3], v[2:3], v[4:5]
	v_mul_f64 v[4:5], v[142:143], v[74:75]
	v_fma_f64 v[4:5], v[140:141], v[76:77], -v[4:5]
	s_waitcnt vmcnt(38) lgkmcnt(1)
	v_mul_f64 v[178:179], v[168:169], v[110:111]
	v_add_f64 v[2:3], v[2:3], v[4:5]
	v_mul_f64 v[4:5], v[146:147], v[86:87]
	s_waitcnt vmcnt(36)
	v_fmac_f64_e32 v[178:179], v[170:171], v[112:113]
	v_fma_f64 v[4:5], v[144:145], v[88:89], -v[4:5]
	v_add_f64 v[180:181], v[176:177], v[178:179]
	ds_read_b128 v[176:179], v1 offset:1424
	s_waitcnt lgkmcnt(1)
	v_mul_f64 v[182:183], v[172:173], v[106:107]
	v_add_f64 v[2:3], v[2:3], v[4:5]
	v_mul_f64 v[4:5], v[150:151], v[82:83]
	v_fmac_f64_e32 v[182:183], v[174:175], v[108:109]
	v_fma_f64 v[4:5], v[148:149], v[84:85], -v[4:5]
	v_add_f64 v[184:185], v[180:181], v[182:183]
	ds_read_b128 v[180:183], v1 offset:1440
	v_add_f64 v[2:3], v[2:3], v[4:5]
	v_mul_f64 v[4:5], v[154:155], v[94:95]
	v_fma_f64 v[4:5], v[152:153], v[96:97], -v[4:5]
	v_add_f64 v[2:3], v[2:3], v[4:5]
	v_mul_f64 v[4:5], v[158:159], v[90:91]
	s_waitcnt vmcnt(30) lgkmcnt(1)
	v_mul_f64 v[186:187], v[176:177], v[120:121]
	v_fma_f64 v[4:5], v[156:157], v[92:93], -v[4:5]
	s_waitcnt vmcnt(28)
	v_fmac_f64_e32 v[186:187], v[178:179], v[122:123]
	v_add_f64 v[2:3], v[2:3], v[4:5]
	v_mul_f64 v[4:5], v[162:163], v[102:103]
	v_add_f64 v[188:189], v[184:185], v[186:187]
	ds_read_b128 v[184:187], v1 offset:1456
	s_waitcnt lgkmcnt(1)
	v_mul_f64 v[190:191], v[180:181], v[114:115]
	v_fma_f64 v[4:5], v[160:161], v[104:105], -v[4:5]
	v_fmac_f64_e32 v[190:191], v[182:183], v[116:117]
	v_add_f64 v[2:3], v[2:3], v[4:5]
	v_mul_f64 v[4:5], v[166:167], v[98:99]
	v_add_f64 v[192:193], v[188:189], v[190:191]
	ds_read_b128 v[188:191], v1 offset:1472
	v_fma_f64 v[4:5], v[164:165], v[100:101], -v[4:5]
	v_add_f64 v[2:3], v[2:3], v[4:5]
	v_mul_f64 v[4:5], v[170:171], v[110:111]
	v_fma_f64 v[4:5], v[168:169], v[112:113], -v[4:5]
	s_waitcnt vmcnt(22) lgkmcnt(1)
	v_mul_f64 v[194:195], v[184:185], v[132:133]
	v_add_f64 v[2:3], v[2:3], v[4:5]
	v_mul_f64 v[4:5], v[174:175], v[106:107]
	s_waitcnt vmcnt(20)
	v_fmac_f64_e32 v[194:195], v[186:187], v[134:135]
	v_fma_f64 v[4:5], v[172:173], v[108:109], -v[4:5]
	v_add_f64 v[196:197], v[192:193], v[194:195]
	ds_read_b128 v[192:195], v1 offset:1488
	s_waitcnt lgkmcnt(1)
	v_mul_f64 v[198:199], v[188:189], v[128:129]
	v_add_f64 v[2:3], v[2:3], v[4:5]
	v_mul_f64 v[4:5], v[178:179], v[120:121]
	v_fmac_f64_e32 v[198:199], v[190:191], v[130:131]
	v_fma_f64 v[4:5], v[176:177], v[122:123], -v[4:5]
	v_add_f64 v[200:201], v[196:197], v[198:199]
	ds_read_b128 v[196:199], v1 offset:1504
	v_add_f64 v[2:3], v[2:3], v[4:5]
	v_mul_f64 v[4:5], v[182:183], v[114:115]
	v_fma_f64 v[4:5], v[180:181], v[116:117], -v[4:5]
	v_add_f64 v[2:3], v[2:3], v[4:5]
	v_mul_f64 v[4:5], v[186:187], v[132:133]
	s_waitcnt vmcnt(14) lgkmcnt(1)
	v_mul_f64 v[202:203], v[192:193], v[210:211]
	v_fma_f64 v[4:5], v[184:185], v[134:135], -v[4:5]
	s_waitcnt vmcnt(12)
	v_fmac_f64_e32 v[202:203], v[194:195], v[212:213]
	v_add_f64 v[2:3], v[2:3], v[4:5]
	v_mul_f64 v[4:5], v[190:191], v[128:129]
	v_add_f64 v[204:205], v[200:201], v[202:203]
	ds_read_b128 v[200:203], v1 offset:1520
	s_waitcnt lgkmcnt(1)
	v_mul_f64 v[206:207], v[196:197], v[118:119]
	v_fma_f64 v[4:5], v[188:189], v[130:131], -v[4:5]
	v_fmac_f64_e32 v[206:207], v[198:199], v[208:209]
	v_add_f64 v[2:3], v[2:3], v[4:5]
	v_mul_f64 v[4:5], v[194:195], v[210:211]
	v_add_f64 v[230:231], v[204:205], v[206:207]
	ds_read_b128 v[204:207], v1 offset:1536
	v_fma_f64 v[4:5], v[192:193], v[212:213], -v[4:5]
	v_add_f64 v[2:3], v[2:3], v[4:5]
	v_mul_f64 v[4:5], v[198:199], v[118:119]
	ds_read_b128 v[216:219], v1 offset:1552
	v_fma_f64 v[4:5], v[196:197], v[208:209], -v[4:5]
	v_add_f64 v[2:3], v[2:3], v[4:5]
	s_waitcnt vmcnt(6) lgkmcnt(2)
	v_mul_f64 v[4:5], v[202:203], v[222:223]
	v_mul_f64 v[232:233], v[200:201], v[222:223]
	s_waitcnt vmcnt(4)
	v_fma_f64 v[4:5], v[200:201], v[224:225], -v[4:5]
	v_fmac_f64_e32 v[232:233], v[202:203], v[224:225]
	v_add_f64 v[2:3], v[2:3], v[4:5]
	s_waitcnt lgkmcnt(1)
	v_mul_f64 v[4:5], v[206:207], v[214:215]
	v_add_f64 v[230:231], v[230:231], v[232:233]
	v_mul_f64 v[232:233], v[204:205], v[214:215]
	v_fma_f64 v[4:5], v[204:205], v[220:221], -v[4:5]
	v_fmac_f64_e32 v[232:233], v[206:207], v[220:221]
	v_add_f64 v[2:3], v[2:3], v[4:5]
	s_waitcnt vmcnt(2) lgkmcnt(0)
	v_mul_f64 v[4:5], v[218:219], v[226:227]
	v_add_f64 v[230:231], v[230:231], v[232:233]
	v_mul_f64 v[232:233], v[216:217], v[226:227]
	s_waitcnt vmcnt(0)
	v_fma_f64 v[4:5], v[216:217], v[228:229], -v[4:5]
	v_fmac_f64_e32 v[232:233], v[218:219], v[228:229]
	v_add_f64 v[2:3], v[2:3], v[4:5]
	v_add_f64 v[230:231], v[230:231], v[232:233]
	v_add_f64 v[2:3], v[46:47], -v[2:3]
	v_add_f64 v[4:5], v[44:45], -v[230:231]
	buffer_store_dword v3, off, s[0:3], 0 offset:340
	buffer_store_dword v2, off, s[0:3], 0 offset:336
	;; [unrolled: 1-line block ×4, first 2 shown]
	s_and_saveexec_b64 s[4:5], vcc
	s_cbranch_execz .LBB48_269
; %bb.268:
	v_accvgpr_read_b32 v0, a127
	buffer_load_dword v2, v0, s[0:3], 0 offen
	buffer_load_dword v3, v0, s[0:3], 0 offen offset:4
	buffer_load_dword v4, v0, s[0:3], 0 offen offset:8
	;; [unrolled: 1-line block ×3, first 2 shown]
	v_mov_b32_e32 v0, 0
	v_accvgpr_read_b32 v1, a147
	buffer_store_dword v0, off, s[0:3], 0 offset:320
	buffer_store_dword v0, off, s[0:3], 0 offset:324
	;; [unrolled: 1-line block ×4, first 2 shown]
	s_waitcnt vmcnt(4)
	ds_write_b128 v1, v[2:5]
.LBB48_269:
	s_or_b64 exec, exec, s[4:5]
	s_waitcnt lgkmcnt(0)
	; wave barrier
	s_waitcnt lgkmcnt(0)
	buffer_load_dword v38, off, s[0:3], 0 offset:336
	buffer_load_dword v39, off, s[0:3], 0 offset:340
	;; [unrolled: 1-line block ×48, first 2 shown]
	v_mov_b32_e32 v1, 0
	ds_read_b128 v[34:37], v1 offset:1104
	ds_read_b128 v[30:33], v1 offset:1120
	;; [unrolled: 1-line block ×9, first 2 shown]
	v_cmp_lt_u32_e32 vcc, 18, v254
	s_waitcnt vmcnt(44) lgkmcnt(8)
	v_mul_f64 v[86:87], v[34:35], v[42:43]
	v_fmac_f64_e32 v[86:87], v[36:37], v[38:39]
	v_add_f64 v[86:87], v[86:87], 0
	v_mul_f64 v[36:37], v[36:37], v[42:43]
	s_waitcnt vmcnt(40) lgkmcnt(7)
	v_mul_f64 v[88:89], v[30:31], v[44:45]
	v_fmac_f64_e32 v[88:89], v[32:33], v[40:41]
	s_waitcnt vmcnt(38) lgkmcnt(6)
	v_mul_f64 v[90:91], v[26:27], v[46:47]
	v_add_f64 v[86:87], v[86:87], v[88:89]
	s_waitcnt vmcnt(36) lgkmcnt(4)
	v_mul_f64 v[94:95], v[18:19], v[48:49]
	v_fma_f64 v[34:35], v[34:35], v[38:39], -v[36:37]
	s_waitcnt vmcnt(34)
	v_fmac_f64_e32 v[94:95], v[20:21], v[50:51]
	v_mul_f64 v[32:33], v[32:33], v[44:45]
	s_waitcnt vmcnt(32)
	v_mul_f64 v[92:93], v[22:23], v[52:53]
	v_add_f64 v[34:35], v[34:35], 0
	s_waitcnt vmcnt(30) lgkmcnt(2)
	v_mul_f64 v[98:99], v[10:11], v[54:55]
	v_fma_f64 v[30:31], v[30:31], v[40:41], -v[32:33]
	s_waitcnt vmcnt(28)
	v_fmac_f64_e32 v[98:99], v[12:13], v[56:57]
	v_add_f64 v[30:31], v[34:35], v[30:31]
	s_waitcnt vmcnt(26)
	v_mul_f64 v[96:97], v[14:15], v[58:59]
	v_mul_f64 v[20:21], v[20:21], v[48:49]
	v_fma_f64 v[18:19], v[18:19], v[50:51], -v[20:21]
	v_mul_f64 v[12:13], v[12:13], v[54:55]
	s_waitcnt vmcnt(22) lgkmcnt(1)
	v_mul_f64 v[110:111], v[6:7], v[68:69]
	v_fma_f64 v[10:11], v[10:11], v[56:57], -v[12:13]
	s_waitcnt vmcnt(20)
	v_fmac_f64_e32 v[90:91], v[28:29], v[76:77]
	v_add_f64 v[86:87], v[86:87], v[90:91]
	s_waitcnt vmcnt(18)
	v_fmac_f64_e32 v[92:93], v[24:25], v[74:75]
	v_add_f64 v[86:87], v[86:87], v[92:93]
	;; [unrolled: 3-line block ×3, first 2 shown]
	v_add_f64 v[86:87], v[86:87], v[96:97]
	v_add_f64 v[112:113], v[86:87], v[98:99]
	buffer_load_dword v87, off, s[0:3], 0 offset:540
	buffer_load_dword v86, off, s[0:3], 0 offset:536
	buffer_load_dword v89, off, s[0:3], 0 offset:532
	buffer_load_dword v88, off, s[0:3], 0 offset:528
	buffer_load_dword v91, off, s[0:3], 0 offset:524
	buffer_load_dword v90, off, s[0:3], 0 offset:520
	buffer_load_dword v93, off, s[0:3], 0 offset:516
	buffer_load_dword v92, off, s[0:3], 0 offset:512
	buffer_load_dword v95, off, s[0:3], 0 offset:572
	buffer_load_dword v94, off, s[0:3], 0 offset:568
	buffer_load_dword v97, off, s[0:3], 0 offset:564
	buffer_load_dword v96, off, s[0:3], 0 offset:560
	buffer_load_dword v99, off, s[0:3], 0 offset:556
	buffer_load_dword v98, off, s[0:3], 0 offset:552
	buffer_load_dword v101, off, s[0:3], 0 offset:548
	buffer_load_dword v100, off, s[0:3], 0 offset:544
	buffer_load_dword v103, off, s[0:3], 0 offset:604
	buffer_load_dword v102, off, s[0:3], 0 offset:600
	buffer_load_dword v105, off, s[0:3], 0 offset:596
	buffer_load_dword v104, off, s[0:3], 0 offset:592
	buffer_load_dword v107, off, s[0:3], 0 offset:588
	buffer_load_dword v106, off, s[0:3], 0 offset:584
	buffer_load_dword v109, off, s[0:3], 0 offset:580
	buffer_load_dword v108, off, s[0:3], 0 offset:576
	buffer_load_dword v115, off, s[0:3], 0 offset:636
	buffer_load_dword v114, off, s[0:3], 0 offset:632
	buffer_load_dword v117, off, s[0:3], 0 offset:628
	buffer_load_dword v116, off, s[0:3], 0 offset:624
	buffer_load_dword v121, off, s[0:3], 0 offset:620
	buffer_load_dword v120, off, s[0:3], 0 offset:616
	buffer_load_dword v123, off, s[0:3], 0 offset:612
	buffer_load_dword v122, off, s[0:3], 0 offset:608
	buffer_load_dword v125, off, s[0:3], 0 offset:668
	buffer_load_dword v124, off, s[0:3], 0 offset:664
	buffer_load_dword v127, off, s[0:3], 0 offset:660
	buffer_load_dword v126, off, s[0:3], 0 offset:656
	buffer_load_dword v129, off, s[0:3], 0 offset:652
	buffer_load_dword v128, off, s[0:3], 0 offset:648
	buffer_load_dword v131, off, s[0:3], 0 offset:644
	buffer_load_dword v130, off, s[0:3], 0 offset:640
	buffer_load_dword v133, off, s[0:3], 0 offset:700
	buffer_load_dword v132, off, s[0:3], 0 offset:696
	buffer_load_dword v135, off, s[0:3], 0 offset:692
	buffer_load_dword v134, off, s[0:3], 0 offset:688
	buffer_load_dword v137, off, s[0:3], 0 offset:684
	buffer_load_dword v136, off, s[0:3], 0 offset:680
	buffer_load_dword v139, off, s[0:3], 0 offset:676
	buffer_load_dword v138, off, s[0:3], 0 offset:672
	buffer_load_dword v141, off, s[0:3], 0 offset:732
	buffer_load_dword v140, off, s[0:3], 0 offset:728
	buffer_load_dword v143, off, s[0:3], 0 offset:724
	buffer_load_dword v142, off, s[0:3], 0 offset:720
	buffer_load_dword v119, off, s[0:3], 0 offset:716
	buffer_load_dword v118, off, s[0:3], 0 offset:712
	buffer_load_dword v209, off, s[0:3], 0 offset:708
	buffer_load_dword v208, off, s[0:3], 0 offset:704
	buffer_load_dword v211, off, s[0:3], 0 offset:764
	buffer_load_dword v210, off, s[0:3], 0 offset:760
	buffer_load_dword v213, off, s[0:3], 0 offset:756
	buffer_load_dword v212, off, s[0:3], 0 offset:752
	buffer_load_dword v215, off, s[0:3], 0 offset:748
	buffer_load_dword v214, off, s[0:3], 0 offset:744
	buffer_load_dword v229, off, s[0:3], 0 offset:740
	buffer_load_dword v228, off, s[0:3], 0 offset:736
	buffer_load_dword v231, off, s[0:3], 0 offset:796
	buffer_load_dword v230, off, s[0:3], 0 offset:792
	buffer_load_dword v233, off, s[0:3], 0 offset:788
	buffer_load_dword v232, off, s[0:3], 0 offset:784
	buffer_load_dword v235, off, s[0:3], 0 offset:780
	buffer_load_dword v234, off, s[0:3], 0 offset:776
	buffer_load_dword v237, off, s[0:3], 0 offset:772
	buffer_load_dword v236, off, s[0:3], 0 offset:768
	s_waitcnt vmcnt(62)
	v_fmac_f64_e32 v[110:111], v[8:9], v[70:71]
	v_add_f64 v[144:145], v[112:113], v[110:111]
	ds_read_b128 v[110:113], v1 offset:1248
	s_waitcnt lgkmcnt(1)
	v_mul_f64 v[146:147], v[2:3], v[64:65]
	v_fmac_f64_e32 v[146:147], v[4:5], v[66:67]
	v_add_f64 v[148:149], v[144:145], v[146:147]
	ds_read_b128 v[144:147], v1 offset:1264
	s_waitcnt lgkmcnt(1)
	v_mul_f64 v[150:151], v[110:111], v[82:83]
	;; [unrolled: 5-line block ×5, first 2 shown]
	v_fmac_f64_e32 v[162:163], v[154:155], v[88:89]
	v_add_f64 v[164:165], v[160:161], v[162:163]
	ds_read_b128 v[160:163], v1 offset:1328
	s_waitcnt vmcnt(58) lgkmcnt(1)
	v_mul_f64 v[166:167], v[156:157], v[98:99]
	s_waitcnt vmcnt(56)
	v_fmac_f64_e32 v[166:167], v[158:159], v[100:101]
	v_add_f64 v[168:169], v[164:165], v[166:167]
	ds_read_b128 v[164:167], v1 offset:1344
	s_waitcnt lgkmcnt(1)
	v_mul_f64 v[170:171], v[160:161], v[94:95]
	v_fmac_f64_e32 v[170:171], v[162:163], v[96:97]
	v_mul_f64 v[28:29], v[28:29], v[46:47]
	v_add_f64 v[172:173], v[168:169], v[170:171]
	ds_read_b128 v[168:171], v1 offset:1360
	s_waitcnt vmcnt(50) lgkmcnt(1)
	v_mul_f64 v[174:175], v[164:165], v[106:107]
	v_fma_f64 v[26:27], v[26:27], v[76:77], -v[28:29]
	v_mul_f64 v[24:25], v[24:25], v[52:53]
	s_waitcnt vmcnt(48)
	v_fmac_f64_e32 v[174:175], v[166:167], v[108:109]
	v_add_f64 v[26:27], v[30:31], v[26:27]
	v_fma_f64 v[22:23], v[22:23], v[74:75], -v[24:25]
	v_add_f64 v[176:177], v[172:173], v[174:175]
	ds_read_b128 v[172:175], v1 offset:1376
	v_add_f64 v[22:23], v[26:27], v[22:23]
	v_mul_f64 v[16:17], v[16:17], v[58:59]
	v_add_f64 v[18:19], v[22:23], v[18:19]
	v_fma_f64 v[14:15], v[14:15], v[72:73], -v[16:17]
	v_add_f64 v[14:15], v[18:19], v[14:15]
	v_mul_f64 v[8:9], v[8:9], v[68:69]
	s_waitcnt lgkmcnt(1)
	v_mul_f64 v[178:179], v[168:169], v[102:103]
	v_add_f64 v[10:11], v[14:15], v[10:11]
	v_fma_f64 v[6:7], v[6:7], v[70:71], -v[8:9]
	v_mul_f64 v[4:5], v[4:5], v[64:65]
	v_fmac_f64_e32 v[178:179], v[170:171], v[104:105]
	v_add_f64 v[6:7], v[10:11], v[6:7]
	v_fma_f64 v[2:3], v[2:3], v[66:67], -v[4:5]
	v_mul_f64 v[4:5], v[112:113], v[82:83]
	v_add_f64 v[180:181], v[176:177], v[178:179]
	ds_read_b128 v[176:179], v1 offset:1392
	s_waitcnt vmcnt(42) lgkmcnt(1)
	v_mul_f64 v[182:183], v[172:173], v[120:121]
	v_add_f64 v[2:3], v[6:7], v[2:3]
	v_fma_f64 v[4:5], v[110:111], v[84:85], -v[4:5]
	s_waitcnt vmcnt(40)
	v_fmac_f64_e32 v[182:183], v[174:175], v[122:123]
	v_add_f64 v[2:3], v[2:3], v[4:5]
	v_mul_f64 v[4:5], v[146:147], v[78:79]
	v_add_f64 v[184:185], v[180:181], v[182:183]
	ds_read_b128 v[180:183], v1 offset:1408
	v_fma_f64 v[4:5], v[144:145], v[80:81], -v[4:5]
	v_add_f64 v[2:3], v[2:3], v[4:5]
	v_mul_f64 v[4:5], v[150:151], v[90:91]
	v_fma_f64 v[4:5], v[148:149], v[92:93], -v[4:5]
	s_waitcnt lgkmcnt(1)
	v_mul_f64 v[186:187], v[176:177], v[114:115]
	v_add_f64 v[2:3], v[2:3], v[4:5]
	v_mul_f64 v[4:5], v[154:155], v[86:87]
	v_fmac_f64_e32 v[186:187], v[178:179], v[116:117]
	v_fma_f64 v[4:5], v[152:153], v[88:89], -v[4:5]
	v_add_f64 v[188:189], v[184:185], v[186:187]
	ds_read_b128 v[184:187], v1 offset:1424
	s_waitcnt vmcnt(34) lgkmcnt(1)
	v_mul_f64 v[190:191], v[180:181], v[128:129]
	v_add_f64 v[2:3], v[2:3], v[4:5]
	v_mul_f64 v[4:5], v[158:159], v[98:99]
	s_waitcnt vmcnt(32)
	v_fmac_f64_e32 v[190:191], v[182:183], v[130:131]
	v_fma_f64 v[4:5], v[156:157], v[100:101], -v[4:5]
	v_add_f64 v[192:193], v[188:189], v[190:191]
	ds_read_b128 v[188:191], v1 offset:1440
	v_add_f64 v[2:3], v[2:3], v[4:5]
	v_mul_f64 v[4:5], v[162:163], v[94:95]
	v_fma_f64 v[4:5], v[160:161], v[96:97], -v[4:5]
	v_add_f64 v[2:3], v[2:3], v[4:5]
	v_mul_f64 v[4:5], v[166:167], v[106:107]
	s_waitcnt lgkmcnt(1)
	v_mul_f64 v[194:195], v[184:185], v[124:125]
	v_fma_f64 v[4:5], v[164:165], v[108:109], -v[4:5]
	v_fmac_f64_e32 v[194:195], v[186:187], v[126:127]
	v_add_f64 v[2:3], v[2:3], v[4:5]
	v_mul_f64 v[4:5], v[170:171], v[102:103]
	v_add_f64 v[196:197], v[192:193], v[194:195]
	ds_read_b128 v[192:195], v1 offset:1456
	s_waitcnt vmcnt(26) lgkmcnt(1)
	v_mul_f64 v[198:199], v[188:189], v[136:137]
	v_fma_f64 v[4:5], v[168:169], v[104:105], -v[4:5]
	s_waitcnt vmcnt(24)
	v_fmac_f64_e32 v[198:199], v[190:191], v[138:139]
	v_add_f64 v[2:3], v[2:3], v[4:5]
	v_mul_f64 v[4:5], v[174:175], v[120:121]
	v_add_f64 v[200:201], v[196:197], v[198:199]
	ds_read_b128 v[196:199], v1 offset:1472
	v_fma_f64 v[4:5], v[172:173], v[122:123], -v[4:5]
	v_add_f64 v[2:3], v[2:3], v[4:5]
	v_mul_f64 v[4:5], v[178:179], v[114:115]
	v_fma_f64 v[4:5], v[176:177], v[116:117], -v[4:5]
	s_waitcnt lgkmcnt(1)
	v_mul_f64 v[202:203], v[192:193], v[132:133]
	v_add_f64 v[2:3], v[2:3], v[4:5]
	v_mul_f64 v[4:5], v[182:183], v[128:129]
	v_fmac_f64_e32 v[202:203], v[194:195], v[134:135]
	v_fma_f64 v[4:5], v[180:181], v[130:131], -v[4:5]
	v_add_f64 v[204:205], v[200:201], v[202:203]
	ds_read_b128 v[200:203], v1 offset:1488
	s_waitcnt vmcnt(18) lgkmcnt(1)
	v_mul_f64 v[206:207], v[196:197], v[118:119]
	v_add_f64 v[2:3], v[2:3], v[4:5]
	v_mul_f64 v[4:5], v[186:187], v[124:125]
	s_waitcnt vmcnt(16)
	v_fmac_f64_e32 v[206:207], v[198:199], v[208:209]
	v_fma_f64 v[4:5], v[184:185], v[126:127], -v[4:5]
	v_add_f64 v[216:217], v[204:205], v[206:207]
	ds_read_b128 v[204:207], v1 offset:1504
	v_add_f64 v[2:3], v[2:3], v[4:5]
	v_mul_f64 v[4:5], v[190:191], v[136:137]
	v_fma_f64 v[4:5], v[188:189], v[138:139], -v[4:5]
	v_add_f64 v[2:3], v[2:3], v[4:5]
	v_mul_f64 v[4:5], v[194:195], v[132:133]
	s_waitcnt lgkmcnt(1)
	v_mul_f64 v[218:219], v[200:201], v[140:141]
	v_fma_f64 v[4:5], v[192:193], v[134:135], -v[4:5]
	v_fmac_f64_e32 v[218:219], v[202:203], v[142:143]
	v_add_f64 v[2:3], v[2:3], v[4:5]
	v_mul_f64 v[4:5], v[198:199], v[118:119]
	v_add_f64 v[220:221], v[216:217], v[218:219]
	ds_read_b128 v[216:219], v1 offset:1520
	s_waitcnt vmcnt(10) lgkmcnt(1)
	v_mul_f64 v[222:223], v[204:205], v[214:215]
	v_fma_f64 v[4:5], v[196:197], v[208:209], -v[4:5]
	s_waitcnt vmcnt(8)
	v_fmac_f64_e32 v[222:223], v[206:207], v[228:229]
	v_add_f64 v[2:3], v[2:3], v[4:5]
	v_mul_f64 v[4:5], v[202:203], v[140:141]
	v_add_f64 v[238:239], v[220:221], v[222:223]
	ds_read_b128 v[220:223], v1 offset:1536
	ds_read_b128 v[224:227], v1 offset:1552
	v_fma_f64 v[4:5], v[200:201], v[142:143], -v[4:5]
	v_add_f64 v[2:3], v[2:3], v[4:5]
	v_mul_f64 v[4:5], v[206:207], v[214:215]
	v_fma_f64 v[4:5], v[204:205], v[228:229], -v[4:5]
	v_add_f64 v[2:3], v[2:3], v[4:5]
	s_waitcnt lgkmcnt(2)
	v_mul_f64 v[4:5], v[218:219], v[210:211]
	v_mul_f64 v[240:241], v[216:217], v[210:211]
	v_fma_f64 v[4:5], v[216:217], v[212:213], -v[4:5]
	v_fmac_f64_e32 v[240:241], v[218:219], v[212:213]
	v_add_f64 v[2:3], v[2:3], v[4:5]
	s_waitcnt vmcnt(2) lgkmcnt(1)
	v_mul_f64 v[4:5], v[222:223], v[234:235]
	v_add_f64 v[238:239], v[238:239], v[240:241]
	v_mul_f64 v[240:241], v[220:221], v[234:235]
	s_waitcnt vmcnt(0)
	v_fma_f64 v[4:5], v[220:221], v[236:237], -v[4:5]
	v_fmac_f64_e32 v[240:241], v[222:223], v[236:237]
	v_add_f64 v[2:3], v[2:3], v[4:5]
	s_waitcnt lgkmcnt(0)
	v_mul_f64 v[4:5], v[226:227], v[230:231]
	v_add_f64 v[238:239], v[238:239], v[240:241]
	v_mul_f64 v[240:241], v[224:225], v[230:231]
	v_fma_f64 v[4:5], v[224:225], v[232:233], -v[4:5]
	v_fmac_f64_e32 v[240:241], v[226:227], v[232:233]
	v_add_f64 v[2:3], v[2:3], v[4:5]
	v_add_f64 v[238:239], v[238:239], v[240:241]
	v_add_f64 v[2:3], v[62:63], -v[2:3]
	v_add_f64 v[4:5], v[60:61], -v[238:239]
	buffer_store_dword v3, off, s[0:3], 0 offset:324
	buffer_store_dword v2, off, s[0:3], 0 offset:320
	;; [unrolled: 1-line block ×4, first 2 shown]
	s_and_saveexec_b64 s[4:5], vcc
	s_cbranch_execz .LBB48_271
; %bb.270:
	v_accvgpr_read_b32 v0, a128
	buffer_load_dword v2, v0, s[0:3], 0 offen
	buffer_load_dword v3, v0, s[0:3], 0 offen offset:4
	buffer_load_dword v4, v0, s[0:3], 0 offen offset:8
	;; [unrolled: 1-line block ×3, first 2 shown]
	v_accvgpr_read_b32 v0, a147
	buffer_store_dword v1, off, s[0:3], 0 offset:304
	buffer_store_dword v1, off, s[0:3], 0 offset:308
	;; [unrolled: 1-line block ×4, first 2 shown]
	s_waitcnt vmcnt(4)
	ds_write_b128 v0, v[2:5]
.LBB48_271:
	s_or_b64 exec, exec, s[4:5]
	s_waitcnt lgkmcnt(0)
	; wave barrier
	s_waitcnt lgkmcnt(0)
	buffer_load_dword v48, off, s[0:3], 0 offset:320
	buffer_load_dword v49, off, s[0:3], 0 offset:324
	;; [unrolled: 1-line block ×40, first 2 shown]
	ds_read_b128 v[38:41], v1 offset:1088
	ds_read_b128 v[34:37], v1 offset:1104
	;; [unrolled: 1-line block ×10, first 2 shown]
	buffer_load_dword v83, off, s[0:3], 0 offset:492
	buffer_load_dword v82, off, s[0:3], 0 offset:488
	;; [unrolled: 1-line block ×8, first 2 shown]
	v_cmp_lt_u32_e32 vcc, 17, v254
	s_waitcnt vmcnt(44) lgkmcnt(9)
	v_mul_f64 v[90:91], v[38:39], v[50:51]
	v_fmac_f64_e32 v[90:91], v[40:41], v[48:49]
	v_add_f64 v[90:91], v[90:91], 0
	v_mul_f64 v[40:41], v[40:41], v[50:51]
	s_waitcnt vmcnt(40) lgkmcnt(8)
	v_mul_f64 v[92:93], v[34:35], v[44:45]
	v_fmac_f64_e32 v[92:93], v[36:37], v[42:43]
	s_waitcnt vmcnt(38) lgkmcnt(7)
	v_mul_f64 v[94:95], v[30:31], v[46:47]
	v_add_f64 v[90:91], v[90:91], v[92:93]
	s_waitcnt vmcnt(36) lgkmcnt(5)
	v_mul_f64 v[98:99], v[22:23], v[52:53]
	v_mul_f64 v[36:37], v[36:37], v[44:45]
	s_waitcnt vmcnt(34)
	v_fmac_f64_e32 v[98:99], v[24:25], v[54:55]
	v_fma_f64 v[34:35], v[34:35], v[42:43], -v[36:37]
	s_waitcnt vmcnt(32)
	v_mul_f64 v[96:97], v[26:27], v[56:57]
	v_mul_f64 v[24:25], v[24:25], v[52:53]
	s_waitcnt vmcnt(30) lgkmcnt(4)
	v_mul_f64 v[100:101], v[18:19], v[62:63]
	v_fma_f64 v[22:23], v[22:23], v[54:55], -v[24:25]
	s_waitcnt vmcnt(28) lgkmcnt(1)
	v_mul_f64 v[124:125], v[2:3], v[64:65]
	s_waitcnt vmcnt(25)
	v_mul_f64 v[104:105], v[6:7], v[68:69]
	s_waitcnt vmcnt(23)
	;; [unrolled: 2-line block ×3, first 2 shown]
	v_fmac_f64_e32 v[102:103], v[12:13], v[72:73]
	v_mul_f64 v[12:13], v[12:13], v[70:71]
	s_waitcnt vmcnt(19)
	v_fmac_f64_e32 v[94:95], v[32:33], v[80:81]
	v_add_f64 v[90:91], v[90:91], v[94:95]
	s_waitcnt vmcnt(17)
	v_fmac_f64_e32 v[96:97], v[28:29], v[78:79]
	v_add_f64 v[90:91], v[90:91], v[96:97]
	s_waitcnt vmcnt(15)
	v_fmac_f64_e32 v[100:101], v[20:21], v[76:77]
	v_add_f64 v[90:91], v[90:91], v[98:99]
	v_add_f64 v[90:91], v[90:91], v[100:101]
	s_waitcnt vmcnt(13)
	v_fmac_f64_e32 v[104:105], v[8:9], v[74:75]
	v_add_f64 v[90:91], v[90:91], v[102:103]
	v_add_f64 v[126:127], v[90:91], v[104:105]
	buffer_load_dword v91, off, s[0:3], 0 offset:524
	buffer_load_dword v90, off, s[0:3], 0 offset:520
	;; [unrolled: 1-line block ×72, first 2 shown]
	s_waitcnt vmcnt(62)
	v_fmac_f64_e32 v[124:125], v[4:5], v[66:67]
	v_add_f64 v[152:153], v[126:127], v[124:125]
	ds_read_b128 v[124:127], v1 offset:1248
	s_waitcnt lgkmcnt(1)
	v_mul_f64 v[154:155], v[14:15], v[86:87]
	v_fmac_f64_e32 v[154:155], v[16:17], v[88:89]
	buffer_load_dword v235, off, s[0:3], 0 offset:796
	buffer_load_dword v234, off, s[0:3], 0 offset:792
	;; [unrolled: 1-line block ×4, first 2 shown]
	v_add_f64 v[156:157], v[152:153], v[154:155]
	s_waitcnt lgkmcnt(0)
	v_mul_f64 v[158:159], v[124:125], v[82:83]
	ds_read_b128 v[152:155], v1 offset:1264
	v_fmac_f64_e32 v[158:159], v[126:127], v[84:85]
	v_add_f64 v[160:161], v[156:157], v[158:159]
	ds_read_b128 v[156:159], v1 offset:1280
	v_mul_f64 v[32:33], v[32:33], v[46:47]
	s_waitcnt lgkmcnt(1)
	v_mul_f64 v[162:163], v[152:153], v[94:95]
	v_fma_f64 v[30:31], v[30:31], v[80:81], -v[32:33]
	v_fmac_f64_e32 v[162:163], v[154:155], v[96:97]
	s_waitcnt lgkmcnt(0)
	v_mul_f64 v[166:167], v[156:157], v[90:91]
	v_add_f64 v[164:165], v[160:161], v[162:163]
	ds_read_b128 v[160:163], v1 offset:1296
	v_fmac_f64_e32 v[166:167], v[158:159], v[92:93]
	v_add_f64 v[168:169], v[164:165], v[166:167]
	ds_read_b128 v[164:167], v1 offset:1312
	v_mul_f64 v[28:29], v[28:29], v[56:57]
	s_waitcnt vmcnt(62) lgkmcnt(1)
	v_mul_f64 v[170:171], v[160:161], v[102:103]
	s_waitcnt vmcnt(60)
	v_fmac_f64_e32 v[170:171], v[162:163], v[104:105]
	v_add_f64 v[172:173], v[168:169], v[170:171]
	s_waitcnt lgkmcnt(0)
	v_mul_f64 v[174:175], v[164:165], v[98:99]
	ds_read_b128 v[168:171], v1 offset:1328
	v_fmac_f64_e32 v[174:175], v[166:167], v[100:101]
	v_add_f64 v[176:177], v[172:173], v[174:175]
	ds_read_b128 v[172:175], v1 offset:1344
	v_fma_f64 v[26:27], v[26:27], v[78:79], -v[28:29]
	s_waitcnt vmcnt(54) lgkmcnt(1)
	v_mul_f64 v[178:179], v[168:169], v[110:111]
	s_waitcnt vmcnt(52)
	v_fmac_f64_e32 v[178:179], v[170:171], v[112:113]
	v_add_f64 v[180:181], v[176:177], v[178:179]
	s_waitcnt lgkmcnt(0)
	v_mul_f64 v[182:183], v[172:173], v[106:107]
	ds_read_b128 v[176:179], v1 offset:1360
	v_fmac_f64_e32 v[182:183], v[174:175], v[108:109]
	v_add_f64 v[184:185], v[180:181], v[182:183]
	ds_read_b128 v[180:183], v1 offset:1376
	v_mul_f64 v[20:21], v[20:21], v[62:63]
	s_waitcnt vmcnt(46) lgkmcnt(1)
	v_mul_f64 v[186:187], v[176:177], v[120:121]
	s_waitcnt vmcnt(44)
	v_fmac_f64_e32 v[186:187], v[178:179], v[122:123]
	v_add_f64 v[188:189], v[184:185], v[186:187]
	s_waitcnt lgkmcnt(0)
	v_mul_f64 v[190:191], v[180:181], v[114:115]
	ds_read_b128 v[184:187], v1 offset:1392
	v_fmac_f64_e32 v[190:191], v[182:183], v[116:117]
	v_add_f64 v[192:193], v[188:189], v[190:191]
	ds_read_b128 v[188:191], v1 offset:1408
	v_fma_f64 v[18:19], v[18:19], v[76:77], -v[20:21]
	s_waitcnt vmcnt(38) lgkmcnt(1)
	v_mul_f64 v[194:195], v[184:185], v[132:133]
	s_waitcnt vmcnt(36)
	v_fmac_f64_e32 v[194:195], v[186:187], v[134:135]
	v_add_f64 v[196:197], v[192:193], v[194:195]
	s_waitcnt lgkmcnt(0)
	v_mul_f64 v[198:199], v[188:189], v[128:129]
	ds_read_b128 v[192:195], v1 offset:1424
	v_fmac_f64_e32 v[198:199], v[190:191], v[130:131]
	v_add_f64 v[200:201], v[196:197], v[198:199]
	ds_read_b128 v[196:199], v1 offset:1440
	v_fma_f64 v[10:11], v[10:11], v[72:73], -v[12:13]
	s_waitcnt vmcnt(30) lgkmcnt(1)
	v_mul_f64 v[202:203], v[192:193], v[140:141]
	s_waitcnt vmcnt(28)
	v_fmac_f64_e32 v[202:203], v[194:195], v[142:143]
	v_add_f64 v[204:205], v[200:201], v[202:203]
	s_waitcnt lgkmcnt(0)
	v_mul_f64 v[206:207], v[196:197], v[136:137]
	ds_read_b128 v[200:203], v1 offset:1456
	v_fmac_f64_e32 v[206:207], v[198:199], v[138:139]
	v_add_f64 v[216:217], v[204:205], v[206:207]
	ds_read_b128 v[204:207], v1 offset:1472
	v_mul_f64 v[8:9], v[8:9], v[68:69]
	s_waitcnt vmcnt(22) lgkmcnt(1)
	v_mul_f64 v[218:219], v[200:201], v[148:149]
	s_waitcnt vmcnt(20)
	v_fmac_f64_e32 v[218:219], v[202:203], v[150:151]
	v_add_f64 v[220:221], v[216:217], v[218:219]
	s_waitcnt lgkmcnt(0)
	v_mul_f64 v[222:223], v[204:205], v[144:145]
	ds_read_b128 v[216:219], v1 offset:1488
	v_fmac_f64_e32 v[222:223], v[206:207], v[146:147]
	v_add_f64 v[224:225], v[220:221], v[222:223]
	ds_read_b128 v[220:223], v1 offset:1504
	v_fma_f64 v[6:7], v[6:7], v[74:75], -v[8:9]
	s_waitcnt vmcnt(14) lgkmcnt(1)
	v_mul_f64 v[226:227], v[216:217], v[210:211]
	s_waitcnt vmcnt(12)
	v_fmac_f64_e32 v[226:227], v[218:219], v[212:213]
	v_add_f64 v[238:239], v[224:225], v[226:227]
	s_waitcnt lgkmcnt(0)
	v_mul_f64 v[240:241], v[220:221], v[118:119]
	v_fmac_f64_e32 v[240:241], v[222:223], v[208:209]
	v_add_f64 v[238:239], v[238:239], v[240:241]
	v_fma_f64 v[240:241], v[38:39], v[48:49], -v[40:41]
	v_add_f64 v[240:241], v[240:241], 0
	v_add_f64 v[34:35], v[240:241], v[34:35]
	v_add_f64 v[30:31], v[34:35], v[30:31]
	v_add_f64 v[26:27], v[30:31], v[26:27]
	v_add_f64 v[22:23], v[26:27], v[22:23]
	v_add_f64 v[18:19], v[22:23], v[18:19]
	v_add_f64 v[10:11], v[18:19], v[10:11]
	v_mul_f64 v[4:5], v[4:5], v[64:65]
	v_add_f64 v[6:7], v[10:11], v[6:7]
	v_fma_f64 v[2:3], v[2:3], v[66:67], -v[4:5]
	v_mul_f64 v[4:5], v[16:17], v[86:87]
	v_add_f64 v[2:3], v[6:7], v[2:3]
	v_fma_f64 v[4:5], v[14:15], v[88:89], -v[4:5]
	v_add_f64 v[2:3], v[2:3], v[4:5]
	v_mul_f64 v[4:5], v[126:127], v[82:83]
	v_fma_f64 v[4:5], v[124:125], v[84:85], -v[4:5]
	v_add_f64 v[2:3], v[2:3], v[4:5]
	v_mul_f64 v[4:5], v[154:155], v[94:95]
	;; [unrolled: 3-line block ×15, first 2 shown]
	ds_read_b128 v[224:227], v1 offset:1520
	ds_read_b128 v[38:41], v1 offset:1536
	v_fma_f64 v[4:5], v[204:205], v[146:147], -v[4:5]
	v_add_f64 v[2:3], v[2:3], v[4:5]
	v_mul_f64 v[4:5], v[218:219], v[210:211]
	v_fma_f64 v[4:5], v[216:217], v[212:213], -v[4:5]
	v_add_f64 v[2:3], v[2:3], v[4:5]
	v_mul_f64 v[4:5], v[222:223], v[118:119]
	ds_read_b128 v[48:51], v1 offset:1552
	v_fma_f64 v[4:5], v[220:221], v[208:209], -v[4:5]
	v_add_f64 v[2:3], v[2:3], v[4:5]
	s_waitcnt vmcnt(6) lgkmcnt(2)
	v_mul_f64 v[4:5], v[226:227], v[230:231]
	v_mul_f64 v[242:243], v[224:225], v[230:231]
	s_waitcnt vmcnt(4)
	v_fma_f64 v[4:5], v[224:225], v[232:233], -v[4:5]
	v_fmac_f64_e32 v[242:243], v[226:227], v[232:233]
	v_add_f64 v[2:3], v[2:3], v[4:5]
	s_waitcnt lgkmcnt(1)
	v_mul_f64 v[4:5], v[40:41], v[214:215]
	v_add_f64 v[238:239], v[238:239], v[242:243]
	v_mul_f64 v[242:243], v[38:39], v[214:215]
	v_fma_f64 v[4:5], v[38:39], v[228:229], -v[4:5]
	v_fmac_f64_e32 v[242:243], v[40:41], v[228:229]
	v_add_f64 v[2:3], v[2:3], v[4:5]
	s_waitcnt vmcnt(2) lgkmcnt(0)
	v_mul_f64 v[4:5], v[50:51], v[234:235]
	v_add_f64 v[238:239], v[238:239], v[242:243]
	v_mul_f64 v[242:243], v[48:49], v[234:235]
	s_waitcnt vmcnt(0)
	v_fma_f64 v[4:5], v[48:49], v[236:237], -v[4:5]
	v_fmac_f64_e32 v[242:243], v[50:51], v[236:237]
	v_add_f64 v[2:3], v[2:3], v[4:5]
	v_add_f64 v[238:239], v[238:239], v[242:243]
	v_add_f64 v[2:3], v[60:61], -v[2:3]
	v_add_f64 v[4:5], v[58:59], -v[238:239]
	buffer_store_dword v3, off, s[0:3], 0 offset:308
	buffer_store_dword v2, off, s[0:3], 0 offset:304
	;; [unrolled: 1-line block ×4, first 2 shown]
	s_and_saveexec_b64 s[4:5], vcc
	s_cbranch_execz .LBB48_273
; %bb.272:
	v_accvgpr_read_b32 v0, a129
	buffer_load_dword v2, v0, s[0:3], 0 offen
	buffer_load_dword v3, v0, s[0:3], 0 offen offset:4
	buffer_load_dword v4, v0, s[0:3], 0 offen offset:8
	buffer_load_dword v5, v0, s[0:3], 0 offen offset:12
	v_mov_b32_e32 v0, 0
	v_accvgpr_read_b32 v1, a147
	buffer_store_dword v0, off, s[0:3], 0 offset:288
	buffer_store_dword v0, off, s[0:3], 0 offset:292
	;; [unrolled: 1-line block ×4, first 2 shown]
	s_waitcnt vmcnt(4)
	ds_write_b128 v1, v[2:5]
.LBB48_273:
	s_or_b64 exec, exec, s[4:5]
	s_waitcnt lgkmcnt(0)
	; wave barrier
	s_waitcnt lgkmcnt(0)
	buffer_load_dword v106, off, s[0:3], 0 offset:304
	buffer_load_dword v107, off, s[0:3], 0 offset:308
	;; [unrolled: 1-line block ×49, first 2 shown]
	v_mov_b32_e32 v1, 0
	ds_read_b128 v[110:113], v1 offset:1072
	ds_read_b128 v[250:253], v1 offset:1088
	;; [unrolled: 1-line block ×10, first 2 shown]
	buffer_load_dword v160, off, s[0:3], 0 offset:496
	buffer_load_dword v175, off, s[0:3], 0 offset:492
	;; [unrolled: 1-line block ×69, first 2 shown]
	v_accvgpr_write_b32 a146, v254
	v_cmp_lt_u32_e32 vcc, 16, v254
	s_waitcnt vmcnt(62) lgkmcnt(9)
	v_mul_f64 v[34:35], v[110:111], v[108:109]
	v_fmac_f64_e32 v[34:35], v[112:113], v[106:107]
	v_add_f64 v[34:35], v[34:35], 0
	v_mul_f64 v[108:109], v[112:113], v[108:109]
	s_waitcnt lgkmcnt(8)
	v_mul_f64 v[36:37], v[250:251], v[116:117]
	v_fmac_f64_e32 v[36:37], v[252:253], v[114:115]
	s_waitcnt lgkmcnt(7)
	v_mul_f64 v[38:39], v[30:31], v[120:121]
	v_add_f64 v[34:35], v[34:35], v[36:37]
	s_waitcnt lgkmcnt(5)
	v_mul_f64 v[42:43], v[22:23], v[122:123]
	v_mul_f64 v[116:117], v[252:253], v[116:117]
	v_fmac_f64_e32 v[42:43], v[24:25], v[124:125]
	v_fma_f64 v[248:249], v[110:111], v[106:107], -v[108:109]
	v_mul_f64 v[40:41], v[26:27], v[126:127]
	v_fma_f64 v[250:251], v[250:251], v[114:115], -v[116:117]
	s_waitcnt lgkmcnt(3)
	v_mul_f64 v[46:47], v[14:15], v[128:129]
	v_mul_f64 v[24:25], v[24:25], v[122:123]
	v_fmac_f64_e32 v[46:47], v[16:17], v[130:131]
	v_fma_f64 v[22:23], v[22:23], v[124:125], -v[24:25]
	v_mul_f64 v[44:45], v[18:19], v[132:133]
	v_mul_f64 v[16:17], v[16:17], v[128:129]
	s_waitcnt lgkmcnt(1)
	v_mul_f64 v[50:51], v[6:7], v[134:135]
	v_fma_f64 v[14:15], v[14:15], v[130:131], -v[16:17]
	v_fmac_f64_e32 v[50:51], v[8:9], v[136:137]
	v_mul_f64 v[8:9], v[8:9], v[134:135]
	v_mul_f64 v[48:49], v[10:11], v[142:143]
	v_fma_f64 v[6:7], v[6:7], v[136:137], -v[8:9]
	s_waitcnt lgkmcnt(0)
	v_mul_f64 v[52:53], v[2:3], v[138:139]
	v_fmac_f64_e32 v[38:39], v[32:33], v[154:155]
	v_add_f64 v[34:35], v[34:35], v[38:39]
	v_fmac_f64_e32 v[40:41], v[28:29], v[152:153]
	v_add_f64 v[34:35], v[34:35], v[40:41]
	;; [unrolled: 2-line block ×3, first 2 shown]
	v_add_f64 v[34:35], v[34:35], v[44:45]
	v_fmac_f64_e32 v[48:49], v[12:13], v[148:149]
	v_add_f64 v[34:35], v[34:35], v[46:47]
	v_add_f64 v[34:35], v[34:35], v[48:49]
	v_fmac_f64_e32 v[52:53], v[4:5], v[146:147]
	v_add_f64 v[34:35], v[34:35], v[50:51]
	v_add_f64 v[42:43], v[34:35], v[52:53]
	ds_read_b128 v[38:41], v1 offset:1232
	ds_read_b128 v[34:37], v1 offset:1248
	buffer_load_dword v231, off, s[0:3], 0 offset:796
	buffer_load_dword v230, off, s[0:3], 0 offset:792
	;; [unrolled: 1-line block ×8, first 2 shown]
	ds_read_b128 v[110:113], v1 offset:1520
	ds_read_b128 v[106:109], v1 offset:1536
	s_waitcnt lgkmcnt(3)
	v_mul_f64 v[44:45], v[38:39], v[144:145]
	v_fmac_f64_e32 v[44:45], v[40:41], v[156:157]
	v_add_f64 v[46:47], v[42:43], v[44:45]
	ds_read_b128 v[42:45], v1 offset:1264
	s_waitcnt lgkmcnt(3)
	v_mul_f64 v[48:49], v[34:35], v[174:175]
	v_fmac_f64_e32 v[48:49], v[36:37], v[178:179]
	v_add_f64 v[50:51], v[46:47], v[48:49]
	;; [unrolled: 5-line block ×3, first 2 shown]
	ds_read_b128 v[50:53], v1 offset:1296
	s_waitcnt vmcnt(62) lgkmcnt(1)
	v_mul_f64 v[56:57], v[46:47], v[182:183]
	v_fmac_f64_e32 v[56:57], v[48:49], v[186:187]
	v_add_f64 v[58:59], v[54:55], v[56:57]
	ds_read_b128 v[54:57], v1 offset:1312
	s_waitcnt lgkmcnt(1)
	v_mul_f64 v[60:61], v[50:51], v[162:163]
	v_fmac_f64_e32 v[60:61], v[52:53], v[164:165]
	v_add_f64 v[62:63], v[58:59], v[60:61]
	ds_read_b128 v[58:61], v1 offset:1328
	s_waitcnt vmcnt(58) lgkmcnt(1)
	v_mul_f64 v[64:65], v[54:55], v[190:191]
	s_waitcnt vmcnt(56)
	v_fmac_f64_e32 v[64:65], v[56:57], v[194:195]
	v_add_f64 v[66:67], v[62:63], v[64:65]
	ds_read_b128 v[62:65], v1 offset:1344
	s_waitcnt lgkmcnt(1)
	v_mul_f64 v[68:69], v[58:59], v[166:167]
	v_fmac_f64_e32 v[68:69], v[60:61], v[168:169]
	v_add_f64 v[70:71], v[66:67], v[68:69]
	ds_read_b128 v[66:69], v1 offset:1360
	s_waitcnt vmcnt(50) lgkmcnt(1)
	v_mul_f64 v[72:73], v[62:63], v[198:199]
	s_waitcnt vmcnt(48)
	;; [unrolled: 11-line block ×5, first 2 shown]
	v_fmac_f64_e32 v[96:97], v[88:89], v[228:229]
	v_add_f64 v[98:99], v[94:95], v[96:97]
	ds_read_b128 v[94:97], v1 offset:1472
	s_waitcnt lgkmcnt(1)
	v_mul_f64 v[100:101], v[90:91], v[192:193]
	v_fmac_f64_e32 v[100:101], v[92:93], v[196:197]
	v_add_f64 v[118:119], v[98:99], v[100:101]
	ds_read_b128 v[98:101], v1 offset:1488
	ds_read_b128 v[102:105], v1 offset:1504
	;; [unrolled: 1-line block ×3, first 2 shown]
	buffer_load_dword v252, off, s[0:3], 0 offset:296
	buffer_load_dword v253, off, s[0:3], 0 offset:300
	s_waitcnt vmcnt(20) lgkmcnt(3)
	v_mul_f64 v[208:209], v[94:95], v[232:233]
	s_waitcnt vmcnt(18)
	v_fmac_f64_e32 v[208:209], v[96:97], v[236:237]
	v_add_f64 v[118:119], v[118:119], v[208:209]
	s_waitcnt lgkmcnt(2)
	v_mul_f64 v[208:209], v[98:99], v[200:201]
	v_fmac_f64_e32 v[208:209], v[100:101], v[204:205]
	v_add_f64 v[118:119], v[118:119], v[208:209]
	s_waitcnt vmcnt(12) lgkmcnt(1)
	v_mul_f64 v[208:209], v[102:103], v[238:239]
	s_waitcnt vmcnt(10)
	v_fmac_f64_e32 v[208:209], v[104:105], v[240:241]
	v_add_f64 v[118:119], v[118:119], v[208:209]
	v_mul_f64 v[208:209], v[110:111], v[216:217]
	v_fmac_f64_e32 v[208:209], v[112:113], v[220:221]
	v_add_f64 v[118:119], v[118:119], v[208:209]
	s_waitcnt vmcnt(4)
	v_mul_f64 v[208:209], v[106:107], v[242:243]
	v_mul_f64 v[32:33], v[32:33], v[120:121]
	s_waitcnt vmcnt(2)
	v_fmac_f64_e32 v[208:209], v[108:109], v[244:245]
	v_add_f64 v[118:119], v[118:119], v[208:209]
	s_waitcnt lgkmcnt(0)
	v_mul_f64 v[208:209], v[114:115], v[230:231]
	v_fmac_f64_e32 v[208:209], v[116:117], v[234:235]
	v_add_f64 v[246:247], v[118:119], v[208:209]
	v_add_f64 v[118:119], v[248:249], 0
	;; [unrolled: 1-line block ×3, first 2 shown]
	v_fma_f64 v[30:31], v[30:31], v[154:155], -v[32:33]
	v_mul_f64 v[28:29], v[28:29], v[126:127]
	v_add_f64 v[30:31], v[118:119], v[30:31]
	v_fma_f64 v[26:27], v[26:27], v[152:153], -v[28:29]
	v_add_f64 v[26:27], v[30:31], v[26:27]
	v_mul_f64 v[20:21], v[20:21], v[132:133]
	v_add_f64 v[22:23], v[26:27], v[22:23]
	v_fma_f64 v[18:19], v[18:19], v[150:151], -v[20:21]
	v_add_f64 v[18:19], v[22:23], v[18:19]
	;; [unrolled: 4-line block ×3, first 2 shown]
	v_mul_f64 v[4:5], v[4:5], v[138:139]
	v_add_f64 v[6:7], v[10:11], v[6:7]
	v_fma_f64 v[2:3], v[2:3], v[146:147], -v[4:5]
	v_mul_f64 v[4:5], v[40:41], v[144:145]
	v_add_f64 v[2:3], v[6:7], v[2:3]
	v_fma_f64 v[4:5], v[38:39], v[156:157], -v[4:5]
	v_add_f64 v[2:3], v[2:3], v[4:5]
	v_mul_f64 v[4:5], v[36:37], v[174:175]
	v_fma_f64 v[4:5], v[34:35], v[178:179], -v[4:5]
	v_add_f64 v[2:3], v[2:3], v[4:5]
	v_mul_f64 v[4:5], v[44:45], v[158:159]
	;; [unrolled: 3-line block ×20, first 2 shown]
	v_fma_f64 v[4:5], v[114:115], v[234:235], -v[4:5]
	v_add_f64 v[2:3], v[2:3], v[4:5]
	v_add_f64 v[2:3], v[140:141], -v[2:3]
	s_waitcnt vmcnt(0)
	v_add_f64 v[4:5], v[252:253], -v[246:247]
	buffer_store_dword v3, off, s[0:3], 0 offset:292
	buffer_store_dword v2, off, s[0:3], 0 offset:288
	;; [unrolled: 1-line block ×4, first 2 shown]
	s_and_saveexec_b64 s[4:5], vcc
	s_cbranch_execz .LBB48_275
; %bb.274:
	v_accvgpr_read_b32 v0, a130
	buffer_load_dword v2, v0, s[0:3], 0 offen
	buffer_load_dword v3, v0, s[0:3], 0 offen offset:4
	buffer_load_dword v4, v0, s[0:3], 0 offen offset:8
	;; [unrolled: 1-line block ×3, first 2 shown]
	v_accvgpr_read_b32 v0, a147
	buffer_store_dword v1, off, s[0:3], 0 offset:272
	buffer_store_dword v1, off, s[0:3], 0 offset:276
	;; [unrolled: 1-line block ×4, first 2 shown]
	s_waitcnt vmcnt(4)
	ds_write_b128 v0, v[2:5]
.LBB48_275:
	s_or_b64 exec, exec, s[4:5]
	s_waitcnt lgkmcnt(0)
	; wave barrier
	s_waitcnt lgkmcnt(0)
	buffer_load_dword v112, off, s[0:3], 0 offset:288
	buffer_load_dword v113, off, s[0:3], 0 offset:292
	;; [unrolled: 1-line block ×36, first 2 shown]
	ds_read_b128 v[102:105], v1 offset:1056
	ds_read_b128 v[106:109], v1 offset:1072
	;; [unrolled: 1-line block ×9, first 2 shown]
	buffer_load_dword v145, off, s[0:3], 0 offset:460
	buffer_load_dword v144, off, s[0:3], 0 offset:456
	;; [unrolled: 1-line block ×78, first 2 shown]
	v_accvgpr_read_b32 v214, a146
	v_cmp_lt_u32_e32 vcc, 15, v214
	s_waitcnt vmcnt(62) lgkmcnt(8)
	v_mul_f64 v[26:27], v[102:103], v[246:247]
	v_fmac_f64_e32 v[26:27], v[104:105], v[112:113]
	v_add_f64 v[26:27], v[26:27], 0
	v_mul_f64 v[104:105], v[104:105], v[246:247]
	s_waitcnt lgkmcnt(7)
	v_mul_f64 v[28:29], v[106:107], v[248:249]
	v_fmac_f64_e32 v[28:29], v[108:109], v[110:111]
	s_waitcnt lgkmcnt(6)
	v_mul_f64 v[30:31], v[114:115], v[244:245]
	v_add_f64 v[26:27], v[26:27], v[28:29]
	s_waitcnt lgkmcnt(4)
	v_mul_f64 v[34:35], v[18:19], v[120:121]
	v_fma_f64 v[246:247], v[102:103], v[112:113], -v[104:105]
	v_fmac_f64_e32 v[34:35], v[20:21], v[122:123]
	v_mul_f64 v[108:109], v[108:109], v[248:249]
	v_mul_f64 v[32:33], v[22:23], v[124:125]
	v_fma_f64 v[248:249], v[106:107], v[110:111], -v[108:109]
	s_waitcnt lgkmcnt(2)
	v_mul_f64 v[38:39], v[10:11], v[126:127]
	v_mul_f64 v[20:21], v[20:21], v[120:121]
	v_fmac_f64_e32 v[38:39], v[12:13], v[128:129]
	v_fma_f64 v[18:19], v[18:19], v[122:123], -v[20:21]
	v_mul_f64 v[36:37], v[14:15], v[132:133]
	v_mul_f64 v[12:13], v[12:13], v[126:127]
	s_waitcnt lgkmcnt(1)
	v_mul_f64 v[40:41], v[6:7], v[130:131]
	v_fma_f64 v[10:11], v[10:11], v[128:129], -v[12:13]
	v_fmac_f64_e32 v[30:31], v[116:117], v[250:251]
	v_add_f64 v[26:27], v[26:27], v[30:31]
	v_fmac_f64_e32 v[32:33], v[24:25], v[140:141]
	v_add_f64 v[26:27], v[26:27], v[32:33]
	;; [unrolled: 2-line block ×3, first 2 shown]
	v_add_f64 v[26:27], v[26:27], v[36:37]
	v_fmac_f64_e32 v[40:41], v[8:9], v[136:137]
	v_add_f64 v[30:31], v[26:27], v[38:39]
	v_add_f64 v[30:31], v[30:31], v[40:41]
	s_waitcnt lgkmcnt(0)
	v_mul_f64 v[32:33], v[2:3], v[134:135]
	v_fmac_f64_e32 v[32:33], v[4:5], v[142:143]
	ds_read_b128 v[26:29], v1 offset:1200
	v_add_f64 v[34:35], v[30:31], v[32:33]
	ds_read_b128 v[30:33], v1 offset:1216
	buffer_load_dword v231, off, s[0:3], 0 offset:724
	buffer_load_dword v230, off, s[0:3], 0 offset:720
	v_mul_f64 v[116:117], v[116:117], v[244:245]
	s_waitcnt lgkmcnt(1)
	v_mul_f64 v[36:37], v[26:27], v[148:149]
	v_fmac_f64_e32 v[36:37], v[28:29], v[150:151]
	v_add_f64 v[38:39], v[34:35], v[36:37]
	ds_read_b128 v[34:37], v1 offset:1232
	s_waitcnt lgkmcnt(1)
	v_mul_f64 v[40:41], v[30:31], v[144:145]
	v_fmac_f64_e32 v[40:41], v[32:33], v[146:147]
	v_add_f64 v[42:43], v[38:39], v[40:41]
	ds_read_b128 v[38:41], v1 offset:1248
	;; [unrolled: 5-line block ×4, first 2 shown]
	buffer_load_dword v233, off, s[0:3], 0 offset:780
	buffer_load_dword v235, off, s[0:3], 0 offset:764
	;; [unrolled: 1-line block ×12, first 2 shown]
	s_waitcnt vmcnt(62) lgkmcnt(1)
	v_mul_f64 v[52:53], v[42:43], v[176:177]
	v_fmac_f64_e32 v[52:53], v[44:45], v[180:181]
	v_add_f64 v[54:55], v[50:51], v[52:53]
	ds_read_b128 v[50:53], v1 offset:1296
	s_waitcnt lgkmcnt(1)
	v_mul_f64 v[56:57], v[46:47], v[156:157]
	v_fmac_f64_e32 v[56:57], v[48:49], v[158:159]
	v_add_f64 v[58:59], v[54:55], v[56:57]
	ds_read_b128 v[54:57], v1 offset:1312
	s_waitcnt lgkmcnt(1)
	v_mul_f64 v[60:61], v[50:51], v[184:185]
	s_waitcnt vmcnt(60)
	v_fmac_f64_e32 v[60:61], v[52:53], v[188:189]
	v_add_f64 v[62:63], v[58:59], v[60:61]
	ds_read_b128 v[58:61], v1 offset:1328
	s_waitcnt lgkmcnt(1)
	v_mul_f64 v[64:65], v[54:55], v[164:165]
	v_fmac_f64_e32 v[64:65], v[56:57], v[166:167]
	v_add_f64 v[66:67], v[62:63], v[64:65]
	ds_read_b128 v[62:65], v1 offset:1344
	s_waitcnt vmcnt(54) lgkmcnt(1)
	v_mul_f64 v[68:69], v[58:59], v[192:193]
	s_waitcnt vmcnt(52)
	v_fmac_f64_e32 v[68:69], v[60:61], v[196:197]
	v_add_f64 v[70:71], v[66:67], v[68:69]
	ds_read_b128 v[66:69], v1 offset:1360
	s_waitcnt lgkmcnt(1)
	v_mul_f64 v[72:73], v[62:63], v[168:169]
	v_fmac_f64_e32 v[72:73], v[64:65], v[170:171]
	v_add_f64 v[74:75], v[70:71], v[72:73]
	ds_read_b128 v[70:73], v1 offset:1376
	s_waitcnt vmcnt(46) lgkmcnt(1)
	;; [unrolled: 11-line block ×4, first 2 shown]
	v_mul_f64 v[92:93], v[82:83], v[220:221]
	s_waitcnt vmcnt(28)
	v_fmac_f64_e32 v[92:93], v[84:85], v[222:223]
	v_add_f64 v[98:99], v[90:91], v[92:93]
	ds_read_b128 v[90:93], v1 offset:1456
	ds_read_b128 v[94:97], v1 offset:1472
	s_waitcnt lgkmcnt(2)
	v_mul_f64 v[100:101], v[86:87], v[186:187]
	v_fmac_f64_e32 v[100:101], v[88:89], v[190:191]
	v_add_f64 v[98:99], v[98:99], v[100:101]
	s_waitcnt vmcnt(22) lgkmcnt(1)
	v_mul_f64 v[100:101], v[90:91], v[224:225]
	s_waitcnt vmcnt(20)
	v_fmac_f64_e32 v[100:101], v[92:93], v[226:227]
	v_add_f64 v[98:99], v[98:99], v[100:101]
	s_waitcnt lgkmcnt(0)
	v_mul_f64 v[100:101], v[94:95], v[194:195]
	v_fmac_f64_e32 v[100:101], v[96:97], v[198:199]
	v_add_f64 v[118:119], v[98:99], v[100:101]
	ds_read_b128 v[98:101], v1 offset:1488
	ds_read_b128 v[102:105], v1 offset:1504
	;; [unrolled: 1-line block ×3, first 2 shown]
	v_fma_f64 v[250:251], v[114:115], v[250:251], -v[116:117]
	ds_read_b128 v[114:117], v1 offset:1552
	s_waitcnt vmcnt(14) lgkmcnt(3)
	v_mul_f64 v[112:113], v[98:99], v[228:229]
	s_waitcnt lgkmcnt(2)
	v_mul_f64 v[110:111], v[102:103], v[202:203]
	s_waitcnt vmcnt(12)
	v_fmac_f64_e32 v[112:113], v[100:101], v[230:231]
	v_add_f64 v[112:113], v[118:119], v[112:113]
	v_fmac_f64_e32 v[110:111], v[104:105], v[206:207]
	v_add_f64 v[118:119], v[112:113], v[110:111]
	ds_read_b128 v[110:113], v1 offset:1536
	buffer_load_dword v254, off, s[0:3], 0 offset:272
	buffer_load_dword v255, off, s[0:3], 0 offset:276
	;; [unrolled: 1-line block ×4, first 2 shown]
	v_mul_f64 v[24:25], v[24:25], v[124:125]
	v_fma_f64 v[22:23], v[22:23], v[140:141], -v[24:25]
	v_mul_f64 v[16:17], v[16:17], v[132:133]
	s_waitcnt vmcnt(13) lgkmcnt(2)
	v_mul_f64 v[208:209], v[106:107], v[234:235]
	v_fma_f64 v[14:15], v[14:15], v[138:139], -v[16:17]
	s_waitcnt vmcnt(11)
	v_fmac_f64_e32 v[208:209], v[108:109], v[240:241]
	v_add_f64 v[118:119], v[118:119], v[208:209]
	s_waitcnt vmcnt(10) lgkmcnt(0)
	v_mul_f64 v[208:209], v[110:111], v[232:233]
	s_waitcnt vmcnt(8)
	v_fmac_f64_e32 v[208:209], v[112:113], v[238:239]
	v_add_f64 v[118:119], v[118:119], v[208:209]
	s_waitcnt vmcnt(6)
	v_mul_f64 v[208:209], v[114:115], v[236:237]
	v_mul_f64 v[8:9], v[8:9], v[130:131]
	s_waitcnt vmcnt(4)
	v_fmac_f64_e32 v[208:209], v[116:117], v[242:243]
	v_add_f64 v[244:245], v[118:119], v[208:209]
	v_add_f64 v[118:119], v[246:247], 0
	;; [unrolled: 1-line block ×8, first 2 shown]
	v_fma_f64 v[6:7], v[6:7], v[136:137], -v[8:9]
	v_mul_f64 v[4:5], v[4:5], v[134:135]
	v_add_f64 v[6:7], v[10:11], v[6:7]
	v_fma_f64 v[2:3], v[2:3], v[142:143], -v[4:5]
	v_mul_f64 v[4:5], v[28:29], v[148:149]
	v_add_f64 v[2:3], v[6:7], v[2:3]
	v_fma_f64 v[4:5], v[26:27], v[150:151], -v[4:5]
	v_add_f64 v[2:3], v[2:3], v[4:5]
	v_mul_f64 v[4:5], v[32:33], v[144:145]
	v_fma_f64 v[4:5], v[30:31], v[146:147], -v[4:5]
	v_add_f64 v[2:3], v[2:3], v[4:5]
	v_mul_f64 v[4:5], v[36:37], v[160:161]
	;; [unrolled: 3-line block ×22, first 2 shown]
	v_fma_f64 v[4:5], v[114:115], v[242:243], -v[4:5]
	v_add_f64 v[2:3], v[2:3], v[4:5]
	s_waitcnt vmcnt(2)
	v_add_f64 v[2:3], v[254:255], -v[2:3]
	s_waitcnt vmcnt(0)
	v_add_f64 v[4:5], v[252:253], -v[244:245]
	buffer_store_dword v3, off, s[0:3], 0 offset:276
	buffer_store_dword v2, off, s[0:3], 0 offset:272
	;; [unrolled: 1-line block ×4, first 2 shown]
	s_and_saveexec_b64 s[4:5], vcc
	s_cbranch_execz .LBB48_277
; %bb.276:
	v_accvgpr_read_b32 v0, a131
	buffer_load_dword v2, v0, s[0:3], 0 offen
	buffer_load_dword v3, v0, s[0:3], 0 offen offset:4
	buffer_load_dword v4, v0, s[0:3], 0 offen offset:8
	;; [unrolled: 1-line block ×3, first 2 shown]
	v_mov_b32_e32 v0, 0
	v_accvgpr_read_b32 v1, a147
	buffer_store_dword v0, off, s[0:3], 0 offset:256
	buffer_store_dword v0, off, s[0:3], 0 offset:260
	;; [unrolled: 1-line block ×4, first 2 shown]
	s_waitcnt vmcnt(4)
	ds_write_b128 v1, v[2:5]
.LBB48_277:
	s_or_b64 exec, exec, s[4:5]
	s_waitcnt lgkmcnt(0)
	; wave barrier
	s_waitcnt lgkmcnt(0)
	buffer_load_dword v94, off, s[0:3], 0 offset:272
	buffer_load_dword v95, off, s[0:3], 0 offset:276
	;; [unrolled: 1-line block ×52, first 2 shown]
	v_mov_b32_e32 v1, 0
	ds_read_b128 v[102:105], v1 offset:1040
	ds_read_b128 v[114:117], v1 offset:1056
	;; [unrolled: 1-line block ×10, first 2 shown]
	v_cmp_lt_u32_e32 vcc, 14, v214
	s_waitcnt vmcnt(48) lgkmcnt(9)
	v_mul_f64 v[26:27], v[102:103], v[96:97]
	v_fmac_f64_e32 v[26:27], v[104:105], v[94:95]
	v_add_f64 v[26:27], v[26:27], 0
	v_mul_f64 v[96:97], v[104:105], v[96:97]
	s_waitcnt vmcnt(44) lgkmcnt(8)
	v_mul_f64 v[28:29], v[114:115], v[100:101]
	v_fmac_f64_e32 v[28:29], v[116:117], v[98:99]
	s_waitcnt vmcnt(42) lgkmcnt(7)
	v_mul_f64 v[30:31], v[244:245], v[106:107]
	v_add_f64 v[26:27], v[26:27], v[28:29]
	s_waitcnt vmcnt(40) lgkmcnt(5)
	v_mul_f64 v[34:35], v[22:23], v[122:123]
	v_fma_f64 v[208:209], v[102:103], v[94:95], -v[96:97]
	s_waitcnt vmcnt(38)
	v_fmac_f64_e32 v[34:35], v[24:25], v[126:127]
	v_mul_f64 v[100:101], v[116:117], v[100:101]
	s_waitcnt vmcnt(36)
	v_mul_f64 v[32:33], v[250:251], v[110:111]
	v_fma_f64 v[210:211], v[114:115], v[98:99], -v[100:101]
	s_waitcnt vmcnt(34) lgkmcnt(3)
	v_mul_f64 v[38:39], v[14:15], v[120:121]
	v_mul_f64 v[106:107], v[246:247], v[106:107]
	s_waitcnt vmcnt(32)
	v_fmac_f64_e32 v[38:39], v[16:17], v[124:125]
	v_mul_f64 v[110:111], v[252:253], v[110:111]
	s_waitcnt vmcnt(30)
	v_mul_f64 v[36:37], v[18:19], v[132:133]
	v_mul_f64 v[24:25], v[24:25], v[122:123]
	v_fma_f64 v[22:23], v[22:23], v[126:127], -v[24:25]
	s_waitcnt vmcnt(27) lgkmcnt(2)
	v_mul_f64 v[40:41], v[10:11], v[130:131]
	s_waitcnt vmcnt(26) lgkmcnt(1)
	v_mul_f64 v[42:43], v[6:7], v[128:129]
	v_mul_f64 v[16:17], v[16:17], v[120:121]
	s_waitcnt vmcnt(24)
	v_fmac_f64_e32 v[30:31], v[246:247], v[108:109]
	v_add_f64 v[26:27], v[26:27], v[30:31]
	s_waitcnt vmcnt(22)
	v_fmac_f64_e32 v[32:33], v[252:253], v[112:113]
	v_add_f64 v[26:27], v[26:27], v[32:33]
	s_waitcnt vmcnt(20)
	v_fmac_f64_e32 v[36:37], v[20:21], v[136:137]
	v_add_f64 v[26:27], v[26:27], v[34:35]
	v_add_f64 v[26:27], v[26:27], v[36:37]
	s_waitcnt vmcnt(18)
	v_fmac_f64_e32 v[40:41], v[12:13], v[134:135]
	v_add_f64 v[26:27], v[26:27], v[38:39]
	v_add_f64 v[26:27], v[26:27], v[40:41]
	s_waitcnt vmcnt(16)
	v_fmac_f64_e32 v[42:43], v[8:9], v[140:141]
	v_add_f64 v[34:35], v[26:27], v[42:43]
	ds_read_b128 v[26:29], v1 offset:1200
	ds_read_b128 v[30:33], v1 offset:1216
	buffer_load_dword v157, off, s[0:3], 0 offset:508
	buffer_load_dword v156, off, s[0:3], 0 offset:504
	;; [unrolled: 1-line block ×56, first 2 shown]
	s_waitcnt vmcnt(62) lgkmcnt(2)
	v_mul_f64 v[36:37], v[2:3], v[144:145]
	v_fmac_f64_e32 v[36:37], v[4:5], v[146:147]
	v_add_f64 v[34:35], v[34:35], v[36:37]
	s_waitcnt lgkmcnt(1)
	v_mul_f64 v[36:37], v[26:27], v[138:139]
	v_fmac_f64_e32 v[36:37], v[28:29], v[142:143]
	v_add_f64 v[34:35], v[34:35], v[36:37]
	s_waitcnt lgkmcnt(0)
	v_mul_f64 v[36:37], v[30:31], v[148:149]
	s_waitcnt vmcnt(60)
	v_fmac_f64_e32 v[36:37], v[32:33], v[152:153]
	v_add_f64 v[42:43], v[34:35], v[36:37]
	ds_read_b128 v[34:37], v1 offset:1232
	buffer_load_dword v201, off, s[0:3], 0 offset:732
	buffer_load_dword v200, off, s[0:3], 0 offset:728
	;; [unrolled: 1-line block ×16, first 2 shown]
	ds_read_b128 v[38:41], v1 offset:1248
	buffer_load_dword v231, off, s[0:3], 0 offset:796
	buffer_load_dword v230, off, s[0:3], 0 offset:792
	;; [unrolled: 1-line block ×8, first 2 shown]
	ds_read_b128 v[98:101], v1 offset:1488
	s_waitcnt vmcnt(62) lgkmcnt(2)
	v_mul_f64 v[44:45], v[34:35], v[150:151]
	v_fmac_f64_e32 v[44:45], v[36:37], v[154:155]
	v_add_f64 v[46:47], v[42:43], v[44:45]
	ds_read_b128 v[42:45], v1 offset:1264
	v_fma_f64 v[248:249], v[244:245], v[108:109], -v[106:107]
	ds_read_b128 v[106:109], v1 offset:1520
	v_fma_f64 v[246:247], v[250:251], v[112:113], -v[110:111]
	v_mul_f64 v[20:21], v[20:21], v[132:133]
	v_fma_f64 v[18:19], v[18:19], v[136:137], -v[20:21]
	v_fma_f64 v[14:15], v[14:15], v[124:125], -v[16:17]
	v_mul_f64 v[12:13], v[12:13], v[130:131]
	v_fma_f64 v[10:11], v[10:11], v[134:135], -v[12:13]
	v_mul_f64 v[8:9], v[8:9], v[128:129]
	;; [unrolled: 2-line block ×3, first 2 shown]
	s_waitcnt lgkmcnt(3)
	v_mul_f64 v[48:49], v[38:39], v[172:173]
	v_fma_f64 v[2:3], v[2:3], v[146:147], -v[4:5]
	v_fmac_f64_e32 v[48:49], v[40:41], v[176:177]
	v_add_f64 v[50:51], v[46:47], v[48:49]
	ds_read_b128 v[46:49], v1 offset:1280
	s_waitcnt lgkmcnt(2)
	v_mul_f64 v[52:53], v[42:43], v[156:157]
	v_fmac_f64_e32 v[52:53], v[44:45], v[158:159]
	v_add_f64 v[54:55], v[50:51], v[52:53]
	ds_read_b128 v[50:53], v1 offset:1296
	s_waitcnt lgkmcnt(1)
	v_mul_f64 v[56:57], v[46:47], v[180:181]
	;; [unrolled: 5-line block ×3, first 2 shown]
	v_fmac_f64_e32 v[60:61], v[52:53], v[162:163]
	v_add_f64 v[62:63], v[58:59], v[60:61]
	ds_read_b128 v[58:61], v1 offset:1328
	s_waitcnt vmcnt(58) lgkmcnt(1)
	v_mul_f64 v[64:65], v[54:55], v[188:189]
	s_waitcnt vmcnt(56)
	v_fmac_f64_e32 v[64:65], v[56:57], v[192:193]
	v_add_f64 v[66:67], v[62:63], v[64:65]
	ds_read_b128 v[62:65], v1 offset:1344
	s_waitcnt lgkmcnt(1)
	v_mul_f64 v[68:69], v[58:59], v[164:165]
	v_fmac_f64_e32 v[68:69], v[60:61], v[166:167]
	v_add_f64 v[70:71], v[66:67], v[68:69]
	ds_read_b128 v[66:69], v1 offset:1360
	s_waitcnt vmcnt(50) lgkmcnt(1)
	v_mul_f64 v[72:73], v[62:63], v[196:197]
	s_waitcnt vmcnt(48)
	v_fmac_f64_e32 v[72:73], v[64:65], v[198:199]
	v_add_f64 v[74:75], v[70:71], v[72:73]
	ds_read_b128 v[70:73], v1 offset:1376
	s_waitcnt lgkmcnt(1)
	v_mul_f64 v[76:77], v[66:67], v[168:169]
	;; [unrolled: 11-line block ×3, first 2 shown]
	v_fmac_f64_e32 v[84:85], v[76:77], v[178:179]
	v_add_f64 v[90:91], v[82:83], v[84:85]
	ds_read_b128 v[82:85], v1 offset:1424
	ds_read_b128 v[86:89], v1 offset:1440
	s_waitcnt vmcnt(34) lgkmcnt(2)
	v_mul_f64 v[92:93], v[78:79], v[218:219]
	s_waitcnt vmcnt(32)
	v_fmac_f64_e32 v[92:93], v[80:81], v[224:225]
	v_add_f64 v[90:91], v[90:91], v[92:93]
	s_waitcnt lgkmcnt(1)
	v_mul_f64 v[92:93], v[82:83], v[182:183]
	v_fmac_f64_e32 v[92:93], v[84:85], v[186:187]
	v_add_f64 v[90:91], v[90:91], v[92:93]
	s_waitcnt vmcnt(27) lgkmcnt(0)
	v_mul_f64 v[92:93], v[86:87], v[222:223]
	s_waitcnt vmcnt(25)
	v_fmac_f64_e32 v[92:93], v[88:89], v[226:227]
	v_add_f64 v[118:119], v[90:91], v[92:93]
	ds_read_b128 v[90:93], v1 offset:1456
	ds_read_b128 v[94:97], v1 offset:1472
	;; [unrolled: 1-line block ×3, first 2 shown]
	v_mul_f64 v[4:5], v[28:29], v[138:139]
	v_fma_f64 v[4:5], v[26:27], v[142:143], -v[4:5]
	s_waitcnt lgkmcnt(2)
	v_mul_f64 v[102:103], v[90:91], v[190:191]
	s_waitcnt vmcnt(24)
	v_fmac_f64_e32 v[102:103], v[92:93], v[194:195]
	s_waitcnt vmcnt(18) lgkmcnt(1)
	v_mul_f64 v[104:105], v[94:95], v[228:229]
	v_add_f64 v[102:103], v[118:119], v[102:103]
	s_waitcnt vmcnt(16)
	v_fmac_f64_e32 v[104:105], v[96:97], v[232:233]
	v_add_f64 v[102:103], v[102:103], v[104:105]
	v_mul_f64 v[104:105], v[98:99], v[200:201]
	v_fmac_f64_e32 v[104:105], v[100:101], v[204:205]
	v_add_f64 v[114:115], v[102:103], v[104:105]
	ds_read_b128 v[102:105], v1 offset:1504
	s_waitcnt vmcnt(10) lgkmcnt(0)
	v_mul_f64 v[116:117], v[102:103], v[236:237]
	s_waitcnt vmcnt(8)
	v_fmac_f64_e32 v[116:117], v[104:105], v[238:239]
	v_add_f64 v[114:115], v[114:115], v[116:117]
	v_mul_f64 v[116:117], v[106:107], v[216:217]
	v_fmac_f64_e32 v[116:117], v[108:109], v[220:221]
	v_add_f64 v[114:115], v[114:115], v[116:117]
	s_waitcnt vmcnt(2)
	v_mul_f64 v[116:117], v[110:111], v[240:241]
	s_waitcnt vmcnt(0)
	v_fmac_f64_e32 v[116:117], v[112:113], v[242:243]
	v_add_f64 v[118:119], v[114:115], v[116:117]
	ds_read_b128 v[114:117], v1 offset:1552
	buffer_load_dword v252, off, s[0:3], 0 offset:256
	buffer_load_dword v253, off, s[0:3], 0 offset:260
	s_waitcnt lgkmcnt(0)
	v_mul_f64 v[212:213], v[114:115], v[230:231]
	v_fmac_f64_e32 v[212:213], v[116:117], v[234:235]
	v_add_f64 v[244:245], v[118:119], v[212:213]
	v_add_f64 v[118:119], v[208:209], 0
	;; [unrolled: 1-line block ×4, first 2 shown]
	buffer_load_dword v248, off, s[0:3], 0 offset:264
	buffer_load_dword v249, off, s[0:3], 0 offset:268
	v_add_f64 v[118:119], v[118:119], v[246:247]
	v_add_f64 v[22:23], v[118:119], v[22:23]
	;; [unrolled: 1-line block ×8, first 2 shown]
	v_mul_f64 v[4:5], v[32:33], v[148:149]
	v_fma_f64 v[4:5], v[30:31], v[152:153], -v[4:5]
	v_add_f64 v[2:3], v[2:3], v[4:5]
	v_mul_f64 v[4:5], v[36:37], v[150:151]
	v_fma_f64 v[4:5], v[34:35], v[154:155], -v[4:5]
	v_add_f64 v[2:3], v[2:3], v[4:5]
	;; [unrolled: 3-line block ×22, first 2 shown]
	s_waitcnt vmcnt(2)
	v_add_f64 v[2:3], v[252:253], -v[2:3]
	s_waitcnt vmcnt(0)
	v_add_f64 v[4:5], v[248:249], -v[244:245]
	buffer_store_dword v3, off, s[0:3], 0 offset:260
	buffer_store_dword v2, off, s[0:3], 0 offset:256
	;; [unrolled: 1-line block ×4, first 2 shown]
	s_and_saveexec_b64 s[4:5], vcc
	s_cbranch_execz .LBB48_279
; %bb.278:
	v_accvgpr_read_b32 v0, a132
	buffer_load_dword v2, v0, s[0:3], 0 offen
	buffer_load_dword v3, v0, s[0:3], 0 offen offset:4
	buffer_load_dword v4, v0, s[0:3], 0 offen offset:8
	;; [unrolled: 1-line block ×3, first 2 shown]
	v_accvgpr_read_b32 v0, a147
	buffer_store_dword v1, off, s[0:3], 0 offset:240
	buffer_store_dword v1, off, s[0:3], 0 offset:244
	;; [unrolled: 1-line block ×4, first 2 shown]
	s_waitcnt vmcnt(4)
	ds_write_b128 v0, v[2:5]
.LBB48_279:
	s_or_b64 exec, exec, s[4:5]
	s_waitcnt lgkmcnt(0)
	; wave barrier
	s_waitcnt lgkmcnt(0)
	buffer_load_dword v86, off, s[0:3], 0 offset:256
	buffer_load_dword v87, off, s[0:3], 0 offset:260
	;; [unrolled: 1-line block ×42, first 2 shown]
	ds_read_b128 v[94:97], v1 offset:1024
	ds_read_b128 v[106:109], v1 offset:1040
	;; [unrolled: 1-line block ×10, first 2 shown]
	buffer_load_dword v147, off, s[0:3], 0 offset:404
	buffer_load_dword v146, off, s[0:3], 0 offset:400
	ds_read_b128 v[6:9], v1 offset:1184
	buffer_load_dword v143, off, s[0:3], 0 offset:460
	buffer_load_dword v142, off, s[0:3], 0 offset:456
	;; [unrolled: 1-line block ×80, first 2 shown]
	s_waitcnt vmcnt(62) lgkmcnt(10)
	v_mul_f64 v[26:27], v[94:95], v[88:89]
	v_fmac_f64_e32 v[26:27], v[96:97], v[86:87]
	v_add_f64 v[26:27], v[26:27], 0
	v_mul_f64 v[88:89], v[96:97], v[88:89]
	s_waitcnt lgkmcnt(9)
	v_mul_f64 v[28:29], v[106:107], v[92:93]
	v_fmac_f64_e32 v[28:29], v[108:109], v[90:91]
	s_waitcnt lgkmcnt(8)
	v_mul_f64 v[30:31], v[114:115], v[98:99]
	v_add_f64 v[26:27], v[26:27], v[28:29]
	s_waitcnt lgkmcnt(6)
	v_mul_f64 v[34:35], v[248:249], v[110:111]
	v_fma_f64 v[208:209], v[94:95], v[86:87], -v[88:89]
	v_fmac_f64_e32 v[34:35], v[250:251], v[112:113]
	v_mul_f64 v[92:93], v[108:109], v[92:93]
	v_mul_f64 v[32:33], v[244:245], v[102:103]
	;; [unrolled: 1-line block ×3, first 2 shown]
	s_waitcnt lgkmcnt(4)
	v_mul_f64 v[38:39], v[18:19], v[120:121]
	v_mul_f64 v[102:103], v[246:247], v[102:103]
	v_fmac_f64_e32 v[38:39], v[20:21], v[122:123]
	v_mul_f64 v[110:111], v[250:251], v[110:111]
	v_mul_f64 v[36:37], v[22:23], v[124:125]
	v_fma_f64 v[248:249], v[248:249], v[112:113], -v[110:111]
	s_waitcnt lgkmcnt(2)
	v_mul_f64 v[42:43], v[10:11], v[126:127]
	v_add_f64 v[208:209], v[208:209], 0
	v_mul_f64 v[20:21], v[20:21], v[120:121]
	v_mul_f64 v[40:41], v[14:15], v[132:133]
	v_fma_f64 v[18:19], v[18:19], v[122:123], -v[20:21]
	s_waitcnt lgkmcnt(1)
	v_mul_f64 v[44:45], v[2:3], v[130:131]
	v_fmac_f64_e32 v[30:31], v[116:117], v[100:101]
	v_add_f64 v[26:27], v[26:27], v[30:31]
	v_fmac_f64_e32 v[32:33], v[246:247], v[104:105]
	v_add_f64 v[26:27], v[26:27], v[32:33]
	v_fmac_f64_e32 v[36:37], v[24:25], v[136:137]
	v_add_f64 v[26:27], v[26:27], v[34:35]
	v_add_f64 v[26:27], v[26:27], v[36:37]
	v_fmac_f64_e32 v[40:41], v[16:17], v[134:135]
	v_add_f64 v[26:27], v[26:27], v[38:39]
	v_fmac_f64_e32 v[42:43], v[12:13], v[128:129]
	v_add_f64 v[26:27], v[26:27], v[40:41]
	v_add_f64 v[26:27], v[26:27], v[42:43]
	s_waitcnt lgkmcnt(0)
	v_mul_f64 v[32:33], v[6:7], v[138:139]
	v_fmac_f64_e32 v[44:45], v[4:5], v[146:147]
	v_add_f64 v[30:31], v[26:27], v[44:45]
	ds_read_b128 v[26:29], v1 offset:1200
	v_fmac_f64_e32 v[32:33], v[8:9], v[140:141]
	v_add_f64 v[34:35], v[30:31], v[32:33]
	ds_read_b128 v[30:33], v1 offset:1216
	v_fma_f64 v[210:211], v[114:115], v[100:101], -v[98:99]
	s_waitcnt lgkmcnt(1)
	v_mul_f64 v[36:37], v[26:27], v[148:149]
	v_fmac_f64_e32 v[36:37], v[28:29], v[164:165]
	v_add_f64 v[38:39], v[34:35], v[36:37]
	ds_read_b128 v[34:37], v1 offset:1232
	s_waitcnt lgkmcnt(1)
	v_mul_f64 v[40:41], v[30:31], v[142:143]
	v_fmac_f64_e32 v[40:41], v[32:33], v[144:145]
	v_add_f64 v[42:43], v[38:39], v[40:41]
	ds_read_b128 v[38:41], v1 offset:1248
	;; [unrolled: 5-line block ×4, first 2 shown]
	s_waitcnt vmcnt(58) lgkmcnt(1)
	v_mul_f64 v[52:53], v[42:43], v[176:177]
	s_waitcnt vmcnt(56)
	v_fmac_f64_e32 v[52:53], v[44:45], v[180:181]
	v_add_f64 v[54:55], v[50:51], v[52:53]
	ds_read_b128 v[50:53], v1 offset:1296
	buffer_load_dword v232, off, s[0:3], 0 offset:776
	buffer_load_dword v237, off, s[0:3], 0 offset:764
	;; [unrolled: 1-line block ×8, first 2 shown]
	s_waitcnt lgkmcnt(1)
	v_mul_f64 v[56:57], v[46:47], v[154:155]
	v_fmac_f64_e32 v[56:57], v[48:49], v[156:157]
	v_add_f64 v[58:59], v[54:55], v[56:57]
	ds_read_b128 v[54:57], v1 offset:1312
	s_waitcnt vmcnt(58) lgkmcnt(1)
	v_mul_f64 v[60:61], v[50:51], v[184:185]
	s_waitcnt vmcnt(56)
	v_fmac_f64_e32 v[60:61], v[52:53], v[188:189]
	buffer_load_dword v241, off, s[0:3], 0 offset:796
	buffer_load_dword v240, off, s[0:3], 0 offset:792
	;; [unrolled: 1-line block ×4, first 2 shown]
	v_add_f64 v[62:63], v[58:59], v[60:61]
	ds_read_b128 v[58:61], v1 offset:1328
	s_waitcnt lgkmcnt(1)
	v_mul_f64 v[64:65], v[54:55], v[158:159]
	v_fmac_f64_e32 v[64:65], v[56:57], v[160:161]
	v_add_f64 v[66:67], v[62:63], v[64:65]
	ds_read_b128 v[62:65], v1 offset:1344
	s_waitcnt vmcnt(54) lgkmcnt(1)
	v_mul_f64 v[68:69], v[58:59], v[192:193]
	s_waitcnt vmcnt(52)
	v_fmac_f64_e32 v[68:69], v[60:61], v[196:197]
	v_add_f64 v[70:71], v[66:67], v[68:69]
	ds_read_b128 v[66:69], v1 offset:1360
	s_waitcnt lgkmcnt(1)
	v_mul_f64 v[72:73], v[62:63], v[162:163]
	v_fmac_f64_e32 v[72:73], v[64:65], v[166:167]
	v_add_f64 v[74:75], v[70:71], v[72:73]
	ds_read_b128 v[70:73], v1 offset:1376
	s_waitcnt vmcnt(46) lgkmcnt(1)
	v_mul_f64 v[76:77], v[66:67], v[200:201]
	s_waitcnt vmcnt(44)
	v_fmac_f64_e32 v[76:77], v[68:69], v[204:205]
	v_add_f64 v[82:83], v[74:75], v[76:77]
	ds_read_b128 v[74:77], v1 offset:1392
	ds_read_b128 v[78:81], v1 offset:1408
	s_waitcnt lgkmcnt(2)
	v_mul_f64 v[84:85], v[70:71], v[170:171]
	v_fmac_f64_e32 v[84:85], v[72:73], v[174:175]
	v_add_f64 v[82:83], v[82:83], v[84:85]
	s_waitcnt vmcnt(38) lgkmcnt(1)
	v_mul_f64 v[84:85], v[74:75], v[216:217]
	s_waitcnt vmcnt(36)
	v_fmac_f64_e32 v[84:85], v[76:77], v[218:219]
	v_add_f64 v[82:83], v[82:83], v[84:85]
	s_waitcnt lgkmcnt(0)
	v_mul_f64 v[84:85], v[78:79], v[178:179]
	v_fmac_f64_e32 v[84:85], v[80:81], v[182:183]
	v_add_f64 v[118:119], v[82:83], v[84:85]
	ds_read_b128 v[82:85], v1 offset:1424
	ds_read_b128 v[86:89], v1 offset:1440
	ds_read_b128 v[98:101], v1 offset:1488
	v_fma_f64 v[246:247], v[244:245], v[104:105], -v[102:103]
	ds_read_b128 v[102:105], v1 offset:1520
	ds_read_b128 v[110:113], v1 offset:1536
	s_waitcnt vmcnt(30) lgkmcnt(4)
	v_mul_f64 v[94:95], v[82:83], v[220:221]
	s_waitcnt vmcnt(28)
	v_fmac_f64_e32 v[94:95], v[84:85], v[222:223]
	v_add_f64 v[94:95], v[118:119], v[94:95]
	v_fma_f64 v[118:119], v[106:107], v[90:91], -v[92:93]
	ds_read_b128 v[90:93], v1 offset:1456
	s_waitcnt lgkmcnt(4)
	v_mul_f64 v[96:97], v[86:87], v[186:187]
	v_fmac_f64_e32 v[96:97], v[88:89], v[190:191]
	v_add_f64 v[106:107], v[94:95], v[96:97]
	ds_read_b128 v[94:97], v1 offset:1472
	s_waitcnt vmcnt(22) lgkmcnt(1)
	v_mul_f64 v[108:109], v[90:91], v[224:225]
	s_waitcnt vmcnt(20)
	v_fmac_f64_e32 v[108:109], v[92:93], v[226:227]
	v_add_f64 v[106:107], v[106:107], v[108:109]
	v_add_f64 v[118:119], v[208:209], v[118:119]
	s_waitcnt lgkmcnt(0)
	v_mul_f64 v[108:109], v[94:95], v[194:195]
	v_fmac_f64_e32 v[108:109], v[96:97], v[198:199]
	v_add_f64 v[114:115], v[106:107], v[108:109]
	ds_read_b128 v[106:109], v1 offset:1504
	s_waitcnt vmcnt(14)
	v_mul_f64 v[116:117], v[98:99], v[228:229]
	s_waitcnt vmcnt(12)
	v_fmac_f64_e32 v[116:117], v[100:101], v[230:231]
	v_add_f64 v[114:115], v[114:115], v[116:117]
	v_add_f64 v[250:251], v[118:119], v[210:211]
	s_waitcnt lgkmcnt(0)
	v_mul_f64 v[116:117], v[106:107], v[202:203]
	v_fmac_f64_e32 v[116:117], v[108:109], v[206:207]
	v_add_f64 v[114:115], v[114:115], v[116:117]
	v_add_f64 v[118:119], v[250:251], v[246:247]
	v_mul_f64 v[24:25], v[24:25], v[124:125]
	v_add_f64 v[118:119], v[118:119], v[248:249]
	v_fma_f64 v[22:23], v[22:23], v[136:137], -v[24:25]
	v_add_f64 v[22:23], v[118:119], v[22:23]
	v_mul_f64 v[16:17], v[16:17], v[132:133]
	v_add_f64 v[18:19], v[22:23], v[18:19]
	v_fma_f64 v[14:15], v[14:15], v[134:135], -v[16:17]
	v_mul_f64 v[12:13], v[12:13], v[126:127]
	s_waitcnt vmcnt(9)
	v_mul_f64 v[116:117], v[102:103], v[236:237]
	v_add_f64 v[14:15], v[18:19], v[14:15]
	s_waitcnt vmcnt(7)
	v_fmac_f64_e32 v[116:117], v[104:105], v[238:239]
	v_add_f64 v[114:115], v[114:115], v[116:117]
	s_waitcnt vmcnt(5)
	v_mul_f64 v[116:117], v[110:111], v[232:233]
	s_waitcnt vmcnt(4)
	v_fmac_f64_e32 v[116:117], v[112:113], v[234:235]
	v_add_f64 v[212:213], v[114:115], v[116:117]
	ds_read_b128 v[114:117], v1 offset:1552
	buffer_load_dword v254, off, s[0:3], 0 offset:240
	buffer_load_dword v255, off, s[0:3], 0 offset:244
	;; [unrolled: 1-line block ×4, first 2 shown]
	v_fma_f64 v[10:11], v[10:11], v[128:129], -v[12:13]
	v_mul_f64 v[4:5], v[4:5], v[130:131]
	v_add_f64 v[10:11], v[14:15], v[10:11]
	v_fma_f64 v[2:3], v[2:3], v[146:147], -v[4:5]
	v_mul_f64 v[4:5], v[8:9], v[138:139]
	v_add_f64 v[2:3], v[10:11], v[2:3]
	v_fma_f64 v[4:5], v[6:7], v[140:141], -v[4:5]
	v_add_f64 v[2:3], v[2:3], v[4:5]
	v_mul_f64 v[4:5], v[28:29], v[148:149]
	v_fma_f64 v[4:5], v[26:27], v[164:165], -v[4:5]
	v_add_f64 v[2:3], v[2:3], v[4:5]
	v_mul_f64 v[4:5], v[32:33], v[142:143]
	;; [unrolled: 3-line block ×22, first 2 shown]
	v_fma_f64 v[4:5], v[110:111], v[234:235], -v[4:5]
	v_add_f64 v[2:3], v[2:3], v[4:5]
	s_waitcnt vmcnt(6) lgkmcnt(0)
	v_mul_f64 v[4:5], v[116:117], v[240:241]
	s_waitcnt vmcnt(4)
	v_fma_f64 v[4:5], v[114:115], v[242:243], -v[4:5]
	v_mul_f64 v[214:215], v[114:115], v[240:241]
	v_add_f64 v[2:3], v[2:3], v[4:5]
	v_fmac_f64_e32 v[214:215], v[116:117], v[242:243]
	s_waitcnt vmcnt(2)
	v_add_f64 v[2:3], v[254:255], -v[2:3]
	v_accvgpr_read_b32 v254, a146
	v_add_f64 v[244:245], v[212:213], v[214:215]
	v_cmp_lt_u32_e32 vcc, 13, v254
	s_waitcnt vmcnt(0)
	v_add_f64 v[4:5], v[252:253], -v[244:245]
	buffer_store_dword v3, off, s[0:3], 0 offset:244
	buffer_store_dword v2, off, s[0:3], 0 offset:240
	;; [unrolled: 1-line block ×4, first 2 shown]
	s_and_saveexec_b64 s[4:5], vcc
	s_cbranch_execz .LBB48_281
; %bb.280:
	v_accvgpr_read_b32 v0, a133
	buffer_load_dword v2, v0, s[0:3], 0 offen
	buffer_load_dword v3, v0, s[0:3], 0 offen offset:4
	buffer_load_dword v4, v0, s[0:3], 0 offen offset:8
	;; [unrolled: 1-line block ×3, first 2 shown]
	v_mov_b32_e32 v0, 0
	v_accvgpr_read_b32 v1, a147
	buffer_store_dword v0, off, s[0:3], 0 offset:224
	buffer_store_dword v0, off, s[0:3], 0 offset:228
	;; [unrolled: 1-line block ×4, first 2 shown]
	s_waitcnt vmcnt(4)
	ds_write_b128 v1, v[2:5]
.LBB48_281:
	s_or_b64 exec, exec, s[4:5]
	s_waitcnt lgkmcnt(0)
	; wave barrier
	s_waitcnt lgkmcnt(0)
	buffer_load_dword v82, off, s[0:3], 0 offset:240
	buffer_load_dword v83, off, s[0:3], 0 offset:244
	buffer_load_dword v84, off, s[0:3], 0 offset:248
	buffer_load_dword v85, off, s[0:3], 0 offset:252
	buffer_load_dword v86, off, s[0:3], 0 offset:256
	buffer_load_dword v87, off, s[0:3], 0 offset:260
	buffer_load_dword v88, off, s[0:3], 0 offset:264
	buffer_load_dword v89, off, s[0:3], 0 offset:268
	buffer_load_dword v94, off, s[0:3], 0 offset:280
	buffer_load_dword v95, off, s[0:3], 0 offset:284
	buffer_load_dword v103, off, s[0:3], 0 offset:316
	buffer_load_dword v102, off, s[0:3], 0 offset:312
	buffer_load_dword v105, off, s[0:3], 0 offset:308
	buffer_load_dword v104, off, s[0:3], 0 offset:304
	buffer_load_dword v99, off, s[0:3], 0 offset:300
	buffer_load_dword v98, off, s[0:3], 0 offset:296
	buffer_load_dword v121, off, s[0:3], 0 offset:348
	buffer_load_dword v120, off, s[0:3], 0 offset:344
	buffer_load_dword v123, off, s[0:3], 0 offset:340
	buffer_load_dword v122, off, s[0:3], 0 offset:336
	buffer_load_dword v111, off, s[0:3], 0 offset:332
	buffer_load_dword v110, off, s[0:3], 0 offset:328
	buffer_load_dword v125, off, s[0:3], 0 offset:364
	buffer_load_dword v124, off, s[0:3], 0 offset:360
	buffer_load_dword v96, off, s[0:3], 0 offset:272
	buffer_load_dword v97, off, s[0:3], 0 offset:276
	buffer_load_dword v101, off, s[0:3], 0 offset:292
	buffer_load_dword v100, off, s[0:3], 0 offset:288
	buffer_load_dword v113, off, s[0:3], 0 offset:324
	buffer_load_dword v112, off, s[0:3], 0 offset:320
	buffer_load_dword v129, off, s[0:3], 0 offset:356
	buffer_load_dword v128, off, s[0:3], 0 offset:352
	buffer_load_dword v126, off, s[0:3], 0 offset:376
	buffer_load_dword v130, off, s[0:3], 0 offset:368
	buffer_load_dword v131, off, s[0:3], 0 offset:372
	buffer_load_dword v127, off, s[0:3], 0 offset:380
	buffer_load_dword v133, off, s[0:3], 0 offset:412
	buffer_load_dword v132, off, s[0:3], 0 offset:408
	buffer_load_dword v135, off, s[0:3], 0 offset:404
	buffer_load_dword v134, off, s[0:3], 0 offset:400
	buffer_load_dword v137, off, s[0:3], 0 offset:396
	buffer_load_dword v136, off, s[0:3], 0 offset:392
	buffer_load_dword v139, off, s[0:3], 0 offset:388
	buffer_load_dword v138, off, s[0:3], 0 offset:384
	buffer_load_dword v141, off, s[0:3], 0 offset:444
	buffer_load_dword v140, off, s[0:3], 0 offset:440
	buffer_load_dword v143, off, s[0:3], 0 offset:436
	buffer_load_dword v142, off, s[0:3], 0 offset:432
	buffer_load_dword v147, off, s[0:3], 0 offset:428
	buffer_load_dword v146, off, s[0:3], 0 offset:424
	buffer_load_dword v149, off, s[0:3], 0 offset:420
	buffer_load_dword v148, off, s[0:3], 0 offset:416
	buffer_load_dword v145, off, s[0:3], 0 offset:476
	buffer_load_dword v144, off, s[0:3], 0 offset:472
	v_mov_b32_e32 v1, 0
	ds_read_b128 v[90:93], v1 offset:1008
	ds_read_b128 v[106:109], v1 offset:1024
	;; [unrolled: 1-line block ×9, first 2 shown]
	buffer_load_dword v151, off, s[0:3], 0 offset:468
	buffer_load_dword v150, off, s[0:3], 0 offset:464
	;; [unrolled: 1-line block ×62, first 2 shown]
	v_cmp_lt_u32_e32 vcc, 12, v254
	s_waitcnt vmcnt(62) lgkmcnt(8)
	v_mul_f64 v[14:15], v[90:91], v[84:85]
	v_fmac_f64_e32 v[14:15], v[92:93], v[82:83]
	v_add_f64 v[14:15], v[14:15], 0
	v_mul_f64 v[84:85], v[92:93], v[84:85]
	s_waitcnt lgkmcnt(7)
	v_mul_f64 v[16:17], v[106:107], v[88:89]
	v_fmac_f64_e32 v[16:17], v[108:109], v[86:87]
	s_waitcnt lgkmcnt(6)
	v_mul_f64 v[18:19], v[114:115], v[94:95]
	v_add_f64 v[14:15], v[14:15], v[16:17]
	s_waitcnt lgkmcnt(4)
	v_mul_f64 v[22:23], v[246:247], v[102:103]
	v_fma_f64 v[208:209], v[90:91], v[82:83], -v[84:85]
	v_fmac_f64_e32 v[22:23], v[248:249], v[104:105]
	v_mul_f64 v[88:89], v[108:109], v[88:89]
	v_mul_f64 v[20:21], v[242:243], v[98:99]
	v_fma_f64 v[210:211], v[106:107], v[86:87], -v[88:89]
	s_waitcnt lgkmcnt(2)
	v_mul_f64 v[26:27], v[10:11], v[120:121]
	v_mul_f64 v[94:95], v[116:117], v[94:95]
	v_fmac_f64_e32 v[26:27], v[12:13], v[122:123]
	v_mul_f64 v[98:99], v[244:245], v[98:99]
	v_mul_f64 v[24:25], v[250:251], v[110:111]
	;; [unrolled: 1-line block ×3, first 2 shown]
	s_waitcnt lgkmcnt(1)
	v_mul_f64 v[28:29], v[6:7], v[124:125]
	v_mul_f64 v[110:111], v[252:253], v[110:111]
	v_fmac_f64_e32 v[18:19], v[116:117], v[96:97]
	v_add_f64 v[14:15], v[14:15], v[18:19]
	v_fmac_f64_e32 v[20:21], v[244:245], v[100:101]
	v_add_f64 v[14:15], v[14:15], v[20:21]
	;; [unrolled: 2-line block ×3, first 2 shown]
	v_add_f64 v[14:15], v[14:15], v[24:25]
	v_fmac_f64_e32 v[28:29], v[8:9], v[128:129]
	v_add_f64 v[14:15], v[14:15], v[26:27]
	v_add_f64 v[18:19], v[14:15], v[28:29]
	ds_read_b128 v[14:17], v1 offset:1152
	s_waitcnt lgkmcnt(1)
	v_mul_f64 v[20:21], v[2:3], v[126:127]
	v_fmac_f64_e32 v[20:21], v[4:5], v[130:131]
	v_add_f64 v[22:23], v[18:19], v[20:21]
	ds_read_b128 v[18:21], v1 offset:1168
	s_waitcnt lgkmcnt(1)
	v_mul_f64 v[24:25], v[14:15], v[136:137]
	v_fmac_f64_e32 v[24:25], v[16:17], v[138:139]
	;; [unrolled: 5-line block ×5, first 2 shown]
	v_add_f64 v[38:39], v[34:35], v[36:37]
	ds_read_b128 v[34:37], v1 offset:1232
	s_waitcnt vmcnt(58) lgkmcnt(1)
	v_mul_f64 v[40:41], v[30:31], v[164:165]
	s_waitcnt vmcnt(56)
	v_fmac_f64_e32 v[40:41], v[32:33], v[168:169]
	v_add_f64 v[42:43], v[38:39], v[40:41]
	ds_read_b128 v[38:41], v1 offset:1248
	s_waitcnt lgkmcnt(1)
	v_mul_f64 v[44:45], v[34:35], v[144:145]
	v_fmac_f64_e32 v[44:45], v[36:37], v[150:151]
	v_add_f64 v[46:47], v[42:43], v[44:45]
	ds_read_b128 v[42:45], v1 offset:1264
	s_waitcnt vmcnt(50) lgkmcnt(1)
	v_mul_f64 v[48:49], v[38:39], v[172:173]
	s_waitcnt vmcnt(48)
	v_fmac_f64_e32 v[48:49], v[40:41], v[176:177]
	v_add_f64 v[50:51], v[46:47], v[48:49]
	ds_read_b128 v[46:49], v1 offset:1280
	buffer_load_dword v221, off, s[0:3], 0 offset:716
	buffer_load_dword v220, off, s[0:3], 0 offset:712
	;; [unrolled: 1-line block ×8, first 2 shown]
	s_waitcnt lgkmcnt(1)
	v_mul_f64 v[52:53], v[42:43], v[152:153]
	v_fmac_f64_e32 v[52:53], v[44:45], v[154:155]
	v_add_f64 v[54:55], v[50:51], v[52:53]
	ds_read_b128 v[50:53], v1 offset:1296
	s_waitcnt vmcnt(50) lgkmcnt(1)
	v_mul_f64 v[56:57], v[46:47], v[180:181]
	s_waitcnt vmcnt(48)
	v_fmac_f64_e32 v[56:57], v[48:49], v[184:185]
	buffer_load_dword v225, off, s[0:3], 0 offset:764
	buffer_load_dword v231, off, s[0:3], 0 offset:748
	;; [unrolled: 1-line block ×12, first 2 shown]
	v_add_f64 v[58:59], v[54:55], v[56:57]
	ds_read_b128 v[54:57], v1 offset:1312
	s_waitcnt lgkmcnt(1)
	v_mul_f64 v[60:61], v[50:51], v[156:157]
	v_fmac_f64_e32 v[60:61], v[52:53], v[158:159]
	v_add_f64 v[62:63], v[58:59], v[60:61]
	ds_read_b128 v[58:61], v1 offset:1328
	s_waitcnt vmcnt(54) lgkmcnt(1)
	v_mul_f64 v[64:65], v[54:55], v[188:189]
	s_waitcnt vmcnt(52)
	v_fmac_f64_e32 v[64:65], v[56:57], v[192:193]
	v_add_f64 v[66:67], v[62:63], v[64:65]
	ds_read_b128 v[62:65], v1 offset:1344
	s_waitcnt lgkmcnt(1)
	v_mul_f64 v[68:69], v[58:59], v[160:161]
	v_fmac_f64_e32 v[68:69], v[60:61], v[162:163]
	v_add_f64 v[70:71], v[66:67], v[68:69]
	ds_read_b128 v[66:69], v1 offset:1360
	s_waitcnt vmcnt(46) lgkmcnt(1)
	v_mul_f64 v[72:73], v[62:63], v[196:197]
	s_waitcnt vmcnt(44)
	v_fmac_f64_e32 v[72:73], v[64:65], v[198:199]
	v_add_f64 v[78:79], v[70:71], v[72:73]
	ds_read_b128 v[70:73], v1 offset:1376
	ds_read_b128 v[74:77], v1 offset:1392
	s_waitcnt lgkmcnt(2)
	v_mul_f64 v[80:81], v[66:67], v[166:167]
	v_fmac_f64_e32 v[80:81], v[68:69], v[170:171]
	v_add_f64 v[78:79], v[78:79], v[80:81]
	s_waitcnt vmcnt(38) lgkmcnt(1)
	v_mul_f64 v[80:81], v[70:71], v[200:201]
	s_waitcnt vmcnt(36)
	v_fmac_f64_e32 v[80:81], v[72:73], v[202:203]
	v_add_f64 v[78:79], v[78:79], v[80:81]
	s_waitcnt lgkmcnt(0)
	v_mul_f64 v[80:81], v[74:75], v[174:175]
	v_fmac_f64_e32 v[80:81], v[76:77], v[178:179]
	v_add_f64 v[118:119], v[78:79], v[80:81]
	ds_read_b128 v[78:81], v1 offset:1408
	ds_read_b128 v[82:85], v1 offset:1424
	;; [unrolled: 1-line block ×3, first 2 shown]
	v_fma_f64 v[212:213], v[242:243], v[100:101], -v[98:99]
	ds_read_b128 v[98:101], v1 offset:1488
	s_waitcnt vmcnt(30) lgkmcnt(3)
	v_mul_f64 v[90:91], v[78:79], v[204:205]
	s_waitcnt vmcnt(28)
	v_fmac_f64_e32 v[90:91], v[80:81], v[206:207]
	s_waitcnt lgkmcnt(2)
	v_mul_f64 v[92:93], v[82:83], v[182:183]
	v_add_f64 v[90:91], v[118:119], v[90:91]
	v_fmac_f64_e32 v[92:93], v[84:85], v[186:187]
	v_add_f64 v[90:91], v[90:91], v[92:93]
	v_fma_f64 v[118:119], v[114:115], v[96:97], -v[94:95]
	ds_read_b128 v[94:97], v1 offset:1472
	s_waitcnt vmcnt(22) lgkmcnt(2)
	v_mul_f64 v[92:93], v[86:87], v[216:217]
	s_waitcnt vmcnt(20)
	v_fmac_f64_e32 v[92:93], v[88:89], v[218:219]
	v_add_f64 v[106:107], v[90:91], v[92:93]
	ds_read_b128 v[90:93], v1 offset:1456
	buffer_load_dword v240, off, s[0:3], 0 offset:792
	v_fma_f64 v[214:215], v[246:247], v[104:105], -v[102:103]
	ds_read_b128 v[102:105], v1 offset:1504
	v_fma_f64 v[250:251], v[250:251], v[112:113], -v[110:111]
	s_waitcnt lgkmcnt(1)
	v_mul_f64 v[108:109], v[90:91], v[190:191]
	v_fmac_f64_e32 v[108:109], v[92:93], v[194:195]
	v_add_f64 v[106:107], v[106:107], v[108:109]
	ds_read_b128 v[110:113], v1 offset:1536
	v_add_f64 v[208:209], v[208:209], 0
	v_add_f64 v[208:209], v[208:209], v[210:211]
	;; [unrolled: 1-line block ×5, first 2 shown]
	v_mul_f64 v[12:13], v[12:13], v[120:121]
	v_add_f64 v[118:119], v[252:253], v[250:251]
	v_fma_f64 v[10:11], v[10:11], v[122:123], -v[12:13]
	v_mul_f64 v[8:9], v[8:9], v[124:125]
	v_add_f64 v[10:11], v[118:119], v[10:11]
	v_fma_f64 v[6:7], v[6:7], v[128:129], -v[8:9]
	;; [unrolled: 3-line block ×3, first 2 shown]
	v_mul_f64 v[4:5], v[16:17], v[136:137]
	v_add_f64 v[2:3], v[6:7], v[2:3]
	s_waitcnt vmcnt(19)
	v_mul_f64 v[108:109], v[94:95], v[220:221]
	v_fma_f64 v[4:5], v[14:15], v[138:139], -v[4:5]
	s_waitcnt vmcnt(17)
	v_fmac_f64_e32 v[108:109], v[96:97], v[222:223]
	v_add_f64 v[106:107], v[106:107], v[108:109]
	s_waitcnt vmcnt(15)
	v_mul_f64 v[108:109], v[98:99], v[226:227]
	s_waitcnt vmcnt(13)
	v_fmac_f64_e32 v[108:109], v[100:101], v[228:229]
	v_add_f64 v[114:115], v[106:107], v[108:109]
	ds_read_b128 v[106:109], v1 offset:1520
	buffer_load_dword v244, off, s[0:3], 0 offset:784
	buffer_load_dword v241, off, s[0:3], 0 offset:796
	;; [unrolled: 1-line block ×3, first 2 shown]
	s_waitcnt vmcnt(13) lgkmcnt(2)
	v_mul_f64 v[116:117], v[102:103], v[230:231]
	s_waitcnt vmcnt(11)
	v_fmac_f64_e32 v[116:117], v[104:105], v[236:237]
	v_add_f64 v[114:115], v[114:115], v[116:117]
	s_waitcnt vmcnt(10) lgkmcnt(0)
	v_mul_f64 v[116:117], v[106:107], v[224:225]
	s_waitcnt vmcnt(8)
	v_fmac_f64_e32 v[116:117], v[108:109], v[234:235]
	v_add_f64 v[114:115], v[114:115], v[116:117]
	s_waitcnt vmcnt(6)
	v_mul_f64 v[116:117], v[110:111], v[232:233]
	s_waitcnt vmcnt(4)
	v_fmac_f64_e32 v[116:117], v[112:113], v[238:239]
	v_add_f64 v[242:243], v[114:115], v[116:117]
	ds_read_b128 v[114:117], v1 offset:1552
	buffer_load_dword v248, off, s[0:3], 0 offset:224
	buffer_load_dword v249, off, s[0:3], 0 offset:228
	v_add_f64 v[2:3], v[2:3], v[4:5]
	v_mul_f64 v[4:5], v[20:21], v[132:133]
	v_fma_f64 v[4:5], v[18:19], v[134:135], -v[4:5]
	v_add_f64 v[2:3], v[2:3], v[4:5]
	v_mul_f64 v[4:5], v[24:25], v[146:147]
	v_fma_f64 v[4:5], v[22:23], v[148:149], -v[4:5]
	;; [unrolled: 3-line block ×22, first 2 shown]
	v_add_f64 v[2:3], v[2:3], v[4:5]
	s_waitcnt vmcnt(3) lgkmcnt(0)
	v_mul_f64 v[246:247], v[114:115], v[240:241]
	s_waitcnt vmcnt(2)
	v_fmac_f64_e32 v[246:247], v[116:117], v[244:245]
	v_add_f64 v[242:243], v[242:243], v[246:247]
	buffer_load_dword v246, off, s[0:3], 0 offset:232
	buffer_load_dword v247, off, s[0:3], 0 offset:236
	v_mul_f64 v[4:5], v[108:109], v[224:225]
	v_fma_f64 v[4:5], v[106:107], v[234:235], -v[4:5]
	v_add_f64 v[2:3], v[2:3], v[4:5]
	v_mul_f64 v[4:5], v[112:113], v[232:233]
	v_fma_f64 v[4:5], v[110:111], v[238:239], -v[4:5]
	v_add_f64 v[2:3], v[2:3], v[4:5]
	;; [unrolled: 3-line block ×3, first 2 shown]
	s_waitcnt vmcnt(2)
	v_add_f64 v[2:3], v[248:249], -v[2:3]
	s_waitcnt vmcnt(0)
	v_add_f64 v[4:5], v[246:247], -v[242:243]
	buffer_store_dword v3, off, s[0:3], 0 offset:228
	buffer_store_dword v2, off, s[0:3], 0 offset:224
	;; [unrolled: 1-line block ×4, first 2 shown]
	s_and_saveexec_b64 s[4:5], vcc
	s_cbranch_execz .LBB48_283
; %bb.282:
	v_accvgpr_read_b32 v0, a134
	buffer_load_dword v2, v0, s[0:3], 0 offen
	buffer_load_dword v3, v0, s[0:3], 0 offen offset:4
	buffer_load_dword v4, v0, s[0:3], 0 offen offset:8
	;; [unrolled: 1-line block ×3, first 2 shown]
	v_accvgpr_read_b32 v0, a147
	buffer_store_dword v1, off, s[0:3], 0 offset:208
	buffer_store_dword v1, off, s[0:3], 0 offset:212
	;; [unrolled: 1-line block ×4, first 2 shown]
	s_waitcnt vmcnt(4)
	ds_write_b128 v0, v[2:5]
.LBB48_283:
	s_or_b64 exec, exec, s[4:5]
	s_waitcnt lgkmcnt(0)
	; wave barrier
	s_waitcnt lgkmcnt(0)
	buffer_load_dword v84, off, s[0:3], 0 offset:224
	buffer_load_dword v85, off, s[0:3], 0 offset:228
	;; [unrolled: 1-line block ×34, first 2 shown]
	ds_read_b128 v[74:77], v1 offset:992
	ds_read_b128 v[78:81], v1 offset:1008
	;; [unrolled: 1-line block ×8, first 2 shown]
	buffer_load_dword v127, off, s[0:3], 0 offset:340
	buffer_load_dword v126, off, s[0:3], 0 offset:336
	ds_read_b128 v[6:9], v1 offset:1120
	buffer_load_dword v129, off, s[0:3], 0 offset:396
	buffer_load_dword v128, off, s[0:3], 0 offset:392
	;; [unrolled: 1-line block ×80, first 2 shown]
	s_waitcnt vmcnt(62) lgkmcnt(8)
	v_mul_f64 v[10:11], v[74:75], v[106:107]
	v_fmac_f64_e32 v[10:11], v[76:77], v[84:85]
	v_add_f64 v[10:11], v[10:11], 0
	v_mul_f64 v[76:77], v[76:77], v[106:107]
	s_waitcnt lgkmcnt(7)
	v_mul_f64 v[12:13], v[78:79], v[96:97]
	v_fmac_f64_e32 v[12:13], v[80:81], v[82:83]
	s_waitcnt lgkmcnt(6)
	v_mul_f64 v[14:15], v[86:87], v[94:95]
	v_add_f64 v[10:11], v[10:11], v[12:13]
	s_waitcnt lgkmcnt(4)
	v_mul_f64 v[18:19], v[98:99], v[108:109]
	v_fma_f64 v[208:209], v[74:75], v[84:85], -v[76:77]
	v_fmac_f64_e32 v[18:19], v[100:101], v[114:115]
	v_mul_f64 v[80:81], v[80:81], v[96:97]
	v_mul_f64 v[16:17], v[90:91], v[116:117]
	v_fma_f64 v[210:211], v[78:79], v[82:83], -v[80:81]
	s_waitcnt lgkmcnt(2)
	v_mul_f64 v[22:23], v[110:111], v[240:241]
	v_mul_f64 v[100:101], v[100:101], v[108:109]
	v_fma_f64 v[214:215], v[98:99], v[114:115], -v[100:101]
	v_mul_f64 v[20:21], v[102:103], v[244:245]
	v_add_f64 v[208:209], v[208:209], 0
	s_waitcnt lgkmcnt(1)
	v_mul_f64 v[24:25], v[2:3], v[120:121]
	v_add_f64 v[208:209], v[208:209], v[210:211]
	v_fmac_f64_e32 v[14:15], v[88:89], v[250:251]
	v_add_f64 v[10:11], v[10:11], v[14:15]
	v_fmac_f64_e32 v[16:17], v[92:93], v[248:249]
	;; [unrolled: 2-line block ×4, first 2 shown]
	v_add_f64 v[10:11], v[10:11], v[20:21]
	v_add_f64 v[10:11], v[10:11], v[22:23]
	s_waitcnt lgkmcnt(0)
	v_mul_f64 v[16:17], v[6:7], v[122:123]
	v_fmac_f64_e32 v[16:17], v[8:9], v[124:125]
	v_fmac_f64_e32 v[24:25], v[4:5], v[126:127]
	v_add_f64 v[14:15], v[10:11], v[24:25]
	ds_read_b128 v[10:13], v1 offset:1136
	v_add_f64 v[18:19], v[14:15], v[16:17]
	ds_read_b128 v[14:17], v1 offset:1152
	v_mul_f64 v[88:89], v[88:89], v[94:95]
	v_mul_f64 v[92:93], v[92:93], v[116:117]
	s_waitcnt lgkmcnt(1)
	v_mul_f64 v[20:21], v[10:11], v[132:133]
	v_fmac_f64_e32 v[20:21], v[12:13], v[134:135]
	s_waitcnt lgkmcnt(0)
	v_mul_f64 v[24:25], v[14:15], v[128:129]
	v_add_f64 v[22:23], v[18:19], v[20:21]
	ds_read_b128 v[18:21], v1 offset:1168
	v_fmac_f64_e32 v[24:25], v[16:17], v[130:131]
	v_add_f64 v[26:27], v[22:23], v[24:25]
	ds_read_b128 v[22:25], v1 offset:1184
	v_fma_f64 v[212:213], v[90:91], v[248:249], -v[92:93]
	s_waitcnt lgkmcnt(1)
	v_mul_f64 v[28:29], v[18:19], v[144:145]
	v_fmac_f64_e32 v[28:29], v[20:21], v[146:147]
	v_add_f64 v[30:31], v[26:27], v[28:29]
	s_waitcnt lgkmcnt(0)
	v_mul_f64 v[32:33], v[22:23], v[136:137]
	ds_read_b128 v[26:29], v1 offset:1200
	v_fmac_f64_e32 v[32:33], v[24:25], v[138:139]
	v_add_f64 v[34:35], v[30:31], v[32:33]
	ds_read_b128 v[30:33], v1 offset:1216
	v_mul_f64 v[104:105], v[104:105], v[244:245]
	s_waitcnt vmcnt(58) lgkmcnt(1)
	v_mul_f64 v[36:37], v[26:27], v[160:161]
	s_waitcnt vmcnt(56)
	v_fmac_f64_e32 v[36:37], v[28:29], v[164:165]
	v_add_f64 v[38:39], v[34:35], v[36:37]
	s_waitcnt lgkmcnt(0)
	v_mul_f64 v[40:41], v[30:31], v[140:141]
	ds_read_b128 v[34:37], v1 offset:1232
	v_fmac_f64_e32 v[40:41], v[32:33], v[142:143]
	v_add_f64 v[42:43], v[38:39], v[40:41]
	ds_read_b128 v[38:41], v1 offset:1248
	v_mul_f64 v[112:113], v[112:113], v[240:241]
	s_waitcnt vmcnt(50) lgkmcnt(1)
	v_mul_f64 v[44:45], v[34:35], v[168:169]
	s_waitcnt vmcnt(48)
	v_fmac_f64_e32 v[44:45], v[36:37], v[172:173]
	v_add_f64 v[46:47], v[42:43], v[44:45]
	s_waitcnt lgkmcnt(0)
	v_mul_f64 v[48:49], v[38:39], v[148:149]
	v_fmac_f64_e32 v[48:49], v[40:41], v[150:151]
	ds_read_b128 v[42:45], v1 offset:1264
	v_add_f64 v[50:51], v[46:47], v[48:49]
	ds_read_b128 v[46:49], v1 offset:1280
	buffer_load_dword v217, off, s[0:3], 0 offset:716
	buffer_load_dword v219, off, s[0:3], 0 offset:700
	;; [unrolled: 1-line block ×12, first 2 shown]
	v_fma_f64 v[252:253], v[110:111], v[242:243], -v[112:113]
	s_waitcnt vmcnt(54) lgkmcnt(1)
	v_mul_f64 v[52:53], v[42:43], v[176:177]
	s_waitcnt vmcnt(52)
	v_fmac_f64_e32 v[52:53], v[44:45], v[180:181]
	v_add_f64 v[54:55], v[50:51], v[52:53]
	ds_read_b128 v[50:53], v1 offset:1296
	s_waitcnt lgkmcnt(1)
	v_mul_f64 v[56:57], v[46:47], v[152:153]
	v_fmac_f64_e32 v[56:57], v[48:49], v[154:155]
	buffer_load_dword v231, off, s[0:3], 0 offset:748
	buffer_load_dword v230, off, s[0:3], 0 offset:744
	;; [unrolled: 1-line block ×12, first 2 shown]
	v_add_f64 v[58:59], v[54:55], v[56:57]
	ds_read_b128 v[54:57], v1 offset:1312
	s_waitcnt vmcnt(58) lgkmcnt(1)
	v_mul_f64 v[60:61], v[50:51], v[184:185]
	s_waitcnt vmcnt(56)
	v_fmac_f64_e32 v[60:61], v[52:53], v[188:189]
	v_add_f64 v[62:63], v[58:59], v[60:61]
	ds_read_b128 v[58:61], v1 offset:1328
	s_waitcnt lgkmcnt(1)
	v_mul_f64 v[64:65], v[54:55], v[156:157]
	v_fmac_f64_e32 v[64:65], v[56:57], v[158:159]
	v_add_f64 v[70:71], v[62:63], v[64:65]
	ds_read_b128 v[62:65], v1 offset:1344
	ds_read_b128 v[66:69], v1 offset:1360
	s_waitcnt vmcnt(50) lgkmcnt(2)
	v_mul_f64 v[72:73], v[58:59], v[192:193]
	s_waitcnt vmcnt(48)
	v_fmac_f64_e32 v[72:73], v[60:61], v[194:195]
	v_add_f64 v[70:71], v[70:71], v[72:73]
	s_waitcnt lgkmcnt(1)
	v_mul_f64 v[72:73], v[62:63], v[162:163]
	v_fmac_f64_e32 v[72:73], v[64:65], v[166:167]
	v_add_f64 v[70:71], v[70:71], v[72:73]
	s_waitcnt vmcnt(42) lgkmcnt(0)
	v_mul_f64 v[72:73], v[66:67], v[196:197]
	s_waitcnt vmcnt(40)
	v_fmac_f64_e32 v[72:73], v[68:69], v[198:199]
	v_add_f64 v[118:119], v[70:71], v[72:73]
	ds_read_b128 v[70:73], v1 offset:1376
	ds_read_b128 v[74:77], v1 offset:1392
	;; [unrolled: 1-line block ×5, first 2 shown]
	s_waitcnt lgkmcnt(4)
	v_mul_f64 v[84:85], v[70:71], v[170:171]
	v_fmac_f64_e32 v[84:85], v[72:73], v[174:175]
	v_add_f64 v[82:83], v[118:119], v[84:85]
	s_waitcnt vmcnt(34) lgkmcnt(3)
	v_mul_f64 v[84:85], v[74:75], v[200:201]
	s_waitcnt vmcnt(32)
	v_fmac_f64_e32 v[84:85], v[76:77], v[202:203]
	v_add_f64 v[82:83], v[82:83], v[84:85]
	v_fma_f64 v[118:119], v[86:87], v[250:251], -v[88:89]
	ds_read_b128 v[86:89], v1 offset:1440
	s_waitcnt lgkmcnt(3)
	v_mul_f64 v[84:85], v[78:79], v[178:179]
	v_fmac_f64_e32 v[84:85], v[80:81], v[182:183]
	v_add_f64 v[96:97], v[82:83], v[84:85]
	ds_read_b128 v[82:85], v1 offset:1424
	v_fma_f64 v[250:251], v[102:103], v[246:247], -v[104:105]
	ds_read_b128 v[110:113], v1 offset:1536
	v_add_f64 v[118:119], v[208:209], v[118:119]
	v_add_f64 v[118:119], v[118:119], v[212:213]
	s_waitcnt vmcnt(26) lgkmcnt(1)
	v_mul_f64 v[94:95], v[82:83], v[204:205]
	s_waitcnt vmcnt(24)
	v_fmac_f64_e32 v[94:95], v[84:85], v[206:207]
	v_add_f64 v[94:95], v[96:97], v[94:95]
	v_mul_f64 v[96:97], v[86:87], v[186:187]
	v_fmac_f64_e32 v[96:97], v[88:89], v[190:191]
	v_add_f64 v[106:107], v[94:95], v[96:97]
	ds_read_b128 v[94:97], v1 offset:1472
	v_add_f64 v[254:255], v[118:119], v[214:215]
	v_add_f64 v[118:119], v[254:255], v[250:251]
	v_mul_f64 v[4:5], v[4:5], v[120:121]
	v_add_f64 v[118:119], v[118:119], v[252:253]
	ds_read_b128 v[102:105], v1 offset:1520
	v_fma_f64 v[2:3], v[2:3], v[126:127], -v[4:5]
	v_mul_f64 v[4:5], v[8:9], v[122:123]
	v_add_f64 v[2:3], v[118:119], v[2:3]
	v_fma_f64 v[4:5], v[6:7], v[124:125], -v[4:5]
	v_add_f64 v[2:3], v[2:3], v[4:5]
	v_mul_f64 v[4:5], v[12:13], v[132:133]
	v_fma_f64 v[4:5], v[10:11], v[134:135], -v[4:5]
	v_add_f64 v[2:3], v[2:3], v[4:5]
	v_mul_f64 v[4:5], v[16:17], v[128:129]
	s_waitcnt vmcnt(21)
	v_mul_f64 v[108:109], v[90:91], v[218:219]
	v_fma_f64 v[4:5], v[14:15], v[130:131], -v[4:5]
	s_waitcnt vmcnt(19)
	v_fmac_f64_e32 v[108:109], v[92:93], v[224:225]
	v_add_f64 v[106:107], v[106:107], v[108:109]
	s_waitcnt vmcnt(18) lgkmcnt(1)
	v_mul_f64 v[108:109], v[94:95], v[216:217]
	s_waitcnt vmcnt(16)
	v_fmac_f64_e32 v[108:109], v[96:97], v[222:223]
	v_add_f64 v[114:115], v[106:107], v[108:109]
	ds_read_b128 v[106:109], v1 offset:1504
	buffer_load_dword v243, off, s[0:3], 0 offset:796
	buffer_load_dword v242, off, s[0:3], 0 offset:792
	;; [unrolled: 1-line block ×4, first 2 shown]
	s_waitcnt vmcnt(18)
	v_mul_f64 v[116:117], v[98:99], v[220:221]
	s_waitcnt vmcnt(16)
	v_fmac_f64_e32 v[116:117], v[100:101], v[226:227]
	v_add_f64 v[114:115], v[114:115], v[116:117]
	s_waitcnt vmcnt(14) lgkmcnt(0)
	v_mul_f64 v[116:117], v[106:107], v[230:231]
	s_waitcnt vmcnt(12)
	v_fmac_f64_e32 v[116:117], v[108:109], v[232:233]
	v_add_f64 v[114:115], v[114:115], v[116:117]
	s_waitcnt vmcnt(9)
	v_mul_f64 v[116:117], v[102:103], v[236:237]
	s_waitcnt vmcnt(7)
	v_fmac_f64_e32 v[116:117], v[104:105], v[238:239]
	v_add_f64 v[114:115], v[114:115], v[116:117]
	s_waitcnt vmcnt(5)
	v_mul_f64 v[116:117], v[110:111], v[228:229]
	s_waitcnt vmcnt(4)
	v_fmac_f64_e32 v[116:117], v[112:113], v[234:235]
	v_add_f64 v[240:241], v[114:115], v[116:117]
	ds_read_b128 v[114:117], v1 offset:1552
	v_add_f64 v[2:3], v[2:3], v[4:5]
	v_mul_f64 v[4:5], v[20:21], v[144:145]
	v_fma_f64 v[4:5], v[18:19], v[146:147], -v[4:5]
	v_add_f64 v[2:3], v[2:3], v[4:5]
	v_mul_f64 v[4:5], v[24:25], v[136:137]
	v_fma_f64 v[4:5], v[22:23], v[138:139], -v[4:5]
	;; [unrolled: 3-line block ×21, first 2 shown]
	v_add_f64 v[2:3], v[2:3], v[4:5]
	s_waitcnt vmcnt(2) lgkmcnt(0)
	v_mul_f64 v[246:247], v[114:115], v[242:243]
	v_mul_f64 v[4:5], v[108:109], v[230:231]
	s_waitcnt vmcnt(0)
	v_fmac_f64_e32 v[246:247], v[116:117], v[244:245]
	v_add_f64 v[240:241], v[240:241], v[246:247]
	buffer_load_dword v248, off, s[0:3], 0 offset:208
	buffer_load_dword v249, off, s[0:3], 0 offset:212
	;; [unrolled: 1-line block ×4, first 2 shown]
	v_fma_f64 v[4:5], v[106:107], v[232:233], -v[4:5]
	v_add_f64 v[2:3], v[2:3], v[4:5]
	v_mul_f64 v[4:5], v[104:105], v[236:237]
	v_fma_f64 v[4:5], v[102:103], v[238:239], -v[4:5]
	v_add_f64 v[2:3], v[2:3], v[4:5]
	v_mul_f64 v[4:5], v[112:113], v[228:229]
	;; [unrolled: 3-line block ×3, first 2 shown]
	v_fma_f64 v[4:5], v[114:115], v[244:245], -v[4:5]
	v_add_f64 v[2:3], v[2:3], v[4:5]
	v_accvgpr_read_b32 v254, a146
	v_cmp_lt_u32_e32 vcc, 11, v254
	s_waitcnt vmcnt(2)
	v_add_f64 v[2:3], v[248:249], -v[2:3]
	s_waitcnt vmcnt(0)
	v_add_f64 v[4:5], v[246:247], -v[240:241]
	buffer_store_dword v3, off, s[0:3], 0 offset:212
	buffer_store_dword v2, off, s[0:3], 0 offset:208
	;; [unrolled: 1-line block ×4, first 2 shown]
	s_and_saveexec_b64 s[4:5], vcc
	s_cbranch_execz .LBB48_285
; %bb.284:
	v_accvgpr_read_b32 v0, a135
	buffer_load_dword v2, v0, s[0:3], 0 offen
	buffer_load_dword v3, v0, s[0:3], 0 offen offset:4
	buffer_load_dword v4, v0, s[0:3], 0 offen offset:8
	;; [unrolled: 1-line block ×3, first 2 shown]
	v_mov_b32_e32 v0, 0
	v_accvgpr_read_b32 v1, a147
	buffer_store_dword v0, off, s[0:3], 0 offset:192
	buffer_store_dword v0, off, s[0:3], 0 offset:196
	buffer_store_dword v0, off, s[0:3], 0 offset:200
	buffer_store_dword v0, off, s[0:3], 0 offset:204
	s_waitcnt vmcnt(4)
	ds_write_b128 v1, v[2:5]
.LBB48_285:
	s_or_b64 exec, exec, s[4:5]
	s_waitcnt lgkmcnt(0)
	; wave barrier
	s_waitcnt lgkmcnt(0)
	buffer_load_dword v66, off, s[0:3], 0 offset:208
	buffer_load_dword v67, off, s[0:3], 0 offset:212
	;; [unrolled: 1-line block ×55, first 2 shown]
	v_mov_b32_e32 v1, 0
	ds_read_b128 v[74:77], v1 offset:976
	ds_read_b128 v[86:89], v1 offset:992
	ds_read_b128 v[98:101], v1 offset:1008
	ds_read_b128 v[110:113], v1 offset:1024
	ds_read_b128 v[114:117], v1 offset:1040
	ds_read_b128 v[240:243], v1 offset:1056
	ds_read_b128 v[244:247], v1 offset:1072
	ds_read_b128 v[248:251], v1 offset:1088
	ds_read_b128 v[2:5], v1 offset:1104
	buffer_load_dword v138, off, s[0:3], 0 offset:432
	buffer_load_dword v157, off, s[0:3], 0 offset:428
	;; [unrolled: 1-line block ×61, first 2 shown]
	v_cmp_lt_u32_e32 vcc, 10, v254
	s_waitcnt vmcnt(62) lgkmcnt(8)
	v_mul_f64 v[6:7], v[74:75], v[68:69]
	v_fmac_f64_e32 v[6:7], v[76:77], v[66:67]
	v_add_f64 v[6:7], v[6:7], 0
	v_mul_f64 v[68:69], v[76:77], v[68:69]
	s_waitcnt lgkmcnt(7)
	v_mul_f64 v[8:9], v[86:87], v[72:73]
	v_fmac_f64_e32 v[8:9], v[88:89], v[70:71]
	s_waitcnt lgkmcnt(6)
	v_mul_f64 v[10:11], v[98:99], v[78:79]
	v_add_f64 v[6:7], v[6:7], v[8:9]
	s_waitcnt lgkmcnt(4)
	v_mul_f64 v[14:15], v[114:115], v[90:91]
	v_fma_f64 v[208:209], v[74:75], v[66:67], -v[68:69]
	v_fmac_f64_e32 v[14:15], v[116:117], v[92:93]
	v_mul_f64 v[72:73], v[88:89], v[72:73]
	v_mul_f64 v[12:13], v[110:111], v[82:83]
	v_mul_f64 v[78:79], v[100:101], v[78:79]
	s_waitcnt lgkmcnt(2)
	v_mul_f64 v[18:19], v[244:245], v[102:103]
	v_mul_f64 v[82:83], v[112:113], v[82:83]
	v_mul_f64 v[90:91], v[116:117], v[90:91]
	v_mul_f64 v[16:17], v[240:241], v[94:95]
	v_fma_f64 v[214:215], v[114:115], v[92:93], -v[90:91]
	s_waitcnt lgkmcnt(1)
	v_mul_f64 v[20:21], v[248:249], v[106:107]
	v_fmac_f64_e32 v[20:21], v[250:251], v[108:109]
	v_fmac_f64_e32 v[10:11], v[100:101], v[80:81]
	v_add_f64 v[6:7], v[6:7], v[10:11]
	v_fmac_f64_e32 v[12:13], v[112:113], v[84:85]
	v_add_f64 v[6:7], v[6:7], v[12:13]
	;; [unrolled: 2-line block ×4, first 2 shown]
	v_add_f64 v[6:7], v[6:7], v[18:19]
	v_add_f64 v[10:11], v[6:7], v[20:21]
	ds_read_b128 v[6:9], v1 offset:1120
	s_waitcnt lgkmcnt(1)
	v_mul_f64 v[12:13], v[2:3], v[120:121]
	v_fmac_f64_e32 v[12:13], v[4:5], v[122:123]
	v_add_f64 v[14:15], v[10:11], v[12:13]
	ds_read_b128 v[10:13], v1 offset:1136
	s_waitcnt lgkmcnt(1)
	v_mul_f64 v[16:17], v[6:7], v[128:129]
	v_fmac_f64_e32 v[16:17], v[8:9], v[130:131]
	;; [unrolled: 5-line block ×5, first 2 shown]
	v_add_f64 v[30:31], v[26:27], v[28:29]
	ds_read_b128 v[26:29], v1 offset:1200
	s_waitcnt vmcnt(58) lgkmcnt(1)
	v_mul_f64 v[32:33], v[22:23], v[156:157]
	s_waitcnt vmcnt(56)
	v_fmac_f64_e32 v[32:33], v[24:25], v[160:161]
	v_add_f64 v[34:35], v[30:31], v[32:33]
	ds_read_b128 v[30:33], v1 offset:1216
	s_waitcnt lgkmcnt(1)
	v_mul_f64 v[36:37], v[26:27], v[136:137]
	v_fmac_f64_e32 v[36:37], v[28:29], v[138:139]
	v_add_f64 v[38:39], v[34:35], v[36:37]
	ds_read_b128 v[34:37], v1 offset:1232
	s_waitcnt vmcnt(50) lgkmcnt(1)
	v_mul_f64 v[40:41], v[30:31], v[164:165]
	s_waitcnt vmcnt(48)
	v_fmac_f64_e32 v[40:41], v[32:33], v[168:169]
	v_add_f64 v[42:43], v[38:39], v[40:41]
	ds_read_b128 v[38:41], v1 offset:1248
	s_waitcnt lgkmcnt(1)
	v_mul_f64 v[44:45], v[34:35], v[144:145]
	v_fmac_f64_e32 v[44:45], v[36:37], v[146:147]
	v_add_f64 v[46:47], v[42:43], v[44:45]
	ds_read_b128 v[42:45], v1 offset:1264
	s_waitcnt vmcnt(42) lgkmcnt(1)
	v_mul_f64 v[48:49], v[38:39], v[172:173]
	s_waitcnt vmcnt(40)
	v_fmac_f64_e32 v[48:49], v[40:41], v[176:177]
	v_add_f64 v[50:51], v[46:47], v[48:49]
	ds_read_b128 v[46:49], v1 offset:1280
	buffer_load_dword v205, off, s[0:3], 0 offset:684
	buffer_load_dword v204, off, s[0:3], 0 offset:680
	;; [unrolled: 1-line block ×4, first 2 shown]
	s_waitcnt lgkmcnt(1)
	v_mul_f64 v[52:53], v[42:43], v[148:149]
	v_fmac_f64_e32 v[52:53], v[44:45], v[150:151]
	v_add_f64 v[54:55], v[50:51], v[52:53]
	ds_read_b128 v[50:53], v1 offset:1296
	buffer_load_dword v217, off, s[0:3], 0 offset:700
	buffer_load_dword v216, off, s[0:3], 0 offset:696
	;; [unrolled: 1-line block ×8, first 2 shown]
	s_waitcnt vmcnt(46) lgkmcnt(1)
	v_mul_f64 v[56:57], v[46:47], v[180:181]
	s_waitcnt vmcnt(44)
	v_fmac_f64_e32 v[56:57], v[48:49], v[184:185]
	v_add_f64 v[58:59], v[54:55], v[56:57]
	ds_read_b128 v[54:57], v1 offset:1312
	buffer_load_dword v227, off, s[0:3], 0 offset:732
	buffer_load_dword v226, off, s[0:3], 0 offset:728
	;; [unrolled: 1-line block ×12, first 2 shown]
	s_waitcnt lgkmcnt(1)
	v_mul_f64 v[60:61], v[50:51], v[152:153]
	v_fmac_f64_e32 v[60:61], v[52:53], v[154:155]
	v_add_f64 v[62:63], v[58:59], v[60:61]
	ds_read_b128 v[58:61], v1 offset:1328
	s_waitcnt vmcnt(50) lgkmcnt(1)
	v_mul_f64 v[64:65], v[54:55], v[188:189]
	s_waitcnt vmcnt(48)
	v_fmac_f64_e32 v[64:65], v[56:57], v[190:191]
	v_add_f64 v[62:63], v[62:63], v[64:65]
	buffer_load_dword v237, off, s[0:3], 0 offset:780
	buffer_load_dword v236, off, s[0:3], 0 offset:776
	;; [unrolled: 1-line block ×4, first 2 shown]
	s_waitcnt lgkmcnt(0)
	v_mul_f64 v[64:65], v[58:59], v[158:159]
	v_fmac_f64_e32 v[64:65], v[60:61], v[162:163]
	v_add_f64 v[118:119], v[62:63], v[64:65]
	ds_read_b128 v[62:65], v1 offset:1344
	ds_read_b128 v[66:69], v1 offset:1360
	v_fma_f64 v[210:211], v[98:99], v[80:81], -v[78:79]
	ds_read_b128 v[78:81], v1 offset:1408
	v_fma_f64 v[212:213], v[110:111], v[84:85], -v[82:83]
	ds_read_b128 v[82:85], v1 offset:1424
	s_waitcnt vmcnt(46) lgkmcnt(3)
	v_mul_f64 v[74:75], v[62:63], v[192:193]
	s_waitcnt vmcnt(44)
	v_fmac_f64_e32 v[74:75], v[64:65], v[194:195]
	v_add_f64 v[74:75], v[118:119], v[74:75]
	v_fma_f64 v[118:119], v[86:87], v[70:71], -v[72:73]
	ds_read_b128 v[70:73], v1 offset:1376
	s_waitcnt lgkmcnt(3)
	v_mul_f64 v[76:77], v[66:67], v[166:167]
	v_fmac_f64_e32 v[76:77], v[68:69], v[170:171]
	v_add_f64 v[86:87], v[74:75], v[76:77]
	ds_read_b128 v[74:77], v1 offset:1392
	s_waitcnt vmcnt(38) lgkmcnt(1)
	v_mul_f64 v[88:89], v[70:71], v[196:197]
	s_waitcnt vmcnt(36)
	v_fmac_f64_e32 v[88:89], v[72:73], v[198:199]
	v_add_f64 v[86:87], v[86:87], v[88:89]
	ds_read_b128 v[90:93], v1 offset:1456
	s_waitcnt lgkmcnt(1)
	v_mul_f64 v[88:89], v[74:75], v[174:175]
	v_fmac_f64_e32 v[88:89], v[76:77], v[178:179]
	v_add_f64 v[86:87], v[86:87], v[88:89]
	s_waitcnt vmcnt(30)
	v_mul_f64 v[88:89], v[78:79], v[200:201]
	s_waitcnt vmcnt(28)
	v_fmac_f64_e32 v[88:89], v[80:81], v[202:203]
	v_add_f64 v[86:87], v[86:87], v[88:89]
	v_mul_f64 v[88:89], v[82:83], v[182:183]
	v_fmac_f64_e32 v[88:89], v[84:85], v[186:187]
	v_add_f64 v[98:99], v[86:87], v[88:89]
	ds_read_b128 v[86:89], v1 offset:1440
	v_mul_f64 v[94:95], v[242:243], v[94:95]
	v_fma_f64 v[252:253], v[240:241], v[96:97], -v[94:95]
	ds_read_b128 v[94:97], v1 offset:1472
	v_mul_f64 v[102:103], v[246:247], v[102:103]
	v_fma_f64 v[246:247], v[244:245], v[104:105], -v[102:103]
	;; [unrolled: 3-line block ×3, first 2 shown]
	v_add_f64 v[208:209], v[208:209], 0
	v_add_f64 v[118:119], v[208:209], v[118:119]
	;; [unrolled: 1-line block ×7, first 2 shown]
	v_mul_f64 v[4:5], v[4:5], v[120:121]
	v_add_f64 v[118:119], v[252:253], v[250:251]
	v_fma_f64 v[2:3], v[2:3], v[122:123], -v[4:5]
	v_mul_f64 v[4:5], v[8:9], v[128:129]
	v_add_f64 v[2:3], v[118:119], v[2:3]
	v_fma_f64 v[4:5], v[6:7], v[130:131], -v[4:5]
	v_add_f64 v[2:3], v[2:3], v[4:5]
	ds_read_b128 v[106:109], v1 offset:1520
	v_mul_f64 v[4:5], v[12:13], v[124:125]
	v_fma_f64 v[4:5], v[10:11], v[126:127], -v[4:5]
	v_add_f64 v[2:3], v[2:3], v[4:5]
	s_waitcnt vmcnt(26) lgkmcnt(3)
	v_mul_f64 v[100:101], v[86:87], v[204:205]
	v_mul_f64 v[4:5], v[16:17], v[140:141]
	s_waitcnt vmcnt(24)
	v_fmac_f64_e32 v[100:101], v[88:89], v[206:207]
	v_add_f64 v[98:99], v[98:99], v[100:101]
	s_waitcnt vmcnt(22)
	v_mul_f64 v[100:101], v[90:91], v[216:217]
	s_waitcnt vmcnt(20)
	v_fmac_f64_e32 v[100:101], v[92:93], v[220:221]
	v_add_f64 v[98:99], v[98:99], v[100:101]
	s_waitcnt vmcnt(18) lgkmcnt(2)
	v_mul_f64 v[100:101], v[94:95], v[218:219]
	s_waitcnt vmcnt(16)
	v_fmac_f64_e32 v[100:101], v[96:97], v[222:223]
	v_add_f64 v[110:111], v[98:99], v[100:101]
	ds_read_b128 v[98:101], v1 offset:1488
	v_fma_f64 v[4:5], v[14:15], v[142:143], -v[4:5]
	v_add_f64 v[2:3], v[2:3], v[4:5]
	v_mul_f64 v[4:5], v[20:21], v[132:133]
	v_fma_f64 v[4:5], v[18:19], v[134:135], -v[4:5]
	s_waitcnt vmcnt(14) lgkmcnt(0)
	v_mul_f64 v[112:113], v[98:99], v[226:227]
	s_waitcnt vmcnt(12)
	v_fmac_f64_e32 v[112:113], v[100:101], v[228:229]
	v_add_f64 v[110:111], v[110:111], v[112:113]
	s_waitcnt vmcnt(9)
	v_mul_f64 v[112:113], v[102:103], v[232:233]
	s_waitcnt vmcnt(7)
	v_fmac_f64_e32 v[112:113], v[104:105], v[234:235]
	v_add_f64 v[110:111], v[110:111], v[112:113]
	s_waitcnt vmcnt(5)
	v_mul_f64 v[112:113], v[106:107], v[224:225]
	s_waitcnt vmcnt(4)
	v_fmac_f64_e32 v[112:113], v[108:109], v[230:231]
	v_add_f64 v[114:115], v[110:111], v[112:113]
	ds_read_b128 v[110:113], v1 offset:1536
	buffer_load_dword v242, off, s[0:3], 0 offset:792
	buffer_load_dword v243, off, s[0:3], 0 offset:796
	;; [unrolled: 1-line block ×4, first 2 shown]
	v_add_f64 v[2:3], v[2:3], v[4:5]
	v_mul_f64 v[4:5], v[24:25], v[156:157]
	v_fma_f64 v[4:5], v[22:23], v[160:161], -v[4:5]
	s_waitcnt vmcnt(6) lgkmcnt(0)
	v_mul_f64 v[116:117], v[110:111], v[236:237]
	s_waitcnt vmcnt(4)
	v_fmac_f64_e32 v[116:117], v[112:113], v[238:239]
	v_add_f64 v[240:241], v[114:115], v[116:117]
	ds_read_b128 v[114:117], v1 offset:1552
	v_add_f64 v[2:3], v[2:3], v[4:5]
	v_mul_f64 v[4:5], v[28:29], v[136:137]
	v_fma_f64 v[4:5], v[26:27], v[138:139], -v[4:5]
	v_add_f64 v[2:3], v[2:3], v[4:5]
	v_mul_f64 v[4:5], v[32:33], v[164:165]
	v_fma_f64 v[4:5], v[30:31], v[168:169], -v[4:5]
	;; [unrolled: 3-line block ×22, first 2 shown]
	v_add_f64 v[2:3], v[2:3], v[4:5]
	s_waitcnt vmcnt(2) lgkmcnt(0)
	v_mul_f64 v[248:249], v[114:115], v[242:243]
	v_mul_f64 v[4:5], v[116:117], v[242:243]
	s_waitcnt vmcnt(0)
	v_fmac_f64_e32 v[248:249], v[116:117], v[244:245]
	v_add_f64 v[240:241], v[240:241], v[248:249]
	buffer_load_dword v248, off, s[0:3], 0 offset:192
	buffer_load_dword v249, off, s[0:3], 0 offset:196
	;; [unrolled: 1-line block ×4, first 2 shown]
	v_fma_f64 v[4:5], v[114:115], v[244:245], -v[4:5]
	v_add_f64 v[2:3], v[2:3], v[4:5]
	s_waitcnt vmcnt(2)
	v_add_f64 v[2:3], v[248:249], -v[2:3]
	s_waitcnt vmcnt(0)
	v_add_f64 v[4:5], v[246:247], -v[240:241]
	buffer_store_dword v3, off, s[0:3], 0 offset:196
	buffer_store_dword v2, off, s[0:3], 0 offset:192
	;; [unrolled: 1-line block ×4, first 2 shown]
	s_and_saveexec_b64 s[4:5], vcc
	s_cbranch_execz .LBB48_287
; %bb.286:
	v_accvgpr_read_b32 v0, a136
	buffer_load_dword v2, v0, s[0:3], 0 offen
	buffer_load_dword v3, v0, s[0:3], 0 offen offset:4
	buffer_load_dword v4, v0, s[0:3], 0 offen offset:8
	;; [unrolled: 1-line block ×3, first 2 shown]
	v_accvgpr_read_b32 v0, a147
	buffer_store_dword v1, off, s[0:3], 0 offset:176
	buffer_store_dword v1, off, s[0:3], 0 offset:180
	;; [unrolled: 1-line block ×4, first 2 shown]
	s_waitcnt vmcnt(4)
	ds_write_b128 v0, v[2:5]
.LBB48_287:
	s_or_b64 exec, exec, s[4:5]
	s_waitcnt lgkmcnt(0)
	; wave barrier
	s_waitcnt lgkmcnt(0)
	buffer_load_dword v66, off, s[0:3], 0 offset:192
	buffer_load_dword v67, off, s[0:3], 0 offset:196
	;; [unrolled: 1-line block ×42, first 2 shown]
	ds_read_b128 v[78:81], v1 offset:960
	ds_read_b128 v[90:93], v1 offset:976
	;; [unrolled: 1-line block ×10, first 2 shown]
	buffer_load_dword v131, off, s[0:3], 0 offset:340
	buffer_load_dword v130, off, s[0:3], 0 offset:336
	ds_read_b128 v[6:9], v1 offset:1120
	buffer_load_dword v127, off, s[0:3], 0 offset:396
	buffer_load_dword v126, off, s[0:3], 0 offset:392
	;; [unrolled: 1-line block ×80, first 2 shown]
	s_waitcnt vmcnt(62) lgkmcnt(10)
	v_mul_f64 v[10:11], v[78:79], v[68:69]
	v_fmac_f64_e32 v[10:11], v[80:81], v[66:67]
	v_add_f64 v[10:11], v[10:11], 0
	v_mul_f64 v[68:69], v[80:81], v[68:69]
	s_waitcnt lgkmcnt(9)
	v_mul_f64 v[12:13], v[90:91], v[64:65]
	v_fmac_f64_e32 v[12:13], v[92:93], v[62:63]
	s_waitcnt lgkmcnt(8)
	v_mul_f64 v[14:15], v[102:103], v[70:71]
	v_add_f64 v[10:11], v[10:11], v[12:13]
	s_waitcnt lgkmcnt(6)
	v_mul_f64 v[18:19], v[114:115], v[82:83]
	v_mul_f64 v[64:65], v[92:93], v[64:65]
	v_fmac_f64_e32 v[18:19], v[116:117], v[84:85]
	v_fma_f64 v[210:211], v[90:91], v[62:63], -v[64:65]
	v_mul_f64 v[16:17], v[110:111], v[74:75]
	v_fma_f64 v[208:209], v[78:79], v[66:67], -v[68:69]
	s_waitcnt lgkmcnt(4)
	v_mul_f64 v[22:23], v[244:245], v[94:95]
	v_mul_f64 v[70:71], v[104:105], v[70:71]
	v_fmac_f64_e32 v[22:23], v[246:247], v[96:97]
	v_mul_f64 v[74:75], v[112:113], v[74:75]
	v_mul_f64 v[20:21], v[240:241], v[86:87]
	;; [unrolled: 1-line block ×3, first 2 shown]
	s_waitcnt lgkmcnt(2)
	v_mul_f64 v[26:27], v[252:253], v[106:107]
	v_fma_f64 v[214:215], v[114:115], v[84:85], -v[82:83]
	v_mul_f64 v[86:87], v[242:243], v[86:87]
	v_mul_f64 v[24:25], v[248:249], v[98:99]
	;; [unrolled: 1-line block ×3, first 2 shown]
	s_waitcnt lgkmcnt(1)
	v_mul_f64 v[28:29], v[120:121], v[4:5]
	v_fma_f64 v[246:247], v[244:245], v[96:97], -v[94:95]
	v_fmac_f64_e32 v[14:15], v[104:105], v[72:73]
	v_add_f64 v[10:11], v[10:11], v[14:15]
	v_fmac_f64_e32 v[16:17], v[112:113], v[76:77]
	v_add_f64 v[10:11], v[10:11], v[16:17]
	;; [unrolled: 2-line block ×3, first 2 shown]
	v_add_f64 v[10:11], v[10:11], v[20:21]
	v_fmac_f64_e32 v[24:25], v[250:251], v[100:101]
	v_add_f64 v[10:11], v[10:11], v[22:23]
	v_fmac_f64_e32 v[26:27], v[254:255], v[108:109]
	v_add_f64 v[10:11], v[10:11], v[24:25]
	v_add_f64 v[10:11], v[10:11], v[26:27]
	s_waitcnt lgkmcnt(0)
	v_mul_f64 v[16:17], v[6:7], v[2:3]
	v_fmac_f64_e32 v[28:29], v[122:123], v[130:131]
	v_add_f64 v[14:15], v[10:11], v[28:29]
	ds_read_b128 v[10:13], v1 offset:1136
	v_fmac_f64_e32 v[16:17], v[8:9], v[124:125]
	v_add_f64 v[18:19], v[14:15], v[16:17]
	ds_read_b128 v[14:17], v1 offset:1152
	v_fma_f64 v[212:213], v[110:111], v[76:77], -v[74:75]
	s_waitcnt lgkmcnt(1)
	v_mul_f64 v[20:21], v[10:11], v[132:133]
	v_fmac_f64_e32 v[20:21], v[12:13], v[148:149]
	v_add_f64 v[22:23], v[18:19], v[20:21]
	ds_read_b128 v[18:21], v1 offset:1168
	s_waitcnt lgkmcnt(1)
	v_mul_f64 v[24:25], v[14:15], v[126:127]
	v_fmac_f64_e32 v[24:25], v[16:17], v[128:129]
	v_add_f64 v[26:27], v[22:23], v[24:25]
	ds_read_b128 v[22:25], v1 offset:1184
	;; [unrolled: 5-line block ×4, first 2 shown]
	s_waitcnt vmcnt(58) lgkmcnt(1)
	v_mul_f64 v[36:37], v[26:27], v[160:161]
	s_waitcnt vmcnt(56)
	v_fmac_f64_e32 v[36:37], v[28:29], v[164:165]
	v_add_f64 v[38:39], v[34:35], v[36:37]
	ds_read_b128 v[34:37], v1 offset:1232
	s_waitcnt lgkmcnt(1)
	v_mul_f64 v[40:41], v[30:31], v[138:139]
	v_fmac_f64_e32 v[40:41], v[32:33], v[140:141]
	v_add_f64 v[42:43], v[38:39], v[40:41]
	ds_read_b128 v[38:41], v1 offset:1248
	s_waitcnt vmcnt(50) lgkmcnt(1)
	v_mul_f64 v[44:45], v[34:35], v[168:169]
	s_waitcnt vmcnt(48)
	v_fmac_f64_e32 v[44:45], v[36:37], v[172:173]
	v_add_f64 v[46:47], v[42:43], v[44:45]
	ds_read_b128 v[42:45], v1 offset:1264
	s_waitcnt lgkmcnt(1)
	v_mul_f64 v[48:49], v[38:39], v[142:143]
	v_fmac_f64_e32 v[48:49], v[40:41], v[144:145]
	v_add_f64 v[50:51], v[46:47], v[48:49]
	ds_read_b128 v[46:49], v1 offset:1280
	s_waitcnt vmcnt(42) lgkmcnt(1)
	v_mul_f64 v[52:53], v[42:43], v[176:177]
	s_waitcnt vmcnt(40)
	v_fmac_f64_e32 v[52:53], v[44:45], v[180:181]
	v_add_f64 v[54:55], v[50:51], v[52:53]
	ds_read_b128 v[50:53], v1 offset:1296
	s_waitcnt lgkmcnt(1)
	v_mul_f64 v[56:57], v[46:47], v[146:147]
	buffer_load_dword v217, off, s[0:3], 0 offset:700
	buffer_load_dword v216, off, s[0:3], 0 offset:696
	;; [unrolled: 1-line block ×4, first 2 shown]
	v_fmac_f64_e32 v[56:57], v[48:49], v[150:151]
	v_add_f64 v[58:59], v[54:55], v[56:57]
	ds_read_b128 v[54:57], v1 offset:1312
	buffer_load_dword v222, off, s[0:3], 0 offset:712
	buffer_load_dword v224, off, s[0:3], 0 offset:704
	;; [unrolled: 1-line block ×16, first 2 shown]
	s_waitcnt vmcnt(54) lgkmcnt(1)
	v_mul_f64 v[60:61], v[50:51], v[184:185]
	s_waitcnt vmcnt(52)
	v_fmac_f64_e32 v[60:61], v[52:53], v[188:189]
	v_add_f64 v[118:119], v[58:59], v[60:61]
	ds_read_b128 v[58:61], v1 offset:1328
	buffer_load_dword v236, off, s[0:3], 0 offset:776
	buffer_load_dword v238, off, s[0:3], 0 offset:768
	;; [unrolled: 1-line block ×4, first 2 shown]
	ds_read_b128 v[62:65], v1 offset:1344
	s_waitcnt lgkmcnt(2)
	v_mul_f64 v[66:67], v[54:55], v[154:155]
	v_fmac_f64_e32 v[66:67], v[56:57], v[158:159]
	s_waitcnt vmcnt(50) lgkmcnt(1)
	v_mul_f64 v[68:69], v[58:59], v[192:193]
	v_add_f64 v[66:67], v[118:119], v[66:67]
	s_waitcnt vmcnt(48)
	v_fmac_f64_e32 v[68:69], v[60:61], v[194:195]
	v_add_f64 v[66:67], v[66:67], v[68:69]
	v_fma_f64 v[118:119], v[102:103], v[72:73], -v[70:71]
	ds_read_b128 v[70:73], v1 offset:1376
	s_waitcnt lgkmcnt(1)
	v_mul_f64 v[68:69], v[62:63], v[162:163]
	v_fmac_f64_e32 v[68:69], v[64:65], v[166:167]
	v_add_f64 v[78:79], v[66:67], v[68:69]
	ds_read_b128 v[66:69], v1 offset:1360
	ds_read_b128 v[74:77], v1 offset:1392
	;; [unrolled: 1-line block ×3, first 2 shown]
	v_accvgpr_write_b32 a149, v3
	v_accvgpr_write_b32 a148, v2
	s_waitcnt vmcnt(42) lgkmcnt(2)
	v_mul_f64 v[80:81], v[66:67], v[196:197]
	s_waitcnt vmcnt(40)
	v_fmac_f64_e32 v[80:81], v[68:69], v[198:199]
	v_add_f64 v[78:79], v[78:79], v[80:81]
	v_mul_f64 v[80:81], v[70:71], v[170:171]
	v_fmac_f64_e32 v[80:81], v[72:73], v[174:175]
	v_add_f64 v[90:91], v[78:79], v[80:81]
	ds_read_b128 v[78:81], v1 offset:1408
	s_waitcnt vmcnt(34) lgkmcnt(2)
	v_mul_f64 v[92:93], v[74:75], v[200:201]
	s_waitcnt vmcnt(32)
	v_fmac_f64_e32 v[92:93], v[76:77], v[202:203]
	v_fma_f64 v[2:3], v[240:241], v[88:89], -v[86:87]
	ds_read_b128 v[86:89], v1 offset:1440
	ds_read_b128 v[94:97], v1 offset:1472
	v_add_f64 v[90:91], v[90:91], v[92:93]
	s_waitcnt lgkmcnt(2)
	v_mul_f64 v[92:93], v[78:79], v[178:179]
	v_fmac_f64_e32 v[92:93], v[80:81], v[182:183]
	v_add_f64 v[90:91], v[90:91], v[92:93]
	s_waitcnt vmcnt(26)
	v_mul_f64 v[92:93], v[82:83], v[204:205]
	s_waitcnt vmcnt(24)
	v_fmac_f64_e32 v[92:93], v[84:85], v[206:207]
	v_add_f64 v[90:91], v[90:91], v[92:93]
	s_waitcnt lgkmcnt(1)
	v_mul_f64 v[92:93], v[86:87], v[186:187]
	v_fmac_f64_e32 v[92:93], v[88:89], v[190:191]
	v_add_f64 v[102:103], v[90:91], v[92:93]
	ds_read_b128 v[90:93], v1 offset:1456
	v_mul_f64 v[98:99], v[250:251], v[98:99]
	v_fma_f64 v[250:251], v[248:249], v[100:101], -v[98:99]
	ds_read_b128 v[98:101], v1 offset:1488
	v_mul_f64 v[106:107], v[254:255], v[106:107]
	v_fma_f64 v[252:253], v[252:253], v[108:109], -v[106:107]
	v_add_f64 v[208:209], v[208:209], 0
	v_add_f64 v[208:209], v[208:209], v[210:211]
	;; [unrolled: 1-line block ×8, first 2 shown]
	v_mul_f64 v[4:5], v[122:123], v[4:5]
	v_add_f64 v[2:3], v[2:3], v[252:253]
	v_fma_f64 v[4:5], v[120:121], v[130:131], -v[4:5]
	v_add_f64 v[2:3], v[2:3], v[4:5]
	ds_read_b128 v[106:109], v1 offset:1520
	s_waitcnt vmcnt(13) lgkmcnt(1)
	v_mul_f64 v[112:113], v[98:99], v[226:227]
	v_mul_f64 v[104:105], v[90:91], v[216:217]
	s_waitcnt vmcnt(11)
	v_fmac_f64_e32 v[112:113], v[100:101], v[232:233]
	v_fmac_f64_e32 v[104:105], v[92:93], v[218:219]
	v_add_f64 v[102:103], v[102:103], v[104:105]
	v_mul_f64 v[104:105], v[94:95], v[222:223]
	v_fmac_f64_e32 v[104:105], v[96:97], v[224:225]
	v_add_f64 v[110:111], v[102:103], v[104:105]
	ds_read_b128 v[102:105], v1 offset:1504
	v_add_f64 v[110:111], v[110:111], v[112:113]
	s_waitcnt vmcnt(10) lgkmcnt(0)
	v_mul_f64 v[112:113], v[102:103], v[220:221]
	s_waitcnt vmcnt(8)
	v_fmac_f64_e32 v[112:113], v[104:105], v[230:231]
	v_add_f64 v[110:111], v[110:111], v[112:113]
	s_waitcnt vmcnt(6)
	v_mul_f64 v[112:113], v[106:107], v[228:229]
	s_waitcnt vmcnt(4)
	v_fmac_f64_e32 v[112:113], v[108:109], v[234:235]
	v_add_f64 v[114:115], v[110:111], v[112:113]
	ds_read_b128 v[110:113], v1 offset:1536
	buffer_load_dword v243, off, s[0:3], 0 offset:796
	buffer_load_dword v242, off, s[0:3], 0 offset:792
	;; [unrolled: 1-line block ×4, first 2 shown]
	s_waitcnt vmcnt(5) lgkmcnt(0)
	v_mul_f64 v[116:117], v[110:111], v[236:237]
	s_waitcnt vmcnt(4)
	v_fmac_f64_e32 v[116:117], v[112:113], v[238:239]
	v_add_f64 v[240:241], v[114:115], v[116:117]
	ds_read_b128 v[114:117], v1 offset:1552
	v_accvgpr_read_b32 v0, a148
	v_accvgpr_read_b32 v1, a149
	v_mul_f64 v[4:5], v[8:9], v[0:1]
	v_fma_f64 v[4:5], v[6:7], v[124:125], -v[4:5]
	v_add_f64 v[2:3], v[2:3], v[4:5]
	v_mul_f64 v[4:5], v[12:13], v[132:133]
	v_fma_f64 v[4:5], v[10:11], v[148:149], -v[4:5]
	v_add_f64 v[2:3], v[2:3], v[4:5]
	;; [unrolled: 3-line block ×22, first 2 shown]
	v_mul_f64 v[4:5], v[96:97], v[222:223]
	v_fma_f64 v[4:5], v[94:95], v[224:225], -v[4:5]
	s_waitcnt vmcnt(2) lgkmcnt(0)
	v_mul_f64 v[248:249], v[114:115], v[242:243]
	v_add_f64 v[2:3], v[2:3], v[4:5]
	s_waitcnt vmcnt(0)
	v_fmac_f64_e32 v[248:249], v[116:117], v[244:245]
	v_add_f64 v[240:241], v[240:241], v[248:249]
	buffer_load_dword v248, off, s[0:3], 0 offset:176
	buffer_load_dword v249, off, s[0:3], 0 offset:180
	;; [unrolled: 1-line block ×4, first 2 shown]
	v_mul_f64 v[4:5], v[100:101], v[226:227]
	v_fma_f64 v[4:5], v[98:99], v[232:233], -v[4:5]
	v_add_f64 v[2:3], v[2:3], v[4:5]
	v_mul_f64 v[4:5], v[104:105], v[220:221]
	v_fma_f64 v[4:5], v[102:103], v[230:231], -v[4:5]
	v_add_f64 v[2:3], v[2:3], v[4:5]
	;; [unrolled: 3-line block ×5, first 2 shown]
	v_accvgpr_read_b32 v0, a146
	v_cmp_lt_u32_e32 vcc, 9, v0
	s_waitcnt vmcnt(2)
	v_add_f64 v[2:3], v[248:249], -v[2:3]
	s_waitcnt vmcnt(0)
	v_add_f64 v[4:5], v[246:247], -v[240:241]
	buffer_store_dword v3, off, s[0:3], 0 offset:180
	buffer_store_dword v2, off, s[0:3], 0 offset:176
	;; [unrolled: 1-line block ×4, first 2 shown]
	s_and_saveexec_b64 s[4:5], vcc
	s_cbranch_execz .LBB48_289
; %bb.288:
	v_accvgpr_read_b32 v0, a137
	buffer_load_dword v2, v0, s[0:3], 0 offen
	buffer_load_dword v3, v0, s[0:3], 0 offen offset:4
	buffer_load_dword v4, v0, s[0:3], 0 offen offset:8
	;; [unrolled: 1-line block ×3, first 2 shown]
	v_mov_b32_e32 v0, 0
	v_accvgpr_read_b32 v1, a147
	buffer_store_dword v0, off, s[0:3], 0 offset:160
	buffer_store_dword v0, off, s[0:3], 0 offset:164
	;; [unrolled: 1-line block ×4, first 2 shown]
	s_waitcnt vmcnt(4)
	ds_write_b128 v1, v[2:5]
.LBB48_289:
	s_or_b64 exec, exec, s[4:5]
	s_waitcnt lgkmcnt(0)
	; wave barrier
	s_waitcnt lgkmcnt(0)
	buffer_load_dword v54, off, s[0:3], 0 offset:176
	buffer_load_dword v55, off, s[0:3], 0 offset:180
	;; [unrolled: 1-line block ×49, first 2 shown]
	s_waitcnt vmcnt(8)
	v_pk_mov_b32 v[2:3], v[0:1], v[0:1] op_sel:[0,1]
	v_mov_b32_e32 v1, 0
	ds_read_b128 v[62:65], v1 offset:944
	ds_read_b128 v[74:77], v1 offset:960
	;; [unrolled: 1-line block ×11, first 2 shown]
	s_waitcnt lgkmcnt(10)
	v_mul_f64 v[6:7], v[62:63], v[56:57]
	s_waitcnt lgkmcnt(9)
	v_mul_f64 v[8:9], v[74:75], v[60:61]
	v_fmac_f64_e32 v[6:7], v[64:65], v[54:55]
	s_waitcnt lgkmcnt(8)
	v_mul_f64 v[10:11], v[86:87], v[66:67]
	v_fmac_f64_e32 v[8:9], v[76:77], v[58:59]
	v_add_f64 v[6:7], v[6:7], 0
	s_waitcnt lgkmcnt(7)
	v_mul_f64 v[12:13], v[98:99], v[70:71]
	v_fmac_f64_e32 v[10:11], v[88:89], v[68:69]
	v_add_f64 v[6:7], v[6:7], v[8:9]
	;; [unrolled: 4-line block ×4, first 2 shown]
	buffer_load_dword v128, off, s[0:3], 0 offset:360
	buffer_load_dword v145, off, s[0:3], 0 offset:356
	;; [unrolled: 1-line block ×75, first 2 shown]
	s_waitcnt lgkmcnt(4)
	v_mul_f64 v[18:19], v[236:237], v[90:91]
	v_fmac_f64_e32 v[16:17], v[116:117], v[84:85]
	v_add_f64 v[6:7], v[6:7], v[14:15]
	s_waitcnt lgkmcnt(3)
	v_mul_f64 v[20:21], v[240:241], v[94:95]
	v_fmac_f64_e32 v[18:19], v[238:239], v[92:93]
	v_add_f64 v[6:7], v[6:7], v[16:17]
	;; [unrolled: 4-line block ×4, first 2 shown]
	v_add_f64 v[6:7], v[6:7], v[22:23]
	s_waitcnt vmcnt(62)
	v_fmac_f64_e32 v[24:25], v[250:251], v[108:109]
	v_add_f64 v[10:11], v[6:7], v[24:25]
	ds_read_b128 v[6:9], v1 offset:1120
	s_waitcnt lgkmcnt(1)
	v_mul_f64 v[12:13], v[120:121], v[4:5]
	v_fmac_f64_e32 v[12:13], v[122:123], v[2:3]
	v_add_f64 v[14:15], v[10:11], v[12:13]
	ds_read_b128 v[10:13], v1 offset:1136
	s_waitcnt lgkmcnt(1)
	v_mul_f64 v[16:17], v[6:7], v[128:129]
	;; [unrolled: 5-line block ×5, first 2 shown]
	v_fmac_f64_e32 v[28:29], v[20:21], v[132:133]
	v_add_f64 v[30:31], v[26:27], v[28:29]
	ds_read_b128 v[26:29], v1 offset:1200
	s_waitcnt vmcnt(58) lgkmcnt(1)
	v_mul_f64 v[32:33], v[22:23], v[156:157]
	s_waitcnt vmcnt(56)
	v_fmac_f64_e32 v[32:33], v[24:25], v[160:161]
	v_add_f64 v[34:35], v[30:31], v[32:33]
	ds_read_b128 v[30:33], v1 offset:1216
	s_waitcnt lgkmcnt(1)
	v_mul_f64 v[36:37], v[26:27], v[134:135]
	v_fmac_f64_e32 v[36:37], v[28:29], v[136:137]
	v_add_f64 v[38:39], v[34:35], v[36:37]
	ds_read_b128 v[34:37], v1 offset:1232
	s_waitcnt vmcnt(50) lgkmcnt(1)
	v_mul_f64 v[40:41], v[30:31], v[164:165]
	s_waitcnt vmcnt(48)
	v_fmac_f64_e32 v[40:41], v[32:33], v[168:169]
	v_add_f64 v[42:43], v[38:39], v[40:41]
	ds_read_b128 v[38:41], v1 offset:1248
	s_waitcnt lgkmcnt(1)
	v_mul_f64 v[44:45], v[34:35], v[138:139]
	;; [unrolled: 11-line block ×3, first 2 shown]
	buffer_load_dword v205, off, s[0:3], 0 offset:684
	buffer_load_dword v204, off, s[0:3], 0 offset:680
	;; [unrolled: 1-line block ×4, first 2 shown]
	v_fmac_f64_e32 v[52:53], v[44:45], v[146:147]
	v_add_f64 v[118:119], v[50:51], v[52:53]
	ds_read_b128 v[50:53], v1 offset:1296
	buffer_load_dword v216, off, s[0:3], 0 offset:696
	buffer_load_dword v218, off, s[0:3], 0 offset:688
	buffer_load_dword v217, off, s[0:3], 0 offset:700
	buffer_load_dword v219, off, s[0:3], 0 offset:692
	buffer_load_dword v223, off, s[0:3], 0 offset:716
	buffer_load_dword v222, off, s[0:3], 0 offset:712
	buffer_load_dword v227, off, s[0:3], 0 offset:708
	buffer_load_dword v226, off, s[0:3], 0 offset:704
	buffer_load_dword v225, off, s[0:3], 0 offset:732
	buffer_load_dword v224, off, s[0:3], 0 offset:728
	buffer_load_dword v229, off, s[0:3], 0 offset:724
	buffer_load_dword v228, off, s[0:3], 0 offset:720
	buffer_load_dword v220, off, s[0:3], 0 offset:760
	buffer_load_dword v233, off, s[0:3], 0 offset:748
	buffer_load_dword v232, off, s[0:3], 0 offset:744
	buffer_load_dword v235, off, s[0:3], 0 offset:740
	buffer_load_dword v234, off, s[0:3], 0 offset:736
	buffer_load_dword v230, off, s[0:3], 0 offset:752
	buffer_load_dword v221, off, s[0:3], 0 offset:764
	buffer_load_dword v231, off, s[0:3], 0 offset:756
	s_waitcnt vmcnt(58) lgkmcnt(1)
	v_mul_f64 v[208:209], v[46:47], v[180:181]
	s_waitcnt vmcnt(56)
	v_fmac_f64_e32 v[208:209], v[48:49], v[184:185]
	v_mul_f64 v[56:57], v[64:65], v[56:57]
	v_add_f64 v[118:119], v[118:119], v[208:209]
	v_fma_f64 v[208:209], v[62:63], v[54:55], -v[56:57]
	ds_read_b128 v[54:57], v1 offset:1312
	v_mul_f64 v[60:61], v[76:77], v[60:61]
	v_fma_f64 v[210:211], v[74:75], v[58:59], -v[60:61]
	ds_read_b128 v[58:61], v1 offset:1328
	s_waitcnt lgkmcnt(2)
	v_mul_f64 v[62:63], v[50:51], v[150:151]
	v_fmac_f64_e32 v[62:63], v[52:53], v[154:155]
	s_waitcnt vmcnt(50) lgkmcnt(1)
	v_mul_f64 v[64:65], v[54:55], v[188:189]
	v_add_f64 v[62:63], v[118:119], v[62:63]
	s_waitcnt vmcnt(48)
	v_fmac_f64_e32 v[64:65], v[56:57], v[190:191]
	v_add_f64 v[62:63], v[62:63], v[64:65]
	s_waitcnt lgkmcnt(0)
	v_mul_f64 v[64:65], v[58:59], v[158:159]
	v_fmac_f64_e32 v[64:65], v[60:61], v[162:163]
	v_add_f64 v[74:75], v[62:63], v[64:65]
	ds_read_b128 v[62:65], v1 offset:1344
	v_mul_f64 v[66:67], v[88:89], v[66:67]
	v_fma_f64 v[118:119], v[86:87], v[68:69], -v[66:67]
	ds_read_b128 v[66:69], v1 offset:1360
	v_mul_f64 v[70:71], v[100:101], v[70:71]
	s_waitcnt vmcnt(42) lgkmcnt(1)
	v_mul_f64 v[76:77], v[62:63], v[192:193]
	s_waitcnt vmcnt(40)
	v_fmac_f64_e32 v[76:77], v[64:65], v[194:195]
	v_add_f64 v[74:75], v[74:75], v[76:77]
	v_fma_f64 v[212:213], v[98:99], v[72:73], -v[70:71]
	ds_read_b128 v[70:73], v1 offset:1376
	s_waitcnt lgkmcnt(1)
	v_mul_f64 v[76:77], v[66:67], v[166:167]
	v_fmac_f64_e32 v[76:77], v[68:69], v[170:171]
	v_add_f64 v[86:87], v[74:75], v[76:77]
	ds_read_b128 v[74:77], v1 offset:1392
	v_mul_f64 v[78:79], v[112:113], v[78:79]
	v_fma_f64 v[214:215], v[110:111], v[80:81], -v[78:79]
	ds_read_b128 v[78:81], v1 offset:1408
	s_waitcnt vmcnt(34) lgkmcnt(2)
	v_mul_f64 v[88:89], v[70:71], v[196:197]
	v_mul_f64 v[82:83], v[116:117], v[82:83]
	s_waitcnt vmcnt(32)
	v_fmac_f64_e32 v[88:89], v[72:73], v[198:199]
	v_fma_f64 v[252:253], v[114:115], v[84:85], -v[82:83]
	ds_read_b128 v[82:85], v1 offset:1424
	v_add_f64 v[86:87], v[86:87], v[88:89]
	s_waitcnt lgkmcnt(2)
	v_mul_f64 v[88:89], v[74:75], v[174:175]
	v_fmac_f64_e32 v[88:89], v[76:77], v[178:179]
	v_add_f64 v[86:87], v[86:87], v[88:89]
	s_waitcnt vmcnt(26) lgkmcnt(1)
	v_mul_f64 v[88:89], v[78:79], v[200:201]
	s_waitcnt vmcnt(24)
	v_fmac_f64_e32 v[88:89], v[80:81], v[202:203]
	v_add_f64 v[86:87], v[86:87], v[88:89]
	s_waitcnt lgkmcnt(0)
	v_mul_f64 v[88:89], v[82:83], v[182:183]
	v_fmac_f64_e32 v[88:89], v[84:85], v[186:187]
	v_add_f64 v[98:99], v[86:87], v[88:89]
	ds_read_b128 v[86:89], v1 offset:1440
	v_mul_f64 v[90:91], v[238:239], v[90:91]
	v_fma_f64 v[254:255], v[236:237], v[92:93], -v[90:91]
	ds_read_b128 v[90:93], v1 offset:1456
	v_accvgpr_write_b32 a149, v3
	v_mul_f64 v[94:95], v[242:243], v[94:95]
	v_accvgpr_write_b32 a148, v2
	v_fma_f64 v[2:3], v[240:241], v[96:97], -v[94:95]
	ds_read_b128 v[94:97], v1 offset:1472
	v_mul_f64 v[102:103], v[246:247], v[102:103]
	v_fma_f64 v[246:247], v[244:245], v[104:105], -v[102:103]
	ds_read_b128 v[102:105], v1 offset:1504
	v_mul_f64 v[106:107], v[250:251], v[106:107]
	v_fma_f64 v[250:251], v[248:249], v[108:109], -v[106:107]
	ds_read_b128 v[106:109], v1 offset:1520
	v_add_f64 v[208:209], v[208:209], 0
	v_add_f64 v[208:209], v[208:209], v[210:211]
	;; [unrolled: 1-line block ×6, first 2 shown]
	s_waitcnt vmcnt(22) lgkmcnt(4)
	v_mul_f64 v[100:101], v[86:87], v[204:205]
	v_add_f64 v[118:119], v[118:119], v[254:255]
	s_waitcnt vmcnt(20)
	v_fmac_f64_e32 v[100:101], v[88:89], v[206:207]
	v_add_f64 v[98:99], v[98:99], v[100:101]
	v_add_f64 v[2:3], v[118:119], v[2:3]
	s_waitcnt vmcnt(17) lgkmcnt(3)
	v_mul_f64 v[100:101], v[90:91], v[216:217]
	s_waitcnt vmcnt(16)
	v_fmac_f64_e32 v[100:101], v[92:93], v[218:219]
	v_add_f64 v[110:111], v[98:99], v[100:101]
	ds_read_b128 v[98:101], v1 offset:1488
	s_waitcnt vmcnt(14) lgkmcnt(3)
	v_mul_f64 v[112:113], v[94:95], v[222:223]
	s_waitcnt vmcnt(12)
	v_fmac_f64_e32 v[112:113], v[96:97], v[226:227]
	buffer_load_dword v237, off, s[0:3], 0 offset:780
	buffer_load_dword v236, off, s[0:3], 0 offset:776
	;; [unrolled: 1-line block ×4, first 2 shown]
	v_add_f64 v[110:111], v[110:111], v[112:113]
	s_waitcnt vmcnt(14) lgkmcnt(0)
	v_mul_f64 v[112:113], v[98:99], v[224:225]
	s_waitcnt vmcnt(12)
	v_fmac_f64_e32 v[112:113], v[100:101], v[228:229]
	v_add_f64 v[110:111], v[110:111], v[112:113]
	s_waitcnt vmcnt(9)
	v_mul_f64 v[112:113], v[102:103], v[232:233]
	s_waitcnt vmcnt(7)
	v_fmac_f64_e32 v[112:113], v[104:105], v[234:235]
	v_add_f64 v[110:111], v[110:111], v[112:113]
	s_waitcnt vmcnt(5)
	v_mul_f64 v[112:113], v[106:107], v[220:221]
	s_waitcnt vmcnt(4)
	v_fmac_f64_e32 v[112:113], v[108:109], v[230:231]
	v_add_f64 v[114:115], v[110:111], v[112:113]
	ds_read_b128 v[110:113], v1 offset:1536
	buffer_load_dword v242, off, s[0:3], 0 offset:792
	buffer_load_dword v243, off, s[0:3], 0 offset:796
	;; [unrolled: 1-line block ×4, first 2 shown]
	v_add_f64 v[252:253], v[2:3], v[246:247]
	v_accvgpr_read_b32 v118, a148
	v_mul_f64 v[4:5], v[122:123], v[4:5]
	v_accvgpr_read_b32 v119, a149
	v_add_f64 v[2:3], v[252:253], v[250:251]
	v_fma_f64 v[4:5], v[120:121], v[118:119], -v[4:5]
	v_add_f64 v[2:3], v[2:3], v[4:5]
	v_mul_f64 v[4:5], v[8:9], v[128:129]
	v_fma_f64 v[4:5], v[6:7], v[144:145], -v[4:5]
	v_add_f64 v[2:3], v[2:3], v[4:5]
	v_mul_f64 v[4:5], v[12:13], v[124:125]
	;; [unrolled: 3-line block ×20, first 2 shown]
	s_waitcnt vmcnt(6) lgkmcnt(0)
	v_mul_f64 v[116:117], v[110:111], v[236:237]
	v_fma_f64 v[4:5], v[82:83], v[186:187], -v[4:5]
	s_waitcnt vmcnt(4)
	v_fmac_f64_e32 v[116:117], v[112:113], v[238:239]
	v_add_f64 v[240:241], v[114:115], v[116:117]
	ds_read_b128 v[114:117], v1 offset:1552
	v_add_f64 v[2:3], v[2:3], v[4:5]
	v_mul_f64 v[4:5], v[88:89], v[204:205]
	v_fma_f64 v[4:5], v[86:87], v[206:207], -v[4:5]
	v_add_f64 v[2:3], v[2:3], v[4:5]
	v_mul_f64 v[4:5], v[92:93], v[216:217]
	v_fma_f64 v[4:5], v[90:91], v[218:219], -v[4:5]
	v_add_f64 v[2:3], v[2:3], v[4:5]
	s_waitcnt vmcnt(2) lgkmcnt(0)
	v_mul_f64 v[248:249], v[114:115], v[242:243]
	v_mul_f64 v[4:5], v[96:97], v[222:223]
	s_waitcnt vmcnt(0)
	v_fmac_f64_e32 v[248:249], v[116:117], v[244:245]
	v_add_f64 v[240:241], v[240:241], v[248:249]
	buffer_load_dword v248, off, s[0:3], 0 offset:160
	buffer_load_dword v249, off, s[0:3], 0 offset:164
	;; [unrolled: 1-line block ×4, first 2 shown]
	v_fma_f64 v[4:5], v[94:95], v[226:227], -v[4:5]
	v_add_f64 v[2:3], v[2:3], v[4:5]
	v_mul_f64 v[4:5], v[100:101], v[224:225]
	v_fma_f64 v[4:5], v[98:99], v[228:229], -v[4:5]
	v_add_f64 v[2:3], v[2:3], v[4:5]
	v_mul_f64 v[4:5], v[104:105], v[232:233]
	;; [unrolled: 3-line block ×5, first 2 shown]
	v_fma_f64 v[4:5], v[114:115], v[244:245], -v[4:5]
	v_add_f64 v[2:3], v[2:3], v[4:5]
	v_accvgpr_read_b32 v0, a146
	v_cmp_lt_u32_e32 vcc, 8, v0
	s_waitcnt vmcnt(2)
	v_add_f64 v[2:3], v[248:249], -v[2:3]
	s_waitcnt vmcnt(0)
	v_add_f64 v[4:5], v[246:247], -v[240:241]
	buffer_store_dword v3, off, s[0:3], 0 offset:164
	buffer_store_dword v2, off, s[0:3], 0 offset:160
	;; [unrolled: 1-line block ×4, first 2 shown]
	s_and_saveexec_b64 s[4:5], vcc
	s_cbranch_execz .LBB48_291
; %bb.290:
	v_accvgpr_read_b32 v0, a138
	buffer_load_dword v2, v0, s[0:3], 0 offen
	buffer_load_dword v3, v0, s[0:3], 0 offen offset:4
	buffer_load_dword v4, v0, s[0:3], 0 offen offset:8
	;; [unrolled: 1-line block ×3, first 2 shown]
	v_accvgpr_read_b32 v0, a147
	buffer_store_dword v1, off, s[0:3], 0 offset:144
	buffer_store_dword v1, off, s[0:3], 0 offset:148
	buffer_store_dword v1, off, s[0:3], 0 offset:152
	buffer_store_dword v1, off, s[0:3], 0 offset:156
	s_waitcnt vmcnt(4)
	ds_write_b128 v0, v[2:5]
.LBB48_291:
	s_or_b64 exec, exec, s[4:5]
	s_waitcnt lgkmcnt(0)
	; wave barrier
	s_waitcnt lgkmcnt(0)
	buffer_load_dword v56, off, s[0:3], 0 offset:160
	buffer_load_dword v57, off, s[0:3], 0 offset:164
	;; [unrolled: 1-line block ×42, first 2 shown]
	ds_read_b128 v[78:81], v1 offset:928
	ds_read_b128 v[90:93], v1 offset:944
	;; [unrolled: 1-line block ×10, first 2 shown]
	buffer_load_dword v105, off, s[0:3], 0 offset:308
	buffer_load_dword v104, off, s[0:3], 0 offset:304
	ds_read_b128 v[106:109], v1 offset:1088
	buffer_load_dword v3, off, s[0:3], 0 offset:364
	buffer_load_dword v2, off, s[0:3], 0 offset:360
	s_waitcnt vmcnt(38) lgkmcnt(9)
	v_mul_f64 v[4:5], v[90:91], v[62:63]
	v_fmac_f64_e32 v[4:5], v[92:93], v[54:55]
	s_waitcnt vmcnt(36) lgkmcnt(8)
	v_mul_f64 v[6:7], v[114:115], v[58:59]
	v_mul_f64 v[58:59], v[116:117], v[58:59]
	s_waitcnt vmcnt(34) lgkmcnt(6)
	v_mul_f64 v[10:11], v[240:241], v[70:71]
	v_mul_f64 v[70:71], v[242:243], v[70:71]
	s_waitcnt vmcnt(32)
	v_fmac_f64_e32 v[10:11], v[242:243], v[72:73]
	v_fma_f64 v[240:241], v[240:241], v[72:73], -v[70:71]
	s_waitcnt vmcnt(30)
	v_mul_f64 v[8:9], v[236:237], v[64:65]
	s_waitcnt vmcnt(28) lgkmcnt(4)
	v_mul_f64 v[14:15], v[248:249], v[82:83]
	v_mul_f64 v[82:83], v[250:251], v[82:83]
	s_waitcnt vmcnt(26)
	v_fmac_f64_e32 v[14:15], v[250:251], v[84:85]
	v_fma_f64 v[248:249], v[248:249], v[84:85], -v[82:83]
	s_waitcnt vmcnt(24)
	v_mul_f64 v[12:13], v[244:245], v[74:75]
	v_mul_f64 v[74:75], v[246:247], v[74:75]
	s_waitcnt vmcnt(22) lgkmcnt(2)
	v_mul_f64 v[18:19], v[208:209], v[94:95]
	v_mul_f64 v[94:95], v[210:211], v[94:95]
	s_waitcnt vmcnt(19)
	v_mul_f64 v[16:17], v[252:253], v[86:87]
	v_mul_f64 v[86:87], v[254:255], v[86:87]
	s_waitcnt vmcnt(17) lgkmcnt(1)
	v_mul_f64 v[20:21], v[98:99], v[102:103]
	s_waitcnt vmcnt(15)
	v_fmac_f64_e32 v[6:7], v[116:117], v[68:69]
	s_waitcnt vmcnt(13)
	v_fmac_f64_e32 v[8:9], v[238:239], v[66:67]
	;; [unrolled: 2-line block ×3, first 2 shown]
	v_fma_f64 v[246:247], v[244:245], v[76:77], -v[74:75]
	s_waitcnt vmcnt(9)
	v_fmac_f64_e32 v[16:17], v[254:255], v[88:89]
	s_waitcnt vmcnt(8)
	v_fmac_f64_e32 v[18:19], v[210:211], v[96:97]
	v_fma_f64 v[254:255], v[252:253], v[88:89], -v[86:87]
	v_fma_f64 v[208:209], v[208:209], v[96:97], -v[94:95]
	s_waitcnt vmcnt(2)
	v_fmac_f64_e32 v[20:21], v[100:101], v[104:105]
	v_mul_f64 v[100:101], v[100:101], v[102:103]
	s_waitcnt vmcnt(0)
	v_pk_mov_b32 v[22:23], v[2:3], v[2:3] op_sel:[0,1]
	buffer_load_dword v3, off, s[0:3], 0 offset:356
	buffer_load_dword v2, off, s[0:3], 0 offset:352
	;; [unrolled: 1-line block ×78, first 2 shown]
	ds_read_b128 v[120:123], v1 offset:1104
	v_accvgpr_write_b32 a149, v23
	v_accvgpr_write_b32 a148, v22
	v_fma_f64 v[250:251], v[98:99], v[104:105], -v[100:101]
	s_waitcnt vmcnt(62)
	v_pk_mov_b32 v[24:25], v[2:3], v[2:3] op_sel:[0,1]
	v_mul_f64 v[2:3], v[78:79], v[60:61]
	v_fmac_f64_e32 v[2:3], v[80:81], v[56:57]
	v_add_f64 v[2:3], v[2:3], 0
	v_add_f64 v[2:3], v[2:3], v[4:5]
	;; [unrolled: 1-line block ×9, first 2 shown]
	s_waitcnt lgkmcnt(1)
	v_mul_f64 v[8:9], v[106:107], v[110:111]
	v_add_f64 v[6:7], v[2:3], v[20:21]
	v_fmac_f64_e32 v[8:9], v[108:109], v[112:113]
	v_add_f64 v[10:11], v[6:7], v[8:9]
	ds_read_b128 v[6:9], v1 offset:1120
	s_waitcnt lgkmcnt(1)
	v_mul_f64 v[12:13], v[120:121], v[124:125]
	v_fmac_f64_e32 v[12:13], v[122:123], v[140:141]
	v_add_f64 v[14:15], v[10:11], v[12:13]
	ds_read_b128 v[10:13], v1 offset:1136
	s_waitcnt lgkmcnt(1)
	v_mul_f64 v[16:17], v[6:7], v[22:23]
	;; [unrolled: 5-line block ×3, first 2 shown]
	v_fmac_f64_e32 v[20:21], v[12:13], v[148:149]
	v_add_f64 v[22:23], v[18:19], v[20:21]
	ds_read_b128 v[18:21], v1 offset:1168
	v_accvgpr_write_b32 a151, v25
	v_accvgpr_write_b32 a150, v24
	s_waitcnt lgkmcnt(1)
	v_mul_f64 v[24:25], v[14:15], v[126:127]
	v_fmac_f64_e32 v[24:25], v[16:17], v[128:129]
	v_add_f64 v[26:27], v[22:23], v[24:25]
	ds_read_b128 v[22:25], v1 offset:1184
	s_waitcnt vmcnt(58) lgkmcnt(1)
	v_mul_f64 v[28:29], v[18:19], v[152:153]
	s_waitcnt vmcnt(56)
	v_fmac_f64_e32 v[28:29], v[20:21], v[156:157]
	v_add_f64 v[30:31], v[26:27], v[28:29]
	ds_read_b128 v[26:29], v1 offset:1200
	s_waitcnt lgkmcnt(1)
	v_mul_f64 v[32:33], v[22:23], v[130:131]
	v_fmac_f64_e32 v[32:33], v[24:25], v[132:133]
	v_add_f64 v[34:35], v[30:31], v[32:33]
	ds_read_b128 v[30:33], v1 offset:1216
	s_waitcnt vmcnt(50) lgkmcnt(1)
	v_mul_f64 v[36:37], v[26:27], v[160:161]
	s_waitcnt vmcnt(48)
	v_fmac_f64_e32 v[36:37], v[28:29], v[164:165]
	v_add_f64 v[38:39], v[34:35], v[36:37]
	ds_read_b128 v[34:37], v1 offset:1232
	;; [unrolled: 11-line block ×4, first 2 shown]
	buffer_load_dword v200, off, s[0:3], 0 offset:680
	buffer_load_dword v205, off, s[0:3], 0 offset:668
	;; [unrolled: 1-line block ×28, first 2 shown]
	s_waitcnt lgkmcnt(1)
	v_mul_f64 v[212:213], v[46:47], v[146:147]
	v_fmac_f64_e32 v[212:213], v[48:49], v[150:151]
	v_mul_f64 v[60:61], v[80:81], v[60:61]
	v_add_f64 v[118:119], v[118:119], v[212:213]
	s_waitcnt vmcnt(54) lgkmcnt(0)
	v_mul_f64 v[212:213], v[50:51], v[184:185]
	v_fma_f64 v[214:215], v[78:79], v[56:57], -v[60:61]
	v_mul_f64 v[56:57], v[92:93], v[62:63]
	v_fma_f64 v[2:3], v[90:91], v[54:55], -v[56:57]
	s_waitcnt vmcnt(52)
	v_fmac_f64_e32 v[212:213], v[52:53], v[186:187]
	ds_read_b128 v[54:57], v1 offset:1312
	v_add_f64 v[4:5], v[118:119], v[212:213]
	v_fma_f64 v[118:119], v[114:115], v[68:69], -v[58:59]
	ds_read_b128 v[58:61], v1 offset:1328
	v_mul_f64 v[62:63], v[238:239], v[64:65]
	v_fma_f64 v[212:213], v[236:237], v[66:67], -v[62:63]
	ds_read_b128 v[62:65], v1 offset:1344
	ds_read_b128 v[70:73], v1 offset:1376
	s_waitcnt lgkmcnt(3)
	v_mul_f64 v[68:69], v[54:55], v[154:155]
	v_fmac_f64_e32 v[68:69], v[56:57], v[158:159]
	s_waitcnt vmcnt(46) lgkmcnt(2)
	v_mul_f64 v[66:67], v[58:59], v[188:189]
	v_add_f64 v[4:5], v[4:5], v[68:69]
	s_waitcnt vmcnt(44)
	v_fmac_f64_e32 v[66:67], v[60:61], v[190:191]
	v_add_f64 v[4:5], v[4:5], v[66:67]
	s_waitcnt lgkmcnt(1)
	v_mul_f64 v[66:67], v[62:63], v[162:163]
	v_fmac_f64_e32 v[66:67], v[64:65], v[166:167]
	v_add_f64 v[4:5], v[4:5], v[66:67]
	ds_read_b128 v[66:69], v1 offset:1360
	ds_read_b128 v[74:77], v1 offset:1392
	;; [unrolled: 1-line block ×5, first 2 shown]
	s_waitcnt vmcnt(38) lgkmcnt(4)
	v_mul_f64 v[78:79], v[66:67], v[192:193]
	s_waitcnt vmcnt(36)
	v_fmac_f64_e32 v[78:79], v[68:69], v[194:195]
	v_add_f64 v[4:5], v[4:5], v[78:79]
	v_mul_f64 v[78:79], v[70:71], v[170:171]
	v_fmac_f64_e32 v[78:79], v[72:73], v[174:175]
	v_add_f64 v[4:5], v[4:5], v[78:79]
	s_waitcnt vmcnt(30) lgkmcnt(3)
	v_mul_f64 v[78:79], v[74:75], v[196:197]
	s_waitcnt vmcnt(28)
	v_fmac_f64_e32 v[78:79], v[76:77], v[198:199]
	v_add_f64 v[4:5], v[4:5], v[78:79]
	ds_read_b128 v[78:81], v1 offset:1408
	v_mul_f64 v[108:109], v[108:109], v[110:111]
	v_fma_f64 v[252:253], v[106:107], v[112:113], -v[108:109]
	ds_read_b128 v[98:101], v1 offset:1488
	ds_read_b128 v[106:109], v1 offset:1520
	s_waitcnt lgkmcnt(2)
	v_mul_f64 v[90:91], v[78:79], v[178:179]
	v_fmac_f64_e32 v[90:91], v[80:81], v[182:183]
	v_add_f64 v[4:5], v[4:5], v[90:91]
	s_waitcnt vmcnt(9) lgkmcnt(1)
	v_mul_f64 v[110:111], v[98:99], v[228:229]
	v_mul_f64 v[90:91], v[82:83], v[204:205]
	s_waitcnt vmcnt(7)
	v_fmac_f64_e32 v[110:111], v[100:101], v[232:233]
	v_fmac_f64_e32 v[90:91], v[84:85], v[206:207]
	v_add_f64 v[4:5], v[4:5], v[90:91]
	v_mul_f64 v[90:91], v[86:87], v[200:201]
	v_fmac_f64_e32 v[90:91], v[88:89], v[202:203]
	v_add_f64 v[4:5], v[4:5], v[90:91]
	ds_read_b128 v[90:93], v1 offset:1456
	v_mul_f64 v[102:103], v[94:95], v[222:223]
	v_fmac_f64_e32 v[102:103], v[96:97], v[224:225]
	s_waitcnt lgkmcnt(0)
	v_mul_f64 v[114:115], v[90:91], v[216:217]
	v_fmac_f64_e32 v[114:115], v[92:93], v[218:219]
	v_add_f64 v[4:5], v[4:5], v[114:115]
	v_add_f64 v[4:5], v[4:5], v[102:103]
	ds_read_b128 v[102:105], v1 offset:1504
	buffer_load_dword v236, off, s[0:3], 0 offset:776
	buffer_load_dword v237, off, s[0:3], 0 offset:780
	buffer_load_dword v238, off, s[0:3], 0 offset:768
	buffer_load_dword v239, off, s[0:3], 0 offset:772
	v_add_f64 v[4:5], v[4:5], v[110:111]
	s_waitcnt vmcnt(9) lgkmcnt(0)
	v_mul_f64 v[110:111], v[102:103], v[220:221]
	s_waitcnt vmcnt(8)
	v_fmac_f64_e32 v[110:111], v[104:105], v[226:227]
	v_add_f64 v[4:5], v[4:5], v[110:111]
	s_waitcnt vmcnt(6)
	v_mul_f64 v[110:111], v[106:107], v[230:231]
	s_waitcnt vmcnt(4)
	v_fmac_f64_e32 v[110:111], v[108:109], v[234:235]
	v_add_f64 v[4:5], v[4:5], v[110:111]
	ds_read_b128 v[110:113], v1 offset:1536
	buffer_load_dword v243, off, s[0:3], 0 offset:796
	buffer_load_dword v242, off, s[0:3], 0 offset:792
	;; [unrolled: 1-line block ×4, first 2 shown]
	s_waitcnt vmcnt(6) lgkmcnt(0)
	v_mul_f64 v[114:115], v[110:111], v[236:237]
	s_waitcnt vmcnt(4)
	v_fmac_f64_e32 v[114:115], v[112:113], v[238:239]
	v_add_f64 v[4:5], v[4:5], v[114:115]
	ds_read_b128 v[114:117], v1 offset:1552
	v_accvgpr_read_b32 v0, a148
	v_accvgpr_read_b32 v1, a149
	v_mul_f64 v[8:9], v[8:9], v[0:1]
	v_accvgpr_read_b32 v0, a150
	v_accvgpr_read_b32 v1, a151
	v_fma_f64 v[6:7], v[6:7], v[0:1], -v[8:9]
	s_waitcnt vmcnt(2) lgkmcnt(0)
	v_mul_f64 v[210:211], v[114:115], v[242:243]
	v_accvgpr_read_b32 v0, a146
	s_waitcnt vmcnt(0)
	v_fmac_f64_e32 v[210:211], v[116:117], v[244:245]
	v_add_f64 v[4:5], v[4:5], v[210:211]
	v_add_f64 v[210:211], v[214:215], 0
	;; [unrolled: 1-line block ×8, first 2 shown]
	buffer_load_dword v248, off, s[0:3], 0 offset:144
	buffer_load_dword v249, off, s[0:3], 0 offset:148
	;; [unrolled: 1-line block ×4, first 2 shown]
	v_add_f64 v[2:3], v[2:3], v[254:255]
	v_add_f64 v[254:255], v[2:3], v[208:209]
	;; [unrolled: 1-line block ×3, first 2 shown]
	v_mul_f64 v[118:119], v[122:123], v[124:125]
	v_add_f64 v[2:3], v[2:3], v[252:253]
	v_fma_f64 v[118:119], v[120:121], v[140:141], -v[118:119]
	v_add_f64 v[2:3], v[2:3], v[118:119]
	v_add_f64 v[2:3], v[2:3], v[6:7]
	v_mul_f64 v[6:7], v[12:13], v[144:145]
	v_fma_f64 v[6:7], v[10:11], v[148:149], -v[6:7]
	v_add_f64 v[2:3], v[2:3], v[6:7]
	v_mul_f64 v[6:7], v[16:17], v[126:127]
	v_fma_f64 v[6:7], v[14:15], v[128:129], -v[6:7]
	;; [unrolled: 3-line block ×27, first 2 shown]
	v_add_f64 v[2:3], v[2:3], v[6:7]
	s_waitcnt vmcnt(2)
	v_add_f64 v[2:3], v[248:249], -v[2:3]
	v_cmp_lt_u32_e32 vcc, 7, v0
	s_waitcnt vmcnt(0)
	v_add_f64 v[4:5], v[246:247], -v[4:5]
	buffer_store_dword v3, off, s[0:3], 0 offset:148
	buffer_store_dword v2, off, s[0:3], 0 offset:144
	buffer_store_dword v5, off, s[0:3], 0 offset:156
	buffer_store_dword v4, off, s[0:3], 0 offset:152
	s_and_saveexec_b64 s[4:5], vcc
	s_cbranch_execz .LBB48_293
; %bb.292:
	v_accvgpr_read_b32 v0, a139
	buffer_load_dword v2, v0, s[0:3], 0 offen
	buffer_load_dword v3, v0, s[0:3], 0 offen offset:4
	buffer_load_dword v4, v0, s[0:3], 0 offen offset:8
	;; [unrolled: 1-line block ×3, first 2 shown]
	v_mov_b32_e32 v0, 0
	v_accvgpr_read_b32 v1, a147
	buffer_store_dword v0, off, s[0:3], 0 offset:128
	buffer_store_dword v0, off, s[0:3], 0 offset:132
	;; [unrolled: 1-line block ×4, first 2 shown]
	s_waitcnt vmcnt(4)
	ds_write_b128 v1, v[2:5]
.LBB48_293:
	s_or_b64 exec, exec, s[4:5]
	s_waitcnt lgkmcnt(0)
	; wave barrier
	s_waitcnt lgkmcnt(0)
	buffer_load_dword v54, off, s[0:3], 0 offset:144
	buffer_load_dword v55, off, s[0:3], 0 offset:148
	;; [unrolled: 1-line block ×46, first 2 shown]
	v_mov_b32_e32 v1, 0
	buffer_load_dword v255, off, s[0:3], 0 offset:340
	buffer_load_dword v254, off, s[0:3], 0 offset:336
	;; [unrolled: 1-line block ×3, first 2 shown]
	ds_read_b128 v[94:97], v1 offset:912
	ds_read_b128 v[108:111], v1 offset:928
	;; [unrolled: 1-line block ×11, first 2 shown]
	v_accvgpr_read_b32 v0, a146
	v_cmp_lt_u32_e32 vcc, 6, v0
	s_waitcnt vmcnt(41) lgkmcnt(9)
	v_mul_f64 v[4:5], v[108:109], v[62:63]
	v_fmac_f64_e32 v[4:5], v[110:111], v[58:59]
	s_waitcnt vmcnt(39) lgkmcnt(8)
	v_mul_f64 v[6:7], v[112:113], v[60:61]
	v_mul_f64 v[62:63], v[110:111], v[62:63]
	s_waitcnt vmcnt(37) lgkmcnt(6)
	v_mul_f64 v[10:11], v[238:239], v[64:65]
	s_waitcnt vmcnt(35)
	v_fmac_f64_e32 v[10:11], v[240:241], v[66:67]
	s_waitcnt vmcnt(33)
	v_mul_f64 v[8:9], v[206:207], v[68:69]
	s_waitcnt vmcnt(31) lgkmcnt(4)
	v_mul_f64 v[14:15], v[246:247], v[74:75]
	v_mul_f64 v[74:75], v[248:249], v[74:75]
	s_waitcnt vmcnt(29)
	v_fmac_f64_e32 v[14:15], v[248:249], v[76:77]
	v_fma_f64 v[246:247], v[246:247], v[76:77], -v[74:75]
	s_waitcnt vmcnt(27)
	v_mul_f64 v[12:13], v[242:243], v[70:71]
	s_waitcnt vmcnt(25) lgkmcnt(2)
	v_mul_f64 v[18:19], v[210:211], v[86:87]
	v_mul_f64 v[86:87], v[212:213], v[86:87]
	s_waitcnt vmcnt(22)
	v_mul_f64 v[16:17], v[250:251], v[78:79]
	v_mul_f64 v[78:79], v[252:253], v[78:79]
	s_waitcnt vmcnt(20) lgkmcnt(1)
	v_mul_f64 v[20:21], v[116:117], v[90:91]
	v_mul_f64 v[90:91], v[118:119], v[90:91]
	s_waitcnt vmcnt(18)
	v_fmac_f64_e32 v[6:7], v[114:115], v[84:85]
	s_waitcnt vmcnt(16)
	v_fmac_f64_e32 v[8:9], v[208:209], v[82:83]
	;; [unrolled: 2-line block ×5, first 2 shown]
	v_fma_f64 v[248:249], v[250:251], v[80:81], -v[78:79]
	v_fma_f64 v[252:253], v[210:211], v[88:89], -v[86:87]
	s_waitcnt vmcnt(5)
	v_fmac_f64_e32 v[20:21], v[118:119], v[92:93]
	v_fma_f64 v[250:251], v[116:117], v[92:93], -v[90:91]
	s_waitcnt vmcnt(3)
	v_pk_mov_b32 v[22:23], v[2:3], v[2:3] op_sel:[0,1]
	v_mul_f64 v[2:3], v[94:95], v[56:57]
	v_fmac_f64_e32 v[2:3], v[96:97], v[54:55]
	v_add_f64 v[2:3], v[2:3], 0
	v_add_f64 v[2:3], v[2:3], v[4:5]
	buffer_load_dword v106, off, s[0:3], 0 offset:328
	buffer_load_dword v235, off, s[0:3], 0 offset:324
	;; [unrolled: 1-line block ×75, first 2 shown]
	v_add_f64 v[2:3], v[2:3], v[6:7]
	v_add_f64 v[2:3], v[2:3], v[8:9]
	;; [unrolled: 1-line block ×3, first 2 shown]
	ds_read_b128 v[120:123], v1 offset:1088
	ds_read_b128 v[124:127], v1 offset:1104
	v_add_f64 v[2:3], v[2:3], v[12:13]
	v_add_f64 v[2:3], v[2:3], v[14:15]
	;; [unrolled: 1-line block ×5, first 2 shown]
	s_waitcnt lgkmcnt(0)
	v_mul_f64 v[12:13], v[124:125], v[22:23]
	s_waitcnt vmcnt(62)
	v_fmac_f64_e32 v[12:13], v[126:127], v[254:255]
	v_accvgpr_write_b32 a149, v23
	v_accvgpr_write_b32 a148, v22
	v_mul_f64 v[56:57], v[96:97], v[56:57]
	v_mul_f64 v[8:9], v[120:121], v[106:107]
	v_fmac_f64_e32 v[8:9], v[122:123], v[234:235]
	v_pk_mov_b32 v[24:25], v[4:5], v[4:5] op_sel:[0,1]
	v_mul_f64 v[4:5], v[98:99], v[102:103]
	v_fmac_f64_e32 v[4:5], v[100:101], v[104:105]
	v_add_f64 v[6:7], v[2:3], v[4:5]
	v_add_f64 v[10:11], v[6:7], v[8:9]
	ds_read_b128 v[6:9], v1 offset:1120
	v_add_f64 v[14:15], v[10:11], v[12:13]
	ds_read_b128 v[10:13], v1 offset:1136
	v_accvgpr_write_b32 a151, v25
	v_accvgpr_write_b32 a150, v24
	s_waitcnt lgkmcnt(1)
	v_mul_f64 v[16:17], v[6:7], v[140:141]
	v_fmac_f64_e32 v[16:17], v[8:9], v[144:145]
	s_waitcnt lgkmcnt(0)
	v_mul_f64 v[20:21], v[10:11], v[214:215]
	v_add_f64 v[18:19], v[14:15], v[16:17]
	ds_read_b128 v[14:17], v1 offset:1152
	v_fmac_f64_e32 v[20:21], v[12:13], v[24:25]
	v_add_f64 v[22:23], v[18:19], v[20:21]
	ds_read_b128 v[18:21], v1 offset:1168
	v_fma_f64 v[2:3], v[94:95], v[54:55], -v[56:57]
	s_waitcnt vmcnt(58) lgkmcnt(1)
	v_mul_f64 v[24:25], v[14:15], v[148:149]
	s_waitcnt vmcnt(56)
	v_fmac_f64_e32 v[24:25], v[16:17], v[152:153]
	v_add_f64 v[26:27], v[22:23], v[24:25]
	s_waitcnt lgkmcnt(0)
	v_mul_f64 v[28:29], v[18:19], v[128:129]
	ds_read_b128 v[22:25], v1 offset:1184
	v_fmac_f64_e32 v[28:29], v[20:21], v[130:131]
	v_add_f64 v[30:31], v[26:27], v[28:29]
	ds_read_b128 v[26:29], v1 offset:1200
	v_fma_f64 v[94:95], v[108:109], v[58:59], -v[62:63]
	s_waitcnt vmcnt(50) lgkmcnt(1)
	v_mul_f64 v[32:33], v[22:23], v[156:157]
	s_waitcnt vmcnt(48)
	v_fmac_f64_e32 v[32:33], v[24:25], v[160:161]
	v_add_f64 v[34:35], v[30:31], v[32:33]
	s_waitcnt lgkmcnt(0)
	v_mul_f64 v[36:37], v[26:27], v[132:133]
	ds_read_b128 v[30:33], v1 offset:1216
	v_fmac_f64_e32 v[36:37], v[28:29], v[134:135]
	v_add_f64 v[38:39], v[34:35], v[36:37]
	ds_read_b128 v[34:37], v1 offset:1232
	v_mul_f64 v[58:59], v[114:115], v[60:61]
	s_waitcnt vmcnt(42) lgkmcnt(1)
	v_mul_f64 v[40:41], v[30:31], v[164:165]
	s_waitcnt vmcnt(40)
	v_fmac_f64_e32 v[40:41], v[32:33], v[168:169]
	v_add_f64 v[42:43], v[38:39], v[40:41]
	s_waitcnt lgkmcnt(0)
	v_mul_f64 v[44:45], v[34:35], v[136:137]
	ds_read_b128 v[38:41], v1 offset:1248
	v_fmac_f64_e32 v[44:45], v[36:37], v[138:139]
	v_add_f64 v[46:47], v[42:43], v[44:45]
	ds_read_b128 v[42:45], v1 offset:1264
	v_fma_f64 v[96:97], v[112:113], v[84:85], -v[58:59]
	s_waitcnt vmcnt(34) lgkmcnt(1)
	v_mul_f64 v[48:49], v[38:39], v[172:173]
	s_waitcnt vmcnt(32)
	v_fmac_f64_e32 v[48:49], v[40:41], v[176:177]
	v_add_f64 v[50:51], v[46:47], v[48:49]
	s_waitcnt lgkmcnt(0)
	v_mul_f64 v[52:53], v[42:43], v[142:143]
	v_fmac_f64_e32 v[52:53], v[44:45], v[146:147]
	ds_read_b128 v[46:49], v1 offset:1280
	v_add_f64 v[200:201], v[50:51], v[52:53]
	ds_read_b128 v[50:53], v1 offset:1296
	buffer_load_dword v197, off, s[0:3], 0 offset:652
	buffer_load_dword v196, off, s[0:3], 0 offset:648
	;; [unrolled: 1-line block ×4, first 2 shown]
	v_mul_f64 v[58:59], v[208:209], v[68:69]
	s_waitcnt vmcnt(30) lgkmcnt(1)
	v_mul_f64 v[202:203], v[46:47], v[180:181]
	s_waitcnt vmcnt(28)
	v_fmac_f64_e32 v[202:203], v[48:49], v[182:183]
	v_add_f64 v[236:237], v[200:201], v[202:203]
	buffer_load_dword v202, off, s[0:3], 0 offset:664
	buffer_load_dword v204, off, s[0:3], 0 offset:656
	;; [unrolled: 1-line block ×12, first 2 shown]
	ds_read_b128 v[54:57], v1 offset:1312
	buffer_load_dword v223, off, s[0:3], 0 offset:716
	buffer_load_dword v222, off, s[0:3], 0 offset:712
	;; [unrolled: 1-line block ×4, first 2 shown]
	s_waitcnt lgkmcnt(1)
	v_mul_f64 v[4:5], v[50:51], v[150:151]
	buffer_load_dword v226, off, s[0:3], 0 offset:728
	buffer_load_dword v228, off, s[0:3], 0 offset:720
	;; [unrolled: 1-line block ×8, first 2 shown]
	v_fmac_f64_e32 v[4:5], v[52:53], v[154:155]
	v_add_f64 v[4:5], v[236:237], v[4:5]
	buffer_load_dword v208, off, s[0:3], 0 offset:760
	buffer_load_dword v236, off, s[0:3], 0 offset:752
	;; [unrolled: 1-line block ×4, first 2 shown]
	v_fma_f64 v[108:109], v[206:207], v[82:83], -v[58:59]
	s_waitcnt vmcnt(50) lgkmcnt(0)
	v_mul_f64 v[58:59], v[54:55], v[184:185]
	s_waitcnt vmcnt(48)
	v_fmac_f64_e32 v[58:59], v[56:57], v[186:187]
	v_add_f64 v[4:5], v[4:5], v[58:59]
	ds_read_b128 v[58:61], v1 offset:1328
	v_mul_f64 v[62:63], v[240:241], v[64:65]
	v_fma_f64 v[240:241], v[238:239], v[66:67], -v[62:63]
	ds_read_b128 v[62:65], v1 offset:1344
	v_mul_f64 v[66:67], v[244:245], v[70:71]
	v_fma_f64 v[206:207], v[242:243], v[72:73], -v[66:67]
	ds_read_b128 v[66:69], v1 offset:1360
	ds_read_b128 v[74:77], v1 offset:1392
	s_waitcnt lgkmcnt(3)
	v_mul_f64 v[82:83], v[58:59], v[158:159]
	v_fmac_f64_e32 v[82:83], v[60:61], v[162:163]
	s_waitcnt vmcnt(42) lgkmcnt(2)
	v_mul_f64 v[70:71], v[62:63], v[188:189]
	v_add_f64 v[4:5], v[4:5], v[82:83]
	s_waitcnt vmcnt(40)
	v_fmac_f64_e32 v[70:71], v[64:65], v[190:191]
	v_add_f64 v[4:5], v[4:5], v[70:71]
	s_waitcnt lgkmcnt(1)
	v_mul_f64 v[70:71], v[66:67], v[166:167]
	v_fmac_f64_e32 v[70:71], v[68:69], v[170:171]
	v_add_f64 v[4:5], v[4:5], v[70:71]
	ds_read_b128 v[70:73], v1 offset:1376
	ds_read_b128 v[78:81], v1 offset:1408
	;; [unrolled: 1-line block ×4, first 2 shown]
	v_mul_f64 v[100:101], v[100:101], v[102:103]
	s_waitcnt vmcnt(34) lgkmcnt(3)
	v_mul_f64 v[82:83], v[70:71], v[192:193]
	s_waitcnt vmcnt(32)
	v_fmac_f64_e32 v[82:83], v[72:73], v[194:195]
	v_add_f64 v[4:5], v[4:5], v[82:83]
	v_mul_f64 v[82:83], v[74:75], v[174:175]
	v_fmac_f64_e32 v[82:83], v[76:77], v[178:179]
	v_add_f64 v[4:5], v[4:5], v[82:83]
	v_mul_f64 v[102:103], v[122:123], v[106:107]
	v_fma_f64 v[238:239], v[98:99], v[104:105], -v[100:101]
	ds_read_b128 v[98:101], v1 offset:1488
	v_fma_f64 v[102:103], v[120:121], v[234:235], -v[102:103]
	v_accvgpr_write_b32 a153, v103
	v_accvgpr_write_b32 a152, v102
	ds_read_b128 v[102:105], v1 offset:1504
	ds_read_b128 v[118:121], v1 offset:1520
	v_add_f64 v[2:3], v[2:3], 0
	v_add_f64 v[2:3], v[2:3], v[94:95]
	;; [unrolled: 1-line block ×7, first 2 shown]
	ds_read_b128 v[86:89], v1 offset:1440
	v_add_f64 v[2:3], v[2:3], v[248:249]
	v_add_f64 v[2:3], v[2:3], v[252:253]
	;; [unrolled: 1-line block ×3, first 2 shown]
	v_accvgpr_read_b32 v94, a148
	v_add_f64 v[252:253], v[2:3], v[238:239]
	v_accvgpr_read_b32 v2, a152
	v_accvgpr_read_b32 v95, a149
	;; [unrolled: 1-line block ×3, first 2 shown]
	v_mul_f64 v[94:95], v[126:127], v[94:95]
	v_add_f64 v[2:3], v[252:253], v[2:3]
	v_fma_f64 v[94:95], v[124:125], v[254:255], -v[94:95]
	v_mul_f64 v[8:9], v[8:9], v[140:141]
	v_add_f64 v[2:3], v[2:3], v[94:95]
	v_fma_f64 v[6:7], v[6:7], v[144:145], -v[8:9]
	v_accvgpr_read_b32 v8, a150
	v_add_f64 v[2:3], v[2:3], v[6:7]
	s_waitcnt vmcnt(30) lgkmcnt(6)
	v_mul_f64 v[82:83], v[78:79], v[196:197]
	v_mul_f64 v[6:7], v[12:13], v[214:215]
	s_waitcnt vmcnt(28)
	v_fmac_f64_e32 v[82:83], v[80:81], v[198:199]
	v_add_f64 v[4:5], v[4:5], v[82:83]
	ds_read_b128 v[82:85], v1 offset:1424
	v_accvgpr_read_b32 v9, a151
	v_fma_f64 v[6:7], v[10:11], v[8:9], -v[6:7]
	s_waitcnt vmcnt(9) lgkmcnt(4)
	v_mul_f64 v[106:107], v[98:99], v[226:227]
	s_waitcnt vmcnt(8)
	v_fmac_f64_e32 v[106:107], v[100:101], v[228:229]
	s_waitcnt lgkmcnt(0)
	v_mul_f64 v[110:111], v[82:83], v[202:203]
	v_fmac_f64_e32 v[110:111], v[84:85], v[204:205]
	v_add_f64 v[4:5], v[4:5], v[110:111]
	v_mul_f64 v[110:111], v[86:87], v[216:217]
	v_fmac_f64_e32 v[110:111], v[88:89], v[220:221]
	v_add_f64 v[4:5], v[4:5], v[110:111]
	;; [unrolled: 3-line block ×4, first 2 shown]
	v_add_f64 v[4:5], v[4:5], v[106:107]
	s_waitcnt vmcnt(6)
	v_mul_f64 v[106:107], v[102:103], v[230:231]
	s_waitcnt vmcnt(4)
	v_fmac_f64_e32 v[106:107], v[104:105], v[232:233]
	v_add_f64 v[4:5], v[4:5], v[106:107]
	s_waitcnt vmcnt(1)
	v_mul_f64 v[106:107], v[118:119], v[208:209]
	s_waitcnt vmcnt(0)
	v_fmac_f64_e32 v[106:107], v[120:121], v[236:237]
	v_add_f64 v[4:5], v[4:5], v[106:107]
	buffer_load_dword v107, off, s[0:3], 0 offset:780
	buffer_load_dword v106, off, s[0:3], 0 offset:776
	;; [unrolled: 1-line block ×4, first 2 shown]
	ds_read_b128 v[110:113], v1 offset:1536
	buffer_load_dword v242, off, s[0:3], 0 offset:792
	buffer_load_dword v243, off, s[0:3], 0 offset:796
	;; [unrolled: 1-line block ×4, first 2 shown]
	v_add_f64 v[2:3], v[2:3], v[6:7]
	v_mul_f64 v[6:7], v[16:17], v[148:149]
	v_fma_f64 v[6:7], v[14:15], v[152:153], -v[6:7]
	v_add_f64 v[2:3], v[2:3], v[6:7]
	v_mul_f64 v[6:7], v[20:21], v[128:129]
	v_fma_f64 v[6:7], v[18:19], v[130:131], -v[6:7]
	;; [unrolled: 3-line block ×24, first 2 shown]
	v_add_f64 v[2:3], v[2:3], v[6:7]
	s_waitcnt vmcnt(6) lgkmcnt(0)
	v_mul_f64 v[114:115], v[110:111], v[106:107]
	v_mul_f64 v[6:7], v[112:113], v[106:107]
	s_waitcnt vmcnt(4)
	v_fmac_f64_e32 v[114:115], v[112:113], v[234:235]
	v_add_f64 v[4:5], v[4:5], v[114:115]
	ds_read_b128 v[114:117], v1 offset:1552
	buffer_load_dword v248, off, s[0:3], 0 offset:128
	buffer_load_dword v249, off, s[0:3], 0 offset:132
	;; [unrolled: 1-line block ×4, first 2 shown]
	v_fma_f64 v[6:7], v[110:111], v[234:235], -v[6:7]
	v_add_f64 v[2:3], v[2:3], v[6:7]
	s_waitcnt vmcnt(6) lgkmcnt(0)
	v_mul_f64 v[6:7], v[116:117], v[242:243]
	v_mul_f64 v[122:123], v[114:115], v[242:243]
	s_waitcnt vmcnt(4)
	v_fma_f64 v[6:7], v[114:115], v[244:245], -v[6:7]
	v_fmac_f64_e32 v[122:123], v[116:117], v[244:245]
	v_add_f64 v[2:3], v[2:3], v[6:7]
	v_add_f64 v[4:5], v[4:5], v[122:123]
	s_waitcnt vmcnt(2)
	v_add_f64 v[2:3], v[248:249], -v[2:3]
	s_waitcnt vmcnt(0)
	v_add_f64 v[4:5], v[246:247], -v[4:5]
	buffer_store_dword v3, off, s[0:3], 0 offset:132
	buffer_store_dword v2, off, s[0:3], 0 offset:128
	;; [unrolled: 1-line block ×4, first 2 shown]
	s_and_saveexec_b64 s[4:5], vcc
	s_cbranch_execz .LBB48_295
; %bb.294:
	v_accvgpr_read_b32 v0, a140
	buffer_load_dword v2, v0, s[0:3], 0 offen
	buffer_load_dword v3, v0, s[0:3], 0 offen offset:4
	buffer_load_dword v4, v0, s[0:3], 0 offen offset:8
	;; [unrolled: 1-line block ×3, first 2 shown]
	v_accvgpr_read_b32 v0, a147
	buffer_store_dword v1, off, s[0:3], 0 offset:112
	buffer_store_dword v1, off, s[0:3], 0 offset:116
	;; [unrolled: 1-line block ×4, first 2 shown]
	s_waitcnt vmcnt(4)
	ds_write_b128 v0, v[2:5]
.LBB48_295:
	s_or_b64 exec, exec, s[4:5]
	s_waitcnt lgkmcnt(0)
	; wave barrier
	s_waitcnt lgkmcnt(0)
	buffer_load_dword v58, off, s[0:3], 0 offset:128
	buffer_load_dword v59, off, s[0:3], 0 offset:132
	;; [unrolled: 1-line block ×42, first 2 shown]
	ds_read_b128 v[110:113], v1 offset:896
	ds_read_b128 v[114:117], v1 offset:912
	;; [unrolled: 1-line block ×10, first 2 shown]
	buffer_load_dword v223, off, s[0:3], 0 offset:276
	buffer_load_dword v222, off, s[0:3], 0 offset:272
	ds_read_b128 v[90:93], v1 offset:1056
	buffer_load_dword v105, off, s[0:3], 0 offset:332
	buffer_load_dword v104, off, s[0:3], 0 offset:328
	;; [unrolled: 1-line block ×6, first 2 shown]
	s_waitcnt vmcnt(46) lgkmcnt(10)
	v_mul_f64 v[2:3], v[110:111], v[60:61]
	v_fmac_f64_e32 v[2:3], v[112:113], v[58:59]
	v_add_f64 v[2:3], v[2:3], 0
	v_mul_f64 v[60:61], v[112:113], v[60:61]
	s_waitcnt vmcnt(42) lgkmcnt(9)
	v_mul_f64 v[4:5], v[114:115], v[62:63]
	v_fmac_f64_e32 v[4:5], v[116:117], v[56:57]
	v_add_f64 v[2:3], v[2:3], v[4:5]
	buffer_load_dword v225, off, s[0:3], 0 offset:308
	buffer_load_dword v224, off, s[0:3], 0 offset:304
	;; [unrolled: 1-line block ×4, first 2 shown]
	s_waitcnt vmcnt(44) lgkmcnt(8)
	v_mul_f64 v[6:7], v[206:207], v[54:55]
	s_waitcnt vmcnt(42) lgkmcnt(6)
	v_mul_f64 v[10:11], v[232:233], v[64:65]
	s_waitcnt vmcnt(40)
	v_fmac_f64_e32 v[10:11], v[234:235], v[66:67]
	v_mul_f64 v[54:55], v[208:209], v[54:55]
	s_waitcnt vmcnt(38)
	v_mul_f64 v[8:9], v[210:211], v[68:69]
	s_waitcnt vmcnt(36) lgkmcnt(4)
	v_mul_f64 v[14:15], v[240:241], v[70:71]
	s_waitcnt vmcnt(34)
	v_fmac_f64_e32 v[14:15], v[242:243], v[72:73]
	s_waitcnt vmcnt(32)
	v_mul_f64 v[12:13], v[236:237], v[74:75]
	s_waitcnt vmcnt(30) lgkmcnt(2)
	v_mul_f64 v[18:19], v[248:249], v[78:79]
	v_mul_f64 v[78:79], v[250:251], v[78:79]
	s_waitcnt vmcnt(27)
	v_mul_f64 v[16:17], v[244:245], v[76:77]
	s_waitcnt vmcnt(25) lgkmcnt(1)
	v_mul_f64 v[20:21], v[82:83], v[86:87]
	s_waitcnt vmcnt(23)
	v_fmac_f64_e32 v[6:7], v[208:209], v[100:101]
	v_add_f64 v[2:3], v[2:3], v[6:7]
	s_waitcnt vmcnt(21)
	v_fmac_f64_e32 v[8:9], v[212:213], v[98:99]
	v_add_f64 v[2:3], v[2:3], v[8:9]
	s_waitcnt vmcnt(19)
	v_fmac_f64_e32 v[12:13], v[238:239], v[94:95]
	v_add_f64 v[2:3], v[2:3], v[10:11]
	v_add_f64 v[2:3], v[2:3], v[12:13]
	s_waitcnt vmcnt(17)
	v_fmac_f64_e32 v[16:17], v[246:247], v[88:89]
	v_add_f64 v[2:3], v[2:3], v[14:15]
	s_waitcnt vmcnt(16)
	v_fmac_f64_e32 v[18:19], v[250:251], v[80:81]
	v_add_f64 v[2:3], v[2:3], v[16:17]
	v_add_f64 v[2:3], v[2:3], v[18:19]
	v_fma_f64 v[54:55], v[206:207], v[100:101], -v[54:55]
	s_waitcnt vmcnt(10)
	v_fmac_f64_e32 v[20:21], v[84:85], v[222:223]
	v_add_f64 v[2:3], v[2:3], v[20:21]
	v_fma_f64 v[248:249], v[248:249], v[80:81], -v[78:79]
	v_mul_f64 v[84:85], v[84:85], v[86:87]
	v_fma_f64 v[250:251], v[82:83], v[222:223], -v[84:85]
	s_waitcnt vmcnt(0)
	v_pk_mov_b32 v[18:19], v[4:5], v[4:5] op_sel:[0,1]
	buffer_load_dword v5, off, s[0:3], 0 offset:356
	buffer_load_dword v4, off, s[0:3], 0 offset:352
	v_accvgpr_write_b32 a149, v19
	v_accvgpr_write_b32 a148, v18
	s_waitcnt vmcnt(0)
	v_pk_mov_b32 v[22:23], v[4:5], v[4:5] op_sel:[0,1]
	buffer_load_dword v137, off, s[0:3], 0 offset:348
	buffer_load_dword v136, off, s[0:3], 0 offset:344
	;; [unrolled: 1-line block ×6, first 2 shown]
	v_accvgpr_write_b32 a151, v23
	v_accvgpr_write_b32 a150, v22
	s_waitcnt vmcnt(0)
	v_pk_mov_b32 v[26:27], v[4:5], v[4:5] op_sel:[0,1]
	buffer_load_dword v5, off, s[0:3], 0 offset:388
	buffer_load_dword v4, off, s[0:3], 0 offset:384
	v_accvgpr_write_b32 a153, v27
	v_accvgpr_write_b32 a152, v26
	s_waitcnt vmcnt(0)
	v_pk_mov_b32 v[28:29], v[4:5], v[4:5] op_sel:[0,1]
	buffer_load_dword v145, off, s[0:3], 0 offset:380
	buffer_load_dword v144, off, s[0:3], 0 offset:376
	;; [unrolled: 1-line block ×60, first 2 shown]
	ds_read_b128 v[252:255], v1 offset:1072
	ds_read_b128 v[118:121], v1 offset:1088
	;; [unrolled: 1-line block ×5, first 2 shown]
	v_accvgpr_write_b32 a155, v29
	s_waitcnt lgkmcnt(3)
	v_mul_f64 v[8:9], v[118:119], v[104:105]
	v_fmac_f64_e32 v[8:9], v[120:121], v[106:107]
	s_waitcnt lgkmcnt(2)
	v_mul_f64 v[12:13], v[126:127], v[136:137]
	v_fmac_f64_e32 v[12:13], v[128:129], v[140:141]
	;; [unrolled: 3-line block ×3, first 2 shown]
	v_accvgpr_write_b32 a154, v28
	v_mul_f64 v[104:105], v[120:121], v[104:105]
	s_waitcnt vmcnt(52)
	v_pk_mov_b32 v[34:35], v[4:5], v[4:5] op_sel:[0,1]
	v_mul_f64 v[4:5], v[90:91], v[96:97]
	v_fmac_f64_e32 v[4:5], v[92:93], v[102:103]
	v_add_f64 v[2:3], v[2:3], v[4:5]
	v_mul_f64 v[4:5], v[252:253], v[108:109]
	v_fmac_f64_e32 v[4:5], v[254:255], v[224:225]
	v_add_f64 v[6:7], v[2:3], v[4:5]
	v_add_f64 v[10:11], v[6:7], v[8:9]
	;; [unrolled: 1-line block ×4, first 2 shown]
	ds_read_b128 v[14:17], v1 offset:1152
	s_waitcnt lgkmcnt(1)
	v_mul_f64 v[20:21], v[122:123], v[144:145]
	v_fmac_f64_e32 v[20:21], v[124:125], v[148:149]
	v_add_f64 v[22:23], v[18:19], v[20:21]
	ds_read_b128 v[18:21], v1 offset:1168
	s_waitcnt lgkmcnt(1)
	v_mul_f64 v[24:25], v[14:15], v[26:27]
	v_fmac_f64_e32 v[24:25], v[16:17], v[28:29]
	v_add_f64 v[26:27], v[22:23], v[24:25]
	ds_read_b128 v[22:25], v1 offset:1184
	s_waitcnt vmcnt(50) lgkmcnt(1)
	v_mul_f64 v[28:29], v[18:19], v[152:153]
	s_waitcnt vmcnt(48)
	v_fmac_f64_e32 v[28:29], v[20:21], v[156:157]
	v_add_f64 v[30:31], v[26:27], v[28:29]
	ds_read_b128 v[26:29], v1 offset:1200
	s_waitcnt lgkmcnt(1)
	v_mul_f64 v[32:33], v[22:23], v[214:215]
	v_fmac_f64_e32 v[32:33], v[24:25], v[34:35]
	v_accvgpr_write_b32 a157, v35
	v_accvgpr_write_b32 a156, v34
	v_add_f64 v[34:35], v[30:31], v[32:33]
	ds_read_b128 v[30:33], v1 offset:1216
	s_waitcnt vmcnt(42) lgkmcnt(1)
	v_mul_f64 v[36:37], v[26:27], v[160:161]
	s_waitcnt vmcnt(40)
	v_fmac_f64_e32 v[36:37], v[28:29], v[164:165]
	v_add_f64 v[38:39], v[34:35], v[36:37]
	ds_read_b128 v[34:37], v1 offset:1232
	s_waitcnt lgkmcnt(1)
	v_mul_f64 v[40:41], v[30:31], v[132:133]
	v_fmac_f64_e32 v[40:41], v[32:33], v[134:135]
	v_add_f64 v[42:43], v[38:39], v[40:41]
	ds_read_b128 v[38:41], v1 offset:1248
	s_waitcnt vmcnt(34) lgkmcnt(1)
	v_mul_f64 v[44:45], v[34:35], v[168:169]
	s_waitcnt vmcnt(32)
	v_fmac_f64_e32 v[44:45], v[36:37], v[172:173]
	v_add_f64 v[46:47], v[42:43], v[44:45]
	ds_read_b128 v[42:45], v1 offset:1264
	s_waitcnt lgkmcnt(1)
	v_mul_f64 v[48:49], v[38:39], v[138:139]
	v_fmac_f64_e32 v[48:49], v[40:41], v[142:143]
	v_add_f64 v[50:51], v[46:47], v[48:49]
	ds_read_b128 v[46:49], v1 offset:1280
	s_waitcnt vmcnt(26) lgkmcnt(1)
	v_mul_f64 v[52:53], v[42:43], v[176:177]
	s_waitcnt vmcnt(24)
	v_fmac_f64_e32 v[52:53], v[44:45], v[178:179]
	v_add_f64 v[2:3], v[50:51], v[52:53]
	ds_read_b128 v[50:53], v1 offset:1296
	buffer_load_dword v13, off, s[0:3], 0 offset:636
	buffer_load_dword v12, off, s[0:3], 0 offset:632
	;; [unrolled: 1-line block ×20, first 2 shown]
	s_waitcnt lgkmcnt(1)
	v_mul_f64 v[4:5], v[46:47], v[146:147]
	v_fma_f64 v[6:7], v[110:111], v[58:59], -v[60:61]
	v_mul_f64 v[58:59], v[116:117], v[62:63]
	v_fmac_f64_e32 v[4:5], v[48:49], v[150:151]
	v_fma_f64 v[226:227], v[114:115], v[56:57], -v[58:59]
	v_mul_f64 v[56:57], v[212:213], v[68:69]
	v_add_f64 v[58:59], v[2:3], v[4:5]
	v_mul_f64 v[2:3], v[234:235], v[64:65]
	v_fma_f64 v[56:57], v[210:211], v[98:99], -v[56:57]
	buffer_load_dword v206, off, s[0:3], 0 offset:712
	buffer_load_dword v210, off, s[0:3], 0 offset:704
	;; [unrolled: 1-line block ×12, first 2 shown]
	v_fma_f64 v[2:3], v[232:233], v[66:67], -v[2:3]
	buffer_load_dword v233, off, s[0:3], 0 offset:764
	buffer_load_dword v232, off, s[0:3], 0 offset:760
	;; [unrolled: 1-line block ×4, first 2 shown]
	ds_read_b128 v[8:11], v1 offset:1312
	s_waitcnt vmcnt(54) lgkmcnt(1)
	v_mul_f64 v[4:5], v[50:51], v[180:181]
	s_waitcnt vmcnt(52)
	v_fmac_f64_e32 v[4:5], v[52:53], v[182:183]
	v_add_f64 v[4:5], v[58:59], v[4:5]
	v_mul_f64 v[58:59], v[238:239], v[74:75]
	v_fma_f64 v[94:95], v[236:237], v[94:95], -v[58:59]
	ds_read_b128 v[58:61], v1 offset:1328
	s_waitcnt lgkmcnt(1)
	v_mul_f64 v[62:63], v[8:9], v[154:155]
	v_fmac_f64_e32 v[62:63], v[10:11], v[158:159]
	v_add_f64 v[4:5], v[4:5], v[62:63]
	ds_read_b128 v[62:65], v1 offset:1344
	v_mul_f64 v[66:67], v[242:243], v[70:71]
	s_waitcnt vmcnt(46) lgkmcnt(1)
	v_mul_f64 v[70:71], v[58:59], v[184:185]
	v_fma_f64 v[240:241], v[240:241], v[72:73], -v[66:67]
	ds_read_b128 v[66:69], v1 offset:1360
	s_waitcnt vmcnt(44)
	v_fmac_f64_e32 v[70:71], v[60:61], v[186:187]
	v_add_f64 v[4:5], v[4:5], v[70:71]
	v_mul_f64 v[70:71], v[246:247], v[76:77]
	v_fma_f64 v[246:247], v[244:245], v[88:89], -v[70:71]
	ds_read_b128 v[70:73], v1 offset:1376
	ds_read_b128 v[78:81], v1 offset:1408
	s_waitcnt lgkmcnt(3)
	v_mul_f64 v[74:75], v[62:63], v[162:163]
	v_fmac_f64_e32 v[74:75], v[64:65], v[166:167]
	v_add_f64 v[4:5], v[4:5], v[74:75]
	s_waitcnt vmcnt(38) lgkmcnt(2)
	v_mul_f64 v[74:75], v[66:67], v[188:189]
	s_waitcnt vmcnt(36)
	v_fmac_f64_e32 v[74:75], v[68:69], v[190:191]
	v_add_f64 v[4:5], v[4:5], v[74:75]
	s_waitcnt lgkmcnt(1)
	v_mul_f64 v[74:75], v[70:71], v[170:171]
	v_fmac_f64_e32 v[74:75], v[72:73], v[174:175]
	v_add_f64 v[4:5], v[4:5], v[74:75]
	ds_read_b128 v[74:77], v1 offset:1392
	ds_read_b128 v[82:85], v1 offset:1424
	v_mul_f64 v[92:93], v[92:93], v[96:97]
	v_fma_f64 v[102:103], v[90:91], v[102:103], -v[92:93]
	v_add_f64 v[6:7], v[6:7], 0
	v_add_f64 v[6:7], v[6:7], v[226:227]
	;; [unrolled: 1-line block ×3, first 2 shown]
	ds_read_b128 v[98:101], v1 offset:1472
	v_add_f64 v[6:7], v[6:7], v[56:57]
	v_add_f64 v[2:3], v[6:7], v[2:3]
	;; [unrolled: 1-line block ×7, first 2 shown]
	v_mul_f64 v[6:7], v[128:129], v[136:137]
	v_fma_f64 v[6:7], v[126:127], v[140:141], -v[6:7]
	ds_read_b128 v[90:93], v1 offset:1456
	s_waitcnt vmcnt(25) lgkmcnt(2)
	v_mul_f64 v[96:97], v[82:83], v[202:203]
	s_waitcnt vmcnt(23)
	v_fmac_f64_e32 v[96:97], v[84:85], v[218:219]
	v_mul_f64 v[88:89], v[74:75], v[12:13]
	v_fmac_f64_e32 v[88:89], v[76:77], v[130:131]
	v_mul_f64 v[86:87], v[78:79], v[198:199]
	v_add_f64 v[4:5], v[4:5], v[88:89]
	v_fmac_f64_e32 v[86:87], v[80:81], v[200:201]
	v_add_f64 v[4:5], v[4:5], v[86:87]
	ds_read_b128 v[86:89], v1 offset:1440
	v_add_f64 v[4:5], v[4:5], v[96:97]
	s_waitcnt vmcnt(18) lgkmcnt(1)
	v_mul_f64 v[110:111], v[90:91], v[204:205]
	s_waitcnt vmcnt(16)
	v_fmac_f64_e32 v[110:111], v[92:93], v[220:221]
	s_waitcnt lgkmcnt(0)
	v_mul_f64 v[96:97], v[86:87], v[196:197]
	v_fmac_f64_e32 v[96:97], v[88:89], v[216:217]
	v_add_f64 v[4:5], v[4:5], v[96:97]
	v_mul_f64 v[96:97], v[254:255], v[108:109]
	v_fma_f64 v[96:97], v[252:253], v[224:225], -v[96:97]
	ds_read_b128 v[222:225], v1 offset:1488
	v_fma_f64 v[252:253], v[118:119], v[106:107], -v[104:105]
	ds_read_b128 v[118:121], v1 offset:1504
	ds_read_b128 v[106:109], v1 offset:1520
	buffer_load_dword v236, off, s[0:3], 0 offset:776
	buffer_load_dword v237, off, s[0:3], 0 offset:780
	;; [unrolled: 1-line block ×4, first 2 shown]
	v_add_f64 v[4:5], v[4:5], v[110:111]
	ds_read_b128 v[110:113], v1 offset:1536
	buffer_load_dword v243, off, s[0:3], 0 offset:796
	buffer_load_dword v242, off, s[0:3], 0 offset:792
	;; [unrolled: 1-line block ×4, first 2 shown]
	ds_read_b128 v[114:117], v1 offset:1552
	buffer_load_dword v248, off, s[0:3], 0 offset:112
	buffer_load_dword v249, off, s[0:3], 0 offset:116
	;; [unrolled: 1-line block ×4, first 2 shown]
	v_add_f64 v[254:255], v[2:3], v[102:103]
	v_add_f64 v[2:3], v[254:255], v[96:97]
	v_accvgpr_read_b32 v0, a148
	v_add_f64 v[2:3], v[2:3], v[252:253]
	v_accvgpr_read_b32 v1, a149
	v_add_f64 v[2:3], v[2:3], v[6:7]
	v_mul_f64 v[6:7], v[194:195], v[0:1]
	v_accvgpr_read_b32 v0, a150
	v_accvgpr_read_b32 v1, a151
	v_fma_f64 v[6:7], v[192:193], v[0:1], -v[6:7]
	v_add_f64 v[2:3], v[2:3], v[6:7]
	v_mul_f64 v[6:7], v[124:125], v[144:145]
	v_accvgpr_read_b32 v0, a152
	v_fma_f64 v[6:7], v[122:123], v[148:149], -v[6:7]
	v_accvgpr_read_b32 v1, a153
	v_add_f64 v[2:3], v[2:3], v[6:7]
	v_mul_f64 v[6:7], v[16:17], v[0:1]
	v_accvgpr_read_b32 v0, a154
	v_accvgpr_read_b32 v1, a155
	v_fma_f64 v[6:7], v[14:15], v[0:1], -v[6:7]
	v_add_f64 v[2:3], v[2:3], v[6:7]
	v_mul_f64 v[6:7], v[20:21], v[152:153]
	v_fma_f64 v[6:7], v[18:19], v[156:157], -v[6:7]
	v_accvgpr_read_b32 v0, a156
	v_add_f64 v[2:3], v[2:3], v[6:7]
	v_mul_f64 v[6:7], v[24:25], v[214:215]
	v_accvgpr_read_b32 v1, a157
	v_fma_f64 v[6:7], v[22:23], v[0:1], -v[6:7]
	v_add_f64 v[2:3], v[2:3], v[6:7]
	v_mul_f64 v[6:7], v[28:29], v[160:161]
	v_fma_f64 v[6:7], v[26:27], v[164:165], -v[6:7]
	v_add_f64 v[2:3], v[2:3], v[6:7]
	v_mul_f64 v[6:7], v[32:33], v[132:133]
	;; [unrolled: 3-line block ×17, first 2 shown]
	v_fma_f64 v[6:7], v[90:91], v[220:221], -v[6:7]
	v_add_f64 v[2:3], v[2:3], v[6:7]
	s_waitcnt vmcnt(25)
	v_mul_f64 v[6:7], v[100:101], v[206:207]
	v_mul_f64 v[104:105], v[98:99], v[206:207]
	s_waitcnt vmcnt(24)
	v_fma_f64 v[6:7], v[98:99], v[210:211], -v[6:7]
	v_fmac_f64_e32 v[104:105], v[100:101], v[210:211]
	v_add_f64 v[2:3], v[2:3], v[6:7]
	s_waitcnt vmcnt(21) lgkmcnt(4)
	v_mul_f64 v[6:7], v[224:225], v[228:229]
	v_add_f64 v[4:5], v[4:5], v[104:105]
	v_mul_f64 v[104:105], v[222:223], v[228:229]
	s_waitcnt vmcnt(19)
	v_fma_f64 v[6:7], v[222:223], v[230:231], -v[6:7]
	v_fmac_f64_e32 v[104:105], v[224:225], v[230:231]
	v_add_f64 v[2:3], v[2:3], v[6:7]
	s_waitcnt vmcnt(17) lgkmcnt(3)
	v_mul_f64 v[6:7], v[120:121], v[208:209]
	v_add_f64 v[4:5], v[4:5], v[104:105]
	;; [unrolled: 8-line block ×5, first 2 shown]
	v_mul_f64 v[104:105], v[114:115], v[242:243]
	s_waitcnt vmcnt(4)
	v_fma_f64 v[6:7], v[114:115], v[244:245], -v[6:7]
	v_fmac_f64_e32 v[104:105], v[116:117], v[244:245]
	v_add_f64 v[2:3], v[2:3], v[6:7]
	v_accvgpr_read_b32 v0, a146
	v_add_f64 v[4:5], v[4:5], v[104:105]
	s_waitcnt vmcnt(2)
	v_add_f64 v[2:3], v[248:249], -v[2:3]
	v_cmp_lt_u32_e32 vcc, 5, v0
	s_waitcnt vmcnt(0)
	v_add_f64 v[4:5], v[246:247], -v[4:5]
	buffer_store_dword v3, off, s[0:3], 0 offset:116
	buffer_store_dword v2, off, s[0:3], 0 offset:112
	;; [unrolled: 1-line block ×4, first 2 shown]
	s_and_saveexec_b64 s[4:5], vcc
	s_cbranch_execz .LBB48_297
; %bb.296:
	v_accvgpr_read_b32 v0, a141
	buffer_load_dword v2, v0, s[0:3], 0 offen
	buffer_load_dword v3, v0, s[0:3], 0 offen offset:4
	buffer_load_dword v4, v0, s[0:3], 0 offen offset:8
	;; [unrolled: 1-line block ×3, first 2 shown]
	v_mov_b32_e32 v0, 0
	v_accvgpr_read_b32 v1, a147
	buffer_store_dword v0, off, s[0:3], 0 offset:96
	buffer_store_dword v0, off, s[0:3], 0 offset:100
	;; [unrolled: 1-line block ×4, first 2 shown]
	s_waitcnt vmcnt(4)
	ds_write_b128 v1, v[2:5]
.LBB48_297:
	s_or_b64 exec, exec, s[4:5]
	s_waitcnt lgkmcnt(0)
	; wave barrier
	s_waitcnt lgkmcnt(0)
	buffer_load_dword v50, off, s[0:3], 0 offset:112
	buffer_load_dword v51, off, s[0:3], 0 offset:116
	;; [unrolled: 1-line block ×54, first 2 shown]
	v_mov_b32_e32 v1, 0
	ds_read_b128 v[102:105], v1 offset:880
	ds_read_b128 v[106:109], v1 offset:896
	;; [unrolled: 1-line block ×9, first 2 shown]
	v_accvgpr_read_b32 v0, a146
	v_cmp_lt_u32_e32 vcc, 4, v0
	s_waitcnt vmcnt(46) lgkmcnt(7)
	v_mul_f64 v[4:5], v[106:107], v[58:59]
	v_fmac_f64_e32 v[4:5], v[108:109], v[52:53]
	s_waitcnt vmcnt(44) lgkmcnt(6)
	v_mul_f64 v[6:7], v[110:111], v[204:205]
	s_waitcnt vmcnt(42) lgkmcnt(4)
	v_mul_f64 v[10:11], v[206:207], v[62:63]
	s_waitcnt vmcnt(40)
	v_fmac_f64_e32 v[10:11], v[208:209], v[60:61]
	s_waitcnt vmcnt(38)
	v_mul_f64 v[8:9], v[114:115], v[64:65]
	s_waitcnt vmcnt(36) lgkmcnt(2)
	v_mul_f64 v[14:15], v[234:235], v[66:67]
	s_waitcnt vmcnt(34)
	v_fmac_f64_e32 v[14:15], v[236:237], v[70:71]
	s_waitcnt vmcnt(32)
	;; [unrolled: 6-line block ×3, first 2 shown]
	v_fmac_f64_e32 v[8:9], v[116:117], v[80:81]
	s_waitcnt vmcnt(24)
	v_fmac_f64_e32 v[12:13], v[212:213], v[78:79]
	s_waitcnt vmcnt(22)
	;; [unrolled: 2-line block ×3, first 2 shown]
	v_pk_mov_b32 v[18:19], v[2:3], v[2:3] op_sel:[0,1]
	v_mul_f64 v[2:3], v[102:103], v[56:57]
	v_fmac_f64_e32 v[2:3], v[104:105], v[50:51]
	v_add_f64 v[2:3], v[2:3], 0
	v_add_f64 v[2:3], v[2:3], v[4:5]
	buffer_load_dword v5, off, s[0:3], 0 offset:340
	buffer_load_dword v4, off, s[0:3], 0 offset:336
	v_add_f64 v[2:3], v[2:3], v[6:7]
	v_add_f64 v[2:3], v[2:3], v[8:9]
	;; [unrolled: 1-line block ×5, first 2 shown]
	s_waitcnt lgkmcnt(0)
	v_mul_f64 v[6:7], v[242:243], v[74:75]
	v_add_f64 v[2:3], v[2:3], v[16:17]
	v_fmac_f64_e32 v[6:7], v[244:245], v[84:85]
	v_add_f64 v[2:3], v[2:3], v[6:7]
	v_accvgpr_write_b32 a149, v19
	v_accvgpr_write_b32 a148, v18
	v_mul_f64 v[74:75], v[244:245], v[74:75]
	s_waitcnt vmcnt(0)
	v_pk_mov_b32 v[12:13], v[4:5], v[4:5] op_sel:[0,1]
	buffer_load_dword v55, off, s[0:3], 0 offset:332
	buffer_load_dword v54, off, s[0:3], 0 offset:328
	;; [unrolled: 1-line block ×6, first 2 shown]
	v_accvgpr_write_b32 a151, v13
	v_accvgpr_write_b32 a150, v12
	s_waitcnt vmcnt(0)
	v_pk_mov_b32 v[20:21], v[4:5], v[4:5] op_sel:[0,1]
	buffer_load_dword v5, off, s[0:3], 0 offset:372
	buffer_load_dword v4, off, s[0:3], 0 offset:368
	buffer_load_dword v141, off, s[0:3], 0 offset:364
	buffer_load_dword v140, off, s[0:3], 0 offset:360
	buffer_load_dword v145, off, s[0:3], 0 offset:356
	buffer_load_dword v144, off, s[0:3], 0 offset:352
	buffer_load_dword v255, off, s[0:3], 0 offset:412
	buffer_load_dword v254, off, s[0:3], 0 offset:408
	buffer_load_dword v9, off, s[0:3], 0 offset:404
	buffer_load_dword v8, off, s[0:3], 0 offset:400
	buffer_load_dword v149, off, s[0:3], 0 offset:396
	buffer_load_dword v148, off, s[0:3], 0 offset:392
	buffer_load_dword v153, off, s[0:3], 0 offset:388
	buffer_load_dword v152, off, s[0:3], 0 offset:384
	buffer_load_dword v215, off, s[0:3], 0 offset:444
	buffer_load_dword v214, off, s[0:3], 0 offset:440
	buffer_load_dword v135, off, s[0:3], 0 offset:436
	buffer_load_dword v134, off, s[0:3], 0 offset:432
	buffer_load_dword v157, off, s[0:3], 0 offset:428
	buffer_load_dword v156, off, s[0:3], 0 offset:424
	buffer_load_dword v161, off, s[0:3], 0 offset:420
	buffer_load_dword v160, off, s[0:3], 0 offset:416
	buffer_load_dword v137, off, s[0:3], 0 offset:476
	buffer_load_dword v136, off, s[0:3], 0 offset:472
	buffer_load_dword v139, off, s[0:3], 0 offset:468
	buffer_load_dword v138, off, s[0:3], 0 offset:464
	buffer_load_dword v165, off, s[0:3], 0 offset:460
	buffer_load_dword v164, off, s[0:3], 0 offset:456
	buffer_load_dword v167, off, s[0:3], 0 offset:452
	buffer_load_dword v166, off, s[0:3], 0 offset:448
	buffer_load_dword v143, off, s[0:3], 0 offset:508
	buffer_load_dword v142, off, s[0:3], 0 offset:504
	buffer_load_dword v147, off, s[0:3], 0 offset:500
	buffer_load_dword v146, off, s[0:3], 0 offset:496
	buffer_load_dword v169, off, s[0:3], 0 offset:492
	buffer_load_dword v168, off, s[0:3], 0 offset:488
	buffer_load_dword v171, off, s[0:3], 0 offset:484
	buffer_load_dword v170, off, s[0:3], 0 offset:480
	buffer_load_dword v151, off, s[0:3], 0 offset:540
	buffer_load_dword v150, off, s[0:3], 0 offset:536
	buffer_load_dword v155, off, s[0:3], 0 offset:532
	buffer_load_dword v154, off, s[0:3], 0 offset:528
	buffer_load_dword v173, off, s[0:3], 0 offset:524
	buffer_load_dword v172, off, s[0:3], 0 offset:520
	buffer_load_dword v175, off, s[0:3], 0 offset:516
	buffer_load_dword v174, off, s[0:3], 0 offset:512
	buffer_load_dword v159, off, s[0:3], 0 offset:572
	buffer_load_dword v158, off, s[0:3], 0 offset:568
	buffer_load_dword v163, off, s[0:3], 0 offset:564
	buffer_load_dword v162, off, s[0:3], 0 offset:560
	buffer_load_dword v177, off, s[0:3], 0 offset:556
	buffer_load_dword v176, off, s[0:3], 0 offset:552
	buffer_load_dword v179, off, s[0:3], 0 offset:548
	buffer_load_dword v178, off, s[0:3], 0 offset:544
	ds_read_b128 v[246:249], v1 offset:1024
	ds_read_b128 v[250:253], v1 offset:1040
	;; [unrolled: 1-line block ×6, first 2 shown]
	s_waitcnt lgkmcnt(5)
	v_mul_f64 v[6:7], v[246:247], v[90:91]
	v_fmac_f64_e32 v[6:7], v[248:249], v[92:93]
	v_add_f64 v[2:3], v[2:3], v[6:7]
	s_waitcnt lgkmcnt(4)
	v_mul_f64 v[6:7], v[250:251], v[86:87]
	v_fmac_f64_e32 v[6:7], v[252:253], v[88:89]
	v_add_f64 v[2:3], v[2:3], v[6:7]
	;; [unrolled: 4-line block ×4, first 2 shown]
	s_waitcnt lgkmcnt(1)
	v_mul_f64 v[6:7], v[218:219], v[54:55]
	v_fmac_f64_e32 v[6:7], v[220:221], v[200:201]
	s_waitcnt lgkmcnt(0)
	v_mul_f64 v[10:11], v[126:127], v[18:19]
	v_add_f64 v[2:3], v[2:3], v[6:7]
	ds_read_b128 v[130:133], v1 offset:1120
	v_fmac_f64_e32 v[10:11], v[128:129], v[12:13]
	v_add_f64 v[2:3], v[2:3], v[10:11]
	ds_read_b128 v[10:13], v1 offset:1136
	v_accvgpr_write_b32 a153, v21
	v_accvgpr_write_b32 a152, v20
	s_waitcnt vmcnt(52)
	v_accvgpr_write_b32 a155, v5
	s_waitcnt vmcnt(50) lgkmcnt(1)
	v_mul_f64 v[14:15], v[130:131], v[140:141]
	s_waitcnt lgkmcnt(0)
	v_mul_f64 v[18:19], v[10:11], v[20:21]
	s_waitcnt vmcnt(48)
	v_fmac_f64_e32 v[14:15], v[132:133], v[144:145]
	v_add_f64 v[2:3], v[2:3], v[14:15]
	ds_read_b128 v[14:17], v1 offset:1152
	v_fmac_f64_e32 v[18:19], v[12:13], v[4:5]
	v_add_f64 v[2:3], v[2:3], v[18:19]
	ds_read_b128 v[18:21], v1 offset:1168
	v_accvgpr_write_b32 a154, v4
	s_waitcnt vmcnt(42) lgkmcnt(1)
	v_mul_f64 v[22:23], v[14:15], v[148:149]
	s_waitcnt vmcnt(40)
	v_fmac_f64_e32 v[22:23], v[16:17], v[152:153]
	v_add_f64 v[2:3], v[2:3], v[22:23]
	s_waitcnt lgkmcnt(0)
	v_mul_f64 v[26:27], v[18:19], v[254:255]
	ds_read_b128 v[22:25], v1 offset:1184
	v_fmac_f64_e32 v[26:27], v[20:21], v[8:9]
	v_add_f64 v[2:3], v[2:3], v[26:27]
	ds_read_b128 v[26:29], v1 offset:1200
	v_mul_f64 v[4:5], v[104:105], v[56:57]
	s_waitcnt vmcnt(34) lgkmcnt(1)
	v_mul_f64 v[30:31], v[22:23], v[156:157]
	s_waitcnt vmcnt(32)
	v_fmac_f64_e32 v[30:31], v[24:25], v[160:161]
	v_add_f64 v[2:3], v[2:3], v[30:31]
	s_waitcnt lgkmcnt(0)
	v_mul_f64 v[34:35], v[26:27], v[214:215]
	ds_read_b128 v[30:33], v1 offset:1216
	v_fmac_f64_e32 v[34:35], v[28:29], v[134:135]
	v_add_f64 v[2:3], v[2:3], v[34:35]
	ds_read_b128 v[34:37], v1 offset:1232
	v_mul_f64 v[6:7], v[108:109], v[58:59]
	s_waitcnt vmcnt(26) lgkmcnt(1)
	v_mul_f64 v[38:39], v[30:31], v[164:165]
	s_waitcnt vmcnt(24)
	v_fmac_f64_e32 v[38:39], v[32:33], v[166:167]
	v_add_f64 v[2:3], v[2:3], v[38:39]
	s_waitcnt lgkmcnt(0)
	v_mul_f64 v[42:43], v[34:35], v[136:137]
	v_fmac_f64_e32 v[42:43], v[36:37], v[138:139]
	ds_read_b128 v[38:41], v1 offset:1248
	v_add_f64 v[2:3], v[2:3], v[42:43]
	ds_read_b128 v[42:45], v1 offset:1264
	buffer_load_dword v181, off, s[0:3], 0 offset:604
	buffer_load_dword v183, off, s[0:3], 0 offset:588
	;; [unrolled: 1-line block ×8, first 2 shown]
	v_fma_f64 v[4:5], v[102:103], v[50:51], -v[4:5]
	s_waitcnt vmcnt(26) lgkmcnt(1)
	v_mul_f64 v[46:47], v[38:39], v[168:169]
	s_waitcnt vmcnt(24)
	v_fmac_f64_e32 v[46:47], v[40:41], v[170:171]
	v_add_f64 v[2:3], v[2:3], v[46:47]
	ds_read_b128 v[46:49], v1 offset:1280
	buffer_load_dword v189, off, s[0:3], 0 offset:620
	buffer_load_dword v188, off, s[0:3], 0 offset:616
	buffer_load_dword v191, off, s[0:3], 0 offset:612
	buffer_load_dword v190, off, s[0:3], 0 offset:608
	s_waitcnt lgkmcnt(1)
	v_mul_f64 v[192:193], v[42:43], v[142:143]
	v_fmac_f64_e32 v[192:193], v[44:45], v[146:147]
	v_add_f64 v[2:3], v[2:3], v[192:193]
	buffer_load_dword v193, off, s[0:3], 0 offset:636
	buffer_load_dword v192, off, s[0:3], 0 offset:632
	;; [unrolled: 1-line block ×12, first 2 shown]
	v_fma_f64 v[102:103], v[106:107], v[52:53], -v[6:7]
	v_mul_f64 v[6:7], v[112:113], v[204:205]
	v_fma_f64 v[104:105], v[110:111], v[82:83], -v[6:7]
	buffer_load_dword v205, off, s[0:3], 0 offset:684
	buffer_load_dword v204, off, s[0:3], 0 offset:680
	;; [unrolled: 1-line block ×4, first 2 shown]
	v_mul_f64 v[6:7], v[116:117], v[64:65]
	v_fma_f64 v[106:107], v[114:115], v[80:81], -v[6:7]
	buffer_load_dword v7, off, s[0:3], 0 offset:700
	buffer_load_dword v6, off, s[0:3], 0 offset:696
	;; [unrolled: 1-line block ×4, first 2 shown]
	v_mul_f64 v[50:51], v[208:209], v[62:63]
	buffer_load_dword v209, off, s[0:3], 0 offset:732
	buffer_load_dword v225, off, s[0:3], 0 offset:716
	;; [unrolled: 1-line block ×12, first 2 shown]
	v_fma_f64 v[108:109], v[206:207], v[60:61], -v[50:51]
	ds_read_b128 v[50:53], v1 offset:1296
	v_mul_f64 v[60:61], v[212:213], v[76:77]
	v_fma_f64 v[206:207], v[210:211], v[78:79], -v[60:61]
	ds_read_b128 v[210:213], v1 offset:1312
	s_waitcnt vmcnt(54) lgkmcnt(2)
	v_mul_f64 v[58:59], v[46:47], v[172:173]
	s_waitcnt vmcnt(52)
	v_fmac_f64_e32 v[58:59], v[48:49], v[174:175]
	v_add_f64 v[2:3], v[2:3], v[58:59]
	s_waitcnt lgkmcnt(1)
	v_mul_f64 v[58:59], v[50:51], v[150:151]
	v_fmac_f64_e32 v[58:59], v[52:53], v[154:155]
	v_add_f64 v[2:3], v[2:3], v[58:59]
	s_waitcnt vmcnt(46) lgkmcnt(0)
	v_mul_f64 v[58:59], v[210:211], v[176:177]
	s_waitcnt vmcnt(44)
	v_fmac_f64_e32 v[58:59], v[212:213], v[178:179]
	v_add_f64 v[2:3], v[2:3], v[58:59]
	ds_read_b128 v[58:61], v1 offset:1328
	v_mul_f64 v[62:63], v[236:237], v[66:67]
	v_fma_f64 v[234:235], v[234:235], v[70:71], -v[62:63]
	ds_read_b128 v[62:65], v1 offset:1344
	v_mul_f64 v[66:67], v[240:241], v[68:69]
	v_fma_f64 v[240:241], v[238:239], v[72:73], -v[66:67]
	ds_read_b128 v[66:69], v1 offset:1360
	s_waitcnt lgkmcnt(2)
	v_mul_f64 v[70:71], v[58:59], v[158:159]
	v_fmac_f64_e32 v[70:71], v[60:61], v[162:163]
	v_add_f64 v[2:3], v[2:3], v[70:71]
	v_fma_f64 v[236:237], v[242:243], v[84:85], -v[74:75]
	ds_read_b128 v[74:77], v1 offset:1392
	v_mul_f64 v[78:79], v[248:249], v[90:91]
	v_fma_f64 v[246:247], v[246:247], v[92:93], -v[78:79]
	v_mul_f64 v[86:87], v[252:253], v[86:87]
	v_fma_f64 v[248:249], v[250:251], v[88:89], -v[86:87]
	;; [unrolled: 2-line block ×4, first 2 shown]
	v_accvgpr_write_b32 a157, v55
	v_accvgpr_write_b32 a156, v54
	v_add_f64 v[4:5], v[4:5], 0
	v_add_f64 v[4:5], v[4:5], v[102:103]
	;; [unrolled: 1-line block ×9, first 2 shown]
	ds_read_b128 v[78:81], v1 offset:1408
	v_add_f64 v[4:5], v[4:5], v[246:247]
	v_add_f64 v[4:5], v[4:5], v[248:249]
	v_accvgpr_read_b32 v102, a148
	v_accvgpr_read_b32 v103, a149
	;; [unrolled: 1-line block ×3, first 2 shown]
	v_mul_f64 v[102:103], v[128:129], v[102:103]
	v_accvgpr_read_b32 v105, a151
	s_waitcnt vmcnt(41) lgkmcnt(3)
	v_mul_f64 v[70:71], v[62:63], v[182:183]
	v_fma_f64 v[102:103], v[126:127], v[104:105], -v[102:103]
	s_waitcnt vmcnt(39)
	v_fmac_f64_e32 v[70:71], v[64:65], v[186:187]
	v_add_f64 v[2:3], v[2:3], v[70:71]
	s_waitcnt vmcnt(38) lgkmcnt(2)
	v_mul_f64 v[70:71], v[66:67], v[180:181]
	s_waitcnt vmcnt(36)
	v_fmac_f64_e32 v[70:71], v[68:69], v[184:185]
	v_add_f64 v[2:3], v[2:3], v[70:71]
	ds_read_b128 v[70:73], v1 offset:1376
	ds_read_b128 v[86:89], v1 offset:1440
	;; [unrolled: 1-line block ×3, first 2 shown]
	s_waitcnt vmcnt(34) lgkmcnt(2)
	v_mul_f64 v[82:83], v[70:71], v[188:189]
	s_waitcnt vmcnt(32)
	v_fmac_f64_e32 v[82:83], v[72:73], v[190:191]
	v_add_f64 v[2:3], v[2:3], v[82:83]
	s_waitcnt vmcnt(30)
	v_mul_f64 v[82:83], v[74:75], v[192:193]
	s_waitcnt vmcnt(28)
	v_fmac_f64_e32 v[82:83], v[76:77], v[196:197]
	v_add_f64 v[2:3], v[2:3], v[82:83]
	s_waitcnt vmcnt(26)
	v_mul_f64 v[82:83], v[78:79], v[194:195]
	s_waitcnt vmcnt(24)
	v_fmac_f64_e32 v[82:83], v[80:81], v[198:199]
	v_add_f64 v[2:3], v[2:3], v[82:83]
	ds_read_b128 v[82:85], v1 offset:1424
	s_waitcnt vmcnt(9) lgkmcnt(1)
	v_mul_f64 v[54:55], v[94:95], v[224:225]
	s_waitcnt vmcnt(7)
	v_fmac_f64_e32 v[54:55], v[96:97], v[230:231]
	s_waitcnt lgkmcnt(0)
	v_mul_f64 v[90:91], v[82:83], v[56:57]
	v_fmac_f64_e32 v[90:91], v[84:85], v[202:203]
	v_add_f64 v[110:111], v[2:3], v[90:91]
	v_mul_f64 v[90:91], v[120:121], v[98:99]
	v_fma_f64 v[252:253], v[118:119], v[100:101], -v[90:91]
	ds_read_b128 v[90:93], v1 offset:1456
	v_mul_f64 v[98:99], v[86:87], v[204:205]
	v_fmac_f64_e32 v[98:99], v[88:89], v[216:217]
	v_add_f64 v[98:99], v[110:111], v[98:99]
	ds_read_b128 v[118:121], v1 offset:1504
	s_waitcnt lgkmcnt(1)
	v_mul_f64 v[100:101], v[90:91], v[6:7]
	v_fmac_f64_e32 v[100:101], v[92:93], v[222:223]
	v_add_f64 v[110:111], v[98:99], v[100:101]
	ds_read_b128 v[98:101], v1 offset:1488
	v_add_f64 v[54:55], v[110:111], v[54:55]
	buffer_load_dword v2, off, s[0:3], 0 offset:760
	v_add_f64 v[4:5], v[4:5], v[252:253]
	v_add_f64 v[252:253], v[4:5], v[250:251]
	s_waitcnt vmcnt(7) lgkmcnt(0)
	v_mul_f64 v[110:111], v[98:99], v[208:209]
	s_waitcnt vmcnt(5)
	v_fmac_f64_e32 v[110:111], v[100:101], v[228:229]
	v_add_f64 v[54:55], v[54:55], v[110:111]
	s_waitcnt vmcnt(3)
	v_mul_f64 v[110:111], v[118:119], v[226:227]
	s_waitcnt vmcnt(1)
	v_fmac_f64_e32 v[110:111], v[120:121], v[232:233]
	v_add_f64 v[110:111], v[54:55], v[110:111]
	buffer_load_dword v54, off, s[0:3], 0 offset:752
	buffer_load_dword v3, off, s[0:3], 0 offset:764
	;; [unrolled: 1-line block ×3, first 2 shown]
	ds_read_b128 v[122:125], v1 offset:1520
	buffer_load_dword v219, off, s[0:3], 0 offset:780
	buffer_load_dword v218, off, s[0:3], 0 offset:776
	buffer_load_dword v239, off, s[0:3], 0 offset:772
	buffer_load_dword v238, off, s[0:3], 0 offset:768
	v_accvgpr_read_b32 v4, a156
	v_accvgpr_read_b32 v5, a157
	v_add_f64 v[4:5], v[252:253], v[4:5]
	v_add_f64 v[4:5], v[4:5], v[102:103]
	v_mul_f64 v[102:103], v[132:133], v[140:141]
	v_fma_f64 v[102:103], v[130:131], v[144:145], -v[102:103]
	v_add_f64 v[4:5], v[4:5], v[102:103]
	v_accvgpr_read_b32 v102, a152
	v_accvgpr_read_b32 v103, a153
	v_mul_f64 v[12:13], v[12:13], v[102:103]
	v_accvgpr_read_b32 v102, a154
	v_accvgpr_read_b32 v103, a155
	v_fma_f64 v[10:11], v[10:11], v[102:103], -v[12:13]
	v_add_f64 v[4:5], v[4:5], v[10:11]
	v_mul_f64 v[10:11], v[16:17], v[148:149]
	v_fma_f64 v[10:11], v[14:15], v[152:153], -v[10:11]
	v_add_f64 v[4:5], v[4:5], v[10:11]
	v_mul_f64 v[10:11], v[20:21], v[254:255]
	;; [unrolled: 3-line block ×19, first 2 shown]
	v_fma_f64 v[8:9], v[86:87], v[216:217], -v[8:9]
	v_mul_f64 v[6:7], v[92:93], v[6:7]
	v_add_f64 v[4:5], v[4:5], v[8:9]
	v_fma_f64 v[6:7], v[90:91], v[222:223], -v[6:7]
	v_add_f64 v[4:5], v[4:5], v[6:7]
	v_mul_f64 v[6:7], v[96:97], v[224:225]
	v_fma_f64 v[6:7], v[94:95], v[230:231], -v[6:7]
	s_waitcnt vmcnt(5) lgkmcnt(0)
	v_mul_f64 v[112:113], v[122:123], v[2:3]
	s_waitcnt vmcnt(4)
	v_fmac_f64_e32 v[112:113], v[124:125], v[54:55]
	v_add_f64 v[114:115], v[110:111], v[112:113]
	ds_read_b128 v[110:113], v1 offset:1536
	buffer_load_dword v242, off, s[0:3], 0 offset:792
	buffer_load_dword v243, off, s[0:3], 0 offset:796
	;; [unrolled: 1-line block ×4, first 2 shown]
	v_add_f64 v[4:5], v[4:5], v[6:7]
	v_mul_f64 v[6:7], v[100:101], v[208:209]
	v_fma_f64 v[6:7], v[98:99], v[228:229], -v[6:7]
	s_waitcnt vmcnt(6) lgkmcnt(0)
	v_mul_f64 v[116:117], v[110:111], v[218:219]
	s_waitcnt vmcnt(4)
	v_fmac_f64_e32 v[116:117], v[112:113], v[238:239]
	v_add_f64 v[200:201], v[114:115], v[116:117]
	ds_read_b128 v[114:117], v1 offset:1552
	buffer_load_dword v248, off, s[0:3], 0 offset:96
	buffer_load_dword v249, off, s[0:3], 0 offset:100
	;; [unrolled: 1-line block ×4, first 2 shown]
	v_add_f64 v[4:5], v[4:5], v[6:7]
	v_mul_f64 v[6:7], v[120:121], v[226:227]
	v_fma_f64 v[6:7], v[118:119], v[232:233], -v[6:7]
	v_mul_f64 v[2:3], v[124:125], v[2:3]
	v_add_f64 v[4:5], v[4:5], v[6:7]
	v_fma_f64 v[2:3], v[122:123], v[54:55], -v[2:3]
	v_add_f64 v[2:3], v[4:5], v[2:3]
	v_mul_f64 v[4:5], v[112:113], v[218:219]
	v_fma_f64 v[4:5], v[110:111], v[238:239], -v[4:5]
	v_add_f64 v[2:3], v[2:3], v[4:5]
	s_waitcnt vmcnt(6) lgkmcnt(0)
	v_mul_f64 v[4:5], v[116:117], v[242:243]
	v_mul_f64 v[220:221], v[114:115], v[242:243]
	s_waitcnt vmcnt(4)
	v_fma_f64 v[4:5], v[114:115], v[244:245], -v[4:5]
	v_fmac_f64_e32 v[220:221], v[116:117], v[244:245]
	v_add_f64 v[2:3], v[2:3], v[4:5]
	v_add_f64 v[200:201], v[200:201], v[220:221]
	s_waitcnt vmcnt(2)
	v_add_f64 v[2:3], v[248:249], -v[2:3]
	s_waitcnt vmcnt(0)
	v_add_f64 v[4:5], v[246:247], -v[200:201]
	buffer_store_dword v3, off, s[0:3], 0 offset:100
	buffer_store_dword v2, off, s[0:3], 0 offset:96
	;; [unrolled: 1-line block ×4, first 2 shown]
	s_and_saveexec_b64 s[4:5], vcc
	s_cbranch_execz .LBB48_299
; %bb.298:
	v_accvgpr_read_b32 v0, a142
	buffer_load_dword v2, v0, s[0:3], 0 offen
	buffer_load_dword v3, v0, s[0:3], 0 offen offset:4
	buffer_load_dword v4, v0, s[0:3], 0 offen offset:8
	;; [unrolled: 1-line block ×3, first 2 shown]
	v_accvgpr_read_b32 v0, a147
	buffer_store_dword v1, off, s[0:3], 0 offset:80
	buffer_store_dword v1, off, s[0:3], 0 offset:84
	;; [unrolled: 1-line block ×4, first 2 shown]
	s_waitcnt vmcnt(4)
	ds_write_b128 v0, v[2:5]
.LBB48_299:
	s_or_b64 exec, exec, s[4:5]
	s_waitcnt lgkmcnt(0)
	; wave barrier
	s_waitcnt lgkmcnt(0)
	buffer_load_dword v186, off, s[0:3], 0 offset:96
	buffer_load_dword v187, off, s[0:3], 0 offset:100
	;; [unrolled: 1-line block ×36, first 2 shown]
	ds_read_b128 v[82:85], v1 offset:864
	ds_read_b128 v[78:81], v1 offset:880
	;; [unrolled: 1-line block ×9, first 2 shown]
	buffer_load_dword v235, off, s[0:3], 0 offset:268
	buffer_load_dword v234, off, s[0:3], 0 offset:264
	;; [unrolled: 1-line block ×19, first 2 shown]
	s_waitcnt vmcnt(51) lgkmcnt(8)
	v_mul_f64 v[2:3], v[82:83], v[194:195]
	v_fmac_f64_e32 v[2:3], v[84:85], v[186:187]
	v_add_f64 v[2:3], v[2:3], 0
	s_waitcnt vmcnt(47) lgkmcnt(7)
	v_mul_f64 v[4:5], v[78:79], v[198:199]
	v_fmac_f64_e32 v[4:5], v[80:81], v[196:197]
	v_add_f64 v[2:3], v[2:3], v[4:5]
	buffer_load_dword v244, off, s[0:3], 0 offset:320
	buffer_load_dword v99, off, s[0:3], 0 offset:316
	;; [unrolled: 1-line block ×7, first 2 shown]
	s_waitcnt vmcnt(52) lgkmcnt(6)
	v_mul_f64 v[6:7], v[74:75], v[202:203]
	s_waitcnt vmcnt(50) lgkmcnt(4)
	v_mul_f64 v[10:11], v[62:63], v[222:223]
	s_waitcnt vmcnt(48)
	v_fmac_f64_e32 v[10:11], v[64:65], v[224:225]
	v_mul_f64 v[80:81], v[80:81], v[198:199]
	s_waitcnt vmcnt(46)
	v_mul_f64 v[8:9], v[70:71], v[204:205]
	v_fma_f64 v[78:79], v[78:79], v[196:197], -v[80:81]
	s_waitcnt vmcnt(44) lgkmcnt(2)
	v_mul_f64 v[14:15], v[54:55], v[104:105]
	v_mul_f64 v[64:65], v[64:65], v[222:223]
	s_waitcnt vmcnt(42)
	v_fmac_f64_e32 v[14:15], v[56:57], v[108:109]
	v_fma_f64 v[222:223], v[62:63], v[224:225], -v[64:65]
	s_waitcnt vmcnt(40)
	v_mul_f64 v[12:13], v[50:51], v[112:113]
	s_waitcnt vmcnt(38) lgkmcnt(1)
	v_mul_f64 v[16:17], v[58:59], v[106:107]
	s_waitcnt vmcnt(36)
	v_fmac_f64_e32 v[6:7], v[76:77], v[200:201]
	v_add_f64 v[2:3], v[2:3], v[6:7]
	s_waitcnt vmcnt(34)
	v_fmac_f64_e32 v[8:9], v[72:73], v[116:117]
	v_add_f64 v[2:3], v[2:3], v[8:9]
	;; [unrolled: 3-line block ×3, first 2 shown]
	v_add_f64 v[2:3], v[2:3], v[12:13]
	s_waitcnt vmcnt(30)
	v_fmac_f64_e32 v[16:17], v[60:61], v[110:111]
	v_add_f64 v[2:3], v[2:3], v[14:15]
	v_add_f64 v[2:3], v[2:3], v[16:17]
	v_mul_f64 v[76:77], v[76:77], v[202:203]
	v_fma_f64 v[80:81], v[74:75], v[200:201], -v[76:77]
	v_mul_f64 v[72:73], v[72:73], v[204:205]
	v_mul_f64 v[52:53], v[52:53], v[112:113]
	v_mul_f64 v[60:61], v[60:61], v[106:107]
	v_fma_f64 v[116:117], v[70:71], v[116:117], -v[72:73]
	s_waitcnt vmcnt(0)
	v_pk_mov_b32 v[18:19], v[4:5], v[4:5] op_sel:[0,1]
	buffer_load_dword v5, off, s[0:3], 0 offset:356
	buffer_load_dword v4, off, s[0:3], 0 offset:352
	v_accvgpr_write_b32 a149, v19
	v_accvgpr_write_b32 a148, v18
	s_waitcnt vmcnt(0)
	v_pk_mov_b32 v[20:21], v[4:5], v[4:5] op_sel:[0,1]
	buffer_load_dword v137, off, s[0:3], 0 offset:348
	buffer_load_dword v136, off, s[0:3], 0 offset:344
	;; [unrolled: 1-line block ×6, first 2 shown]
	v_accvgpr_write_b32 a151, v21
	v_accvgpr_write_b32 a150, v20
	s_waitcnt vmcnt(0)
	v_pk_mov_b32 v[26:27], v[4:5], v[4:5] op_sel:[0,1]
	buffer_load_dword v5, off, s[0:3], 0 offset:388
	buffer_load_dword v4, off, s[0:3], 0 offset:384
	v_accvgpr_write_b32 a153, v27
	v_accvgpr_write_b32 a152, v26
	s_waitcnt vmcnt(0)
	v_pk_mov_b32 v[28:29], v[4:5], v[4:5] op_sel:[0,1]
	buffer_load_dword v145, off, s[0:3], 0 offset:380
	buffer_load_dword v144, off, s[0:3], 0 offset:376
	;; [unrolled: 1-line block ×6, first 2 shown]
	v_accvgpr_write_b32 a155, v29
	v_accvgpr_write_b32 a154, v28
	s_waitcnt vmcnt(0)
	v_pk_mov_b32 v[34:35], v[4:5], v[4:5] op_sel:[0,1]
	buffer_load_dword v255, off, s[0:3], 0 offset:420
	buffer_load_dword v254, off, s[0:3], 0 offset:416
	;; [unrolled: 1-line block ×38, first 2 shown]
	ds_read_b128 v[208:211], v1 offset:1008
	ds_read_b128 v[212:215], v1 offset:1024
	;; [unrolled: 1-line block ×9, first 2 shown]
	v_accvgpr_write_b32 a157, v35
	s_waitcnt lgkmcnt(3)
	v_mul_f64 v[8:9], v[94:95], v[242:243]
	v_fmac_f64_e32 v[8:9], v[96:97], v[244:245]
	s_waitcnt lgkmcnt(2)
	v_mul_f64 v[12:13], v[130:131], v[136:137]
	v_fmac_f64_e32 v[12:13], v[132:133], v[140:141]
	;; [unrolled: 3-line block ×3, first 2 shown]
	v_accvgpr_write_b32 a156, v34
	v_mul_f64 v[70:71], v[210:211], v[238:239]
	v_mul_f64 v[96:97], v[96:97], v[242:243]
	s_waitcnt vmcnt(30)
	v_pk_mov_b32 v[42:43], v[4:5], v[4:5] op_sel:[0,1]
	v_mul_f64 v[4:5], v[66:67], v[102:103]
	v_fmac_f64_e32 v[4:5], v[68:69], v[206:207]
	v_add_f64 v[2:3], v[2:3], v[4:5]
	v_mul_f64 v[4:5], v[208:209], v[238:239]
	v_fmac_f64_e32 v[4:5], v[210:211], v[240:241]
	v_add_f64 v[2:3], v[2:3], v[4:5]
	;; [unrolled: 3-line block ×6, first 2 shown]
	v_add_f64 v[10:11], v[6:7], v[8:9]
	v_add_f64 v[14:15], v[10:11], v[12:13]
	;; [unrolled: 1-line block ×3, first 2 shown]
	ds_read_b128 v[14:17], v1 offset:1152
	s_waitcnt lgkmcnt(1)
	v_mul_f64 v[20:21], v[122:123], v[144:145]
	v_fmac_f64_e32 v[20:21], v[124:125], v[148:149]
	v_add_f64 v[22:23], v[18:19], v[20:21]
	ds_read_b128 v[18:21], v1 offset:1168
	s_waitcnt lgkmcnt(1)
	v_mul_f64 v[24:25], v[14:15], v[26:27]
	v_fmac_f64_e32 v[24:25], v[16:17], v[28:29]
	v_add_f64 v[26:27], v[22:23], v[24:25]
	;; [unrolled: 5-line block ×4, first 2 shown]
	ds_read_b128 v[30:33], v1 offset:1216
	s_waitcnt vmcnt(26) lgkmcnt(1)
	v_mul_f64 v[36:37], v[26:27], v[160:161]
	s_waitcnt vmcnt(24)
	v_fmac_f64_e32 v[36:37], v[28:29], v[162:163]
	v_add_f64 v[38:39], v[34:35], v[36:37]
	ds_read_b128 v[34:37], v1 offset:1232
	s_waitcnt lgkmcnt(1)
	v_mul_f64 v[40:41], v[30:31], v[42:43]
	v_accvgpr_write_b32 a159, v43
	v_fmac_f64_e32 v[40:41], v[32:33], v[134:135]
	v_accvgpr_write_b32 a158, v42
	v_add_f64 v[42:43], v[38:39], v[40:41]
	ds_read_b128 v[38:41], v1 offset:1248
	s_waitcnt vmcnt(18) lgkmcnt(1)
	v_mul_f64 v[44:45], v[34:35], v[164:165]
	s_waitcnt vmcnt(16)
	v_fmac_f64_e32 v[44:45], v[36:37], v[166:167]
	v_add_f64 v[46:47], v[42:43], v[44:45]
	ds_read_b128 v[42:45], v1 offset:1264
	buffer_load_dword v177, off, s[0:3], 0 offset:572
	buffer_load_dword v176, off, s[0:3], 0 offset:568
	;; [unrolled: 1-line block ×4, first 2 shown]
	s_waitcnt lgkmcnt(1)
	v_mul_f64 v[48:49], v[38:39], v[138:139]
	v_fmac_f64_e32 v[48:49], v[40:41], v[142:143]
	v_add_f64 v[180:181], v[46:47], v[48:49]
	ds_read_b128 v[46:49], v1 offset:1280
	buffer_load_dword v183, off, s[0:3], 0 offset:588
	buffer_load_dword v182, off, s[0:3], 0 offset:584
	;; [unrolled: 1-line block ×4, first 2 shown]
	s_waitcnt vmcnt(18) lgkmcnt(1)
	v_mul_f64 v[188:189], v[42:43], v[168:169]
	s_waitcnt vmcnt(16)
	v_fmac_f64_e32 v[188:189], v[44:45], v[170:171]
	v_add_f64 v[2:3], v[180:181], v[188:189]
	buffer_load_dword v181, off, s[0:3], 0 offset:620
	buffer_load_dword v189, off, s[0:3], 0 offset:604
	;; [unrolled: 1-line block ×8, first 2 shown]
	v_mul_f64 v[4:5], v[84:85], v[194:195]
	v_fma_f64 v[10:11], v[82:83], v[186:187], -v[4:5]
	buffer_load_dword v186, off, s[0:3], 0 offset:648
	buffer_load_dword v195, off, s[0:3], 0 offset:636
	;; [unrolled: 1-line block ×20, first 2 shown]
	s_waitcnt lgkmcnt(0)
	v_mul_f64 v[8:9], v[46:47], v[146:147]
	v_fmac_f64_e32 v[8:9], v[48:49], v[150:151]
	v_fma_f64 v[6:7], v[50:51], v[114:115], -v[52:53]
	buffer_load_dword v225, off, s[0:3], 0 offset:716
	buffer_load_dword v224, off, s[0:3], 0 offset:712
	;; [unrolled: 1-line block ×12, first 2 shown]
	v_add_f64 v[2:3], v[2:3], v[8:9]
	ds_read_b128 v[50:53], v1 offset:1296
	v_mul_f64 v[8:9], v[56:57], v[104:105]
	v_fma_f64 v[8:9], v[54:55], v[108:109], -v[8:9]
	ds_read_b128 v[54:57], v1 offset:1312
	v_fma_f64 v[4:5], v[58:59], v[110:111], -v[60:61]
	ds_read_b128 v[58:61], v1 offset:1328
	s_waitcnt vmcnt(50) lgkmcnt(2)
	v_mul_f64 v[62:63], v[50:51], v[172:173]
	s_waitcnt vmcnt(48)
	v_fmac_f64_e32 v[62:63], v[52:53], v[174:175]
	s_waitcnt lgkmcnt(1)
	v_mul_f64 v[12:13], v[54:55], v[154:155]
	v_add_f64 v[2:3], v[2:3], v[62:63]
	ds_read_b128 v[62:65], v1 offset:1344
	v_fmac_f64_e32 v[12:13], v[56:57], v[158:159]
	v_add_f64 v[2:3], v[2:3], v[12:13]
	v_fma_f64 v[240:241], v[208:209], v[240:241], -v[70:71]
	v_mul_f64 v[82:83], v[214:215], v[234:235]
	v_mul_f64 v[88:89], v[88:89], v[246:247]
	v_fma_f64 v[246:247], v[86:87], v[248:249], -v[88:89]
	ds_read_b128 v[86:89], v1 offset:1456
	v_mul_f64 v[92:93], v[92:93], v[98:99]
	v_add_f64 v[10:11], v[10:11], 0
	v_add_f64 v[10:11], v[10:11], v[78:79]
	;; [unrolled: 1-line block ×8, first 2 shown]
	v_mul_f64 v[6:7], v[132:133], v[136:137]
	v_fma_f64 v[6:7], v[130:131], v[140:141], -v[6:7]
	ds_read_b128 v[70:73], v1 offset:1376
	ds_read_b128 v[208:211], v1 offset:1440
	s_waitcnt vmcnt(46) lgkmcnt(4)
	v_mul_f64 v[12:13], v[58:59], v[176:177]
	s_waitcnt vmcnt(44)
	v_fmac_f64_e32 v[12:13], v[60:61], v[178:179]
	v_add_f64 v[2:3], v[2:3], v[12:13]
	v_mul_f64 v[12:13], v[68:69], v[102:103]
	v_fma_f64 v[12:13], v[66:67], v[206:207], -v[12:13]
	ds_read_b128 v[66:69], v1 offset:1360
	s_waitcnt vmcnt(42) lgkmcnt(4)
	v_mul_f64 v[74:75], v[62:63], v[182:183]
	s_waitcnt vmcnt(40)
	v_fmac_f64_e32 v[74:75], v[64:65], v[184:185]
	v_add_f64 v[2:3], v[2:3], v[74:75]
	v_fma_f64 v[206:207], v[212:213], v[236:237], -v[82:83]
	s_waitcnt vmcnt(37) lgkmcnt(0)
	v_mul_f64 v[74:75], v[66:67], v[188:189]
	s_waitcnt vmcnt(35)
	v_fmac_f64_e32 v[74:75], v[68:69], v[192:193]
	v_add_f64 v[2:3], v[2:3], v[74:75]
	s_waitcnt vmcnt(34)
	v_mul_f64 v[74:75], v[70:71], v[180:181]
	s_waitcnt vmcnt(32)
	v_fmac_f64_e32 v[74:75], v[72:73], v[190:191]
	v_add_f64 v[2:3], v[2:3], v[74:75]
	ds_read_b128 v[74:77], v1 offset:1392
	ds_read_b128 v[212:215], v1 offset:1408
	v_add_f64 v[4:5], v[4:5], v[12:13]
	v_add_f64 v[4:5], v[4:5], v[240:241]
	;; [unrolled: 1-line block ×3, first 2 shown]
	s_waitcnt vmcnt(29) lgkmcnt(1)
	v_mul_f64 v[82:83], v[74:75], v[194:195]
	s_waitcnt vmcnt(27)
	v_fmac_f64_e32 v[82:83], v[76:77], v[198:199]
	v_add_f64 v[2:3], v[2:3], v[82:83]
	v_mul_f64 v[82:83], v[120:121], v[250:251]
	v_fma_f64 v[118:119], v[118:119], v[252:253], -v[82:83]
	ds_read_b128 v[82:85], v1 offset:1424
	s_waitcnt vmcnt(25) lgkmcnt(1)
	v_mul_f64 v[102:103], v[212:213], v[186:187]
	s_waitcnt vmcnt(24)
	v_fmac_f64_e32 v[102:103], v[214:215], v[196:197]
	v_add_f64 v[2:3], v[2:3], v[102:103]
	v_fma_f64 v[250:251], v[90:91], v[100:101], -v[92:93]
	s_waitcnt vmcnt(21) lgkmcnt(0)
	v_mul_f64 v[102:103], v[82:83], v[202:203]
	s_waitcnt vmcnt(19)
	v_fmac_f64_e32 v[102:103], v[84:85], v[218:219]
	v_add_f64 v[2:3], v[2:3], v[102:103]
	s_waitcnt vmcnt(18)
	v_mul_f64 v[102:103], v[208:209], v[200:201]
	s_waitcnt vmcnt(16)
	v_fmac_f64_e32 v[102:103], v[210:211], v[216:217]
	v_add_f64 v[2:3], v[2:3], v[102:103]
	ds_read_b128 v[98:101], v1 offset:1472
	s_waitcnt vmcnt(14)
	v_mul_f64 v[102:103], v[86:87], v[204:205]
	s_waitcnt vmcnt(12)
	v_fmac_f64_e32 v[102:103], v[88:89], v[220:221]
	v_add_f64 v[2:3], v[2:3], v[102:103]
	ds_read_b128 v[90:93], v1 offset:1488
	ds_read_b128 v[102:105], v1 offset:1504
	buffer_load_dword v121, off, s[0:3], 0 offset:764
	buffer_load_dword v120, off, s[0:3], 0 offset:760
	;; [unrolled: 1-line block ×4, first 2 shown]
	ds_read_b128 v[106:109], v1 offset:1520
	buffer_load_dword v236, off, s[0:3], 0 offset:776
	buffer_load_dword v237, off, s[0:3], 0 offset:780
	;; [unrolled: 1-line block ×4, first 2 shown]
	v_fma_f64 v[252:253], v[94:95], v[244:245], -v[96:97]
	ds_read_b128 v[110:113], v1 offset:1536
	buffer_load_dword v243, off, s[0:3], 0 offset:796
	buffer_load_dword v242, off, s[0:3], 0 offset:792
	;; [unrolled: 1-line block ×4, first 2 shown]
	s_waitcnt vmcnt(22) lgkmcnt(4)
	v_mul_f64 v[94:95], v[98:99], v[224:225]
	s_waitcnt vmcnt(20)
	v_fmac_f64_e32 v[94:95], v[100:101], v[226:227]
	v_add_f64 v[2:3], v[2:3], v[94:95]
	s_waitcnt vmcnt(17) lgkmcnt(3)
	v_mul_f64 v[94:95], v[90:91], v[230:231]
	s_waitcnt vmcnt(15)
	v_fmac_f64_e32 v[94:95], v[92:93], v[232:233]
	v_add_f64 v[2:3], v[2:3], v[94:95]
	;; [unrolled: 5-line block ×3, first 2 shown]
	v_add_f64 v[4:5], v[4:5], v[118:119]
	v_add_f64 v[118:119], v[4:5], v[246:247]
	v_add_f64 v[4:5], v[118:119], v[250:251]
	v_add_f64 v[4:5], v[4:5], v[252:253]
	v_add_f64 v[4:5], v[4:5], v[6:7]
	s_waitcnt vmcnt(10) lgkmcnt(1)
	v_mul_f64 v[94:95], v[106:107], v[120:121]
	s_waitcnt vmcnt(8)
	v_fmac_f64_e32 v[94:95], v[108:109], v[234:235]
	v_add_f64 v[2:3], v[2:3], v[94:95]
	s_waitcnt vmcnt(6) lgkmcnt(0)
	v_mul_f64 v[94:95], v[110:111], v[236:237]
	s_waitcnt vmcnt(4)
	v_fmac_f64_e32 v[94:95], v[112:113], v[238:239]
	v_add_f64 v[2:3], v[2:3], v[94:95]
	ds_read_b128 v[94:97], v1 offset:1552
	v_accvgpr_read_b32 v0, a148
	v_accvgpr_read_b32 v1, a149
	v_mul_f64 v[6:7], v[128:129], v[0:1]
	v_accvgpr_read_b32 v0, a150
	s_waitcnt vmcnt(2) lgkmcnt(0)
	v_mul_f64 v[248:249], v[94:95], v[242:243]
	s_waitcnt vmcnt(0)
	v_fmac_f64_e32 v[248:249], v[96:97], v[244:245]
	v_add_f64 v[2:3], v[2:3], v[248:249]
	buffer_load_dword v248, off, s[0:3], 0 offset:80
	buffer_load_dword v249, off, s[0:3], 0 offset:84
	;; [unrolled: 1-line block ×4, first 2 shown]
	v_accvgpr_read_b32 v1, a151
	v_fma_f64 v[6:7], v[126:127], v[0:1], -v[6:7]
	v_add_f64 v[4:5], v[4:5], v[6:7]
	v_mul_f64 v[6:7], v[124:125], v[144:145]
	v_accvgpr_read_b32 v0, a152
	v_fma_f64 v[6:7], v[122:123], v[148:149], -v[6:7]
	v_accvgpr_read_b32 v1, a153
	v_add_f64 v[4:5], v[4:5], v[6:7]
	v_mul_f64 v[6:7], v[16:17], v[0:1]
	v_accvgpr_read_b32 v0, a154
	v_accvgpr_read_b32 v1, a155
	v_fma_f64 v[6:7], v[14:15], v[0:1], -v[6:7]
	v_add_f64 v[4:5], v[4:5], v[6:7]
	v_mul_f64 v[6:7], v[20:21], v[152:153]
	v_accvgpr_read_b32 v0, a156
	v_fma_f64 v[6:7], v[18:19], v[156:157], -v[6:7]
	v_accvgpr_read_b32 v1, a157
	v_add_f64 v[4:5], v[4:5], v[6:7]
	v_mul_f64 v[6:7], v[24:25], v[0:1]
	v_fma_f64 v[6:7], v[22:23], v[254:255], -v[6:7]
	v_add_f64 v[4:5], v[4:5], v[6:7]
	v_mul_f64 v[6:7], v[28:29], v[160:161]
	v_accvgpr_read_b32 v0, a158
	v_fma_f64 v[6:7], v[26:27], v[162:163], -v[6:7]
	v_accvgpr_read_b32 v1, a159
	v_add_f64 v[4:5], v[4:5], v[6:7]
	v_mul_f64 v[6:7], v[32:33], v[0:1]
	v_fma_f64 v[6:7], v[30:31], v[134:135], -v[6:7]
	v_add_f64 v[4:5], v[4:5], v[6:7]
	v_mul_f64 v[6:7], v[36:37], v[164:165]
	v_fma_f64 v[6:7], v[34:35], v[166:167], -v[6:7]
	;; [unrolled: 3-line block ×22, first 2 shown]
	v_add_f64 v[4:5], v[4:5], v[6:7]
	v_accvgpr_read_b32 v0, a146
	s_waitcnt vmcnt(2)
	v_add_f64 v[4:5], v[248:249], -v[4:5]
	v_cmp_lt_u32_e32 vcc, 3, v0
	s_waitcnt vmcnt(0)
	v_add_f64 v[2:3], v[246:247], -v[2:3]
	buffer_store_dword v5, off, s[0:3], 0 offset:84
	buffer_store_dword v4, off, s[0:3], 0 offset:80
	;; [unrolled: 1-line block ×4, first 2 shown]
	s_and_saveexec_b64 s[4:5], vcc
	s_cbranch_execz .LBB48_301
; %bb.300:
	v_accvgpr_read_b32 v0, a143
	buffer_load_dword v2, v0, s[0:3], 0 offen
	buffer_load_dword v3, v0, s[0:3], 0 offen offset:4
	buffer_load_dword v4, v0, s[0:3], 0 offen offset:8
	;; [unrolled: 1-line block ×3, first 2 shown]
	v_mov_b32_e32 v0, 0
	v_accvgpr_read_b32 v1, a147
	buffer_store_dword v0, off, s[0:3], 0 offset:64
	buffer_store_dword v0, off, s[0:3], 0 offset:68
	;; [unrolled: 1-line block ×4, first 2 shown]
	s_waitcnt vmcnt(4)
	ds_write_b128 v1, v[2:5]
.LBB48_301:
	s_or_b64 exec, exec, s[4:5]
	s_waitcnt lgkmcnt(0)
	; wave barrier
	s_waitcnt lgkmcnt(0)
	buffer_load_dword v56, off, s[0:3], 0 offset:80
	buffer_load_dword v57, off, s[0:3], 0 offset:84
	;; [unrolled: 1-line block ×36, first 2 shown]
	v_mov_b32_e32 v124, 0
	buffer_load_dword v87, off, s[0:3], 0 offset:252
	buffer_load_dword v86, off, s[0:3], 0 offset:248
	;; [unrolled: 1-line block ×18, first 2 shown]
	ds_read_b128 v[110:113], v124 offset:848
	ds_read_b128 v[114:117], v124 offset:864
	;; [unrolled: 1-line block ×9, first 2 shown]
	s_waitcnt vmcnt(50) lgkmcnt(8)
	v_mul_f64 v[2:3], v[110:111], v[58:59]
	v_fmac_f64_e32 v[2:3], v[112:113], v[56:57]
	v_add_f64 v[2:3], v[2:3], 0
	s_waitcnt vmcnt(46) lgkmcnt(7)
	v_mul_f64 v[4:5], v[114:115], v[54:55]
	v_fmac_f64_e32 v[4:5], v[116:117], v[52:53]
	v_add_f64 v[2:3], v[2:3], v[4:5]
	buffer_load_dword v105, off, s[0:3], 0 offset:308
	buffer_load_dword v104, off, s[0:3], 0 offset:304
	;; [unrolled: 1-line block ×8, first 2 shown]
	s_waitcnt vmcnt(52) lgkmcnt(6)
	v_mul_f64 v[6:7], v[196:197], v[50:51]
	s_waitcnt vmcnt(50) lgkmcnt(4)
	v_mul_f64 v[10:11], v[204:205], v[60:61]
	s_waitcnt vmcnt(48)
	v_fmac_f64_e32 v[10:11], v[206:207], v[62:63]
	v_mul_f64 v[50:51], v[198:199], v[50:51]
	s_waitcnt vmcnt(46)
	v_mul_f64 v[8:9], v[200:201], v[64:65]
	v_mul_f64 v[54:55], v[116:117], v[54:55]
	s_waitcnt vmcnt(44) lgkmcnt(2)
	v_mul_f64 v[14:15], v[212:213], v[74:75]
	s_waitcnt vmcnt(42)
	v_fmac_f64_e32 v[14:15], v[214:215], v[72:73]
	s_waitcnt vmcnt(40)
	v_mul_f64 v[12:13], v[208:209], v[76:77]
	s_waitcnt vmcnt(38) lgkmcnt(1)
	v_mul_f64 v[16:17], v[232:233], v[68:69]
	s_waitcnt vmcnt(36)
	v_fmac_f64_e32 v[6:7], v[198:199], v[82:83]
	v_add_f64 v[2:3], v[2:3], v[6:7]
	s_waitcnt vmcnt(34)
	v_fmac_f64_e32 v[8:9], v[202:203], v[80:81]
	v_add_f64 v[2:3], v[2:3], v[8:9]
	s_waitcnt vmcnt(32)
	v_fmac_f64_e32 v[12:13], v[210:211], v[78:79]
	v_add_f64 v[2:3], v[2:3], v[10:11]
	v_add_f64 v[2:3], v[2:3], v[12:13]
	v_add_f64 v[2:3], v[2:3], v[14:15]
	s_waitcnt vmcnt(30)
	v_fmac_f64_e32 v[16:17], v[234:235], v[70:71]
	v_add_f64 v[2:3], v[2:3], v[16:17]
	s_waitcnt vmcnt(0)
	v_pk_mov_b32 v[14:15], v[4:5], v[4:5] op_sel:[0,1]
	buffer_load_dword v5, off, s[0:3], 0 offset:340
	buffer_load_dword v4, off, s[0:3], 0 offset:336
	v_accvgpr_write_b32 a149, v15
	v_accvgpr_write_b32 a148, v14
	s_waitcnt vmcnt(0)
	v_pk_mov_b32 v[18:19], v[4:5], v[4:5] op_sel:[0,1]
	buffer_load_dword v107, off, s[0:3], 0 offset:332
	buffer_load_dword v106, off, s[0:3], 0 offset:328
	;; [unrolled: 1-line block ×6, first 2 shown]
	v_accvgpr_write_b32 a151, v19
	v_accvgpr_write_b32 a150, v18
	s_waitcnt vmcnt(0)
	v_pk_mov_b32 v[22:23], v[4:5], v[4:5] op_sel:[0,1]
	buffer_load_dword v5, off, s[0:3], 0 offset:372
	buffer_load_dword v4, off, s[0:3], 0 offset:368
	v_accvgpr_write_b32 a153, v23
	v_accvgpr_write_b32 a152, v22
	s_waitcnt vmcnt(0)
	v_pk_mov_b32 v[24:25], v[4:5], v[4:5] op_sel:[0,1]
	buffer_load_dword v141, off, s[0:3], 0 offset:364
	buffer_load_dword v140, off, s[0:3], 0 offset:360
	;; [unrolled: 1-line block ×6, first 2 shown]
	v_accvgpr_write_b32 a155, v25
	v_accvgpr_write_b32 a154, v24
	s_waitcnt vmcnt(0)
	v_pk_mov_b32 v[30:31], v[4:5], v[4:5] op_sel:[0,1]
	buffer_load_dword v5, off, s[0:3], 0 offset:404
	buffer_load_dword v4, off, s[0:3], 0 offset:400
	v_accvgpr_write_b32 a157, v31
	v_accvgpr_write_b32 a156, v30
	s_waitcnt vmcnt(0)
	v_pk_mov_b32 v[32:33], v[4:5], v[4:5] op_sel:[0,1]
	buffer_load_dword v149, off, s[0:3], 0 offset:396
	buffer_load_dword v148, off, s[0:3], 0 offset:392
	;; [unrolled: 1-line block ×36, first 2 shown]
	ds_read_b128 v[240:243], v124 offset:992
	ds_read_b128 v[244:247], v124 offset:1008
	;; [unrolled: 1-line block ×9, first 2 shown]
	v_accvgpr_write_b32 a159, v33
	v_accvgpr_write_b32 a158, v32
	s_waitcnt lgkmcnt(2)
	v_mul_f64 v[8:9], v[224:225], v[106:107]
	v_fmac_f64_e32 v[8:9], v[226:227], v[108:109]
	s_waitcnt lgkmcnt(1)
	v_mul_f64 v[12:13], v[130:131], v[14:15]
	v_fmac_f64_e32 v[12:13], v[132:133], v[18:19]
	s_waitcnt vmcnt(30)
	v_pk_mov_b32 v[38:39], v[4:5], v[4:5] op_sel:[0,1]
	v_mul_f64 v[4:5], v[236:237], v[66:67]
	v_fmac_f64_e32 v[4:5], v[238:239], v[84:85]
	v_add_f64 v[2:3], v[2:3], v[4:5]
	v_mul_f64 v[4:5], v[240:241], v[90:91]
	v_fmac_f64_e32 v[4:5], v[242:243], v[92:93]
	v_add_f64 v[2:3], v[2:3], v[4:5]
	;; [unrolled: 3-line block ×7, first 2 shown]
	v_add_f64 v[10:11], v[6:7], v[8:9]
	v_add_f64 v[14:15], v[10:11], v[12:13]
	ds_read_b128 v[10:13], v124 offset:1136
	s_waitcnt lgkmcnt(1)
	v_mul_f64 v[16:17], v[126:127], v[140:141]
	v_fmac_f64_e32 v[16:17], v[128:129], v[144:145]
	v_add_f64 v[18:19], v[14:15], v[16:17]
	ds_read_b128 v[14:17], v124 offset:1152
	s_waitcnt lgkmcnt(1)
	v_mul_f64 v[20:21], v[10:11], v[22:23]
	v_fmac_f64_e32 v[20:21], v[12:13], v[24:25]
	;; [unrolled: 5-line block ×4, first 2 shown]
	v_add_f64 v[30:31], v[26:27], v[28:29]
	ds_read_b128 v[26:29], v124 offset:1200
	s_waitcnt vmcnt(26) lgkmcnt(1)
	v_mul_f64 v[32:33], v[22:23], v[156:157]
	s_waitcnt vmcnt(24)
	v_fmac_f64_e32 v[32:33], v[24:25], v[158:159]
	v_add_f64 v[34:35], v[30:31], v[32:33]
	ds_read_b128 v[30:33], v124 offset:1216
	s_waitcnt lgkmcnt(1)
	v_mul_f64 v[36:37], v[26:27], v[38:39]
	v_accvgpr_write_b32 a161, v39
	v_fmac_f64_e32 v[36:37], v[28:29], v[134:135]
	v_accvgpr_write_b32 a160, v38
	v_add_f64 v[38:39], v[34:35], v[36:37]
	ds_read_b128 v[34:37], v124 offset:1232
	s_waitcnt vmcnt(18) lgkmcnt(1)
	v_mul_f64 v[40:41], v[30:31], v[160:161]
	s_waitcnt vmcnt(16)
	v_fmac_f64_e32 v[40:41], v[32:33], v[162:163]
	v_add_f64 v[42:43], v[38:39], v[40:41]
	ds_read_b128 v[38:41], v124 offset:1248
	s_waitcnt lgkmcnt(1)
	v_mul_f64 v[44:45], v[34:35], v[136:137]
	v_fmac_f64_e32 v[44:45], v[36:37], v[138:139]
	v_add_f64 v[46:47], v[42:43], v[44:45]
	ds_read_b128 v[42:45], v124 offset:1264
	s_waitcnt vmcnt(10) lgkmcnt(1)
	v_mul_f64 v[48:49], v[38:39], v[164:165]
	s_waitcnt vmcnt(8)
	v_fmac_f64_e32 v[48:49], v[40:41], v[166:167]
	v_add_f64 v[174:175], v[46:47], v[48:49]
	ds_read_b128 v[46:49], v124 offset:1280
	buffer_load_dword v173, off, s[0:3], 0 offset:556
	buffer_load_dword v172, off, s[0:3], 0 offset:552
	;; [unrolled: 1-line block ×4, first 2 shown]
	s_waitcnt lgkmcnt(1)
	v_mul_f64 v[178:179], v[42:43], v[142:143]
	v_fmac_f64_e32 v[178:179], v[44:45], v[146:147]
	v_add_f64 v[2:3], v[174:175], v[178:179]
	buffer_load_dword v179, off, s[0:3], 0 offset:572
	buffer_load_dword v178, off, s[0:3], 0 offset:568
	;; [unrolled: 1-line block ×20, first 2 shown]
	v_mul_f64 v[4:5], v[112:113], v[58:59]
	v_fma_f64 v[112:113], v[196:197], v[82:83], -v[50:51]
	buffer_load_dword v197, off, s[0:3], 0 offset:652
	buffer_load_dword v196, off, s[0:3], 0 offset:648
	;; [unrolled: 1-line block ×4, first 2 shown]
	v_mul_f64 v[50:51], v[202:203], v[64:65]
	v_fma_f64 v[6:7], v[110:111], v[56:57], -v[4:5]
	v_fma_f64 v[110:111], v[114:115], v[52:53], -v[54:55]
	;; [unrolled: 1-line block ×3, first 2 shown]
	buffer_load_dword v201, off, s[0:3], 0 offset:668
	buffer_load_dword v200, off, s[0:3], 0 offset:664
	;; [unrolled: 1-line block ×8, first 2 shown]
	v_mul_f64 v[54:55], v[210:211], v[76:77]
	v_mul_f64 v[50:51], v[206:207], v[60:61]
	v_fma_f64 v[116:117], v[208:209], v[78:79], -v[54:55]
	v_mul_f64 v[54:55], v[214:215], v[74:75]
	v_fma_f64 v[206:207], v[204:205], v[62:63], -v[50:51]
	ds_read_b128 v[50:53], v124 offset:1296
	v_fma_f64 v[4:5], v[212:213], v[72:73], -v[54:55]
	v_mul_f64 v[54:55], v[234:235], v[68:69]
	buffer_load_dword v211, off, s[0:3], 0 offset:700
	buffer_load_dword v210, off, s[0:3], 0 offset:696
	;; [unrolled: 1-line block ×12, first 2 shown]
	v_fma_f64 v[234:235], v[232:233], v[70:71], -v[54:55]
	buffer_load_dword v233, off, s[0:3], 0 offset:748
	buffer_load_dword v232, off, s[0:3], 0 offset:744
	;; [unrolled: 1-line block ×4, first 2 shown]
	ds_read_b128 v[54:57], v124 offset:1312
	ds_read_b128 v[58:61], v124 offset:1328
	s_waitcnt vmcnt(54) lgkmcnt(3)
	v_mul_f64 v[8:9], v[46:47], v[168:169]
	s_waitcnt vmcnt(52)
	v_fmac_f64_e32 v[8:9], v[48:49], v[170:171]
	v_add_f64 v[2:3], v[2:3], v[8:9]
	s_waitcnt lgkmcnt(2)
	v_mul_f64 v[8:9], v[50:51], v[150:151]
	v_fmac_f64_e32 v[8:9], v[52:53], v[154:155]
	v_add_f64 v[2:3], v[2:3], v[8:9]
	v_mul_f64 v[8:9], v[238:239], v[66:67]
	v_mul_f64 v[70:71], v[246:247], v[86:87]
	v_fma_f64 v[8:9], v[236:237], v[84:85], -v[8:9]
	v_fma_f64 v[236:237], v[244:245], v[88:89], -v[70:71]
	ds_read_b128 v[70:73], v124 offset:1376
	v_mul_f64 v[82:83], v[254:255], v[96:97]
	ds_read_b128 v[86:89], v124 offset:1440
	v_mul_f64 v[0:1], v[120:121], v[0:1]
	v_add_f64 v[6:7], v[6:7], 0
	v_add_f64 v[6:7], v[6:7], v[110:111]
	;; [unrolled: 1-line block ×9, first 2 shown]
	v_accvgpr_read_b32 v6, a148
	v_accvgpr_read_b32 v7, a149
	;; [unrolled: 1-line block ×3, first 2 shown]
	v_mul_f64 v[6:7], v[132:133], v[6:7]
	v_accvgpr_read_b32 v9, a151
	v_fma_f64 v[6:7], v[130:131], v[8:9], -v[6:7]
	v_accvgpr_read_b32 v8, a154
	v_accvgpr_read_b32 v9, a155
	s_waitcnt vmcnt(50) lgkmcnt(3)
	v_mul_f64 v[62:63], v[54:55], v[172:173]
	s_waitcnt vmcnt(48)
	v_fmac_f64_e32 v[62:63], v[56:57], v[176:177]
	v_add_f64 v[2:3], v[2:3], v[62:63]
	v_mul_f64 v[62:63], v[242:243], v[90:91]
	v_fma_f64 v[242:243], v[240:241], v[92:93], -v[62:63]
	ds_read_b128 v[62:65], v124 offset:1344
	s_waitcnt vmcnt(46) lgkmcnt(3)
	v_mul_f64 v[66:67], v[58:59], v[178:179]
	s_waitcnt vmcnt(44)
	v_fmac_f64_e32 v[66:67], v[60:61], v[180:181]
	v_add_f64 v[2:3], v[2:3], v[66:67]
	ds_read_b128 v[66:69], v124 offset:1360
	s_waitcnt vmcnt(41) lgkmcnt(1)
	v_mul_f64 v[74:75], v[62:63], v[184:185]
	s_waitcnt vmcnt(39)
	v_fmac_f64_e32 v[74:75], v[64:65], v[188:189]
	v_add_f64 v[2:3], v[2:3], v[74:75]
	v_mul_f64 v[74:75], v[250:251], v[100:101]
	v_fma_f64 v[248:249], v[248:249], v[102:103], -v[74:75]
	ds_read_b128 v[74:77], v124 offset:1392
	s_waitcnt vmcnt(38) lgkmcnt(1)
	v_mul_f64 v[78:79], v[66:67], v[174:175]
	s_waitcnt vmcnt(36)
	v_fmac_f64_e32 v[78:79], v[68:69], v[186:187]
	v_add_f64 v[2:3], v[2:3], v[78:79]
	s_waitcnt vmcnt(33)
	v_mul_f64 v[78:79], v[70:71], v[192:193]
	s_waitcnt vmcnt(31)
	v_fmac_f64_e32 v[78:79], v[72:73], v[194:195]
	v_add_f64 v[2:3], v[2:3], v[78:79]
	s_waitcnt vmcnt(29) lgkmcnt(0)
	v_mul_f64 v[78:79], v[74:75], v[182:183]
	s_waitcnt vmcnt(28)
	v_fmac_f64_e32 v[78:79], v[76:77], v[190:191]
	v_add_f64 v[2:3], v[2:3], v[78:79]
	ds_read_b128 v[78:81], v124 offset:1408
	v_fma_f64 v[250:251], v[252:253], v[98:99], -v[82:83]
	ds_read_b128 v[82:85], v124 offset:1424
	v_fma_f64 v[252:253], v[118:119], v[122:123], -v[0:1]
	v_mul_f64 v[98:99], v[226:227], v[106:107]
	s_waitcnt vmcnt(26) lgkmcnt(1)
	v_mul_f64 v[90:91], v[78:79], v[196:197]
	s_waitcnt vmcnt(24)
	v_fmac_f64_e32 v[90:91], v[80:81], v[198:199]
	v_add_f64 v[0:1], v[2:3], v[90:91]
	s_waitcnt vmcnt(22) lgkmcnt(0)
	v_mul_f64 v[2:3], v[82:83], v[200:201]
	s_waitcnt vmcnt(20)
	v_fmac_f64_e32 v[2:3], v[84:85], v[216:217]
	v_add_f64 v[0:1], v[0:1], v[2:3]
	ds_read_b128 v[90:93], v124 offset:1456
	s_waitcnt vmcnt(18)
	v_mul_f64 v[2:3], v[86:87], v[202:203]
	s_waitcnt vmcnt(16)
	v_fmac_f64_e32 v[2:3], v[88:89], v[218:219]
	v_add_f64 v[0:1], v[0:1], v[2:3]
	v_mul_f64 v[2:3], v[222:223], v[94:95]
	v_fma_f64 v[254:255], v[220:221], v[104:105], -v[2:3]
	ds_read_b128 v[94:97], v124 offset:1472
	v_fma_f64 v[120:121], v[224:225], v[108:109], -v[98:99]
	ds_read_b128 v[98:101], v124 offset:1488
	ds_read_b128 v[102:105], v124 offset:1504
	buffer_load_dword v118, off, s[0:3], 0 offset:760
	buffer_load_dword v119, off, s[0:3], 0 offset:764
	;; [unrolled: 1-line block ×4, first 2 shown]
	ds_read_b128 v[106:109], v124 offset:1520
	buffer_load_dword v239, off, s[0:3], 0 offset:780
	buffer_load_dword v238, off, s[0:3], 0 offset:776
	;; [unrolled: 1-line block ×4, first 2 shown]
	s_waitcnt vmcnt(22) lgkmcnt(4)
	v_mul_f64 v[2:3], v[90:91], v[210:211]
	s_waitcnt vmcnt(20)
	v_fmac_f64_e32 v[2:3], v[92:93], v[214:215]
	v_add_f64 v[0:1], v[0:1], v[2:3]
	s_waitcnt vmcnt(17) lgkmcnt(3)
	v_mul_f64 v[2:3], v[94:95], v[228:229]
	s_waitcnt vmcnt(15)
	v_fmac_f64_e32 v[2:3], v[96:97], v[230:231]
	v_add_f64 v[0:1], v[0:1], v[2:3]
	;; [unrolled: 5-line block ×4, first 2 shown]
	v_add_f64 v[4:5], v[4:5], v[242:243]
	v_add_f64 v[4:5], v[4:5], v[236:237]
	;; [unrolled: 1-line block ×8, first 2 shown]
	v_mul_f64 v[6:7], v[128:129], v[140:141]
	v_fma_f64 v[6:7], v[126:127], v[144:145], -v[6:7]
	v_add_f64 v[4:5], v[4:5], v[6:7]
	v_accvgpr_read_b32 v6, a152
	v_accvgpr_read_b32 v7, a153
	v_mul_f64 v[6:7], v[12:13], v[6:7]
	v_fma_f64 v[6:7], v[10:11], v[8:9], -v[6:7]
	v_add_f64 v[4:5], v[4:5], v[6:7]
	v_mul_f64 v[6:7], v[16:17], v[148:149]
	v_fma_f64 v[6:7], v[14:15], v[152:153], -v[6:7]
	v_add_f64 v[4:5], v[4:5], v[6:7]
	v_accvgpr_read_b32 v6, a156
	v_accvgpr_read_b32 v7, a157
	;; [unrolled: 1-line block ×3, first 2 shown]
	v_mul_f64 v[6:7], v[20:21], v[6:7]
	v_accvgpr_read_b32 v9, a159
	v_fma_f64 v[6:7], v[18:19], v[8:9], -v[6:7]
	v_add_f64 v[4:5], v[4:5], v[6:7]
	v_mul_f64 v[6:7], v[24:25], v[156:157]
	v_fma_f64 v[6:7], v[22:23], v[158:159], -v[6:7]
	v_add_f64 v[4:5], v[4:5], v[6:7]
	v_accvgpr_read_b32 v6, a160
	v_accvgpr_read_b32 v7, a161
	v_mul_f64 v[6:7], v[28:29], v[6:7]
	v_fma_f64 v[6:7], v[26:27], v[134:135], -v[6:7]
	v_add_f64 v[4:5], v[4:5], v[6:7]
	v_mul_f64 v[6:7], v[32:33], v[160:161]
	v_fma_f64 v[6:7], v[30:31], v[162:163], -v[6:7]
	v_add_f64 v[4:5], v[4:5], v[6:7]
	;; [unrolled: 3-line block ×10, first 2 shown]
	v_mul_f64 v[6:7], v[68:69], v[174:175]
	v_fma_f64 v[6:7], v[66:67], v[186:187], -v[6:7]
	s_waitcnt vmcnt(6) lgkmcnt(0)
	v_mul_f64 v[2:3], v[106:107], v[118:119]
	v_add_f64 v[4:5], v[4:5], v[6:7]
	s_waitcnt vmcnt(4)
	v_fmac_f64_e32 v[2:3], v[108:109], v[224:225]
	v_add_f64 v[122:123], v[0:1], v[2:3]
	ds_read_b128 v[0:3], v124 offset:1536
	buffer_load_dword v244, off, s[0:3], 0 offset:792
	buffer_load_dword v245, off, s[0:3], 0 offset:796
	;; [unrolled: 1-line block ×4, first 2 shown]
	v_mul_f64 v[6:7], v[72:73], v[192:193]
	v_fma_f64 v[6:7], v[70:71], v[194:195], -v[6:7]
	v_add_f64 v[4:5], v[4:5], v[6:7]
	s_waitcnt vmcnt(6) lgkmcnt(0)
	v_mul_f64 v[220:221], v[0:1], v[238:239]
	s_waitcnt vmcnt(4)
	v_fmac_f64_e32 v[220:221], v[2:3], v[240:241]
	v_add_f64 v[122:123], v[122:123], v[220:221]
	ds_read_b128 v[220:223], v124 offset:1552
	buffer_load_dword v250, off, s[0:3], 0 offset:64
	buffer_load_dword v251, off, s[0:3], 0 offset:68
	;; [unrolled: 1-line block ×4, first 2 shown]
	v_mul_f64 v[6:7], v[76:77], v[182:183]
	v_fma_f64 v[6:7], v[74:75], v[190:191], -v[6:7]
	v_add_f64 v[4:5], v[4:5], v[6:7]
	v_mul_f64 v[6:7], v[80:81], v[196:197]
	v_fma_f64 v[6:7], v[78:79], v[198:199], -v[6:7]
	v_add_f64 v[4:5], v[4:5], v[6:7]
	v_mul_f64 v[6:7], v[84:85], v[200:201]
	v_fma_f64 v[6:7], v[82:83], v[216:217], -v[6:7]
	v_add_f64 v[4:5], v[4:5], v[6:7]
	v_mul_f64 v[6:7], v[88:89], v[202:203]
	v_fma_f64 v[6:7], v[86:87], v[218:219], -v[6:7]
	v_add_f64 v[4:5], v[4:5], v[6:7]
	v_mul_f64 v[6:7], v[92:93], v[210:211]
	v_fma_f64 v[6:7], v[90:91], v[214:215], -v[6:7]
	v_add_f64 v[4:5], v[4:5], v[6:7]
	v_mul_f64 v[6:7], v[96:97], v[228:229]
	v_fma_f64 v[6:7], v[94:95], v[230:231], -v[6:7]
	v_add_f64 v[4:5], v[4:5], v[6:7]
	v_mul_f64 v[6:7], v[100:101], v[208:209]
	v_fma_f64 v[6:7], v[98:99], v[212:213], -v[6:7]
	v_add_f64 v[4:5], v[4:5], v[6:7]
	v_mul_f64 v[6:7], v[104:105], v[232:233]
	v_fma_f64 v[6:7], v[102:103], v[204:205], -v[6:7]
	v_add_f64 v[4:5], v[4:5], v[6:7]
	v_mul_f64 v[6:7], v[108:109], v[118:119]
	v_fma_f64 v[6:7], v[106:107], v[224:225], -v[6:7]
	v_mul_f64 v[2:3], v[2:3], v[238:239]
	v_add_f64 v[4:5], v[4:5], v[6:7]
	v_fma_f64 v[0:1], v[0:1], v[240:241], -v[2:3]
	v_add_f64 v[0:1], v[4:5], v[0:1]
	s_waitcnt vmcnt(6) lgkmcnt(0)
	v_mul_f64 v[2:3], v[222:223], v[244:245]
	v_mul_f64 v[226:227], v[220:221], v[244:245]
	s_waitcnt vmcnt(4)
	v_fma_f64 v[2:3], v[220:221], v[246:247], -v[2:3]
	v_fmac_f64_e32 v[226:227], v[222:223], v[246:247]
	v_add_f64 v[0:1], v[0:1], v[2:3]
	v_add_f64 v[122:123], v[122:123], v[226:227]
	s_waitcnt vmcnt(2)
	v_add_f64 v[0:1], v[250:251], -v[0:1]
	s_waitcnt vmcnt(0)
	v_add_f64 v[2:3], v[248:249], -v[122:123]
	buffer_store_dword v1, off, s[0:3], 0 offset:68
	buffer_store_dword v0, off, s[0:3], 0 offset:64
	buffer_store_dword v3, off, s[0:3], 0 offset:76
	buffer_store_dword v2, off, s[0:3], 0 offset:72
	v_accvgpr_read_b32 v0, a146
	v_cmp_lt_u32_e32 vcc, 2, v0
	s_and_saveexec_b64 s[4:5], vcc
	s_cbranch_execz .LBB48_303
; %bb.302:
	v_accvgpr_read_b32 v0, a144
	buffer_load_dword v2, v0, s[0:3], 0 offen
	buffer_load_dword v3, v0, s[0:3], 0 offen offset:4
	buffer_load_dword v4, v0, s[0:3], 0 offen offset:8
	;; [unrolled: 1-line block ×3, first 2 shown]
	v_accvgpr_read_b32 v0, a147
	buffer_store_dword v124, off, s[0:3], 0 offset:48
	buffer_store_dword v124, off, s[0:3], 0 offset:52
	buffer_store_dword v124, off, s[0:3], 0 offset:56
	buffer_store_dword v124, off, s[0:3], 0 offset:60
	s_waitcnt vmcnt(4)
	ds_write_b128 v0, v[2:5]
.LBB48_303:
	s_or_b64 exec, exec, s[4:5]
	s_waitcnt lgkmcnt(0)
	; wave barrier
	s_waitcnt lgkmcnt(0)
	buffer_load_dword v60, off, s[0:3], 0 offset:64
	buffer_load_dword v61, off, s[0:3], 0 offset:68
	;; [unrolled: 1-line block ×42, first 2 shown]
	ds_read_b128 v[114:117], v124 offset:832
	ds_read_b128 v[182:185], v124 offset:848
	;; [unrolled: 1-line block ×10, first 2 shown]
	buffer_load_dword v255, off, s[0:3], 0 offset:212
	buffer_load_dword v254, off, s[0:3], 0 offset:208
	ds_read_b128 v[62:65], v124 offset:992
	buffer_load_dword v101, off, s[0:3], 0 offset:268
	buffer_load_dword v100, off, s[0:3], 0 offset:264
	;; [unrolled: 1-line block ×6, first 2 shown]
	s_waitcnt vmcnt(46) lgkmcnt(10)
	v_mul_f64 v[0:1], v[114:115], v[66:67]
	v_fmac_f64_e32 v[0:1], v[116:117], v[60:61]
	v_add_f64 v[0:1], v[0:1], 0
	s_waitcnt vmcnt(42) lgkmcnt(9)
	v_mul_f64 v[2:3], v[182:183], v[58:59]
	v_fmac_f64_e32 v[2:3], v[184:185], v[50:51]
	s_waitcnt vmcnt(40) lgkmcnt(8)
	v_mul_f64 v[4:5], v[186:187], v[52:53]
	v_add_f64 v[0:1], v[0:1], v[2:3]
	s_waitcnt vmcnt(38) lgkmcnt(6)
	v_mul_f64 v[8:9], v[198:199], v[68:69]
	v_mul_f64 v[58:59], v[184:185], v[58:59]
	s_waitcnt vmcnt(36)
	v_fmac_f64_e32 v[8:9], v[200:201], v[70:71]
	s_waitcnt vmcnt(34)
	v_mul_f64 v[6:7], v[194:195], v[72:73]
	s_waitcnt vmcnt(32) lgkmcnt(4)
	v_mul_f64 v[12:13], v[206:207], v[74:75]
	s_waitcnt vmcnt(30)
	v_fmac_f64_e32 v[12:13], v[208:209], v[76:77]
	s_waitcnt vmcnt(28)
	v_mul_f64 v[10:11], v[202:203], v[218:219]
	s_waitcnt vmcnt(26) lgkmcnt(2)
	v_mul_f64 v[16:17], v[234:235], v[82:83]
	s_waitcnt vmcnt(23)
	v_mul_f64 v[14:15], v[210:211], v[86:87]
	s_waitcnt vmcnt(21) lgkmcnt(1)
	v_mul_f64 v[18:19], v[54:55], v[80:81]
	s_waitcnt vmcnt(19)
	v_fmac_f64_e32 v[4:5], v[188:189], v[96:97]
	v_add_f64 v[0:1], v[0:1], v[4:5]
	s_waitcnt vmcnt(17)
	v_fmac_f64_e32 v[6:7], v[196:197], v[92:93]
	v_add_f64 v[0:1], v[0:1], v[6:7]
	;; [unrolled: 3-line block ×3, first 2 shown]
	v_add_f64 v[0:1], v[0:1], v[10:11]
	s_waitcnt vmcnt(13)
	v_fmac_f64_e32 v[14:15], v[212:213], v[88:89]
	v_add_f64 v[0:1], v[0:1], v[12:13]
	s_waitcnt vmcnt(12)
	v_fmac_f64_e32 v[16:17], v[236:237], v[84:85]
	v_add_f64 v[0:1], v[0:1], v[14:15]
	v_add_f64 v[6:7], v[0:1], v[16:17]
	buffer_load_dword v1, off, s[0:3], 0 offset:244
	buffer_load_dword v0, off, s[0:3], 0 offset:240
	;; [unrolled: 1-line block ×20, first 2 shown]
	s_waitcnt vmcnt(26)
	v_fmac_f64_e32 v[18:19], v[56:57], v[254:255]
	v_add_f64 v[6:7], v[6:7], v[18:19]
	v_mul_f64 v[56:57], v[56:57], v[80:81]
	v_fma_f64 v[254:255], v[54:55], v[254:255], -v[56:57]
	s_waitcnt vmcnt(0)
	v_pk_mov_b32 v[20:21], v[8:9], v[8:9] op_sel:[0,1]
	buffer_load_dword v9, off, s[0:3], 0 offset:356
	buffer_load_dword v8, off, s[0:3], 0 offset:352
	v_accvgpr_write_b32 a153, v21
	v_accvgpr_write_b32 a152, v20
	s_waitcnt vmcnt(0)
	v_pk_mov_b32 v[22:23], v[8:9], v[8:9] op_sel:[0,1]
	buffer_load_dword v9, off, s[0:3], 0 offset:348
	buffer_load_dword v8, off, s[0:3], 0 offset:344
	v_accvgpr_write_b32 a155, v23
	v_accvgpr_write_b32 a154, v22
	;; [unrolled: 6-line block ×5, first 2 shown]
	s_waitcnt vmcnt(0)
	v_pk_mov_b32 v[28:29], v[8:9], v[8:9] op_sel:[0,1]
	buffer_load_dword v145, off, s[0:3], 0 offset:380
	buffer_load_dword v144, off, s[0:3], 0 offset:376
	;; [unrolled: 1-line block ×6, first 2 shown]
	v_accvgpr_write_b32 a159, v29
	v_accvgpr_write_b32 a158, v28
	s_waitcnt vmcnt(0)
	v_pk_mov_b32 v[34:35], v[8:9], v[8:9] op_sel:[0,1]
	buffer_load_dword v9, off, s[0:3], 0 offset:420
	buffer_load_dword v8, off, s[0:3], 0 offset:416
	v_accvgpr_write_b32 a161, v35
	v_accvgpr_write_b32 a160, v34
	s_waitcnt vmcnt(0)
	v_pk_mov_b32 v[36:37], v[8:9], v[8:9] op_sel:[0,1]
	buffer_load_dword v153, off, s[0:3], 0 offset:412
	buffer_load_dword v152, off, s[0:3], 0 offset:408
	;; [unrolled: 1-line block ×36, first 2 shown]
	ds_read_b128 v[238:241], v124 offset:1008
	ds_read_b128 v[242:245], v124 offset:1024
	;; [unrolled: 1-line block ×10, first 2 shown]
	v_accvgpr_write_b32 a163, v37
	s_waitcnt lgkmcnt(3)
	v_mul_f64 v[12:13], v[138:139], v[14:15]
	v_fmac_f64_e32 v[12:13], v[140:141], v[16:17]
	s_waitcnt lgkmcnt(2)
	v_mul_f64 v[16:17], v[134:135], v[20:21]
	v_fmac_f64_e32 v[16:17], v[136:137], v[22:23]
	;; [unrolled: 3-line block ×4, first 2 shown]
	v_accvgpr_write_b32 a162, v36
	s_waitcnt vmcnt(30)
	v_pk_mov_b32 v[42:43], v[8:9], v[8:9] op_sel:[0,1]
	v_mul_f64 v[8:9], v[62:63], v[94:95]
	v_fmac_f64_e32 v[8:9], v[64:65], v[98:99]
	v_add_f64 v[6:7], v[6:7], v[8:9]
	v_mul_f64 v[8:9], v[238:239], v[104:105]
	v_fmac_f64_e32 v[8:9], v[240:241], v[0:1]
	v_add_f64 v[6:7], v[6:7], v[8:9]
	;; [unrolled: 3-line block ×7, first 2 shown]
	v_add_f64 v[14:15], v[10:11], v[12:13]
	v_add_f64 v[18:19], v[14:15], v[16:17]
	;; [unrolled: 1-line block ×3, first 2 shown]
	ds_read_b128 v[18:21], v124 offset:1168
	v_add_f64 v[26:27], v[22:23], v[24:25]
	ds_read_b128 v[22:25], v124 offset:1184
	v_accvgpr_write_b32 a165, v43
	v_accvgpr_write_b32 a164, v42
	s_waitcnt lgkmcnt(1)
	v_mul_f64 v[28:29], v[18:19], v[152:153]
	v_fmac_f64_e32 v[28:29], v[20:21], v[156:157]
	v_add_f64 v[30:31], v[26:27], v[28:29]
	ds_read_b128 v[26:29], v124 offset:1200
	s_waitcnt lgkmcnt(1)
	v_mul_f64 v[32:33], v[22:23], v[34:35]
	v_fmac_f64_e32 v[32:33], v[24:25], v[36:37]
	v_add_f64 v[34:35], v[30:31], v[32:33]
	ds_read_b128 v[30:33], v124 offset:1216
	s_waitcnt vmcnt(26) lgkmcnt(1)
	v_mul_f64 v[36:37], v[26:27], v[160:161]
	s_waitcnt vmcnt(24)
	v_fmac_f64_e32 v[36:37], v[28:29], v[162:163]
	v_add_f64 v[38:39], v[34:35], v[36:37]
	ds_read_b128 v[34:37], v124 offset:1232
	s_waitcnt lgkmcnt(1)
	v_mul_f64 v[40:41], v[30:31], v[42:43]
	v_fmac_f64_e32 v[40:41], v[32:33], v[214:215]
	v_add_f64 v[46:47], v[38:39], v[40:41]
	ds_read_b128 v[38:41], v124 offset:1248
	ds_read_b128 v[42:45], v124 offset:1264
	s_waitcnt vmcnt(18) lgkmcnt(2)
	v_mul_f64 v[48:49], v[34:35], v[164:165]
	s_waitcnt vmcnt(16)
	v_fmac_f64_e32 v[48:49], v[36:37], v[166:167]
	v_add_f64 v[46:47], v[46:47], v[48:49]
	s_waitcnt lgkmcnt(1)
	v_mul_f64 v[48:49], v[38:39], v[122:123]
	v_fmac_f64_e32 v[48:49], v[40:41], v[142:143]
	v_add_f64 v[46:47], v[46:47], v[48:49]
	s_waitcnt vmcnt(10) lgkmcnt(0)
	v_mul_f64 v[48:49], v[42:43], v[168:169]
	s_waitcnt vmcnt(8)
	v_fmac_f64_e32 v[48:49], v[44:45], v[170:171]
	v_add_f64 v[6:7], v[46:47], v[48:49]
	ds_read_b128 v[46:49], v124 offset:1280
	buffer_load_dword v177, off, s[0:3], 0 offset:572
	buffer_load_dword v176, off, s[0:3], 0 offset:568
	;; [unrolled: 1-line block ×5, first 2 shown]
	v_mul_f64 v[8:9], v[116:117], v[66:67]
	v_fma_f64 v[10:11], v[114:115], v[60:61], -v[8:9]
	v_fma_f64 v[114:115], v[182:183], v[50:51], -v[58:59]
	buffer_load_dword v182, off, s[0:3], 0 offset:576
	buffer_load_dword v179, off, s[0:3], 0 offset:588
	;; [unrolled: 1-line block ×3, first 2 shown]
	v_mul_f64 v[50:51], v[188:189], v[52:53]
	v_fma_f64 v[116:117], v[186:187], v[96:97], -v[50:51]
	buffer_load_dword v187, off, s[0:3], 0 offset:604
	buffer_load_dword v186, off, s[0:3], 0 offset:600
	;; [unrolled: 1-line block ×8, first 2 shown]
	v_mul_f64 v[50:51], v[196:197], v[72:73]
	v_fma_f64 v[92:93], v[194:195], v[92:93], -v[50:51]
	buffer_load_dword v184, off, s[0:3], 0 offset:648
	buffer_load_dword v197, off, s[0:3], 0 offset:636
	;; [unrolled: 1-line block ×8, first 2 shown]
	v_mul_f64 v[50:51], v[200:201], v[68:69]
	v_fma_f64 v[220:221], v[198:199], v[70:71], -v[50:51]
	v_mul_f64 v[50:51], v[204:205], v[218:219]
	v_fma_f64 v[204:205], v[202:203], v[90:91], -v[50:51]
	buffer_load_dword v219, off, s[0:3], 0 offset:668
	buffer_load_dword v218, off, s[0:3], 0 offset:664
	;; [unrolled: 1-line block ×4, first 2 shown]
	v_mul_f64 v[50:51], v[208:209], v[74:75]
	buffer_load_dword v200, off, s[0:3], 0 offset:680
	buffer_load_dword v208, off, s[0:3], 0 offset:672
	;; [unrolled: 1-line block ×4, first 2 shown]
	v_fma_f64 v[206:207], v[206:207], v[76:77], -v[50:51]
	v_mul_f64 v[50:51], v[212:213], v[86:87]
	v_fma_f64 v[202:203], v[210:211], v[88:89], -v[50:51]
	buffer_load_dword v199, off, s[0:3], 0 offset:716
	buffer_load_dword v211, off, s[0:3], 0 offset:700
	;; [unrolled: 1-line block ×12, first 2 shown]
	ds_read_b128 v[50:53], v124 offset:1296
	v_mul_f64 v[58:59], v[236:237], v[82:83]
	v_fma_f64 v[8:9], v[234:235], v[84:85], -v[58:59]
	buffer_load_dword v234, off, s[0:3], 0 offset:744
	buffer_load_dword v236, off, s[0:3], 0 offset:736
	;; [unrolled: 1-line block ×4, first 2 shown]
	ds_read_b128 v[54:57], v124 offset:1312
	ds_read_b128 v[58:61], v124 offset:1328
	s_waitcnt lgkmcnt(3)
	v_mul_f64 v[12:13], v[46:47], v[146:147]
	v_fmac_f64_e32 v[12:13], v[48:49], v[150:151]
	v_add_f64 v[6:7], v[6:7], v[12:13]
	s_waitcnt vmcnt(50) lgkmcnt(2)
	v_mul_f64 v[12:13], v[50:51], v[172:173]
	s_waitcnt vmcnt(48)
	v_fmac_f64_e32 v[12:13], v[52:53], v[174:175]
	v_add_f64 v[6:7], v[6:7], v[12:13]
	s_waitcnt lgkmcnt(1)
	v_mul_f64 v[12:13], v[54:55], v[154:155]
	v_fmac_f64_e32 v[12:13], v[56:57], v[158:159]
	v_add_f64 v[6:7], v[6:7], v[12:13]
	v_mul_f64 v[12:13], v[64:65], v[94:95]
	v_fma_f64 v[12:13], v[62:63], v[98:99], -v[12:13]
	ds_read_b128 v[62:65], v124 offset:1344
	ds_read_b128 v[70:73], v124 offset:1376
	;; [unrolled: 1-line block ×4, first 2 shown]
	v_mul_f64 v[4:5], v[120:121], v[4:5]
	ds_read_b128 v[94:97], v124 offset:1472
	v_add_f64 v[10:11], v[10:11], 0
	v_add_f64 v[10:11], v[10:11], v[114:115]
	;; [unrolled: 1-line block ×11, first 2 shown]
	ds_read_b128 v[82:85], v124 offset:1424
	s_waitcnt vmcnt(46) lgkmcnt(6)
	v_mul_f64 v[66:67], v[58:59], v[176:177]
	s_waitcnt vmcnt(44)
	v_fmac_f64_e32 v[66:67], v[60:61], v[180:181]
	v_add_f64 v[6:7], v[6:7], v[66:67]
	v_mul_f64 v[66:67], v[240:241], v[104:105]
	v_fma_f64 v[0:1], v[238:239], v[0:1], -v[66:67]
	ds_read_b128 v[66:69], v124 offset:1360
	s_waitcnt vmcnt(41) lgkmcnt(6)
	v_mul_f64 v[14:15], v[62:63], v[178:179]
	s_waitcnt vmcnt(40)
	v_fmac_f64_e32 v[14:15], v[64:65], v[182:183]
	v_add_f64 v[6:7], v[6:7], v[14:15]
	v_mul_f64 v[14:15], v[244:245], v[100:101]
	v_fma_f64 v[98:99], v[242:243], v[102:103], -v[14:15]
	s_waitcnt vmcnt(38) lgkmcnt(0)
	v_mul_f64 v[14:15], v[66:67], v[186:187]
	s_waitcnt vmcnt(36)
	v_fmac_f64_e32 v[14:15], v[68:69], v[190:191]
	v_add_f64 v[6:7], v[6:7], v[14:15]
	v_mul_f64 v[14:15], v[248:249], v[226:227]
	v_fma_f64 v[2:3], v[246:247], v[2:3], -v[14:15]
	ds_read_b128 v[14:17], v124 offset:1408
	s_waitcnt vmcnt(34)
	v_mul_f64 v[80:81], v[70:71], v[188:189]
	s_waitcnt vmcnt(32)
	v_fmac_f64_e32 v[80:81], v[72:73], v[192:193]
	v_add_f64 v[6:7], v[6:7], v[80:81]
	s_waitcnt vmcnt(29)
	v_mul_f64 v[80:81], v[74:75], v[196:197]
	s_waitcnt vmcnt(27)
	v_fmac_f64_e32 v[80:81], v[76:77], v[216:217]
	v_add_f64 v[6:7], v[6:7], v[80:81]
	s_waitcnt vmcnt(25) lgkmcnt(0)
	v_mul_f64 v[80:81], v[14:15], v[184:185]
	s_waitcnt vmcnt(24)
	v_fmac_f64_e32 v[80:81], v[16:17], v[194:195]
	v_add_f64 v[6:7], v[6:7], v[80:81]
	v_mul_f64 v[80:81], v[252:253], v[110:111]
	v_fma_f64 v[100:101], v[250:251], v[112:113], -v[80:81]
	s_waitcnt vmcnt(22)
	v_mul_f64 v[80:81], v[82:83], v[218:219]
	s_waitcnt vmcnt(20)
	v_fmac_f64_e32 v[80:81], v[84:85], v[90:91]
	v_add_f64 v[6:7], v[6:7], v[80:81]
	v_fma_f64 v[252:253], v[118:119], v[78:79], -v[4:5]
	ds_read_b128 v[78:81], v124 offset:1456
	s_waitcnt vmcnt(17)
	v_mul_f64 v[4:5], v[86:87], v[200:201]
	s_waitcnt vmcnt(16)
	v_fmac_f64_e32 v[4:5], v[88:89], v[208:209]
	v_add_f64 v[4:5], v[6:7], v[4:5]
	v_mul_f64 v[6:7], v[224:225], v[106:107]
	ds_read_b128 v[224:227], v124 offset:1488
	ds_read_b128 v[102:105], v124 offset:1504
	buffer_load_dword v121, off, s[0:3], 0 offset:764
	buffer_load_dword v120, off, s[0:3], 0 offset:760
	;; [unrolled: 1-line block ×4, first 2 shown]
	v_fma_f64 v[222:223], v[222:223], v[108:109], -v[6:7]
	ds_read_b128 v[106:109], v124 offset:1520
	buffer_load_dword v240, off, s[0:3], 0 offset:776
	buffer_load_dword v241, off, s[0:3], 0 offset:780
	buffer_load_dword v242, off, s[0:3], 0 offset:768
	buffer_load_dword v243, off, s[0:3], 0 offset:772
	s_waitcnt vmcnt(21) lgkmcnt(3)
	v_mul_f64 v[6:7], v[78:79], v[210:211]
	s_waitcnt vmcnt(19)
	v_fmac_f64_e32 v[6:7], v[80:81], v[230:231]
	v_add_f64 v[4:5], v[4:5], v[6:7]
	s_waitcnt vmcnt(18)
	v_mul_f64 v[6:7], v[94:95], v[198:199]
	s_waitcnt vmcnt(16)
	v_fmac_f64_e32 v[6:7], v[96:97], v[228:229]
	v_add_f64 v[4:5], v[4:5], v[6:7]
	s_waitcnt vmcnt(14) lgkmcnt(2)
	v_mul_f64 v[6:7], v[224:225], v[212:213]
	s_waitcnt vmcnt(12)
	v_fmac_f64_e32 v[6:7], v[226:227], v[232:233]
	ds_read_b128 v[110:113], v124 offset:1536
	v_add_f64 v[4:5], v[4:5], v[6:7]
	s_waitcnt vmcnt(9) lgkmcnt(2)
	v_mul_f64 v[6:7], v[102:103], v[234:235]
	s_waitcnt vmcnt(8)
	v_fmac_f64_e32 v[6:7], v[104:105], v[236:237]
	v_add_f64 v[4:5], v[4:5], v[6:7]
	buffer_load_dword v245, off, s[0:3], 0 offset:796
	buffer_load_dword v244, off, s[0:3], 0 offset:792
	;; [unrolled: 1-line block ×4, first 2 shown]
	v_add_f64 v[0:1], v[8:9], v[0:1]
	v_add_f64 v[0:1], v[0:1], v[98:99]
	;; [unrolled: 1-line block ×3, first 2 shown]
	v_accvgpr_read_b32 v2, a148
	v_add_f64 v[206:207], v[0:1], v[100:101]
	v_accvgpr_read_b32 v3, a149
	v_accvgpr_read_b32 v8, a150
	v_add_f64 v[0:1], v[206:207], v[252:253]
	v_mul_f64 v[2:3], v[140:141], v[2:3]
	v_accvgpr_read_b32 v9, a151
	v_add_f64 v[0:1], v[0:1], v[222:223]
	v_fma_f64 v[2:3], v[138:139], v[8:9], -v[2:3]
	v_add_f64 v[0:1], v[0:1], v[2:3]
	v_accvgpr_read_b32 v2, a152
	v_accvgpr_read_b32 v3, a153
	v_accvgpr_read_b32 v8, a154
	v_mul_f64 v[2:3], v[136:137], v[2:3]
	v_accvgpr_read_b32 v9, a155
	v_fma_f64 v[2:3], v[134:135], v[8:9], -v[2:3]
	v_add_f64 v[0:1], v[0:1], v[2:3]
	v_mul_f64 v[2:3], v[132:133], v[144:145]
	v_fma_f64 v[2:3], v[130:131], v[148:149], -v[2:3]
	v_add_f64 v[0:1], v[0:1], v[2:3]
	v_accvgpr_read_b32 v2, a156
	v_accvgpr_read_b32 v3, a157
	v_accvgpr_read_b32 v8, a158
	v_mul_f64 v[2:3], v[128:129], v[2:3]
	v_accvgpr_read_b32 v9, a159
	v_fma_f64 v[2:3], v[126:127], v[8:9], -v[2:3]
	v_add_f64 v[0:1], v[0:1], v[2:3]
	v_mul_f64 v[2:3], v[20:21], v[152:153]
	;; [unrolled: 10-line block ×3, first 2 shown]
	v_fma_f64 v[2:3], v[26:27], v[162:163], -v[2:3]
	v_add_f64 v[0:1], v[0:1], v[2:3]
	v_accvgpr_read_b32 v2, a164
	v_accvgpr_read_b32 v3, a165
	v_mul_f64 v[2:3], v[32:33], v[2:3]
	v_fma_f64 v[2:3], v[30:31], v[214:215], -v[2:3]
	v_add_f64 v[0:1], v[0:1], v[2:3]
	v_mul_f64 v[2:3], v[36:37], v[164:165]
	v_fma_f64 v[2:3], v[34:35], v[166:167], -v[2:3]
	v_add_f64 v[0:1], v[0:1], v[2:3]
	;; [unrolled: 3-line block ×5, first 2 shown]
	s_waitcnt vmcnt(10) lgkmcnt(1)
	v_mul_f64 v[6:7], v[106:107], v[120:121]
	v_mul_f64 v[2:3], v[52:53], v[172:173]
	s_waitcnt vmcnt(8)
	v_fmac_f64_e32 v[6:7], v[108:109], v[238:239]
	v_add_f64 v[4:5], v[4:5], v[6:7]
	s_waitcnt vmcnt(6) lgkmcnt(0)
	v_mul_f64 v[6:7], v[110:111], v[240:241]
	s_waitcnt vmcnt(4)
	v_fmac_f64_e32 v[6:7], v[112:113], v[242:243]
	v_add_f64 v[118:119], v[4:5], v[6:7]
	ds_read_b128 v[4:7], v124 offset:1552
	buffer_load_dword v250, off, s[0:3], 0 offset:48
	buffer_load_dword v251, off, s[0:3], 0 offset:52
	;; [unrolled: 1-line block ×4, first 2 shown]
	v_fma_f64 v[2:3], v[50:51], v[174:175], -v[2:3]
	v_add_f64 v[0:1], v[0:1], v[2:3]
	v_mul_f64 v[2:3], v[56:57], v[154:155]
	v_fma_f64 v[2:3], v[54:55], v[158:159], -v[2:3]
	v_add_f64 v[0:1], v[0:1], v[2:3]
	v_mul_f64 v[2:3], v[60:61], v[176:177]
	v_fma_f64 v[2:3], v[58:59], v[180:181], -v[2:3]
	v_add_f64 v[0:1], v[0:1], v[2:3]
	v_mul_f64 v[2:3], v[64:65], v[178:179]
	v_fma_f64 v[2:3], v[62:63], v[182:183], -v[2:3]
	v_add_f64 v[0:1], v[0:1], v[2:3]
	v_mul_f64 v[2:3], v[68:69], v[186:187]
	v_fma_f64 v[2:3], v[66:67], v[190:191], -v[2:3]
	v_add_f64 v[0:1], v[0:1], v[2:3]
	v_mul_f64 v[2:3], v[72:73], v[188:189]
	v_fma_f64 v[2:3], v[70:71], v[192:193], -v[2:3]
	v_add_f64 v[0:1], v[0:1], v[2:3]
	v_mul_f64 v[2:3], v[76:77], v[196:197]
	v_fma_f64 v[2:3], v[74:75], v[216:217], -v[2:3]
	v_add_f64 v[0:1], v[0:1], v[2:3]
	v_mul_f64 v[2:3], v[16:17], v[184:185]
	v_fma_f64 v[2:3], v[14:15], v[194:195], -v[2:3]
	v_add_f64 v[0:1], v[0:1], v[2:3]
	v_mul_f64 v[2:3], v[84:85], v[218:219]
	v_fma_f64 v[2:3], v[82:83], v[90:91], -v[2:3]
	v_add_f64 v[0:1], v[0:1], v[2:3]
	v_mul_f64 v[2:3], v[88:89], v[200:201]
	v_fma_f64 v[2:3], v[86:87], v[208:209], -v[2:3]
	v_add_f64 v[0:1], v[0:1], v[2:3]
	v_mul_f64 v[2:3], v[80:81], v[210:211]
	v_fma_f64 v[2:3], v[78:79], v[230:231], -v[2:3]
	v_add_f64 v[0:1], v[0:1], v[2:3]
	v_mul_f64 v[2:3], v[96:97], v[198:199]
	v_fma_f64 v[2:3], v[94:95], v[228:229], -v[2:3]
	v_add_f64 v[0:1], v[0:1], v[2:3]
	v_mul_f64 v[2:3], v[226:227], v[212:213]
	v_fma_f64 v[2:3], v[224:225], v[232:233], -v[2:3]
	v_add_f64 v[0:1], v[0:1], v[2:3]
	v_mul_f64 v[2:3], v[104:105], v[234:235]
	v_fma_f64 v[2:3], v[102:103], v[236:237], -v[2:3]
	v_add_f64 v[0:1], v[0:1], v[2:3]
	v_mul_f64 v[2:3], v[108:109], v[120:121]
	v_fma_f64 v[2:3], v[106:107], v[238:239], -v[2:3]
	v_add_f64 v[0:1], v[0:1], v[2:3]
	v_mul_f64 v[2:3], v[112:113], v[240:241]
	v_fma_f64 v[2:3], v[110:111], v[242:243], -v[2:3]
	v_add_f64 v[0:1], v[0:1], v[2:3]
	s_waitcnt vmcnt(6) lgkmcnt(0)
	v_mul_f64 v[2:3], v[6:7], v[244:245]
	v_mul_f64 v[124:125], v[4:5], v[244:245]
	s_waitcnt vmcnt(4)
	v_fma_f64 v[2:3], v[4:5], v[246:247], -v[2:3]
	v_fmac_f64_e32 v[124:125], v[6:7], v[246:247]
	v_add_f64 v[0:1], v[0:1], v[2:3]
	v_add_f64 v[118:119], v[118:119], v[124:125]
	s_waitcnt vmcnt(2)
	v_add_f64 v[0:1], v[250:251], -v[0:1]
	s_waitcnt vmcnt(0)
	v_add_f64 v[2:3], v[248:249], -v[118:119]
	buffer_store_dword v1, off, s[0:3], 0 offset:52
	buffer_store_dword v0, off, s[0:3], 0 offset:48
	;; [unrolled: 1-line block ×4, first 2 shown]
	v_accvgpr_read_b32 v0, a146
	v_cmp_lt_u32_e32 vcc, 1, v0
	s_and_saveexec_b64 s[4:5], vcc
	s_cbranch_execz .LBB48_305
; %bb.304:
	v_accvgpr_read_b32 v0, a145
	buffer_load_dword v2, v0, s[0:3], 0 offen
	buffer_load_dword v3, v0, s[0:3], 0 offen offset:4
	buffer_load_dword v4, v0, s[0:3], 0 offen offset:8
	;; [unrolled: 1-line block ×3, first 2 shown]
	v_mov_b32_e32 v0, 0
	v_accvgpr_read_b32 v1, a147
	buffer_store_dword v0, off, s[0:3], 0 offset:32
	buffer_store_dword v0, off, s[0:3], 0 offset:36
	;; [unrolled: 1-line block ×4, first 2 shown]
	s_waitcnt vmcnt(4)
	ds_write_b128 v1, v[2:5]
.LBB48_305:
	s_or_b64 exec, exec, s[4:5]
	s_waitcnt lgkmcnt(0)
	; wave barrier
	s_waitcnt lgkmcnt(0)
	buffer_load_dword v48, off, s[0:3], 0 offset:48
	buffer_load_dword v49, off, s[0:3], 0 offset:52
	;; [unrolled: 1-line block ×42, first 2 shown]
	v_mov_b32_e32 v206, 0
	buffer_load_dword v99, off, s[0:3], 0 offset:196
	buffer_load_dword v98, off, s[0:3], 0 offset:192
	;; [unrolled: 1-line block ×7, first 2 shown]
	ds_read_b128 v[112:115], v206 offset:816
	ds_read_b128 v[116:119], v206 offset:832
	;; [unrolled: 1-line block ×11, first 2 shown]
	s_waitcnt vmcnt(45) lgkmcnt(10)
	v_mul_f64 v[0:1], v[112:113], v[52:53]
	v_fmac_f64_e32 v[0:1], v[114:115], v[48:49]
	v_add_f64 v[0:1], v[0:1], 0
	s_waitcnt vmcnt(41) lgkmcnt(9)
	v_mul_f64 v[2:3], v[116:117], v[54:55]
	v_fmac_f64_e32 v[2:3], v[118:119], v[50:51]
	s_waitcnt vmcnt(39) lgkmcnt(8)
	v_mul_f64 v[4:5], v[140:141], v[46:47]
	v_add_f64 v[0:1], v[0:1], v[2:3]
	s_waitcnt vmcnt(37) lgkmcnt(6)
	v_mul_f64 v[8:9], v[150:151], v[62:63]
	v_mul_f64 v[46:47], v[142:143], v[46:47]
	s_waitcnt vmcnt(35)
	v_fmac_f64_e32 v[8:9], v[152:153], v[56:57]
	s_waitcnt vmcnt(33)
	v_mul_f64 v[6:7], v[144:145], v[64:65]
	s_waitcnt vmcnt(31) lgkmcnt(4)
	v_mul_f64 v[12:13], v[160:161], v[66:67]
	s_waitcnt vmcnt(29)
	v_fmac_f64_e32 v[12:13], v[162:163], v[68:69]
	s_waitcnt vmcnt(27)
	v_mul_f64 v[10:11], v[156:157], v[70:71]
	s_waitcnt vmcnt(25) lgkmcnt(2)
	v_mul_f64 v[16:17], v[174:175], v[76:77]
	s_waitcnt vmcnt(22)
	v_mul_f64 v[14:15], v[164:165], v[78:79]
	s_waitcnt vmcnt(20) lgkmcnt(1)
	v_mul_f64 v[18:19], v[180:181], v[72:73]
	s_waitcnt vmcnt(18)
	v_fmac_f64_e32 v[4:5], v[142:143], v[90:91]
	v_add_f64 v[0:1], v[0:1], v[4:5]
	s_waitcnt vmcnt(16)
	v_fmac_f64_e32 v[6:7], v[146:147], v[88:89]
	v_add_f64 v[0:1], v[0:1], v[6:7]
	;; [unrolled: 3-line block ×3, first 2 shown]
	v_add_f64 v[0:1], v[0:1], v[10:11]
	s_waitcnt vmcnt(12)
	v_fmac_f64_e32 v[14:15], v[166:167], v[80:81]
	v_add_f64 v[0:1], v[0:1], v[12:13]
	s_waitcnt vmcnt(11)
	v_fmac_f64_e32 v[16:17], v[176:177], v[178:179]
	v_add_f64 v[0:1], v[0:1], v[14:15]
	v_add_f64 v[2:3], v[0:1], v[16:17]
	buffer_load_dword v96, off, s[0:3], 0 offset:232
	buffer_load_dword v205, off, s[0:3], 0 offset:228
	;; [unrolled: 1-line block ×21, first 2 shown]
	s_waitcnt vmcnt(26)
	v_fmac_f64_e32 v[18:19], v[182:183], v[98:99]
	v_add_f64 v[2:3], v[2:3], v[18:19]
	v_fma_f64 v[90:91], v[140:141], v[90:91], -v[46:47]
	v_mul_f64 v[46:47], v[146:147], v[64:65]
	s_waitcnt vmcnt(0)
	v_pk_mov_b32 v[8:9], v[4:5], v[4:5] op_sel:[0,1]
	buffer_load_dword v5, off, s[0:3], 0 offset:340
	buffer_load_dword v4, off, s[0:3], 0 offset:336
	v_accvgpr_write_b32 a149, v9
	v_accvgpr_write_b32 a148, v8
	s_waitcnt vmcnt(0)
	v_pk_mov_b32 v[12:13], v[4:5], v[4:5] op_sel:[0,1]
	buffer_load_dword v105, off, s[0:3], 0 offset:332
	buffer_load_dword v104, off, s[0:3], 0 offset:328
	buffer_load_dword v107, off, s[0:3], 0 offset:324
	buffer_load_dword v106, off, s[0:3], 0 offset:320
	buffer_load_dword v5, off, s[0:3], 0 offset:380
	buffer_load_dword v4, off, s[0:3], 0 offset:376
	v_accvgpr_write_b32 a151, v13
	v_accvgpr_write_b32 a150, v12
	s_waitcnt vmcnt(0)
	v_pk_mov_b32 v[16:17], v[4:5], v[4:5] op_sel:[0,1]
	buffer_load_dword v5, off, s[0:3], 0 offset:372
	buffer_load_dword v4, off, s[0:3], 0 offset:368
	v_accvgpr_write_b32 a153, v17
	v_accvgpr_write_b32 a152, v16
	s_waitcnt vmcnt(0)
	v_pk_mov_b32 v[22:23], v[4:5], v[4:5] op_sel:[0,1]
	buffer_load_dword v237, off, s[0:3], 0 offset:364
	buffer_load_dword v236, off, s[0:3], 0 offset:360
	buffer_load_dword v241, off, s[0:3], 0 offset:356
	buffer_load_dword v240, off, s[0:3], 0 offset:352
	buffer_load_dword v5, off, s[0:3], 0 offset:412
	buffer_load_dword v4, off, s[0:3], 0 offset:408
	v_accvgpr_write_b32 a155, v23
	v_accvgpr_write_b32 a154, v22
	;; [unrolled: 16-line block ×3, first 2 shown]
	s_waitcnt vmcnt(0)
	v_pk_mov_b32 v[36:37], v[4:5], v[4:5] op_sel:[0,1]
	buffer_load_dword v5, off, s[0:3], 0 offset:436
	buffer_load_dword v4, off, s[0:3], 0 offset:432
	;; [unrolled: 1-line block ×30, first 2 shown]
	ds_read_b128 v[184:187], v206 offset:992
	ds_read_b128 v[188:191], v206 offset:1008
	;; [unrolled: 1-line block ×12, first 2 shown]
	s_waitcnt lgkmcnt(4)
	v_mul_f64 v[10:11], v[216:217], v[8:9]
	v_fmac_f64_e32 v[10:11], v[218:219], v[12:13]
	s_waitcnt lgkmcnt(3)
	v_mul_f64 v[14:15], v[220:221], v[236:237]
	v_fmac_f64_e32 v[14:15], v[222:223], v[240:241]
	;; [unrolled: 3-line block ×5, first 2 shown]
	v_accvgpr_write_b32 a161, v37
	v_accvgpr_write_b32 a160, v36
	s_waitcnt vmcnt(28)
	v_accvgpr_write_b32 a163, v5
	v_accvgpr_write_b32 a162, v4
	s_waitcnt vmcnt(20)
	v_pk_mov_b32 v[44:45], v[6:7], v[6:7] op_sel:[0,1]
	v_mul_f64 v[6:7], v[58:59], v[84:85]
	v_fmac_f64_e32 v[6:7], v[60:61], v[86:87]
	v_add_f64 v[2:3], v[2:3], v[6:7]
	v_mul_f64 v[6:7], v[184:185], v[96:97]
	v_fmac_f64_e32 v[6:7], v[186:187], v[204:205]
	v_add_f64 v[2:3], v[2:3], v[6:7]
	;; [unrolled: 3-line block ×8, first 2 shown]
	v_add_f64 v[2:3], v[2:3], v[10:11]
	v_add_f64 v[2:3], v[2:3], v[14:15]
	;; [unrolled: 1-line block ×4, first 2 shown]
	ds_read_b128 v[22:25], v206 offset:1184
	v_add_f64 v[2:3], v[2:3], v[26:27]
	ds_read_b128 v[26:29], v206 offset:1200
	v_accvgpr_write_b32 a165, v45
	v_accvgpr_write_b32 a164, v44
	s_waitcnt lgkmcnt(1)
	v_mul_f64 v[30:31], v[22:23], v[252:253]
	v_fmac_f64_e32 v[30:31], v[24:25], v[254:255]
	s_waitcnt lgkmcnt(0)
	v_mul_f64 v[34:35], v[26:27], v[36:37]
	v_add_f64 v[2:3], v[2:3], v[30:31]
	ds_read_b128 v[30:33], v206 offset:1216
	v_fmac_f64_e32 v[34:35], v[28:29], v[4:5]
	v_add_f64 v[2:3], v[2:3], v[34:35]
	ds_read_b128 v[34:37], v206 offset:1232
	v_mul_f64 v[6:7], v[118:119], v[54:55]
	s_waitcnt vmcnt(18) lgkmcnt(1)
	v_mul_f64 v[38:39], v[30:31], v[120:121]
	s_waitcnt vmcnt(16)
	v_fmac_f64_e32 v[38:39], v[32:33], v[122:123]
	v_add_f64 v[2:3], v[2:3], v[38:39]
	s_waitcnt lgkmcnt(0)
	v_mul_f64 v[42:43], v[34:35], v[20:21]
	v_fmac_f64_e32 v[42:43], v[36:37], v[44:45]
	ds_read_b128 v[38:41], v206 offset:1248
	v_add_f64 v[2:3], v[2:3], v[42:43]
	ds_read_b128 v[42:45], v206 offset:1264
	buffer_load_dword v19, off, s[0:3], 0 offset:556
	buffer_load_dword v18, off, s[0:3], 0 offset:552
	;; [unrolled: 1-line block ×8, first 2 shown]
	v_mul_f64 v[4:5], v[114:115], v[52:53]
	v_fma_f64 v[12:13], v[112:113], v[48:49], -v[4:5]
	v_fma_f64 v[112:113], v[144:145], v[88:89], -v[46:47]
	buffer_load_dword v141, off, s[0:3], 0 offset:604
	buffer_load_dword v145, off, s[0:3], 0 offset:588
	;; [unrolled: 1-line block ×8, first 2 shown]
	v_mul_f64 v[46:47], v[152:153], v[62:63]
	v_fma_f64 v[114:115], v[150:151], v[56:57], -v[46:47]
	buffer_load_dword v142, off, s[0:3], 0 offset:632
	buffer_load_dword v153, off, s[0:3], 0 offset:620
	;; [unrolled: 1-line block ×8, first 2 shown]
	v_fma_f64 v[168:169], v[116:117], v[50:51], -v[6:7]
	v_mul_f64 v[50:51], v[158:159], v[70:71]
	ds_read_b128 v[46:49], v206 offset:1280
	v_fma_f64 v[116:117], v[156:157], v[82:83], -v[50:51]
	buffer_load_dword v157, off, s[0:3], 0 offset:652
	buffer_load_dword v156, off, s[0:3], 0 offset:648
	;; [unrolled: 1-line block ×4, first 2 shown]
	v_mul_f64 v[50:51], v[162:163], v[66:67]
	v_fma_f64 v[10:11], v[160:161], v[68:69], -v[50:51]
	buffer_load_dword v160, off, s[0:3], 0 offset:664
	buffer_load_dword v162, off, s[0:3], 0 offset:656
	;; [unrolled: 1-line block ×4, first 2 shown]
	v_mul_f64 v[50:51], v[166:167], v[78:79]
	v_fma_f64 v[8:9], v[164:165], v[80:81], -v[50:51]
	v_mul_f64 v[50:51], v[176:177], v[76:77]
	buffer_load_dword v167, off, s[0:3], 0 offset:684
	buffer_load_dword v166, off, s[0:3], 0 offset:680
	;; [unrolled: 1-line block ×8, first 2 shown]
	v_fma_f64 v[6:7], v[174:175], v[178:179], -v[50:51]
	buffer_load_dword v164, off, s[0:3], 0 offset:728
	buffer_load_dword v177, off, s[0:3], 0 offset:716
	buffer_load_dword v176, off, s[0:3], 0 offset:712
	buffer_load_dword v179, off, s[0:3], 0 offset:708
	buffer_load_dword v178, off, s[0:3], 0 offset:704
	buffer_load_dword v174, off, s[0:3], 0 offset:720
	buffer_load_dword v165, off, s[0:3], 0 offset:732
	buffer_load_dword v175, off, s[0:3], 0 offset:724
	s_waitcnt vmcnt(58) lgkmcnt(2)
	v_mul_f64 v[52:53], v[38:39], v[124:125]
	s_waitcnt vmcnt(56)
	v_fmac_f64_e32 v[52:53], v[40:41], v[126:127]
	v_mul_f64 v[50:51], v[182:183], v[72:73]
	v_add_f64 v[2:3], v[2:3], v[52:53]
	v_fma_f64 v[180:181], v[180:181], v[98:99], -v[50:51]
	ds_read_b128 v[50:53], v206 offset:1296
	s_waitcnt lgkmcnt(2)
	v_mul_f64 v[54:55], v[42:43], v[238:239]
	v_fmac_f64_e32 v[54:55], v[44:45], v[242:243]
	v_add_f64 v[2:3], v[2:3], v[54:55]
	s_waitcnt vmcnt(50) lgkmcnt(1)
	v_mul_f64 v[54:55], v[46:47], v[128:129]
	s_waitcnt vmcnt(48)
	v_fmac_f64_e32 v[54:55], v[48:49], v[130:131]
	v_mul_f64 v[60:61], v[60:61], v[84:85]
	v_add_f64 v[2:3], v[2:3], v[54:55]
	v_fma_f64 v[182:183], v[58:59], v[86:87], -v[60:61]
	ds_read_b128 v[58:61], v206 offset:1328
	s_waitcnt lgkmcnt(1)
	v_mul_f64 v[54:55], v[50:51], v[246:247]
	v_fmac_f64_e32 v[54:55], v[52:53], v[250:251]
	v_add_f64 v[2:3], v[2:3], v[54:55]
	ds_read_b128 v[54:57], v206 offset:1312
	v_mul_f64 v[70:71], v[190:191], v[92:93]
	v_fma_f64 v[92:93], v[188:189], v[94:95], -v[70:71]
	ds_read_b128 v[70:73], v206 offset:1376
	v_mul_f64 v[80:81], v[194:195], v[132:133]
	v_fma_f64 v[4:5], v[192:193], v[134:135], -v[80:81]
	;; [unrolled: 3-line block ×4, first 2 shown]
	v_mul_f64 v[94:95], v[210:211], v[100:101]
	v_mul_f64 v[98:99], v[214:215], v[104:105]
	v_fma_f64 v[202:203], v[212:213], v[106:107], -v[98:99]
	ds_read_b128 v[98:101], v206 offset:1488
	ds_read_b128 v[14:17], v206 offset:1456
	s_waitcnt vmcnt(46) lgkmcnt(5)
	v_mul_f64 v[62:63], v[54:55], v[18:19]
	s_waitcnt vmcnt(44)
	v_fmac_f64_e32 v[62:63], v[56:57], v[138:139]
	v_add_f64 v[2:3], v[2:3], v[62:63]
	v_mul_f64 v[62:63], v[186:187], v[96:97]
	v_fma_f64 v[204:205], v[184:185], v[204:205], -v[62:63]
	ds_read_b128 v[62:65], v206 offset:1344
	s_waitcnt vmcnt(41)
	v_mul_f64 v[66:67], v[58:59], v[118:119]
	s_waitcnt vmcnt(40)
	v_fmac_f64_e32 v[66:67], v[60:61], v[136:137]
	v_add_f64 v[2:3], v[2:3], v[66:67]
	ds_read_b128 v[66:69], v206 offset:1360
	s_waitcnt vmcnt(37) lgkmcnt(1)
	v_mul_f64 v[78:79], v[62:63], v[144:145]
	s_waitcnt vmcnt(35)
	v_fmac_f64_e32 v[78:79], v[64:65], v[146:147]
	v_add_f64 v[2:3], v[2:3], v[78:79]
	s_waitcnt vmcnt(34) lgkmcnt(0)
	v_mul_f64 v[78:79], v[66:67], v[140:141]
	s_waitcnt vmcnt(32)
	v_fmac_f64_e32 v[78:79], v[68:69], v[148:149]
	v_add_f64 v[2:3], v[2:3], v[78:79]
	s_waitcnt vmcnt(29)
	v_mul_f64 v[78:79], v[70:71], v[152:153]
	s_waitcnt vmcnt(27)
	v_fmac_f64_e32 v[78:79], v[72:73], v[154:155]
	v_add_f64 v[2:3], v[2:3], v[78:79]
	s_waitcnt vmcnt(25)
	v_mul_f64 v[78:79], v[132:133], v[142:143]
	s_waitcnt vmcnt(24)
	v_fmac_f64_e32 v[78:79], v[134:135], v[150:151]
	v_add_f64 v[2:3], v[2:3], v[78:79]
	ds_read_b128 v[78:81], v206 offset:1408
	s_waitcnt vmcnt(17)
	v_mul_f64 v[0:1], v[82:83], v[160:161]
	s_waitcnt vmcnt(16)
	v_fmac_f64_e32 v[0:1], v[84:85], v[162:163]
	s_waitcnt lgkmcnt(0)
	v_mul_f64 v[86:87], v[78:79], v[156:157]
	v_fmac_f64_e32 v[86:87], v[80:81], v[158:159]
	v_add_f64 v[2:3], v[2:3], v[86:87]
	ds_read_b128 v[86:89], v206 offset:1440
	v_add_f64 v[74:75], v[2:3], v[0:1]
	v_fma_f64 v[0:1], v[208:209], v[102:103], -v[94:95]
	ds_read_b128 v[94:97], v206 offset:1472
	s_waitcnt vmcnt(14) lgkmcnt(1)
	v_mul_f64 v[2:3], v[86:87], v[166:167]
	s_waitcnt vmcnt(12)
	v_fmac_f64_e32 v[2:3], v[88:89], v[170:171]
	v_add_f64 v[2:3], v[74:75], v[2:3]
	s_waitcnt vmcnt(10)
	v_mul_f64 v[74:75], v[14:15], v[76:77]
	s_waitcnt vmcnt(8)
	v_fmac_f64_e32 v[74:75], v[16:17], v[172:173]
	v_add_f64 v[2:3], v[2:3], v[74:75]
	s_waitcnt vmcnt(5) lgkmcnt(0)
	v_mul_f64 v[74:75], v[94:95], v[176:177]
	s_waitcnt vmcnt(3)
	v_fmac_f64_e32 v[74:75], v[96:97], v[178:179]
	v_add_f64 v[2:3], v[2:3], v[74:75]
	s_waitcnt vmcnt(1)
	v_mul_f64 v[74:75], v[98:99], v[164:165]
	s_waitcnt vmcnt(0)
	v_fmac_f64_e32 v[74:75], v[100:101], v[174:175]
	v_add_f64 v[2:3], v[2:3], v[74:75]
	buffer_load_dword v75, off, s[0:3], 0 offset:748
	buffer_load_dword v74, off, s[0:3], 0 offset:744
	;; [unrolled: 1-line block ×4, first 2 shown]
	ds_read_b128 v[102:105], v206 offset:1504
	buffer_load_dword v184, off, s[0:3], 0 offset:760
	buffer_load_dword v185, off, s[0:3], 0 offset:764
	;; [unrolled: 1-line block ×4, first 2 shown]
	s_waitcnt vmcnt(6) lgkmcnt(0)
	v_mul_f64 v[106:107], v[102:103], v[74:75]
	s_waitcnt vmcnt(4)
	v_fmac_f64_e32 v[106:107], v[104:105], v[110:111]
	v_add_f64 v[2:3], v[2:3], v[106:107]
	ds_read_b128 v[106:109], v206 offset:1520
	s_waitcnt vmcnt(2) lgkmcnt(0)
	v_mul_f64 v[188:189], v[106:107], v[184:185]
	s_waitcnt vmcnt(0)
	v_fmac_f64_e32 v[188:189], v[108:109], v[186:187]
	v_add_f64 v[2:3], v[2:3], v[188:189]
	buffer_load_dword v189, off, s[0:3], 0 offset:780
	buffer_load_dword v188, off, s[0:3], 0 offset:776
	;; [unrolled: 1-line block ×4, first 2 shown]
	ds_read_b128 v[208:211], v206 offset:1536
	buffer_load_dword v194, off, s[0:3], 0 offset:792
	buffer_load_dword v195, off, s[0:3], 0 offset:796
	;; [unrolled: 1-line block ×4, first 2 shown]
	ds_read_b128 v[212:215], v206 offset:1552
	s_waitcnt vmcnt(6) lgkmcnt(1)
	v_mul_f64 v[192:193], v[208:209], v[188:189]
	s_waitcnt vmcnt(4)
	v_fmac_f64_e32 v[192:193], v[210:211], v[190:191]
	v_add_f64 v[2:3], v[2:3], v[192:193]
	s_waitcnt vmcnt(2) lgkmcnt(0)
	v_mul_f64 v[192:193], v[212:213], v[194:195]
	s_waitcnt vmcnt(0)
	v_fmac_f64_e32 v[192:193], v[214:215], v[196:197]
	v_add_f64 v[192:193], v[2:3], v[192:193]
	v_add_f64 v[2:3], v[12:13], 0
	;; [unrolled: 1-line block ×17, first 2 shown]
	buffer_load_dword v200, off, s[0:3], 0 offset:32
	buffer_load_dword v201, off, s[0:3], 0 offset:36
	;; [unrolled: 1-line block ×4, first 2 shown]
	v_add_f64 v[204:205], v[2:3], v[0:1]
	v_accvgpr_read_b32 v2, a148
	v_accvgpr_read_b32 v3, a149
	;; [unrolled: 1-line block ×3, first 2 shown]
	v_mul_f64 v[2:3], v[218:219], v[2:3]
	v_accvgpr_read_b32 v5, a151
	v_add_f64 v[0:1], v[204:205], v[202:203]
	v_fma_f64 v[2:3], v[216:217], v[4:5], -v[2:3]
	v_add_f64 v[0:1], v[0:1], v[2:3]
	v_mul_f64 v[2:3], v[222:223], v[236:237]
	v_fma_f64 v[2:3], v[220:221], v[240:241], -v[2:3]
	v_add_f64 v[0:1], v[0:1], v[2:3]
	v_accvgpr_read_b32 v2, a152
	v_accvgpr_read_b32 v3, a153
	v_accvgpr_read_b32 v4, a154
	v_mul_f64 v[2:3], v[226:227], v[2:3]
	v_accvgpr_read_b32 v5, a155
	v_fma_f64 v[2:3], v[224:225], v[4:5], -v[2:3]
	v_add_f64 v[0:1], v[0:1], v[2:3]
	v_mul_f64 v[2:3], v[230:231], v[244:245]
	v_fma_f64 v[2:3], v[228:229], v[248:249], -v[2:3]
	v_add_f64 v[0:1], v[0:1], v[2:3]
	v_accvgpr_read_b32 v2, a156
	v_accvgpr_read_b32 v3, a157
	v_accvgpr_read_b32 v4, a158
	v_mul_f64 v[2:3], v[234:235], v[2:3]
	v_accvgpr_read_b32 v5, a159
	;; [unrolled: 10-line block ×3, first 2 shown]
	v_fma_f64 v[2:3], v[26:27], v[4:5], -v[2:3]
	v_add_f64 v[0:1], v[0:1], v[2:3]
	v_mul_f64 v[2:3], v[32:33], v[120:121]
	v_fma_f64 v[2:3], v[30:31], v[122:123], -v[2:3]
	v_accvgpr_read_b32 v4, a164
	v_add_f64 v[0:1], v[0:1], v[2:3]
	v_mul_f64 v[2:3], v[36:37], v[20:21]
	v_accvgpr_read_b32 v5, a165
	v_fma_f64 v[2:3], v[34:35], v[4:5], -v[2:3]
	v_add_f64 v[0:1], v[0:1], v[2:3]
	v_mul_f64 v[2:3], v[40:41], v[124:125]
	v_fma_f64 v[2:3], v[38:39], v[126:127], -v[2:3]
	v_add_f64 v[0:1], v[0:1], v[2:3]
	v_mul_f64 v[2:3], v[44:45], v[238:239]
	;; [unrolled: 3-line block ×20, first 2 shown]
	v_fma_f64 v[2:3], v[212:213], v[196:197], -v[2:3]
	v_add_f64 v[0:1], v[0:1], v[2:3]
	s_waitcnt vmcnt(2)
	v_add_f64 v[0:1], v[200:201], -v[0:1]
	s_waitcnt vmcnt(0)
	v_add_f64 v[2:3], v[198:199], -v[192:193]
	buffer_store_dword v1, off, s[0:3], 0 offset:36
	buffer_store_dword v0, off, s[0:3], 0 offset:32
	buffer_store_dword v3, off, s[0:3], 0 offset:44
	buffer_store_dword v2, off, s[0:3], 0 offset:40
	v_accvgpr_read_b32 v0, a146
	v_cmp_ne_u32_e32 vcc, 0, v0
	s_and_saveexec_b64 s[4:5], vcc
	s_cbranch_execz .LBB48_307
; %bb.306:
	buffer_load_dword v0, off, s[0:3], 0 offset:16
	buffer_load_dword v1, off, s[0:3], 0 offset:20
	;; [unrolled: 1-line block ×4, first 2 shown]
	v_accvgpr_read_b32 v4, a147
	buffer_store_dword v206, off, s[0:3], 0 offset:16
	buffer_store_dword v206, off, s[0:3], 0 offset:20
	;; [unrolled: 1-line block ×4, first 2 shown]
	s_waitcnt vmcnt(4)
	ds_write_b128 v4, v[0:3]
.LBB48_307:
	s_or_b64 exec, exec, s[4:5]
	s_waitcnt lgkmcnt(0)
	; wave barrier
	s_waitcnt lgkmcnt(0)
	buffer_load_dword v46, off, s[0:3], 0 offset:32
	buffer_load_dword v47, off, s[0:3], 0 offset:36
	;; [unrolled: 1-line block ×42, first 2 shown]
	ds_read_b128 v[110:113], v206 offset:800
	ds_read_b128 v[132:135], v206 offset:816
	;; [unrolled: 1-line block ×10, first 2 shown]
	buffer_load_dword v115, off, s[0:3], 0 offset:180
	buffer_load_dword v114, off, s[0:3], 0 offset:176
	ds_read_b128 v[48:51], v206 offset:960
	buffer_load_dword v91, off, s[0:3], 0 offset:236
	buffer_load_dword v90, off, s[0:3], 0 offset:232
	buffer_load_dword v93, off, s[0:3], 0 offset:228
	buffer_load_dword v92, off, s[0:3], 0 offset:224
	buffer_load_dword v95, off, s[0:3], 0 offset:220
	buffer_load_dword v94, off, s[0:3], 0 offset:216
	s_and_b64 vcc, exec, s[20:21]
	s_waitcnt vmcnt(46) lgkmcnt(10)
	v_mul_f64 v[0:1], v[110:111], v[56:57]
	v_fmac_f64_e32 v[0:1], v[112:113], v[46:47]
	v_add_f64 v[0:1], v[0:1], 0
	v_mul_f64 v[56:57], v[112:113], v[56:57]
	s_waitcnt vmcnt(42) lgkmcnt(9)
	v_mul_f64 v[2:3], v[132:133], v[44:45]
	v_fmac_f64_e32 v[2:3], v[134:135], v[40:41]
	s_waitcnt vmcnt(40) lgkmcnt(8)
	v_mul_f64 v[4:5], v[136:137], v[42:43]
	v_add_f64 v[0:1], v[0:1], v[2:3]
	s_waitcnt vmcnt(38) lgkmcnt(6)
	v_mul_f64 v[8:9], v[146:147], v[60:61]
	v_mul_f64 v[44:45], v[134:135], v[44:45]
	s_waitcnt vmcnt(36)
	v_fmac_f64_e32 v[8:9], v[148:149], v[58:59]
	v_fma_f64 v[172:173], v[132:133], v[40:41], -v[44:45]
	s_waitcnt vmcnt(34)
	v_mul_f64 v[6:7], v[142:143], v[62:63]
	v_mul_f64 v[40:41], v[138:139], v[42:43]
	s_waitcnt vmcnt(32) lgkmcnt(4)
	v_mul_f64 v[12:13], v[158:159], v[64:65]
	v_mul_f64 v[44:45], v[144:145], v[62:63]
	s_waitcnt vmcnt(30)
	v_fmac_f64_e32 v[12:13], v[160:161], v[66:67]
	s_waitcnt vmcnt(28)
	v_mul_f64 v[10:11], v[154:155], v[68:69]
	s_waitcnt vmcnt(26) lgkmcnt(2)
	v_mul_f64 v[16:17], v[166:167], v[170:171]
	s_waitcnt vmcnt(23)
	v_mul_f64 v[14:15], v[162:163], v[76:77]
	s_waitcnt vmcnt(21) lgkmcnt(1)
	v_mul_f64 v[18:19], v[52:53], v[70:71]
	s_waitcnt vmcnt(19)
	v_fmac_f64_e32 v[4:5], v[138:139], v[84:85]
	v_add_f64 v[0:1], v[0:1], v[4:5]
	s_waitcnt vmcnt(17)
	v_fmac_f64_e32 v[6:7], v[144:145], v[82:83]
	v_add_f64 v[0:1], v[0:1], v[6:7]
	;; [unrolled: 3-line block ×3, first 2 shown]
	v_add_f64 v[0:1], v[0:1], v[10:11]
	s_waitcnt vmcnt(13)
	v_fmac_f64_e32 v[14:15], v[164:165], v[78:79]
	v_add_f64 v[0:1], v[0:1], v[12:13]
	s_waitcnt vmcnt(12)
	v_fmac_f64_e32 v[16:17], v[168:169], v[74:75]
	v_add_f64 v[0:1], v[0:1], v[14:15]
	v_add_f64 v[4:5], v[0:1], v[16:17]
	buffer_load_dword v119, off, s[0:3], 0 offset:212
	buffer_load_dword v118, off, s[0:3], 0 offset:208
	;; [unrolled: 1-line block ×28, first 2 shown]
	s_waitcnt vmcnt(34)
	v_fmac_f64_e32 v[18:19], v[54:55], v[114:115]
	v_add_f64 v[4:5], v[4:5], v[18:19]
	v_fma_f64 v[84:85], v[136:137], v[84:85], -v[40:41]
	s_waitcnt vmcnt(0)
	v_pk_mov_b32 v[16:17], v[6:7], v[6:7] op_sel:[0,1]
	buffer_load_dword v7, off, s[0:3], 0 offset:356
	buffer_load_dword v6, off, s[0:3], 0 offset:352
	v_accvgpr_write_b32 a149, v17
	v_accvgpr_write_b32 a148, v16
	s_waitcnt vmcnt(0)
	v_pk_mov_b32 v[20:21], v[6:7], v[6:7] op_sel:[0,1]
	buffer_load_dword v7, off, s[0:3], 0 offset:348
	buffer_load_dword v6, off, s[0:3], 0 offset:344
	v_accvgpr_write_b32 a151, v21
	v_accvgpr_write_b32 a150, v20
	s_waitcnt vmcnt(0)
	v_pk_mov_b32 v[12:13], v[6:7], v[6:7] op_sel:[0,1]
	buffer_load_dword v235, off, s[0:3], 0 offset:340
	buffer_load_dword v234, off, s[0:3], 0 offset:336
	buffer_load_dword v7, off, s[0:3], 0 offset:396
	buffer_load_dword v6, off, s[0:3], 0 offset:392
	v_accvgpr_write_b32 a147, v13
	v_accvgpr_write_b32 a146, v12
	s_waitcnt vmcnt(0)
	v_pk_mov_b32 v[24:25], v[6:7], v[6:7] op_sel:[0,1]
	buffer_load_dword v7, off, s[0:3], 0 offset:388
	buffer_load_dword v6, off, s[0:3], 0 offset:384
	v_accvgpr_write_b32 a153, v25
	v_accvgpr_write_b32 a152, v24
	s_waitcnt vmcnt(0)
	v_pk_mov_b32 v[26:27], v[6:7], v[6:7] op_sel:[0,1]
	buffer_load_dword v239, off, s[0:3], 0 offset:380
	buffer_load_dword v238, off, s[0:3], 0 offset:376
	buffer_load_dword v243, off, s[0:3], 0 offset:372
	buffer_load_dword v242, off, s[0:3], 0 offset:368
	buffer_load_dword v7, off, s[0:3], 0 offset:428
	buffer_load_dword v6, off, s[0:3], 0 offset:424
	v_accvgpr_write_b32 a155, v27
	v_accvgpr_write_b32 a154, v26
	s_waitcnt vmcnt(0)
	v_pk_mov_b32 v[32:33], v[6:7], v[6:7] op_sel:[0,1]
	buffer_load_dword v7, off, s[0:3], 0 offset:420
	buffer_load_dword v6, off, s[0:3], 0 offset:416
	v_accvgpr_write_b32 a157, v33
	v_accvgpr_write_b32 a156, v32
	s_waitcnt vmcnt(0)
	v_pk_mov_b32 v[34:35], v[6:7], v[6:7] op_sel:[0,1]
	buffer_load_dword v247, off, s[0:3], 0 offset:412
	buffer_load_dword v246, off, s[0:3], 0 offset:408
	;; [unrolled: 16-line block ×3, first 2 shown]
	buffer_load_dword v253, off, s[0:3], 0 offset:436
	buffer_load_dword v252, off, s[0:3], 0 offset:432
	;; [unrolled: 1-line block ×18, first 2 shown]
	ds_read_b128 v[178:181], v206 offset:976
	ds_read_b128 v[182:185], v206 offset:992
	;; [unrolled: 1-line block ×13, first 2 shown]
	s_waitcnt lgkmcnt(4)
	v_mul_f64 v[10:11], v[228:229], v[12:13]
	v_fmac_f64_e32 v[10:11], v[230:231], v[234:235]
	s_waitcnt lgkmcnt(3)
	v_mul_f64 v[14:15], v[224:225], v[16:17]
	v_fmac_f64_e32 v[14:15], v[226:227], v[20:21]
	;; [unrolled: 3-line block ×4, first 2 shown]
	v_accvgpr_write_b32 a163, v39
	v_accvgpr_write_b32 a162, v38
	s_waitcnt vmcnt(14)
	v_pk_mov_b32 v[150:151], v[6:7], v[6:7] op_sel:[0,1]
	v_mul_f64 v[6:7], v[48:49], v[86:87]
	v_fmac_f64_e32 v[6:7], v[50:51], v[88:89]
	v_add_f64 v[4:5], v[4:5], v[6:7]
	v_mul_f64 v[6:7], v[178:179], v[94:95]
	v_fmac_f64_e32 v[6:7], v[180:181], v[118:119]
	v_add_f64 v[4:5], v[4:5], v[6:7]
	;; [unrolled: 3-line block ×9, first 2 shown]
	v_add_f64 v[12:13], v[8:9], v[10:11]
	v_add_f64 v[16:17], v[12:13], v[14:15]
	;; [unrolled: 1-line block ×4, first 2 shown]
	ds_read_b128 v[20:23], v206 offset:1184
	s_waitcnt lgkmcnt(1)
	v_mul_f64 v[26:27], v[120:121], v[246:247]
	v_fmac_f64_e32 v[26:27], v[122:123], v[248:249]
	v_add_f64 v[28:29], v[24:25], v[26:27]
	ds_read_b128 v[24:27], v206 offset:1200
	s_waitcnt lgkmcnt(1)
	v_mul_f64 v[30:31], v[20:21], v[32:33]
	v_fmac_f64_e32 v[30:31], v[22:23], v[34:35]
	v_add_f64 v[32:33], v[28:29], v[30:31]
	;; [unrolled: 5-line block ×3, first 2 shown]
	ds_read_b128 v[32:35], v206 offset:1232
	s_waitcnt lgkmcnt(1)
	v_mul_f64 v[128:129], v[28:29], v[36:37]
	v_fmac_f64_e32 v[128:129], v[30:31], v[38:39]
	ds_read_b128 v[36:39], v206 offset:1248
	v_add_f64 v[126:127], v[126:127], v[128:129]
	s_waitcnt vmcnt(10) lgkmcnt(1)
	v_mul_f64 v[128:129], v[32:33], v[254:255]
	s_waitcnt vmcnt(8)
	v_fmac_f64_e32 v[128:129], v[34:35], v[232:233]
	v_add_f64 v[130:131], v[126:127], v[128:129]
	buffer_load_dword v127, off, s[0:3], 0 offset:540
	buffer_load_dword v126, off, s[0:3], 0 offset:536
	;; [unrolled: 1-line block ×4, first 2 shown]
	s_waitcnt lgkmcnt(0)
	v_mul_f64 v[140:141], v[36:37], v[150:151]
	v_fmac_f64_e32 v[140:141], v[38:39], v[236:237]
	v_add_f64 v[6:7], v[130:131], v[140:141]
	buffer_load_dword v130, off, s[0:3], 0 offset:552
	buffer_load_dword v134, off, s[0:3], 0 offset:544
	;; [unrolled: 1-line block ×12, first 2 shown]
	v_fma_f64 v[16:17], v[110:111], v[46:47], -v[56:57]
	ds_read_b128 v[40:43], v206 offset:1264
	v_fma_f64 v[110:111], v[142:143], v[82:83], -v[44:45]
	v_mul_f64 v[44:45], v[148:149], v[60:61]
	buffer_load_dword v143, off, s[0:3], 0 offset:604
	buffer_load_dword v142, off, s[0:3], 0 offset:600
	;; [unrolled: 1-line block ×4, first 2 shown]
	v_fma_f64 v[12:13], v[146:147], v[58:59], -v[44:45]
	buffer_load_dword v146, off, s[0:3], 0 offset:616
	v_accvgpr_write_b32 a165, v151
	v_accvgpr_write_b32 a164, v150
	buffer_load_dword v148, off, s[0:3], 0 offset:608
	buffer_load_dword v147, off, s[0:3], 0 offset:620
	;; [unrolled: 1-line block ×7, first 2 shown]
	v_mul_f64 v[44:45], v[160:161], v[64:65]
	v_mul_f64 v[10:11], v[156:157], v[68:69]
	v_fma_f64 v[8:9], v[158:159], v[66:67], -v[44:45]
	buffer_load_dword v156, off, s[0:3], 0 offset:648
	buffer_load_dword v158, off, s[0:3], 0 offset:640
	;; [unrolled: 1-line block ×4, first 2 shown]
	v_mul_f64 v[14:15], v[164:165], v[76:77]
	v_fma_f64 v[10:11], v[154:155], v[80:81], -v[10:11]
	v_fma_f64 v[14:15], v[162:163], v[78:79], -v[14:15]
	buffer_load_dword v155, off, s[0:3], 0 offset:684
	buffer_load_dword v161, off, s[0:3], 0 offset:668
	;; [unrolled: 1-line block ×8, first 2 shown]
	v_mul_f64 v[44:45], v[168:169], v[170:171]
	v_fma_f64 v[4:5], v[166:167], v[74:75], -v[44:45]
	buffer_load_dword v167, off, s[0:3], 0 offset:700
	buffer_load_dword v166, off, s[0:3], 0 offset:696
	;; [unrolled: 1-line block ×4, first 2 shown]
	ds_read_b128 v[44:47], v206 offset:1280
	buffer_load_dword v170, off, s[0:3], 0 offset:712
	buffer_load_dword v74, off, s[0:3], 0 offset:704
	buffer_load_dword v171, off, s[0:3], 0 offset:716
	buffer_load_dword v75, off, s[0:3], 0 offset:708
	buffer_load_dword v175, off, s[0:3], 0 offset:732
	buffer_load_dword v174, off, s[0:3], 0 offset:728
	buffer_load_dword v177, off, s[0:3], 0 offset:724
	buffer_load_dword v176, off, s[0:3], 0 offset:720
	v_mul_f64 v[50:51], v[50:51], v[86:87]
	v_fma_f64 v[86:87], v[48:49], v[88:89], -v[50:51]
	ds_read_b128 v[48:51], v206 offset:1296
	s_waitcnt vmcnt(54) lgkmcnt(2)
	v_mul_f64 v[56:57], v[40:41], v[116:117]
	v_mul_f64 v[18:19], v[54:55], v[70:71]
	s_waitcnt vmcnt(52)
	v_fmac_f64_e32 v[56:57], v[42:43], v[124:125]
	v_fma_f64 v[18:19], v[52:53], v[114:115], -v[18:19]
	s_waitcnt lgkmcnt(1)
	v_mul_f64 v[52:53], v[44:45], v[240:241]
	v_add_f64 v[6:7], v[6:7], v[56:57]
	v_fmac_f64_e32 v[52:53], v[46:47], v[244:245]
	v_mul_f64 v[56:57], v[180:181], v[94:95]
	v_add_f64 v[6:7], v[6:7], v[52:53]
	v_fma_f64 v[118:119], v[178:179], v[118:119], -v[56:57]
	ds_read_b128 v[56:59], v206 offset:1328
	v_mul_f64 v[60:61], v[184:185], v[90:91]
	v_fma_f64 v[178:179], v[182:183], v[92:93], -v[60:61]
	v_mul_f64 v[68:69], v[188:189], v[214:215]
	v_fma_f64 v[0:1], v[186:187], v[0:1], -v[68:69]
	;; [unrolled: 2-line block ×3, first 2 shown]
	ds_read_b128 v[212:215], v206 offset:1392
	ds_read_b128 v[80:83], v206 offset:1424
	;; [unrolled: 1-line block ×3, first 2 shown]
	v_mul_f64 v[88:89], v[200:201], v[100:101]
	v_mul_f64 v[2:3], v[196:197], v[2:3]
	v_fma_f64 v[190:191], v[198:199], v[104:105], -v[88:89]
	v_fma_f64 v[2:3], v[194:195], v[72:73], -v[2:3]
	ds_read_b128 v[88:91], v206 offset:1456
	ds_read_b128 v[92:95], v206 offset:1472
	v_add_f64 v[16:17], v[16:17], 0
	v_add_f64 v[16:17], v[16:17], v[172:173]
	;; [unrolled: 1-line block ×4, first 2 shown]
	ds_read_b128 v[68:71], v206 offset:1376
	v_add_f64 v[12:13], v[16:17], v[12:13]
	v_add_f64 v[10:11], v[12:13], v[10:11]
	;; [unrolled: 1-line block ×10, first 2 shown]
	ds_read_b128 v[196:199], v206 offset:1440
	v_add_f64 v[0:1], v[0:1], v[108:109]
	v_add_f64 v[0:1], v[0:1], v[2:3]
	v_accvgpr_read_b32 v8, a146
	s_waitcnt vmcnt(50) lgkmcnt(8)
	v_mul_f64 v[52:53], v[48:49], v[126:127]
	v_accvgpr_read_b32 v9, a147
	s_waitcnt vmcnt(48)
	v_fmac_f64_e32 v[52:53], v[50:51], v[128:129]
	v_add_f64 v[6:7], v[6:7], v[52:53]
	ds_read_b128 v[52:55], v206 offset:1312
	v_mul_f64 v[8:9], v[230:231], v[8:9]
	v_fma_f64 v[8:9], v[228:229], v[234:235], -v[8:9]
	v_accvgpr_read_b32 v10, a150
	v_accvgpr_read_b32 v11, a151
	s_waitcnt vmcnt(45) lgkmcnt(0)
	v_mul_f64 v[64:65], v[52:53], v[130:131]
	s_waitcnt vmcnt(44)
	v_fmac_f64_e32 v[64:65], v[54:55], v[134:135]
	v_add_f64 v[6:7], v[6:7], v[64:65]
	s_waitcnt vmcnt(41)
	v_mul_f64 v[64:65], v[56:57], v[136:137]
	s_waitcnt vmcnt(39)
	v_fmac_f64_e32 v[64:65], v[58:59], v[140:141]
	v_add_f64 v[6:7], v[6:7], v[64:65]
	s_waitcnt vmcnt(38)
	v_mul_f64 v[64:65], v[60:61], v[132:133]
	s_waitcnt vmcnt(36)
	v_fmac_f64_e32 v[64:65], v[62:63], v[138:139]
	v_add_f64 v[6:7], v[6:7], v[64:65]
	ds_read_b128 v[64:67], v206 offset:1360
	s_waitcnt vmcnt(34) lgkmcnt(0)
	v_mul_f64 v[76:77], v[64:65], v[142:143]
	s_waitcnt vmcnt(32)
	v_fmac_f64_e32 v[76:77], v[66:67], v[144:145]
	v_add_f64 v[6:7], v[6:7], v[76:77]
	s_waitcnt vmcnt(29)
	v_mul_f64 v[76:77], v[68:69], v[146:147]
	s_waitcnt vmcnt(28)
	v_fmac_f64_e32 v[76:77], v[70:71], v[148:149]
	v_add_f64 v[6:7], v[6:7], v[76:77]
	s_waitcnt vmcnt(26)
	v_mul_f64 v[76:77], v[212:213], v[150:151]
	s_waitcnt vmcnt(24)
	v_fmac_f64_e32 v[76:77], v[214:215], v[152:153]
	v_add_f64 v[6:7], v[6:7], v[76:77]
	ds_read_b128 v[76:79], v206 offset:1408
	s_waitcnt vmcnt(21) lgkmcnt(0)
	v_mul_f64 v[72:73], v[76:77], v[156:157]
	s_waitcnt vmcnt(20)
	v_fmac_f64_e32 v[72:73], v[78:79], v[158:159]
	v_add_f64 v[6:7], v[6:7], v[72:73]
	s_waitcnt vmcnt(17)
	v_mul_f64 v[72:73], v[80:81], v[160:161]
	s_waitcnt vmcnt(15)
	v_fmac_f64_e32 v[72:73], v[82:83], v[164:165]
	v_add_f64 v[6:7], v[6:7], v[72:73]
	s_waitcnt vmcnt(14)
	v_mul_f64 v[72:73], v[196:197], v[154:155]
	s_waitcnt vmcnt(12)
	v_fmac_f64_e32 v[72:73], v[198:199], v[162:163]
	v_add_f64 v[6:7], v[6:7], v[72:73]
	v_mul_f64 v[72:73], v[204:205], v[102:103]
	v_fma_f64 v[200:201], v[202:203], v[106:107], -v[72:73]
	s_waitcnt vmcnt(10)
	v_mul_f64 v[72:73], v[88:89], v[166:167]
	s_waitcnt vmcnt(8)
	v_fmac_f64_e32 v[72:73], v[90:91], v[168:169]
	v_add_f64 v[6:7], v[6:7], v[72:73]
	v_mul_f64 v[72:73], v[210:211], v[96:97]
	v_fma_f64 v[202:203], v[208:209], v[98:99], -v[72:73]
	s_waitcnt vmcnt(5)
	v_mul_f64 v[72:73], v[92:93], v[170:171]
	s_waitcnt vmcnt(4)
	v_fmac_f64_e32 v[72:73], v[94:95], v[74:75]
	v_add_f64 v[72:73], v[6:7], v[72:73]
	buffer_load_dword v6, off, s[0:3], 0 offset:744
	ds_read_b128 v[96:99], v206 offset:1488
	buffer_load_dword v180, off, s[0:3], 0 offset:736
	buffer_load_dword v7, off, s[0:3], 0 offset:748
	;; [unrolled: 1-line block ×3, first 2 shown]
	s_waitcnt vmcnt(6) lgkmcnt(0)
	v_mul_f64 v[100:101], v[96:97], v[174:175]
	s_waitcnt vmcnt(4)
	v_fmac_f64_e32 v[100:101], v[98:99], v[176:177]
	v_add_f64 v[72:73], v[72:73], v[100:101]
	ds_read_b128 v[100:103], v206 offset:1504
	buffer_load_dword v183, off, s[0:3], 0 offset:764
	buffer_load_dword v182, off, s[0:3], 0 offset:760
	;; [unrolled: 1-line block ×4, first 2 shown]
	s_waitcnt vmcnt(5) lgkmcnt(0)
	v_mul_f64 v[104:105], v[100:101], v[6:7]
	s_waitcnt vmcnt(4)
	v_fmac_f64_e32 v[104:105], v[102:103], v[180:181]
	v_add_f64 v[72:73], v[72:73], v[104:105]
	ds_read_b128 v[104:107], v206 offset:1520
	buffer_load_dword v186, off, s[0:3], 0 offset:776
	buffer_load_dword v187, off, s[0:3], 0 offset:780
	;; [unrolled: 1-line block ×4, first 2 shown]
	ds_read_b128 v[208:211], v206 offset:1536
	buffer_load_dword v193, off, s[0:3], 0 offset:796
	buffer_load_dword v192, off, s[0:3], 0 offset:792
	;; [unrolled: 1-line block ×4, first 2 shown]
	v_mul_f64 v[6:7], v[102:103], v[6:7]
	s_waitcnt vmcnt(10) lgkmcnt(1)
	v_mul_f64 v[112:113], v[104:105], v[182:183]
	s_waitcnt vmcnt(8)
	v_fmac_f64_e32 v[112:113], v[106:107], v[184:185]
	v_add_f64 v[72:73], v[72:73], v[112:113]
	v_fma_f64 v[6:7], v[100:101], v[180:181], -v[6:7]
	s_waitcnt vmcnt(6) lgkmcnt(0)
	v_mul_f64 v[112:113], v[208:209], v[186:187]
	s_waitcnt vmcnt(4)
	v_fmac_f64_e32 v[112:113], v[210:211], v[188:189]
	v_add_f64 v[72:73], v[72:73], v[112:113]
	ds_read_b128 v[112:115], v206 offset:1552
	buffer_load_dword v2, off, s[0:3], 0 offset:16
	buffer_load_dword v3, off, s[0:3], 0 offset:20
	s_waitcnt vmcnt(4) lgkmcnt(0)
	v_mul_f64 v[204:205], v[112:113], v[192:193]
	s_waitcnt vmcnt(2)
	v_fmac_f64_e32 v[204:205], v[114:115], v[194:195]
	v_add_f64 v[72:73], v[72:73], v[204:205]
	v_add_f64 v[204:205], v[0:1], v[190:191]
	buffer_load_dword v0, off, s[0:3], 0 offset:24
	buffer_load_dword v1, off, s[0:3], 0 offset:28
	v_add_f64 v[4:5], v[204:205], v[200:201]
	v_add_f64 v[4:5], v[4:5], v[202:203]
	;; [unrolled: 1-line block ×3, first 2 shown]
	v_accvgpr_read_b32 v8, a148
	v_accvgpr_read_b32 v9, a149
	v_mul_f64 v[8:9], v[226:227], v[8:9]
	v_fma_f64 v[8:9], v[224:225], v[10:11], -v[8:9]
	v_add_f64 v[4:5], v[4:5], v[8:9]
	v_mul_f64 v[8:9], v[222:223], v[238:239]
	v_fma_f64 v[8:9], v[220:221], v[242:243], -v[8:9]
	v_add_f64 v[4:5], v[4:5], v[8:9]
	v_accvgpr_read_b32 v8, a152
	v_accvgpr_read_b32 v9, a153
	v_accvgpr_read_b32 v10, a154
	v_mul_f64 v[8:9], v[218:219], v[8:9]
	v_accvgpr_read_b32 v11, a155
	v_fma_f64 v[8:9], v[216:217], v[10:11], -v[8:9]
	v_add_f64 v[4:5], v[4:5], v[8:9]
	v_mul_f64 v[8:9], v[122:123], v[246:247]
	v_fma_f64 v[8:9], v[120:121], v[248:249], -v[8:9]
	v_add_f64 v[4:5], v[4:5], v[8:9]
	v_accvgpr_read_b32 v8, a156
	v_accvgpr_read_b32 v9, a157
	v_accvgpr_read_b32 v10, a158
	v_mul_f64 v[8:9], v[22:23], v[8:9]
	v_accvgpr_read_b32 v11, a159
	;; [unrolled: 10-line block ×3, first 2 shown]
	v_fma_f64 v[8:9], v[28:29], v[10:11], -v[8:9]
	v_add_f64 v[4:5], v[4:5], v[8:9]
	v_mul_f64 v[8:9], v[34:35], v[254:255]
	v_fma_f64 v[8:9], v[32:33], v[232:233], -v[8:9]
	v_add_f64 v[4:5], v[4:5], v[8:9]
	v_accvgpr_read_b32 v8, a164
	v_accvgpr_read_b32 v9, a165
	v_mul_f64 v[8:9], v[38:39], v[8:9]
	v_fma_f64 v[8:9], v[36:37], v[236:237], -v[8:9]
	v_add_f64 v[4:5], v[4:5], v[8:9]
	v_mul_f64 v[8:9], v[42:43], v[116:117]
	v_fma_f64 v[8:9], v[40:41], v[124:125], -v[8:9]
	v_add_f64 v[4:5], v[4:5], v[8:9]
	;; [unrolled: 3-line block ×16, first 2 shown]
	v_add_f64 v[4:5], v[4:5], v[6:7]
	v_mul_f64 v[6:7], v[106:107], v[182:183]
	v_fma_f64 v[6:7], v[104:105], v[184:185], -v[6:7]
	v_add_f64 v[4:5], v[4:5], v[6:7]
	v_mul_f64 v[6:7], v[210:211], v[186:187]
	v_fma_f64 v[6:7], v[208:209], v[188:189], -v[6:7]
	;; [unrolled: 3-line block ×3, first 2 shown]
	v_add_f64 v[4:5], v[4:5], v[6:7]
	s_waitcnt vmcnt(2)
	v_add_f64 v[2:3], v[2:3], -v[4:5]
	s_waitcnt vmcnt(0)
	v_add_f64 v[0:1], v[0:1], -v[72:73]
	buffer_store_dword v3, off, s[0:3], 0 offset:20
	buffer_store_dword v2, off, s[0:3], 0 offset:16
	;; [unrolled: 1-line block ×4, first 2 shown]
	s_cbranch_vccz .LBB48_405
; %bb.308:
	v_pk_mov_b32 v[0:1], s[10:11], s[10:11] op_sel:[0,1]
	flat_load_dword v0, v[0:1] offset:188
	s_waitcnt vmcnt(0) lgkmcnt(0)
	v_add_u32_e32 v0, -1, v0
	v_cmp_ne_u32_e32 vcc, 47, v0
	s_and_saveexec_b64 s[4:5], vcc
	s_cbranch_execz .LBB48_310
; %bb.309:
	v_mov_b32_e32 v1, 16
	v_accvgpr_read_b32 v9, a99
	v_lshl_add_u32 v0, v0, 4, v1
	buffer_load_dword v1, v9, s[0:3], 0 offen offset:4
	buffer_load_dword v2, v9, s[0:3], 0 offen offset:8
	buffer_load_dword v3, v9, s[0:3], 0 offen offset:12
	buffer_load_dword v4, v0, s[0:3], 0 offen
	buffer_load_dword v5, v0, s[0:3], 0 offen offset:4
	buffer_load_dword v6, v0, s[0:3], 0 offen offset:8
	buffer_load_dword v7, v0, s[0:3], 0 offen offset:12
	buffer_load_dword v8, v9, s[0:3], 0 offen
	s_waitcnt vmcnt(4)
	buffer_store_dword v4, v9, s[0:3], 0 offen
	s_waitcnt vmcnt(4)
	buffer_store_dword v5, v9, s[0:3], 0 offen offset:4
	s_waitcnt vmcnt(4)
	buffer_store_dword v6, v9, s[0:3], 0 offen offset:8
	s_waitcnt vmcnt(4)
	buffer_store_dword v7, v9, s[0:3], 0 offen offset:12
	buffer_store_dword v3, v0, s[0:3], 0 offen offset:12
	buffer_store_dword v2, v0, s[0:3], 0 offen offset:8
	buffer_store_dword v1, v0, s[0:3], 0 offen offset:4
	s_waitcnt vmcnt(7)
	buffer_store_dword v8, v0, s[0:3], 0 offen
.LBB48_310:
	s_or_b64 exec, exec, s[4:5]
	v_pk_mov_b32 v[0:1], s[10:11], s[10:11] op_sel:[0,1]
	flat_load_dword v0, v[0:1] offset:184
	s_waitcnt vmcnt(0) lgkmcnt(0)
	v_add_u32_e32 v0, -1, v0
	v_cmp_ne_u32_e32 vcc, 46, v0
	s_and_saveexec_b64 s[4:5], vcc
	s_cbranch_execz .LBB48_312
; %bb.311:
	v_mov_b32_e32 v1, 16
	v_accvgpr_read_b32 v9, a100
	v_lshl_add_u32 v0, v0, 4, v1
	buffer_load_dword v1, v9, s[0:3], 0 offen offset:4
	buffer_load_dword v2, v9, s[0:3], 0 offen offset:8
	buffer_load_dword v3, v9, s[0:3], 0 offen offset:12
	buffer_load_dword v4, v0, s[0:3], 0 offen
	buffer_load_dword v5, v0, s[0:3], 0 offen offset:4
	buffer_load_dword v6, v0, s[0:3], 0 offen offset:8
	buffer_load_dword v7, v0, s[0:3], 0 offen offset:12
	buffer_load_dword v8, v9, s[0:3], 0 offen
	s_waitcnt vmcnt(4)
	buffer_store_dword v4, v9, s[0:3], 0 offen
	s_waitcnt vmcnt(4)
	buffer_store_dword v5, v9, s[0:3], 0 offen offset:4
	s_waitcnt vmcnt(4)
	buffer_store_dword v6, v9, s[0:3], 0 offen offset:8
	s_waitcnt vmcnt(4)
	buffer_store_dword v7, v9, s[0:3], 0 offen offset:12
	buffer_store_dword v3, v0, s[0:3], 0 offen offset:12
	buffer_store_dword v2, v0, s[0:3], 0 offen offset:8
	buffer_store_dword v1, v0, s[0:3], 0 offen offset:4
	s_waitcnt vmcnt(7)
	buffer_store_dword v8, v0, s[0:3], 0 offen
.LBB48_312:
	s_or_b64 exec, exec, s[4:5]
	;; [unrolled: 34-line block ×47, first 2 shown]
	v_pk_mov_b32 v[0:1], s[10:11], s[10:11] op_sel:[0,1]
	flat_load_dword v0, v[0:1]
	s_waitcnt vmcnt(0) lgkmcnt(0)
	v_add_u32_e32 v0, -1, v0
	v_cmp_ne_u32_e32 vcc, 0, v0
	s_and_saveexec_b64 s[4:5], vcc
	s_cbranch_execz .LBB48_404
; %bb.403:
	v_mov_b32_e32 v1, 16
	v_lshl_add_u32 v0, v0, 4, v1
	buffer_load_dword v1, v0, s[0:3], 0 offen
	buffer_load_dword v2, v0, s[0:3], 0 offen offset:4
	buffer_load_dword v3, v0, s[0:3], 0 offen offset:8
	;; [unrolled: 1-line block ×3, first 2 shown]
	buffer_load_dword v5, off, s[0:3], 0 offset:28
	buffer_load_dword v6, off, s[0:3], 0 offset:24
	buffer_load_dword v7, off, s[0:3], 0 offset:20
	buffer_load_dword v8, off, s[0:3], 0 offset:16
	s_waitcnt vmcnt(7)
	buffer_store_dword v1, off, s[0:3], 0 offset:16
	s_waitcnt vmcnt(7)
	buffer_store_dword v2, off, s[0:3], 0 offset:20
	s_waitcnt vmcnt(7)
	buffer_store_dword v3, off, s[0:3], 0 offset:24
	s_waitcnt vmcnt(7)
	buffer_store_dword v4, off, s[0:3], 0 offset:28
	s_waitcnt vmcnt(7)
	buffer_store_dword v5, v0, s[0:3], 0 offen offset:12
	s_waitcnt vmcnt(7)
	buffer_store_dword v6, v0, s[0:3], 0 offen offset:8
	;; [unrolled: 2-line block ×3, first 2 shown]
	s_waitcnt vmcnt(7)
	buffer_store_dword v8, v0, s[0:3], 0 offen
.LBB48_404:
	s_or_b64 exec, exec, s[4:5]
.LBB48_405:
	buffer_load_dword v0, off, s[0:3], 0 offset:16
	buffer_load_dword v1, off, s[0:3], 0 offset:20
	;; [unrolled: 1-line block ×4, first 2 shown]
	v_accvgpr_read_b32 v5, a1
	v_accvgpr_read_b32 v4, a0
	s_waitcnt vmcnt(0)
	global_store_dwordx4 v[4:5], v[0:3], off
	s_nop 0
	v_accvgpr_read_b32 v3, a145
	buffer_load_dword v0, v3, s[0:3], 0 offen
	buffer_load_dword v1, v3, s[0:3], 0 offen offset:4
	buffer_load_dword v2, v3, s[0:3], 0 offen offset:8
	s_nop 0
	buffer_load_dword v3, v3, s[0:3], 0 offen offset:12
	v_accvgpr_read_b32 v5, a3
	v_accvgpr_read_b32 v4, a2
	s_waitcnt vmcnt(0)
	global_store_dwordx4 v[4:5], v[0:3], off
	s_nop 0
	v_accvgpr_read_b32 v3, a144
	buffer_load_dword v0, v3, s[0:3], 0 offen
	buffer_load_dword v1, v3, s[0:3], 0 offen offset:4
	buffer_load_dword v2, v3, s[0:3], 0 offen offset:8
	s_nop 0
	buffer_load_dword v3, v3, s[0:3], 0 offen offset:12
	;; [unrolled: 11-line block ×7, first 2 shown]
	v_accvgpr_read_b32 v4, a14
	v_accvgpr_read_b32 v5, a15
	s_waitcnt vmcnt(0)
	global_store_dwordx4 v[4:5], v[0:3], off
	v_accvgpr_read_b32 v4, a138
	buffer_load_dword v0, v4, s[0:3], 0 offen
	buffer_load_dword v1, v4, s[0:3], 0 offen offset:4
	buffer_load_dword v2, v4, s[0:3], 0 offen offset:8
	buffer_load_dword v3, v4, s[0:3], 0 offen offset:12
	v_accvgpr_read_b32 v4, a16
	v_accvgpr_read_b32 v5, a17
	s_waitcnt vmcnt(0)
	global_store_dwordx4 v[4:5], v[0:3], off
	v_accvgpr_read_b32 v4, a137
	buffer_load_dword v0, v4, s[0:3], 0 offen
	buffer_load_dword v1, v4, s[0:3], 0 offen offset:4
	buffer_load_dword v2, v4, s[0:3], 0 offen offset:8
	buffer_load_dword v3, v4, s[0:3], 0 offen offset:12
	;; [unrolled: 9-line block ×41, first 2 shown]
	v_accvgpr_read_b32 v4, a58
	v_accvgpr_read_b32 v5, a59
	s_waitcnt vmcnt(0)
	global_store_dwordx4 v[4:5], v[0:3], off
	s_endpgm
	.section	.rodata,"a",@progbits
	.p2align	6, 0x0
	.amdhsa_kernel _ZN9rocsolver6v33100L18getri_kernel_smallILi49E19rocblas_complex_numIdEPS3_EEvT1_iilPiilS6_bb
		.amdhsa_group_segment_fixed_size 1576
		.amdhsa_private_segment_fixed_size 816
		.amdhsa_kernarg_size 60
		.amdhsa_user_sgpr_count 8
		.amdhsa_user_sgpr_private_segment_buffer 1
		.amdhsa_user_sgpr_dispatch_ptr 0
		.amdhsa_user_sgpr_queue_ptr 0
		.amdhsa_user_sgpr_kernarg_segment_ptr 1
		.amdhsa_user_sgpr_dispatch_id 0
		.amdhsa_user_sgpr_flat_scratch_init 1
		.amdhsa_user_sgpr_kernarg_preload_length 0
		.amdhsa_user_sgpr_kernarg_preload_offset 0
		.amdhsa_user_sgpr_private_segment_size 0
		.amdhsa_uses_dynamic_stack 0
		.amdhsa_system_sgpr_private_segment_wavefront_offset 1
		.amdhsa_system_sgpr_workgroup_id_x 1
		.amdhsa_system_sgpr_workgroup_id_y 0
		.amdhsa_system_sgpr_workgroup_id_z 0
		.amdhsa_system_sgpr_workgroup_info 0
		.amdhsa_system_vgpr_workitem_id 0
		.amdhsa_next_free_vgpr 422
		.amdhsa_next_free_sgpr 23
		.amdhsa_accum_offset 256
		.amdhsa_reserve_vcc 1
		.amdhsa_reserve_flat_scratch 1
		.amdhsa_float_round_mode_32 0
		.amdhsa_float_round_mode_16_64 0
		.amdhsa_float_denorm_mode_32 3
		.amdhsa_float_denorm_mode_16_64 3
		.amdhsa_dx10_clamp 1
		.amdhsa_ieee_mode 1
		.amdhsa_fp16_overflow 0
		.amdhsa_tg_split 0
		.amdhsa_exception_fp_ieee_invalid_op 0
		.amdhsa_exception_fp_denorm_src 0
		.amdhsa_exception_fp_ieee_div_zero 0
		.amdhsa_exception_fp_ieee_overflow 0
		.amdhsa_exception_fp_ieee_underflow 0
		.amdhsa_exception_fp_ieee_inexact 0
		.amdhsa_exception_int_div_zero 0
	.end_amdhsa_kernel
	.section	.text._ZN9rocsolver6v33100L18getri_kernel_smallILi49E19rocblas_complex_numIdEPS3_EEvT1_iilPiilS6_bb,"axG",@progbits,_ZN9rocsolver6v33100L18getri_kernel_smallILi49E19rocblas_complex_numIdEPS3_EEvT1_iilPiilS6_bb,comdat
.Lfunc_end48:
	.size	_ZN9rocsolver6v33100L18getri_kernel_smallILi49E19rocblas_complex_numIdEPS3_EEvT1_iilPiilS6_bb, .Lfunc_end48-_ZN9rocsolver6v33100L18getri_kernel_smallILi49E19rocblas_complex_numIdEPS3_EEvT1_iilPiilS6_bb
                                        ; -- End function
	.section	.AMDGPU.csdata,"",@progbits
; Kernel info:
; codeLenInByte = 152528
; NumSgprs: 29
; NumVgprs: 256
; NumAgprs: 166
; TotalNumVgprs: 422
; ScratchSize: 816
; MemoryBound: 0
; FloatMode: 240
; IeeeMode: 1
; LDSByteSize: 1576 bytes/workgroup (compile time only)
; SGPRBlocks: 3
; VGPRBlocks: 52
; NumSGPRsForWavesPerEU: 29
; NumVGPRsForWavesPerEU: 422
; AccumOffset: 256
; Occupancy: 1
; WaveLimiterHint : 1
; COMPUTE_PGM_RSRC2:SCRATCH_EN: 1
; COMPUTE_PGM_RSRC2:USER_SGPR: 8
; COMPUTE_PGM_RSRC2:TRAP_HANDLER: 0
; COMPUTE_PGM_RSRC2:TGID_X_EN: 1
; COMPUTE_PGM_RSRC2:TGID_Y_EN: 0
; COMPUTE_PGM_RSRC2:TGID_Z_EN: 0
; COMPUTE_PGM_RSRC2:TIDIG_COMP_CNT: 0
; COMPUTE_PGM_RSRC3_GFX90A:ACCUM_OFFSET: 63
; COMPUTE_PGM_RSRC3_GFX90A:TG_SPLIT: 0
	.section	.text._ZN9rocsolver6v33100L18getri_kernel_smallILi50E19rocblas_complex_numIdEPS3_EEvT1_iilPiilS6_bb,"axG",@progbits,_ZN9rocsolver6v33100L18getri_kernel_smallILi50E19rocblas_complex_numIdEPS3_EEvT1_iilPiilS6_bb,comdat
	.globl	_ZN9rocsolver6v33100L18getri_kernel_smallILi50E19rocblas_complex_numIdEPS3_EEvT1_iilPiilS6_bb ; -- Begin function _ZN9rocsolver6v33100L18getri_kernel_smallILi50E19rocblas_complex_numIdEPS3_EEvT1_iilPiilS6_bb
	.p2align	8
	.type	_ZN9rocsolver6v33100L18getri_kernel_smallILi50E19rocblas_complex_numIdEPS3_EEvT1_iilPiilS6_bb,@function
_ZN9rocsolver6v33100L18getri_kernel_smallILi50E19rocblas_complex_numIdEPS3_EEvT1_iilPiilS6_bb: ; @_ZN9rocsolver6v33100L18getri_kernel_smallILi50E19rocblas_complex_numIdEPS3_EEvT1_iilPiilS6_bb
; %bb.0:
	s_add_u32 flat_scratch_lo, s6, s9
	s_addc_u32 flat_scratch_hi, s7, 0
	s_add_u32 s0, s0, s9
	v_mov_b32_e32 v254, v0
	s_addc_u32 s1, s1, 0
	v_cmp_gt_u32_e32 vcc, 50, v254
	s_and_saveexec_b64 s[6:7], vcc
	s_cbranch_execz .LBB49_214
; %bb.1:
	s_load_dword s22, s[4:5], 0x38
	s_load_dwordx4 s[16:19], s[4:5], 0x10
	s_load_dwordx4 s[12:15], s[4:5], 0x28
                                        ; implicit-def: $sgpr10_sgpr11
	s_waitcnt lgkmcnt(0)
	s_bitcmp1_b32 s22, 8
	s_cselect_b64 s[20:21], -1, 0
	s_ashr_i32 s9, s8, 31
	s_bfe_u32 s6, s22, 0x10008
	s_cmp_eq_u32 s6, 0
	s_cbranch_scc1 .LBB49_3
; %bb.2:
	s_load_dword s6, s[4:5], 0x20
	s_mul_i32 s7, s8, s13
	s_mul_hi_u32 s10, s8, s12
	s_mul_i32 s11, s9, s12
	s_add_i32 s10, s10, s7
	s_add_i32 s11, s10, s11
	s_mul_i32 s10, s8, s12
	s_waitcnt lgkmcnt(0)
	s_ashr_i32 s7, s6, 31
	s_lshl_b64 s[10:11], s[10:11], 2
	s_add_u32 s10, s18, s10
	s_addc_u32 s11, s19, s11
	s_lshl_b64 s[6:7], s[6:7], 2
	s_add_u32 s10, s10, s6
	s_addc_u32 s11, s11, s7
.LBB49_3:
	s_load_dwordx4 s[4:7], s[4:5], 0x0
	s_mul_i32 s12, s8, s17
	s_mul_hi_u32 s13, s8, s16
	s_add_i32 s17, s13, s12
	v_lshlrev_b32_e32 v1, 4, v254
	s_waitcnt lgkmcnt(0)
	s_ashr_i32 s13, s6, 31
	s_mov_b32 s12, s6
	s_mul_i32 s6, s9, s16
	s_add_i32 s17, s17, s6
	s_mul_i32 s16, s8, s16
	s_lshl_b64 s[16:17], s[16:17], 4
	s_add_u32 s6, s4, s16
	s_addc_u32 s16, s5, s17
	s_lshl_b64 s[4:5], s[12:13], 4
	s_add_u32 s4, s6, s4
	s_addc_u32 s5, s16, s5
	s_add_i32 s6, s7, s7
	v_add_u32_e32 v4, s6, v254
	v_ashrrev_i32_e32 v5, 31, v4
	v_add_u32_e32 v2, s7, v4
	v_lshlrev_b64 v[4:5], 4, v[4:5]
	v_mov_b32_e32 v0, s5
	v_add_co_u32_e32 v4, vcc, s4, v4
	v_addc_co_u32_e32 v5, vcc, v0, v5, vcc
	global_load_dwordx4 v[54:57], v1, s[4:5]
	v_add_co_u32_e32 v22, vcc, s4, v1
	s_ashr_i32 s13, s7, 31
	s_mov_b32 s12, s7
	v_addc_co_u32_e32 v23, vcc, 0, v0, vcc
	s_lshl_b64 s[12:13], s[12:13], 4
	v_mov_b32_e32 v0, s13
	v_add_co_u32_e32 v20, vcc, s12, v22
	v_addc_co_u32_e32 v21, vcc, v23, v0, vcc
	global_load_dwordx4 v[58:61], v[20:21], off
	global_load_dwordx4 v[62:65], v[4:5], off
	v_ashrrev_i32_e32 v3, 31, v2
	v_add_u32_e32 v10, s7, v2
	v_accvgpr_write_b32 a49, v5
	v_lshlrev_b64 v[2:3], 4, v[2:3]
	v_accvgpr_write_b32 a48, v4
	v_mov_b32_e32 v0, s5
	v_add_co_u32_e32 v4, vcc, s4, v2
	v_addc_co_u32_e32 v5, vcc, v0, v3, vcc
	v_ashrrev_i32_e32 v11, 31, v10
	global_load_dwordx4 v[66:69], v[4:5], off
	v_lshlrev_b64 v[2:3], 4, v[10:11]
	v_add_co_u32_e32 v2, vcc, s4, v2
	v_add_u32_e32 v12, s7, v10
	v_addc_co_u32_e32 v3, vcc, v0, v3, vcc
	v_accvgpr_write_b32 a55, v3
	global_load_dwordx4 v[70:73], v[2:3], off
	v_ashrrev_i32_e32 v13, 31, v12
	v_accvgpr_write_b32 a63, v5
	v_accvgpr_write_b32 a54, v2
	v_lshlrev_b64 v[2:3], 4, v[12:13]
	v_accvgpr_write_b32 a62, v4
	v_add_co_u32_e32 v4, vcc, s4, v2
	v_add_u32_e32 v14, s7, v12
	v_addc_co_u32_e32 v5, vcc, v0, v3, vcc
	v_ashrrev_i32_e32 v15, 31, v14
	global_load_dwordx4 v[74:77], v[4:5], off
	v_lshlrev_b64 v[2:3], 4, v[14:15]
	v_add_co_u32_e32 v2, vcc, s4, v2
	v_add_u32_e32 v16, s7, v14
	v_addc_co_u32_e32 v3, vcc, v0, v3, vcc
	global_load_dwordx4 v[78:81], v[2:3], off
	v_accvgpr_write_b32 a41, v3
	v_ashrrev_i32_e32 v17, 31, v16
	v_accvgpr_write_b32 a57, v5
	v_accvgpr_write_b32 a40, v2
	v_lshlrev_b64 v[2:3], 4, v[16:17]
	v_accvgpr_write_b32 a56, v4
	v_add_co_u32_e32 v4, vcc, s4, v2
	v_add_u32_e32 v18, s7, v16
	v_addc_co_u32_e32 v5, vcc, v0, v3, vcc
	v_ashrrev_i32_e32 v19, 31, v18
	global_load_dwordx4 v[82:85], v[4:5], off
	v_lshlrev_b64 v[2:3], 4, v[18:19]
	v_add_co_u32_e32 v2, vcc, s4, v2
	v_addc_co_u32_e32 v3, vcc, v0, v3, vcc
	global_load_dwordx4 v[10:13], v[2:3], off
	v_add_u32_e32 v6, s7, v18
	v_add_u32_e32 v8, s7, v6
	;; [unrolled: 1-line block ×34, first 2 shown]
	v_accvgpr_write_b32 a87, v23
	v_add_u32_e32 v24, s7, v26
	v_accvgpr_write_b32 a86, v22
	v_accvgpr_write_b32 a77, v21
	v_add_u32_e32 v22, s7, v24
	v_accvgpr_write_b32 a76, v20
	v_add_u32_e32 v20, s7, v22
	v_add_u32_e32 v18, s7, v20
	;; [unrolled: 1-line block ×3, first 2 shown]
	v_accvgpr_write_b32 a35, v3
	v_add_u32_e32 v14, s7, v16
	v_accvgpr_write_b32 a34, v2
	v_add_u32_e32 v2, s7, v14
	v_ashrrev_i32_e32 v3, 31, v2
	v_lshlrev_b64 v[2:3], 4, v[2:3]
	v_add_co_u32_e32 v2, vcc, s4, v2
	v_ashrrev_i32_e32 v7, 31, v6
	v_accvgpr_write_b32 a43, v5
	v_addc_co_u32_e32 v3, vcc, v0, v3, vcc
	v_accvgpr_write_b32 a0, v2
	v_lshlrev_b64 v[6:7], 4, v[6:7]
	v_accvgpr_write_b32 a42, v4
	v_accvgpr_write_b32 a1, v3
	global_load_dwordx4 v[2:5], v[2:3], off
	s_waitcnt vmcnt(9)
	buffer_store_dword v57, off, s[0:3], 0 offset:28
	buffer_store_dword v56, off, s[0:3], 0 offset:24
	buffer_store_dword v55, off, s[0:3], 0 offset:20
	buffer_store_dword v54, off, s[0:3], 0 offset:16
	s_waitcnt vmcnt(12)
	buffer_store_dword v61, off, s[0:3], 0 offset:44
	buffer_store_dword v60, off, s[0:3], 0 offset:40
	buffer_store_dword v59, off, s[0:3], 0 offset:36
	buffer_store_dword v58, off, s[0:3], 0 offset:32
	;; [unrolled: 5-line block ×8, first 2 shown]
	s_waitcnt vmcnt(33)
	buffer_store_dword v13, off, s[0:3], 0 offset:156
	v_add_co_u32_e32 v54, vcc, s4, v6
	v_addc_co_u32_e32 v55, vcc, v0, v7, vcc
	v_accvgpr_write_b32 a99, v55
	v_ashrrev_i32_e32 v9, 31, v8
	v_accvgpr_write_b32 a98, v54
	global_load_dwordx4 v[54:57], v[54:55], off
	v_lshlrev_b64 v[6:7], 4, v[8:9]
	v_add_co_u32_e32 v6, vcc, s4, v6
	v_addc_co_u32_e32 v7, vcc, v0, v7, vcc
	global_load_dwordx4 v[58:61], v[6:7], off
	v_accvgpr_write_b32 a95, v7
	v_ashrrev_i32_e32 v87, 31, v86
	v_accvgpr_write_b32 a94, v6
	v_lshlrev_b64 v[6:7], 4, v[86:87]
	v_add_co_u32_e32 v8, vcc, s4, v6
	v_addc_co_u32_e32 v9, vcc, v0, v7, vcc
	v_ashrrev_i32_e32 v89, 31, v88
	global_load_dwordx4 v[62:65], v[8:9], off
	v_lshlrev_b64 v[6:7], 4, v[88:89]
	v_add_co_u32_e32 v6, vcc, s4, v6
	v_addc_co_u32_e32 v7, vcc, v0, v7, vcc
	global_load_dwordx4 v[66:69], v[6:7], off
	v_accvgpr_write_b32 a91, v7
	v_ashrrev_i32_e32 v91, 31, v90
	v_accvgpr_write_b32 a97, v9
	v_accvgpr_write_b32 a90, v6
	v_lshlrev_b64 v[6:7], 4, v[90:91]
	v_accvgpr_write_b32 a96, v8
	v_add_co_u32_e32 v8, vcc, s4, v6
	v_addc_co_u32_e32 v9, vcc, v0, v7, vcc
	v_ashrrev_i32_e32 v93, 31, v92
	global_load_dwordx4 v[70:73], v[8:9], off
	v_lshlrev_b64 v[6:7], 4, v[92:93]
	v_add_co_u32_e32 v6, vcc, s4, v6
	v_addc_co_u32_e32 v7, vcc, v0, v7, vcc
	global_load_dwordx4 v[74:77], v[6:7], off
	v_accvgpr_write_b32 a83, v7
	v_ashrrev_i32_e32 v95, 31, v94
	v_accvgpr_write_b32 a93, v9
	v_accvgpr_write_b32 a82, v6
	v_lshlrev_b64 v[6:7], 4, v[94:95]
	v_accvgpr_write_b32 a92, v8
	;; [unrolled: 14-line block ×6, first 2 shown]
	v_add_co_u32_e32 v8, vcc, s4, v6
	v_addc_co_u32_e32 v9, vcc, v0, v7, vcc
	v_ashrrev_i32_e32 v113, 31, v112
	v_lshlrev_b64 v[6:7], 4, v[112:113]
	global_load_dwordx4 v[110:113], v[8:9], off
	v_add_co_u32_e32 v6, vcc, s4, v6
	v_addc_co_u32_e32 v7, vcc, v0, v7, vcc
	global_load_dwordx4 v[114:117], v[6:7], off
	v_accvgpr_write_b32 a27, v7
	v_ashrrev_i32_e32 v119, 31, v118
	v_accvgpr_write_b32 a39, v9
	v_accvgpr_write_b32 a26, v6
	v_lshlrev_b64 v[6:7], 4, v[118:119]
	v_accvgpr_write_b32 a38, v8
	v_add_co_u32_e32 v8, vcc, s4, v6
	v_addc_co_u32_e32 v9, vcc, v0, v7, vcc
	v_ashrrev_i32_e32 v121, 31, v120
	v_lshlrev_b64 v[6:7], 4, v[120:121]
	global_load_dwordx4 v[118:121], v[8:9], off
	v_add_co_u32_e32 v6, vcc, s4, v6
	v_addc_co_u32_e32 v7, vcc, v0, v7, vcc
	global_load_dwordx4 v[122:125], v[6:7], off
	v_accvgpr_write_b32 a19, v7
	v_ashrrev_i32_e32 v127, 31, v126
	v_accvgpr_write_b32 a29, v9
	v_accvgpr_write_b32 a18, v6
	v_lshlrev_b64 v[6:7], 4, v[126:127]
	v_accvgpr_write_b32 a28, v8
	v_add_co_u32_e32 v8, vcc, s4, v6
	v_addc_co_u32_e32 v9, vcc, v0, v7, vcc
	v_ashrrev_i32_e32 v129, 31, v128
	v_lshlrev_b64 v[6:7], 4, v[128:129]
	global_load_dwordx4 v[126:129], v[8:9], off
	v_add_co_u32_e32 v6, vcc, s4, v6
	v_addc_co_u32_e32 v7, vcc, v0, v7, vcc
	v_accvgpr_write_b32 a21, v9
	v_accvgpr_write_b32 a13, v7
	;; [unrolled: 1-line block ×4, first 2 shown]
	global_load_dwordx4 v[6:9], v[6:7], off
	v_ashrrev_i32_e32 v53, 31, v52
	buffer_store_dword v12, off, s[0:3], 0 offset:152
	buffer_store_dword v11, off, s[0:3], 0 offset:148
	buffer_store_dword v10, off, s[0:3], 0 offset:144
	s_waitcnt vmcnt(22)
	buffer_store_dword v54, off, s[0:3], 0 offset:160
	buffer_store_dword v55, off, s[0:3], 0 offset:164
	buffer_store_dword v56, off, s[0:3], 0 offset:168
	buffer_store_dword v57, off, s[0:3], 0 offset:172
	s_waitcnt vmcnt(25)
	buffer_store_dword v58, off, s[0:3], 0 offset:176
	;; [unrolled: 5-line block ×15, first 2 shown]
	buffer_store_dword v112, off, s[0:3], 0 offset:392
	buffer_store_dword v111, off, s[0:3], 0 offset:388
	;; [unrolled: 1-line block ×11, first 2 shown]
	s_waitcnt vmcnt(62)
	buffer_store_dword v125, off, s[0:3], 0 offset:444
	buffer_store_dword v124, off, s[0:3], 0 offset:440
	;; [unrolled: 1-line block ×9, first 2 shown]
	v_lshlrev_b64 v[10:11], 4, v[52:53]
	v_add_co_u32_e32 v12, vcc, s4, v10
	v_ashrrev_i32_e32 v51, 31, v50
	v_addc_co_u32_e32 v13, vcc, v0, v11, vcc
	v_lshlrev_b64 v[10:11], 4, v[50:51]
	v_add_co_u32_e32 v50, vcc, s4, v10
	v_accvgpr_write_b32 a89, v13
	v_addc_co_u32_e32 v51, vcc, v0, v11, vcc
	v_accvgpr_write_b32 a88, v12
	global_load_dwordx4 v[10:13], v[12:13], off
	v_accvgpr_write_b32 a79, v51
	v_ashrrev_i32_e32 v49, 31, v48
	v_accvgpr_write_b32 a78, v50
	global_load_dwordx4 v[50:53], v[50:51], off
	v_lshlrev_b64 v[48:49], 4, v[48:49]
	v_add_co_u32_e32 v48, vcc, s4, v48
	v_ashrrev_i32_e32 v47, 31, v46
	v_addc_co_u32_e32 v49, vcc, v0, v49, vcc
	v_lshlrev_b64 v[46:47], 4, v[46:47]
	v_add_co_u32_e32 v54, vcc, s4, v46
	v_accvgpr_write_b32 a81, v49
	v_addc_co_u32_e32 v55, vcc, v0, v47, vcc
	v_accvgpr_write_b32 a80, v48
	global_load_dwordx4 v[46:49], v[48:49], off
	v_accvgpr_write_b32 a69, v55
	v_ashrrev_i32_e32 v45, 31, v44
	v_accvgpr_write_b32 a68, v54
	global_load_dwordx4 v[54:57], v[54:55], off
	;; [unrolled: 14-line block ×8, first 2 shown]
	v_lshlrev_b64 v[20:21], 4, v[20:21]
	v_add_co_u32_e32 v20, vcc, s4, v20
	v_ashrrev_i32_e32 v19, 31, v18
	v_addc_co_u32_e32 v21, vcc, v0, v21, vcc
	v_lshlrev_b64 v[18:19], 4, v[18:19]
	v_add_co_u32_e32 v82, vcc, s4, v18
	v_accvgpr_write_b32 a10, v20
	v_addc_co_u32_e32 v83, vcc, v0, v19, vcc
	v_accvgpr_write_b32 a11, v21
	global_load_dwordx4 v[18:21], v[20:21], off
	v_accvgpr_write_b32 a4, v82
	v_accvgpr_write_b32 a5, v83
	global_load_dwordx4 v[82:85], v[82:83], off
	v_ashrrev_i32_e32 v17, 31, v16
	v_lshlrev_b64 v[16:17], 4, v[16:17]
	v_add_co_u32_e32 v16, vcc, s4, v16
	v_addc_co_u32_e32 v17, vcc, v0, v17, vcc
	v_ashrrev_i32_e32 v15, 31, v14
	v_accvgpr_write_b32 a6, v16
	v_lshlrev_b64 v[86:87], 4, v[14:15]
	v_accvgpr_write_b32 a7, v17
	global_load_dwordx4 v[14:17], v[16:17], off
	v_add_co_u32_e32 v86, vcc, s4, v86
	v_addc_co_u32_e32 v87, vcc, v0, v87, vcc
	v_accvgpr_write_b32 a2, v86
	v_accvgpr_write_b32 a3, v87
	global_load_dwordx4 v[86:89], v[86:87], off
	v_mov_b32_e32 v0, 16
	buffer_store_dword v8, off, s[0:3], 0 offset:472
	buffer_store_dword v7, off, s[0:3], 0 offset:468
	buffer_store_dword v6, off, s[0:3], 0 offset:464
	s_waitcnt vmcnt(22)
	buffer_store_dword v13, off, s[0:3], 0 offset:492
	buffer_store_dword v12, off, s[0:3], 0 offset:488
	buffer_store_dword v11, off, s[0:3], 0 offset:484
	buffer_store_dword v10, off, s[0:3], 0 offset:480
	s_waitcnt vmcnt(25)
	buffer_store_dword v53, off, s[0:3], 0 offset:508
	;; [unrolled: 5-line block ×15, first 2 shown]
	buffer_store_dword v24, off, s[0:3], 0 offset:712
	buffer_store_dword v23, off, s[0:3], 0 offset:708
	;; [unrolled: 1-line block ×11, first 2 shown]
	s_waitcnt vmcnt(62)
	buffer_store_dword v85, off, s[0:3], 0 offset:764
	buffer_store_dword v84, off, s[0:3], 0 offset:760
	;; [unrolled: 1-line block ×16, first 2 shown]
	v_add_u32_e32 v2, 16, v0
	v_accvgpr_write_b32 a148, v2
	v_add_u32_e32 v2, 32, v0
	v_accvgpr_write_b32 a147, v2
	;; [unrolled: 2-line block ×47, first 2 shown]
	v_add_u32_e32 v2, 0x300, v0
	v_add_u32_e32 v0, 0x310, v0
	v_accvgpr_write_b32 a101, v2
	v_accvgpr_write_b32 a100, v0
	s_bitcmp0_b32 s22, 0
	s_mov_b64 s[6:7], -1
	s_cbranch_scc1 .LBB49_212
; %bb.4:
	v_cmp_eq_u32_e64 s[4:5], 0, v254
	s_and_saveexec_b64 s[6:7], s[4:5]
	s_cbranch_execz .LBB49_6
; %bb.5:
	v_mov_b32_e32 v0, 0
	ds_write_b32 v0, v0 offset:1600
.LBB49_6:
	s_or_b64 exec, exec, s[6:7]
	v_mov_b32_e32 v0, 16
	v_lshl_add_u32 v12, v254, 4, v0
	s_waitcnt lgkmcnt(0)
	; wave barrier
	s_waitcnt lgkmcnt(0)
	buffer_load_dword v2, v12, s[0:3], 0 offen
	buffer_load_dword v3, v12, s[0:3], 0 offen offset:4
	buffer_load_dword v4, v12, s[0:3], 0 offen offset:8
	;; [unrolled: 1-line block ×3, first 2 shown]
	s_waitcnt vmcnt(2)
	v_cmp_eq_f64_e32 vcc, 0, v[2:3]
	s_waitcnt vmcnt(0)
	v_cmp_eq_f64_e64 s[6:7], 0, v[4:5]
	s_and_b64 s[6:7], vcc, s[6:7]
	s_and_saveexec_b64 s[12:13], s[6:7]
	s_cbranch_execz .LBB49_10
; %bb.7:
	v_mov_b32_e32 v2, 0
	ds_read_b32 v0, v2 offset:1600
	v_add_u32_e32 v3, 1, v254
	s_waitcnt lgkmcnt(0)
	v_readfirstlane_b32 s6, v0
	s_cmp_eq_u32 s6, 0
	s_cselect_b64 s[16:17], -1, 0
	v_cmp_gt_i32_e32 vcc, s6, v3
	s_or_b64 s[16:17], s[16:17], vcc
	s_and_b64 exec, exec, s[16:17]
	s_cbranch_execz .LBB49_10
; %bb.8:
	s_mov_b64 s[16:17], 0
	v_mov_b32_e32 v4, s6
.LBB49_9:                               ; =>This Inner Loop Header: Depth=1
	ds_cmpst_rtn_b32 v4, v2, v4, v3 offset:1600
	s_waitcnt lgkmcnt(0)
	v_cmp_ne_u32_e32 vcc, 0, v4
	v_cmp_le_i32_e64 s[6:7], v4, v3
	s_and_b64 s[6:7], vcc, s[6:7]
	s_and_b64 s[6:7], exec, s[6:7]
	s_or_b64 s[16:17], s[6:7], s[16:17]
	s_andn2_b64 exec, exec, s[16:17]
	s_cbranch_execnz .LBB49_9
.LBB49_10:
	s_or_b64 exec, exec, s[12:13]
	v_mov_b32_e32 v3, 0
	s_waitcnt lgkmcnt(0)
	; wave barrier
	ds_read_b32 v2, v3 offset:1600
	s_and_saveexec_b64 s[6:7], s[4:5]
	s_cbranch_execz .LBB49_12
; %bb.11:
	s_lshl_b64 s[12:13], s[8:9], 2
	s_add_u32 s12, s14, s12
	s_addc_u32 s13, s15, s13
	s_waitcnt lgkmcnt(0)
	global_store_dword v3, v2, s[12:13]
.LBB49_12:
	s_or_b64 exec, exec, s[6:7]
	s_waitcnt lgkmcnt(0)
	v_cmp_ne_u32_e32 vcc, 0, v2
	s_mov_b64 s[6:7], 0
	s_cbranch_vccnz .LBB49_212
; %bb.13:
	buffer_load_dword v7, v12, s[0:3], 0 offen offset:4
	buffer_load_dword v6, v12, s[0:3], 0 offen
	buffer_load_dword v9, v12, s[0:3], 0 offen offset:12
	buffer_load_dword v8, v12, s[0:3], 0 offen offset:8
                                        ; implicit-def: $vgpr10_vgpr11
	s_waitcnt vmcnt(3)
	v_xor_b32_e32 v0, 0x80000000, v7
	s_waitcnt vmcnt(2)
	v_cmp_gt_f64_e32 vcc, 0, v[6:7]
	s_waitcnt vmcnt(1)
	v_xor_b32_e32 v4, 0x80000000, v9
	v_cndmask_b32_e32 v3, v7, v0, vcc
	s_waitcnt vmcnt(0)
	v_cmp_gt_f64_e32 vcc, 0, v[8:9]
	v_mov_b32_e32 v2, v6
	v_cndmask_b32_e32 v5, v9, v4, vcc
	v_mov_b32_e32 v4, v8
	v_cmp_ngt_f64_e32 vcc, v[2:3], v[4:5]
                                        ; implicit-def: $vgpr4_vgpr5
	s_and_saveexec_b64 s[6:7], vcc
	s_xor_b64 s[6:7], exec, s[6:7]
	s_cbranch_execz .LBB49_15
; %bb.14:
	v_div_scale_f64 v[2:3], s[12:13], v[8:9], v[8:9], v[6:7]
	v_rcp_f64_e32 v[4:5], v[2:3]
	v_div_scale_f64 v[10:11], vcc, v[6:7], v[8:9], v[6:7]
	v_fma_f64 v[14:15], -v[2:3], v[4:5], 1.0
	v_fmac_f64_e32 v[4:5], v[4:5], v[14:15]
	v_fma_f64 v[14:15], -v[2:3], v[4:5], 1.0
	v_fmac_f64_e32 v[4:5], v[4:5], v[14:15]
	v_mul_f64 v[14:15], v[10:11], v[4:5]
	v_fma_f64 v[2:3], -v[2:3], v[14:15], v[10:11]
	v_div_fmas_f64 v[2:3], v[2:3], v[4:5], v[14:15]
	v_div_fixup_f64 v[2:3], v[2:3], v[8:9], v[6:7]
	v_fmac_f64_e32 v[8:9], v[6:7], v[2:3]
	v_div_scale_f64 v[4:5], s[12:13], v[8:9], v[8:9], 1.0
	v_rcp_f64_e32 v[6:7], v[4:5]
	v_fma_f64 v[10:11], -v[4:5], v[6:7], 1.0
	v_fmac_f64_e32 v[6:7], v[6:7], v[10:11]
	v_fma_f64 v[10:11], -v[4:5], v[6:7], 1.0
	v_fmac_f64_e32 v[6:7], v[6:7], v[10:11]
	v_div_scale_f64 v[10:11], vcc, 1.0, v[8:9], 1.0
	v_mul_f64 v[14:15], v[10:11], v[6:7]
	v_fma_f64 v[4:5], -v[4:5], v[14:15], v[10:11]
	s_nop 1
	v_div_fmas_f64 v[4:5], v[4:5], v[6:7], v[14:15]
	v_div_fixup_f64 v[4:5], v[4:5], v[8:9], 1.0
	v_mul_f64 v[10:11], v[2:3], v[4:5]
	v_xor_b32_e32 v5, 0x80000000, v5
	v_xor_b32_e32 v3, 0x80000000, v11
	v_mov_b32_e32 v2, v10
                                        ; implicit-def: $vgpr6_vgpr7
                                        ; implicit-def: $vgpr8_vgpr9
.LBB49_15:
	s_andn2_saveexec_b64 s[6:7], s[6:7]
	s_cbranch_execz .LBB49_17
; %bb.16:
	v_div_scale_f64 v[2:3], s[12:13], v[6:7], v[6:7], v[8:9]
	v_rcp_f64_e32 v[4:5], v[2:3]
	v_div_scale_f64 v[10:11], vcc, v[8:9], v[6:7], v[8:9]
	v_fma_f64 v[14:15], -v[2:3], v[4:5], 1.0
	v_fmac_f64_e32 v[4:5], v[4:5], v[14:15]
	v_fma_f64 v[14:15], -v[2:3], v[4:5], 1.0
	v_fmac_f64_e32 v[4:5], v[4:5], v[14:15]
	v_mul_f64 v[14:15], v[10:11], v[4:5]
	v_fma_f64 v[2:3], -v[2:3], v[14:15], v[10:11]
	v_div_fmas_f64 v[2:3], v[2:3], v[4:5], v[14:15]
	v_div_fixup_f64 v[4:5], v[2:3], v[6:7], v[8:9]
	v_fmac_f64_e32 v[6:7], v[8:9], v[4:5]
	v_div_scale_f64 v[2:3], s[12:13], v[6:7], v[6:7], 1.0
	v_rcp_f64_e32 v[8:9], v[2:3]
	v_fma_f64 v[10:11], -v[2:3], v[8:9], 1.0
	v_fmac_f64_e32 v[8:9], v[8:9], v[10:11]
	v_fma_f64 v[10:11], -v[2:3], v[8:9], 1.0
	v_fmac_f64_e32 v[8:9], v[8:9], v[10:11]
	v_div_scale_f64 v[10:11], vcc, 1.0, v[6:7], 1.0
	v_mul_f64 v[14:15], v[10:11], v[8:9]
	v_fma_f64 v[2:3], -v[2:3], v[14:15], v[10:11]
	s_nop 1
	v_div_fmas_f64 v[2:3], v[2:3], v[8:9], v[14:15]
	v_div_fixup_f64 v[10:11], v[2:3], v[6:7], 1.0
	v_xor_b32_e32 v3, 0x80000000, v11
	v_mov_b32_e32 v2, v10
	v_mul_f64 v[4:5], v[4:5], -v[10:11]
.LBB49_17:
	s_or_b64 exec, exec, s[6:7]
	buffer_store_dword v11, v12, s[0:3], 0 offen offset:4
	buffer_store_dword v10, v12, s[0:3], 0 offen
	buffer_store_dword v5, v12, s[0:3], 0 offen offset:12
	buffer_store_dword v4, v12, s[0:3], 0 offen offset:8
	v_accvgpr_read_b32 v0, a148
	buffer_load_dword v11, v0, s[0:3], 0 offen offset:12
	buffer_load_dword v10, v0, s[0:3], 0 offen offset:8
	;; [unrolled: 1-line block ×3, first 2 shown]
	buffer_load_dword v8, v0, s[0:3], 0 offen
	v_xor_b32_e32 v5, 0x80000000, v5
	v_add_u32_e32 v6, 0x320, v1
	ds_write_b128 v1, v[2:5]
	s_waitcnt vmcnt(0)
	ds_write_b128 v1, v[8:11] offset:800
	s_waitcnt lgkmcnt(0)
	; wave barrier
	s_waitcnt lgkmcnt(0)
	s_and_saveexec_b64 s[6:7], s[4:5]
	s_cbranch_execz .LBB49_19
; %bb.18:
	ds_read_b128 v[2:5], v6
	buffer_load_dword v8, v12, s[0:3], 0 offen
	buffer_load_dword v9, v12, s[0:3], 0 offen offset:4
	buffer_load_dword v10, v12, s[0:3], 0 offen offset:8
	;; [unrolled: 1-line block ×3, first 2 shown]
	v_mov_b32_e32 v0, 0
	s_waitcnt vmcnt(0) lgkmcnt(0)
	v_mul_f64 v[14:15], v[4:5], v[10:11]
	v_fma_f64 v[14:15], v[2:3], v[8:9], -v[14:15]
	v_mul_f64 v[2:3], v[2:3], v[10:11]
	v_fmac_f64_e32 v[2:3], v[4:5], v[8:9]
	v_add_f64 v[10:11], v[2:3], 0
	ds_read_b128 v[2:5], v0 offset:16
	v_add_f64 v[8:9], v[14:15], 0
	s_waitcnt lgkmcnt(0)
	v_mul_f64 v[14:15], v[10:11], v[4:5]
	v_fma_f64 v[14:15], v[8:9], v[2:3], -v[14:15]
	v_mul_f64 v[4:5], v[8:9], v[4:5]
	v_fmac_f64_e32 v[4:5], v[10:11], v[2:3]
	buffer_store_dword v14, off, s[0:3], 0 offset:32
	buffer_store_dword v15, off, s[0:3], 0 offset:36
	;; [unrolled: 1-line block ×4, first 2 shown]
.LBB49_19:
	s_or_b64 exec, exec, s[6:7]
	v_accvgpr_read_b32 v0, a147
	s_waitcnt lgkmcnt(0)
	; wave barrier
	buffer_load_dword v2, v0, s[0:3], 0 offen
	buffer_load_dword v3, v0, s[0:3], 0 offen offset:4
	buffer_load_dword v4, v0, s[0:3], 0 offen offset:8
	;; [unrolled: 1-line block ×3, first 2 shown]
	v_cmp_gt_u32_e32 vcc, 2, v254
	s_waitcnt vmcnt(0)
	ds_write_b128 v6, v[2:5]
	s_waitcnt lgkmcnt(0)
	; wave barrier
	s_waitcnt lgkmcnt(0)
	s_and_saveexec_b64 s[6:7], vcc
	s_cbranch_execz .LBB49_23
; %bb.20:
	buffer_load_dword v8, v12, s[0:3], 0 offen offset:8
	buffer_load_dword v9, v12, s[0:3], 0 offen offset:12
	buffer_load_dword v10, v12, s[0:3], 0 offen
	buffer_load_dword v11, v12, s[0:3], 0 offen offset:4
	ds_read_b128 v[2:5], v6
	s_waitcnt vmcnt(2) lgkmcnt(0)
	v_mul_f64 v[12:13], v[4:5], v[8:9]
	v_mul_f64 v[8:9], v[2:3], v[8:9]
	s_waitcnt vmcnt(0)
	v_fma_f64 v[2:3], v[2:3], v[10:11], -v[12:13]
	v_fmac_f64_e32 v[8:9], v[4:5], v[10:11]
	v_add_f64 v[4:5], v[2:3], 0
	v_add_f64 v[2:3], v[8:9], 0
	s_and_saveexec_b64 s[12:13], s[4:5]
	s_cbranch_execz .LBB49_22
; %bb.21:
	buffer_load_dword v12, off, s[0:3], 0 offset:40
	buffer_load_dword v13, off, s[0:3], 0 offset:44
	;; [unrolled: 1-line block ×4, first 2 shown]
	v_mov_b32_e32 v0, 0
	ds_read_b128 v[8:11], v0 offset:816
	s_waitcnt vmcnt(2) lgkmcnt(0)
	v_mul_f64 v[16:17], v[8:9], v[12:13]
	v_mul_f64 v[12:13], v[10:11], v[12:13]
	s_waitcnt vmcnt(0)
	v_fmac_f64_e32 v[16:17], v[10:11], v[14:15]
	v_fma_f64 v[8:9], v[8:9], v[14:15], -v[12:13]
	v_add_f64 v[2:3], v[2:3], v[16:17]
	v_add_f64 v[4:5], v[4:5], v[8:9]
.LBB49_22:
	s_or_b64 exec, exec, s[12:13]
	v_mov_b32_e32 v0, 0
	ds_read_b128 v[8:11], v0 offset:32
	s_waitcnt lgkmcnt(0)
	v_mul_f64 v[12:13], v[2:3], v[10:11]
	v_mul_f64 v[10:11], v[4:5], v[10:11]
	v_fma_f64 v[4:5], v[4:5], v[8:9], -v[12:13]
	v_fmac_f64_e32 v[10:11], v[2:3], v[8:9]
	buffer_store_dword v5, off, s[0:3], 0 offset:52
	buffer_store_dword v4, off, s[0:3], 0 offset:48
	;; [unrolled: 1-line block ×4, first 2 shown]
.LBB49_23:
	s_or_b64 exec, exec, s[6:7]
	v_accvgpr_read_b32 v0, a146
	s_waitcnt lgkmcnt(0)
	; wave barrier
	buffer_load_dword v2, v0, s[0:3], 0 offen
	buffer_load_dword v3, v0, s[0:3], 0 offen offset:4
	buffer_load_dword v4, v0, s[0:3], 0 offen offset:8
	;; [unrolled: 1-line block ×3, first 2 shown]
	v_cmp_gt_u32_e32 vcc, 3, v254
	v_add_u32_e32 v7, -1, v254
	s_waitcnt vmcnt(0)
	ds_write_b128 v6, v[2:5]
	s_waitcnt lgkmcnt(0)
	; wave barrier
	s_waitcnt lgkmcnt(0)
	s_and_saveexec_b64 s[4:5], vcc
	s_cbranch_execz .LBB49_27
; %bb.24:
	v_pk_mov_b32 v[2:3], 0, 0
	v_add_u32_e32 v8, -1, v254
	v_add_u32_e32 v9, 0x320, v1
	v_add_u32_e32 v10, 16, v1
	s_mov_b64 s[6:7], 0
	v_pk_mov_b32 v[4:5], v[2:3], v[2:3] op_sel:[0,1]
.LBB49_25:                              ; =>This Inner Loop Header: Depth=1
	buffer_load_dword v16, v10, s[0:3], 0 offen offset:8
	buffer_load_dword v17, v10, s[0:3], 0 offen offset:12
	buffer_load_dword v18, v10, s[0:3], 0 offen
	buffer_load_dword v19, v10, s[0:3], 0 offen offset:4
	ds_read_b128 v[12:15], v9
	v_add_u32_e32 v8, 1, v8
	v_cmp_lt_u32_e32 vcc, 1, v8
	v_add_u32_e32 v9, 16, v9
	v_add_u32_e32 v10, 16, v10
	s_or_b64 s[6:7], vcc, s[6:7]
	s_waitcnt vmcnt(2) lgkmcnt(0)
	v_mul_f64 v[20:21], v[14:15], v[16:17]
	v_mul_f64 v[16:17], v[12:13], v[16:17]
	s_waitcnt vmcnt(0)
	v_fma_f64 v[12:13], v[12:13], v[18:19], -v[20:21]
	v_fmac_f64_e32 v[16:17], v[14:15], v[18:19]
	v_add_f64 v[4:5], v[4:5], v[12:13]
	v_add_f64 v[2:3], v[2:3], v[16:17]
	s_andn2_b64 exec, exec, s[6:7]
	s_cbranch_execnz .LBB49_25
; %bb.26:
	s_or_b64 exec, exec, s[6:7]
	v_mov_b32_e32 v0, 0
	ds_read_b128 v[8:11], v0 offset:48
	s_waitcnt lgkmcnt(0)
	v_mul_f64 v[12:13], v[2:3], v[10:11]
	v_mul_f64 v[10:11], v[4:5], v[10:11]
	v_fma_f64 v[4:5], v[4:5], v[8:9], -v[12:13]
	v_fmac_f64_e32 v[10:11], v[2:3], v[8:9]
	buffer_store_dword v5, off, s[0:3], 0 offset:68
	buffer_store_dword v4, off, s[0:3], 0 offset:64
	buffer_store_dword v11, off, s[0:3], 0 offset:76
	buffer_store_dword v10, off, s[0:3], 0 offset:72
.LBB49_27:
	s_or_b64 exec, exec, s[4:5]
	v_accvgpr_read_b32 v0, a145
	s_waitcnt lgkmcnt(0)
	; wave barrier
	buffer_load_dword v2, v0, s[0:3], 0 offen
	buffer_load_dword v3, v0, s[0:3], 0 offen offset:4
	buffer_load_dword v4, v0, s[0:3], 0 offen offset:8
	buffer_load_dword v5, v0, s[0:3], 0 offen offset:12
	v_cmp_gt_u32_e32 vcc, 4, v254
	s_waitcnt vmcnt(0)
	ds_write_b128 v6, v[2:5]
	s_waitcnt lgkmcnt(0)
	; wave barrier
	s_waitcnt lgkmcnt(0)
	s_and_saveexec_b64 s[4:5], vcc
	s_cbranch_execz .LBB49_31
; %bb.28:
	v_pk_mov_b32 v[2:3], 0, 0
	v_add_u32_e32 v8, -1, v254
	v_add_u32_e32 v9, 0x320, v1
	v_add_u32_e32 v10, 16, v1
	s_mov_b64 s[6:7], 0
	v_pk_mov_b32 v[4:5], v[2:3], v[2:3] op_sel:[0,1]
.LBB49_29:                              ; =>This Inner Loop Header: Depth=1
	buffer_load_dword v16, v10, s[0:3], 0 offen offset:8
	buffer_load_dword v17, v10, s[0:3], 0 offen offset:12
	buffer_load_dword v18, v10, s[0:3], 0 offen
	buffer_load_dword v19, v10, s[0:3], 0 offen offset:4
	ds_read_b128 v[12:15], v9
	v_add_u32_e32 v8, 1, v8
	v_cmp_lt_u32_e32 vcc, 2, v8
	v_add_u32_e32 v9, 16, v9
	v_add_u32_e32 v10, 16, v10
	s_or_b64 s[6:7], vcc, s[6:7]
	s_waitcnt vmcnt(2) lgkmcnt(0)
	v_mul_f64 v[20:21], v[14:15], v[16:17]
	v_mul_f64 v[16:17], v[12:13], v[16:17]
	s_waitcnt vmcnt(0)
	v_fma_f64 v[12:13], v[12:13], v[18:19], -v[20:21]
	v_fmac_f64_e32 v[16:17], v[14:15], v[18:19]
	v_add_f64 v[4:5], v[4:5], v[12:13]
	v_add_f64 v[2:3], v[2:3], v[16:17]
	s_andn2_b64 exec, exec, s[6:7]
	s_cbranch_execnz .LBB49_29
; %bb.30:
	s_or_b64 exec, exec, s[6:7]
	v_mov_b32_e32 v0, 0
	ds_read_b128 v[8:11], v0 offset:64
	s_waitcnt lgkmcnt(0)
	v_mul_f64 v[12:13], v[2:3], v[10:11]
	v_mul_f64 v[10:11], v[4:5], v[10:11]
	v_fma_f64 v[4:5], v[4:5], v[8:9], -v[12:13]
	v_fmac_f64_e32 v[10:11], v[2:3], v[8:9]
	buffer_store_dword v5, off, s[0:3], 0 offset:84
	buffer_store_dword v4, off, s[0:3], 0 offset:80
	buffer_store_dword v11, off, s[0:3], 0 offset:92
	buffer_store_dword v10, off, s[0:3], 0 offset:88
.LBB49_31:
	s_or_b64 exec, exec, s[4:5]
	v_accvgpr_read_b32 v0, a144
	s_waitcnt lgkmcnt(0)
	; wave barrier
	buffer_load_dword v2, v0, s[0:3], 0 offen
	buffer_load_dword v3, v0, s[0:3], 0 offen offset:4
	buffer_load_dword v4, v0, s[0:3], 0 offen offset:8
	buffer_load_dword v5, v0, s[0:3], 0 offen offset:12
	v_cmp_gt_u32_e32 vcc, 5, v254
	;; [unrolled: 58-line block ×19, first 2 shown]
	s_waitcnt vmcnt(0)
	ds_write_b128 v6, v[2:5]
	s_waitcnt lgkmcnt(0)
	; wave barrier
	s_waitcnt lgkmcnt(0)
	s_and_saveexec_b64 s[4:5], vcc
	s_cbranch_execz .LBB49_103
; %bb.100:
	v_pk_mov_b32 v[2:3], 0, 0
	v_add_u32_e32 v8, -1, v254
	v_add_u32_e32 v9, 0x320, v1
	v_add_u32_e32 v10, 16, v1
	s_mov_b64 s[6:7], 0
	v_pk_mov_b32 v[4:5], v[2:3], v[2:3] op_sel:[0,1]
.LBB49_101:                             ; =>This Inner Loop Header: Depth=1
	buffer_load_dword v16, v10, s[0:3], 0 offen offset:8
	buffer_load_dword v17, v10, s[0:3], 0 offen offset:12
	buffer_load_dword v18, v10, s[0:3], 0 offen
	buffer_load_dword v19, v10, s[0:3], 0 offen offset:4
	ds_read_b128 v[12:15], v9
	v_add_u32_e32 v8, 1, v8
	v_cmp_lt_u32_e32 vcc, 20, v8
	v_add_u32_e32 v9, 16, v9
	v_add_u32_e32 v10, 16, v10
	s_or_b64 s[6:7], vcc, s[6:7]
	s_waitcnt vmcnt(2) lgkmcnt(0)
	v_mul_f64 v[20:21], v[14:15], v[16:17]
	v_mul_f64 v[16:17], v[12:13], v[16:17]
	s_waitcnt vmcnt(0)
	v_fma_f64 v[12:13], v[12:13], v[18:19], -v[20:21]
	v_fmac_f64_e32 v[16:17], v[14:15], v[18:19]
	v_add_f64 v[4:5], v[4:5], v[12:13]
	v_add_f64 v[2:3], v[2:3], v[16:17]
	s_andn2_b64 exec, exec, s[6:7]
	s_cbranch_execnz .LBB49_101
; %bb.102:
	s_or_b64 exec, exec, s[6:7]
	v_mov_b32_e32 v0, 0
	ds_read_b128 v[8:11], v0 offset:352
	s_waitcnt lgkmcnt(0)
	v_mul_f64 v[12:13], v[2:3], v[10:11]
	v_mul_f64 v[10:11], v[4:5], v[10:11]
	v_fma_f64 v[4:5], v[4:5], v[8:9], -v[12:13]
	v_fmac_f64_e32 v[10:11], v[2:3], v[8:9]
	buffer_store_dword v5, off, s[0:3], 0 offset:372
	buffer_store_dword v4, off, s[0:3], 0 offset:368
	buffer_store_dword v11, off, s[0:3], 0 offset:380
	buffer_store_dword v10, off, s[0:3], 0 offset:376
.LBB49_103:
	s_or_b64 exec, exec, s[4:5]
	v_accvgpr_read_b32 v0, a126
	s_waitcnt lgkmcnt(0)
	; wave barrier
	buffer_load_dword v2, v0, s[0:3], 0 offen
	buffer_load_dword v3, v0, s[0:3], 0 offen offset:4
	buffer_load_dword v4, v0, s[0:3], 0 offen offset:8
	buffer_load_dword v5, v0, s[0:3], 0 offen offset:12
	v_cmp_gt_u32_e32 vcc, 23, v254
	s_waitcnt vmcnt(0)
	ds_write_b128 v6, v[2:5]
	s_waitcnt lgkmcnt(0)
	; wave barrier
	s_waitcnt lgkmcnt(0)
	s_and_saveexec_b64 s[4:5], vcc
	s_cbranch_execz .LBB49_107
; %bb.104:
	v_pk_mov_b32 v[2:3], 0, 0
	v_add_u32_e32 v8, -1, v254
	v_add_u32_e32 v9, 0x320, v1
	v_add_u32_e32 v10, 16, v1
	s_mov_b64 s[6:7], 0
	v_pk_mov_b32 v[4:5], v[2:3], v[2:3] op_sel:[0,1]
.LBB49_105:                             ; =>This Inner Loop Header: Depth=1
	buffer_load_dword v16, v10, s[0:3], 0 offen offset:8
	buffer_load_dword v17, v10, s[0:3], 0 offen offset:12
	buffer_load_dword v18, v10, s[0:3], 0 offen
	buffer_load_dword v19, v10, s[0:3], 0 offen offset:4
	ds_read_b128 v[12:15], v9
	v_add_u32_e32 v8, 1, v8
	v_cmp_lt_u32_e32 vcc, 21, v8
	v_add_u32_e32 v9, 16, v9
	v_add_u32_e32 v10, 16, v10
	s_or_b64 s[6:7], vcc, s[6:7]
	s_waitcnt vmcnt(2) lgkmcnt(0)
	v_mul_f64 v[20:21], v[14:15], v[16:17]
	v_mul_f64 v[16:17], v[12:13], v[16:17]
	s_waitcnt vmcnt(0)
	v_fma_f64 v[12:13], v[12:13], v[18:19], -v[20:21]
	v_fmac_f64_e32 v[16:17], v[14:15], v[18:19]
	v_add_f64 v[4:5], v[4:5], v[12:13]
	v_add_f64 v[2:3], v[2:3], v[16:17]
	s_andn2_b64 exec, exec, s[6:7]
	s_cbranch_execnz .LBB49_105
; %bb.106:
	s_or_b64 exec, exec, s[6:7]
	v_mov_b32_e32 v0, 0
	ds_read_b128 v[8:11], v0 offset:368
	s_waitcnt lgkmcnt(0)
	v_mul_f64 v[12:13], v[2:3], v[10:11]
	v_mul_f64 v[10:11], v[4:5], v[10:11]
	v_fma_f64 v[4:5], v[4:5], v[8:9], -v[12:13]
	v_fmac_f64_e32 v[10:11], v[2:3], v[8:9]
	buffer_store_dword v5, off, s[0:3], 0 offset:388
	buffer_store_dword v4, off, s[0:3], 0 offset:384
	buffer_store_dword v11, off, s[0:3], 0 offset:396
	buffer_store_dword v10, off, s[0:3], 0 offset:392
.LBB49_107:
	s_or_b64 exec, exec, s[4:5]
	v_accvgpr_read_b32 v0, a125
	s_waitcnt lgkmcnt(0)
	; wave barrier
	buffer_load_dword v2, v0, s[0:3], 0 offen
	buffer_load_dword v3, v0, s[0:3], 0 offen offset:4
	buffer_load_dword v4, v0, s[0:3], 0 offen offset:8
	buffer_load_dword v5, v0, s[0:3], 0 offen offset:12
	v_cmp_gt_u32_e32 vcc, 24, v254
	;; [unrolled: 58-line block ×26, first 2 shown]
	s_waitcnt vmcnt(0)
	ds_write_b128 v6, v[2:5]
	s_waitcnt lgkmcnt(0)
	; wave barrier
	s_waitcnt lgkmcnt(0)
	s_and_saveexec_b64 s[4:5], vcc
	s_cbranch_execz .LBB49_207
; %bb.204:
	v_pk_mov_b32 v[2:3], 0, 0
	v_add_u32_e32 v8, -1, v254
	v_add_u32_e32 v9, 0x320, v1
	v_add_u32_e32 v10, 16, v1
	s_mov_b64 s[6:7], 0
	v_pk_mov_b32 v[4:5], v[2:3], v[2:3] op_sel:[0,1]
.LBB49_205:                             ; =>This Inner Loop Header: Depth=1
	buffer_load_dword v16, v10, s[0:3], 0 offen offset:8
	buffer_load_dword v17, v10, s[0:3], 0 offen offset:12
	buffer_load_dword v18, v10, s[0:3], 0 offen
	buffer_load_dword v19, v10, s[0:3], 0 offen offset:4
	ds_read_b128 v[12:15], v9
	v_add_u32_e32 v8, 1, v8
	v_cmp_lt_u32_e32 vcc, 46, v8
	v_add_u32_e32 v9, 16, v9
	v_add_u32_e32 v10, 16, v10
	s_or_b64 s[6:7], vcc, s[6:7]
	s_waitcnt vmcnt(2) lgkmcnt(0)
	v_mul_f64 v[20:21], v[14:15], v[16:17]
	v_mul_f64 v[16:17], v[12:13], v[16:17]
	s_waitcnt vmcnt(0)
	v_fma_f64 v[12:13], v[12:13], v[18:19], -v[20:21]
	v_fmac_f64_e32 v[16:17], v[14:15], v[18:19]
	v_add_f64 v[4:5], v[4:5], v[12:13]
	v_add_f64 v[2:3], v[2:3], v[16:17]
	s_andn2_b64 exec, exec, s[6:7]
	s_cbranch_execnz .LBB49_205
; %bb.206:
	s_or_b64 exec, exec, s[6:7]
	v_mov_b32_e32 v0, 0
	ds_read_b128 v[8:11], v0 offset:768
	s_waitcnt lgkmcnt(0)
	v_mul_f64 v[12:13], v[2:3], v[10:11]
	v_mul_f64 v[10:11], v[4:5], v[10:11]
	v_fma_f64 v[4:5], v[4:5], v[8:9], -v[12:13]
	v_fmac_f64_e32 v[10:11], v[2:3], v[8:9]
	buffer_store_dword v5, off, s[0:3], 0 offset:788
	buffer_store_dword v4, off, s[0:3], 0 offset:784
	;; [unrolled: 1-line block ×4, first 2 shown]
.LBB49_207:
	s_or_b64 exec, exec, s[4:5]
	v_accvgpr_read_b32 v0, a100
	s_waitcnt lgkmcnt(0)
	; wave barrier
	buffer_load_dword v2, v0, s[0:3], 0 offen
	buffer_load_dword v3, v0, s[0:3], 0 offen offset:4
	buffer_load_dword v4, v0, s[0:3], 0 offen offset:8
	;; [unrolled: 1-line block ×3, first 2 shown]
	v_cmp_ne_u32_e32 vcc, 49, v254
	s_waitcnt vmcnt(0)
	ds_write_b128 v6, v[2:5]
	s_waitcnt lgkmcnt(0)
	; wave barrier
	s_waitcnt lgkmcnt(0)
	s_and_saveexec_b64 s[4:5], vcc
	s_cbranch_execz .LBB49_211
; %bb.208:
	v_pk_mov_b32 v[2:3], 0, 0
	v_add_u32_e32 v6, 0x320, v1
	v_add_u32_e32 v1, 16, v1
	s_mov_b64 s[6:7], 0
	v_pk_mov_b32 v[4:5], v[2:3], v[2:3] op_sel:[0,1]
.LBB49_209:                             ; =>This Inner Loop Header: Depth=1
	buffer_load_dword v12, v1, s[0:3], 0 offen offset:8
	buffer_load_dword v13, v1, s[0:3], 0 offen offset:12
	buffer_load_dword v14, v1, s[0:3], 0 offen
	buffer_load_dword v15, v1, s[0:3], 0 offen offset:4
	ds_read_b128 v[8:11], v6
	v_add_u32_e32 v7, 1, v7
	v_cmp_lt_u32_e32 vcc, 47, v7
	v_add_u32_e32 v6, 16, v6
	v_add_u32_e32 v1, 16, v1
	s_or_b64 s[6:7], vcc, s[6:7]
	s_waitcnt vmcnt(2) lgkmcnt(0)
	v_mul_f64 v[16:17], v[10:11], v[12:13]
	v_mul_f64 v[12:13], v[8:9], v[12:13]
	s_waitcnt vmcnt(0)
	v_fma_f64 v[8:9], v[8:9], v[14:15], -v[16:17]
	v_fmac_f64_e32 v[12:13], v[10:11], v[14:15]
	v_add_f64 v[4:5], v[4:5], v[8:9]
	v_add_f64 v[2:3], v[2:3], v[12:13]
	s_andn2_b64 exec, exec, s[6:7]
	s_cbranch_execnz .LBB49_209
; %bb.210:
	s_or_b64 exec, exec, s[6:7]
	v_mov_b32_e32 v0, 0
	ds_read_b128 v[6:9], v0 offset:784
	s_waitcnt lgkmcnt(0)
	v_mul_f64 v[10:11], v[2:3], v[8:9]
	v_mul_f64 v[8:9], v[4:5], v[8:9]
	v_fma_f64 v[4:5], v[4:5], v[6:7], -v[10:11]
	v_fmac_f64_e32 v[8:9], v[2:3], v[6:7]
	buffer_store_dword v5, off, s[0:3], 0 offset:804
	buffer_store_dword v4, off, s[0:3], 0 offset:800
	;; [unrolled: 1-line block ×4, first 2 shown]
.LBB49_211:
	s_or_b64 exec, exec, s[4:5]
	s_mov_b64 s[6:7], -1
	s_waitcnt lgkmcnt(0)
	; wave barrier
.LBB49_212:
	s_and_b64 vcc, exec, s[6:7]
	s_cbranch_vccz .LBB49_214
; %bb.213:
	s_lshl_b64 s[4:5], s[8:9], 2
	s_add_u32 s4, s14, s4
	s_addc_u32 s5, s15, s5
	v_mov_b32_e32 v0, 0
	global_load_dword v0, v0, s[4:5]
	s_waitcnt vmcnt(0)
	v_cmp_ne_u32_e32 vcc, 0, v0
	s_cbranch_vccz .LBB49_215
.LBB49_214:
	s_endpgm
.LBB49_215:
	v_mov_b32_e32 v0, 0x320
	v_lshl_add_u32 v0, v254, 4, v0
	v_accvgpr_write_b32 a150, v0
	v_cmp_eq_u32_e32 vcc, 49, v254
	s_and_saveexec_b64 s[4:5], vcc
	s_cbranch_execz .LBB49_217
; %bb.216:
	v_accvgpr_read_b32 v0, a101
	buffer_load_dword v2, v0, s[0:3], 0 offen
	buffer_load_dword v3, v0, s[0:3], 0 offen offset:4
	buffer_load_dword v4, v0, s[0:3], 0 offen offset:8
	;; [unrolled: 1-line block ×3, first 2 shown]
	v_mov_b32_e32 v0, 0
	v_accvgpr_read_b32 v1, a150
	buffer_store_dword v0, off, s[0:3], 0 offset:784
	buffer_store_dword v0, off, s[0:3], 0 offset:788
	;; [unrolled: 1-line block ×4, first 2 shown]
	s_waitcnt vmcnt(4)
	ds_write_b128 v1, v[2:5]
.LBB49_217:
	s_or_b64 exec, exec, s[4:5]
	s_waitcnt lgkmcnt(0)
	; wave barrier
	s_waitcnt lgkmcnt(0)
	buffer_load_dword v6, off, s[0:3], 0 offset:808
	buffer_load_dword v7, off, s[0:3], 0 offset:812
	;; [unrolled: 1-line block ×8, first 2 shown]
	v_mov_b32_e32 v1, 0
	ds_read_b128 v[2:5], v1 offset:1584
	v_cmp_lt_u32_e32 vcc, 47, v254
	s_waitcnt vmcnt(6) lgkmcnt(0)
	v_mul_f64 v[14:15], v[2:3], v[6:7]
	v_mul_f64 v[6:7], v[4:5], v[6:7]
	s_waitcnt vmcnt(4)
	v_fma_f64 v[2:3], v[2:3], v[8:9], -v[6:7]
	v_fmac_f64_e32 v[14:15], v[4:5], v[8:9]
	v_add_f64 v[2:3], v[2:3], 0
	v_add_f64 v[4:5], v[14:15], 0
	s_waitcnt vmcnt(2)
	v_add_f64 v[2:3], v[10:11], -v[2:3]
	s_waitcnt vmcnt(0)
	v_add_f64 v[4:5], v[12:13], -v[4:5]
	buffer_store_dword v2, off, s[0:3], 0 offset:784
	buffer_store_dword v3, off, s[0:3], 0 offset:788
	;; [unrolled: 1-line block ×4, first 2 shown]
	s_and_saveexec_b64 s[4:5], vcc
	s_cbranch_execz .LBB49_219
; %bb.218:
	v_accvgpr_read_b32 v0, a102
	buffer_load_dword v2, v0, s[0:3], 0 offen
	buffer_load_dword v3, v0, s[0:3], 0 offen offset:4
	buffer_load_dword v4, v0, s[0:3], 0 offen offset:8
	;; [unrolled: 1-line block ×3, first 2 shown]
	v_accvgpr_read_b32 v0, a150
	buffer_store_dword v1, off, s[0:3], 0 offset:768
	buffer_store_dword v1, off, s[0:3], 0 offset:772
	;; [unrolled: 1-line block ×4, first 2 shown]
	s_waitcnt vmcnt(4)
	ds_write_b128 v0, v[2:5]
.LBB49_219:
	s_or_b64 exec, exec, s[4:5]
	s_waitcnt lgkmcnt(0)
	; wave barrier
	s_waitcnt lgkmcnt(0)
	buffer_load_dword v10, off, s[0:3], 0 offset:792
	buffer_load_dword v11, off, s[0:3], 0 offset:796
	;; [unrolled: 1-line block ×12, first 2 shown]
	ds_read_b128 v[2:5], v1 offset:1568
	ds_read_b128 v[6:9], v1 offset:1584
	v_cmp_lt_u32_e32 vcc, 46, v254
	s_waitcnt vmcnt(10) lgkmcnt(1)
	v_mul_f64 v[22:23], v[2:3], v[10:11]
	v_mul_f64 v[10:11], v[4:5], v[10:11]
	s_waitcnt vmcnt(8) lgkmcnt(0)
	v_mul_f64 v[24:25], v[6:7], v[12:13]
	v_mul_f64 v[12:13], v[8:9], v[12:13]
	s_waitcnt vmcnt(6)
	v_fma_f64 v[2:3], v[2:3], v[14:15], -v[10:11]
	v_fmac_f64_e32 v[22:23], v[4:5], v[14:15]
	s_waitcnt vmcnt(4)
	v_fma_f64 v[4:5], v[6:7], v[16:17], -v[12:13]
	v_add_f64 v[2:3], v[2:3], 0
	v_fmac_f64_e32 v[24:25], v[8:9], v[16:17]
	v_add_f64 v[6:7], v[22:23], 0
	v_add_f64 v[2:3], v[2:3], v[4:5]
	;; [unrolled: 1-line block ×3, first 2 shown]
	s_waitcnt vmcnt(2)
	v_add_f64 v[2:3], v[18:19], -v[2:3]
	s_waitcnt vmcnt(0)
	v_add_f64 v[4:5], v[20:21], -v[6:7]
	buffer_store_dword v2, off, s[0:3], 0 offset:768
	buffer_store_dword v3, off, s[0:3], 0 offset:772
	;; [unrolled: 1-line block ×4, first 2 shown]
	s_and_saveexec_b64 s[4:5], vcc
	s_cbranch_execz .LBB49_221
; %bb.220:
	v_accvgpr_read_b32 v0, a103
	buffer_load_dword v2, v0, s[0:3], 0 offen
	buffer_load_dword v3, v0, s[0:3], 0 offen offset:4
	buffer_load_dword v4, v0, s[0:3], 0 offen offset:8
	;; [unrolled: 1-line block ×3, first 2 shown]
	v_mov_b32_e32 v0, 0
	v_accvgpr_read_b32 v1, a150
	buffer_store_dword v0, off, s[0:3], 0 offset:752
	buffer_store_dword v0, off, s[0:3], 0 offset:756
	buffer_store_dword v0, off, s[0:3], 0 offset:760
	buffer_store_dword v0, off, s[0:3], 0 offset:764
	s_waitcnt vmcnt(4)
	ds_write_b128 v1, v[2:5]
.LBB49_221:
	s_or_b64 exec, exec, s[4:5]
	s_waitcnt lgkmcnt(0)
	; wave barrier
	s_waitcnt lgkmcnt(0)
	buffer_load_dword v14, off, s[0:3], 0 offset:776
	buffer_load_dword v15, off, s[0:3], 0 offset:780
	;; [unrolled: 1-line block ×16, first 2 shown]
	v_mov_b32_e32 v1, 0
	ds_read_b128 v[2:5], v1 offset:1552
	ds_read_b128 v[6:9], v1 offset:1568
	;; [unrolled: 1-line block ×3, first 2 shown]
	v_cmp_lt_u32_e32 vcc, 45, v254
	s_waitcnt vmcnt(14) lgkmcnt(2)
	v_mul_f64 v[30:31], v[2:3], v[14:15]
	v_mul_f64 v[14:15], v[4:5], v[14:15]
	s_waitcnt vmcnt(12) lgkmcnt(1)
	v_mul_f64 v[32:33], v[6:7], v[16:17]
	v_mul_f64 v[16:17], v[8:9], v[16:17]
	s_waitcnt vmcnt(10) lgkmcnt(0)
	v_mul_f64 v[34:35], v[10:11], v[18:19]
	v_mul_f64 v[18:19], v[12:13], v[18:19]
	s_waitcnt vmcnt(8)
	v_fma_f64 v[2:3], v[2:3], v[20:21], -v[14:15]
	v_fmac_f64_e32 v[30:31], v[4:5], v[20:21]
	s_waitcnt vmcnt(6)
	v_fma_f64 v[4:5], v[6:7], v[22:23], -v[16:17]
	v_add_f64 v[2:3], v[2:3], 0
	v_fmac_f64_e32 v[32:33], v[8:9], v[22:23]
	s_waitcnt vmcnt(4)
	v_fma_f64 v[6:7], v[10:11], v[24:25], -v[18:19]
	v_add_f64 v[8:9], v[30:31], 0
	v_add_f64 v[2:3], v[2:3], v[4:5]
	v_fmac_f64_e32 v[34:35], v[12:13], v[24:25]
	v_add_f64 v[8:9], v[8:9], v[32:33]
	v_add_f64 v[2:3], v[2:3], v[6:7]
	v_add_f64 v[4:5], v[8:9], v[34:35]
	s_waitcnt vmcnt(2)
	v_add_f64 v[2:3], v[26:27], -v[2:3]
	s_waitcnt vmcnt(0)
	v_add_f64 v[4:5], v[28:29], -v[4:5]
	buffer_store_dword v2, off, s[0:3], 0 offset:752
	buffer_store_dword v3, off, s[0:3], 0 offset:756
	;; [unrolled: 1-line block ×4, first 2 shown]
	s_and_saveexec_b64 s[4:5], vcc
	s_cbranch_execz .LBB49_223
; %bb.222:
	v_accvgpr_read_b32 v0, a104
	buffer_load_dword v2, v0, s[0:3], 0 offen
	buffer_load_dword v3, v0, s[0:3], 0 offen offset:4
	buffer_load_dword v4, v0, s[0:3], 0 offen offset:8
	;; [unrolled: 1-line block ×3, first 2 shown]
	v_accvgpr_read_b32 v0, a150
	buffer_store_dword v1, off, s[0:3], 0 offset:736
	buffer_store_dword v1, off, s[0:3], 0 offset:740
	;; [unrolled: 1-line block ×4, first 2 shown]
	s_waitcnt vmcnt(4)
	ds_write_b128 v0, v[2:5]
.LBB49_223:
	s_or_b64 exec, exec, s[4:5]
	s_waitcnt lgkmcnt(0)
	; wave barrier
	s_waitcnt lgkmcnt(0)
	buffer_load_dword v18, off, s[0:3], 0 offset:760
	buffer_load_dword v19, off, s[0:3], 0 offset:764
	;; [unrolled: 1-line block ×20, first 2 shown]
	ds_read_b128 v[2:5], v1 offset:1536
	ds_read_b128 v[6:9], v1 offset:1552
	;; [unrolled: 1-line block ×4, first 2 shown]
	v_cmp_lt_u32_e32 vcc, 44, v254
	s_waitcnt vmcnt(18) lgkmcnt(3)
	v_mul_f64 v[38:39], v[2:3], v[18:19]
	v_mul_f64 v[18:19], v[4:5], v[18:19]
	s_waitcnt vmcnt(16) lgkmcnt(2)
	v_mul_f64 v[40:41], v[6:7], v[20:21]
	v_mul_f64 v[20:21], v[8:9], v[20:21]
	;; [unrolled: 3-line block ×4, first 2 shown]
	s_waitcnt vmcnt(10)
	v_fma_f64 v[2:3], v[2:3], v[26:27], -v[18:19]
	v_fmac_f64_e32 v[38:39], v[4:5], v[26:27]
	s_waitcnt vmcnt(8)
	v_fma_f64 v[4:5], v[6:7], v[28:29], -v[20:21]
	v_add_f64 v[2:3], v[2:3], 0
	v_fmac_f64_e32 v[40:41], v[8:9], v[28:29]
	s_waitcnt vmcnt(6)
	v_fma_f64 v[6:7], v[10:11], v[30:31], -v[22:23]
	v_add_f64 v[10:11], v[38:39], 0
	v_add_f64 v[2:3], v[2:3], v[4:5]
	v_fmac_f64_e32 v[42:43], v[12:13], v[30:31]
	s_waitcnt vmcnt(4)
	v_fma_f64 v[8:9], v[14:15], v[32:33], -v[24:25]
	v_add_f64 v[10:11], v[10:11], v[40:41]
	v_add_f64 v[2:3], v[2:3], v[6:7]
	v_fmac_f64_e32 v[44:45], v[16:17], v[32:33]
	v_add_f64 v[4:5], v[10:11], v[42:43]
	v_add_f64 v[2:3], v[2:3], v[8:9]
	;; [unrolled: 1-line block ×3, first 2 shown]
	s_waitcnt vmcnt(2)
	v_add_f64 v[2:3], v[34:35], -v[2:3]
	s_waitcnt vmcnt(0)
	v_add_f64 v[4:5], v[36:37], -v[4:5]
	buffer_store_dword v2, off, s[0:3], 0 offset:736
	buffer_store_dword v3, off, s[0:3], 0 offset:740
	;; [unrolled: 1-line block ×4, first 2 shown]
	s_and_saveexec_b64 s[4:5], vcc
	s_cbranch_execz .LBB49_225
; %bb.224:
	v_accvgpr_read_b32 v0, a105
	buffer_load_dword v2, v0, s[0:3], 0 offen
	buffer_load_dword v3, v0, s[0:3], 0 offen offset:4
	buffer_load_dword v4, v0, s[0:3], 0 offen offset:8
	;; [unrolled: 1-line block ×3, first 2 shown]
	v_mov_b32_e32 v0, 0
	v_accvgpr_read_b32 v1, a150
	buffer_store_dword v0, off, s[0:3], 0 offset:720
	buffer_store_dword v0, off, s[0:3], 0 offset:724
	;; [unrolled: 1-line block ×4, first 2 shown]
	s_waitcnt vmcnt(4)
	ds_write_b128 v1, v[2:5]
.LBB49_225:
	s_or_b64 exec, exec, s[4:5]
	s_waitcnt lgkmcnt(0)
	; wave barrier
	s_waitcnt lgkmcnt(0)
	buffer_load_dword v22, off, s[0:3], 0 offset:744
	buffer_load_dword v23, off, s[0:3], 0 offset:748
	;; [unrolled: 1-line block ×24, first 2 shown]
	v_mov_b32_e32 v1, 0
	ds_read_b128 v[2:5], v1 offset:1520
	ds_read_b128 v[6:9], v1 offset:1536
	;; [unrolled: 1-line block ×5, first 2 shown]
	v_cmp_lt_u32_e32 vcc, 43, v254
	s_waitcnt vmcnt(22) lgkmcnt(4)
	v_mul_f64 v[46:47], v[2:3], v[22:23]
	v_mul_f64 v[22:23], v[4:5], v[22:23]
	s_waitcnt vmcnt(20) lgkmcnt(3)
	v_mul_f64 v[48:49], v[6:7], v[24:25]
	v_mul_f64 v[24:25], v[8:9], v[24:25]
	;; [unrolled: 3-line block ×4, first 2 shown]
	s_waitcnt vmcnt(13) lgkmcnt(0)
	v_mul_f64 v[54:55], v[18:19], v[28:29]
	s_waitcnt vmcnt(11)
	v_fma_f64 v[2:3], v[2:3], v[34:35], -v[22:23]
	v_fmac_f64_e32 v[46:47], v[4:5], v[34:35]
	s_waitcnt vmcnt(9)
	v_fma_f64 v[4:5], v[6:7], v[36:37], -v[24:25]
	v_add_f64 v[2:3], v[2:3], 0
	v_fmac_f64_e32 v[48:49], v[8:9], v[36:37]
	s_waitcnt vmcnt(7)
	v_fmac_f64_e32 v[50:51], v[12:13], v[38:39]
	v_fma_f64 v[6:7], v[10:11], v[38:39], -v[26:27]
	v_add_f64 v[12:13], v[46:47], 0
	v_add_f64 v[2:3], v[2:3], v[4:5]
	v_mul_f64 v[28:29], v[20:21], v[28:29]
	s_waitcnt vmcnt(5)
	v_fma_f64 v[8:9], v[14:15], v[40:41], -v[32:33]
	v_add_f64 v[12:13], v[12:13], v[48:49]
	v_add_f64 v[2:3], v[2:3], v[6:7]
	v_fmac_f64_e32 v[52:53], v[16:17], v[40:41]
	s_waitcnt vmcnt(4)
	v_fma_f64 v[10:11], v[18:19], v[30:31], -v[28:29]
	v_add_f64 v[4:5], v[12:13], v[50:51]
	v_add_f64 v[2:3], v[2:3], v[8:9]
	v_fmac_f64_e32 v[54:55], v[20:21], v[30:31]
	v_add_f64 v[4:5], v[4:5], v[52:53]
	v_add_f64 v[2:3], v[2:3], v[10:11]
	;; [unrolled: 1-line block ×3, first 2 shown]
	s_waitcnt vmcnt(2)
	v_add_f64 v[2:3], v[42:43], -v[2:3]
	s_waitcnt vmcnt(0)
	v_add_f64 v[4:5], v[44:45], -v[4:5]
	buffer_store_dword v3, off, s[0:3], 0 offset:724
	buffer_store_dword v2, off, s[0:3], 0 offset:720
	;; [unrolled: 1-line block ×4, first 2 shown]
	s_and_saveexec_b64 s[4:5], vcc
	s_cbranch_execz .LBB49_227
; %bb.226:
	v_accvgpr_read_b32 v0, a106
	buffer_load_dword v2, v0, s[0:3], 0 offen
	buffer_load_dword v3, v0, s[0:3], 0 offen offset:4
	buffer_load_dword v4, v0, s[0:3], 0 offen offset:8
	;; [unrolled: 1-line block ×3, first 2 shown]
	v_accvgpr_read_b32 v0, a150
	buffer_store_dword v1, off, s[0:3], 0 offset:704
	buffer_store_dword v1, off, s[0:3], 0 offset:708
	;; [unrolled: 1-line block ×4, first 2 shown]
	s_waitcnt vmcnt(4)
	ds_write_b128 v0, v[2:5]
.LBB49_227:
	s_or_b64 exec, exec, s[4:5]
	s_waitcnt lgkmcnt(0)
	; wave barrier
	s_waitcnt lgkmcnt(0)
	buffer_load_dword v26, off, s[0:3], 0 offset:728
	buffer_load_dword v27, off, s[0:3], 0 offset:732
	;; [unrolled: 1-line block ×28, first 2 shown]
	ds_read_b128 v[2:5], v1 offset:1504
	ds_read_b128 v[6:9], v1 offset:1520
	;; [unrolled: 1-line block ×6, first 2 shown]
	v_cmp_lt_u32_e32 vcc, 42, v254
	s_waitcnt vmcnt(26) lgkmcnt(5)
	v_mul_f64 v[54:55], v[2:3], v[26:27]
	v_mul_f64 v[26:27], v[4:5], v[26:27]
	s_waitcnt vmcnt(24) lgkmcnt(4)
	v_mul_f64 v[56:57], v[6:7], v[28:29]
	v_mul_f64 v[28:29], v[8:9], v[28:29]
	;; [unrolled: 3-line block ×4, first 2 shown]
	s_waitcnt vmcnt(17)
	v_mul_f64 v[60:61], v[14:15], v[36:37]
	v_mul_f64 v[36:37], v[16:17], v[36:37]
	s_waitcnt vmcnt(15) lgkmcnt(0)
	v_mul_f64 v[64:65], v[22:23], v[38:39]
	v_mul_f64 v[38:39], v[24:25], v[38:39]
	s_waitcnt vmcnt(14)
	v_fmac_f64_e32 v[62:63], v[20:21], v[34:35]
	s_waitcnt vmcnt(12)
	v_fma_f64 v[2:3], v[2:3], v[40:41], -v[26:27]
	v_fmac_f64_e32 v[54:55], v[4:5], v[40:41]
	s_waitcnt vmcnt(10)
	v_fma_f64 v[4:5], v[6:7], v[42:43], -v[28:29]
	v_add_f64 v[2:3], v[2:3], 0
	v_fmac_f64_e32 v[56:57], v[8:9], v[42:43]
	s_waitcnt vmcnt(8)
	v_fma_f64 v[6:7], v[10:11], v[44:45], -v[30:31]
	s_waitcnt vmcnt(6)
	v_fma_f64 v[8:9], v[14:15], v[46:47], -v[36:37]
	v_add_f64 v[14:15], v[54:55], 0
	v_add_f64 v[2:3], v[2:3], v[4:5]
	v_fmac_f64_e32 v[58:59], v[12:13], v[44:45]
	v_add_f64 v[14:15], v[14:15], v[56:57]
	v_add_f64 v[2:3], v[2:3], v[6:7]
	v_fmac_f64_e32 v[60:61], v[16:17], v[46:47]
	v_fma_f64 v[10:11], v[18:19], v[34:35], -v[32:33]
	v_add_f64 v[4:5], v[14:15], v[58:59]
	v_add_f64 v[2:3], v[2:3], v[8:9]
	s_waitcnt vmcnt(4)
	v_fma_f64 v[12:13], v[22:23], v[48:49], -v[38:39]
	v_add_f64 v[4:5], v[4:5], v[60:61]
	v_add_f64 v[2:3], v[2:3], v[10:11]
	v_fmac_f64_e32 v[64:65], v[24:25], v[48:49]
	v_add_f64 v[4:5], v[4:5], v[62:63]
	v_add_f64 v[2:3], v[2:3], v[12:13]
	;; [unrolled: 1-line block ×3, first 2 shown]
	s_waitcnt vmcnt(2)
	v_add_f64 v[2:3], v[50:51], -v[2:3]
	s_waitcnt vmcnt(0)
	v_add_f64 v[4:5], v[52:53], -v[4:5]
	buffer_store_dword v3, off, s[0:3], 0 offset:708
	buffer_store_dword v2, off, s[0:3], 0 offset:704
	;; [unrolled: 1-line block ×4, first 2 shown]
	s_and_saveexec_b64 s[4:5], vcc
	s_cbranch_execz .LBB49_229
; %bb.228:
	v_accvgpr_read_b32 v0, a107
	buffer_load_dword v2, v0, s[0:3], 0 offen
	buffer_load_dword v3, v0, s[0:3], 0 offen offset:4
	buffer_load_dword v4, v0, s[0:3], 0 offen offset:8
	;; [unrolled: 1-line block ×3, first 2 shown]
	v_mov_b32_e32 v0, 0
	v_accvgpr_read_b32 v1, a150
	buffer_store_dword v0, off, s[0:3], 0 offset:688
	buffer_store_dword v0, off, s[0:3], 0 offset:692
	;; [unrolled: 1-line block ×4, first 2 shown]
	s_waitcnt vmcnt(4)
	ds_write_b128 v1, v[2:5]
.LBB49_229:
	s_or_b64 exec, exec, s[4:5]
	s_waitcnt lgkmcnt(0)
	; wave barrier
	s_waitcnt lgkmcnt(0)
	buffer_load_dword v30, off, s[0:3], 0 offset:712
	buffer_load_dword v31, off, s[0:3], 0 offset:716
	;; [unrolled: 1-line block ×32, first 2 shown]
	v_mov_b32_e32 v1, 0
	ds_read_b128 v[2:5], v1 offset:1488
	ds_read_b128 v[6:9], v1 offset:1504
	ds_read_b128 v[10:13], v1 offset:1520
	ds_read_b128 v[14:17], v1 offset:1536
	ds_read_b128 v[18:21], v1 offset:1552
	ds_read_b128 v[22:25], v1 offset:1568
	ds_read_b128 v[26:29], v1 offset:1584
	v_cmp_lt_u32_e32 vcc, 41, v254
	s_waitcnt vmcnt(30) lgkmcnt(6)
	v_mul_f64 v[62:63], v[2:3], v[30:31]
	v_mul_f64 v[30:31], v[4:5], v[30:31]
	s_waitcnt vmcnt(28) lgkmcnt(5)
	v_mul_f64 v[64:65], v[6:7], v[32:33]
	v_mul_f64 v[32:33], v[8:9], v[32:33]
	;; [unrolled: 3-line block ×4, first 2 shown]
	s_waitcnt vmcnt(21)
	v_mul_f64 v[68:69], v[14:15], v[40:41]
	v_mul_f64 v[40:41], v[16:17], v[40:41]
	s_waitcnt vmcnt(17) lgkmcnt(1)
	v_mul_f64 v[72:73], v[22:23], v[46:47]
	v_mul_f64 v[46:47], v[24:25], v[46:47]
	s_waitcnt vmcnt(16) lgkmcnt(0)
	v_mul_f64 v[74:75], v[26:27], v[42:43]
	v_mul_f64 v[42:43], v[28:29], v[42:43]
	s_waitcnt vmcnt(13)
	v_fma_f64 v[2:3], v[2:3], v[48:49], -v[30:31]
	v_fmac_f64_e32 v[62:63], v[4:5], v[48:49]
	s_waitcnt vmcnt(11)
	v_fma_f64 v[4:5], v[6:7], v[50:51], -v[32:33]
	v_add_f64 v[2:3], v[2:3], 0
	v_fmac_f64_e32 v[64:65], v[8:9], v[50:51]
	s_waitcnt vmcnt(9)
	v_fma_f64 v[6:7], v[10:11], v[52:53], -v[34:35]
	s_waitcnt vmcnt(7)
	v_fmac_f64_e32 v[68:69], v[16:17], v[54:55]
	v_add_f64 v[16:17], v[62:63], 0
	v_add_f64 v[2:3], v[2:3], v[4:5]
	v_fmac_f64_e32 v[66:67], v[12:13], v[52:53]
	v_fma_f64 v[8:9], v[14:15], v[54:55], -v[40:41]
	v_add_f64 v[16:17], v[16:17], v[64:65]
	v_add_f64 v[2:3], v[2:3], v[6:7]
	v_fma_f64 v[10:11], v[18:19], v[38:39], -v[36:37]
	v_add_f64 v[4:5], v[16:17], v[66:67]
	v_add_f64 v[2:3], v[2:3], v[8:9]
	v_fmac_f64_e32 v[70:71], v[20:21], v[38:39]
	s_waitcnt vmcnt(5)
	v_fma_f64 v[12:13], v[22:23], v[56:57], -v[46:47]
	v_add_f64 v[4:5], v[4:5], v[68:69]
	v_add_f64 v[2:3], v[2:3], v[10:11]
	v_fmac_f64_e32 v[72:73], v[24:25], v[56:57]
	s_waitcnt vmcnt(4)
	v_fma_f64 v[14:15], v[26:27], v[44:45], -v[42:43]
	v_add_f64 v[4:5], v[4:5], v[70:71]
	v_add_f64 v[2:3], v[2:3], v[12:13]
	v_fmac_f64_e32 v[74:75], v[28:29], v[44:45]
	v_add_f64 v[4:5], v[4:5], v[72:73]
	v_add_f64 v[2:3], v[2:3], v[14:15]
	v_add_f64 v[4:5], v[4:5], v[74:75]
	s_waitcnt vmcnt(2)
	v_add_f64 v[2:3], v[58:59], -v[2:3]
	s_waitcnt vmcnt(0)
	v_add_f64 v[4:5], v[60:61], -v[4:5]
	buffer_store_dword v3, off, s[0:3], 0 offset:692
	buffer_store_dword v2, off, s[0:3], 0 offset:688
	;; [unrolled: 1-line block ×4, first 2 shown]
	s_and_saveexec_b64 s[4:5], vcc
	s_cbranch_execz .LBB49_231
; %bb.230:
	v_accvgpr_read_b32 v0, a108
	buffer_load_dword v2, v0, s[0:3], 0 offen
	buffer_load_dword v3, v0, s[0:3], 0 offen offset:4
	buffer_load_dword v4, v0, s[0:3], 0 offen offset:8
	;; [unrolled: 1-line block ×3, first 2 shown]
	v_accvgpr_read_b32 v0, a150
	buffer_store_dword v1, off, s[0:3], 0 offset:672
	buffer_store_dword v1, off, s[0:3], 0 offset:676
	;; [unrolled: 1-line block ×4, first 2 shown]
	s_waitcnt vmcnt(4)
	ds_write_b128 v0, v[2:5]
.LBB49_231:
	s_or_b64 exec, exec, s[4:5]
	s_waitcnt lgkmcnt(0)
	; wave barrier
	s_waitcnt lgkmcnt(0)
	buffer_load_dword v34, off, s[0:3], 0 offset:696
	buffer_load_dword v35, off, s[0:3], 0 offset:700
	;; [unrolled: 1-line block ×36, first 2 shown]
	ds_read_b128 v[2:5], v1 offset:1472
	ds_read_b128 v[6:9], v1 offset:1488
	;; [unrolled: 1-line block ×8, first 2 shown]
	v_cmp_lt_u32_e32 vcc, 40, v254
	s_waitcnt vmcnt(34) lgkmcnt(7)
	v_mul_f64 v[70:71], v[2:3], v[34:35]
	v_mul_f64 v[34:35], v[4:5], v[34:35]
	s_waitcnt vmcnt(32) lgkmcnt(6)
	v_mul_f64 v[72:73], v[6:7], v[36:37]
	v_mul_f64 v[36:37], v[8:9], v[36:37]
	;; [unrolled: 3-line block ×4, first 2 shown]
	s_waitcnt vmcnt(25)
	v_mul_f64 v[76:77], v[14:15], v[44:45]
	v_mul_f64 v[44:45], v[16:17], v[44:45]
	s_waitcnt vmcnt(23) lgkmcnt(1)
	v_mul_f64 v[82:83], v[26:27], v[46:47]
	v_mul_f64 v[46:47], v[28:29], v[46:47]
	s_waitcnt vmcnt(20)
	v_mul_f64 v[80:81], v[22:23], v[50:51]
	v_mul_f64 v[50:51], v[24:25], v[50:51]
	s_waitcnt vmcnt(18) lgkmcnt(0)
	v_mul_f64 v[84:85], v[30:31], v[52:53]
	s_waitcnt vmcnt(17)
	v_fmac_f64_e32 v[78:79], v[20:21], v[42:43]
	s_waitcnt vmcnt(16)
	v_fmac_f64_e32 v[82:83], v[28:29], v[48:49]
	s_waitcnt vmcnt(14)
	v_fma_f64 v[2:3], v[2:3], v[54:55], -v[34:35]
	v_fmac_f64_e32 v[70:71], v[4:5], v[54:55]
	s_waitcnt vmcnt(12)
	v_fma_f64 v[4:5], v[6:7], v[56:57], -v[36:37]
	v_add_f64 v[2:3], v[2:3], 0
	v_fmac_f64_e32 v[72:73], v[8:9], v[56:57]
	s_waitcnt vmcnt(10)
	v_fma_f64 v[6:7], v[10:11], v[58:59], -v[38:39]
	s_waitcnt vmcnt(8)
	v_fmac_f64_e32 v[76:77], v[16:17], v[60:61]
	v_add_f64 v[16:17], v[70:71], 0
	v_add_f64 v[2:3], v[2:3], v[4:5]
	v_fmac_f64_e32 v[74:75], v[12:13], v[58:59]
	v_fma_f64 v[8:9], v[14:15], v[60:61], -v[44:45]
	v_add_f64 v[16:17], v[16:17], v[72:73]
	v_add_f64 v[2:3], v[2:3], v[6:7]
	v_fma_f64 v[10:11], v[18:19], v[42:43], -v[40:41]
	v_add_f64 v[4:5], v[16:17], v[74:75]
	v_add_f64 v[2:3], v[2:3], v[8:9]
	s_waitcnt vmcnt(6)
	v_fma_f64 v[12:13], v[22:23], v[62:63], -v[50:51]
	v_add_f64 v[4:5], v[4:5], v[76:77]
	v_add_f64 v[2:3], v[2:3], v[10:11]
	v_fmac_f64_e32 v[80:81], v[24:25], v[62:63]
	v_fma_f64 v[14:15], v[26:27], v[48:49], -v[46:47]
	v_add_f64 v[4:5], v[4:5], v[78:79]
	v_add_f64 v[2:3], v[2:3], v[12:13]
	v_mul_f64 v[6:7], v[32:33], v[52:53]
	v_add_f64 v[4:5], v[4:5], v[80:81]
	v_add_f64 v[2:3], v[2:3], v[14:15]
	s_waitcnt vmcnt(4)
	v_fma_f64 v[6:7], v[30:31], v[64:65], -v[6:7]
	v_fmac_f64_e32 v[84:85], v[32:33], v[64:65]
	v_add_f64 v[4:5], v[4:5], v[82:83]
	v_add_f64 v[2:3], v[2:3], v[6:7]
	;; [unrolled: 1-line block ×3, first 2 shown]
	s_waitcnt vmcnt(2)
	v_add_f64 v[2:3], v[66:67], -v[2:3]
	s_waitcnt vmcnt(0)
	v_add_f64 v[4:5], v[68:69], -v[4:5]
	buffer_store_dword v3, off, s[0:3], 0 offset:676
	buffer_store_dword v2, off, s[0:3], 0 offset:672
	;; [unrolled: 1-line block ×4, first 2 shown]
	s_and_saveexec_b64 s[4:5], vcc
	s_cbranch_execz .LBB49_233
; %bb.232:
	v_accvgpr_read_b32 v0, a109
	buffer_load_dword v2, v0, s[0:3], 0 offen
	buffer_load_dword v3, v0, s[0:3], 0 offen offset:4
	buffer_load_dword v4, v0, s[0:3], 0 offen offset:8
	;; [unrolled: 1-line block ×3, first 2 shown]
	v_mov_b32_e32 v0, 0
	v_accvgpr_read_b32 v1, a150
	buffer_store_dword v0, off, s[0:3], 0 offset:656
	buffer_store_dword v0, off, s[0:3], 0 offset:660
	;; [unrolled: 1-line block ×4, first 2 shown]
	s_waitcnt vmcnt(4)
	ds_write_b128 v1, v[2:5]
.LBB49_233:
	s_or_b64 exec, exec, s[4:5]
	s_waitcnt lgkmcnt(0)
	; wave barrier
	s_waitcnt lgkmcnt(0)
	buffer_load_dword v38, off, s[0:3], 0 offset:680
	buffer_load_dword v39, off, s[0:3], 0 offset:684
	;; [unrolled: 1-line block ×40, first 2 shown]
	v_mov_b32_e32 v1, 0
	ds_read_b128 v[2:5], v1 offset:1456
	ds_read_b128 v[6:9], v1 offset:1472
	;; [unrolled: 1-line block ×9, first 2 shown]
	v_cmp_lt_u32_e32 vcc, 39, v254
	s_waitcnt vmcnt(38) lgkmcnt(8)
	v_mul_f64 v[78:79], v[2:3], v[38:39]
	v_mul_f64 v[38:39], v[4:5], v[38:39]
	s_waitcnt vmcnt(36) lgkmcnt(7)
	v_mul_f64 v[80:81], v[6:7], v[40:41]
	v_mul_f64 v[40:41], v[8:9], v[40:41]
	;; [unrolled: 3-line block ×3, first 2 shown]
	s_waitcnt vmcnt(32) lgkmcnt(4)
	v_mul_f64 v[86:87], v[18:19], v[44:45]
	s_waitcnt vmcnt(30)
	v_fmac_f64_e32 v[86:87], v[20:21], v[46:47]
	s_waitcnt vmcnt(28)
	v_mul_f64 v[84:85], v[14:15], v[48:49]
	v_mul_f64 v[48:49], v[16:17], v[48:49]
	s_waitcnt vmcnt(26) lgkmcnt(2)
	v_mul_f64 v[90:91], v[26:27], v[50:51]
	s_waitcnt vmcnt(24)
	v_fmac_f64_e32 v[90:91], v[28:29], v[52:53]
	s_waitcnt vmcnt(22)
	v_mul_f64 v[88:89], v[22:23], v[54:55]
	s_waitcnt vmcnt(18) lgkmcnt(1)
	v_mul_f64 v[92:93], v[30:31], v[60:61]
	s_waitcnt vmcnt(17) lgkmcnt(0)
	v_mul_f64 v[94:95], v[34:35], v[56:57]
	s_waitcnt vmcnt(15)
	v_fma_f64 v[2:3], v[2:3], v[62:63], -v[38:39]
	v_fmac_f64_e32 v[78:79], v[4:5], v[62:63]
	s_waitcnt vmcnt(13)
	v_fma_f64 v[4:5], v[6:7], v[64:65], -v[40:41]
	v_add_f64 v[2:3], v[2:3], 0
	s_waitcnt vmcnt(11)
	v_fma_f64 v[6:7], v[10:11], v[66:67], -v[42:43]
	v_add_f64 v[2:3], v[2:3], v[4:5]
	v_fmac_f64_e32 v[80:81], v[8:9], v[64:65]
	s_waitcnt vmcnt(9)
	v_fma_f64 v[8:9], v[14:15], v[68:69], -v[48:49]
	v_add_f64 v[2:3], v[2:3], v[6:7]
	v_mul_f64 v[6:7], v[20:21], v[44:45]
	v_add_f64 v[2:3], v[2:3], v[8:9]
	v_fma_f64 v[6:7], v[18:19], v[46:47], -v[6:7]
	v_add_f64 v[2:3], v[2:3], v[6:7]
	v_mul_f64 v[6:7], v[24:25], v[54:55]
	v_add_f64 v[10:11], v[78:79], 0
	s_waitcnt vmcnt(7)
	v_fma_f64 v[6:7], v[22:23], v[70:71], -v[6:7]
	v_fmac_f64_e32 v[82:83], v[12:13], v[66:67]
	v_add_f64 v[10:11], v[10:11], v[80:81]
	v_add_f64 v[2:3], v[2:3], v[6:7]
	v_mul_f64 v[6:7], v[28:29], v[50:51]
	v_fmac_f64_e32 v[84:85], v[16:17], v[68:69]
	v_add_f64 v[4:5], v[10:11], v[82:83]
	v_fma_f64 v[6:7], v[26:27], v[52:53], -v[6:7]
	v_add_f64 v[4:5], v[4:5], v[84:85]
	v_add_f64 v[2:3], v[2:3], v[6:7]
	v_mul_f64 v[6:7], v[32:33], v[60:61]
	v_fmac_f64_e32 v[88:89], v[24:25], v[70:71]
	v_add_f64 v[4:5], v[4:5], v[86:87]
	s_waitcnt vmcnt(5)
	v_fma_f64 v[6:7], v[30:31], v[72:73], -v[6:7]
	v_add_f64 v[4:5], v[4:5], v[88:89]
	v_add_f64 v[2:3], v[2:3], v[6:7]
	v_mul_f64 v[6:7], v[36:37], v[56:57]
	v_fmac_f64_e32 v[92:93], v[32:33], v[72:73]
	v_add_f64 v[4:5], v[4:5], v[90:91]
	s_waitcnt vmcnt(4)
	v_fma_f64 v[6:7], v[34:35], v[58:59], -v[6:7]
	v_fmac_f64_e32 v[94:95], v[36:37], v[58:59]
	v_add_f64 v[4:5], v[4:5], v[92:93]
	v_add_f64 v[2:3], v[2:3], v[6:7]
	;; [unrolled: 1-line block ×3, first 2 shown]
	s_waitcnt vmcnt(2)
	v_add_f64 v[2:3], v[74:75], -v[2:3]
	s_waitcnt vmcnt(0)
	v_add_f64 v[4:5], v[76:77], -v[4:5]
	buffer_store_dword v3, off, s[0:3], 0 offset:660
	buffer_store_dword v2, off, s[0:3], 0 offset:656
	;; [unrolled: 1-line block ×4, first 2 shown]
	s_and_saveexec_b64 s[4:5], vcc
	s_cbranch_execz .LBB49_235
; %bb.234:
	v_accvgpr_read_b32 v0, a110
	buffer_load_dword v2, v0, s[0:3], 0 offen
	buffer_load_dword v3, v0, s[0:3], 0 offen offset:4
	buffer_load_dword v4, v0, s[0:3], 0 offen offset:8
	;; [unrolled: 1-line block ×3, first 2 shown]
	v_accvgpr_read_b32 v0, a150
	buffer_store_dword v1, off, s[0:3], 0 offset:640
	buffer_store_dword v1, off, s[0:3], 0 offset:644
	;; [unrolled: 1-line block ×4, first 2 shown]
	s_waitcnt vmcnt(4)
	ds_write_b128 v0, v[2:5]
.LBB49_235:
	s_or_b64 exec, exec, s[4:5]
	s_waitcnt lgkmcnt(0)
	; wave barrier
	s_waitcnt lgkmcnt(0)
	ds_read_b128 v[18:21], v1 offset:1440
	ds_read_b128 v[10:13], v1 offset:1456
	;; [unrolled: 1-line block ×4, first 2 shown]
	buffer_load_dword v44, off, s[0:3], 0 offset:640
	buffer_load_dword v45, off, s[0:3], 0 offset:644
	;; [unrolled: 1-line block ×20, first 2 shown]
	v_cmp_lt_u32_e32 vcc, 38, v254
	s_waitcnt vmcnt(12) lgkmcnt(3)
	v_mul_f64 v[14:15], v[18:19], v[62:63]
	v_fmac_f64_e32 v[14:15], v[20:21], v[58:59]
	v_add_f64 v[14:15], v[14:15], 0
	v_mul_f64 v[20:21], v[20:21], v[62:63]
	s_waitcnt vmcnt(8) lgkmcnt(2)
	v_mul_f64 v[16:17], v[10:11], v[60:61]
	v_fmac_f64_e32 v[16:17], v[12:13], v[56:57]
	v_add_f64 v[14:15], v[14:15], v[16:17]
	v_fma_f64 v[18:19], v[18:19], v[58:59], -v[20:21]
	s_waitcnt vmcnt(4) lgkmcnt(1)
	v_mul_f64 v[16:17], v[6:7], v[48:49]
	v_fmac_f64_e32 v[16:17], v[8:9], v[46:47]
	v_add_f64 v[14:15], v[14:15], v[16:17]
	s_waitcnt vmcnt(0) lgkmcnt(0)
	v_mul_f64 v[16:17], v[2:3], v[52:53]
	v_fmac_f64_e32 v[16:17], v[4:5], v[50:51]
	v_add_f64 v[22:23], v[14:15], v[16:17]
	ds_read_b128 v[14:17], v1 offset:1504
	buffer_load_dword v55, off, s[0:3], 0 offset:724
	buffer_load_dword v54, off, s[0:3], 0 offset:720
	;; [unrolled: 1-line block ×4, first 2 shown]
	v_mul_f64 v[12:13], v[12:13], v[60:61]
	v_add_f64 v[18:19], v[18:19], 0
	v_fma_f64 v[10:11], v[10:11], v[56:57], -v[12:13]
	v_mul_f64 v[8:9], v[8:9], v[48:49]
	v_add_f64 v[10:11], v[18:19], v[10:11]
	v_fma_f64 v[6:7], v[6:7], v[46:47], -v[8:9]
	;; [unrolled: 3-line block ×3, first 2 shown]
	v_add_f64 v[2:3], v[6:7], v[2:3]
	s_waitcnt vmcnt(0) lgkmcnt(0)
	v_mul_f64 v[24:25], v[14:15], v[64:65]
	v_fmac_f64_e32 v[24:25], v[16:17], v[54:55]
	v_add_f64 v[26:27], v[22:23], v[24:25]
	ds_read_b128 v[22:25], v1 offset:1520
	buffer_load_dword v67, off, s[0:3], 0 offset:740
	buffer_load_dword v66, off, s[0:3], 0 offset:736
	buffer_load_dword v69, off, s[0:3], 0 offset:748
	buffer_load_dword v68, off, s[0:3], 0 offset:744
	v_mul_f64 v[4:5], v[16:17], v[64:65]
	v_fma_f64 v[4:5], v[14:15], v[54:55], -v[4:5]
	v_add_f64 v[2:3], v[2:3], v[4:5]
	s_waitcnt vmcnt(0) lgkmcnt(0)
	v_mul_f64 v[28:29], v[22:23], v[68:69]
	v_fmac_f64_e32 v[28:29], v[24:25], v[66:67]
	v_add_f64 v[30:31], v[26:27], v[28:29]
	ds_read_b128 v[26:29], v1 offset:1536
	buffer_load_dword v71, off, s[0:3], 0 offset:756
	buffer_load_dword v70, off, s[0:3], 0 offset:752
	buffer_load_dword v73, off, s[0:3], 0 offset:764
	buffer_load_dword v72, off, s[0:3], 0 offset:760
	v_mul_f64 v[4:5], v[24:25], v[68:69]
	v_fma_f64 v[4:5], v[22:23], v[66:67], -v[4:5]
	;; [unrolled: 12-line block ×5, first 2 shown]
	v_add_f64 v[2:3], v[2:3], v[4:5]
	s_waitcnt vmcnt(0) lgkmcnt(0)
	v_mul_f64 v[4:5], v[40:41], v[86:87]
	v_mul_f64 v[88:89], v[38:39], v[86:87]
	v_fma_f64 v[4:5], v[38:39], v[82:83], -v[4:5]
	v_fmac_f64_e32 v[88:89], v[40:41], v[82:83]
	v_add_f64 v[2:3], v[2:3], v[4:5]
	v_add_f64 v[84:85], v[84:85], v[88:89]
	v_add_f64 v[2:3], v[44:45], -v[2:3]
	v_add_f64 v[4:5], v[42:43], -v[84:85]
	buffer_store_dword v3, off, s[0:3], 0 offset:644
	buffer_store_dword v2, off, s[0:3], 0 offset:640
	;; [unrolled: 1-line block ×4, first 2 shown]
	s_and_saveexec_b64 s[4:5], vcc
	s_cbranch_execz .LBB49_237
; %bb.236:
	v_accvgpr_read_b32 v0, a111
	buffer_load_dword v2, v0, s[0:3], 0 offen
	buffer_load_dword v3, v0, s[0:3], 0 offen offset:4
	buffer_load_dword v4, v0, s[0:3], 0 offen offset:8
	;; [unrolled: 1-line block ×3, first 2 shown]
	v_mov_b32_e32 v0, 0
	v_accvgpr_read_b32 v1, a150
	buffer_store_dword v0, off, s[0:3], 0 offset:624
	buffer_store_dword v0, off, s[0:3], 0 offset:628
	;; [unrolled: 1-line block ×4, first 2 shown]
	s_waitcnt vmcnt(4)
	ds_write_b128 v1, v[2:5]
.LBB49_237:
	s_or_b64 exec, exec, s[4:5]
	v_mov_b32_e32 v1, 0
	s_waitcnt lgkmcnt(0)
	; wave barrier
	s_waitcnt lgkmcnt(0)
	ds_read_b128 v[14:17], v1 offset:1424
	ds_read_b128 v[10:13], v1 offset:1440
	ds_read_b128 v[6:9], v1 offset:1456
	ds_read_b128 v[2:5], v1 offset:1472
	buffer_load_dword v48, off, s[0:3], 0 offset:624
	buffer_load_dword v49, off, s[0:3], 0 offset:628
	;; [unrolled: 1-line block ×20, first 2 shown]
	v_cmp_lt_u32_e32 vcc, 37, v254
	s_waitcnt vmcnt(12) lgkmcnt(3)
	v_mul_f64 v[18:19], v[14:15], v[56:57]
	v_fmac_f64_e32 v[18:19], v[16:17], v[50:51]
	v_add_f64 v[18:19], v[18:19], 0
	v_mul_f64 v[16:17], v[16:17], v[56:57]
	s_waitcnt vmcnt(8) lgkmcnt(2)
	v_mul_f64 v[20:21], v[10:11], v[58:59]
	v_fmac_f64_e32 v[20:21], v[12:13], v[52:53]
	v_add_f64 v[18:19], v[18:19], v[20:21]
	v_fma_f64 v[14:15], v[14:15], v[50:51], -v[16:17]
	s_waitcnt vmcnt(4) lgkmcnt(1)
	v_mul_f64 v[20:21], v[6:7], v[60:61]
	v_fmac_f64_e32 v[20:21], v[8:9], v[54:55]
	v_add_f64 v[18:19], v[18:19], v[20:21]
	s_waitcnt vmcnt(0) lgkmcnt(0)
	v_mul_f64 v[20:21], v[2:3], v[64:65]
	v_fmac_f64_e32 v[20:21], v[4:5], v[62:63]
	v_add_f64 v[22:23], v[18:19], v[20:21]
	ds_read_b128 v[18:21], v1 offset:1488
	buffer_load_dword v67, off, s[0:3], 0 offset:708
	buffer_load_dword v66, off, s[0:3], 0 offset:704
	;; [unrolled: 1-line block ×4, first 2 shown]
	v_mul_f64 v[12:13], v[12:13], v[58:59]
	v_add_f64 v[14:15], v[14:15], 0
	v_fma_f64 v[10:11], v[10:11], v[52:53], -v[12:13]
	v_mul_f64 v[8:9], v[8:9], v[60:61]
	v_add_f64 v[10:11], v[14:15], v[10:11]
	v_fma_f64 v[6:7], v[6:7], v[54:55], -v[8:9]
	;; [unrolled: 3-line block ×3, first 2 shown]
	v_add_f64 v[2:3], v[6:7], v[2:3]
	s_waitcnt vmcnt(0) lgkmcnt(0)
	v_mul_f64 v[24:25], v[18:19], v[68:69]
	v_fmac_f64_e32 v[24:25], v[20:21], v[66:67]
	v_add_f64 v[26:27], v[22:23], v[24:25]
	ds_read_b128 v[22:25], v1 offset:1504
	buffer_load_dword v71, off, s[0:3], 0 offset:724
	buffer_load_dword v70, off, s[0:3], 0 offset:720
	buffer_load_dword v73, off, s[0:3], 0 offset:732
	buffer_load_dword v72, off, s[0:3], 0 offset:728
	v_mul_f64 v[4:5], v[20:21], v[68:69]
	v_fma_f64 v[4:5], v[18:19], v[66:67], -v[4:5]
	v_add_f64 v[2:3], v[2:3], v[4:5]
	s_waitcnt vmcnt(0) lgkmcnt(0)
	v_mul_f64 v[28:29], v[22:23], v[72:73]
	v_fmac_f64_e32 v[28:29], v[24:25], v[70:71]
	v_add_f64 v[30:31], v[26:27], v[28:29]
	ds_read_b128 v[26:29], v1 offset:1520
	buffer_load_dword v75, off, s[0:3], 0 offset:740
	buffer_load_dword v74, off, s[0:3], 0 offset:736
	buffer_load_dword v77, off, s[0:3], 0 offset:748
	buffer_load_dword v76, off, s[0:3], 0 offset:744
	v_mul_f64 v[4:5], v[24:25], v[72:73]
	v_fma_f64 v[4:5], v[22:23], v[70:71], -v[4:5]
	v_add_f64 v[2:3], v[2:3], v[4:5]
	s_waitcnt vmcnt(0) lgkmcnt(0)
	v_mul_f64 v[32:33], v[26:27], v[76:77]
	v_fmac_f64_e32 v[32:33], v[28:29], v[74:75]
	v_add_f64 v[34:35], v[30:31], v[32:33]
	ds_read_b128 v[30:33], v1 offset:1536
	buffer_load_dword v79, off, s[0:3], 0 offset:756
	buffer_load_dword v78, off, s[0:3], 0 offset:752
	buffer_load_dword v81, off, s[0:3], 0 offset:764
	buffer_load_dword v80, off, s[0:3], 0 offset:760
	v_mul_f64 v[4:5], v[28:29], v[76:77]
	v_fma_f64 v[4:5], v[26:27], v[74:75], -v[4:5]
	v_add_f64 v[2:3], v[2:3], v[4:5]
	s_waitcnt vmcnt(0) lgkmcnt(0)
	v_mul_f64 v[36:37], v[30:31], v[80:81]
	v_fmac_f64_e32 v[36:37], v[32:33], v[78:79]
	v_add_f64 v[38:39], v[34:35], v[36:37]
	ds_read_b128 v[34:37], v1 offset:1552
	buffer_load_dword v83, off, s[0:3], 0 offset:772
	buffer_load_dword v82, off, s[0:3], 0 offset:768
	buffer_load_dword v85, off, s[0:3], 0 offset:780
	buffer_load_dword v84, off, s[0:3], 0 offset:776
	v_mul_f64 v[4:5], v[32:33], v[80:81]
	v_fma_f64 v[4:5], v[30:31], v[78:79], -v[4:5]
	v_add_f64 v[2:3], v[2:3], v[4:5]
	s_waitcnt vmcnt(0) lgkmcnt(0)
	v_mul_f64 v[40:41], v[34:35], v[84:85]
	v_fmac_f64_e32 v[40:41], v[36:37], v[82:83]
	v_add_f64 v[42:43], v[38:39], v[40:41]
	ds_read_b128 v[38:41], v1 offset:1568
	buffer_load_dword v87, off, s[0:3], 0 offset:788
	buffer_load_dword v86, off, s[0:3], 0 offset:784
	buffer_load_dword v89, off, s[0:3], 0 offset:796
	buffer_load_dword v88, off, s[0:3], 0 offset:792
	v_mul_f64 v[4:5], v[36:37], v[84:85]
	v_fma_f64 v[4:5], v[34:35], v[82:83], -v[4:5]
	v_add_f64 v[2:3], v[2:3], v[4:5]
	s_waitcnt vmcnt(0) lgkmcnt(0)
	v_mul_f64 v[44:45], v[38:39], v[88:89]
	v_fmac_f64_e32 v[44:45], v[40:41], v[86:87]
	v_add_f64 v[94:95], v[42:43], v[44:45]
	ds_read_b128 v[42:45], v1 offset:1584
	buffer_load_dword v91, off, s[0:3], 0 offset:804
	buffer_load_dword v90, off, s[0:3], 0 offset:800
	buffer_load_dword v93, off, s[0:3], 0 offset:812
	buffer_load_dword v92, off, s[0:3], 0 offset:808
	v_mul_f64 v[4:5], v[40:41], v[88:89]
	v_fma_f64 v[4:5], v[38:39], v[86:87], -v[4:5]
	v_add_f64 v[2:3], v[2:3], v[4:5]
	s_waitcnt vmcnt(0) lgkmcnt(0)
	v_mul_f64 v[4:5], v[44:45], v[92:93]
	v_mul_f64 v[96:97], v[42:43], v[92:93]
	v_fma_f64 v[4:5], v[42:43], v[90:91], -v[4:5]
	v_fmac_f64_e32 v[96:97], v[44:45], v[90:91]
	v_add_f64 v[2:3], v[2:3], v[4:5]
	v_add_f64 v[94:95], v[94:95], v[96:97]
	v_add_f64 v[2:3], v[48:49], -v[2:3]
	v_add_f64 v[4:5], v[46:47], -v[94:95]
	buffer_store_dword v3, off, s[0:3], 0 offset:628
	buffer_store_dword v2, off, s[0:3], 0 offset:624
	;; [unrolled: 1-line block ×4, first 2 shown]
	s_and_saveexec_b64 s[4:5], vcc
	s_cbranch_execz .LBB49_239
; %bb.238:
	v_accvgpr_read_b32 v0, a112
	buffer_load_dword v2, v0, s[0:3], 0 offen
	buffer_load_dword v3, v0, s[0:3], 0 offen offset:4
	buffer_load_dword v4, v0, s[0:3], 0 offen offset:8
	;; [unrolled: 1-line block ×3, first 2 shown]
	v_accvgpr_read_b32 v0, a150
	buffer_store_dword v1, off, s[0:3], 0 offset:608
	buffer_store_dword v1, off, s[0:3], 0 offset:612
	;; [unrolled: 1-line block ×4, first 2 shown]
	s_waitcnt vmcnt(4)
	ds_write_b128 v0, v[2:5]
.LBB49_239:
	s_or_b64 exec, exec, s[4:5]
	s_waitcnt lgkmcnt(0)
	; wave barrier
	s_waitcnt lgkmcnt(0)
	ds_read_b128 v[14:17], v1 offset:1408
	ds_read_b128 v[10:13], v1 offset:1424
	;; [unrolled: 1-line block ×4, first 2 shown]
	buffer_load_dword v48, off, s[0:3], 0 offset:608
	buffer_load_dword v49, off, s[0:3], 0 offset:612
	;; [unrolled: 1-line block ×20, first 2 shown]
	v_cmp_lt_u32_e32 vcc, 36, v254
	s_waitcnt vmcnt(12) lgkmcnt(3)
	v_mul_f64 v[18:19], v[14:15], v[56:57]
	v_fmac_f64_e32 v[18:19], v[16:17], v[50:51]
	v_add_f64 v[18:19], v[18:19], 0
	v_mul_f64 v[16:17], v[16:17], v[56:57]
	s_waitcnt vmcnt(8) lgkmcnt(2)
	v_mul_f64 v[20:21], v[10:11], v[58:59]
	v_fmac_f64_e32 v[20:21], v[12:13], v[52:53]
	v_add_f64 v[18:19], v[18:19], v[20:21]
	v_fma_f64 v[14:15], v[14:15], v[50:51], -v[16:17]
	s_waitcnt vmcnt(4) lgkmcnt(1)
	v_mul_f64 v[20:21], v[6:7], v[60:61]
	v_fmac_f64_e32 v[20:21], v[8:9], v[54:55]
	v_add_f64 v[18:19], v[18:19], v[20:21]
	s_waitcnt vmcnt(0) lgkmcnt(0)
	v_mul_f64 v[20:21], v[2:3], v[64:65]
	v_fmac_f64_e32 v[20:21], v[4:5], v[62:63]
	v_add_f64 v[22:23], v[18:19], v[20:21]
	ds_read_b128 v[18:21], v1 offset:1472
	buffer_load_dword v67, off, s[0:3], 0 offset:692
	buffer_load_dword v66, off, s[0:3], 0 offset:688
	;; [unrolled: 1-line block ×4, first 2 shown]
	v_mul_f64 v[12:13], v[12:13], v[58:59]
	v_add_f64 v[14:15], v[14:15], 0
	v_fma_f64 v[10:11], v[10:11], v[52:53], -v[12:13]
	v_mul_f64 v[8:9], v[8:9], v[60:61]
	v_add_f64 v[10:11], v[14:15], v[10:11]
	v_fma_f64 v[6:7], v[6:7], v[54:55], -v[8:9]
	;; [unrolled: 3-line block ×3, first 2 shown]
	v_add_f64 v[2:3], v[6:7], v[2:3]
	s_waitcnt vmcnt(0) lgkmcnt(0)
	v_mul_f64 v[24:25], v[18:19], v[68:69]
	v_fmac_f64_e32 v[24:25], v[20:21], v[66:67]
	v_add_f64 v[26:27], v[22:23], v[24:25]
	ds_read_b128 v[22:25], v1 offset:1488
	buffer_load_dword v71, off, s[0:3], 0 offset:708
	buffer_load_dword v70, off, s[0:3], 0 offset:704
	buffer_load_dword v73, off, s[0:3], 0 offset:716
	buffer_load_dword v72, off, s[0:3], 0 offset:712
	v_mul_f64 v[4:5], v[20:21], v[68:69]
	v_fma_f64 v[4:5], v[18:19], v[66:67], -v[4:5]
	v_add_f64 v[2:3], v[2:3], v[4:5]
	s_waitcnt vmcnt(0) lgkmcnt(0)
	v_mul_f64 v[28:29], v[22:23], v[72:73]
	v_fmac_f64_e32 v[28:29], v[24:25], v[70:71]
	v_add_f64 v[30:31], v[26:27], v[28:29]
	ds_read_b128 v[26:29], v1 offset:1504
	buffer_load_dword v75, off, s[0:3], 0 offset:724
	buffer_load_dword v74, off, s[0:3], 0 offset:720
	buffer_load_dword v77, off, s[0:3], 0 offset:732
	buffer_load_dword v76, off, s[0:3], 0 offset:728
	v_mul_f64 v[4:5], v[24:25], v[72:73]
	v_fma_f64 v[4:5], v[22:23], v[70:71], -v[4:5]
	;; [unrolled: 12-line block ×7, first 2 shown]
	v_add_f64 v[2:3], v[2:3], v[4:5]
	s_waitcnt vmcnt(0) lgkmcnt(0)
	v_mul_f64 v[4:5], v[96:97], v[102:103]
	v_mul_f64 v[104:105], v[94:95], v[102:103]
	v_fma_f64 v[4:5], v[94:95], v[100:101], -v[4:5]
	v_fmac_f64_e32 v[104:105], v[96:97], v[100:101]
	v_add_f64 v[2:3], v[2:3], v[4:5]
	v_add_f64 v[98:99], v[98:99], v[104:105]
	v_add_f64 v[2:3], v[48:49], -v[2:3]
	v_add_f64 v[4:5], v[46:47], -v[98:99]
	buffer_store_dword v3, off, s[0:3], 0 offset:612
	buffer_store_dword v2, off, s[0:3], 0 offset:608
	;; [unrolled: 1-line block ×4, first 2 shown]
	s_and_saveexec_b64 s[4:5], vcc
	s_cbranch_execz .LBB49_241
; %bb.240:
	v_accvgpr_read_b32 v0, a113
	buffer_load_dword v2, v0, s[0:3], 0 offen
	buffer_load_dword v3, v0, s[0:3], 0 offen offset:4
	buffer_load_dword v4, v0, s[0:3], 0 offen offset:8
	;; [unrolled: 1-line block ×3, first 2 shown]
	v_mov_b32_e32 v0, 0
	v_accvgpr_read_b32 v1, a150
	buffer_store_dword v0, off, s[0:3], 0 offset:592
	buffer_store_dword v0, off, s[0:3], 0 offset:596
	;; [unrolled: 1-line block ×4, first 2 shown]
	s_waitcnt vmcnt(4)
	ds_write_b128 v1, v[2:5]
.LBB49_241:
	s_or_b64 exec, exec, s[4:5]
	s_waitcnt lgkmcnt(0)
	; wave barrier
	s_waitcnt lgkmcnt(0)
	buffer_load_dword v2, off, s[0:3], 0 offset:608
	buffer_load_dword v3, off, s[0:3], 0 offset:612
	;; [unrolled: 1-line block ×56, first 2 shown]
	v_mov_b32_e32 v1, 0
	ds_read_b128 v[30:33], v1 offset:1392
	ds_read_b128 v[34:37], v1 offset:1408
	;; [unrolled: 1-line block ×9, first 2 shown]
	v_cmp_lt_u32_e32 vcc, 35, v254
	s_waitcnt vmcnt(52) lgkmcnt(8)
	v_mul_f64 v[62:63], v[30:31], v[6:7]
	v_fmac_f64_e32 v[62:63], v[32:33], v[2:3]
	v_mul_f64 v[6:7], v[32:33], v[6:7]
	v_add_f64 v[62:63], v[62:63], 0
	s_waitcnt vmcnt(48) lgkmcnt(7)
	v_mul_f64 v[64:65], v[34:35], v[8:9]
	v_fmac_f64_e32 v[64:65], v[36:37], v[4:5]
	s_waitcnt vmcnt(46) lgkmcnt(6)
	v_mul_f64 v[66:67], v[38:39], v[10:11]
	v_fma_f64 v[2:3], v[30:31], v[2:3], -v[6:7]
	v_mul_f64 v[6:7], v[36:37], v[8:9]
	s_waitcnt vmcnt(44) lgkmcnt(5)
	v_mul_f64 v[68:69], v[42:43], v[12:13]
	v_add_f64 v[62:63], v[62:63], v[64:65]
	v_add_f64 v[2:3], v[2:3], 0
	v_fma_f64 v[4:5], v[34:35], v[4:5], -v[6:7]
	v_add_f64 v[2:3], v[2:3], v[4:5]
	v_mul_f64 v[4:5], v[40:41], v[10:11]
	s_waitcnt vmcnt(37) lgkmcnt(4)
	v_mul_f64 v[70:71], v[46:47], v[20:21]
	s_waitcnt lgkmcnt(3)
	v_mul_f64 v[72:73], v[50:51], v[18:19]
	s_waitcnt vmcnt(35)
	v_fmac_f64_e32 v[70:71], v[48:49], v[22:23]
	s_waitcnt lgkmcnt(2)
	v_mul_f64 v[74:75], v[54:55], v[14:15]
	s_waitcnt vmcnt(33)
	v_fmac_f64_e32 v[66:67], v[40:41], v[28:29]
	v_add_f64 v[62:63], v[62:63], v[66:67]
	s_waitcnt vmcnt(31)
	v_fmac_f64_e32 v[68:69], v[44:45], v[26:27]
	v_add_f64 v[62:63], v[62:63], v[68:69]
	v_fma_f64 v[4:5], v[38:39], v[28:29], -v[4:5]
	s_waitcnt vmcnt(29)
	v_fmac_f64_e32 v[72:73], v[52:53], v[24:25]
	v_add_f64 v[62:63], v[62:63], v[70:71]
	v_add_f64 v[2:3], v[2:3], v[4:5]
	v_mul_f64 v[4:5], v[44:45], v[12:13]
	s_waitcnt vmcnt(28)
	v_fmac_f64_e32 v[74:75], v[56:57], v[16:17]
	v_add_f64 v[62:63], v[62:63], v[72:73]
	v_fma_f64 v[4:5], v[42:43], v[26:27], -v[4:5]
	v_add_f64 v[66:67], v[62:63], v[74:75]
	ds_read_b128 v[62:65], v1 offset:1520
	s_waitcnt vmcnt(24) lgkmcnt(2)
	v_mul_f64 v[68:69], v[58:59], v[86:87]
	v_add_f64 v[2:3], v[2:3], v[4:5]
	v_mul_f64 v[4:5], v[48:49], v[20:21]
	s_waitcnt vmcnt(22)
	v_fmac_f64_e32 v[68:69], v[60:61], v[88:89]
	v_fma_f64 v[4:5], v[46:47], v[22:23], -v[4:5]
	v_add_f64 v[70:71], v[66:67], v[68:69]
	ds_read_b128 v[66:69], v1 offset:1536
	v_add_f64 v[2:3], v[2:3], v[4:5]
	v_mul_f64 v[4:5], v[52:53], v[18:19]
	v_fma_f64 v[4:5], v[50:51], v[24:25], -v[4:5]
	v_add_f64 v[2:3], v[2:3], v[4:5]
	v_mul_f64 v[4:5], v[56:57], v[14:15]
	s_waitcnt vmcnt(21) lgkmcnt(1)
	v_mul_f64 v[72:73], v[62:63], v[82:83]
	v_fma_f64 v[4:5], v[54:55], v[16:17], -v[4:5]
	s_waitcnt vmcnt(20)
	v_fmac_f64_e32 v[72:73], v[64:65], v[84:85]
	v_add_f64 v[2:3], v[2:3], v[4:5]
	v_mul_f64 v[4:5], v[60:61], v[86:87]
	v_add_f64 v[74:75], v[70:71], v[72:73]
	ds_read_b128 v[70:73], v1 offset:1552
	s_waitcnt vmcnt(16) lgkmcnt(1)
	v_mul_f64 v[76:77], v[66:67], v[94:95]
	v_fma_f64 v[4:5], v[58:59], v[88:89], -v[4:5]
	s_waitcnt vmcnt(14)
	v_fmac_f64_e32 v[76:77], v[68:69], v[96:97]
	v_add_f64 v[2:3], v[2:3], v[4:5]
	v_mul_f64 v[4:5], v[64:65], v[82:83]
	v_add_f64 v[110:111], v[74:75], v[76:77]
	ds_read_b128 v[74:77], v1 offset:1568
	v_fma_f64 v[4:5], v[62:63], v[84:85], -v[4:5]
	v_add_f64 v[2:3], v[2:3], v[4:5]
	v_mul_f64 v[4:5], v[68:69], v[94:95]
	v_fma_f64 v[4:5], v[66:67], v[96:97], -v[4:5]
	v_add_f64 v[2:3], v[2:3], v[4:5]
	s_waitcnt vmcnt(13) lgkmcnt(1)
	v_mul_f64 v[4:5], v[72:73], v[90:91]
	v_mul_f64 v[112:113], v[70:71], v[90:91]
	s_waitcnt vmcnt(12)
	v_fma_f64 v[4:5], v[70:71], v[92:93], -v[4:5]
	v_fmac_f64_e32 v[112:113], v[72:73], v[92:93]
	v_add_f64 v[2:3], v[2:3], v[4:5]
	s_waitcnt vmcnt(8) lgkmcnt(0)
	v_mul_f64 v[4:5], v[76:77], v[102:103]
	v_add_f64 v[110:111], v[110:111], v[112:113]
	v_mul_f64 v[112:113], v[74:75], v[102:103]
	s_waitcnt vmcnt(6)
	v_fma_f64 v[4:5], v[74:75], v[104:105], -v[4:5]
	v_fmac_f64_e32 v[112:113], v[76:77], v[104:105]
	v_add_f64 v[2:3], v[2:3], v[4:5]
	s_waitcnt vmcnt(5)
	v_mul_f64 v[4:5], v[80:81], v[98:99]
	v_add_f64 v[110:111], v[110:111], v[112:113]
	v_mul_f64 v[112:113], v[78:79], v[98:99]
	s_waitcnt vmcnt(4)
	v_fma_f64 v[4:5], v[78:79], v[100:101], -v[4:5]
	v_fmac_f64_e32 v[112:113], v[80:81], v[100:101]
	v_add_f64 v[2:3], v[2:3], v[4:5]
	v_add_f64 v[110:111], v[110:111], v[112:113]
	s_waitcnt vmcnt(2)
	v_add_f64 v[2:3], v[106:107], -v[2:3]
	s_waitcnt vmcnt(0)
	v_add_f64 v[4:5], v[108:109], -v[110:111]
	buffer_store_dword v3, off, s[0:3], 0 offset:596
	buffer_store_dword v2, off, s[0:3], 0 offset:592
	;; [unrolled: 1-line block ×4, first 2 shown]
	s_and_saveexec_b64 s[4:5], vcc
	s_cbranch_execz .LBB49_243
; %bb.242:
	v_accvgpr_read_b32 v0, a114
	buffer_load_dword v2, v0, s[0:3], 0 offen
	buffer_load_dword v3, v0, s[0:3], 0 offen offset:4
	buffer_load_dword v4, v0, s[0:3], 0 offen offset:8
	;; [unrolled: 1-line block ×3, first 2 shown]
	v_accvgpr_read_b32 v0, a150
	buffer_store_dword v1, off, s[0:3], 0 offset:576
	buffer_store_dword v1, off, s[0:3], 0 offset:580
	;; [unrolled: 1-line block ×4, first 2 shown]
	s_waitcnt vmcnt(4)
	ds_write_b128 v0, v[2:5]
.LBB49_243:
	s_or_b64 exec, exec, s[4:5]
	s_waitcnt lgkmcnt(0)
	; wave barrier
	s_waitcnt lgkmcnt(0)
	buffer_load_dword v2, off, s[0:3], 0 offset:592
	buffer_load_dword v3, off, s[0:3], 0 offset:596
	;; [unrolled: 1-line block ×60, first 2 shown]
	ds_read_b128 v[30:33], v1 offset:1376
	ds_read_b128 v[34:37], v1 offset:1392
	ds_read_b128 v[38:41], v1 offset:1408
	ds_read_b128 v[42:45], v1 offset:1424
	ds_read_b128 v[46:49], v1 offset:1440
	ds_read_b128 v[50:53], v1 offset:1456
	ds_read_b128 v[54:57], v1 offset:1472
	ds_read_b128 v[58:61], v1 offset:1488
	v_cmp_lt_u32_e32 vcc, 34, v254
	ds_read_b128 v[82:85], v1 offset:1584
	s_waitcnt vmcnt(56) lgkmcnt(8)
	v_mul_f64 v[62:63], v[30:31], v[6:7]
	v_fmac_f64_e32 v[62:63], v[32:33], v[2:3]
	v_add_f64 v[62:63], v[62:63], 0
	v_mul_f64 v[6:7], v[32:33], v[6:7]
	s_waitcnt vmcnt(52) lgkmcnt(7)
	v_mul_f64 v[64:65], v[34:35], v[8:9]
	v_fmac_f64_e32 v[64:65], v[36:37], v[4:5]
	s_waitcnt vmcnt(50) lgkmcnt(6)
	v_mul_f64 v[66:67], v[38:39], v[10:11]
	v_add_f64 v[62:63], v[62:63], v[64:65]
	s_waitcnt vmcnt(48) lgkmcnt(4)
	v_mul_f64 v[70:71], v[46:47], v[12:13]
	v_fma_f64 v[2:3], v[30:31], v[2:3], -v[6:7]
	s_waitcnt vmcnt(46)
	v_fmac_f64_e32 v[70:71], v[48:49], v[14:15]
	v_mul_f64 v[6:7], v[36:37], v[8:9]
	s_waitcnt vmcnt(44)
	v_mul_f64 v[68:69], v[42:43], v[16:17]
	v_add_f64 v[2:3], v[2:3], 0
	v_fma_f64 v[4:5], v[34:35], v[4:5], -v[6:7]
	v_add_f64 v[2:3], v[2:3], v[4:5]
	s_waitcnt vmcnt(40) lgkmcnt(3)
	v_mul_f64 v[72:73], v[50:51], v[22:23]
	v_mul_f64 v[4:5], v[40:41], v[10:11]
	s_waitcnt vmcnt(38)
	v_fmac_f64_e32 v[66:67], v[40:41], v[28:29]
	v_add_f64 v[62:63], v[62:63], v[66:67]
	s_waitcnt vmcnt(36)
	v_fmac_f64_e32 v[68:69], v[44:45], v[26:27]
	v_add_f64 v[62:63], v[62:63], v[68:69]
	;; [unrolled: 3-line block ×3, first 2 shown]
	s_waitcnt vmcnt(33) lgkmcnt(2)
	v_mul_f64 v[64:65], v[54:55], v[18:19]
	v_add_f64 v[62:63], v[62:63], v[72:73]
	s_waitcnt vmcnt(32)
	v_fmac_f64_e32 v[64:65], v[56:57], v[20:21]
	v_add_f64 v[66:67], v[62:63], v[64:65]
	ds_read_b128 v[62:65], v1 offset:1504
	v_fma_f64 v[4:5], v[38:39], v[28:29], -v[4:5]
	v_add_f64 v[2:3], v[2:3], v[4:5]
	v_mul_f64 v[4:5], v[44:45], v[16:17]
	v_fma_f64 v[4:5], v[42:43], v[26:27], -v[4:5]
	s_waitcnt vmcnt(28) lgkmcnt(2)
	v_mul_f64 v[68:69], v[58:59], v[90:91]
	v_add_f64 v[2:3], v[2:3], v[4:5]
	v_mul_f64 v[4:5], v[48:49], v[12:13]
	s_waitcnt vmcnt(26)
	v_fmac_f64_e32 v[68:69], v[60:61], v[92:93]
	v_fma_f64 v[4:5], v[46:47], v[14:15], -v[4:5]
	v_add_f64 v[70:71], v[66:67], v[68:69]
	ds_read_b128 v[66:69], v1 offset:1520
	s_waitcnt vmcnt(25) lgkmcnt(1)
	v_mul_f64 v[72:73], v[62:63], v[86:87]
	v_add_f64 v[2:3], v[2:3], v[4:5]
	v_mul_f64 v[4:5], v[52:53], v[22:23]
	s_waitcnt vmcnt(24)
	v_fmac_f64_e32 v[72:73], v[64:65], v[88:89]
	v_fma_f64 v[4:5], v[50:51], v[24:25], -v[4:5]
	v_add_f64 v[74:75], v[70:71], v[72:73]
	ds_read_b128 v[70:73], v1 offset:1536
	v_add_f64 v[2:3], v[2:3], v[4:5]
	v_mul_f64 v[4:5], v[56:57], v[18:19]
	v_fma_f64 v[4:5], v[54:55], v[20:21], -v[4:5]
	v_add_f64 v[2:3], v[2:3], v[4:5]
	v_mul_f64 v[4:5], v[60:61], v[90:91]
	s_waitcnt vmcnt(20) lgkmcnt(1)
	v_mul_f64 v[76:77], v[66:67], v[98:99]
	v_fma_f64 v[4:5], v[58:59], v[92:93], -v[4:5]
	s_waitcnt vmcnt(18)
	v_fmac_f64_e32 v[76:77], v[68:69], v[100:101]
	v_add_f64 v[2:3], v[2:3], v[4:5]
	v_mul_f64 v[4:5], v[64:65], v[86:87]
	v_add_f64 v[78:79], v[74:75], v[76:77]
	ds_read_b128 v[74:77], v1 offset:1552
	s_waitcnt vmcnt(17) lgkmcnt(1)
	v_mul_f64 v[80:81], v[70:71], v[94:95]
	v_fma_f64 v[4:5], v[62:63], v[88:89], -v[4:5]
	s_waitcnt vmcnt(16)
	v_fmac_f64_e32 v[80:81], v[72:73], v[96:97]
	v_add_f64 v[2:3], v[2:3], v[4:5]
	v_mul_f64 v[4:5], v[68:69], v[98:99]
	v_add_f64 v[118:119], v[78:79], v[80:81]
	ds_read_b128 v[78:81], v1 offset:1568
	v_fma_f64 v[4:5], v[66:67], v[100:101], -v[4:5]
	v_add_f64 v[2:3], v[2:3], v[4:5]
	v_mul_f64 v[4:5], v[72:73], v[94:95]
	v_fma_f64 v[4:5], v[70:71], v[96:97], -v[4:5]
	v_add_f64 v[2:3], v[2:3], v[4:5]
	s_waitcnt vmcnt(12) lgkmcnt(1)
	v_mul_f64 v[4:5], v[76:77], v[106:107]
	v_mul_f64 v[120:121], v[74:75], v[106:107]
	s_waitcnt vmcnt(10)
	v_fma_f64 v[4:5], v[74:75], v[108:109], -v[4:5]
	v_fmac_f64_e32 v[120:121], v[76:77], v[108:109]
	v_add_f64 v[2:3], v[2:3], v[4:5]
	s_waitcnt vmcnt(9) lgkmcnt(0)
	v_mul_f64 v[4:5], v[80:81], v[102:103]
	v_add_f64 v[118:119], v[118:119], v[120:121]
	v_mul_f64 v[120:121], v[78:79], v[102:103]
	s_waitcnt vmcnt(8)
	v_fma_f64 v[4:5], v[78:79], v[104:105], -v[4:5]
	v_fmac_f64_e32 v[120:121], v[80:81], v[104:105]
	v_add_f64 v[2:3], v[2:3], v[4:5]
	s_waitcnt vmcnt(6)
	v_mul_f64 v[4:5], v[84:85], v[110:111]
	v_add_f64 v[118:119], v[118:119], v[120:121]
	v_mul_f64 v[120:121], v[82:83], v[110:111]
	s_waitcnt vmcnt(4)
	v_fma_f64 v[4:5], v[82:83], v[112:113], -v[4:5]
	v_fmac_f64_e32 v[120:121], v[84:85], v[112:113]
	v_add_f64 v[2:3], v[2:3], v[4:5]
	v_add_f64 v[118:119], v[118:119], v[120:121]
	s_waitcnt vmcnt(2)
	v_add_f64 v[2:3], v[114:115], -v[2:3]
	s_waitcnt vmcnt(0)
	v_add_f64 v[4:5], v[116:117], -v[118:119]
	buffer_store_dword v3, off, s[0:3], 0 offset:580
	buffer_store_dword v2, off, s[0:3], 0 offset:576
	buffer_store_dword v5, off, s[0:3], 0 offset:588
	buffer_store_dword v4, off, s[0:3], 0 offset:584
	s_and_saveexec_b64 s[4:5], vcc
	s_cbranch_execz .LBB49_245
; %bb.244:
	v_accvgpr_read_b32 v0, a115
	buffer_load_dword v2, v0, s[0:3], 0 offen
	buffer_load_dword v3, v0, s[0:3], 0 offen offset:4
	buffer_load_dword v4, v0, s[0:3], 0 offen offset:8
	;; [unrolled: 1-line block ×3, first 2 shown]
	v_mov_b32_e32 v0, 0
	v_accvgpr_read_b32 v1, a150
	buffer_store_dword v0, off, s[0:3], 0 offset:560
	buffer_store_dword v0, off, s[0:3], 0 offset:564
	;; [unrolled: 1-line block ×4, first 2 shown]
	s_waitcnt vmcnt(4)
	ds_write_b128 v1, v[2:5]
.LBB49_245:
	s_or_b64 exec, exec, s[4:5]
	s_waitcnt lgkmcnt(0)
	; wave barrier
	s_waitcnt lgkmcnt(0)
	buffer_load_dword v2, off, s[0:3], 0 offset:576
	buffer_load_dword v3, off, s[0:3], 0 offset:580
	;; [unrolled: 1-line block ×64, first 2 shown]
	v_mov_b32_e32 v1, 0
	ds_read_b128 v[38:41], v1 offset:1360
	ds_read_b128 v[42:45], v1 offset:1376
	;; [unrolled: 1-line block ×7, first 2 shown]
	v_cmp_lt_u32_e32 vcc, 33, v254
	s_waitcnt vmcnt(60) lgkmcnt(6)
	v_mul_f64 v[62:63], v[38:39], v[4:5]
	v_fmac_f64_e32 v[62:63], v[40:41], v[2:3]
	s_waitcnt vmcnt(58) lgkmcnt(5)
	v_mul_f64 v[64:65], v[42:43], v[6:7]
	v_add_f64 v[62:63], v[62:63], 0
	s_waitcnt vmcnt(56) lgkmcnt(4)
	v_mul_f64 v[66:67], v[46:47], v[8:9]
	v_mul_f64 v[4:5], v[40:41], v[4:5]
	s_waitcnt vmcnt(54) lgkmcnt(2)
	v_mul_f64 v[70:71], v[54:55], v[10:11]
	v_fma_f64 v[2:3], v[38:39], v[2:3], -v[4:5]
	v_mul_f64 v[4:5], v[44:45], v[6:7]
	s_waitcnt vmcnt(51)
	v_mul_f64 v[68:69], v[50:51], v[14:15]
	v_add_f64 v[2:3], v[2:3], 0
	s_waitcnt vmcnt(49)
	v_fmac_f64_e32 v[64:65], v[44:45], v[20:21]
	v_add_f64 v[62:63], v[62:63], v[64:65]
	s_waitcnt vmcnt(47)
	v_fmac_f64_e32 v[66:67], v[48:49], v[18:19]
	v_add_f64 v[62:63], v[62:63], v[66:67]
	s_waitcnt vmcnt(45)
	v_fmac_f64_e32 v[68:69], v[52:53], v[16:17]
	v_add_f64 v[62:63], v[62:63], v[68:69]
	s_waitcnt vmcnt(44)
	v_fmac_f64_e32 v[70:71], v[56:57], v[12:13]
	v_add_f64 v[66:67], v[62:63], v[70:71]
	ds_read_b128 v[62:65], v1 offset:1456
	s_waitcnt vmcnt(40) lgkmcnt(2)
	v_mul_f64 v[68:69], v[58:59], v[26:27]
	v_fma_f64 v[4:5], v[42:43], v[20:21], -v[4:5]
	s_waitcnt vmcnt(38)
	v_fmac_f64_e32 v[68:69], v[60:61], v[28:29]
	v_add_f64 v[70:71], v[66:67], v[68:69]
	ds_read_b128 v[66:69], v1 offset:1472
	s_waitcnt vmcnt(37) lgkmcnt(1)
	v_mul_f64 v[72:73], v[62:63], v[22:23]
	s_waitcnt vmcnt(36)
	v_fmac_f64_e32 v[72:73], v[64:65], v[24:25]
	v_add_f64 v[2:3], v[2:3], v[4:5]
	v_mul_f64 v[4:5], v[48:49], v[8:9]
	v_add_f64 v[74:75], v[70:71], v[72:73]
	ds_read_b128 v[70:73], v1 offset:1488
	s_waitcnt vmcnt(32) lgkmcnt(1)
	v_mul_f64 v[76:77], v[66:67], v[34:35]
	v_fma_f64 v[4:5], v[46:47], v[18:19], -v[4:5]
	s_waitcnt vmcnt(30)
	v_fmac_f64_e32 v[76:77], v[68:69], v[36:37]
	v_add_f64 v[2:3], v[2:3], v[4:5]
	v_mul_f64 v[4:5], v[52:53], v[14:15]
	v_add_f64 v[78:79], v[74:75], v[76:77]
	ds_read_b128 v[74:77], v1 offset:1504
	v_fma_f64 v[4:5], v[50:51], v[16:17], -v[4:5]
	v_add_f64 v[2:3], v[2:3], v[4:5]
	v_mul_f64 v[4:5], v[56:57], v[10:11]
	v_fma_f64 v[4:5], v[54:55], v[12:13], -v[4:5]
	s_waitcnt vmcnt(29) lgkmcnt(1)
	v_mul_f64 v[80:81], v[70:71], v[30:31]
	v_add_f64 v[2:3], v[2:3], v[4:5]
	v_mul_f64 v[4:5], v[60:61], v[26:27]
	s_waitcnt vmcnt(28)
	v_fmac_f64_e32 v[80:81], v[72:73], v[32:33]
	v_fma_f64 v[4:5], v[58:59], v[28:29], -v[4:5]
	v_add_f64 v[82:83], v[78:79], v[80:81]
	ds_read_b128 v[78:81], v1 offset:1520
	s_waitcnt vmcnt(24) lgkmcnt(1)
	v_mul_f64 v[84:85], v[74:75], v[102:103]
	v_add_f64 v[2:3], v[2:3], v[4:5]
	v_mul_f64 v[4:5], v[64:65], v[22:23]
	s_waitcnt vmcnt(22)
	v_fmac_f64_e32 v[84:85], v[76:77], v[104:105]
	v_fma_f64 v[4:5], v[62:63], v[24:25], -v[4:5]
	v_add_f64 v[86:87], v[82:83], v[84:85]
	ds_read_b128 v[82:85], v1 offset:1536
	v_add_f64 v[2:3], v[2:3], v[4:5]
	v_mul_f64 v[4:5], v[68:69], v[34:35]
	v_fma_f64 v[4:5], v[66:67], v[36:37], -v[4:5]
	v_add_f64 v[2:3], v[2:3], v[4:5]
	v_mul_f64 v[4:5], v[72:73], v[30:31]
	s_waitcnt vmcnt(21) lgkmcnt(1)
	v_mul_f64 v[88:89], v[78:79], v[98:99]
	v_fma_f64 v[4:5], v[70:71], v[32:33], -v[4:5]
	s_waitcnt vmcnt(20)
	v_fmac_f64_e32 v[88:89], v[80:81], v[100:101]
	v_add_f64 v[2:3], v[2:3], v[4:5]
	v_mul_f64 v[4:5], v[76:77], v[102:103]
	v_add_f64 v[90:91], v[86:87], v[88:89]
	ds_read_b128 v[86:89], v1 offset:1552
	s_waitcnt vmcnt(16) lgkmcnt(1)
	v_mul_f64 v[92:93], v[82:83], v[110:111]
	v_fma_f64 v[4:5], v[74:75], v[104:105], -v[4:5]
	s_waitcnt vmcnt(14)
	v_fmac_f64_e32 v[92:93], v[84:85], v[112:113]
	v_add_f64 v[2:3], v[2:3], v[4:5]
	v_mul_f64 v[4:5], v[80:81], v[98:99]
	v_add_f64 v[126:127], v[90:91], v[92:93]
	ds_read_b128 v[90:93], v1 offset:1568
	v_fma_f64 v[4:5], v[78:79], v[100:101], -v[4:5]
	v_add_f64 v[2:3], v[2:3], v[4:5]
	v_mul_f64 v[4:5], v[84:85], v[110:111]
	v_fma_f64 v[4:5], v[82:83], v[112:113], -v[4:5]
	v_add_f64 v[2:3], v[2:3], v[4:5]
	s_waitcnt vmcnt(13) lgkmcnt(1)
	v_mul_f64 v[4:5], v[88:89], v[106:107]
	v_mul_f64 v[128:129], v[86:87], v[106:107]
	s_waitcnt vmcnt(12)
	v_fma_f64 v[4:5], v[86:87], v[108:109], -v[4:5]
	v_fmac_f64_e32 v[128:129], v[88:89], v[108:109]
	v_add_f64 v[2:3], v[2:3], v[4:5]
	s_waitcnt vmcnt(8) lgkmcnt(0)
	v_mul_f64 v[4:5], v[92:93], v[118:119]
	v_add_f64 v[126:127], v[126:127], v[128:129]
	v_mul_f64 v[128:129], v[90:91], v[118:119]
	s_waitcnt vmcnt(6)
	v_fma_f64 v[4:5], v[90:91], v[120:121], -v[4:5]
	v_fmac_f64_e32 v[128:129], v[92:93], v[120:121]
	v_add_f64 v[2:3], v[2:3], v[4:5]
	s_waitcnt vmcnt(5)
	v_mul_f64 v[4:5], v[96:97], v[114:115]
	v_add_f64 v[126:127], v[126:127], v[128:129]
	v_mul_f64 v[128:129], v[94:95], v[114:115]
	s_waitcnt vmcnt(4)
	v_fma_f64 v[4:5], v[94:95], v[116:117], -v[4:5]
	v_fmac_f64_e32 v[128:129], v[96:97], v[116:117]
	v_add_f64 v[2:3], v[2:3], v[4:5]
	v_add_f64 v[126:127], v[126:127], v[128:129]
	s_waitcnt vmcnt(2)
	v_add_f64 v[2:3], v[122:123], -v[2:3]
	s_waitcnt vmcnt(0)
	v_add_f64 v[4:5], v[124:125], -v[126:127]
	buffer_store_dword v3, off, s[0:3], 0 offset:564
	buffer_store_dword v2, off, s[0:3], 0 offset:560
	buffer_store_dword v5, off, s[0:3], 0 offset:572
	buffer_store_dword v4, off, s[0:3], 0 offset:568
	s_and_saveexec_b64 s[4:5], vcc
	s_cbranch_execz .LBB49_247
; %bb.246:
	v_accvgpr_read_b32 v0, a116
	buffer_load_dword v2, v0, s[0:3], 0 offen
	buffer_load_dword v3, v0, s[0:3], 0 offen offset:4
	buffer_load_dword v4, v0, s[0:3], 0 offen offset:8
	;; [unrolled: 1-line block ×3, first 2 shown]
	v_accvgpr_read_b32 v0, a150
	buffer_store_dword v1, off, s[0:3], 0 offset:544
	buffer_store_dword v1, off, s[0:3], 0 offset:548
	;; [unrolled: 1-line block ×4, first 2 shown]
	s_waitcnt vmcnt(4)
	ds_write_b128 v0, v[2:5]
.LBB49_247:
	s_or_b64 exec, exec, s[4:5]
	s_waitcnt lgkmcnt(0)
	; wave barrier
	s_waitcnt lgkmcnt(0)
	buffer_load_dword v2, off, s[0:3], 0 offset:560
	buffer_load_dword v3, off, s[0:3], 0 offset:564
	;; [unrolled: 1-line block ×64, first 2 shown]
	ds_read_b128 v[46:49], v1 offset:1344
	ds_read_b128 v[50:53], v1 offset:1360
	ds_read_b128 v[54:57], v1 offset:1376
	ds_read_b128 v[58:61], v1 offset:1392
	buffer_load_dword v130, off, s[0:3], 0 offset:544
	buffer_load_dword v131, off, s[0:3], 0 offset:548
	;; [unrolled: 1-line block ×4, first 2 shown]
	v_cmp_lt_u32_e32 vcc, 32, v254
	ds_read_b128 v[106:109], v1 offset:1584
	s_waitcnt vmcnt(62) lgkmcnt(4)
	v_mul_f64 v[62:63], v[46:47], v[4:5]
	v_fmac_f64_e32 v[62:63], v[48:49], v[2:3]
	v_add_f64 v[62:63], v[62:63], 0
	s_waitcnt lgkmcnt(2)
	v_mul_f64 v[66:67], v[54:55], v[6:7]
	v_mul_f64 v[4:5], v[48:49], v[4:5]
	v_fma_f64 v[2:3], v[46:47], v[2:3], -v[4:5]
	s_waitcnt vmcnt(58) lgkmcnt(1)
	v_mul_f64 v[68:69], v[58:59], v[12:13]
	v_add_f64 v[2:3], v[2:3], 0
	s_waitcnt vmcnt(56)
	v_mul_f64 v[64:65], v[50:51], v[18:19]
	v_mul_f64 v[4:5], v[52:53], v[18:19]
	s_waitcnt vmcnt(53)
	v_fmac_f64_e32 v[66:67], v[56:57], v[16:17]
	s_waitcnt vmcnt(52)
	v_fmac_f64_e32 v[64:65], v[52:53], v[20:21]
	v_add_f64 v[70:71], v[62:63], v[64:65]
	ds_read_b128 v[62:65], v1 offset:1408
	v_add_f64 v[66:67], v[70:71], v[66:67]
	s_waitcnt vmcnt(50)
	v_fmac_f64_e32 v[68:69], v[60:61], v[14:15]
	v_add_f64 v[70:71], v[66:67], v[68:69]
	ds_read_b128 v[66:69], v1 offset:1424
	s_waitcnt vmcnt(49) lgkmcnt(1)
	v_mul_f64 v[72:73], v[62:63], v[8:9]
	s_waitcnt vmcnt(48)
	v_fmac_f64_e32 v[72:73], v[64:65], v[10:11]
	v_add_f64 v[74:75], v[70:71], v[72:73]
	ds_read_b128 v[70:73], v1 offset:1440
	s_waitcnt vmcnt(44) lgkmcnt(1)
	v_mul_f64 v[76:77], v[66:67], v[26:27]
	;; [unrolled: 6-line block ×3, first 2 shown]
	s_waitcnt vmcnt(40)
	v_fmac_f64_e32 v[80:81], v[72:73], v[24:25]
	v_add_f64 v[82:83], v[78:79], v[80:81]
	ds_read_b128 v[78:81], v1 offset:1472
	v_fma_f64 v[4:5], v[50:51], v[20:21], -v[4:5]
	v_add_f64 v[2:3], v[2:3], v[4:5]
	v_mul_f64 v[4:5], v[56:57], v[6:7]
	s_waitcnt vmcnt(36) lgkmcnt(1)
	v_mul_f64 v[84:85], v[74:75], v[34:35]
	v_fma_f64 v[4:5], v[54:55], v[16:17], -v[4:5]
	s_waitcnt vmcnt(34)
	v_fmac_f64_e32 v[84:85], v[76:77], v[36:37]
	v_add_f64 v[2:3], v[2:3], v[4:5]
	v_mul_f64 v[4:5], v[60:61], v[12:13]
	v_add_f64 v[86:87], v[82:83], v[84:85]
	ds_read_b128 v[82:85], v1 offset:1488
	s_waitcnt vmcnt(33) lgkmcnt(1)
	v_mul_f64 v[88:89], v[78:79], v[30:31]
	v_fma_f64 v[4:5], v[58:59], v[14:15], -v[4:5]
	s_waitcnt vmcnt(32)
	v_fmac_f64_e32 v[88:89], v[80:81], v[32:33]
	v_add_f64 v[2:3], v[2:3], v[4:5]
	v_mul_f64 v[4:5], v[64:65], v[8:9]
	v_add_f64 v[90:91], v[86:87], v[88:89]
	ds_read_b128 v[86:89], v1 offset:1504
	v_fma_f64 v[4:5], v[62:63], v[10:11], -v[4:5]
	v_add_f64 v[2:3], v[2:3], v[4:5]
	v_mul_f64 v[4:5], v[68:69], v[26:27]
	v_fma_f64 v[4:5], v[66:67], v[28:29], -v[4:5]
	s_waitcnt vmcnt(28) lgkmcnt(1)
	v_mul_f64 v[92:93], v[82:83], v[42:43]
	v_add_f64 v[2:3], v[2:3], v[4:5]
	v_mul_f64 v[4:5], v[72:73], v[22:23]
	s_waitcnt vmcnt(26)
	v_fmac_f64_e32 v[92:93], v[84:85], v[44:45]
	v_fma_f64 v[4:5], v[70:71], v[24:25], -v[4:5]
	v_add_f64 v[94:95], v[90:91], v[92:93]
	ds_read_b128 v[90:93], v1 offset:1520
	s_waitcnt vmcnt(25) lgkmcnt(1)
	v_mul_f64 v[96:97], v[86:87], v[38:39]
	v_add_f64 v[2:3], v[2:3], v[4:5]
	v_mul_f64 v[4:5], v[76:77], v[34:35]
	s_waitcnt vmcnt(24)
	v_fmac_f64_e32 v[96:97], v[88:89], v[40:41]
	v_fma_f64 v[4:5], v[74:75], v[36:37], -v[4:5]
	v_add_f64 v[98:99], v[94:95], v[96:97]
	ds_read_b128 v[94:97], v1 offset:1536
	v_add_f64 v[2:3], v[2:3], v[4:5]
	v_mul_f64 v[4:5], v[80:81], v[30:31]
	v_fma_f64 v[4:5], v[78:79], v[32:33], -v[4:5]
	v_add_f64 v[2:3], v[2:3], v[4:5]
	v_mul_f64 v[4:5], v[84:85], v[42:43]
	s_waitcnt vmcnt(20) lgkmcnt(1)
	v_mul_f64 v[100:101], v[90:91], v[114:115]
	v_fma_f64 v[4:5], v[82:83], v[44:45], -v[4:5]
	s_waitcnt vmcnt(18)
	v_fmac_f64_e32 v[100:101], v[92:93], v[116:117]
	v_add_f64 v[2:3], v[2:3], v[4:5]
	v_mul_f64 v[4:5], v[88:89], v[38:39]
	v_add_f64 v[102:103], v[98:99], v[100:101]
	ds_read_b128 v[98:101], v1 offset:1552
	s_waitcnt vmcnt(17) lgkmcnt(1)
	v_mul_f64 v[104:105], v[94:95], v[110:111]
	v_fma_f64 v[4:5], v[86:87], v[40:41], -v[4:5]
	s_waitcnt vmcnt(16)
	v_fmac_f64_e32 v[104:105], v[96:97], v[112:113]
	v_add_f64 v[2:3], v[2:3], v[4:5]
	v_mul_f64 v[4:5], v[92:93], v[114:115]
	v_add_f64 v[134:135], v[102:103], v[104:105]
	ds_read_b128 v[102:105], v1 offset:1568
	v_fma_f64 v[4:5], v[90:91], v[116:117], -v[4:5]
	v_add_f64 v[2:3], v[2:3], v[4:5]
	v_mul_f64 v[4:5], v[96:97], v[110:111]
	v_fma_f64 v[4:5], v[94:95], v[112:113], -v[4:5]
	v_add_f64 v[2:3], v[2:3], v[4:5]
	s_waitcnt vmcnt(12) lgkmcnt(1)
	v_mul_f64 v[4:5], v[100:101], v[122:123]
	v_mul_f64 v[136:137], v[98:99], v[122:123]
	s_waitcnt vmcnt(10)
	v_fma_f64 v[4:5], v[98:99], v[124:125], -v[4:5]
	v_fmac_f64_e32 v[136:137], v[100:101], v[124:125]
	v_add_f64 v[2:3], v[2:3], v[4:5]
	s_waitcnt vmcnt(9) lgkmcnt(0)
	v_mul_f64 v[4:5], v[104:105], v[118:119]
	v_add_f64 v[134:135], v[134:135], v[136:137]
	v_mul_f64 v[136:137], v[102:103], v[118:119]
	s_waitcnt vmcnt(8)
	v_fma_f64 v[4:5], v[102:103], v[120:121], -v[4:5]
	v_fmac_f64_e32 v[136:137], v[104:105], v[120:121]
	v_add_f64 v[2:3], v[2:3], v[4:5]
	s_waitcnt vmcnt(6)
	v_mul_f64 v[4:5], v[108:109], v[126:127]
	v_add_f64 v[134:135], v[134:135], v[136:137]
	v_mul_f64 v[136:137], v[106:107], v[126:127]
	s_waitcnt vmcnt(4)
	v_fma_f64 v[4:5], v[106:107], v[128:129], -v[4:5]
	v_fmac_f64_e32 v[136:137], v[108:109], v[128:129]
	v_add_f64 v[2:3], v[2:3], v[4:5]
	v_add_f64 v[134:135], v[134:135], v[136:137]
	s_waitcnt vmcnt(2)
	v_add_f64 v[2:3], v[130:131], -v[2:3]
	s_waitcnt vmcnt(0)
	v_add_f64 v[4:5], v[132:133], -v[134:135]
	buffer_store_dword v3, off, s[0:3], 0 offset:548
	buffer_store_dword v2, off, s[0:3], 0 offset:544
	;; [unrolled: 1-line block ×4, first 2 shown]
	s_and_saveexec_b64 s[4:5], vcc
	s_cbranch_execz .LBB49_249
; %bb.248:
	v_accvgpr_read_b32 v0, a117
	buffer_load_dword v2, v0, s[0:3], 0 offen
	buffer_load_dword v3, v0, s[0:3], 0 offen offset:4
	buffer_load_dword v4, v0, s[0:3], 0 offen offset:8
	;; [unrolled: 1-line block ×3, first 2 shown]
	v_mov_b32_e32 v0, 0
	v_accvgpr_read_b32 v1, a150
	buffer_store_dword v0, off, s[0:3], 0 offset:528
	buffer_store_dword v0, off, s[0:3], 0 offset:532
	;; [unrolled: 1-line block ×4, first 2 shown]
	s_waitcnt vmcnt(4)
	ds_write_b128 v1, v[2:5]
.LBB49_249:
	s_or_b64 exec, exec, s[4:5]
	s_waitcnt lgkmcnt(0)
	; wave barrier
	s_waitcnt lgkmcnt(0)
	buffer_load_dword v2, off, s[0:3], 0 offset:544
	buffer_load_dword v3, off, s[0:3], 0 offset:548
	;; [unrolled: 1-line block ×68, first 2 shown]
	v_mov_b32_e32 v1, 0
	buffer_load_dword v138, off, s[0:3], 0 offset:528
	buffer_load_dword v139, off, s[0:3], 0 offset:532
	buffer_load_dword v140, off, s[0:3], 0 offset:536
	ds_read_b128 v[46:49], v1 offset:1328
	ds_read_b128 v[50:53], v1 offset:1344
	buffer_load_dword v141, off, s[0:3], 0 offset:540
	ds_read_b128 v[54:57], v1 offset:1360
	ds_read_b128 v[58:61], v1 offset:1376
	;; [unrolled: 1-line block ×3, first 2 shown]
	v_cmp_lt_u32_e32 vcc, 31, v254
	s_waitcnt vmcnt(62) lgkmcnt(4)
	v_mul_f64 v[62:63], v[46:47], v[6:7]
	v_fmac_f64_e32 v[62:63], v[48:49], v[2:3]
	v_add_f64 v[62:63], v[62:63], 0
	v_mul_f64 v[6:7], v[48:49], v[6:7]
	s_waitcnt lgkmcnt(3)
	v_mul_f64 v[64:65], v[50:51], v[10:11]
	v_fmac_f64_e32 v[64:65], v[52:53], v[4:5]
	v_add_f64 v[62:63], v[62:63], v[64:65]
	v_fma_f64 v[2:3], v[46:47], v[2:3], -v[6:7]
	s_waitcnt vmcnt(60) lgkmcnt(2)
	v_mul_f64 v[64:65], v[54:55], v[12:13]
	v_fmac_f64_e32 v[64:65], v[56:57], v[8:9]
	v_add_f64 v[66:67], v[62:63], v[64:65]
	ds_read_b128 v[62:65], v1 offset:1392
	s_waitcnt vmcnt(56) lgkmcnt(2)
	v_mul_f64 v[68:69], v[58:59], v[18:19]
	v_mul_f64 v[6:7], v[52:53], v[10:11]
	s_waitcnt vmcnt(54)
	v_fmac_f64_e32 v[68:69], v[60:61], v[20:21]
	v_add_f64 v[70:71], v[66:67], v[68:69]
	ds_read_b128 v[66:69], v1 offset:1408
	s_waitcnt vmcnt(53) lgkmcnt(1)
	v_mul_f64 v[72:73], v[62:63], v[14:15]
	s_waitcnt vmcnt(52)
	v_fmac_f64_e32 v[72:73], v[64:65], v[16:17]
	v_add_f64 v[74:75], v[70:71], v[72:73]
	ds_read_b128 v[70:73], v1 offset:1424
	s_waitcnt vmcnt(48) lgkmcnt(1)
	;; [unrolled: 6-line block ×4, first 2 shown]
	v_mul_f64 v[84:85], v[74:75], v[34:35]
	s_waitcnt vmcnt(38)
	v_fmac_f64_e32 v[84:85], v[76:77], v[36:37]
	v_add_f64 v[2:3], v[2:3], 0
	v_fma_f64 v[4:5], v[50:51], v[4:5], -v[6:7]
	v_add_f64 v[86:87], v[82:83], v[84:85]
	ds_read_b128 v[82:85], v1 offset:1472
	v_add_f64 v[2:3], v[2:3], v[4:5]
	v_mul_f64 v[4:5], v[56:57], v[12:13]
	v_fma_f64 v[4:5], v[54:55], v[8:9], -v[4:5]
	v_add_f64 v[2:3], v[2:3], v[4:5]
	v_mul_f64 v[4:5], v[60:61], v[18:19]
	s_waitcnt vmcnt(37) lgkmcnt(1)
	v_mul_f64 v[88:89], v[78:79], v[30:31]
	v_fma_f64 v[4:5], v[58:59], v[20:21], -v[4:5]
	s_waitcnt vmcnt(36)
	v_fmac_f64_e32 v[88:89], v[80:81], v[32:33]
	v_add_f64 v[2:3], v[2:3], v[4:5]
	v_mul_f64 v[4:5], v[64:65], v[14:15]
	v_add_f64 v[90:91], v[86:87], v[88:89]
	ds_read_b128 v[86:89], v1 offset:1488
	s_waitcnt vmcnt(32) lgkmcnt(1)
	v_mul_f64 v[92:93], v[82:83], v[42:43]
	v_fma_f64 v[4:5], v[62:63], v[16:17], -v[4:5]
	s_waitcnt vmcnt(30)
	v_fmac_f64_e32 v[92:93], v[84:85], v[44:45]
	v_add_f64 v[2:3], v[2:3], v[4:5]
	v_mul_f64 v[4:5], v[68:69], v[26:27]
	v_add_f64 v[94:95], v[90:91], v[92:93]
	ds_read_b128 v[90:93], v1 offset:1504
	v_fma_f64 v[4:5], v[66:67], v[28:29], -v[4:5]
	v_add_f64 v[2:3], v[2:3], v[4:5]
	v_mul_f64 v[4:5], v[72:73], v[22:23]
	v_fma_f64 v[4:5], v[70:71], v[24:25], -v[4:5]
	s_waitcnt vmcnt(29) lgkmcnt(1)
	v_mul_f64 v[96:97], v[86:87], v[38:39]
	v_add_f64 v[2:3], v[2:3], v[4:5]
	v_mul_f64 v[4:5], v[76:77], v[34:35]
	s_waitcnt vmcnt(28)
	v_fmac_f64_e32 v[96:97], v[88:89], v[40:41]
	v_fma_f64 v[4:5], v[74:75], v[36:37], -v[4:5]
	v_add_f64 v[98:99], v[94:95], v[96:97]
	ds_read_b128 v[94:97], v1 offset:1520
	s_waitcnt vmcnt(24) lgkmcnt(1)
	v_mul_f64 v[100:101], v[90:91], v[118:119]
	v_add_f64 v[2:3], v[2:3], v[4:5]
	v_mul_f64 v[4:5], v[80:81], v[30:31]
	s_waitcnt vmcnt(22)
	v_fmac_f64_e32 v[100:101], v[92:93], v[120:121]
	v_fma_f64 v[4:5], v[78:79], v[32:33], -v[4:5]
	v_add_f64 v[102:103], v[98:99], v[100:101]
	ds_read_b128 v[98:101], v1 offset:1536
	v_add_f64 v[2:3], v[2:3], v[4:5]
	v_mul_f64 v[4:5], v[84:85], v[42:43]
	v_fma_f64 v[4:5], v[82:83], v[44:45], -v[4:5]
	v_add_f64 v[2:3], v[2:3], v[4:5]
	v_mul_f64 v[4:5], v[88:89], v[38:39]
	s_waitcnt vmcnt(21) lgkmcnt(1)
	v_mul_f64 v[104:105], v[94:95], v[114:115]
	v_fma_f64 v[4:5], v[86:87], v[40:41], -v[4:5]
	s_waitcnt vmcnt(20)
	v_fmac_f64_e32 v[104:105], v[96:97], v[116:117]
	v_add_f64 v[2:3], v[2:3], v[4:5]
	v_mul_f64 v[4:5], v[92:93], v[118:119]
	v_add_f64 v[106:107], v[102:103], v[104:105]
	ds_read_b128 v[102:105], v1 offset:1552
	s_waitcnt vmcnt(16) lgkmcnt(1)
	v_mul_f64 v[108:109], v[98:99], v[126:127]
	v_fma_f64 v[4:5], v[90:91], v[120:121], -v[4:5]
	s_waitcnt vmcnt(14)
	v_fmac_f64_e32 v[108:109], v[100:101], v[128:129]
	v_add_f64 v[2:3], v[2:3], v[4:5]
	v_mul_f64 v[4:5], v[96:97], v[114:115]
	v_add_f64 v[142:143], v[106:107], v[108:109]
	ds_read_b128 v[106:109], v1 offset:1568
	v_fma_f64 v[4:5], v[94:95], v[116:117], -v[4:5]
	v_add_f64 v[2:3], v[2:3], v[4:5]
	v_mul_f64 v[4:5], v[100:101], v[126:127]
	v_fma_f64 v[4:5], v[98:99], v[128:129], -v[4:5]
	v_add_f64 v[2:3], v[2:3], v[4:5]
	s_waitcnt vmcnt(13) lgkmcnt(1)
	v_mul_f64 v[4:5], v[104:105], v[122:123]
	v_mul_f64 v[144:145], v[102:103], v[122:123]
	s_waitcnt vmcnt(12)
	v_fma_f64 v[4:5], v[102:103], v[124:125], -v[4:5]
	v_fmac_f64_e32 v[144:145], v[104:105], v[124:125]
	v_add_f64 v[2:3], v[2:3], v[4:5]
	s_waitcnt vmcnt(8) lgkmcnt(0)
	v_mul_f64 v[4:5], v[108:109], v[134:135]
	v_add_f64 v[142:143], v[142:143], v[144:145]
	v_mul_f64 v[144:145], v[106:107], v[134:135]
	s_waitcnt vmcnt(6)
	v_fma_f64 v[4:5], v[106:107], v[136:137], -v[4:5]
	v_fmac_f64_e32 v[144:145], v[108:109], v[136:137]
	v_add_f64 v[2:3], v[2:3], v[4:5]
	s_waitcnt vmcnt(5)
	v_mul_f64 v[4:5], v[112:113], v[130:131]
	v_add_f64 v[142:143], v[142:143], v[144:145]
	v_mul_f64 v[144:145], v[110:111], v[130:131]
	s_waitcnt vmcnt(4)
	v_fma_f64 v[4:5], v[110:111], v[132:133], -v[4:5]
	v_fmac_f64_e32 v[144:145], v[112:113], v[132:133]
	v_add_f64 v[2:3], v[2:3], v[4:5]
	v_add_f64 v[142:143], v[142:143], v[144:145]
	s_waitcnt vmcnt(2)
	v_add_f64 v[2:3], v[138:139], -v[2:3]
	s_waitcnt vmcnt(0)
	v_add_f64 v[4:5], v[140:141], -v[142:143]
	buffer_store_dword v3, off, s[0:3], 0 offset:532
	buffer_store_dword v2, off, s[0:3], 0 offset:528
	;; [unrolled: 1-line block ×4, first 2 shown]
	s_and_saveexec_b64 s[4:5], vcc
	s_cbranch_execz .LBB49_251
; %bb.250:
	v_accvgpr_read_b32 v0, a118
	buffer_load_dword v2, v0, s[0:3], 0 offen
	buffer_load_dword v3, v0, s[0:3], 0 offen offset:4
	buffer_load_dword v4, v0, s[0:3], 0 offen offset:8
	;; [unrolled: 1-line block ×3, first 2 shown]
	v_accvgpr_read_b32 v0, a150
	buffer_store_dword v1, off, s[0:3], 0 offset:512
	buffer_store_dword v1, off, s[0:3], 0 offset:516
	buffer_store_dword v1, off, s[0:3], 0 offset:520
	buffer_store_dword v1, off, s[0:3], 0 offset:524
	s_waitcnt vmcnt(4)
	ds_write_b128 v0, v[2:5]
.LBB49_251:
	s_or_b64 exec, exec, s[4:5]
	s_waitcnt lgkmcnt(0)
	; wave barrier
	s_waitcnt lgkmcnt(0)
	buffer_load_dword v2, off, s[0:3], 0 offset:528
	buffer_load_dword v3, off, s[0:3], 0 offset:532
	;; [unrolled: 1-line block ×72, first 2 shown]
	ds_read_b128 v[52:55], v1 offset:1312
	buffer_load_dword v146, off, s[0:3], 0 offset:512
	buffer_load_dword v147, off, s[0:3], 0 offset:516
	buffer_load_dword v148, off, s[0:3], 0 offset:520
	buffer_load_dword v149, off, s[0:3], 0 offset:524
	ds_read_b128 v[56:59], v1 offset:1328
	ds_read_b128 v[60:63], v1 offset:1344
	;; [unrolled: 1-line block ×3, first 2 shown]
	v_cmp_lt_u32_e32 vcc, 30, v254
	ds_read_b128 v[120:123], v1 offset:1584
	s_waitcnt vmcnt(62) lgkmcnt(4)
	v_mul_f64 v[68:69], v[52:53], v[8:9]
	v_fmac_f64_e32 v[68:69], v[54:55], v[2:3]
	v_add_f64 v[68:69], v[68:69], 0
	v_mul_f64 v[8:9], v[54:55], v[8:9]
	s_waitcnt lgkmcnt(3)
	v_mul_f64 v[70:71], v[56:57], v[10:11]
	v_fmac_f64_e32 v[70:71], v[58:59], v[4:5]
	v_add_f64 v[68:69], v[68:69], v[70:71]
	v_fma_f64 v[2:3], v[52:53], v[2:3], -v[8:9]
	s_waitcnt lgkmcnt(2)
	v_mul_f64 v[70:71], v[60:61], v[12:13]
	v_fmac_f64_e32 v[70:71], v[62:63], v[6:7]
	v_add_f64 v[72:73], v[68:69], v[70:71]
	ds_read_b128 v[68:71], v1 offset:1376
	s_waitcnt vmcnt(60) lgkmcnt(2)
	v_mul_f64 v[74:75], v[64:65], v[18:19]
	v_mul_f64 v[8:9], v[58:59], v[10:11]
	s_waitcnt vmcnt(58)
	v_fmac_f64_e32 v[74:75], v[66:67], v[20:21]
	v_add_f64 v[76:77], v[72:73], v[74:75]
	ds_read_b128 v[72:75], v1 offset:1392
	s_waitcnt vmcnt(57) lgkmcnt(1)
	v_mul_f64 v[78:79], v[68:69], v[14:15]
	s_waitcnt vmcnt(56)
	v_fmac_f64_e32 v[78:79], v[70:71], v[16:17]
	v_add_f64 v[80:81], v[76:77], v[78:79]
	ds_read_b128 v[76:79], v1 offset:1408
	s_waitcnt vmcnt(52) lgkmcnt(1)
	;; [unrolled: 6-line block ×4, first 2 shown]
	v_mul_f64 v[90:91], v[80:81], v[34:35]
	s_waitcnt vmcnt(42)
	v_fmac_f64_e32 v[90:91], v[82:83], v[36:37]
	v_add_f64 v[2:3], v[2:3], 0
	v_fma_f64 v[4:5], v[56:57], v[4:5], -v[8:9]
	v_add_f64 v[92:93], v[88:89], v[90:91]
	ds_read_b128 v[88:91], v1 offset:1456
	s_waitcnt vmcnt(41) lgkmcnt(1)
	v_mul_f64 v[94:95], v[84:85], v[30:31]
	v_add_f64 v[2:3], v[2:3], v[4:5]
	v_mul_f64 v[4:5], v[62:63], v[12:13]
	s_waitcnt vmcnt(40)
	v_fmac_f64_e32 v[94:95], v[86:87], v[32:33]
	v_fma_f64 v[4:5], v[60:61], v[6:7], -v[4:5]
	v_add_f64 v[96:97], v[92:93], v[94:95]
	ds_read_b128 v[92:95], v1 offset:1472
	v_add_f64 v[2:3], v[2:3], v[4:5]
	v_mul_f64 v[4:5], v[66:67], v[18:19]
	v_fma_f64 v[4:5], v[64:65], v[20:21], -v[4:5]
	v_add_f64 v[2:3], v[2:3], v[4:5]
	v_mul_f64 v[4:5], v[70:71], v[14:15]
	s_waitcnt vmcnt(36) lgkmcnt(1)
	v_mul_f64 v[98:99], v[88:89], v[42:43]
	v_fma_f64 v[4:5], v[68:69], v[16:17], -v[4:5]
	s_waitcnt vmcnt(34)
	v_fmac_f64_e32 v[98:99], v[90:91], v[44:45]
	v_add_f64 v[2:3], v[2:3], v[4:5]
	v_mul_f64 v[4:5], v[74:75], v[26:27]
	v_add_f64 v[100:101], v[96:97], v[98:99]
	ds_read_b128 v[96:99], v1 offset:1488
	s_waitcnt vmcnt(33) lgkmcnt(1)
	v_mul_f64 v[102:103], v[92:93], v[38:39]
	v_fma_f64 v[4:5], v[72:73], v[28:29], -v[4:5]
	s_waitcnt vmcnt(32)
	v_fmac_f64_e32 v[102:103], v[94:95], v[40:41]
	v_add_f64 v[2:3], v[2:3], v[4:5]
	v_mul_f64 v[4:5], v[78:79], v[22:23]
	v_add_f64 v[104:105], v[100:101], v[102:103]
	ds_read_b128 v[100:103], v1 offset:1504
	v_fma_f64 v[4:5], v[76:77], v[24:25], -v[4:5]
	v_add_f64 v[2:3], v[2:3], v[4:5]
	v_mul_f64 v[4:5], v[82:83], v[34:35]
	v_fma_f64 v[4:5], v[80:81], v[36:37], -v[4:5]
	s_waitcnt vmcnt(28) lgkmcnt(1)
	v_mul_f64 v[106:107], v[96:97], v[50:51]
	v_add_f64 v[2:3], v[2:3], v[4:5]
	v_mul_f64 v[4:5], v[86:87], v[30:31]
	s_waitcnt vmcnt(26)
	v_fmac_f64_e32 v[106:107], v[98:99], v[124:125]
	v_fma_f64 v[4:5], v[84:85], v[32:33], -v[4:5]
	v_add_f64 v[108:109], v[104:105], v[106:107]
	ds_read_b128 v[104:107], v1 offset:1520
	s_waitcnt vmcnt(25) lgkmcnt(1)
	v_mul_f64 v[110:111], v[100:101], v[46:47]
	v_add_f64 v[2:3], v[2:3], v[4:5]
	v_mul_f64 v[4:5], v[90:91], v[42:43]
	s_waitcnt vmcnt(24)
	v_fmac_f64_e32 v[110:111], v[102:103], v[48:49]
	v_fma_f64 v[4:5], v[88:89], v[44:45], -v[4:5]
	v_add_f64 v[112:113], v[108:109], v[110:111]
	ds_read_b128 v[108:111], v1 offset:1536
	v_add_f64 v[2:3], v[2:3], v[4:5]
	v_mul_f64 v[4:5], v[94:95], v[38:39]
	v_fma_f64 v[4:5], v[92:93], v[40:41], -v[4:5]
	v_add_f64 v[2:3], v[2:3], v[4:5]
	v_mul_f64 v[4:5], v[98:99], v[50:51]
	s_waitcnt vmcnt(20) lgkmcnt(1)
	v_mul_f64 v[114:115], v[104:105], v[130:131]
	v_fma_f64 v[4:5], v[96:97], v[124:125], -v[4:5]
	s_waitcnt vmcnt(18)
	v_fmac_f64_e32 v[114:115], v[106:107], v[132:133]
	v_add_f64 v[2:3], v[2:3], v[4:5]
	v_mul_f64 v[4:5], v[102:103], v[46:47]
	v_add_f64 v[116:117], v[112:113], v[114:115]
	ds_read_b128 v[112:115], v1 offset:1552
	s_waitcnt vmcnt(17) lgkmcnt(1)
	v_mul_f64 v[118:119], v[108:109], v[126:127]
	v_fma_f64 v[4:5], v[100:101], v[48:49], -v[4:5]
	s_waitcnt vmcnt(16)
	v_fmac_f64_e32 v[118:119], v[110:111], v[128:129]
	v_add_f64 v[2:3], v[2:3], v[4:5]
	v_mul_f64 v[4:5], v[106:107], v[130:131]
	v_add_f64 v[150:151], v[116:117], v[118:119]
	ds_read_b128 v[116:119], v1 offset:1568
	v_fma_f64 v[4:5], v[104:105], v[132:133], -v[4:5]
	v_add_f64 v[2:3], v[2:3], v[4:5]
	v_mul_f64 v[4:5], v[110:111], v[126:127]
	v_fma_f64 v[4:5], v[108:109], v[128:129], -v[4:5]
	v_add_f64 v[2:3], v[2:3], v[4:5]
	s_waitcnt vmcnt(12) lgkmcnt(1)
	v_mul_f64 v[4:5], v[114:115], v[138:139]
	v_mul_f64 v[152:153], v[112:113], v[138:139]
	s_waitcnt vmcnt(10)
	v_fma_f64 v[4:5], v[112:113], v[140:141], -v[4:5]
	v_fmac_f64_e32 v[152:153], v[114:115], v[140:141]
	v_add_f64 v[2:3], v[2:3], v[4:5]
	s_waitcnt vmcnt(9) lgkmcnt(0)
	v_mul_f64 v[4:5], v[118:119], v[134:135]
	v_add_f64 v[150:151], v[150:151], v[152:153]
	v_mul_f64 v[152:153], v[116:117], v[134:135]
	s_waitcnt vmcnt(8)
	v_fma_f64 v[4:5], v[116:117], v[136:137], -v[4:5]
	v_fmac_f64_e32 v[152:153], v[118:119], v[136:137]
	v_add_f64 v[2:3], v[2:3], v[4:5]
	s_waitcnt vmcnt(6)
	v_mul_f64 v[4:5], v[122:123], v[142:143]
	v_add_f64 v[150:151], v[150:151], v[152:153]
	v_mul_f64 v[152:153], v[120:121], v[142:143]
	s_waitcnt vmcnt(4)
	v_fma_f64 v[4:5], v[120:121], v[144:145], -v[4:5]
	v_fmac_f64_e32 v[152:153], v[122:123], v[144:145]
	v_add_f64 v[2:3], v[2:3], v[4:5]
	v_add_f64 v[150:151], v[150:151], v[152:153]
	s_waitcnt vmcnt(2)
	v_add_f64 v[2:3], v[146:147], -v[2:3]
	s_waitcnt vmcnt(0)
	v_add_f64 v[4:5], v[148:149], -v[150:151]
	buffer_store_dword v3, off, s[0:3], 0 offset:516
	buffer_store_dword v2, off, s[0:3], 0 offset:512
	;; [unrolled: 1-line block ×4, first 2 shown]
	s_and_saveexec_b64 s[4:5], vcc
	s_cbranch_execz .LBB49_253
; %bb.252:
	v_accvgpr_read_b32 v0, a119
	buffer_load_dword v2, v0, s[0:3], 0 offen
	buffer_load_dword v3, v0, s[0:3], 0 offen offset:4
	buffer_load_dword v4, v0, s[0:3], 0 offen offset:8
	;; [unrolled: 1-line block ×3, first 2 shown]
	v_mov_b32_e32 v0, 0
	v_accvgpr_read_b32 v1, a150
	buffer_store_dword v0, off, s[0:3], 0 offset:496
	buffer_store_dword v0, off, s[0:3], 0 offset:500
	;; [unrolled: 1-line block ×4, first 2 shown]
	s_waitcnt vmcnt(4)
	ds_write_b128 v1, v[2:5]
.LBB49_253:
	s_or_b64 exec, exec, s[4:5]
	s_waitcnt lgkmcnt(0)
	; wave barrier
	s_waitcnt lgkmcnt(0)
	buffer_load_dword v2, off, s[0:3], 0 offset:512
	buffer_load_dword v3, off, s[0:3], 0 offset:516
	;; [unrolled: 1-line block ×76, first 2 shown]
	v_mov_b32_e32 v1, 0
	ds_read_b128 v[54:57], v1 offset:1296
	buffer_load_dword v154, off, s[0:3], 0 offset:496
	buffer_load_dword v155, off, s[0:3], 0 offset:500
	;; [unrolled: 1-line block ×4, first 2 shown]
	ds_read_b128 v[58:61], v1 offset:1312
	ds_read_b128 v[62:65], v1 offset:1328
	;; [unrolled: 1-line block ×4, first 2 shown]
	v_cmp_lt_u32_e32 vcc, 29, v254
	s_waitcnt vmcnt(62) lgkmcnt(4)
	v_mul_f64 v[70:71], v[54:55], v[8:9]
	v_fmac_f64_e32 v[70:71], v[56:57], v[2:3]
	v_add_f64 v[70:71], v[70:71], 0
	v_mul_f64 v[8:9], v[56:57], v[8:9]
	s_waitcnt lgkmcnt(3)
	v_mul_f64 v[72:73], v[58:59], v[10:11]
	v_fmac_f64_e32 v[72:73], v[60:61], v[4:5]
	v_add_f64 v[70:71], v[70:71], v[72:73]
	v_fma_f64 v[2:3], v[54:55], v[2:3], -v[8:9]
	s_waitcnt lgkmcnt(2)
	v_mul_f64 v[72:73], v[62:63], v[12:13]
	v_fmac_f64_e32 v[72:73], v[64:65], v[6:7]
	v_add_f64 v[74:75], v[70:71], v[72:73]
	ds_read_b128 v[70:73], v1 offset:1360
	s_waitcnt lgkmcnt(2)
	v_mul_f64 v[76:77], v[66:67], v[18:19]
	v_mul_f64 v[8:9], v[60:61], v[10:11]
	v_fmac_f64_e32 v[76:77], v[68:69], v[20:21]
	v_add_f64 v[78:79], v[74:75], v[76:77]
	ds_read_b128 v[74:77], v1 offset:1376
	s_waitcnt vmcnt(61) lgkmcnt(1)
	v_mul_f64 v[80:81], v[70:71], v[14:15]
	s_waitcnt vmcnt(60)
	v_fmac_f64_e32 v[80:81], v[72:73], v[16:17]
	v_add_f64 v[82:83], v[78:79], v[80:81]
	ds_read_b128 v[78:81], v1 offset:1392
	s_waitcnt vmcnt(56) lgkmcnt(1)
	v_mul_f64 v[84:85], v[74:75], v[26:27]
	s_waitcnt vmcnt(54)
	;; [unrolled: 6-line block ×4, first 2 shown]
	v_fmac_f64_e32 v[92:93], v[84:85], v[36:37]
	v_add_f64 v[94:95], v[90:91], v[92:93]
	ds_read_b128 v[90:93], v1 offset:1440
	v_add_f64 v[2:3], v[2:3], 0
	v_fma_f64 v[4:5], v[58:59], v[4:5], -v[8:9]
	s_waitcnt vmcnt(45) lgkmcnt(1)
	v_mul_f64 v[96:97], v[86:87], v[30:31]
	v_add_f64 v[2:3], v[2:3], v[4:5]
	v_mul_f64 v[4:5], v[64:65], v[12:13]
	s_waitcnt vmcnt(44)
	v_fmac_f64_e32 v[96:97], v[88:89], v[32:33]
	v_fma_f64 v[4:5], v[62:63], v[6:7], -v[4:5]
	v_add_f64 v[98:99], v[94:95], v[96:97]
	ds_read_b128 v[94:97], v1 offset:1456
	s_waitcnt vmcnt(40) lgkmcnt(1)
	v_mul_f64 v[100:101], v[90:91], v[42:43]
	v_add_f64 v[2:3], v[2:3], v[4:5]
	v_mul_f64 v[4:5], v[68:69], v[18:19]
	s_waitcnt vmcnt(38)
	v_fmac_f64_e32 v[100:101], v[92:93], v[44:45]
	v_fma_f64 v[4:5], v[66:67], v[20:21], -v[4:5]
	v_add_f64 v[102:103], v[98:99], v[100:101]
	ds_read_b128 v[98:101], v1 offset:1472
	v_add_f64 v[2:3], v[2:3], v[4:5]
	v_mul_f64 v[4:5], v[72:73], v[14:15]
	v_fma_f64 v[4:5], v[70:71], v[16:17], -v[4:5]
	v_add_f64 v[2:3], v[2:3], v[4:5]
	v_mul_f64 v[4:5], v[76:77], v[26:27]
	s_waitcnt vmcnt(37) lgkmcnt(1)
	v_mul_f64 v[104:105], v[94:95], v[38:39]
	v_fma_f64 v[4:5], v[74:75], v[28:29], -v[4:5]
	s_waitcnt vmcnt(36)
	v_fmac_f64_e32 v[104:105], v[96:97], v[40:41]
	v_add_f64 v[2:3], v[2:3], v[4:5]
	v_mul_f64 v[4:5], v[80:81], v[22:23]
	v_add_f64 v[106:107], v[102:103], v[104:105]
	ds_read_b128 v[102:105], v1 offset:1488
	s_waitcnt vmcnt(32) lgkmcnt(1)
	v_mul_f64 v[108:109], v[98:99], v[50:51]
	v_fma_f64 v[4:5], v[78:79], v[24:25], -v[4:5]
	s_waitcnt vmcnt(30)
	v_fmac_f64_e32 v[108:109], v[100:101], v[52:53]
	v_add_f64 v[2:3], v[2:3], v[4:5]
	v_mul_f64 v[4:5], v[84:85], v[34:35]
	v_add_f64 v[110:111], v[106:107], v[108:109]
	ds_read_b128 v[106:109], v1 offset:1504
	v_fma_f64 v[4:5], v[82:83], v[36:37], -v[4:5]
	v_add_f64 v[2:3], v[2:3], v[4:5]
	v_mul_f64 v[4:5], v[88:89], v[30:31]
	v_fma_f64 v[4:5], v[86:87], v[32:33], -v[4:5]
	s_waitcnt vmcnt(29) lgkmcnt(1)
	v_mul_f64 v[112:113], v[102:103], v[46:47]
	v_add_f64 v[2:3], v[2:3], v[4:5]
	v_mul_f64 v[4:5], v[92:93], v[42:43]
	s_waitcnt vmcnt(28)
	v_fmac_f64_e32 v[112:113], v[104:105], v[48:49]
	v_fma_f64 v[4:5], v[90:91], v[44:45], -v[4:5]
	v_add_f64 v[114:115], v[110:111], v[112:113]
	ds_read_b128 v[110:113], v1 offset:1520
	s_waitcnt vmcnt(24) lgkmcnt(1)
	v_mul_f64 v[116:117], v[106:107], v[134:135]
	v_add_f64 v[2:3], v[2:3], v[4:5]
	v_mul_f64 v[4:5], v[96:97], v[38:39]
	s_waitcnt vmcnt(22)
	v_fmac_f64_e32 v[116:117], v[108:109], v[136:137]
	v_fma_f64 v[4:5], v[94:95], v[40:41], -v[4:5]
	v_add_f64 v[118:119], v[114:115], v[116:117]
	ds_read_b128 v[114:117], v1 offset:1536
	v_add_f64 v[2:3], v[2:3], v[4:5]
	v_mul_f64 v[4:5], v[100:101], v[50:51]
	v_fma_f64 v[4:5], v[98:99], v[52:53], -v[4:5]
	v_add_f64 v[2:3], v[2:3], v[4:5]
	v_mul_f64 v[4:5], v[104:105], v[46:47]
	s_waitcnt vmcnt(21) lgkmcnt(1)
	v_mul_f64 v[120:121], v[110:111], v[130:131]
	v_fma_f64 v[4:5], v[102:103], v[48:49], -v[4:5]
	s_waitcnt vmcnt(20)
	v_fmac_f64_e32 v[120:121], v[112:113], v[132:133]
	v_add_f64 v[2:3], v[2:3], v[4:5]
	v_mul_f64 v[4:5], v[108:109], v[134:135]
	v_add_f64 v[122:123], v[118:119], v[120:121]
	ds_read_b128 v[118:121], v1 offset:1552
	s_waitcnt vmcnt(16) lgkmcnt(1)
	v_mul_f64 v[124:125], v[114:115], v[142:143]
	v_fma_f64 v[4:5], v[106:107], v[136:137], -v[4:5]
	s_waitcnt vmcnt(14)
	v_fmac_f64_e32 v[124:125], v[116:117], v[144:145]
	v_add_f64 v[2:3], v[2:3], v[4:5]
	v_mul_f64 v[4:5], v[112:113], v[130:131]
	v_add_f64 v[158:159], v[122:123], v[124:125]
	ds_read_b128 v[122:125], v1 offset:1568
	v_fma_f64 v[4:5], v[110:111], v[132:133], -v[4:5]
	v_add_f64 v[2:3], v[2:3], v[4:5]
	v_mul_f64 v[4:5], v[116:117], v[142:143]
	v_fma_f64 v[4:5], v[114:115], v[144:145], -v[4:5]
	v_add_f64 v[2:3], v[2:3], v[4:5]
	s_waitcnt vmcnt(13) lgkmcnt(1)
	v_mul_f64 v[4:5], v[120:121], v[138:139]
	v_mul_f64 v[160:161], v[118:119], v[138:139]
	s_waitcnt vmcnt(12)
	v_fma_f64 v[4:5], v[118:119], v[140:141], -v[4:5]
	v_fmac_f64_e32 v[160:161], v[120:121], v[140:141]
	v_add_f64 v[2:3], v[2:3], v[4:5]
	s_waitcnt vmcnt(8) lgkmcnt(0)
	v_mul_f64 v[4:5], v[124:125], v[150:151]
	v_add_f64 v[158:159], v[158:159], v[160:161]
	v_mul_f64 v[160:161], v[122:123], v[150:151]
	s_waitcnt vmcnt(6)
	v_fma_f64 v[4:5], v[122:123], v[152:153], -v[4:5]
	v_fmac_f64_e32 v[160:161], v[124:125], v[152:153]
	v_add_f64 v[2:3], v[2:3], v[4:5]
	s_waitcnt vmcnt(5)
	v_mul_f64 v[4:5], v[128:129], v[146:147]
	v_add_f64 v[158:159], v[158:159], v[160:161]
	v_mul_f64 v[160:161], v[126:127], v[146:147]
	s_waitcnt vmcnt(4)
	v_fma_f64 v[4:5], v[126:127], v[148:149], -v[4:5]
	v_fmac_f64_e32 v[160:161], v[128:129], v[148:149]
	v_add_f64 v[2:3], v[2:3], v[4:5]
	v_add_f64 v[158:159], v[158:159], v[160:161]
	s_waitcnt vmcnt(2)
	v_add_f64 v[2:3], v[154:155], -v[2:3]
	s_waitcnt vmcnt(0)
	v_add_f64 v[4:5], v[156:157], -v[158:159]
	buffer_store_dword v3, off, s[0:3], 0 offset:500
	buffer_store_dword v2, off, s[0:3], 0 offset:496
	;; [unrolled: 1-line block ×4, first 2 shown]
	s_and_saveexec_b64 s[4:5], vcc
	s_cbranch_execz .LBB49_255
; %bb.254:
	v_accvgpr_read_b32 v0, a120
	buffer_load_dword v2, v0, s[0:3], 0 offen
	buffer_load_dword v3, v0, s[0:3], 0 offen offset:4
	buffer_load_dword v4, v0, s[0:3], 0 offen offset:8
	;; [unrolled: 1-line block ×3, first 2 shown]
	v_accvgpr_read_b32 v0, a150
	buffer_store_dword v1, off, s[0:3], 0 offset:480
	buffer_store_dword v1, off, s[0:3], 0 offset:484
	;; [unrolled: 1-line block ×4, first 2 shown]
	s_waitcnt vmcnt(4)
	ds_write_b128 v0, v[2:5]
.LBB49_255:
	s_or_b64 exec, exec, s[4:5]
	s_waitcnt lgkmcnt(0)
	; wave barrier
	s_waitcnt lgkmcnt(0)
	buffer_load_dword v2, off, s[0:3], 0 offset:496
	buffer_load_dword v3, off, s[0:3], 0 offset:500
	;; [unrolled: 1-line block ×76, first 2 shown]
	ds_read_b128 v[54:57], v1 offset:1280
	buffer_load_dword v159, off, s[0:3], 0 offset:812
	buffer_load_dword v158, off, s[0:3], 0 offset:808
	;; [unrolled: 1-line block ×8, first 2 shown]
	ds_read_b128 v[58:61], v1 offset:1296
	ds_read_b128 v[62:65], v1 offset:1312
	;; [unrolled: 1-line block ×3, first 2 shown]
	v_cmp_lt_u32_e32 vcc, 28, v254
	ds_read_b128 v[130:133], v1 offset:1584
	s_waitcnt vmcnt(62) lgkmcnt(4)
	v_mul_f64 v[70:71], v[54:55], v[8:9]
	v_fmac_f64_e32 v[70:71], v[56:57], v[2:3]
	v_add_f64 v[70:71], v[70:71], 0
	v_mul_f64 v[8:9], v[56:57], v[8:9]
	s_waitcnt lgkmcnt(3)
	v_mul_f64 v[72:73], v[58:59], v[10:11]
	v_fmac_f64_e32 v[72:73], v[60:61], v[4:5]
	v_add_f64 v[70:71], v[70:71], v[72:73]
	v_fma_f64 v[2:3], v[54:55], v[2:3], -v[8:9]
	s_waitcnt lgkmcnt(2)
	v_mul_f64 v[72:73], v[62:63], v[12:13]
	v_fmac_f64_e32 v[72:73], v[64:65], v[6:7]
	v_add_f64 v[74:75], v[70:71], v[72:73]
	ds_read_b128 v[70:73], v1 offset:1344
	v_mul_f64 v[8:9], v[60:61], v[10:11]
	v_add_f64 v[2:3], v[2:3], 0
	s_waitcnt lgkmcnt(2)
	v_mul_f64 v[76:77], v[66:67], v[18:19]
	v_fma_f64 v[4:5], v[58:59], v[4:5], -v[8:9]
	v_fmac_f64_e32 v[76:77], v[68:69], v[20:21]
	v_add_f64 v[78:79], v[74:75], v[76:77]
	ds_read_b128 v[74:77], v1 offset:1360
	s_waitcnt lgkmcnt(1)
	v_mul_f64 v[80:81], v[70:71], v[14:15]
	v_fmac_f64_e32 v[80:81], v[72:73], v[16:17]
	v_add_f64 v[82:83], v[78:79], v[80:81]
	ds_read_b128 v[78:81], v1 offset:1376
	s_waitcnt vmcnt(58) lgkmcnt(1)
	v_mul_f64 v[84:85], v[74:75], v[26:27]
	s_waitcnt vmcnt(56)
	v_fmac_f64_e32 v[84:85], v[76:77], v[28:29]
	v_add_f64 v[86:87], v[82:83], v[84:85]
	ds_read_b128 v[82:85], v1 offset:1392
	s_waitcnt lgkmcnt(1)
	v_mul_f64 v[88:89], v[78:79], v[22:23]
	v_fmac_f64_e32 v[88:89], v[80:81], v[24:25]
	v_add_f64 v[90:91], v[86:87], v[88:89]
	ds_read_b128 v[86:89], v1 offset:1408
	s_waitcnt vmcnt(50) lgkmcnt(1)
	v_mul_f64 v[92:93], v[82:83], v[34:35]
	s_waitcnt vmcnt(48)
	v_fmac_f64_e32 v[92:93], v[84:85], v[36:37]
	v_add_f64 v[94:95], v[90:91], v[92:93]
	ds_read_b128 v[90:93], v1 offset:1424
	s_waitcnt lgkmcnt(1)
	v_mul_f64 v[96:97], v[86:87], v[30:31]
	v_fmac_f64_e32 v[96:97], v[88:89], v[32:33]
	v_add_f64 v[98:99], v[94:95], v[96:97]
	ds_read_b128 v[94:97], v1 offset:1440
	v_add_f64 v[2:3], v[2:3], v[4:5]
	v_mul_f64 v[4:5], v[64:65], v[12:13]
	v_fma_f64 v[4:5], v[62:63], v[6:7], -v[4:5]
	s_waitcnt vmcnt(42) lgkmcnt(1)
	v_mul_f64 v[100:101], v[90:91], v[42:43]
	v_add_f64 v[2:3], v[2:3], v[4:5]
	v_mul_f64 v[4:5], v[68:69], v[18:19]
	s_waitcnt vmcnt(40)
	v_fmac_f64_e32 v[100:101], v[92:93], v[44:45]
	v_fma_f64 v[4:5], v[66:67], v[20:21], -v[4:5]
	v_add_f64 v[102:103], v[98:99], v[100:101]
	ds_read_b128 v[98:101], v1 offset:1456
	s_waitcnt lgkmcnt(1)
	v_mul_f64 v[104:105], v[94:95], v[38:39]
	v_add_f64 v[2:3], v[2:3], v[4:5]
	v_mul_f64 v[4:5], v[72:73], v[14:15]
	v_fmac_f64_e32 v[104:105], v[96:97], v[40:41]
	v_fma_f64 v[4:5], v[70:71], v[16:17], -v[4:5]
	v_add_f64 v[106:107], v[102:103], v[104:105]
	ds_read_b128 v[102:105], v1 offset:1472
	v_add_f64 v[2:3], v[2:3], v[4:5]
	v_mul_f64 v[4:5], v[76:77], v[26:27]
	v_fma_f64 v[4:5], v[74:75], v[28:29], -v[4:5]
	v_add_f64 v[2:3], v[2:3], v[4:5]
	v_mul_f64 v[4:5], v[80:81], v[22:23]
	s_waitcnt vmcnt(34) lgkmcnt(1)
	v_mul_f64 v[108:109], v[98:99], v[50:51]
	v_fma_f64 v[4:5], v[78:79], v[24:25], -v[4:5]
	s_waitcnt vmcnt(32)
	v_fmac_f64_e32 v[108:109], v[100:101], v[52:53]
	v_add_f64 v[2:3], v[2:3], v[4:5]
	v_mul_f64 v[4:5], v[84:85], v[34:35]
	v_add_f64 v[110:111], v[106:107], v[108:109]
	ds_read_b128 v[106:109], v1 offset:1488
	s_waitcnt lgkmcnt(1)
	v_mul_f64 v[112:113], v[102:103], v[46:47]
	v_fma_f64 v[4:5], v[82:83], v[36:37], -v[4:5]
	v_fmac_f64_e32 v[112:113], v[104:105], v[48:49]
	v_add_f64 v[2:3], v[2:3], v[4:5]
	v_mul_f64 v[4:5], v[88:89], v[30:31]
	v_add_f64 v[114:115], v[110:111], v[112:113]
	ds_read_b128 v[110:113], v1 offset:1504
	v_fma_f64 v[4:5], v[86:87], v[32:33], -v[4:5]
	v_add_f64 v[2:3], v[2:3], v[4:5]
	v_mul_f64 v[4:5], v[92:93], v[42:43]
	v_fma_f64 v[4:5], v[90:91], v[44:45], -v[4:5]
	s_waitcnt vmcnt(26) lgkmcnt(1)
	v_mul_f64 v[116:117], v[106:107], v[138:139]
	v_add_f64 v[2:3], v[2:3], v[4:5]
	v_mul_f64 v[4:5], v[96:97], v[38:39]
	s_waitcnt vmcnt(24)
	v_fmac_f64_e32 v[116:117], v[108:109], v[140:141]
	v_fma_f64 v[4:5], v[94:95], v[40:41], -v[4:5]
	v_add_f64 v[118:119], v[114:115], v[116:117]
	ds_read_b128 v[114:117], v1 offset:1520
	s_waitcnt lgkmcnt(1)
	v_mul_f64 v[120:121], v[110:111], v[134:135]
	v_add_f64 v[2:3], v[2:3], v[4:5]
	v_mul_f64 v[4:5], v[100:101], v[50:51]
	v_fmac_f64_e32 v[120:121], v[112:113], v[136:137]
	v_fma_f64 v[4:5], v[98:99], v[52:53], -v[4:5]
	v_add_f64 v[122:123], v[118:119], v[120:121]
	ds_read_b128 v[118:121], v1 offset:1536
	v_add_f64 v[2:3], v[2:3], v[4:5]
	v_mul_f64 v[4:5], v[104:105], v[46:47]
	v_fma_f64 v[4:5], v[102:103], v[48:49], -v[4:5]
	v_add_f64 v[2:3], v[2:3], v[4:5]
	v_mul_f64 v[4:5], v[108:109], v[138:139]
	s_waitcnt vmcnt(18) lgkmcnt(1)
	v_mul_f64 v[124:125], v[114:115], v[146:147]
	v_fma_f64 v[4:5], v[106:107], v[140:141], -v[4:5]
	s_waitcnt vmcnt(16)
	v_fmac_f64_e32 v[124:125], v[116:117], v[148:149]
	v_add_f64 v[2:3], v[2:3], v[4:5]
	v_mul_f64 v[4:5], v[112:113], v[134:135]
	v_add_f64 v[126:127], v[122:123], v[124:125]
	ds_read_b128 v[122:125], v1 offset:1552
	s_waitcnt lgkmcnt(1)
	v_mul_f64 v[128:129], v[118:119], v[142:143]
	v_fma_f64 v[4:5], v[110:111], v[136:137], -v[4:5]
	v_fmac_f64_e32 v[128:129], v[120:121], v[144:145]
	v_add_f64 v[2:3], v[2:3], v[4:5]
	v_mul_f64 v[4:5], v[116:117], v[146:147]
	v_add_f64 v[166:167], v[126:127], v[128:129]
	ds_read_b128 v[126:129], v1 offset:1568
	v_fma_f64 v[4:5], v[114:115], v[148:149], -v[4:5]
	v_add_f64 v[2:3], v[2:3], v[4:5]
	v_mul_f64 v[4:5], v[120:121], v[142:143]
	v_fma_f64 v[4:5], v[118:119], v[144:145], -v[4:5]
	v_add_f64 v[2:3], v[2:3], v[4:5]
	s_waitcnt vmcnt(10) lgkmcnt(1)
	v_mul_f64 v[4:5], v[124:125], v[154:155]
	v_mul_f64 v[168:169], v[122:123], v[154:155]
	s_waitcnt vmcnt(8)
	v_fma_f64 v[4:5], v[122:123], v[156:157], -v[4:5]
	v_fmac_f64_e32 v[168:169], v[124:125], v[156:157]
	v_add_f64 v[2:3], v[2:3], v[4:5]
	s_waitcnt lgkmcnt(0)
	v_mul_f64 v[4:5], v[128:129], v[150:151]
	v_add_f64 v[166:167], v[166:167], v[168:169]
	v_mul_f64 v[168:169], v[126:127], v[150:151]
	v_fma_f64 v[4:5], v[126:127], v[152:153], -v[4:5]
	v_fmac_f64_e32 v[168:169], v[128:129], v[152:153]
	v_add_f64 v[2:3], v[2:3], v[4:5]
	s_waitcnt vmcnt(6)
	v_mul_f64 v[4:5], v[132:133], v[158:159]
	v_add_f64 v[166:167], v[166:167], v[168:169]
	v_mul_f64 v[168:169], v[130:131], v[158:159]
	s_waitcnt vmcnt(4)
	v_fma_f64 v[4:5], v[130:131], v[160:161], -v[4:5]
	v_fmac_f64_e32 v[168:169], v[132:133], v[160:161]
	v_add_f64 v[2:3], v[2:3], v[4:5]
	v_add_f64 v[166:167], v[166:167], v[168:169]
	s_waitcnt vmcnt(2)
	v_add_f64 v[2:3], v[162:163], -v[2:3]
	s_waitcnt vmcnt(0)
	v_add_f64 v[4:5], v[164:165], -v[166:167]
	buffer_store_dword v3, off, s[0:3], 0 offset:484
	buffer_store_dword v2, off, s[0:3], 0 offset:480
	buffer_store_dword v5, off, s[0:3], 0 offset:492
	buffer_store_dword v4, off, s[0:3], 0 offset:488
	s_and_saveexec_b64 s[4:5], vcc
	s_cbranch_execz .LBB49_257
; %bb.256:
	v_accvgpr_read_b32 v0, a121
	buffer_load_dword v2, v0, s[0:3], 0 offen
	buffer_load_dword v3, v0, s[0:3], 0 offen offset:4
	buffer_load_dword v4, v0, s[0:3], 0 offen offset:8
	;; [unrolled: 1-line block ×3, first 2 shown]
	v_mov_b32_e32 v0, 0
	v_accvgpr_read_b32 v1, a150
	buffer_store_dword v0, off, s[0:3], 0 offset:464
	buffer_store_dword v0, off, s[0:3], 0 offset:468
	;; [unrolled: 1-line block ×4, first 2 shown]
	s_waitcnt vmcnt(4)
	ds_write_b128 v1, v[2:5]
.LBB49_257:
	s_or_b64 exec, exec, s[4:5]
	s_waitcnt lgkmcnt(0)
	; wave barrier
	s_waitcnt lgkmcnt(0)
	buffer_load_dword v4, off, s[0:3], 0 offset:464
	buffer_load_dword v5, off, s[0:3], 0 offset:468
	;; [unrolled: 1-line block ×84, first 2 shown]
	v_mov_b32_e32 v1, 0
	ds_read_b128 v[66:69], v1 offset:1264
	buffer_load_dword v171, off, s[0:3], 0 offset:812
	buffer_load_dword v170, off, s[0:3], 0 offset:808
	;; [unrolled: 1-line block ×4, first 2 shown]
	ds_read_b128 v[70:73], v1 offset:1280
	ds_read_b128 v[74:77], v1 offset:1296
	;; [unrolled: 1-line block ×4, first 2 shown]
	v_cmp_lt_u32_e32 vcc, 27, v254
	s_waitcnt vmcnt(62) lgkmcnt(4)
	v_mul_f64 v[82:83], v[66:67], v[12:13]
	v_fmac_f64_e32 v[82:83], v[68:69], v[6:7]
	s_waitcnt lgkmcnt(3)
	v_mul_f64 v[84:85], v[70:71], v[14:15]
	v_add_f64 v[82:83], v[82:83], 0
	v_fmac_f64_e32 v[84:85], v[72:73], v[8:9]
	v_add_f64 v[82:83], v[82:83], v[84:85]
	s_waitcnt lgkmcnt(2)
	v_mul_f64 v[84:85], v[74:75], v[16:17]
	v_fmac_f64_e32 v[84:85], v[76:77], v[10:11]
	v_add_f64 v[86:87], v[82:83], v[84:85]
	ds_read_b128 v[82:85], v1 offset:1328
	v_mul_f64 v[12:13], v[68:69], v[12:13]
	s_waitcnt lgkmcnt(2)
	v_mul_f64 v[88:89], v[78:79], v[22:23]
	v_fma_f64 v[6:7], v[66:67], v[6:7], -v[12:13]
	v_fmac_f64_e32 v[88:89], v[80:81], v[24:25]
	v_add_f64 v[90:91], v[86:87], v[88:89]
	ds_read_b128 v[86:89], v1 offset:1344
	s_waitcnt lgkmcnt(1)
	v_mul_f64 v[92:93], v[82:83], v[18:19]
	v_fmac_f64_e32 v[92:93], v[84:85], v[20:21]
	v_add_f64 v[94:95], v[90:91], v[92:93]
	ds_read_b128 v[90:93], v1 offset:1360
	s_waitcnt vmcnt(58) lgkmcnt(1)
	v_mul_f64 v[96:97], v[86:87], v[30:31]
	s_waitcnt vmcnt(56)
	v_fmac_f64_e32 v[96:97], v[88:89], v[32:33]
	v_add_f64 v[98:99], v[94:95], v[96:97]
	ds_read_b128 v[94:97], v1 offset:1376
	s_waitcnt lgkmcnt(1)
	v_mul_f64 v[100:101], v[90:91], v[26:27]
	v_fmac_f64_e32 v[100:101], v[92:93], v[28:29]
	v_add_f64 v[102:103], v[98:99], v[100:101]
	ds_read_b128 v[98:101], v1 offset:1392
	s_waitcnt vmcnt(50) lgkmcnt(1)
	v_mul_f64 v[104:105], v[94:95], v[38:39]
	s_waitcnt vmcnt(48)
	v_fmac_f64_e32 v[104:105], v[96:97], v[40:41]
	v_add_f64 v[106:107], v[102:103], v[104:105]
	ds_read_b128 v[102:105], v1 offset:1408
	s_waitcnt lgkmcnt(1)
	v_mul_f64 v[108:109], v[98:99], v[34:35]
	v_fmac_f64_e32 v[108:109], v[100:101], v[36:37]
	v_mul_f64 v[12:13], v[72:73], v[14:15]
	v_add_f64 v[110:111], v[106:107], v[108:109]
	ds_read_b128 v[106:109], v1 offset:1424
	s_waitcnt vmcnt(42) lgkmcnt(1)
	v_mul_f64 v[112:113], v[102:103], v[46:47]
	v_add_f64 v[6:7], v[6:7], 0
	v_fma_f64 v[8:9], v[70:71], v[8:9], -v[12:13]
	s_waitcnt vmcnt(40)
	v_fmac_f64_e32 v[112:113], v[104:105], v[48:49]
	v_add_f64 v[6:7], v[6:7], v[8:9]
	v_mul_f64 v[8:9], v[76:77], v[16:17]
	v_add_f64 v[114:115], v[110:111], v[112:113]
	ds_read_b128 v[110:113], v1 offset:1440
	v_fma_f64 v[8:9], v[74:75], v[10:11], -v[8:9]
	v_add_f64 v[6:7], v[6:7], v[8:9]
	v_mul_f64 v[8:9], v[80:81], v[22:23]
	v_fma_f64 v[8:9], v[78:79], v[24:25], -v[8:9]
	s_waitcnt lgkmcnt(1)
	v_mul_f64 v[116:117], v[106:107], v[42:43]
	v_add_f64 v[6:7], v[6:7], v[8:9]
	v_mul_f64 v[8:9], v[84:85], v[18:19]
	v_fmac_f64_e32 v[116:117], v[108:109], v[44:45]
	v_fma_f64 v[8:9], v[82:83], v[20:21], -v[8:9]
	v_add_f64 v[118:119], v[114:115], v[116:117]
	ds_read_b128 v[114:117], v1 offset:1456
	s_waitcnt vmcnt(34) lgkmcnt(1)
	v_mul_f64 v[120:121], v[110:111], v[54:55]
	v_add_f64 v[6:7], v[6:7], v[8:9]
	v_mul_f64 v[8:9], v[88:89], v[30:31]
	s_waitcnt vmcnt(32)
	v_fmac_f64_e32 v[120:121], v[112:113], v[56:57]
	v_fma_f64 v[8:9], v[86:87], v[32:33], -v[8:9]
	v_add_f64 v[122:123], v[118:119], v[120:121]
	ds_read_b128 v[118:121], v1 offset:1472
	v_add_f64 v[6:7], v[6:7], v[8:9]
	v_mul_f64 v[8:9], v[92:93], v[26:27]
	v_fma_f64 v[8:9], v[90:91], v[28:29], -v[8:9]
	v_add_f64 v[6:7], v[6:7], v[8:9]
	v_mul_f64 v[8:9], v[96:97], v[38:39]
	s_waitcnt lgkmcnt(1)
	v_mul_f64 v[124:125], v[114:115], v[50:51]
	v_fma_f64 v[8:9], v[94:95], v[40:41], -v[8:9]
	v_fmac_f64_e32 v[124:125], v[116:117], v[52:53]
	v_add_f64 v[6:7], v[6:7], v[8:9]
	v_mul_f64 v[8:9], v[100:101], v[34:35]
	v_add_f64 v[126:127], v[122:123], v[124:125]
	ds_read_b128 v[122:125], v1 offset:1488
	s_waitcnt vmcnt(26) lgkmcnt(1)
	v_mul_f64 v[128:129], v[118:119], v[62:63]
	v_fma_f64 v[8:9], v[98:99], v[36:37], -v[8:9]
	s_waitcnt vmcnt(24)
	v_fmac_f64_e32 v[128:129], v[120:121], v[64:65]
	v_add_f64 v[6:7], v[6:7], v[8:9]
	v_mul_f64 v[8:9], v[104:105], v[46:47]
	v_add_f64 v[130:131], v[126:127], v[128:129]
	ds_read_b128 v[126:129], v1 offset:1504
	v_fma_f64 v[8:9], v[102:103], v[48:49], -v[8:9]
	v_add_f64 v[6:7], v[6:7], v[8:9]
	v_mul_f64 v[8:9], v[108:109], v[42:43]
	v_fma_f64 v[8:9], v[106:107], v[44:45], -v[8:9]
	s_waitcnt lgkmcnt(1)
	v_mul_f64 v[132:133], v[122:123], v[58:59]
	v_add_f64 v[6:7], v[6:7], v[8:9]
	v_mul_f64 v[8:9], v[112:113], v[54:55]
	v_fmac_f64_e32 v[132:133], v[124:125], v[60:61]
	v_fma_f64 v[8:9], v[110:111], v[56:57], -v[8:9]
	v_add_f64 v[134:135], v[130:131], v[132:133]
	ds_read_b128 v[130:133], v1 offset:1520
	s_waitcnt vmcnt(18) lgkmcnt(1)
	v_mul_f64 v[136:137], v[126:127], v[154:155]
	v_add_f64 v[6:7], v[6:7], v[8:9]
	v_mul_f64 v[8:9], v[116:117], v[50:51]
	s_waitcnt vmcnt(16)
	v_fmac_f64_e32 v[136:137], v[128:129], v[156:157]
	v_fma_f64 v[8:9], v[114:115], v[52:53], -v[8:9]
	v_add_f64 v[138:139], v[134:135], v[136:137]
	ds_read_b128 v[134:137], v1 offset:1536
	v_add_f64 v[6:7], v[6:7], v[8:9]
	v_mul_f64 v[8:9], v[120:121], v[62:63]
	v_fma_f64 v[8:9], v[118:119], v[64:65], -v[8:9]
	v_add_f64 v[6:7], v[6:7], v[8:9]
	v_mul_f64 v[8:9], v[124:125], v[58:59]
	s_waitcnt lgkmcnt(1)
	v_mul_f64 v[140:141], v[130:131], v[150:151]
	v_fma_f64 v[8:9], v[122:123], v[60:61], -v[8:9]
	v_fmac_f64_e32 v[140:141], v[132:133], v[152:153]
	v_add_f64 v[6:7], v[6:7], v[8:9]
	v_mul_f64 v[8:9], v[128:129], v[154:155]
	v_add_f64 v[142:143], v[138:139], v[140:141]
	ds_read_b128 v[138:141], v1 offset:1552
	s_waitcnt vmcnt(10) lgkmcnt(1)
	v_mul_f64 v[144:145], v[134:135], v[162:163]
	v_fma_f64 v[8:9], v[126:127], v[156:157], -v[8:9]
	s_waitcnt vmcnt(8)
	v_fmac_f64_e32 v[144:145], v[136:137], v[164:165]
	v_add_f64 v[6:7], v[6:7], v[8:9]
	v_mul_f64 v[8:9], v[132:133], v[150:151]
	v_add_f64 v[174:175], v[142:143], v[144:145]
	ds_read_b128 v[142:145], v1 offset:1568
	v_fma_f64 v[8:9], v[130:131], v[152:153], -v[8:9]
	v_add_f64 v[6:7], v[6:7], v[8:9]
	v_mul_f64 v[8:9], v[136:137], v[162:163]
	v_fma_f64 v[8:9], v[134:135], v[164:165], -v[8:9]
	v_add_f64 v[6:7], v[6:7], v[8:9]
	s_waitcnt lgkmcnt(1)
	v_mul_f64 v[8:9], v[140:141], v[158:159]
	v_mul_f64 v[176:177], v[138:139], v[158:159]
	v_fma_f64 v[8:9], v[138:139], v[160:161], -v[8:9]
	v_fmac_f64_e32 v[176:177], v[140:141], v[160:161]
	v_add_f64 v[6:7], v[6:7], v[8:9]
	s_waitcnt vmcnt(6) lgkmcnt(0)
	v_mul_f64 v[8:9], v[144:145], v[166:167]
	v_add_f64 v[174:175], v[174:175], v[176:177]
	v_mul_f64 v[176:177], v[142:143], v[166:167]
	s_waitcnt vmcnt(4)
	v_fma_f64 v[8:9], v[142:143], v[168:169], -v[8:9]
	v_fmac_f64_e32 v[176:177], v[144:145], v[168:169]
	v_add_f64 v[6:7], v[6:7], v[8:9]
	s_waitcnt vmcnt(2)
	v_mul_f64 v[8:9], v[148:149], v[170:171]
	v_add_f64 v[174:175], v[174:175], v[176:177]
	v_mul_f64 v[176:177], v[146:147], v[170:171]
	s_waitcnt vmcnt(0)
	v_fma_f64 v[8:9], v[146:147], v[172:173], -v[8:9]
	v_fmac_f64_e32 v[176:177], v[148:149], v[172:173]
	v_add_f64 v[6:7], v[6:7], v[8:9]
	v_add_f64 v[174:175], v[174:175], v[176:177]
	v_add_f64 v[4:5], v[4:5], -v[6:7]
	v_add_f64 v[2:3], v[2:3], -v[174:175]
	buffer_store_dword v5, off, s[0:3], 0 offset:468
	buffer_store_dword v4, off, s[0:3], 0 offset:464
	;; [unrolled: 1-line block ×4, first 2 shown]
	s_and_saveexec_b64 s[4:5], vcc
	s_cbranch_execz .LBB49_259
; %bb.258:
	v_accvgpr_read_b32 v0, a122
	buffer_load_dword v2, v0, s[0:3], 0 offen
	buffer_load_dword v3, v0, s[0:3], 0 offen offset:4
	buffer_load_dword v4, v0, s[0:3], 0 offen offset:8
	buffer_load_dword v5, v0, s[0:3], 0 offen offset:12
	v_accvgpr_read_b32 v0, a150
	buffer_store_dword v1, off, s[0:3], 0 offset:448
	buffer_store_dword v1, off, s[0:3], 0 offset:452
	;; [unrolled: 1-line block ×4, first 2 shown]
	s_waitcnt vmcnt(4)
	ds_write_b128 v0, v[2:5]
.LBB49_259:
	s_or_b64 exec, exec, s[4:5]
	s_waitcnt lgkmcnt(0)
	; wave barrier
	s_waitcnt lgkmcnt(0)
	ds_read_b128 v[14:17], v1 offset:1248
	ds_read_b128 v[10:13], v1 offset:1264
	;; [unrolled: 1-line block ×4, first 2 shown]
	buffer_load_dword v20, off, s[0:3], 0 offset:448
	buffer_load_dword v21, off, s[0:3], 0 offset:452
	;; [unrolled: 1-line block ×92, first 2 shown]
	s_waitcnt vmcnt(62) lgkmcnt(3)
	v_mul_f64 v[86:87], v[14:15], v[28:29]
	v_fmac_f64_e32 v[86:87], v[16:17], v[22:23]
	s_waitcnt lgkmcnt(2)
	v_mul_f64 v[88:89], v[10:11], v[30:31]
	v_add_f64 v[86:87], v[86:87], 0
	v_fmac_f64_e32 v[88:89], v[12:13], v[24:25]
	v_add_f64 v[86:87], v[86:87], v[88:89]
	s_waitcnt lgkmcnt(1)
	v_mul_f64 v[88:89], v[6:7], v[32:33]
	v_fmac_f64_e32 v[88:89], v[8:9], v[26:27]
	v_add_f64 v[90:91], v[86:87], v[88:89]
	ds_read_b128 v[86:89], v1 offset:1312
	v_mul_f64 v[16:17], v[16:17], v[28:29]
	v_fma_f64 v[14:15], v[14:15], v[22:23], -v[16:17]
	s_waitcnt lgkmcnt(1)
	v_mul_f64 v[92:93], v[2:3], v[38:39]
	v_mul_f64 v[12:13], v[12:13], v[30:31]
	v_fmac_f64_e32 v[92:93], v[4:5], v[40:41]
	v_add_f64 v[94:95], v[90:91], v[92:93]
	ds_read_b128 v[90:93], v1 offset:1328
	s_waitcnt lgkmcnt(1)
	v_mul_f64 v[96:97], v[86:87], v[34:35]
	v_fmac_f64_e32 v[96:97], v[88:89], v[36:37]
	v_add_f64 v[98:99], v[94:95], v[96:97]
	ds_read_b128 v[94:97], v1 offset:1344
	s_waitcnt lgkmcnt(1)
	v_mul_f64 v[100:101], v[90:91], v[46:47]
	s_waitcnt vmcnt(60)
	v_fmac_f64_e32 v[100:101], v[92:93], v[48:49]
	v_add_f64 v[102:103], v[98:99], v[100:101]
	ds_read_b128 v[98:101], v1 offset:1360
	s_waitcnt lgkmcnt(1)
	v_mul_f64 v[104:105], v[94:95], v[42:43]
	v_fmac_f64_e32 v[104:105], v[96:97], v[44:45]
	v_add_f64 v[106:107], v[102:103], v[104:105]
	ds_read_b128 v[102:105], v1 offset:1376
	s_waitcnt vmcnt(54) lgkmcnt(1)
	v_mul_f64 v[108:109], v[98:99], v[54:55]
	s_waitcnt vmcnt(52)
	v_fmac_f64_e32 v[108:109], v[100:101], v[56:57]
	v_add_f64 v[110:111], v[106:107], v[108:109]
	ds_read_b128 v[106:109], v1 offset:1392
	s_waitcnt lgkmcnt(1)
	v_mul_f64 v[112:113], v[102:103], v[50:51]
	v_fmac_f64_e32 v[112:113], v[104:105], v[52:53]
	v_add_f64 v[114:115], v[110:111], v[112:113]
	ds_read_b128 v[110:113], v1 offset:1408
	s_waitcnt vmcnt(46) lgkmcnt(1)
	v_mul_f64 v[116:117], v[106:107], v[62:63]
	s_waitcnt vmcnt(44)
	v_fmac_f64_e32 v[116:117], v[108:109], v[64:65]
	v_add_f64 v[118:119], v[114:115], v[116:117]
	ds_read_b128 v[114:117], v1 offset:1424
	s_waitcnt lgkmcnt(1)
	v_mul_f64 v[120:121], v[110:111], v[58:59]
	v_fmac_f64_e32 v[120:121], v[112:113], v[60:61]
	v_add_f64 v[14:15], v[14:15], 0
	v_fma_f64 v[10:11], v[10:11], v[24:25], -v[12:13]
	v_mul_f64 v[8:9], v[8:9], v[32:33]
	v_add_f64 v[122:123], v[118:119], v[120:121]
	ds_read_b128 v[118:121], v1 offset:1440
	v_add_f64 v[10:11], v[14:15], v[10:11]
	v_fma_f64 v[6:7], v[6:7], v[26:27], -v[8:9]
	v_mul_f64 v[4:5], v[4:5], v[38:39]
	v_add_f64 v[6:7], v[10:11], v[6:7]
	v_fma_f64 v[2:3], v[2:3], v[40:41], -v[4:5]
	v_mul_f64 v[4:5], v[88:89], v[34:35]
	v_add_f64 v[2:3], v[6:7], v[2:3]
	v_fma_f64 v[4:5], v[86:87], v[36:37], -v[4:5]
	s_waitcnt vmcnt(38) lgkmcnt(1)
	v_mul_f64 v[124:125], v[114:115], v[70:71]
	v_add_f64 v[2:3], v[2:3], v[4:5]
	v_mul_f64 v[4:5], v[92:93], v[46:47]
	s_waitcnt vmcnt(36)
	v_fmac_f64_e32 v[124:125], v[116:117], v[72:73]
	v_fma_f64 v[4:5], v[90:91], v[48:49], -v[4:5]
	v_add_f64 v[126:127], v[122:123], v[124:125]
	ds_read_b128 v[122:125], v1 offset:1456
	s_waitcnt lgkmcnt(1)
	v_mul_f64 v[128:129], v[118:119], v[66:67]
	v_add_f64 v[2:3], v[2:3], v[4:5]
	v_mul_f64 v[4:5], v[96:97], v[42:43]
	v_fmac_f64_e32 v[128:129], v[120:121], v[68:69]
	v_fma_f64 v[4:5], v[94:95], v[44:45], -v[4:5]
	v_add_f64 v[130:131], v[126:127], v[128:129]
	ds_read_b128 v[126:129], v1 offset:1472
	v_add_f64 v[2:3], v[2:3], v[4:5]
	v_mul_f64 v[4:5], v[100:101], v[54:55]
	v_fma_f64 v[4:5], v[98:99], v[56:57], -v[4:5]
	v_add_f64 v[2:3], v[2:3], v[4:5]
	v_mul_f64 v[4:5], v[104:105], v[50:51]
	s_waitcnt vmcnt(30) lgkmcnt(1)
	v_mul_f64 v[132:133], v[122:123], v[78:79]
	v_fma_f64 v[4:5], v[102:103], v[52:53], -v[4:5]
	s_waitcnt vmcnt(28)
	v_fmac_f64_e32 v[132:133], v[124:125], v[80:81]
	v_add_f64 v[2:3], v[2:3], v[4:5]
	v_mul_f64 v[4:5], v[108:109], v[62:63]
	v_add_f64 v[134:135], v[130:131], v[132:133]
	ds_read_b128 v[130:133], v1 offset:1488
	s_waitcnt lgkmcnt(1)
	v_mul_f64 v[136:137], v[126:127], v[74:75]
	v_fma_f64 v[4:5], v[106:107], v[64:65], -v[4:5]
	v_fmac_f64_e32 v[136:137], v[128:129], v[76:77]
	v_add_f64 v[2:3], v[2:3], v[4:5]
	v_mul_f64 v[4:5], v[112:113], v[58:59]
	v_add_f64 v[138:139], v[134:135], v[136:137]
	ds_read_b128 v[134:137], v1 offset:1504
	v_fma_f64 v[4:5], v[110:111], v[60:61], -v[4:5]
	v_add_f64 v[2:3], v[2:3], v[4:5]
	v_mul_f64 v[4:5], v[116:117], v[70:71]
	v_fma_f64 v[4:5], v[114:115], v[72:73], -v[4:5]
	s_waitcnt vmcnt(22) lgkmcnt(1)
	v_mul_f64 v[140:141], v[130:131], v[158:159]
	v_add_f64 v[2:3], v[2:3], v[4:5]
	v_mul_f64 v[4:5], v[120:121], v[66:67]
	s_waitcnt vmcnt(20)
	v_fmac_f64_e32 v[140:141], v[132:133], v[160:161]
	v_fma_f64 v[4:5], v[118:119], v[68:69], -v[4:5]
	v_add_f64 v[142:143], v[138:139], v[140:141]
	ds_read_b128 v[138:141], v1 offset:1520
	s_waitcnt lgkmcnt(1)
	v_mul_f64 v[144:145], v[134:135], v[82:83]
	v_add_f64 v[2:3], v[2:3], v[4:5]
	v_mul_f64 v[4:5], v[124:125], v[78:79]
	v_fmac_f64_e32 v[144:145], v[136:137], v[84:85]
	v_fma_f64 v[4:5], v[122:123], v[80:81], -v[4:5]
	v_add_f64 v[146:147], v[142:143], v[144:145]
	ds_read_b128 v[142:145], v1 offset:1536
	v_add_f64 v[2:3], v[2:3], v[4:5]
	v_mul_f64 v[4:5], v[128:129], v[74:75]
	v_fma_f64 v[4:5], v[126:127], v[76:77], -v[4:5]
	v_add_f64 v[2:3], v[2:3], v[4:5]
	v_mul_f64 v[4:5], v[132:133], v[158:159]
	s_waitcnt vmcnt(14) lgkmcnt(1)
	v_mul_f64 v[148:149], v[138:139], v[166:167]
	v_fma_f64 v[4:5], v[130:131], v[160:161], -v[4:5]
	s_waitcnt vmcnt(12)
	v_fmac_f64_e32 v[148:149], v[140:141], v[168:169]
	v_add_f64 v[2:3], v[2:3], v[4:5]
	v_mul_f64 v[4:5], v[136:137], v[82:83]
	v_add_f64 v[150:151], v[146:147], v[148:149]
	ds_read_b128 v[146:149], v1 offset:1552
	s_waitcnt lgkmcnt(1)
	v_mul_f64 v[152:153], v[142:143], v[162:163]
	v_fma_f64 v[4:5], v[134:135], v[84:85], -v[4:5]
	v_fmac_f64_e32 v[152:153], v[144:145], v[164:165]
	v_add_f64 v[2:3], v[2:3], v[4:5]
	v_mul_f64 v[4:5], v[140:141], v[166:167]
	v_add_f64 v[182:183], v[150:151], v[152:153]
	ds_read_b128 v[150:153], v1 offset:1568
	ds_read_b128 v[154:157], v1 offset:1584
	v_fma_f64 v[4:5], v[138:139], v[168:169], -v[4:5]
	v_add_f64 v[2:3], v[2:3], v[4:5]
	v_mul_f64 v[4:5], v[144:145], v[162:163]
	v_fma_f64 v[4:5], v[142:143], v[164:165], -v[4:5]
	v_add_f64 v[2:3], v[2:3], v[4:5]
	s_waitcnt vmcnt(6) lgkmcnt(2)
	v_mul_f64 v[4:5], v[148:149], v[174:175]
	v_mul_f64 v[184:185], v[146:147], v[174:175]
	s_waitcnt vmcnt(4)
	v_fma_f64 v[4:5], v[146:147], v[176:177], -v[4:5]
	v_fmac_f64_e32 v[184:185], v[148:149], v[176:177]
	v_add_f64 v[2:3], v[2:3], v[4:5]
	s_waitcnt lgkmcnt(1)
	v_mul_f64 v[4:5], v[152:153], v[170:171]
	v_add_f64 v[182:183], v[182:183], v[184:185]
	v_mul_f64 v[184:185], v[150:151], v[170:171]
	v_fma_f64 v[4:5], v[150:151], v[172:173], -v[4:5]
	v_fmac_f64_e32 v[184:185], v[152:153], v[172:173]
	v_add_f64 v[2:3], v[2:3], v[4:5]
	s_waitcnt vmcnt(2) lgkmcnt(0)
	v_mul_f64 v[4:5], v[156:157], v[178:179]
	v_add_f64 v[182:183], v[182:183], v[184:185]
	v_mul_f64 v[184:185], v[154:155], v[178:179]
	s_waitcnt vmcnt(0)
	v_fma_f64 v[4:5], v[154:155], v[180:181], -v[4:5]
	v_fmac_f64_e32 v[184:185], v[156:157], v[180:181]
	v_add_f64 v[2:3], v[2:3], v[4:5]
	v_add_f64 v[182:183], v[182:183], v[184:185]
	v_add_f64 v[2:3], v[20:21], -v[2:3]
	v_cmp_lt_u32_e32 vcc, 26, v254
	v_add_f64 v[4:5], v[18:19], -v[182:183]
	buffer_store_dword v3, off, s[0:3], 0 offset:452
	buffer_store_dword v2, off, s[0:3], 0 offset:448
	;; [unrolled: 1-line block ×4, first 2 shown]
	s_and_saveexec_b64 s[4:5], vcc
	s_cbranch_execz .LBB49_261
; %bb.260:
	v_accvgpr_read_b32 v0, a123
	buffer_load_dword v2, v0, s[0:3], 0 offen
	buffer_load_dword v3, v0, s[0:3], 0 offen offset:4
	buffer_load_dword v4, v0, s[0:3], 0 offen offset:8
	;; [unrolled: 1-line block ×3, first 2 shown]
	v_mov_b32_e32 v0, 0
	v_accvgpr_read_b32 v1, a150
	buffer_store_dword v0, off, s[0:3], 0 offset:432
	buffer_store_dword v0, off, s[0:3], 0 offset:436
	;; [unrolled: 1-line block ×4, first 2 shown]
	s_waitcnt vmcnt(4)
	ds_write_b128 v1, v[2:5]
.LBB49_261:
	s_or_b64 exec, exec, s[4:5]
	s_waitcnt lgkmcnt(0)
	; wave barrier
	s_waitcnt lgkmcnt(0)
	buffer_load_dword v9, off, s[0:3], 0 offset:460
	buffer_load_dword v6, off, s[0:3], 0 offset:472
	;; [unrolled: 1-line block ×64, first 2 shown]
	v_mov_b32_e32 v1, 0
	ds_read_b128 v[74:77], v1 offset:1232
	ds_read_b128 v[78:81], v1 offset:1248
	buffer_load_dword v67, off, s[0:3], 0 offset:716
	buffer_load_dword v66, off, s[0:3], 0 offset:712
	;; [unrolled: 1-line block ×8, first 2 shown]
	ds_read_b128 v[82:85], v1 offset:1264
	ds_read_b128 v[86:89], v1 offset:1280
	buffer_load_dword v167, off, s[0:3], 0 offset:748
	buffer_load_dword v166, off, s[0:3], 0 offset:744
	;; [unrolled: 1-line block ×24, first 2 shown]
	ds_read_b128 v[162:165], v1 offset:1584
	v_cmp_lt_u32_e32 vcc, 25, v254
	s_waitcnt vmcnt(62) lgkmcnt(1)
	v_mul_f64 v[96:97], v[86:87], v[22:23]
	v_fmac_f64_e32 v[96:97], v[88:89], v[24:25]
	v_mul_f64 v[92:93], v[78:79], v[6:7]
	v_mul_f64 v[90:91], v[74:75], v[8:9]
	;; [unrolled: 1-line block ×3, first 2 shown]
	v_fmac_f64_e32 v[90:91], v[76:77], v[10:11]
	v_add_f64 v[90:91], v[90:91], 0
	v_fma_f64 v[8:9], v[74:75], v[10:11], -v[8:9]
	v_mul_f64 v[6:7], v[80:81], v[6:7]
	v_add_f64 v[8:9], v[8:9], 0
	v_fmac_f64_e32 v[92:93], v[80:81], v[14:15]
	v_add_f64 v[90:91], v[90:91], v[92:93]
	v_mul_f64 v[92:93], v[82:83], v[16:17]
	v_fmac_f64_e32 v[92:93], v[84:85], v[12:13]
	v_add_f64 v[94:95], v[90:91], v[92:93]
	ds_read_b128 v[90:93], v1 offset:1296
	v_add_f64 v[98:99], v[94:95], v[96:97]
	ds_read_b128 v[94:97], v1 offset:1312
	v_fma_f64 v[6:7], v[78:79], v[14:15], -v[6:7]
	v_add_f64 v[6:7], v[8:9], v[6:7]
	s_waitcnt lgkmcnt(1)
	v_mul_f64 v[100:101], v[90:91], v[18:19]
	v_fmac_f64_e32 v[100:101], v[92:93], v[20:21]
	v_add_f64 v[102:103], v[98:99], v[100:101]
	ds_read_b128 v[98:101], v1 offset:1328
	s_waitcnt lgkmcnt(1)
	v_mul_f64 v[104:105], v[94:95], v[30:31]
	v_fmac_f64_e32 v[104:105], v[96:97], v[32:33]
	v_add_f64 v[106:107], v[102:103], v[104:105]
	ds_read_b128 v[102:105], v1 offset:1344
	;; [unrolled: 5-line block ×3, first 2 shown]
	s_waitcnt vmcnt(58) lgkmcnt(1)
	v_mul_f64 v[112:113], v[102:103], v[38:39]
	s_waitcnt vmcnt(56)
	v_fmac_f64_e32 v[112:113], v[104:105], v[40:41]
	v_add_f64 v[114:115], v[110:111], v[112:113]
	ds_read_b128 v[110:113], v1 offset:1376
	s_waitcnt lgkmcnt(1)
	v_mul_f64 v[116:117], v[106:107], v[34:35]
	v_fmac_f64_e32 v[116:117], v[108:109], v[36:37]
	v_add_f64 v[118:119], v[114:115], v[116:117]
	ds_read_b128 v[114:117], v1 offset:1392
	s_waitcnt vmcnt(50) lgkmcnt(1)
	v_mul_f64 v[120:121], v[110:111], v[46:47]
	s_waitcnt vmcnt(48)
	v_fmac_f64_e32 v[120:121], v[112:113], v[48:49]
	v_add_f64 v[122:123], v[118:119], v[120:121]
	ds_read_b128 v[118:121], v1 offset:1408
	v_mul_f64 v[8:9], v[84:85], v[16:17]
	s_waitcnt lgkmcnt(1)
	v_mul_f64 v[124:125], v[114:115], v[42:43]
	v_fma_f64 v[8:9], v[82:83], v[12:13], -v[8:9]
	v_fmac_f64_e32 v[124:125], v[116:117], v[44:45]
	v_add_f64 v[6:7], v[6:7], v[8:9]
	v_mul_f64 v[8:9], v[88:89], v[22:23]
	v_add_f64 v[126:127], v[122:123], v[124:125]
	ds_read_b128 v[122:125], v1 offset:1424
	s_waitcnt vmcnt(42) lgkmcnt(1)
	v_mul_f64 v[128:129], v[118:119], v[54:55]
	v_fma_f64 v[8:9], v[86:87], v[24:25], -v[8:9]
	s_waitcnt vmcnt(40)
	v_fmac_f64_e32 v[128:129], v[120:121], v[56:57]
	v_add_f64 v[6:7], v[6:7], v[8:9]
	v_mul_f64 v[8:9], v[92:93], v[18:19]
	v_add_f64 v[130:131], v[126:127], v[128:129]
	ds_read_b128 v[126:129], v1 offset:1440
	v_fma_f64 v[8:9], v[90:91], v[20:21], -v[8:9]
	v_add_f64 v[6:7], v[6:7], v[8:9]
	v_mul_f64 v[8:9], v[96:97], v[30:31]
	v_fma_f64 v[8:9], v[94:95], v[32:33], -v[8:9]
	s_waitcnt lgkmcnt(1)
	v_mul_f64 v[132:133], v[122:123], v[50:51]
	v_add_f64 v[6:7], v[6:7], v[8:9]
	v_mul_f64 v[8:9], v[100:101], v[26:27]
	v_fmac_f64_e32 v[132:133], v[124:125], v[52:53]
	v_fma_f64 v[8:9], v[98:99], v[28:29], -v[8:9]
	v_add_f64 v[134:135], v[130:131], v[132:133]
	ds_read_b128 v[130:133], v1 offset:1456
	s_waitcnt vmcnt(34) lgkmcnt(1)
	v_mul_f64 v[136:137], v[126:127], v[62:63]
	v_add_f64 v[6:7], v[6:7], v[8:9]
	v_mul_f64 v[8:9], v[104:105], v[38:39]
	s_waitcnt vmcnt(32)
	v_fmac_f64_e32 v[136:137], v[128:129], v[64:65]
	v_fma_f64 v[8:9], v[102:103], v[40:41], -v[8:9]
	v_add_f64 v[138:139], v[134:135], v[136:137]
	ds_read_b128 v[134:137], v1 offset:1472
	v_add_f64 v[6:7], v[6:7], v[8:9]
	v_mul_f64 v[8:9], v[108:109], v[34:35]
	v_fma_f64 v[8:9], v[106:107], v[36:37], -v[8:9]
	v_add_f64 v[6:7], v[6:7], v[8:9]
	v_mul_f64 v[8:9], v[112:113], v[46:47]
	s_waitcnt lgkmcnt(1)
	v_mul_f64 v[140:141], v[130:131], v[58:59]
	v_fma_f64 v[8:9], v[110:111], v[48:49], -v[8:9]
	v_fmac_f64_e32 v[140:141], v[132:133], v[60:61]
	v_add_f64 v[6:7], v[6:7], v[8:9]
	v_mul_f64 v[8:9], v[116:117], v[42:43]
	v_add_f64 v[142:143], v[138:139], v[140:141]
	ds_read_b128 v[138:141], v1 offset:1488
	s_waitcnt vmcnt(26) lgkmcnt(1)
	v_mul_f64 v[144:145], v[134:135], v[70:71]
	v_fma_f64 v[8:9], v[114:115], v[44:45], -v[8:9]
	s_waitcnt vmcnt(24)
	v_fmac_f64_e32 v[144:145], v[136:137], v[72:73]
	v_add_f64 v[6:7], v[6:7], v[8:9]
	v_mul_f64 v[8:9], v[120:121], v[54:55]
	v_add_f64 v[146:147], v[142:143], v[144:145]
	ds_read_b128 v[142:145], v1 offset:1504
	v_fma_f64 v[8:9], v[118:119], v[56:57], -v[8:9]
	v_add_f64 v[6:7], v[6:7], v[8:9]
	v_mul_f64 v[8:9], v[124:125], v[50:51]
	v_fma_f64 v[8:9], v[122:123], v[52:53], -v[8:9]
	s_waitcnt lgkmcnt(1)
	v_mul_f64 v[148:149], v[138:139], v[66:67]
	v_add_f64 v[6:7], v[6:7], v[8:9]
	v_mul_f64 v[8:9], v[128:129], v[62:63]
	v_fmac_f64_e32 v[148:149], v[140:141], v[68:69]
	v_fma_f64 v[8:9], v[126:127], v[64:65], -v[8:9]
	v_add_f64 v[150:151], v[146:147], v[148:149]
	ds_read_b128 v[146:149], v1 offset:1520
	s_waitcnt vmcnt(18) lgkmcnt(1)
	v_mul_f64 v[152:153], v[142:143], v[170:171]
	v_add_f64 v[6:7], v[6:7], v[8:9]
	v_mul_f64 v[8:9], v[132:133], v[58:59]
	s_waitcnt vmcnt(16)
	v_fmac_f64_e32 v[152:153], v[144:145], v[172:173]
	v_fma_f64 v[8:9], v[130:131], v[60:61], -v[8:9]
	v_add_f64 v[154:155], v[150:151], v[152:153]
	ds_read_b128 v[150:153], v1 offset:1536
	v_add_f64 v[6:7], v[6:7], v[8:9]
	v_mul_f64 v[8:9], v[136:137], v[70:71]
	v_fma_f64 v[8:9], v[134:135], v[72:73], -v[8:9]
	v_add_f64 v[6:7], v[6:7], v[8:9]
	v_mul_f64 v[8:9], v[140:141], v[66:67]
	s_waitcnt lgkmcnt(1)
	v_mul_f64 v[156:157], v[146:147], v[166:167]
	v_fma_f64 v[8:9], v[138:139], v[68:69], -v[8:9]
	v_fmac_f64_e32 v[156:157], v[148:149], v[168:169]
	v_add_f64 v[6:7], v[6:7], v[8:9]
	v_mul_f64 v[8:9], v[144:145], v[170:171]
	v_add_f64 v[158:159], v[154:155], v[156:157]
	ds_read_b128 v[154:157], v1 offset:1552
	s_waitcnt vmcnt(10) lgkmcnt(1)
	v_mul_f64 v[160:161], v[150:151], v[178:179]
	v_fma_f64 v[8:9], v[142:143], v[172:173], -v[8:9]
	s_waitcnt vmcnt(8)
	v_fmac_f64_e32 v[160:161], v[152:153], v[180:181]
	v_add_f64 v[6:7], v[6:7], v[8:9]
	v_mul_f64 v[8:9], v[148:149], v[166:167]
	v_add_f64 v[190:191], v[158:159], v[160:161]
	ds_read_b128 v[158:161], v1 offset:1568
	v_fma_f64 v[8:9], v[146:147], v[168:169], -v[8:9]
	v_add_f64 v[6:7], v[6:7], v[8:9]
	v_mul_f64 v[8:9], v[152:153], v[178:179]
	v_fma_f64 v[8:9], v[150:151], v[180:181], -v[8:9]
	v_add_f64 v[6:7], v[6:7], v[8:9]
	s_waitcnt lgkmcnt(1)
	v_mul_f64 v[8:9], v[156:157], v[174:175]
	v_mul_f64 v[192:193], v[154:155], v[174:175]
	v_fma_f64 v[8:9], v[154:155], v[176:177], -v[8:9]
	v_fmac_f64_e32 v[192:193], v[156:157], v[176:177]
	v_add_f64 v[6:7], v[6:7], v[8:9]
	s_waitcnt vmcnt(2) lgkmcnt(0)
	v_mul_f64 v[8:9], v[160:161], v[186:187]
	v_add_f64 v[190:191], v[190:191], v[192:193]
	v_mul_f64 v[192:193], v[158:159], v[186:187]
	s_waitcnt vmcnt(0)
	v_fma_f64 v[8:9], v[158:159], v[188:189], -v[8:9]
	v_fmac_f64_e32 v[192:193], v[160:161], v[188:189]
	v_add_f64 v[6:7], v[6:7], v[8:9]
	v_mul_f64 v[8:9], v[164:165], v[182:183]
	v_add_f64 v[190:191], v[190:191], v[192:193]
	v_mul_f64 v[192:193], v[162:163], v[182:183]
	v_fma_f64 v[8:9], v[162:163], v[184:185], -v[8:9]
	v_fmac_f64_e32 v[192:193], v[164:165], v[184:185]
	v_add_f64 v[6:7], v[6:7], v[8:9]
	v_add_f64 v[190:191], v[190:191], v[192:193]
	v_add_f64 v[4:5], v[4:5], -v[6:7]
	v_add_f64 v[2:3], v[2:3], -v[190:191]
	buffer_store_dword v5, off, s[0:3], 0 offset:436
	buffer_store_dword v4, off, s[0:3], 0 offset:432
	;; [unrolled: 1-line block ×4, first 2 shown]
	s_and_saveexec_b64 s[4:5], vcc
	s_cbranch_execz .LBB49_263
; %bb.262:
	v_accvgpr_read_b32 v0, a124
	buffer_load_dword v2, v0, s[0:3], 0 offen
	buffer_load_dword v3, v0, s[0:3], 0 offen offset:4
	buffer_load_dword v4, v0, s[0:3], 0 offen offset:8
	;; [unrolled: 1-line block ×3, first 2 shown]
	v_accvgpr_read_b32 v0, a150
	buffer_store_dword v1, off, s[0:3], 0 offset:416
	buffer_store_dword v1, off, s[0:3], 0 offset:420
	;; [unrolled: 1-line block ×4, first 2 shown]
	s_waitcnt vmcnt(4)
	ds_write_b128 v0, v[2:5]
.LBB49_263:
	s_or_b64 exec, exec, s[4:5]
	s_waitcnt lgkmcnt(0)
	; wave barrier
	s_waitcnt lgkmcnt(0)
	buffer_load_dword v22, off, s[0:3], 0 offset:432
	buffer_load_dword v23, off, s[0:3], 0 offset:436
	;; [unrolled: 1-line block ×16, first 2 shown]
	ds_read_b128 v[2:5], v1 offset:1216
	ds_read_b128 v[6:9], v1 offset:1232
	;; [unrolled: 1-line block ×4, first 2 shown]
	buffer_load_dword v35, off, s[0:3], 0 offset:508
	buffer_load_dword v34, off, s[0:3], 0 offset:504
	;; [unrolled: 1-line block ×48, first 2 shown]
	v_cmp_lt_u32_e32 vcc, 24, v254
	s_waitcnt vmcnt(42) lgkmcnt(0)
	v_mul_f64 v[104:105], v[14:15], v[38:39]
	s_waitcnt vmcnt(40)
	v_fmac_f64_e32 v[104:105], v[16:17], v[40:41]
	v_mul_f64 v[82:83], v[2:3], v[24:25]
	v_fmac_f64_e32 v[82:83], v[4:5], v[22:23]
	v_add_f64 v[82:83], v[82:83], 0
	v_mul_f64 v[4:5], v[4:5], v[24:25]
	v_mul_f64 v[84:85], v[6:7], v[32:33]
	v_fma_f64 v[2:3], v[2:3], v[22:23], -v[4:5]
	v_mul_f64 v[98:99], v[10:11], v[26:27]
	v_fmac_f64_e32 v[98:99], v[12:13], v[30:31]
	v_fmac_f64_e32 v[84:85], v[8:9], v[28:29]
	v_add_f64 v[100:101], v[82:83], v[84:85]
	buffer_load_dword v83, off, s[0:3], 0 offset:700
	buffer_load_dword v82, off, s[0:3], 0 offset:696
	;; [unrolled: 1-line block ×32, first 2 shown]
	v_add_f64 v[102:103], v[100:101], v[98:99]
	ds_read_b128 v[98:101], v1 offset:1280
	buffer_load_dword v195, off, s[0:3], 0 offset:812
	buffer_load_dword v194, off, s[0:3], 0 offset:808
	;; [unrolled: 1-line block ×4, first 2 shown]
	v_add_f64 v[106:107], v[102:103], v[104:105]
	ds_read_b128 v[102:105], v1 offset:1296
	v_mul_f64 v[4:5], v[8:9], v[32:33]
	s_waitcnt lgkmcnt(1)
	v_mul_f64 v[108:109], v[98:99], v[34:35]
	v_fmac_f64_e32 v[108:109], v[100:101], v[36:37]
	v_add_f64 v[110:111], v[106:107], v[108:109]
	ds_read_b128 v[106:109], v1 offset:1312
	s_waitcnt vmcnt(62) lgkmcnt(1)
	v_mul_f64 v[112:113], v[102:103], v[46:47]
	v_fmac_f64_e32 v[112:113], v[104:105], v[48:49]
	v_add_f64 v[114:115], v[110:111], v[112:113]
	ds_read_b128 v[110:113], v1 offset:1328
	s_waitcnt lgkmcnt(1)
	v_mul_f64 v[116:117], v[106:107], v[42:43]
	v_fmac_f64_e32 v[116:117], v[108:109], v[44:45]
	v_add_f64 v[118:119], v[114:115], v[116:117]
	ds_read_b128 v[114:117], v1 offset:1344
	s_waitcnt lgkmcnt(1)
	v_mul_f64 v[120:121], v[110:111], v[54:55]
	s_waitcnt vmcnt(60)
	v_fmac_f64_e32 v[120:121], v[112:113], v[56:57]
	v_add_f64 v[122:123], v[118:119], v[120:121]
	ds_read_b128 v[118:121], v1 offset:1360
	s_waitcnt lgkmcnt(1)
	v_mul_f64 v[124:125], v[114:115], v[50:51]
	v_fmac_f64_e32 v[124:125], v[116:117], v[52:53]
	v_add_f64 v[126:127], v[122:123], v[124:125]
	ds_read_b128 v[122:125], v1 offset:1376
	s_waitcnt vmcnt(54) lgkmcnt(1)
	v_mul_f64 v[128:129], v[118:119], v[62:63]
	s_waitcnt vmcnt(52)
	v_fmac_f64_e32 v[128:129], v[120:121], v[64:65]
	v_add_f64 v[130:131], v[126:127], v[128:129]
	ds_read_b128 v[126:129], v1 offset:1392
	s_waitcnt lgkmcnt(1)
	v_mul_f64 v[132:133], v[122:123], v[58:59]
	v_fmac_f64_e32 v[132:133], v[124:125], v[60:61]
	v_add_f64 v[2:3], v[2:3], 0
	v_fma_f64 v[4:5], v[6:7], v[28:29], -v[4:5]
	v_add_f64 v[134:135], v[130:131], v[132:133]
	ds_read_b128 v[130:133], v1 offset:1408
	v_add_f64 v[2:3], v[2:3], v[4:5]
	v_mul_f64 v[4:5], v[12:13], v[26:27]
	v_fma_f64 v[4:5], v[10:11], v[30:31], -v[4:5]
	v_add_f64 v[2:3], v[2:3], v[4:5]
	v_mul_f64 v[4:5], v[16:17], v[38:39]
	s_waitcnt vmcnt(46) lgkmcnt(1)
	v_mul_f64 v[136:137], v[126:127], v[70:71]
	v_fma_f64 v[4:5], v[14:15], v[40:41], -v[4:5]
	s_waitcnt vmcnt(44)
	v_fmac_f64_e32 v[136:137], v[128:129], v[72:73]
	v_add_f64 v[2:3], v[2:3], v[4:5]
	v_mul_f64 v[4:5], v[100:101], v[34:35]
	v_add_f64 v[138:139], v[134:135], v[136:137]
	ds_read_b128 v[134:137], v1 offset:1424
	s_waitcnt lgkmcnt(1)
	v_mul_f64 v[140:141], v[130:131], v[66:67]
	v_fma_f64 v[4:5], v[98:99], v[36:37], -v[4:5]
	v_fmac_f64_e32 v[140:141], v[132:133], v[68:69]
	v_add_f64 v[2:3], v[2:3], v[4:5]
	v_mul_f64 v[4:5], v[104:105], v[46:47]
	v_add_f64 v[142:143], v[138:139], v[140:141]
	ds_read_b128 v[138:141], v1 offset:1440
	v_fma_f64 v[4:5], v[102:103], v[48:49], -v[4:5]
	v_add_f64 v[2:3], v[2:3], v[4:5]
	v_mul_f64 v[4:5], v[108:109], v[42:43]
	v_fma_f64 v[4:5], v[106:107], v[44:45], -v[4:5]
	s_waitcnt vmcnt(38) lgkmcnt(1)
	v_mul_f64 v[144:145], v[134:135], v[78:79]
	v_add_f64 v[2:3], v[2:3], v[4:5]
	v_mul_f64 v[4:5], v[112:113], v[54:55]
	s_waitcnt vmcnt(36)
	v_fmac_f64_e32 v[144:145], v[136:137], v[80:81]
	v_fma_f64 v[4:5], v[110:111], v[56:57], -v[4:5]
	v_add_f64 v[146:147], v[142:143], v[144:145]
	ds_read_b128 v[142:145], v1 offset:1456
	s_waitcnt lgkmcnt(1)
	v_mul_f64 v[148:149], v[138:139], v[74:75]
	v_add_f64 v[2:3], v[2:3], v[4:5]
	v_mul_f64 v[4:5], v[116:117], v[50:51]
	v_fmac_f64_e32 v[148:149], v[140:141], v[76:77]
	v_fma_f64 v[4:5], v[114:115], v[52:53], -v[4:5]
	v_add_f64 v[150:151], v[146:147], v[148:149]
	ds_read_b128 v[146:149], v1 offset:1472
	v_add_f64 v[2:3], v[2:3], v[4:5]
	v_mul_f64 v[4:5], v[120:121], v[62:63]
	v_fma_f64 v[4:5], v[118:119], v[64:65], -v[4:5]
	v_add_f64 v[2:3], v[2:3], v[4:5]
	v_mul_f64 v[4:5], v[124:125], v[58:59]
	s_waitcnt vmcnt(30) lgkmcnt(1)
	v_mul_f64 v[152:153], v[142:143], v[86:87]
	v_fma_f64 v[4:5], v[122:123], v[60:61], -v[4:5]
	s_waitcnt vmcnt(28)
	v_fmac_f64_e32 v[152:153], v[144:145], v[88:89]
	v_add_f64 v[2:3], v[2:3], v[4:5]
	v_mul_f64 v[4:5], v[128:129], v[70:71]
	v_add_f64 v[154:155], v[150:151], v[152:153]
	ds_read_b128 v[150:153], v1 offset:1488
	s_waitcnt lgkmcnt(1)
	v_mul_f64 v[156:157], v[146:147], v[82:83]
	v_fma_f64 v[4:5], v[126:127], v[72:73], -v[4:5]
	v_fmac_f64_e32 v[156:157], v[148:149], v[84:85]
	v_add_f64 v[2:3], v[2:3], v[4:5]
	v_mul_f64 v[4:5], v[132:133], v[66:67]
	v_add_f64 v[158:159], v[154:155], v[156:157]
	ds_read_b128 v[154:157], v1 offset:1504
	v_fma_f64 v[4:5], v[130:131], v[68:69], -v[4:5]
	v_add_f64 v[2:3], v[2:3], v[4:5]
	v_mul_f64 v[4:5], v[136:137], v[78:79]
	v_fma_f64 v[4:5], v[134:135], v[80:81], -v[4:5]
	s_waitcnt vmcnt(22) lgkmcnt(1)
	v_mul_f64 v[160:161], v[150:151], v[94:95]
	v_add_f64 v[2:3], v[2:3], v[4:5]
	v_mul_f64 v[4:5], v[140:141], v[74:75]
	s_waitcnt vmcnt(20)
	v_fmac_f64_e32 v[160:161], v[152:153], v[96:97]
	v_fma_f64 v[4:5], v[138:139], v[76:77], -v[4:5]
	v_add_f64 v[162:163], v[158:159], v[160:161]
	ds_read_b128 v[158:161], v1 offset:1520
	s_waitcnt lgkmcnt(1)
	v_mul_f64 v[164:165], v[154:155], v[90:91]
	v_add_f64 v[2:3], v[2:3], v[4:5]
	v_mul_f64 v[4:5], v[144:145], v[86:87]
	v_fmac_f64_e32 v[164:165], v[156:157], v[92:93]
	v_fma_f64 v[4:5], v[142:143], v[88:89], -v[4:5]
	v_add_f64 v[166:167], v[162:163], v[164:165]
	ds_read_b128 v[162:165], v1 offset:1536
	v_add_f64 v[2:3], v[2:3], v[4:5]
	v_mul_f64 v[4:5], v[148:149], v[82:83]
	v_fma_f64 v[4:5], v[146:147], v[84:85], -v[4:5]
	v_add_f64 v[2:3], v[2:3], v[4:5]
	v_mul_f64 v[4:5], v[152:153], v[94:95]
	s_waitcnt vmcnt(14) lgkmcnt(1)
	v_mul_f64 v[168:169], v[158:159], v[182:183]
	v_fma_f64 v[4:5], v[150:151], v[96:97], -v[4:5]
	s_waitcnt vmcnt(12)
	v_fmac_f64_e32 v[168:169], v[160:161], v[184:185]
	v_add_f64 v[2:3], v[2:3], v[4:5]
	v_mul_f64 v[4:5], v[156:157], v[90:91]
	v_add_f64 v[170:171], v[166:167], v[168:169]
	ds_read_b128 v[166:169], v1 offset:1552
	s_waitcnt lgkmcnt(1)
	v_mul_f64 v[172:173], v[162:163], v[178:179]
	v_fma_f64 v[4:5], v[154:155], v[92:93], -v[4:5]
	v_fmac_f64_e32 v[172:173], v[164:165], v[180:181]
	v_add_f64 v[2:3], v[2:3], v[4:5]
	v_mul_f64 v[4:5], v[160:161], v[182:183]
	v_add_f64 v[198:199], v[170:171], v[172:173]
	ds_read_b128 v[170:173], v1 offset:1568
	v_fma_f64 v[4:5], v[158:159], v[184:185], -v[4:5]
	v_add_f64 v[2:3], v[2:3], v[4:5]
	v_mul_f64 v[4:5], v[164:165], v[178:179]
	ds_read_b128 v[174:177], v1 offset:1584
	v_fma_f64 v[4:5], v[162:163], v[180:181], -v[4:5]
	v_add_f64 v[2:3], v[2:3], v[4:5]
	s_waitcnt vmcnt(6) lgkmcnt(2)
	v_mul_f64 v[4:5], v[168:169], v[190:191]
	v_mul_f64 v[200:201], v[166:167], v[190:191]
	s_waitcnt vmcnt(4)
	v_fma_f64 v[4:5], v[166:167], v[192:193], -v[4:5]
	v_fmac_f64_e32 v[200:201], v[168:169], v[192:193]
	v_add_f64 v[2:3], v[2:3], v[4:5]
	s_waitcnt lgkmcnt(1)
	v_mul_f64 v[4:5], v[172:173], v[186:187]
	v_add_f64 v[198:199], v[198:199], v[200:201]
	v_mul_f64 v[200:201], v[170:171], v[186:187]
	v_fma_f64 v[4:5], v[170:171], v[188:189], -v[4:5]
	v_fmac_f64_e32 v[200:201], v[172:173], v[188:189]
	v_add_f64 v[2:3], v[2:3], v[4:5]
	s_waitcnt vmcnt(2) lgkmcnt(0)
	v_mul_f64 v[4:5], v[176:177], v[194:195]
	v_add_f64 v[198:199], v[198:199], v[200:201]
	v_mul_f64 v[200:201], v[174:175], v[194:195]
	s_waitcnt vmcnt(0)
	v_fma_f64 v[4:5], v[174:175], v[196:197], -v[4:5]
	v_fmac_f64_e32 v[200:201], v[176:177], v[196:197]
	v_add_f64 v[2:3], v[2:3], v[4:5]
	v_add_f64 v[198:199], v[198:199], v[200:201]
	v_add_f64 v[2:3], v[20:21], -v[2:3]
	v_add_f64 v[4:5], v[18:19], -v[198:199]
	buffer_store_dword v3, off, s[0:3], 0 offset:420
	buffer_store_dword v2, off, s[0:3], 0 offset:416
	;; [unrolled: 1-line block ×4, first 2 shown]
	s_and_saveexec_b64 s[4:5], vcc
	s_cbranch_execz .LBB49_265
; %bb.264:
	v_accvgpr_read_b32 v0, a125
	buffer_load_dword v2, v0, s[0:3], 0 offen
	buffer_load_dword v3, v0, s[0:3], 0 offen offset:4
	buffer_load_dword v4, v0, s[0:3], 0 offen offset:8
	;; [unrolled: 1-line block ×3, first 2 shown]
	v_mov_b32_e32 v0, 0
	v_accvgpr_read_b32 v1, a150
	buffer_store_dword v0, off, s[0:3], 0 offset:400
	buffer_store_dword v0, off, s[0:3], 0 offset:404
	;; [unrolled: 1-line block ×4, first 2 shown]
	s_waitcnt vmcnt(4)
	ds_write_b128 v1, v[2:5]
.LBB49_265:
	s_or_b64 exec, exec, s[4:5]
	s_waitcnt lgkmcnt(0)
	; wave barrier
	s_waitcnt lgkmcnt(0)
	buffer_load_dword v22, off, s[0:3], 0 offset:416
	buffer_load_dword v23, off, s[0:3], 0 offset:420
	;; [unrolled: 1-line block ×64, first 2 shown]
	v_mov_b32_e32 v1, 0
	ds_read_b128 v[18:21], v1 offset:1200
	ds_read_b128 v[14:17], v1 offset:1216
	;; [unrolled: 1-line block ×5, first 2 shown]
	v_cmp_lt_u32_e32 vcc, 23, v254
	s_waitcnt vmcnt(60) lgkmcnt(4)
	v_mul_f64 v[86:87], v[18:19], v[26:27]
	v_fmac_f64_e32 v[86:87], v[20:21], v[22:23]
	v_add_f64 v[86:87], v[86:87], 0
	v_mul_f64 v[20:21], v[20:21], v[26:27]
	s_waitcnt vmcnt(56) lgkmcnt(3)
	v_mul_f64 v[88:89], v[14:15], v[28:29]
	v_fmac_f64_e32 v[88:89], v[16:17], v[24:25]
	s_waitcnt vmcnt(54) lgkmcnt(2)
	v_mul_f64 v[90:91], v[10:11], v[30:31]
	v_add_f64 v[86:87], v[86:87], v[88:89]
	v_fma_f64 v[18:19], v[18:19], v[22:23], -v[20:21]
	v_mul_f64 v[16:17], v[16:17], v[28:29]
	s_waitcnt vmcnt(50) lgkmcnt(1)
	v_mul_f64 v[102:103], v[6:7], v[40:41]
	v_add_f64 v[18:19], v[18:19], 0
	s_waitcnt vmcnt(48)
	v_fmac_f64_e32 v[90:91], v[12:13], v[44:45]
	v_add_f64 v[104:105], v[86:87], v[90:91]
	buffer_load_dword v87, off, s[0:3], 0 offset:684
	buffer_load_dword v86, off, s[0:3], 0 offset:680
	;; [unrolled: 1-line block ×40, first 2 shown]
	s_waitcnt vmcnt(62)
	v_fmac_f64_e32 v[102:103], v[8:9], v[42:43]
	v_add_f64 v[106:107], v[104:105], v[102:103]
	ds_read_b128 v[102:105], v1 offset:1280
	s_waitcnt lgkmcnt(1)
	v_mul_f64 v[108:109], v[2:3], v[36:37]
	v_fmac_f64_e32 v[108:109], v[4:5], v[38:39]
	v_add_f64 v[110:111], v[106:107], v[108:109]
	ds_read_b128 v[106:109], v1 offset:1296
	s_waitcnt lgkmcnt(1)
	v_mul_f64 v[112:113], v[102:103], v[50:51]
	;; [unrolled: 5-line block ×5, first 2 shown]
	v_fmac_f64_e32 v[124:125], v[116:117], v[56:57]
	v_add_f64 v[126:127], v[122:123], v[124:125]
	ds_read_b128 v[122:125], v1 offset:1360
	s_waitcnt vmcnt(58) lgkmcnt(1)
	v_mul_f64 v[128:129], v[118:119], v[66:67]
	s_waitcnt vmcnt(56)
	v_fmac_f64_e32 v[128:129], v[120:121], v[68:69]
	v_add_f64 v[130:131], v[126:127], v[128:129]
	ds_read_b128 v[126:129], v1 offset:1376
	s_waitcnt lgkmcnt(1)
	v_mul_f64 v[132:133], v[122:123], v[62:63]
	v_fmac_f64_e32 v[132:133], v[124:125], v[64:65]
	v_add_f64 v[134:135], v[130:131], v[132:133]
	ds_read_b128 v[130:133], v1 offset:1392
	s_waitcnt vmcnt(50) lgkmcnt(1)
	v_mul_f64 v[136:137], v[126:127], v[74:75]
	s_waitcnt vmcnt(48)
	v_fmac_f64_e32 v[136:137], v[128:129], v[76:77]
	v_add_f64 v[138:139], v[134:135], v[136:137]
	ds_read_b128 v[134:137], v1 offset:1408
	v_fma_f64 v[14:15], v[14:15], v[24:25], -v[16:17]
	v_mul_f64 v[12:13], v[12:13], v[30:31]
	v_add_f64 v[14:15], v[18:19], v[14:15]
	v_fma_f64 v[10:11], v[10:11], v[44:45], -v[12:13]
	v_mul_f64 v[8:9], v[8:9], v[40:41]
	s_waitcnt lgkmcnt(1)
	v_mul_f64 v[140:141], v[130:131], v[70:71]
	v_add_f64 v[10:11], v[14:15], v[10:11]
	v_fma_f64 v[6:7], v[6:7], v[42:43], -v[8:9]
	v_mul_f64 v[4:5], v[4:5], v[36:37]
	v_fmac_f64_e32 v[140:141], v[132:133], v[72:73]
	v_add_f64 v[6:7], v[10:11], v[6:7]
	v_fma_f64 v[2:3], v[2:3], v[38:39], -v[4:5]
	v_mul_f64 v[4:5], v[104:105], v[50:51]
	v_add_f64 v[142:143], v[138:139], v[140:141]
	ds_read_b128 v[138:141], v1 offset:1424
	s_waitcnt vmcnt(42) lgkmcnt(1)
	v_mul_f64 v[144:145], v[134:135], v[82:83]
	v_add_f64 v[2:3], v[6:7], v[2:3]
	v_fma_f64 v[4:5], v[102:103], v[52:53], -v[4:5]
	s_waitcnt vmcnt(40)
	v_fmac_f64_e32 v[144:145], v[136:137], v[84:85]
	v_add_f64 v[2:3], v[2:3], v[4:5]
	v_mul_f64 v[4:5], v[108:109], v[46:47]
	v_add_f64 v[146:147], v[142:143], v[144:145]
	ds_read_b128 v[142:145], v1 offset:1440
	v_fma_f64 v[4:5], v[106:107], v[48:49], -v[4:5]
	v_add_f64 v[2:3], v[2:3], v[4:5]
	v_mul_f64 v[4:5], v[112:113], v[58:59]
	v_fma_f64 v[4:5], v[110:111], v[60:61], -v[4:5]
	s_waitcnt lgkmcnt(1)
	v_mul_f64 v[148:149], v[138:139], v[78:79]
	v_add_f64 v[2:3], v[2:3], v[4:5]
	v_mul_f64 v[4:5], v[116:117], v[54:55]
	v_fmac_f64_e32 v[148:149], v[140:141], v[80:81]
	v_fma_f64 v[4:5], v[114:115], v[56:57], -v[4:5]
	v_add_f64 v[150:151], v[146:147], v[148:149]
	ds_read_b128 v[146:149], v1 offset:1456
	s_waitcnt vmcnt(34) lgkmcnt(1)
	v_mul_f64 v[152:153], v[142:143], v[90:91]
	v_add_f64 v[2:3], v[2:3], v[4:5]
	v_mul_f64 v[4:5], v[120:121], v[66:67]
	s_waitcnt vmcnt(32)
	v_fmac_f64_e32 v[152:153], v[144:145], v[92:93]
	v_fma_f64 v[4:5], v[118:119], v[68:69], -v[4:5]
	v_add_f64 v[154:155], v[150:151], v[152:153]
	ds_read_b128 v[150:153], v1 offset:1472
	v_add_f64 v[2:3], v[2:3], v[4:5]
	v_mul_f64 v[4:5], v[124:125], v[62:63]
	v_fma_f64 v[4:5], v[122:123], v[64:65], -v[4:5]
	v_add_f64 v[2:3], v[2:3], v[4:5]
	v_mul_f64 v[4:5], v[128:129], v[74:75]
	s_waitcnt lgkmcnt(1)
	v_mul_f64 v[156:157], v[146:147], v[86:87]
	v_fma_f64 v[4:5], v[126:127], v[76:77], -v[4:5]
	v_fmac_f64_e32 v[156:157], v[148:149], v[88:89]
	v_add_f64 v[2:3], v[2:3], v[4:5]
	v_mul_f64 v[4:5], v[132:133], v[70:71]
	v_add_f64 v[158:159], v[154:155], v[156:157]
	ds_read_b128 v[154:157], v1 offset:1488
	s_waitcnt vmcnt(26) lgkmcnt(1)
	v_mul_f64 v[160:161], v[150:151], v[98:99]
	v_fma_f64 v[4:5], v[130:131], v[72:73], -v[4:5]
	s_waitcnt vmcnt(24)
	v_fmac_f64_e32 v[160:161], v[152:153], v[100:101]
	v_add_f64 v[2:3], v[2:3], v[4:5]
	v_mul_f64 v[4:5], v[136:137], v[82:83]
	v_add_f64 v[162:163], v[158:159], v[160:161]
	ds_read_b128 v[158:161], v1 offset:1504
	v_fma_f64 v[4:5], v[134:135], v[84:85], -v[4:5]
	v_add_f64 v[2:3], v[2:3], v[4:5]
	v_mul_f64 v[4:5], v[140:141], v[78:79]
	v_fma_f64 v[4:5], v[138:139], v[80:81], -v[4:5]
	s_waitcnt lgkmcnt(1)
	v_mul_f64 v[164:165], v[154:155], v[94:95]
	v_add_f64 v[2:3], v[2:3], v[4:5]
	v_mul_f64 v[4:5], v[144:145], v[90:91]
	v_fmac_f64_e32 v[164:165], v[156:157], v[96:97]
	v_fma_f64 v[4:5], v[142:143], v[92:93], -v[4:5]
	v_add_f64 v[166:167], v[162:163], v[164:165]
	ds_read_b128 v[162:165], v1 offset:1520
	s_waitcnt vmcnt(18) lgkmcnt(1)
	v_mul_f64 v[168:169], v[158:159], v[186:187]
	v_add_f64 v[2:3], v[2:3], v[4:5]
	v_mul_f64 v[4:5], v[148:149], v[86:87]
	s_waitcnt vmcnt(16)
	v_fmac_f64_e32 v[168:169], v[160:161], v[188:189]
	v_fma_f64 v[4:5], v[146:147], v[88:89], -v[4:5]
	v_add_f64 v[170:171], v[166:167], v[168:169]
	ds_read_b128 v[166:169], v1 offset:1536
	v_add_f64 v[2:3], v[2:3], v[4:5]
	v_mul_f64 v[4:5], v[152:153], v[98:99]
	v_fma_f64 v[4:5], v[150:151], v[100:101], -v[4:5]
	v_add_f64 v[2:3], v[2:3], v[4:5]
	v_mul_f64 v[4:5], v[156:157], v[94:95]
	s_waitcnt lgkmcnt(1)
	v_mul_f64 v[172:173], v[162:163], v[182:183]
	v_fma_f64 v[4:5], v[154:155], v[96:97], -v[4:5]
	v_fmac_f64_e32 v[172:173], v[164:165], v[184:185]
	v_add_f64 v[2:3], v[2:3], v[4:5]
	v_mul_f64 v[4:5], v[160:161], v[186:187]
	v_add_f64 v[174:175], v[170:171], v[172:173]
	ds_read_b128 v[170:173], v1 offset:1552
	s_waitcnt vmcnt(10) lgkmcnt(1)
	v_mul_f64 v[176:177], v[166:167], v[194:195]
	v_fma_f64 v[4:5], v[158:159], v[188:189], -v[4:5]
	s_waitcnt vmcnt(8)
	v_fmac_f64_e32 v[176:177], v[168:169], v[196:197]
	v_add_f64 v[2:3], v[2:3], v[4:5]
	v_mul_f64 v[4:5], v[164:165], v[182:183]
	v_add_f64 v[206:207], v[174:175], v[176:177]
	ds_read_b128 v[174:177], v1 offset:1568
	ds_read_b128 v[178:181], v1 offset:1584
	v_fma_f64 v[4:5], v[162:163], v[184:185], -v[4:5]
	v_add_f64 v[2:3], v[2:3], v[4:5]
	v_mul_f64 v[4:5], v[168:169], v[194:195]
	v_fma_f64 v[4:5], v[166:167], v[196:197], -v[4:5]
	v_add_f64 v[2:3], v[2:3], v[4:5]
	s_waitcnt lgkmcnt(2)
	v_mul_f64 v[4:5], v[172:173], v[190:191]
	v_mul_f64 v[208:209], v[170:171], v[190:191]
	v_fma_f64 v[4:5], v[170:171], v[192:193], -v[4:5]
	v_fmac_f64_e32 v[208:209], v[172:173], v[192:193]
	v_add_f64 v[2:3], v[2:3], v[4:5]
	s_waitcnt vmcnt(2) lgkmcnt(1)
	v_mul_f64 v[4:5], v[176:177], v[202:203]
	v_add_f64 v[206:207], v[206:207], v[208:209]
	v_mul_f64 v[208:209], v[174:175], v[202:203]
	s_waitcnt vmcnt(0)
	v_fma_f64 v[4:5], v[174:175], v[204:205], -v[4:5]
	v_fmac_f64_e32 v[208:209], v[176:177], v[204:205]
	v_add_f64 v[2:3], v[2:3], v[4:5]
	s_waitcnt lgkmcnt(0)
	v_mul_f64 v[4:5], v[180:181], v[198:199]
	v_add_f64 v[206:207], v[206:207], v[208:209]
	v_mul_f64 v[208:209], v[178:179], v[198:199]
	v_fma_f64 v[4:5], v[178:179], v[200:201], -v[4:5]
	v_fmac_f64_e32 v[208:209], v[180:181], v[200:201]
	v_add_f64 v[2:3], v[2:3], v[4:5]
	v_add_f64 v[206:207], v[206:207], v[208:209]
	v_add_f64 v[2:3], v[34:35], -v[2:3]
	v_add_f64 v[4:5], v[32:33], -v[206:207]
	buffer_store_dword v3, off, s[0:3], 0 offset:404
	buffer_store_dword v2, off, s[0:3], 0 offset:400
	;; [unrolled: 1-line block ×4, first 2 shown]
	s_and_saveexec_b64 s[4:5], vcc
	s_cbranch_execz .LBB49_267
; %bb.266:
	v_accvgpr_read_b32 v0, a126
	buffer_load_dword v2, v0, s[0:3], 0 offen
	buffer_load_dword v3, v0, s[0:3], 0 offen offset:4
	buffer_load_dword v4, v0, s[0:3], 0 offen offset:8
	;; [unrolled: 1-line block ×3, first 2 shown]
	v_accvgpr_read_b32 v0, a150
	buffer_store_dword v1, off, s[0:3], 0 offset:384
	buffer_store_dword v1, off, s[0:3], 0 offset:388
	;; [unrolled: 1-line block ×4, first 2 shown]
	s_waitcnt vmcnt(4)
	ds_write_b128 v0, v[2:5]
.LBB49_267:
	s_or_b64 exec, exec, s[4:5]
	s_waitcnt lgkmcnt(0)
	; wave barrier
	s_waitcnt lgkmcnt(0)
	buffer_load_dword v26, off, s[0:3], 0 offset:400
	buffer_load_dword v27, off, s[0:3], 0 offset:404
	;; [unrolled: 1-line block ×24, first 2 shown]
	ds_read_b128 v[22:25], v1 offset:1184
	ds_read_b128 v[18:21], v1 offset:1200
	ds_read_b128 v[10:13], v1 offset:1216
	ds_read_b128 v[6:9], v1 offset:1232
	ds_read_b128 v[2:5], v1 offset:1248
	ds_read_b128 v[14:17], v1 offset:1264
	buffer_load_dword v51, off, s[0:3], 0 offset:508
	buffer_load_dword v50, off, s[0:3], 0 offset:504
	;; [unrolled: 1-line block ×40, first 2 shown]
	v_cmp_lt_u32_e32 vcc, 22, v254
	s_waitcnt vmcnt(34) lgkmcnt(0)
	v_mul_f64 v[120:121], v[14:15], v[54:55]
	s_waitcnt vmcnt(32)
	v_fmac_f64_e32 v[120:121], v[16:17], v[56:57]
	v_mul_f64 v[90:91], v[22:23], v[28:29]
	v_fmac_f64_e32 v[90:91], v[24:25], v[26:27]
	v_mul_f64 v[92:93], v[18:19], v[30:31]
	v_add_f64 v[90:91], v[90:91], 0
	v_mul_f64 v[94:95], v[10:11], v[32:33]
	v_mul_f64 v[24:25], v[24:25], v[28:29]
	;; [unrolled: 1-line block ×3, first 2 shown]
	v_fma_f64 v[22:23], v[22:23], v[26:27], -v[24:25]
	v_add_f64 v[22:23], v[22:23], 0
	v_mul_f64 v[96:97], v[6:7], v[42:43]
	v_fmac_f64_e32 v[92:93], v[20:21], v[48:49]
	v_add_f64 v[90:91], v[90:91], v[92:93]
	v_fmac_f64_e32 v[94:95], v[12:13], v[46:47]
	v_add_f64 v[90:91], v[90:91], v[94:95]
	;; [unrolled: 2-line block ×3, first 2 shown]
	buffer_load_dword v91, off, s[0:3], 0 offset:668
	buffer_load_dword v90, off, s[0:3], 0 offset:664
	;; [unrolled: 1-line block ×40, first 2 shown]
	v_fmac_f64_e32 v[114:115], v[4:5], v[40:41]
	v_add_f64 v[118:119], v[116:117], v[114:115]
	ds_read_b128 v[114:117], v1 offset:1280
	buffer_load_dword v211, off, s[0:3], 0 offset:812
	buffer_load_dword v210, off, s[0:3], 0 offset:808
	;; [unrolled: 1-line block ×4, first 2 shown]
	v_add_f64 v[122:123], v[118:119], v[120:121]
	ds_read_b128 v[118:121], v1 offset:1296
	v_mul_f64 v[20:21], v[20:21], v[30:31]
	s_waitcnt lgkmcnt(1)
	v_mul_f64 v[124:125], v[114:115], v[50:51]
	v_fmac_f64_e32 v[124:125], v[116:117], v[52:53]
	v_add_f64 v[126:127], v[122:123], v[124:125]
	ds_read_b128 v[122:125], v1 offset:1312
	s_waitcnt vmcnt(62) lgkmcnt(1)
	v_mul_f64 v[128:129], v[118:119], v[62:63]
	v_fmac_f64_e32 v[128:129], v[120:121], v[64:65]
	v_add_f64 v[130:131], v[126:127], v[128:129]
	ds_read_b128 v[126:129], v1 offset:1328
	s_waitcnt lgkmcnt(1)
	v_mul_f64 v[132:133], v[122:123], v[58:59]
	v_fmac_f64_e32 v[132:133], v[124:125], v[60:61]
	v_add_f64 v[134:135], v[130:131], v[132:133]
	ds_read_b128 v[130:133], v1 offset:1344
	s_waitcnt lgkmcnt(1)
	v_mul_f64 v[136:137], v[126:127], v[70:71]
	s_waitcnt vmcnt(60)
	v_fmac_f64_e32 v[136:137], v[128:129], v[72:73]
	v_add_f64 v[138:139], v[134:135], v[136:137]
	ds_read_b128 v[134:137], v1 offset:1360
	s_waitcnt lgkmcnt(1)
	v_mul_f64 v[140:141], v[130:131], v[66:67]
	v_fmac_f64_e32 v[140:141], v[132:133], v[68:69]
	v_add_f64 v[142:143], v[138:139], v[140:141]
	ds_read_b128 v[138:141], v1 offset:1376
	s_waitcnt vmcnt(54) lgkmcnt(1)
	v_mul_f64 v[144:145], v[134:135], v[78:79]
	s_waitcnt vmcnt(52)
	v_fmac_f64_e32 v[144:145], v[136:137], v[80:81]
	v_add_f64 v[146:147], v[142:143], v[144:145]
	ds_read_b128 v[142:145], v1 offset:1392
	s_waitcnt lgkmcnt(1)
	v_mul_f64 v[148:149], v[138:139], v[74:75]
	v_fmac_f64_e32 v[148:149], v[140:141], v[76:77]
	v_fma_f64 v[18:19], v[18:19], v[48:49], -v[20:21]
	v_mul_f64 v[12:13], v[12:13], v[32:33]
	v_add_f64 v[150:151], v[146:147], v[148:149]
	ds_read_b128 v[146:149], v1 offset:1408
	v_add_f64 v[18:19], v[22:23], v[18:19]
	v_fma_f64 v[10:11], v[10:11], v[46:47], -v[12:13]
	v_mul_f64 v[8:9], v[8:9], v[42:43]
	v_add_f64 v[10:11], v[18:19], v[10:11]
	v_fma_f64 v[6:7], v[6:7], v[44:45], -v[8:9]
	v_mul_f64 v[4:5], v[4:5], v[38:39]
	;; [unrolled: 3-line block ×3, first 2 shown]
	s_waitcnt vmcnt(46) lgkmcnt(1)
	v_mul_f64 v[152:153], v[142:143], v[86:87]
	v_add_f64 v[2:3], v[6:7], v[2:3]
	v_fma_f64 v[4:5], v[14:15], v[56:57], -v[4:5]
	s_waitcnt vmcnt(44)
	v_fmac_f64_e32 v[152:153], v[144:145], v[88:89]
	v_add_f64 v[2:3], v[2:3], v[4:5]
	v_mul_f64 v[4:5], v[116:117], v[50:51]
	v_add_f64 v[154:155], v[150:151], v[152:153]
	ds_read_b128 v[150:153], v1 offset:1424
	s_waitcnt lgkmcnt(1)
	v_mul_f64 v[156:157], v[146:147], v[82:83]
	v_fma_f64 v[4:5], v[114:115], v[52:53], -v[4:5]
	v_fmac_f64_e32 v[156:157], v[148:149], v[84:85]
	v_add_f64 v[2:3], v[2:3], v[4:5]
	v_mul_f64 v[4:5], v[120:121], v[62:63]
	v_add_f64 v[158:159], v[154:155], v[156:157]
	ds_read_b128 v[154:157], v1 offset:1440
	v_fma_f64 v[4:5], v[118:119], v[64:65], -v[4:5]
	v_add_f64 v[2:3], v[2:3], v[4:5]
	v_mul_f64 v[4:5], v[124:125], v[58:59]
	v_fma_f64 v[4:5], v[122:123], v[60:61], -v[4:5]
	s_waitcnt vmcnt(38) lgkmcnt(1)
	v_mul_f64 v[160:161], v[150:151], v[94:95]
	v_add_f64 v[2:3], v[2:3], v[4:5]
	v_mul_f64 v[4:5], v[128:129], v[70:71]
	s_waitcnt vmcnt(36)
	v_fmac_f64_e32 v[160:161], v[152:153], v[96:97]
	v_fma_f64 v[4:5], v[126:127], v[72:73], -v[4:5]
	v_add_f64 v[162:163], v[158:159], v[160:161]
	ds_read_b128 v[158:161], v1 offset:1456
	s_waitcnt lgkmcnt(1)
	v_mul_f64 v[164:165], v[154:155], v[90:91]
	v_add_f64 v[2:3], v[2:3], v[4:5]
	v_mul_f64 v[4:5], v[132:133], v[66:67]
	v_fmac_f64_e32 v[164:165], v[156:157], v[92:93]
	v_fma_f64 v[4:5], v[130:131], v[68:69], -v[4:5]
	v_add_f64 v[166:167], v[162:163], v[164:165]
	ds_read_b128 v[162:165], v1 offset:1472
	v_add_f64 v[2:3], v[2:3], v[4:5]
	v_mul_f64 v[4:5], v[136:137], v[78:79]
	v_fma_f64 v[4:5], v[134:135], v[80:81], -v[4:5]
	v_add_f64 v[2:3], v[2:3], v[4:5]
	v_mul_f64 v[4:5], v[140:141], v[74:75]
	s_waitcnt vmcnt(30) lgkmcnt(1)
	v_mul_f64 v[168:169], v[158:159], v[102:103]
	v_fma_f64 v[4:5], v[138:139], v[76:77], -v[4:5]
	s_waitcnt vmcnt(28)
	v_fmac_f64_e32 v[168:169], v[160:161], v[104:105]
	v_add_f64 v[2:3], v[2:3], v[4:5]
	v_mul_f64 v[4:5], v[144:145], v[86:87]
	v_add_f64 v[170:171], v[166:167], v[168:169]
	ds_read_b128 v[166:169], v1 offset:1488
	s_waitcnt lgkmcnt(1)
	v_mul_f64 v[172:173], v[162:163], v[98:99]
	v_fma_f64 v[4:5], v[142:143], v[88:89], -v[4:5]
	v_fmac_f64_e32 v[172:173], v[164:165], v[100:101]
	v_add_f64 v[2:3], v[2:3], v[4:5]
	v_mul_f64 v[4:5], v[148:149], v[82:83]
	v_add_f64 v[174:175], v[170:171], v[172:173]
	ds_read_b128 v[170:173], v1 offset:1504
	v_fma_f64 v[4:5], v[146:147], v[84:85], -v[4:5]
	v_add_f64 v[2:3], v[2:3], v[4:5]
	v_mul_f64 v[4:5], v[152:153], v[94:95]
	v_fma_f64 v[4:5], v[150:151], v[96:97], -v[4:5]
	s_waitcnt vmcnt(22) lgkmcnt(1)
	v_mul_f64 v[176:177], v[166:167], v[110:111]
	v_add_f64 v[2:3], v[2:3], v[4:5]
	v_mul_f64 v[4:5], v[156:157], v[90:91]
	s_waitcnt vmcnt(20)
	v_fmac_f64_e32 v[176:177], v[168:169], v[112:113]
	v_fma_f64 v[4:5], v[154:155], v[92:93], -v[4:5]
	v_add_f64 v[178:179], v[174:175], v[176:177]
	ds_read_b128 v[174:177], v1 offset:1520
	s_waitcnt lgkmcnt(1)
	v_mul_f64 v[180:181], v[170:171], v[106:107]
	v_add_f64 v[2:3], v[2:3], v[4:5]
	v_mul_f64 v[4:5], v[160:161], v[102:103]
	v_fmac_f64_e32 v[180:181], v[172:173], v[108:109]
	v_fma_f64 v[4:5], v[158:159], v[104:105], -v[4:5]
	v_add_f64 v[182:183], v[178:179], v[180:181]
	ds_read_b128 v[178:181], v1 offset:1536
	v_add_f64 v[2:3], v[2:3], v[4:5]
	v_mul_f64 v[4:5], v[164:165], v[98:99]
	v_fma_f64 v[4:5], v[162:163], v[100:101], -v[4:5]
	v_add_f64 v[2:3], v[2:3], v[4:5]
	v_mul_f64 v[4:5], v[168:169], v[110:111]
	s_waitcnt vmcnt(14) lgkmcnt(1)
	v_mul_f64 v[184:185], v[174:175], v[198:199]
	v_fma_f64 v[4:5], v[166:167], v[112:113], -v[4:5]
	s_waitcnt vmcnt(12)
	v_fmac_f64_e32 v[184:185], v[176:177], v[200:201]
	v_add_f64 v[2:3], v[2:3], v[4:5]
	v_mul_f64 v[4:5], v[172:173], v[106:107]
	v_add_f64 v[186:187], v[182:183], v[184:185]
	ds_read_b128 v[182:185], v1 offset:1552
	s_waitcnt lgkmcnt(1)
	v_mul_f64 v[188:189], v[178:179], v[194:195]
	v_fma_f64 v[4:5], v[170:171], v[108:109], -v[4:5]
	v_fmac_f64_e32 v[188:189], v[180:181], v[196:197]
	v_add_f64 v[2:3], v[2:3], v[4:5]
	v_mul_f64 v[4:5], v[176:177], v[198:199]
	v_add_f64 v[214:215], v[186:187], v[188:189]
	ds_read_b128 v[186:189], v1 offset:1568
	v_fma_f64 v[4:5], v[174:175], v[200:201], -v[4:5]
	v_add_f64 v[2:3], v[2:3], v[4:5]
	v_mul_f64 v[4:5], v[180:181], v[194:195]
	ds_read_b128 v[190:193], v1 offset:1584
	v_fma_f64 v[4:5], v[178:179], v[196:197], -v[4:5]
	v_add_f64 v[2:3], v[2:3], v[4:5]
	s_waitcnt vmcnt(6) lgkmcnt(2)
	v_mul_f64 v[4:5], v[184:185], v[206:207]
	v_mul_f64 v[216:217], v[182:183], v[206:207]
	s_waitcnt vmcnt(4)
	v_fma_f64 v[4:5], v[182:183], v[208:209], -v[4:5]
	v_fmac_f64_e32 v[216:217], v[184:185], v[208:209]
	v_add_f64 v[2:3], v[2:3], v[4:5]
	s_waitcnt lgkmcnt(1)
	v_mul_f64 v[4:5], v[188:189], v[202:203]
	v_add_f64 v[214:215], v[214:215], v[216:217]
	v_mul_f64 v[216:217], v[186:187], v[202:203]
	v_fma_f64 v[4:5], v[186:187], v[204:205], -v[4:5]
	v_fmac_f64_e32 v[216:217], v[188:189], v[204:205]
	v_add_f64 v[2:3], v[2:3], v[4:5]
	s_waitcnt vmcnt(2) lgkmcnt(0)
	v_mul_f64 v[4:5], v[192:193], v[210:211]
	v_add_f64 v[214:215], v[214:215], v[216:217]
	v_mul_f64 v[216:217], v[190:191], v[210:211]
	s_waitcnt vmcnt(0)
	v_fma_f64 v[4:5], v[190:191], v[212:213], -v[4:5]
	v_fmac_f64_e32 v[216:217], v[192:193], v[212:213]
	v_add_f64 v[2:3], v[2:3], v[4:5]
	v_add_f64 v[214:215], v[214:215], v[216:217]
	v_add_f64 v[2:3], v[36:37], -v[2:3]
	v_add_f64 v[4:5], v[34:35], -v[214:215]
	buffer_store_dword v3, off, s[0:3], 0 offset:388
	buffer_store_dword v2, off, s[0:3], 0 offset:384
	;; [unrolled: 1-line block ×4, first 2 shown]
	s_and_saveexec_b64 s[4:5], vcc
	s_cbranch_execz .LBB49_269
; %bb.268:
	v_accvgpr_read_b32 v0, a127
	buffer_load_dword v2, v0, s[0:3], 0 offen
	buffer_load_dword v3, v0, s[0:3], 0 offen offset:4
	buffer_load_dword v4, v0, s[0:3], 0 offen offset:8
	;; [unrolled: 1-line block ×3, first 2 shown]
	v_mov_b32_e32 v0, 0
	v_accvgpr_read_b32 v1, a150
	buffer_store_dword v0, off, s[0:3], 0 offset:368
	buffer_store_dword v0, off, s[0:3], 0 offset:372
	;; [unrolled: 1-line block ×4, first 2 shown]
	s_waitcnt vmcnt(4)
	ds_write_b128 v1, v[2:5]
.LBB49_269:
	s_or_b64 exec, exec, s[4:5]
	s_waitcnt lgkmcnt(0)
	; wave barrier
	s_waitcnt lgkmcnt(0)
	buffer_load_dword v30, off, s[0:3], 0 offset:384
	buffer_load_dword v31, off, s[0:3], 0 offset:388
	;; [unrolled: 1-line block ×56, first 2 shown]
	v_mov_b32_e32 v1, 0
	ds_read_b128 v[26:29], v1 offset:1168
	ds_read_b128 v[22:25], v1 offset:1184
	;; [unrolled: 1-line block ×7, first 2 shown]
	v_cmp_lt_u32_e32 vcc, 21, v254
	s_waitcnt vmcnt(52) lgkmcnt(6)
	v_mul_f64 v[86:87], v[26:27], v[34:35]
	v_fmac_f64_e32 v[86:87], v[28:29], v[30:31]
	v_add_f64 v[86:87], v[86:87], 0
	v_mul_f64 v[28:29], v[28:29], v[34:35]
	s_waitcnt vmcnt(48) lgkmcnt(5)
	v_mul_f64 v[88:89], v[22:23], v[36:37]
	v_fmac_f64_e32 v[88:89], v[24:25], v[32:33]
	s_waitcnt vmcnt(46) lgkmcnt(4)
	v_mul_f64 v[90:91], v[18:19], v[38:39]
	v_add_f64 v[86:87], v[86:87], v[88:89]
	s_waitcnt vmcnt(44) lgkmcnt(2)
	v_mul_f64 v[94:95], v[10:11], v[40:41]
	v_fma_f64 v[26:27], v[26:27], v[30:31], -v[28:29]
	s_waitcnt vmcnt(42)
	v_fmac_f64_e32 v[94:95], v[12:13], v[42:43]
	v_mul_f64 v[24:25], v[24:25], v[36:37]
	s_waitcnt vmcnt(40)
	v_mul_f64 v[92:93], v[14:15], v[48:49]
	v_add_f64 v[26:27], v[26:27], 0
	v_fma_f64 v[22:23], v[22:23], v[32:33], -v[24:25]
	v_add_f64 v[22:23], v[26:27], v[22:23]
	s_waitcnt vmcnt(36) lgkmcnt(1)
	v_mul_f64 v[110:111], v[6:7], v[54:55]
	v_mul_f64 v[12:13], v[12:13], v[40:41]
	s_waitcnt vmcnt(34)
	v_fmac_f64_e32 v[90:91], v[20:21], v[60:61]
	v_add_f64 v[86:87], v[86:87], v[90:91]
	s_waitcnt vmcnt(32)
	v_fmac_f64_e32 v[92:93], v[16:17], v[58:59]
	v_add_f64 v[86:87], v[86:87], v[92:93]
	v_add_f64 v[116:117], v[86:87], v[94:95]
	buffer_load_dword v87, off, s[0:3], 0 offset:620
	buffer_load_dword v86, off, s[0:3], 0 offset:616
	;; [unrolled: 1-line block ×56, first 2 shown]
	ds_read_b128 v[124:127], v1 offset:1280
	ds_read_b128 v[128:131], v1 offset:1296
	v_mul_f64 v[20:21], v[20:21], v[38:39]
	v_fma_f64 v[18:19], v[18:19], v[60:61], -v[20:21]
	v_mul_f64 v[16:17], v[16:17], v[48:49]
	s_waitcnt vmcnt(62)
	v_fmac_f64_e32 v[110:111], v[8:9], v[56:57]
	v_add_f64 v[18:19], v[22:23], v[18:19]
	v_fma_f64 v[14:15], v[14:15], v[58:59], -v[16:17]
	v_add_f64 v[110:111], v[116:117], v[110:111]
	s_waitcnt lgkmcnt(2)
	v_mul_f64 v[116:117], v[2:3], v[50:51]
	v_add_f64 v[14:15], v[18:19], v[14:15]
	v_fma_f64 v[10:11], v[10:11], v[42:43], -v[12:13]
	v_mul_f64 v[8:9], v[8:9], v[54:55]
	v_fmac_f64_e32 v[116:117], v[4:5], v[52:53]
	ds_read_b128 v[132:135], v1 offset:1312
	ds_read_b128 v[136:139], v1 offset:1328
	v_add_f64 v[10:11], v[14:15], v[10:11]
	v_fma_f64 v[6:7], v[6:7], v[56:57], -v[8:9]
	v_mul_f64 v[4:5], v[4:5], v[50:51]
	v_add_f64 v[6:7], v[10:11], v[6:7]
	v_fma_f64 v[2:3], v[2:3], v[52:53], -v[4:5]
	s_waitcnt lgkmcnt(3)
	v_mul_f64 v[4:5], v[126:127], v[66:67]
	v_add_f64 v[110:111], v[110:111], v[116:117]
	v_mul_f64 v[116:117], v[124:125], v[66:67]
	v_add_f64 v[2:3], v[6:7], v[2:3]
	v_fma_f64 v[4:5], v[124:125], v[68:69], -v[4:5]
	v_fmac_f64_e32 v[116:117], v[126:127], v[68:69]
	v_add_f64 v[2:3], v[2:3], v[4:5]
	s_waitcnt lgkmcnt(2)
	v_mul_f64 v[4:5], v[130:131], v[62:63]
	v_add_f64 v[110:111], v[110:111], v[116:117]
	v_mul_f64 v[116:117], v[128:129], v[62:63]
	ds_read_b128 v[140:143], v1 offset:1344
	ds_read_b128 v[144:147], v1 offset:1360
	v_fma_f64 v[4:5], v[128:129], v[64:65], -v[4:5]
	v_fmac_f64_e32 v[116:117], v[130:131], v[64:65]
	v_add_f64 v[2:3], v[2:3], v[4:5]
	s_waitcnt lgkmcnt(3)
	v_mul_f64 v[4:5], v[134:135], v[74:75]
	v_add_f64 v[110:111], v[110:111], v[116:117]
	v_mul_f64 v[116:117], v[132:133], v[74:75]
	v_fma_f64 v[4:5], v[132:133], v[76:77], -v[4:5]
	v_fmac_f64_e32 v[116:117], v[134:135], v[76:77]
	v_add_f64 v[2:3], v[2:3], v[4:5]
	s_waitcnt lgkmcnt(2)
	v_mul_f64 v[4:5], v[138:139], v[70:71]
	v_add_f64 v[110:111], v[110:111], v[116:117]
	v_mul_f64 v[116:117], v[136:137], v[70:71]
	ds_read_b128 v[148:151], v1 offset:1376
	ds_read_b128 v[152:155], v1 offset:1392
	v_fma_f64 v[4:5], v[136:137], v[72:73], -v[4:5]
	v_fmac_f64_e32 v[116:117], v[138:139], v[72:73]
	v_add_f64 v[2:3], v[2:3], v[4:5]
	s_waitcnt vmcnt(58) lgkmcnt(3)
	v_mul_f64 v[4:5], v[142:143], v[82:83]
	v_add_f64 v[110:111], v[110:111], v[116:117]
	v_mul_f64 v[116:117], v[140:141], v[82:83]
	s_waitcnt vmcnt(56)
	v_fma_f64 v[4:5], v[140:141], v[84:85], -v[4:5]
	v_fmac_f64_e32 v[116:117], v[142:143], v[84:85]
	v_add_f64 v[2:3], v[2:3], v[4:5]
	s_waitcnt lgkmcnt(2)
	v_mul_f64 v[4:5], v[146:147], v[78:79]
	v_add_f64 v[110:111], v[110:111], v[116:117]
	v_mul_f64 v[116:117], v[144:145], v[78:79]
	ds_read_b128 v[156:159], v1 offset:1408
	ds_read_b128 v[160:163], v1 offset:1424
	v_fma_f64 v[4:5], v[144:145], v[80:81], -v[4:5]
	v_fmac_f64_e32 v[116:117], v[146:147], v[80:81]
	v_add_f64 v[2:3], v[2:3], v[4:5]
	s_waitcnt vmcnt(50) lgkmcnt(3)
	v_mul_f64 v[4:5], v[150:151], v[90:91]
	v_add_f64 v[110:111], v[110:111], v[116:117]
	v_mul_f64 v[116:117], v[148:149], v[90:91]
	s_waitcnt vmcnt(48)
	;; [unrolled: 17-line block ×7, first 2 shown]
	v_fma_f64 v[4:5], v[188:189], v[216:217], -v[4:5]
	v_fmac_f64_e32 v[116:117], v[190:191], v[216:217]
	v_add_f64 v[2:3], v[2:3], v[4:5]
	s_waitcnt lgkmcnt(2)
	v_mul_f64 v[4:5], v[194:195], v[210:211]
	v_add_f64 v[110:111], v[110:111], v[116:117]
	v_mul_f64 v[116:117], v[192:193], v[210:211]
	v_fma_f64 v[4:5], v[192:193], v[212:213], -v[4:5]
	v_fmac_f64_e32 v[116:117], v[194:195], v[212:213]
	v_add_f64 v[2:3], v[2:3], v[4:5]
	s_waitcnt vmcnt(2) lgkmcnt(1)
	v_mul_f64 v[4:5], v[198:199], v[222:223]
	v_add_f64 v[110:111], v[110:111], v[116:117]
	v_mul_f64 v[116:117], v[196:197], v[222:223]
	s_waitcnt vmcnt(0)
	v_fma_f64 v[4:5], v[196:197], v[224:225], -v[4:5]
	v_fmac_f64_e32 v[116:117], v[198:199], v[224:225]
	v_add_f64 v[2:3], v[2:3], v[4:5]
	s_waitcnt lgkmcnt(0)
	v_mul_f64 v[4:5], v[202:203], v[218:219]
	v_add_f64 v[110:111], v[110:111], v[116:117]
	v_mul_f64 v[116:117], v[200:201], v[218:219]
	v_fma_f64 v[4:5], v[200:201], v[220:221], -v[4:5]
	v_fmac_f64_e32 v[116:117], v[202:203], v[220:221]
	v_add_f64 v[2:3], v[2:3], v[4:5]
	v_add_f64 v[110:111], v[110:111], v[116:117]
	v_add_f64 v[2:3], v[46:47], -v[2:3]
	v_add_f64 v[4:5], v[44:45], -v[110:111]
	buffer_store_dword v3, off, s[0:3], 0 offset:372
	buffer_store_dword v2, off, s[0:3], 0 offset:368
	;; [unrolled: 1-line block ×4, first 2 shown]
	s_and_saveexec_b64 s[4:5], vcc
	s_cbranch_execz .LBB49_271
; %bb.270:
	v_accvgpr_read_b32 v0, a128
	buffer_load_dword v2, v0, s[0:3], 0 offen
	buffer_load_dword v3, v0, s[0:3], 0 offen offset:4
	buffer_load_dword v4, v0, s[0:3], 0 offen offset:8
	;; [unrolled: 1-line block ×3, first 2 shown]
	v_accvgpr_read_b32 v0, a150
	buffer_store_dword v1, off, s[0:3], 0 offset:352
	buffer_store_dword v1, off, s[0:3], 0 offset:356
	;; [unrolled: 1-line block ×4, first 2 shown]
	s_waitcnt vmcnt(4)
	ds_write_b128 v0, v[2:5]
.LBB49_271:
	s_or_b64 exec, exec, s[4:5]
	s_waitcnt lgkmcnt(0)
	; wave barrier
	s_waitcnt lgkmcnt(0)
	buffer_load_dword v34, off, s[0:3], 0 offset:368
	buffer_load_dword v35, off, s[0:3], 0 offset:372
	;; [unrolled: 1-line block ×32, first 2 shown]
	ds_read_b128 v[30:33], v1 offset:1152
	ds_read_b128 v[26:29], v1 offset:1168
	;; [unrolled: 1-line block ×8, first 2 shown]
	buffer_load_dword v67, off, s[0:3], 0 offset:508
	buffer_load_dword v66, off, s[0:3], 0 offset:504
	;; [unrolled: 1-line block ×24, first 2 shown]
	v_cmp_lt_u32_e32 vcc, 20, v254
	s_waitcnt vmcnt(52) lgkmcnt(7)
	v_mul_f64 v[90:91], v[30:31], v[38:39]
	v_fmac_f64_e32 v[90:91], v[32:33], v[34:35]
	v_add_f64 v[90:91], v[90:91], 0
	v_mul_f64 v[32:33], v[32:33], v[38:39]
	s_waitcnt vmcnt(48) lgkmcnt(6)
	v_mul_f64 v[92:93], v[26:27], v[40:41]
	v_fmac_f64_e32 v[92:93], v[28:29], v[36:37]
	s_waitcnt vmcnt(46) lgkmcnt(5)
	v_mul_f64 v[94:95], v[22:23], v[42:43]
	v_add_f64 v[90:91], v[90:91], v[92:93]
	s_waitcnt vmcnt(44) lgkmcnt(4)
	v_mul_f64 v[96:97], v[18:19], v[48:49]
	v_fma_f64 v[30:31], v[30:31], v[34:35], -v[32:33]
	s_waitcnt vmcnt(42) lgkmcnt(1)
	v_mul_f64 v[122:123], v[2:3], v[50:51]
	v_mul_f64 v[28:29], v[28:29], v[40:41]
	s_waitcnt vmcnt(18) lgkmcnt(0)
	v_mul_f64 v[136:137], v[14:15], v[70:71]
	v_mul_f64 v[100:101], v[6:7], v[54:55]
	s_waitcnt vmcnt(16)
	v_fmac_f64_e32 v[136:137], v[16:17], v[72:73]
	v_mul_f64 v[98:99], v[10:11], v[56:57]
	v_add_f64 v[30:31], v[30:31], 0
	v_fmac_f64_e32 v[98:99], v[12:13], v[58:59]
	v_fma_f64 v[26:27], v[26:27], v[36:37], -v[28:29]
	v_fmac_f64_e32 v[94:95], v[24:25], v[64:65]
	v_add_f64 v[90:91], v[90:91], v[94:95]
	v_fmac_f64_e32 v[96:97], v[20:21], v[62:63]
	v_add_f64 v[90:91], v[90:91], v[96:97]
	;; [unrolled: 2-line block ×3, first 2 shown]
	v_add_f64 v[124:125], v[90:91], v[100:101]
	buffer_load_dword v91, off, s[0:3], 0 offset:604
	buffer_load_dword v90, off, s[0:3], 0 offset:600
	buffer_load_dword v93, off, s[0:3], 0 offset:596
	buffer_load_dword v92, off, s[0:3], 0 offset:592
	buffer_load_dword v95, off, s[0:3], 0 offset:588
	buffer_load_dword v94, off, s[0:3], 0 offset:584
	buffer_load_dword v97, off, s[0:3], 0 offset:580
	buffer_load_dword v96, off, s[0:3], 0 offset:576
	buffer_load_dword v99, off, s[0:3], 0 offset:636
	buffer_load_dword v98, off, s[0:3], 0 offset:632
	buffer_load_dword v101, off, s[0:3], 0 offset:628
	buffer_load_dword v100, off, s[0:3], 0 offset:624
	buffer_load_dword v103, off, s[0:3], 0 offset:620
	buffer_load_dword v102, off, s[0:3], 0 offset:616
	buffer_load_dword v105, off, s[0:3], 0 offset:612
	buffer_load_dword v104, off, s[0:3], 0 offset:608
	buffer_load_dword v107, off, s[0:3], 0 offset:668
	buffer_load_dword v106, off, s[0:3], 0 offset:664
	buffer_load_dword v109, off, s[0:3], 0 offset:660
	buffer_load_dword v108, off, s[0:3], 0 offset:656
	buffer_load_dword v111, off, s[0:3], 0 offset:652
	buffer_load_dword v110, off, s[0:3], 0 offset:648
	buffer_load_dword v113, off, s[0:3], 0 offset:644
	buffer_load_dword v112, off, s[0:3], 0 offset:640
	buffer_load_dword v115, off, s[0:3], 0 offset:700
	buffer_load_dword v114, off, s[0:3], 0 offset:696
	buffer_load_dword v117, off, s[0:3], 0 offset:692
	buffer_load_dword v116, off, s[0:3], 0 offset:688
	buffer_load_dword v119, off, s[0:3], 0 offset:684
	buffer_load_dword v118, off, s[0:3], 0 offset:680
	buffer_load_dword v121, off, s[0:3], 0 offset:676
	buffer_load_dword v120, off, s[0:3], 0 offset:672
	buffer_load_dword v127, off, s[0:3], 0 offset:732
	buffer_load_dword v126, off, s[0:3], 0 offset:728
	buffer_load_dword v129, off, s[0:3], 0 offset:724
	buffer_load_dword v128, off, s[0:3], 0 offset:720
	buffer_load_dword v131, off, s[0:3], 0 offset:716
	buffer_load_dword v130, off, s[0:3], 0 offset:712
	buffer_load_dword v133, off, s[0:3], 0 offset:708
	buffer_load_dword v132, off, s[0:3], 0 offset:704
	buffer_load_dword v203, off, s[0:3], 0 offset:764
	buffer_load_dword v202, off, s[0:3], 0 offset:760
	buffer_load_dword v205, off, s[0:3], 0 offset:756
	buffer_load_dword v204, off, s[0:3], 0 offset:752
	buffer_load_dword v211, off, s[0:3], 0 offset:748
	buffer_load_dword v210, off, s[0:3], 0 offset:744
	buffer_load_dword v213, off, s[0:3], 0 offset:740
	buffer_load_dword v212, off, s[0:3], 0 offset:736
	buffer_load_dword v215, off, s[0:3], 0 offset:796
	buffer_load_dword v214, off, s[0:3], 0 offset:792
	buffer_load_dword v217, off, s[0:3], 0 offset:788
	buffer_load_dword v216, off, s[0:3], 0 offset:784
	buffer_load_dword v223, off, s[0:3], 0 offset:780
	buffer_load_dword v222, off, s[0:3], 0 offset:776
	buffer_load_dword v225, off, s[0:3], 0 offset:772
	buffer_load_dword v224, off, s[0:3], 0 offset:768
	v_fmac_f64_e32 v[122:123], v[4:5], v[52:53]
	v_add_f64 v[134:135], v[124:125], v[122:123]
	ds_read_b128 v[122:125], v1 offset:1280
	buffer_load_dword v227, off, s[0:3], 0 offset:812
	buffer_load_dword v226, off, s[0:3], 0 offset:808
	;; [unrolled: 1-line block ×4, first 2 shown]
	v_add_f64 v[138:139], v[134:135], v[136:137]
	ds_read_b128 v[134:137], v1 offset:1296
	v_mul_f64 v[24:25], v[24:25], v[42:43]
	s_waitcnt lgkmcnt(1)
	v_mul_f64 v[140:141], v[122:123], v[66:67]
	v_fmac_f64_e32 v[140:141], v[124:125], v[68:69]
	v_add_f64 v[142:143], v[138:139], v[140:141]
	ds_read_b128 v[138:141], v1 offset:1312
	s_waitcnt vmcnt(62) lgkmcnt(1)
	v_mul_f64 v[144:145], v[134:135], v[78:79]
	v_fmac_f64_e32 v[144:145], v[136:137], v[80:81]
	v_add_f64 v[146:147], v[142:143], v[144:145]
	ds_read_b128 v[142:145], v1 offset:1328
	s_waitcnt lgkmcnt(1)
	v_mul_f64 v[148:149], v[138:139], v[74:75]
	v_fmac_f64_e32 v[148:149], v[140:141], v[76:77]
	v_add_f64 v[150:151], v[146:147], v[148:149]
	ds_read_b128 v[146:149], v1 offset:1344
	s_waitcnt lgkmcnt(1)
	v_mul_f64 v[152:153], v[142:143], v[86:87]
	s_waitcnt vmcnt(60)
	v_fmac_f64_e32 v[152:153], v[144:145], v[88:89]
	v_add_f64 v[154:155], v[150:151], v[152:153]
	ds_read_b128 v[150:153], v1 offset:1360
	s_waitcnt lgkmcnt(1)
	v_mul_f64 v[156:157], v[146:147], v[82:83]
	v_fmac_f64_e32 v[156:157], v[148:149], v[84:85]
	v_add_f64 v[158:159], v[154:155], v[156:157]
	ds_read_b128 v[154:157], v1 offset:1376
	v_add_f64 v[26:27], v[30:31], v[26:27]
	v_fma_f64 v[22:23], v[22:23], v[64:65], -v[24:25]
	s_waitcnt vmcnt(54) lgkmcnt(1)
	v_mul_f64 v[160:161], v[150:151], v[94:95]
	v_mul_f64 v[20:21], v[20:21], v[48:49]
	s_waitcnt vmcnt(52)
	v_fmac_f64_e32 v[160:161], v[152:153], v[96:97]
	v_add_f64 v[162:163], v[158:159], v[160:161]
	ds_read_b128 v[158:161], v1 offset:1392
	s_waitcnt lgkmcnt(1)
	v_mul_f64 v[164:165], v[154:155], v[90:91]
	v_fmac_f64_e32 v[164:165], v[156:157], v[92:93]
	v_add_f64 v[22:23], v[26:27], v[22:23]
	v_fma_f64 v[18:19], v[18:19], v[62:63], -v[20:21]
	v_mul_f64 v[12:13], v[12:13], v[56:57]
	v_add_f64 v[166:167], v[162:163], v[164:165]
	ds_read_b128 v[162:165], v1 offset:1408
	v_add_f64 v[18:19], v[22:23], v[18:19]
	v_fma_f64 v[10:11], v[10:11], v[58:59], -v[12:13]
	v_mul_f64 v[8:9], v[8:9], v[54:55]
	v_add_f64 v[10:11], v[18:19], v[10:11]
	v_fma_f64 v[6:7], v[6:7], v[60:61], -v[8:9]
	v_mul_f64 v[4:5], v[4:5], v[50:51]
	;; [unrolled: 3-line block ×3, first 2 shown]
	s_waitcnt vmcnt(46) lgkmcnt(1)
	v_mul_f64 v[168:169], v[158:159], v[102:103]
	v_add_f64 v[2:3], v[6:7], v[2:3]
	v_fma_f64 v[4:5], v[14:15], v[72:73], -v[4:5]
	s_waitcnt vmcnt(44)
	v_fmac_f64_e32 v[168:169], v[160:161], v[104:105]
	v_add_f64 v[2:3], v[2:3], v[4:5]
	v_mul_f64 v[4:5], v[124:125], v[66:67]
	v_add_f64 v[170:171], v[166:167], v[168:169]
	ds_read_b128 v[166:169], v1 offset:1424
	s_waitcnt lgkmcnt(1)
	v_mul_f64 v[172:173], v[162:163], v[98:99]
	v_fma_f64 v[4:5], v[122:123], v[68:69], -v[4:5]
	v_fmac_f64_e32 v[172:173], v[164:165], v[100:101]
	v_add_f64 v[2:3], v[2:3], v[4:5]
	v_mul_f64 v[4:5], v[136:137], v[78:79]
	v_add_f64 v[174:175], v[170:171], v[172:173]
	ds_read_b128 v[170:173], v1 offset:1440
	v_fma_f64 v[4:5], v[134:135], v[80:81], -v[4:5]
	v_add_f64 v[2:3], v[2:3], v[4:5]
	v_mul_f64 v[4:5], v[140:141], v[74:75]
	v_fma_f64 v[4:5], v[138:139], v[76:77], -v[4:5]
	s_waitcnt vmcnt(38) lgkmcnt(1)
	v_mul_f64 v[176:177], v[166:167], v[110:111]
	v_add_f64 v[2:3], v[2:3], v[4:5]
	v_mul_f64 v[4:5], v[144:145], v[86:87]
	s_waitcnt vmcnt(36)
	v_fmac_f64_e32 v[176:177], v[168:169], v[112:113]
	v_fma_f64 v[4:5], v[142:143], v[88:89], -v[4:5]
	v_add_f64 v[178:179], v[174:175], v[176:177]
	ds_read_b128 v[174:177], v1 offset:1456
	s_waitcnt lgkmcnt(1)
	v_mul_f64 v[180:181], v[170:171], v[106:107]
	v_add_f64 v[2:3], v[2:3], v[4:5]
	v_mul_f64 v[4:5], v[148:149], v[82:83]
	v_fmac_f64_e32 v[180:181], v[172:173], v[108:109]
	v_fma_f64 v[4:5], v[146:147], v[84:85], -v[4:5]
	v_add_f64 v[182:183], v[178:179], v[180:181]
	ds_read_b128 v[178:181], v1 offset:1472
	v_add_f64 v[2:3], v[2:3], v[4:5]
	v_mul_f64 v[4:5], v[152:153], v[94:95]
	v_fma_f64 v[4:5], v[150:151], v[96:97], -v[4:5]
	v_add_f64 v[2:3], v[2:3], v[4:5]
	v_mul_f64 v[4:5], v[156:157], v[90:91]
	s_waitcnt vmcnt(30) lgkmcnt(1)
	v_mul_f64 v[184:185], v[174:175], v[118:119]
	v_fma_f64 v[4:5], v[154:155], v[92:93], -v[4:5]
	s_waitcnt vmcnt(28)
	v_fmac_f64_e32 v[184:185], v[176:177], v[120:121]
	v_add_f64 v[2:3], v[2:3], v[4:5]
	v_mul_f64 v[4:5], v[160:161], v[102:103]
	v_add_f64 v[186:187], v[182:183], v[184:185]
	ds_read_b128 v[182:185], v1 offset:1488
	s_waitcnt lgkmcnt(1)
	v_mul_f64 v[188:189], v[178:179], v[114:115]
	v_fma_f64 v[4:5], v[158:159], v[104:105], -v[4:5]
	v_fmac_f64_e32 v[188:189], v[180:181], v[116:117]
	v_add_f64 v[2:3], v[2:3], v[4:5]
	v_mul_f64 v[4:5], v[164:165], v[98:99]
	v_add_f64 v[190:191], v[186:187], v[188:189]
	ds_read_b128 v[186:189], v1 offset:1504
	v_fma_f64 v[4:5], v[162:163], v[100:101], -v[4:5]
	v_add_f64 v[2:3], v[2:3], v[4:5]
	v_mul_f64 v[4:5], v[168:169], v[110:111]
	v_fma_f64 v[4:5], v[166:167], v[112:113], -v[4:5]
	s_waitcnt vmcnt(22) lgkmcnt(1)
	v_mul_f64 v[192:193], v[182:183], v[130:131]
	v_add_f64 v[2:3], v[2:3], v[4:5]
	v_mul_f64 v[4:5], v[172:173], v[106:107]
	s_waitcnt vmcnt(20)
	v_fmac_f64_e32 v[192:193], v[184:185], v[132:133]
	v_fma_f64 v[4:5], v[170:171], v[108:109], -v[4:5]
	v_add_f64 v[194:195], v[190:191], v[192:193]
	ds_read_b128 v[190:193], v1 offset:1520
	s_waitcnt lgkmcnt(1)
	v_mul_f64 v[196:197], v[186:187], v[126:127]
	v_add_f64 v[2:3], v[2:3], v[4:5]
	v_mul_f64 v[4:5], v[176:177], v[118:119]
	v_fmac_f64_e32 v[196:197], v[188:189], v[128:129]
	v_fma_f64 v[4:5], v[174:175], v[120:121], -v[4:5]
	v_add_f64 v[198:199], v[194:195], v[196:197]
	ds_read_b128 v[194:197], v1 offset:1536
	v_add_f64 v[2:3], v[2:3], v[4:5]
	v_mul_f64 v[4:5], v[180:181], v[114:115]
	v_fma_f64 v[4:5], v[178:179], v[116:117], -v[4:5]
	v_add_f64 v[2:3], v[2:3], v[4:5]
	v_mul_f64 v[4:5], v[184:185], v[130:131]
	s_waitcnt vmcnt(14) lgkmcnt(1)
	v_mul_f64 v[200:201], v[190:191], v[210:211]
	v_fma_f64 v[4:5], v[182:183], v[132:133], -v[4:5]
	s_waitcnt vmcnt(12)
	v_fmac_f64_e32 v[200:201], v[192:193], v[212:213]
	v_add_f64 v[2:3], v[2:3], v[4:5]
	v_mul_f64 v[4:5], v[188:189], v[126:127]
	v_add_f64 v[206:207], v[198:199], v[200:201]
	ds_read_b128 v[198:201], v1 offset:1552
	s_waitcnt lgkmcnt(1)
	v_mul_f64 v[208:209], v[194:195], v[202:203]
	v_fma_f64 v[4:5], v[186:187], v[128:129], -v[4:5]
	v_fmac_f64_e32 v[208:209], v[196:197], v[204:205]
	v_add_f64 v[2:3], v[2:3], v[4:5]
	v_mul_f64 v[4:5], v[192:193], v[210:211]
	v_add_f64 v[230:231], v[206:207], v[208:209]
	ds_read_b128 v[206:209], v1 offset:1568
	v_fma_f64 v[4:5], v[190:191], v[212:213], -v[4:5]
	v_add_f64 v[2:3], v[2:3], v[4:5]
	v_mul_f64 v[4:5], v[196:197], v[202:203]
	ds_read_b128 v[218:221], v1 offset:1584
	v_fma_f64 v[4:5], v[194:195], v[204:205], -v[4:5]
	v_add_f64 v[2:3], v[2:3], v[4:5]
	s_waitcnt vmcnt(6) lgkmcnt(2)
	v_mul_f64 v[4:5], v[200:201], v[222:223]
	v_mul_f64 v[232:233], v[198:199], v[222:223]
	s_waitcnt vmcnt(4)
	v_fma_f64 v[4:5], v[198:199], v[224:225], -v[4:5]
	v_fmac_f64_e32 v[232:233], v[200:201], v[224:225]
	v_add_f64 v[2:3], v[2:3], v[4:5]
	s_waitcnt lgkmcnt(1)
	v_mul_f64 v[4:5], v[208:209], v[214:215]
	v_add_f64 v[230:231], v[230:231], v[232:233]
	v_mul_f64 v[232:233], v[206:207], v[214:215]
	v_fma_f64 v[4:5], v[206:207], v[216:217], -v[4:5]
	v_fmac_f64_e32 v[232:233], v[208:209], v[216:217]
	v_add_f64 v[2:3], v[2:3], v[4:5]
	s_waitcnt vmcnt(2) lgkmcnt(0)
	v_mul_f64 v[4:5], v[220:221], v[226:227]
	v_add_f64 v[230:231], v[230:231], v[232:233]
	v_mul_f64 v[232:233], v[218:219], v[226:227]
	s_waitcnt vmcnt(0)
	v_fma_f64 v[4:5], v[218:219], v[228:229], -v[4:5]
	v_fmac_f64_e32 v[232:233], v[220:221], v[228:229]
	v_add_f64 v[2:3], v[2:3], v[4:5]
	v_add_f64 v[230:231], v[230:231], v[232:233]
	v_add_f64 v[2:3], v[46:47], -v[2:3]
	v_add_f64 v[4:5], v[44:45], -v[230:231]
	buffer_store_dword v3, off, s[0:3], 0 offset:356
	buffer_store_dword v2, off, s[0:3], 0 offset:352
	;; [unrolled: 1-line block ×4, first 2 shown]
	s_and_saveexec_b64 s[4:5], vcc
	s_cbranch_execz .LBB49_273
; %bb.272:
	v_accvgpr_read_b32 v0, a129
	buffer_load_dword v2, v0, s[0:3], 0 offen
	buffer_load_dword v3, v0, s[0:3], 0 offen offset:4
	buffer_load_dword v4, v0, s[0:3], 0 offen offset:8
	;; [unrolled: 1-line block ×3, first 2 shown]
	v_mov_b32_e32 v0, 0
	v_accvgpr_read_b32 v1, a150
	buffer_store_dword v0, off, s[0:3], 0 offset:336
	buffer_store_dword v0, off, s[0:3], 0 offset:340
	;; [unrolled: 1-line block ×4, first 2 shown]
	s_waitcnt vmcnt(4)
	ds_write_b128 v1, v[2:5]
.LBB49_273:
	s_or_b64 exec, exec, s[4:5]
	s_waitcnt lgkmcnt(0)
	; wave barrier
	s_waitcnt lgkmcnt(0)
	buffer_load_dword v38, off, s[0:3], 0 offset:352
	buffer_load_dword v39, off, s[0:3], 0 offset:356
	;; [unrolled: 1-line block ×48, first 2 shown]
	v_mov_b32_e32 v1, 0
	ds_read_b128 v[34:37], v1 offset:1136
	ds_read_b128 v[30:33], v1 offset:1152
	ds_read_b128 v[26:29], v1 offset:1168
	ds_read_b128 v[22:25], v1 offset:1184
	ds_read_b128 v[18:21], v1 offset:1200
	ds_read_b128 v[14:17], v1 offset:1216
	ds_read_b128 v[10:13], v1 offset:1232
	ds_read_b128 v[6:9], v1 offset:1248
	ds_read_b128 v[2:5], v1 offset:1264
	v_cmp_lt_u32_e32 vcc, 19, v254
	s_waitcnt vmcnt(44) lgkmcnt(8)
	v_mul_f64 v[86:87], v[34:35], v[42:43]
	v_fmac_f64_e32 v[86:87], v[36:37], v[38:39]
	v_add_f64 v[86:87], v[86:87], 0
	v_mul_f64 v[36:37], v[36:37], v[42:43]
	s_waitcnt vmcnt(40) lgkmcnt(7)
	v_mul_f64 v[88:89], v[30:31], v[44:45]
	v_fmac_f64_e32 v[88:89], v[32:33], v[40:41]
	s_waitcnt vmcnt(38) lgkmcnt(6)
	v_mul_f64 v[90:91], v[26:27], v[46:47]
	v_add_f64 v[86:87], v[86:87], v[88:89]
	s_waitcnt vmcnt(36) lgkmcnt(4)
	v_mul_f64 v[94:95], v[18:19], v[48:49]
	v_fma_f64 v[34:35], v[34:35], v[38:39], -v[36:37]
	s_waitcnt vmcnt(34)
	v_fmac_f64_e32 v[94:95], v[20:21], v[50:51]
	v_mul_f64 v[32:33], v[32:33], v[44:45]
	s_waitcnt vmcnt(32)
	v_mul_f64 v[92:93], v[22:23], v[52:53]
	v_add_f64 v[34:35], v[34:35], 0
	s_waitcnt vmcnt(30) lgkmcnt(2)
	v_mul_f64 v[98:99], v[10:11], v[54:55]
	v_fma_f64 v[30:31], v[30:31], v[40:41], -v[32:33]
	s_waitcnt vmcnt(28)
	v_fmac_f64_e32 v[98:99], v[12:13], v[56:57]
	v_add_f64 v[30:31], v[34:35], v[30:31]
	s_waitcnt vmcnt(26)
	v_mul_f64 v[96:97], v[14:15], v[58:59]
	v_mul_f64 v[20:21], v[20:21], v[48:49]
	v_fma_f64 v[18:19], v[18:19], v[50:51], -v[20:21]
	v_mul_f64 v[12:13], v[12:13], v[54:55]
	s_waitcnt vmcnt(22) lgkmcnt(1)
	v_mul_f64 v[110:111], v[6:7], v[68:69]
	v_fma_f64 v[10:11], v[10:11], v[56:57], -v[12:13]
	s_waitcnt vmcnt(20)
	v_fmac_f64_e32 v[90:91], v[28:29], v[76:77]
	v_add_f64 v[86:87], v[86:87], v[90:91]
	s_waitcnt vmcnt(18)
	v_fmac_f64_e32 v[92:93], v[24:25], v[74:75]
	v_add_f64 v[86:87], v[86:87], v[92:93]
	;; [unrolled: 3-line block ×3, first 2 shown]
	v_add_f64 v[86:87], v[86:87], v[96:97]
	v_add_f64 v[112:113], v[86:87], v[98:99]
	buffer_load_dword v87, off, s[0:3], 0 offset:556
	buffer_load_dword v86, off, s[0:3], 0 offset:552
	;; [unrolled: 1-line block ×72, first 2 shown]
	s_waitcnt vmcnt(62)
	v_fmac_f64_e32 v[110:111], v[8:9], v[70:71]
	v_add_f64 v[142:143], v[112:113], v[110:111]
	ds_read_b128 v[110:113], v1 offset:1280
	s_waitcnt lgkmcnt(1)
	v_mul_f64 v[144:145], v[2:3], v[64:65]
	v_fmac_f64_e32 v[144:145], v[4:5], v[66:67]
	v_add_f64 v[146:147], v[142:143], v[144:145]
	ds_read_b128 v[142:145], v1 offset:1296
	s_waitcnt lgkmcnt(1)
	v_mul_f64 v[148:149], v[110:111], v[82:83]
	;; [unrolled: 5-line block ×5, first 2 shown]
	v_fmac_f64_e32 v[160:161], v[152:153], v[88:89]
	v_add_f64 v[162:163], v[158:159], v[160:161]
	ds_read_b128 v[158:161], v1 offset:1360
	s_waitcnt vmcnt(58) lgkmcnt(1)
	v_mul_f64 v[164:165], v[154:155], v[98:99]
	s_waitcnt vmcnt(56)
	v_fmac_f64_e32 v[164:165], v[156:157], v[100:101]
	v_add_f64 v[166:167], v[162:163], v[164:165]
	ds_read_b128 v[162:165], v1 offset:1376
	s_waitcnt lgkmcnt(1)
	v_mul_f64 v[168:169], v[158:159], v[94:95]
	v_fmac_f64_e32 v[168:169], v[160:161], v[96:97]
	v_mul_f64 v[28:29], v[28:29], v[46:47]
	v_add_f64 v[170:171], v[166:167], v[168:169]
	ds_read_b128 v[166:169], v1 offset:1392
	s_waitcnt vmcnt(50) lgkmcnt(1)
	v_mul_f64 v[172:173], v[162:163], v[106:107]
	v_fma_f64 v[26:27], v[26:27], v[76:77], -v[28:29]
	v_mul_f64 v[24:25], v[24:25], v[52:53]
	s_waitcnt vmcnt(48)
	v_fmac_f64_e32 v[172:173], v[164:165], v[108:109]
	v_add_f64 v[26:27], v[30:31], v[26:27]
	v_fma_f64 v[22:23], v[22:23], v[74:75], -v[24:25]
	v_add_f64 v[174:175], v[170:171], v[172:173]
	ds_read_b128 v[170:173], v1 offset:1408
	v_add_f64 v[22:23], v[26:27], v[22:23]
	v_mul_f64 v[16:17], v[16:17], v[58:59]
	v_add_f64 v[18:19], v[22:23], v[18:19]
	v_fma_f64 v[14:15], v[14:15], v[72:73], -v[16:17]
	v_add_f64 v[14:15], v[18:19], v[14:15]
	v_mul_f64 v[8:9], v[8:9], v[68:69]
	s_waitcnt lgkmcnt(1)
	v_mul_f64 v[176:177], v[166:167], v[102:103]
	v_add_f64 v[10:11], v[14:15], v[10:11]
	v_fma_f64 v[6:7], v[6:7], v[70:71], -v[8:9]
	v_mul_f64 v[4:5], v[4:5], v[64:65]
	v_fmac_f64_e32 v[176:177], v[168:169], v[104:105]
	v_add_f64 v[6:7], v[10:11], v[6:7]
	v_fma_f64 v[2:3], v[2:3], v[66:67], -v[4:5]
	v_mul_f64 v[4:5], v[112:113], v[82:83]
	v_add_f64 v[178:179], v[174:175], v[176:177]
	ds_read_b128 v[174:177], v1 offset:1424
	s_waitcnt vmcnt(42) lgkmcnt(1)
	v_mul_f64 v[180:181], v[170:171], v[118:119]
	v_add_f64 v[2:3], v[6:7], v[2:3]
	v_fma_f64 v[4:5], v[110:111], v[84:85], -v[4:5]
	s_waitcnt vmcnt(40)
	v_fmac_f64_e32 v[180:181], v[172:173], v[120:121]
	v_add_f64 v[2:3], v[2:3], v[4:5]
	v_mul_f64 v[4:5], v[144:145], v[78:79]
	v_add_f64 v[182:183], v[178:179], v[180:181]
	ds_read_b128 v[178:181], v1 offset:1440
	v_fma_f64 v[4:5], v[142:143], v[80:81], -v[4:5]
	v_add_f64 v[2:3], v[2:3], v[4:5]
	v_mul_f64 v[4:5], v[148:149], v[90:91]
	v_fma_f64 v[4:5], v[146:147], v[92:93], -v[4:5]
	s_waitcnt lgkmcnt(1)
	v_mul_f64 v[184:185], v[174:175], v[114:115]
	v_add_f64 v[2:3], v[2:3], v[4:5]
	v_mul_f64 v[4:5], v[152:153], v[86:87]
	v_fmac_f64_e32 v[184:185], v[176:177], v[116:117]
	v_fma_f64 v[4:5], v[150:151], v[88:89], -v[4:5]
	v_add_f64 v[186:187], v[182:183], v[184:185]
	ds_read_b128 v[182:185], v1 offset:1456
	s_waitcnt vmcnt(34) lgkmcnt(1)
	v_mul_f64 v[188:189], v[178:179], v[126:127]
	v_add_f64 v[2:3], v[2:3], v[4:5]
	v_mul_f64 v[4:5], v[156:157], v[98:99]
	s_waitcnt vmcnt(32)
	v_fmac_f64_e32 v[188:189], v[180:181], v[128:129]
	v_fma_f64 v[4:5], v[154:155], v[100:101], -v[4:5]
	v_add_f64 v[190:191], v[186:187], v[188:189]
	ds_read_b128 v[186:189], v1 offset:1472
	v_add_f64 v[2:3], v[2:3], v[4:5]
	v_mul_f64 v[4:5], v[160:161], v[94:95]
	v_fma_f64 v[4:5], v[158:159], v[96:97], -v[4:5]
	v_add_f64 v[2:3], v[2:3], v[4:5]
	v_mul_f64 v[4:5], v[164:165], v[106:107]
	s_waitcnt lgkmcnt(1)
	v_mul_f64 v[192:193], v[182:183], v[122:123]
	v_fma_f64 v[4:5], v[162:163], v[108:109], -v[4:5]
	v_fmac_f64_e32 v[192:193], v[184:185], v[124:125]
	v_add_f64 v[2:3], v[2:3], v[4:5]
	v_mul_f64 v[4:5], v[168:169], v[102:103]
	v_add_f64 v[194:195], v[190:191], v[192:193]
	ds_read_b128 v[190:193], v1 offset:1488
	s_waitcnt vmcnt(26) lgkmcnt(1)
	v_mul_f64 v[196:197], v[186:187], v[134:135]
	v_fma_f64 v[4:5], v[166:167], v[104:105], -v[4:5]
	s_waitcnt vmcnt(24)
	v_fmac_f64_e32 v[196:197], v[188:189], v[136:137]
	v_add_f64 v[2:3], v[2:3], v[4:5]
	v_mul_f64 v[4:5], v[172:173], v[118:119]
	v_add_f64 v[198:199], v[194:195], v[196:197]
	ds_read_b128 v[194:197], v1 offset:1504
	v_fma_f64 v[4:5], v[170:171], v[120:121], -v[4:5]
	v_add_f64 v[2:3], v[2:3], v[4:5]
	v_mul_f64 v[4:5], v[176:177], v[114:115]
	v_fma_f64 v[4:5], v[174:175], v[116:117], -v[4:5]
	s_waitcnt lgkmcnt(1)
	v_mul_f64 v[200:201], v[190:191], v[130:131]
	v_add_f64 v[2:3], v[2:3], v[4:5]
	v_mul_f64 v[4:5], v[180:181], v[126:127]
	v_fmac_f64_e32 v[200:201], v[192:193], v[132:133]
	v_fma_f64 v[4:5], v[178:179], v[128:129], -v[4:5]
	v_add_f64 v[206:207], v[198:199], v[200:201]
	ds_read_b128 v[198:201], v1 offset:1520
	s_waitcnt vmcnt(18) lgkmcnt(1)
	v_mul_f64 v[208:209], v[194:195], v[202:203]
	v_add_f64 v[2:3], v[2:3], v[4:5]
	v_mul_f64 v[4:5], v[184:185], v[122:123]
	s_waitcnt vmcnt(16)
	v_fmac_f64_e32 v[208:209], v[196:197], v[204:205]
	v_fma_f64 v[4:5], v[182:183], v[124:125], -v[4:5]
	v_add_f64 v[218:219], v[206:207], v[208:209]
	ds_read_b128 v[206:209], v1 offset:1536
	v_add_f64 v[2:3], v[2:3], v[4:5]
	v_mul_f64 v[4:5], v[188:189], v[134:135]
	v_fma_f64 v[4:5], v[186:187], v[136:137], -v[4:5]
	v_add_f64 v[2:3], v[2:3], v[4:5]
	v_mul_f64 v[4:5], v[192:193], v[130:131]
	s_waitcnt lgkmcnt(1)
	v_mul_f64 v[220:221], v[198:199], v[138:139]
	v_fma_f64 v[4:5], v[190:191], v[132:133], -v[4:5]
	v_fmac_f64_e32 v[220:221], v[200:201], v[140:141]
	v_add_f64 v[2:3], v[2:3], v[4:5]
	v_mul_f64 v[4:5], v[196:197], v[202:203]
	v_add_f64 v[222:223], v[218:219], v[220:221]
	ds_read_b128 v[218:221], v1 offset:1552
	s_waitcnt vmcnt(10) lgkmcnt(1)
	v_mul_f64 v[224:225], v[206:207], v[214:215]
	v_fma_f64 v[4:5], v[194:195], v[204:205], -v[4:5]
	s_waitcnt vmcnt(8)
	v_fmac_f64_e32 v[224:225], v[208:209], v[216:217]
	v_add_f64 v[2:3], v[2:3], v[4:5]
	v_mul_f64 v[4:5], v[200:201], v[138:139]
	v_add_f64 v[238:239], v[222:223], v[224:225]
	ds_read_b128 v[222:225], v1 offset:1568
	ds_read_b128 v[226:229], v1 offset:1584
	v_fma_f64 v[4:5], v[198:199], v[140:141], -v[4:5]
	v_add_f64 v[2:3], v[2:3], v[4:5]
	v_mul_f64 v[4:5], v[208:209], v[214:215]
	v_fma_f64 v[4:5], v[206:207], v[216:217], -v[4:5]
	v_add_f64 v[2:3], v[2:3], v[4:5]
	s_waitcnt lgkmcnt(2)
	v_mul_f64 v[4:5], v[220:221], v[210:211]
	v_mul_f64 v[240:241], v[218:219], v[210:211]
	v_fma_f64 v[4:5], v[218:219], v[212:213], -v[4:5]
	v_fmac_f64_e32 v[240:241], v[220:221], v[212:213]
	v_add_f64 v[2:3], v[2:3], v[4:5]
	s_waitcnt vmcnt(2) lgkmcnt(1)
	v_mul_f64 v[4:5], v[224:225], v[234:235]
	v_add_f64 v[238:239], v[238:239], v[240:241]
	v_mul_f64 v[240:241], v[222:223], v[234:235]
	s_waitcnt vmcnt(0)
	v_fma_f64 v[4:5], v[222:223], v[236:237], -v[4:5]
	v_fmac_f64_e32 v[240:241], v[224:225], v[236:237]
	v_add_f64 v[2:3], v[2:3], v[4:5]
	s_waitcnt lgkmcnt(0)
	v_mul_f64 v[4:5], v[228:229], v[230:231]
	v_add_f64 v[238:239], v[238:239], v[240:241]
	v_mul_f64 v[240:241], v[226:227], v[230:231]
	v_fma_f64 v[4:5], v[226:227], v[232:233], -v[4:5]
	v_fmac_f64_e32 v[240:241], v[228:229], v[232:233]
	v_add_f64 v[2:3], v[2:3], v[4:5]
	v_add_f64 v[238:239], v[238:239], v[240:241]
	v_add_f64 v[2:3], v[62:63], -v[2:3]
	v_add_f64 v[4:5], v[60:61], -v[238:239]
	buffer_store_dword v3, off, s[0:3], 0 offset:340
	buffer_store_dword v2, off, s[0:3], 0 offset:336
	;; [unrolled: 1-line block ×4, first 2 shown]
	s_and_saveexec_b64 s[4:5], vcc
	s_cbranch_execz .LBB49_275
; %bb.274:
	v_accvgpr_read_b32 v0, a130
	buffer_load_dword v2, v0, s[0:3], 0 offen
	buffer_load_dword v3, v0, s[0:3], 0 offen offset:4
	buffer_load_dword v4, v0, s[0:3], 0 offen offset:8
	buffer_load_dword v5, v0, s[0:3], 0 offen offset:12
	v_accvgpr_read_b32 v0, a150
	buffer_store_dword v1, off, s[0:3], 0 offset:320
	buffer_store_dword v1, off, s[0:3], 0 offset:324
	;; [unrolled: 1-line block ×4, first 2 shown]
	s_waitcnt vmcnt(4)
	ds_write_b128 v0, v[2:5]
.LBB49_275:
	s_or_b64 exec, exec, s[4:5]
	s_waitcnt lgkmcnt(0)
	; wave barrier
	s_waitcnt lgkmcnt(0)
	buffer_load_dword v48, off, s[0:3], 0 offset:336
	buffer_load_dword v49, off, s[0:3], 0 offset:340
	;; [unrolled: 1-line block ×40, first 2 shown]
	ds_read_b128 v[38:41], v1 offset:1120
	ds_read_b128 v[34:37], v1 offset:1136
	;; [unrolled: 1-line block ×10, first 2 shown]
	buffer_load_dword v83, off, s[0:3], 0 offset:508
	buffer_load_dword v82, off, s[0:3], 0 offset:504
	;; [unrolled: 1-line block ×8, first 2 shown]
	v_cmp_lt_u32_e32 vcc, 18, v254
	s_waitcnt vmcnt(44) lgkmcnt(9)
	v_mul_f64 v[90:91], v[38:39], v[50:51]
	v_fmac_f64_e32 v[90:91], v[40:41], v[48:49]
	v_add_f64 v[90:91], v[90:91], 0
	v_mul_f64 v[40:41], v[40:41], v[50:51]
	s_waitcnt vmcnt(40) lgkmcnt(8)
	v_mul_f64 v[92:93], v[34:35], v[44:45]
	v_fmac_f64_e32 v[92:93], v[36:37], v[42:43]
	s_waitcnt vmcnt(38) lgkmcnt(7)
	v_mul_f64 v[94:95], v[30:31], v[46:47]
	v_add_f64 v[90:91], v[90:91], v[92:93]
	s_waitcnt vmcnt(36) lgkmcnt(5)
	v_mul_f64 v[98:99], v[22:23], v[52:53]
	v_mul_f64 v[36:37], v[36:37], v[44:45]
	s_waitcnt vmcnt(34)
	v_fmac_f64_e32 v[98:99], v[24:25], v[54:55]
	v_fma_f64 v[34:35], v[34:35], v[42:43], -v[36:37]
	s_waitcnt vmcnt(32)
	v_mul_f64 v[96:97], v[26:27], v[56:57]
	v_mul_f64 v[24:25], v[24:25], v[52:53]
	s_waitcnt vmcnt(30) lgkmcnt(4)
	v_mul_f64 v[100:101], v[18:19], v[62:63]
	v_fma_f64 v[22:23], v[22:23], v[54:55], -v[24:25]
	s_waitcnt vmcnt(28) lgkmcnt(1)
	v_mul_f64 v[122:123], v[2:3], v[64:65]
	s_waitcnt vmcnt(25)
	v_mul_f64 v[104:105], v[6:7], v[68:69]
	s_waitcnt vmcnt(23)
	;; [unrolled: 2-line block ×3, first 2 shown]
	v_fmac_f64_e32 v[102:103], v[12:13], v[72:73]
	v_mul_f64 v[12:13], v[12:13], v[70:71]
	s_waitcnt vmcnt(19)
	v_fmac_f64_e32 v[94:95], v[32:33], v[80:81]
	v_add_f64 v[90:91], v[90:91], v[94:95]
	s_waitcnt vmcnt(17)
	v_fmac_f64_e32 v[96:97], v[28:29], v[78:79]
	v_add_f64 v[90:91], v[90:91], v[96:97]
	s_waitcnt vmcnt(15)
	v_fmac_f64_e32 v[100:101], v[20:21], v[76:77]
	v_add_f64 v[90:91], v[90:91], v[98:99]
	v_add_f64 v[90:91], v[90:91], v[100:101]
	s_waitcnt vmcnt(13)
	v_fmac_f64_e32 v[104:105], v[8:9], v[74:75]
	v_add_f64 v[90:91], v[90:91], v[102:103]
	v_add_f64 v[124:125], v[90:91], v[104:105]
	buffer_load_dword v91, off, s[0:3], 0 offset:540
	buffer_load_dword v90, off, s[0:3], 0 offset:536
	;; [unrolled: 1-line block ×72, first 2 shown]
	s_waitcnt vmcnt(62)
	v_fmac_f64_e32 v[122:123], v[4:5], v[66:67]
	v_add_f64 v[150:151], v[124:125], v[122:123]
	ds_read_b128 v[122:125], v1 offset:1280
	s_waitcnt lgkmcnt(1)
	v_mul_f64 v[152:153], v[14:15], v[86:87]
	v_fmac_f64_e32 v[152:153], v[16:17], v[88:89]
	buffer_load_dword v235, off, s[0:3], 0 offset:812
	buffer_load_dword v234, off, s[0:3], 0 offset:808
	buffer_load_dword v237, off, s[0:3], 0 offset:804
	buffer_load_dword v236, off, s[0:3], 0 offset:800
	v_add_f64 v[154:155], v[150:151], v[152:153]
	s_waitcnt lgkmcnt(0)
	v_mul_f64 v[156:157], v[122:123], v[82:83]
	ds_read_b128 v[150:153], v1 offset:1296
	v_fmac_f64_e32 v[156:157], v[124:125], v[84:85]
	v_add_f64 v[158:159], v[154:155], v[156:157]
	ds_read_b128 v[154:157], v1 offset:1312
	v_mul_f64 v[32:33], v[32:33], v[46:47]
	s_waitcnt lgkmcnt(1)
	v_mul_f64 v[160:161], v[150:151], v[94:95]
	v_fma_f64 v[30:31], v[30:31], v[80:81], -v[32:33]
	v_fmac_f64_e32 v[160:161], v[152:153], v[96:97]
	s_waitcnt lgkmcnt(0)
	v_mul_f64 v[164:165], v[154:155], v[90:91]
	v_add_f64 v[162:163], v[158:159], v[160:161]
	ds_read_b128 v[158:161], v1 offset:1328
	v_fmac_f64_e32 v[164:165], v[156:157], v[92:93]
	v_add_f64 v[166:167], v[162:163], v[164:165]
	ds_read_b128 v[162:165], v1 offset:1344
	v_mul_f64 v[28:29], v[28:29], v[56:57]
	s_waitcnt vmcnt(62) lgkmcnt(1)
	v_mul_f64 v[168:169], v[158:159], v[102:103]
	s_waitcnt vmcnt(60)
	v_fmac_f64_e32 v[168:169], v[160:161], v[104:105]
	v_add_f64 v[170:171], v[166:167], v[168:169]
	s_waitcnt lgkmcnt(0)
	v_mul_f64 v[172:173], v[162:163], v[98:99]
	ds_read_b128 v[166:169], v1 offset:1360
	v_fmac_f64_e32 v[172:173], v[164:165], v[100:101]
	v_add_f64 v[174:175], v[170:171], v[172:173]
	ds_read_b128 v[170:173], v1 offset:1376
	v_fma_f64 v[26:27], v[26:27], v[78:79], -v[28:29]
	s_waitcnt vmcnt(54) lgkmcnt(1)
	v_mul_f64 v[176:177], v[166:167], v[110:111]
	s_waitcnt vmcnt(52)
	v_fmac_f64_e32 v[176:177], v[168:169], v[112:113]
	v_add_f64 v[178:179], v[174:175], v[176:177]
	s_waitcnt lgkmcnt(0)
	v_mul_f64 v[180:181], v[170:171], v[106:107]
	ds_read_b128 v[174:177], v1 offset:1392
	v_fmac_f64_e32 v[180:181], v[172:173], v[108:109]
	v_add_f64 v[182:183], v[178:179], v[180:181]
	ds_read_b128 v[178:181], v1 offset:1408
	v_mul_f64 v[20:21], v[20:21], v[62:63]
	s_waitcnt vmcnt(46) lgkmcnt(1)
	v_mul_f64 v[184:185], v[174:175], v[118:119]
	s_waitcnt vmcnt(44)
	v_fmac_f64_e32 v[184:185], v[176:177], v[120:121]
	v_add_f64 v[186:187], v[182:183], v[184:185]
	s_waitcnt lgkmcnt(0)
	v_mul_f64 v[188:189], v[178:179], v[114:115]
	ds_read_b128 v[182:185], v1 offset:1424
	v_fmac_f64_e32 v[188:189], v[180:181], v[116:117]
	v_add_f64 v[190:191], v[186:187], v[188:189]
	ds_read_b128 v[186:189], v1 offset:1440
	v_fma_f64 v[18:19], v[18:19], v[76:77], -v[20:21]
	s_waitcnt vmcnt(38) lgkmcnt(1)
	v_mul_f64 v[192:193], v[182:183], v[130:131]
	s_waitcnt vmcnt(36)
	v_fmac_f64_e32 v[192:193], v[184:185], v[132:133]
	v_add_f64 v[194:195], v[190:191], v[192:193]
	s_waitcnt lgkmcnt(0)
	v_mul_f64 v[196:197], v[186:187], v[126:127]
	ds_read_b128 v[190:193], v1 offset:1456
	v_fmac_f64_e32 v[196:197], v[188:189], v[128:129]
	v_add_f64 v[198:199], v[194:195], v[196:197]
	ds_read_b128 v[194:197], v1 offset:1472
	v_fma_f64 v[10:11], v[10:11], v[72:73], -v[12:13]
	s_waitcnt vmcnt(30) lgkmcnt(1)
	v_mul_f64 v[200:201], v[190:191], v[138:139]
	s_waitcnt vmcnt(28)
	v_fmac_f64_e32 v[200:201], v[192:193], v[140:141]
	v_add_f64 v[206:207], v[198:199], v[200:201]
	s_waitcnt lgkmcnt(0)
	v_mul_f64 v[208:209], v[194:195], v[134:135]
	ds_read_b128 v[198:201], v1 offset:1488
	v_fmac_f64_e32 v[208:209], v[196:197], v[136:137]
	v_add_f64 v[218:219], v[206:207], v[208:209]
	ds_read_b128 v[206:209], v1 offset:1504
	v_mul_f64 v[8:9], v[8:9], v[68:69]
	s_waitcnt vmcnt(22) lgkmcnt(1)
	v_mul_f64 v[220:221], v[198:199], v[146:147]
	s_waitcnt vmcnt(20)
	v_fmac_f64_e32 v[220:221], v[200:201], v[148:149]
	v_add_f64 v[222:223], v[218:219], v[220:221]
	s_waitcnt lgkmcnt(0)
	v_mul_f64 v[224:225], v[206:207], v[142:143]
	ds_read_b128 v[218:221], v1 offset:1520
	v_fmac_f64_e32 v[224:225], v[208:209], v[144:145]
	v_add_f64 v[226:227], v[222:223], v[224:225]
	ds_read_b128 v[222:225], v1 offset:1536
	v_fma_f64 v[6:7], v[6:7], v[74:75], -v[8:9]
	s_waitcnt vmcnt(14) lgkmcnt(1)
	v_mul_f64 v[228:229], v[218:219], v[210:211]
	s_waitcnt vmcnt(12)
	v_fmac_f64_e32 v[228:229], v[220:221], v[212:213]
	v_add_f64 v[238:239], v[226:227], v[228:229]
	s_waitcnt lgkmcnt(0)
	v_mul_f64 v[240:241], v[222:223], v[202:203]
	v_fmac_f64_e32 v[240:241], v[224:225], v[204:205]
	v_add_f64 v[238:239], v[238:239], v[240:241]
	v_fma_f64 v[240:241], v[38:39], v[48:49], -v[40:41]
	v_add_f64 v[240:241], v[240:241], 0
	v_add_f64 v[34:35], v[240:241], v[34:35]
	;; [unrolled: 1-line block ×7, first 2 shown]
	v_mul_f64 v[4:5], v[4:5], v[64:65]
	v_add_f64 v[6:7], v[10:11], v[6:7]
	v_fma_f64 v[2:3], v[2:3], v[66:67], -v[4:5]
	v_mul_f64 v[4:5], v[16:17], v[86:87]
	v_add_f64 v[2:3], v[6:7], v[2:3]
	v_fma_f64 v[4:5], v[14:15], v[88:89], -v[4:5]
	v_add_f64 v[2:3], v[2:3], v[4:5]
	v_mul_f64 v[4:5], v[124:125], v[82:83]
	v_fma_f64 v[4:5], v[122:123], v[84:85], -v[4:5]
	v_add_f64 v[2:3], v[2:3], v[4:5]
	v_mul_f64 v[4:5], v[152:153], v[94:95]
	;; [unrolled: 3-line block ×15, first 2 shown]
	ds_read_b128 v[226:229], v1 offset:1552
	ds_read_b128 v[38:41], v1 offset:1568
	v_fma_f64 v[4:5], v[206:207], v[144:145], -v[4:5]
	v_add_f64 v[2:3], v[2:3], v[4:5]
	v_mul_f64 v[4:5], v[220:221], v[210:211]
	v_fma_f64 v[4:5], v[218:219], v[212:213], -v[4:5]
	v_add_f64 v[2:3], v[2:3], v[4:5]
	v_mul_f64 v[4:5], v[224:225], v[202:203]
	ds_read_b128 v[48:51], v1 offset:1584
	v_fma_f64 v[4:5], v[222:223], v[204:205], -v[4:5]
	v_add_f64 v[2:3], v[2:3], v[4:5]
	s_waitcnt vmcnt(6) lgkmcnt(2)
	v_mul_f64 v[4:5], v[228:229], v[230:231]
	v_mul_f64 v[242:243], v[226:227], v[230:231]
	s_waitcnt vmcnt(4)
	v_fma_f64 v[4:5], v[226:227], v[232:233], -v[4:5]
	v_fmac_f64_e32 v[242:243], v[228:229], v[232:233]
	v_add_f64 v[2:3], v[2:3], v[4:5]
	s_waitcnt lgkmcnt(1)
	v_mul_f64 v[4:5], v[40:41], v[214:215]
	v_add_f64 v[238:239], v[238:239], v[242:243]
	v_mul_f64 v[242:243], v[38:39], v[214:215]
	v_fma_f64 v[4:5], v[38:39], v[216:217], -v[4:5]
	v_fmac_f64_e32 v[242:243], v[40:41], v[216:217]
	v_add_f64 v[2:3], v[2:3], v[4:5]
	s_waitcnt vmcnt(2) lgkmcnt(0)
	v_mul_f64 v[4:5], v[50:51], v[234:235]
	v_add_f64 v[238:239], v[238:239], v[242:243]
	v_mul_f64 v[242:243], v[48:49], v[234:235]
	s_waitcnt vmcnt(0)
	v_fma_f64 v[4:5], v[48:49], v[236:237], -v[4:5]
	v_fmac_f64_e32 v[242:243], v[50:51], v[236:237]
	v_add_f64 v[2:3], v[2:3], v[4:5]
	v_add_f64 v[238:239], v[238:239], v[242:243]
	v_add_f64 v[2:3], v[60:61], -v[2:3]
	v_add_f64 v[4:5], v[58:59], -v[238:239]
	buffer_store_dword v3, off, s[0:3], 0 offset:324
	buffer_store_dword v2, off, s[0:3], 0 offset:320
	;; [unrolled: 1-line block ×4, first 2 shown]
	s_and_saveexec_b64 s[4:5], vcc
	s_cbranch_execz .LBB49_277
; %bb.276:
	v_accvgpr_read_b32 v0, a131
	buffer_load_dword v2, v0, s[0:3], 0 offen
	buffer_load_dword v3, v0, s[0:3], 0 offen offset:4
	buffer_load_dword v4, v0, s[0:3], 0 offen offset:8
	;; [unrolled: 1-line block ×3, first 2 shown]
	v_mov_b32_e32 v0, 0
	v_accvgpr_read_b32 v1, a150
	buffer_store_dword v0, off, s[0:3], 0 offset:304
	buffer_store_dword v0, off, s[0:3], 0 offset:308
	;; [unrolled: 1-line block ×4, first 2 shown]
	s_waitcnt vmcnt(4)
	ds_write_b128 v1, v[2:5]
.LBB49_277:
	s_or_b64 exec, exec, s[4:5]
	s_waitcnt lgkmcnt(0)
	; wave barrier
	s_waitcnt lgkmcnt(0)
	buffer_load_dword v106, off, s[0:3], 0 offset:320
	buffer_load_dword v107, off, s[0:3], 0 offset:324
	;; [unrolled: 1-line block ×49, first 2 shown]
	v_mov_b32_e32 v1, 0
	ds_read_b128 v[110:113], v1 offset:1104
	ds_read_b128 v[250:253], v1 offset:1120
	;; [unrolled: 1-line block ×10, first 2 shown]
	buffer_load_dword v158, off, s[0:3], 0 offset:512
	buffer_load_dword v173, off, s[0:3], 0 offset:508
	;; [unrolled: 1-line block ×69, first 2 shown]
	v_accvgpr_write_b32 a149, v254
	v_cmp_lt_u32_e32 vcc, 17, v254
	s_waitcnt vmcnt(62) lgkmcnt(9)
	v_mul_f64 v[34:35], v[110:111], v[108:109]
	v_fmac_f64_e32 v[34:35], v[112:113], v[106:107]
	v_add_f64 v[34:35], v[34:35], 0
	v_mul_f64 v[108:109], v[112:113], v[108:109]
	s_waitcnt lgkmcnt(8)
	v_mul_f64 v[36:37], v[250:251], v[116:117]
	v_fmac_f64_e32 v[36:37], v[252:253], v[114:115]
	s_waitcnt lgkmcnt(7)
	v_mul_f64 v[38:39], v[30:31], v[118:119]
	v_add_f64 v[34:35], v[34:35], v[36:37]
	s_waitcnt lgkmcnt(5)
	v_mul_f64 v[42:43], v[22:23], v[120:121]
	v_mul_f64 v[116:117], v[252:253], v[116:117]
	v_fmac_f64_e32 v[42:43], v[24:25], v[122:123]
	v_fma_f64 v[248:249], v[110:111], v[106:107], -v[108:109]
	v_mul_f64 v[40:41], v[26:27], v[124:125]
	v_fma_f64 v[250:251], v[250:251], v[114:115], -v[116:117]
	s_waitcnt lgkmcnt(3)
	v_mul_f64 v[46:47], v[14:15], v[126:127]
	v_mul_f64 v[24:25], v[24:25], v[120:121]
	v_fmac_f64_e32 v[46:47], v[16:17], v[128:129]
	v_fma_f64 v[22:23], v[22:23], v[122:123], -v[24:25]
	v_mul_f64 v[44:45], v[18:19], v[130:131]
	v_mul_f64 v[16:17], v[16:17], v[126:127]
	s_waitcnt lgkmcnt(1)
	v_mul_f64 v[50:51], v[6:7], v[132:133]
	v_fma_f64 v[14:15], v[14:15], v[128:129], -v[16:17]
	v_fmac_f64_e32 v[50:51], v[8:9], v[134:135]
	v_mul_f64 v[8:9], v[8:9], v[132:133]
	v_mul_f64 v[48:49], v[10:11], v[140:141]
	v_fma_f64 v[6:7], v[6:7], v[134:135], -v[8:9]
	s_waitcnt lgkmcnt(0)
	v_mul_f64 v[52:53], v[2:3], v[136:137]
	v_fmac_f64_e32 v[38:39], v[32:33], v[152:153]
	v_add_f64 v[34:35], v[34:35], v[38:39]
	v_fmac_f64_e32 v[40:41], v[28:29], v[150:151]
	v_add_f64 v[34:35], v[34:35], v[40:41]
	;; [unrolled: 2-line block ×3, first 2 shown]
	v_add_f64 v[34:35], v[34:35], v[44:45]
	v_fmac_f64_e32 v[48:49], v[12:13], v[146:147]
	v_add_f64 v[34:35], v[34:35], v[46:47]
	v_add_f64 v[34:35], v[34:35], v[48:49]
	v_fmac_f64_e32 v[52:53], v[4:5], v[144:145]
	v_add_f64 v[34:35], v[34:35], v[50:51]
	v_add_f64 v[42:43], v[34:35], v[52:53]
	ds_read_b128 v[38:41], v1 offset:1264
	ds_read_b128 v[34:37], v1 offset:1280
	buffer_load_dword v231, off, s[0:3], 0 offset:812
	buffer_load_dword v230, off, s[0:3], 0 offset:808
	;; [unrolled: 1-line block ×8, first 2 shown]
	ds_read_b128 v[110:113], v1 offset:1552
	ds_read_b128 v[106:109], v1 offset:1568
	s_waitcnt lgkmcnt(3)
	v_mul_f64 v[44:45], v[38:39], v[142:143]
	v_fmac_f64_e32 v[44:45], v[40:41], v[154:155]
	v_add_f64 v[46:47], v[42:43], v[44:45]
	ds_read_b128 v[42:45], v1 offset:1296
	s_waitcnt lgkmcnt(3)
	v_mul_f64 v[48:49], v[34:35], v[172:173]
	v_fmac_f64_e32 v[48:49], v[36:37], v[176:177]
	v_add_f64 v[50:51], v[46:47], v[48:49]
	;; [unrolled: 5-line block ×3, first 2 shown]
	ds_read_b128 v[50:53], v1 offset:1328
	s_waitcnt vmcnt(62) lgkmcnt(1)
	v_mul_f64 v[56:57], v[46:47], v[180:181]
	v_fmac_f64_e32 v[56:57], v[48:49], v[184:185]
	v_add_f64 v[58:59], v[54:55], v[56:57]
	ds_read_b128 v[54:57], v1 offset:1344
	s_waitcnt lgkmcnt(1)
	v_mul_f64 v[60:61], v[50:51], v[160:161]
	v_fmac_f64_e32 v[60:61], v[52:53], v[162:163]
	v_add_f64 v[62:63], v[58:59], v[60:61]
	ds_read_b128 v[58:61], v1 offset:1360
	s_waitcnt vmcnt(58) lgkmcnt(1)
	v_mul_f64 v[64:65], v[54:55], v[188:189]
	s_waitcnt vmcnt(56)
	v_fmac_f64_e32 v[64:65], v[56:57], v[192:193]
	v_add_f64 v[66:67], v[62:63], v[64:65]
	ds_read_b128 v[62:65], v1 offset:1376
	s_waitcnt lgkmcnt(1)
	v_mul_f64 v[68:69], v[58:59], v[164:165]
	v_fmac_f64_e32 v[68:69], v[60:61], v[166:167]
	v_add_f64 v[70:71], v[66:67], v[68:69]
	ds_read_b128 v[66:69], v1 offset:1392
	s_waitcnt vmcnt(50) lgkmcnt(1)
	v_mul_f64 v[72:73], v[62:63], v[196:197]
	s_waitcnt vmcnt(48)
	;; [unrolled: 11-line block ×5, first 2 shown]
	v_fmac_f64_e32 v[96:97], v[88:89], v[228:229]
	v_add_f64 v[98:99], v[94:95], v[96:97]
	ds_read_b128 v[94:97], v1 offset:1504
	s_waitcnt lgkmcnt(1)
	v_mul_f64 v[100:101], v[90:91], v[190:191]
	v_fmac_f64_e32 v[100:101], v[92:93], v[194:195]
	v_add_f64 v[204:205], v[98:99], v[100:101]
	ds_read_b128 v[98:101], v1 offset:1520
	ds_read_b128 v[102:105], v1 offset:1536
	ds_read_b128 v[114:117], v1 offset:1584
	buffer_load_dword v252, off, s[0:3], 0 offset:312
	buffer_load_dword v253, off, s[0:3], 0 offset:316
	s_waitcnt vmcnt(20) lgkmcnt(3)
	v_mul_f64 v[210:211], v[94:95], v[232:233]
	s_waitcnt vmcnt(18)
	v_fmac_f64_e32 v[210:211], v[96:97], v[236:237]
	v_add_f64 v[204:205], v[204:205], v[210:211]
	s_waitcnt lgkmcnt(2)
	v_mul_f64 v[210:211], v[98:99], v[198:199]
	v_fmac_f64_e32 v[210:211], v[100:101], v[202:203]
	v_add_f64 v[204:205], v[204:205], v[210:211]
	s_waitcnt vmcnt(12) lgkmcnt(1)
	v_mul_f64 v[210:211], v[102:103], v[238:239]
	s_waitcnt vmcnt(10)
	v_fmac_f64_e32 v[210:211], v[104:105], v[240:241]
	v_add_f64 v[204:205], v[204:205], v[210:211]
	v_mul_f64 v[210:211], v[110:111], v[208:209]
	v_fmac_f64_e32 v[210:211], v[112:113], v[220:221]
	v_add_f64 v[204:205], v[204:205], v[210:211]
	s_waitcnt vmcnt(4)
	v_mul_f64 v[210:211], v[106:107], v[242:243]
	v_mul_f64 v[32:33], v[32:33], v[118:119]
	s_waitcnt vmcnt(2)
	v_fmac_f64_e32 v[210:211], v[108:109], v[244:245]
	v_add_f64 v[204:205], v[204:205], v[210:211]
	s_waitcnt lgkmcnt(0)
	v_mul_f64 v[210:211], v[114:115], v[230:231]
	v_fmac_f64_e32 v[210:211], v[116:117], v[234:235]
	v_add_f64 v[246:247], v[204:205], v[210:211]
	v_add_f64 v[204:205], v[248:249], 0
	;; [unrolled: 1-line block ×3, first 2 shown]
	v_fma_f64 v[30:31], v[30:31], v[152:153], -v[32:33]
	v_mul_f64 v[28:29], v[28:29], v[124:125]
	v_add_f64 v[30:31], v[204:205], v[30:31]
	v_fma_f64 v[26:27], v[26:27], v[150:151], -v[28:29]
	v_add_f64 v[26:27], v[30:31], v[26:27]
	v_mul_f64 v[20:21], v[20:21], v[130:131]
	v_add_f64 v[22:23], v[26:27], v[22:23]
	v_fma_f64 v[18:19], v[18:19], v[148:149], -v[20:21]
	v_add_f64 v[18:19], v[22:23], v[18:19]
	;; [unrolled: 4-line block ×3, first 2 shown]
	v_mul_f64 v[4:5], v[4:5], v[136:137]
	v_add_f64 v[6:7], v[10:11], v[6:7]
	v_fma_f64 v[2:3], v[2:3], v[144:145], -v[4:5]
	v_mul_f64 v[4:5], v[40:41], v[142:143]
	v_add_f64 v[2:3], v[6:7], v[2:3]
	v_fma_f64 v[4:5], v[38:39], v[154:155], -v[4:5]
	v_add_f64 v[2:3], v[2:3], v[4:5]
	v_mul_f64 v[4:5], v[36:37], v[172:173]
	v_fma_f64 v[4:5], v[34:35], v[176:177], -v[4:5]
	v_add_f64 v[2:3], v[2:3], v[4:5]
	v_mul_f64 v[4:5], v[44:45], v[156:157]
	v_fma_f64 v[4:5], v[42:43], v[158:159], -v[4:5]
	v_add_f64 v[2:3], v[2:3], v[4:5]
	v_mul_f64 v[4:5], v[48:49], v[180:181]
	v_fma_f64 v[4:5], v[46:47], v[184:185], -v[4:5]
	v_add_f64 v[2:3], v[2:3], v[4:5]
	v_mul_f64 v[4:5], v[52:53], v[160:161]
	v_fma_f64 v[4:5], v[50:51], v[162:163], -v[4:5]
	v_add_f64 v[2:3], v[2:3], v[4:5]
	v_mul_f64 v[4:5], v[56:57], v[188:189]
	v_fma_f64 v[4:5], v[54:55], v[192:193], -v[4:5]
	v_add_f64 v[2:3], v[2:3], v[4:5]
	v_mul_f64 v[4:5], v[60:61], v[164:165]
	v_fma_f64 v[4:5], v[58:59], v[166:167], -v[4:5]
	v_add_f64 v[2:3], v[2:3], v[4:5]
	v_mul_f64 v[4:5], v[64:65], v[196:197]
	v_fma_f64 v[4:5], v[62:63], v[200:201], -v[4:5]
	v_add_f64 v[2:3], v[2:3], v[4:5]
	v_mul_f64 v[4:5], v[68:69], v[168:169]
	v_fma_f64 v[4:5], v[66:67], v[170:171], -v[4:5]
	v_add_f64 v[2:3], v[2:3], v[4:5]
	v_mul_f64 v[4:5], v[72:73], v[206:207]
	v_fma_f64 v[4:5], v[70:71], v[218:219], -v[4:5]
	v_add_f64 v[2:3], v[2:3], v[4:5]
	v_mul_f64 v[4:5], v[76:77], v[174:175]
	v_fma_f64 v[4:5], v[74:75], v[178:179], -v[4:5]
	v_add_f64 v[2:3], v[2:3], v[4:5]
	v_mul_f64 v[4:5], v[80:81], v[222:223]
	v_fma_f64 v[4:5], v[78:79], v[224:225], -v[4:5]
	v_add_f64 v[2:3], v[2:3], v[4:5]
	v_mul_f64 v[4:5], v[84:85], v[182:183]
	v_fma_f64 v[4:5], v[82:83], v[186:187], -v[4:5]
	v_add_f64 v[2:3], v[2:3], v[4:5]
	v_mul_f64 v[4:5], v[88:89], v[226:227]
	v_fma_f64 v[4:5], v[86:87], v[228:229], -v[4:5]
	v_add_f64 v[2:3], v[2:3], v[4:5]
	v_mul_f64 v[4:5], v[92:93], v[190:191]
	v_fma_f64 v[4:5], v[90:91], v[194:195], -v[4:5]
	v_add_f64 v[2:3], v[2:3], v[4:5]
	v_mul_f64 v[4:5], v[96:97], v[232:233]
	v_fma_f64 v[4:5], v[94:95], v[236:237], -v[4:5]
	v_add_f64 v[2:3], v[2:3], v[4:5]
	v_mul_f64 v[4:5], v[100:101], v[198:199]
	v_fma_f64 v[4:5], v[98:99], v[202:203], -v[4:5]
	v_add_f64 v[2:3], v[2:3], v[4:5]
	v_mul_f64 v[4:5], v[104:105], v[238:239]
	v_fma_f64 v[4:5], v[102:103], v[240:241], -v[4:5]
	v_add_f64 v[2:3], v[2:3], v[4:5]
	v_mul_f64 v[4:5], v[112:113], v[208:209]
	v_fma_f64 v[4:5], v[110:111], v[220:221], -v[4:5]
	v_add_f64 v[2:3], v[2:3], v[4:5]
	v_mul_f64 v[4:5], v[108:109], v[242:243]
	v_fma_f64 v[4:5], v[106:107], v[244:245], -v[4:5]
	v_add_f64 v[2:3], v[2:3], v[4:5]
	v_mul_f64 v[4:5], v[116:117], v[230:231]
	v_fma_f64 v[4:5], v[114:115], v[234:235], -v[4:5]
	v_add_f64 v[2:3], v[2:3], v[4:5]
	v_add_f64 v[2:3], v[138:139], -v[2:3]
	s_waitcnt vmcnt(0)
	v_add_f64 v[4:5], v[252:253], -v[246:247]
	buffer_store_dword v3, off, s[0:3], 0 offset:308
	buffer_store_dword v2, off, s[0:3], 0 offset:304
	;; [unrolled: 1-line block ×4, first 2 shown]
	s_and_saveexec_b64 s[4:5], vcc
	s_cbranch_execz .LBB49_279
; %bb.278:
	v_accvgpr_read_b32 v0, a132
	buffer_load_dword v2, v0, s[0:3], 0 offen
	buffer_load_dword v3, v0, s[0:3], 0 offen offset:4
	buffer_load_dword v4, v0, s[0:3], 0 offen offset:8
	;; [unrolled: 1-line block ×3, first 2 shown]
	v_accvgpr_read_b32 v0, a150
	buffer_store_dword v1, off, s[0:3], 0 offset:288
	buffer_store_dword v1, off, s[0:3], 0 offset:292
	;; [unrolled: 1-line block ×4, first 2 shown]
	s_waitcnt vmcnt(4)
	ds_write_b128 v0, v[2:5]
.LBB49_279:
	s_or_b64 exec, exec, s[4:5]
	s_waitcnt lgkmcnt(0)
	; wave barrier
	s_waitcnt lgkmcnt(0)
	buffer_load_dword v112, off, s[0:3], 0 offset:304
	buffer_load_dword v113, off, s[0:3], 0 offset:308
	;; [unrolled: 1-line block ×36, first 2 shown]
	ds_read_b128 v[102:105], v1 offset:1088
	ds_read_b128 v[106:109], v1 offset:1104
	;; [unrolled: 1-line block ×9, first 2 shown]
	buffer_load_dword v143, off, s[0:3], 0 offset:476
	buffer_load_dword v142, off, s[0:3], 0 offset:472
	;; [unrolled: 1-line block ×78, first 2 shown]
	v_accvgpr_read_b32 v216, a149
	v_cmp_lt_u32_e32 vcc, 16, v216
	s_waitcnt vmcnt(62) lgkmcnt(8)
	v_mul_f64 v[26:27], v[102:103], v[246:247]
	v_fmac_f64_e32 v[26:27], v[104:105], v[112:113]
	v_add_f64 v[26:27], v[26:27], 0
	v_mul_f64 v[104:105], v[104:105], v[246:247]
	s_waitcnt lgkmcnt(7)
	v_mul_f64 v[28:29], v[106:107], v[248:249]
	v_fmac_f64_e32 v[28:29], v[108:109], v[110:111]
	s_waitcnt lgkmcnt(6)
	v_mul_f64 v[30:31], v[114:115], v[244:245]
	v_add_f64 v[26:27], v[26:27], v[28:29]
	s_waitcnt lgkmcnt(4)
	v_mul_f64 v[34:35], v[18:19], v[118:119]
	v_fma_f64 v[246:247], v[102:103], v[112:113], -v[104:105]
	v_fmac_f64_e32 v[34:35], v[20:21], v[120:121]
	v_mul_f64 v[108:109], v[108:109], v[248:249]
	v_mul_f64 v[32:33], v[22:23], v[122:123]
	v_fma_f64 v[248:249], v[106:107], v[110:111], -v[108:109]
	s_waitcnt lgkmcnt(2)
	v_mul_f64 v[38:39], v[10:11], v[124:125]
	v_mul_f64 v[20:21], v[20:21], v[118:119]
	v_fmac_f64_e32 v[38:39], v[12:13], v[126:127]
	v_fma_f64 v[18:19], v[18:19], v[120:121], -v[20:21]
	v_mul_f64 v[36:37], v[14:15], v[130:131]
	v_mul_f64 v[12:13], v[12:13], v[124:125]
	s_waitcnt lgkmcnt(1)
	v_mul_f64 v[40:41], v[6:7], v[128:129]
	v_fma_f64 v[10:11], v[10:11], v[126:127], -v[12:13]
	v_fmac_f64_e32 v[30:31], v[116:117], v[250:251]
	v_add_f64 v[26:27], v[26:27], v[30:31]
	v_fmac_f64_e32 v[32:33], v[24:25], v[138:139]
	v_add_f64 v[26:27], v[26:27], v[32:33]
	;; [unrolled: 2-line block ×3, first 2 shown]
	v_add_f64 v[26:27], v[26:27], v[36:37]
	v_fmac_f64_e32 v[40:41], v[8:9], v[134:135]
	v_add_f64 v[30:31], v[26:27], v[38:39]
	v_add_f64 v[30:31], v[30:31], v[40:41]
	s_waitcnt lgkmcnt(0)
	v_mul_f64 v[32:33], v[2:3], v[132:133]
	v_fmac_f64_e32 v[32:33], v[4:5], v[140:141]
	ds_read_b128 v[26:29], v1 offset:1232
	v_add_f64 v[34:35], v[30:31], v[32:33]
	ds_read_b128 v[30:33], v1 offset:1248
	buffer_load_dword v231, off, s[0:3], 0 offset:740
	buffer_load_dword v230, off, s[0:3], 0 offset:736
	v_mul_f64 v[116:117], v[116:117], v[244:245]
	s_waitcnt lgkmcnt(1)
	v_mul_f64 v[36:37], v[26:27], v[146:147]
	v_fmac_f64_e32 v[36:37], v[28:29], v[148:149]
	v_add_f64 v[38:39], v[34:35], v[36:37]
	ds_read_b128 v[34:37], v1 offset:1264
	s_waitcnt lgkmcnt(1)
	v_mul_f64 v[40:41], v[30:31], v[142:143]
	v_fmac_f64_e32 v[40:41], v[32:33], v[144:145]
	v_add_f64 v[42:43], v[38:39], v[40:41]
	ds_read_b128 v[38:41], v1 offset:1280
	;; [unrolled: 5-line block ×4, first 2 shown]
	buffer_load_dword v233, off, s[0:3], 0 offset:796
	buffer_load_dword v235, off, s[0:3], 0 offset:780
	;; [unrolled: 1-line block ×12, first 2 shown]
	s_waitcnt vmcnt(62) lgkmcnt(1)
	v_mul_f64 v[52:53], v[42:43], v[174:175]
	v_fmac_f64_e32 v[52:53], v[44:45], v[178:179]
	v_add_f64 v[54:55], v[50:51], v[52:53]
	ds_read_b128 v[50:53], v1 offset:1328
	s_waitcnt lgkmcnt(1)
	v_mul_f64 v[56:57], v[46:47], v[154:155]
	v_fmac_f64_e32 v[56:57], v[48:49], v[156:157]
	v_add_f64 v[58:59], v[54:55], v[56:57]
	ds_read_b128 v[54:57], v1 offset:1344
	s_waitcnt lgkmcnt(1)
	v_mul_f64 v[60:61], v[50:51], v[182:183]
	s_waitcnt vmcnt(60)
	v_fmac_f64_e32 v[60:61], v[52:53], v[186:187]
	v_add_f64 v[62:63], v[58:59], v[60:61]
	ds_read_b128 v[58:61], v1 offset:1360
	s_waitcnt lgkmcnt(1)
	v_mul_f64 v[64:65], v[54:55], v[162:163]
	v_fmac_f64_e32 v[64:65], v[56:57], v[164:165]
	v_add_f64 v[66:67], v[62:63], v[64:65]
	ds_read_b128 v[62:65], v1 offset:1376
	s_waitcnt vmcnt(54) lgkmcnt(1)
	v_mul_f64 v[68:69], v[58:59], v[190:191]
	s_waitcnt vmcnt(52)
	v_fmac_f64_e32 v[68:69], v[60:61], v[194:195]
	v_add_f64 v[70:71], v[66:67], v[68:69]
	ds_read_b128 v[66:69], v1 offset:1392
	s_waitcnt lgkmcnt(1)
	v_mul_f64 v[72:73], v[62:63], v[166:167]
	v_fmac_f64_e32 v[72:73], v[64:65], v[168:169]
	v_add_f64 v[74:75], v[70:71], v[72:73]
	ds_read_b128 v[70:73], v1 offset:1408
	s_waitcnt vmcnt(46) lgkmcnt(1)
	;; [unrolled: 11-line block ×4, first 2 shown]
	v_mul_f64 v[92:93], v[82:83], v[220:221]
	s_waitcnt vmcnt(28)
	v_fmac_f64_e32 v[92:93], v[84:85], v[222:223]
	v_add_f64 v[98:99], v[90:91], v[92:93]
	ds_read_b128 v[90:93], v1 offset:1488
	ds_read_b128 v[94:97], v1 offset:1504
	s_waitcnt lgkmcnt(2)
	v_mul_f64 v[100:101], v[86:87], v[184:185]
	v_fmac_f64_e32 v[100:101], v[88:89], v[188:189]
	v_add_f64 v[98:99], v[98:99], v[100:101]
	s_waitcnt vmcnt(22) lgkmcnt(1)
	v_mul_f64 v[100:101], v[90:91], v[224:225]
	s_waitcnt vmcnt(20)
	v_fmac_f64_e32 v[100:101], v[92:93], v[226:227]
	v_add_f64 v[98:99], v[98:99], v[100:101]
	s_waitcnt lgkmcnt(0)
	v_mul_f64 v[100:101], v[94:95], v[192:193]
	v_fmac_f64_e32 v[100:101], v[96:97], v[196:197]
	v_add_f64 v[204:205], v[98:99], v[100:101]
	ds_read_b128 v[98:101], v1 offset:1520
	ds_read_b128 v[102:105], v1 offset:1536
	ds_read_b128 v[106:109], v1 offset:1552
	v_fma_f64 v[250:251], v[114:115], v[250:251], -v[116:117]
	ds_read_b128 v[114:117], v1 offset:1584
	s_waitcnt vmcnt(14) lgkmcnt(3)
	v_mul_f64 v[112:113], v[98:99], v[228:229]
	s_waitcnt lgkmcnt(2)
	v_mul_f64 v[110:111], v[102:103], v[200:201]
	s_waitcnt vmcnt(12)
	v_fmac_f64_e32 v[112:113], v[100:101], v[230:231]
	v_add_f64 v[112:113], v[204:205], v[112:113]
	v_fmac_f64_e32 v[110:111], v[104:105], v[206:207]
	v_add_f64 v[204:205], v[112:113], v[110:111]
	ds_read_b128 v[110:113], v1 offset:1568
	buffer_load_dword v254, off, s[0:3], 0 offset:288
	buffer_load_dword v255, off, s[0:3], 0 offset:292
	;; [unrolled: 1-line block ×4, first 2 shown]
	v_mul_f64 v[24:25], v[24:25], v[122:123]
	v_fma_f64 v[22:23], v[22:23], v[138:139], -v[24:25]
	v_mul_f64 v[16:17], v[16:17], v[130:131]
	s_waitcnt vmcnt(13) lgkmcnt(2)
	v_mul_f64 v[210:211], v[106:107], v[234:235]
	v_fma_f64 v[14:15], v[14:15], v[136:137], -v[16:17]
	s_waitcnt vmcnt(11)
	v_fmac_f64_e32 v[210:211], v[108:109], v[240:241]
	v_add_f64 v[204:205], v[204:205], v[210:211]
	s_waitcnt vmcnt(10) lgkmcnt(0)
	v_mul_f64 v[210:211], v[110:111], v[232:233]
	s_waitcnt vmcnt(8)
	v_fmac_f64_e32 v[210:211], v[112:113], v[238:239]
	v_add_f64 v[204:205], v[204:205], v[210:211]
	s_waitcnt vmcnt(6)
	v_mul_f64 v[210:211], v[114:115], v[236:237]
	v_mul_f64 v[8:9], v[8:9], v[128:129]
	s_waitcnt vmcnt(4)
	v_fmac_f64_e32 v[210:211], v[116:117], v[242:243]
	v_add_f64 v[244:245], v[204:205], v[210:211]
	v_add_f64 v[204:205], v[246:247], 0
	;; [unrolled: 1-line block ×8, first 2 shown]
	v_fma_f64 v[6:7], v[6:7], v[134:135], -v[8:9]
	v_mul_f64 v[4:5], v[4:5], v[132:133]
	v_add_f64 v[6:7], v[10:11], v[6:7]
	v_fma_f64 v[2:3], v[2:3], v[140:141], -v[4:5]
	v_mul_f64 v[4:5], v[28:29], v[146:147]
	v_add_f64 v[2:3], v[6:7], v[2:3]
	v_fma_f64 v[4:5], v[26:27], v[148:149], -v[4:5]
	v_add_f64 v[2:3], v[2:3], v[4:5]
	v_mul_f64 v[4:5], v[32:33], v[142:143]
	v_fma_f64 v[4:5], v[30:31], v[144:145], -v[4:5]
	v_add_f64 v[2:3], v[2:3], v[4:5]
	v_mul_f64 v[4:5], v[36:37], v[158:159]
	;; [unrolled: 3-line block ×22, first 2 shown]
	v_fma_f64 v[4:5], v[114:115], v[242:243], -v[4:5]
	v_add_f64 v[2:3], v[2:3], v[4:5]
	s_waitcnt vmcnt(2)
	v_add_f64 v[2:3], v[254:255], -v[2:3]
	s_waitcnt vmcnt(0)
	v_add_f64 v[4:5], v[252:253], -v[244:245]
	buffer_store_dword v3, off, s[0:3], 0 offset:292
	buffer_store_dword v2, off, s[0:3], 0 offset:288
	;; [unrolled: 1-line block ×4, first 2 shown]
	s_and_saveexec_b64 s[4:5], vcc
	s_cbranch_execz .LBB49_281
; %bb.280:
	v_accvgpr_read_b32 v0, a133
	buffer_load_dword v2, v0, s[0:3], 0 offen
	buffer_load_dword v3, v0, s[0:3], 0 offen offset:4
	buffer_load_dword v4, v0, s[0:3], 0 offen offset:8
	;; [unrolled: 1-line block ×3, first 2 shown]
	v_mov_b32_e32 v0, 0
	v_accvgpr_read_b32 v1, a150
	buffer_store_dword v0, off, s[0:3], 0 offset:272
	buffer_store_dword v0, off, s[0:3], 0 offset:276
	;; [unrolled: 1-line block ×4, first 2 shown]
	s_waitcnt vmcnt(4)
	ds_write_b128 v1, v[2:5]
.LBB49_281:
	s_or_b64 exec, exec, s[4:5]
	s_waitcnt lgkmcnt(0)
	; wave barrier
	s_waitcnt lgkmcnt(0)
	buffer_load_dword v94, off, s[0:3], 0 offset:288
	buffer_load_dword v95, off, s[0:3], 0 offset:292
	;; [unrolled: 1-line block ×52, first 2 shown]
	v_mov_b32_e32 v1, 0
	ds_read_b128 v[102:105], v1 offset:1072
	ds_read_b128 v[114:117], v1 offset:1088
	;; [unrolled: 1-line block ×10, first 2 shown]
	v_cmp_lt_u32_e32 vcc, 15, v216
	s_waitcnt vmcnt(48) lgkmcnt(9)
	v_mul_f64 v[26:27], v[102:103], v[96:97]
	v_fmac_f64_e32 v[26:27], v[104:105], v[94:95]
	v_add_f64 v[26:27], v[26:27], 0
	v_mul_f64 v[96:97], v[104:105], v[96:97]
	s_waitcnt vmcnt(44) lgkmcnt(8)
	v_mul_f64 v[28:29], v[114:115], v[100:101]
	v_fmac_f64_e32 v[28:29], v[116:117], v[98:99]
	s_waitcnt vmcnt(42) lgkmcnt(7)
	v_mul_f64 v[30:31], v[244:245], v[106:107]
	v_add_f64 v[26:27], v[26:27], v[28:29]
	s_waitcnt vmcnt(40) lgkmcnt(5)
	v_mul_f64 v[34:35], v[22:23], v[120:121]
	v_fma_f64 v[210:211], v[102:103], v[94:95], -v[96:97]
	s_waitcnt vmcnt(38)
	v_fmac_f64_e32 v[34:35], v[24:25], v[124:125]
	v_mul_f64 v[100:101], v[116:117], v[100:101]
	s_waitcnt vmcnt(36)
	v_mul_f64 v[32:33], v[250:251], v[110:111]
	v_fma_f64 v[212:213], v[114:115], v[98:99], -v[100:101]
	s_waitcnt vmcnt(34) lgkmcnt(3)
	v_mul_f64 v[38:39], v[14:15], v[118:119]
	v_mul_f64 v[106:107], v[246:247], v[106:107]
	s_waitcnt vmcnt(32)
	v_fmac_f64_e32 v[38:39], v[16:17], v[122:123]
	v_mul_f64 v[110:111], v[252:253], v[110:111]
	s_waitcnt vmcnt(30)
	v_mul_f64 v[36:37], v[18:19], v[130:131]
	v_mul_f64 v[24:25], v[24:25], v[120:121]
	v_fma_f64 v[22:23], v[22:23], v[124:125], -v[24:25]
	s_waitcnt vmcnt(27) lgkmcnt(2)
	v_mul_f64 v[40:41], v[10:11], v[128:129]
	s_waitcnt vmcnt(26) lgkmcnt(1)
	v_mul_f64 v[42:43], v[6:7], v[126:127]
	v_mul_f64 v[16:17], v[16:17], v[118:119]
	s_waitcnt vmcnt(24)
	v_fmac_f64_e32 v[30:31], v[246:247], v[108:109]
	v_add_f64 v[26:27], v[26:27], v[30:31]
	s_waitcnt vmcnt(22)
	v_fmac_f64_e32 v[32:33], v[252:253], v[112:113]
	v_add_f64 v[26:27], v[26:27], v[32:33]
	;; [unrolled: 3-line block ×3, first 2 shown]
	v_add_f64 v[26:27], v[26:27], v[36:37]
	s_waitcnt vmcnt(18)
	v_fmac_f64_e32 v[40:41], v[12:13], v[132:133]
	v_add_f64 v[26:27], v[26:27], v[38:39]
	v_add_f64 v[26:27], v[26:27], v[40:41]
	s_waitcnt vmcnt(16)
	v_fmac_f64_e32 v[42:43], v[8:9], v[138:139]
	v_add_f64 v[34:35], v[26:27], v[42:43]
	ds_read_b128 v[26:29], v1 offset:1232
	ds_read_b128 v[30:33], v1 offset:1248
	buffer_load_dword v155, off, s[0:3], 0 offset:524
	buffer_load_dword v154, off, s[0:3], 0 offset:520
	;; [unrolled: 1-line block ×56, first 2 shown]
	s_waitcnt vmcnt(62) lgkmcnt(2)
	v_mul_f64 v[36:37], v[2:3], v[142:143]
	v_fmac_f64_e32 v[36:37], v[4:5], v[144:145]
	v_add_f64 v[34:35], v[34:35], v[36:37]
	s_waitcnt lgkmcnt(1)
	v_mul_f64 v[36:37], v[26:27], v[136:137]
	v_fmac_f64_e32 v[36:37], v[28:29], v[140:141]
	v_add_f64 v[34:35], v[34:35], v[36:37]
	s_waitcnt lgkmcnt(0)
	v_mul_f64 v[36:37], v[30:31], v[146:147]
	s_waitcnt vmcnt(60)
	v_fmac_f64_e32 v[36:37], v[32:33], v[150:151]
	v_add_f64 v[42:43], v[34:35], v[36:37]
	ds_read_b128 v[34:37], v1 offset:1264
	buffer_load_dword v199, off, s[0:3], 0 offset:748
	buffer_load_dword v198, off, s[0:3], 0 offset:744
	buffer_load_dword v203, off, s[0:3], 0 offset:740
	buffer_load_dword v202, off, s[0:3], 0 offset:736
	buffer_load_dword v229, off, s[0:3], 0 offset:732
	buffer_load_dword v228, off, s[0:3], 0 offset:728
	buffer_load_dword v233, off, s[0:3], 0 offset:724
	buffer_load_dword v232, off, s[0:3], 0 offset:720
	buffer_load_dword v209, off, s[0:3], 0 offset:780
	buffer_load_dword v208, off, s[0:3], 0 offset:776
	buffer_load_dword v221, off, s[0:3], 0 offset:772
	buffer_load_dword v220, off, s[0:3], 0 offset:768
	buffer_load_dword v237, off, s[0:3], 0 offset:764
	buffer_load_dword v236, off, s[0:3], 0 offset:760
	buffer_load_dword v239, off, s[0:3], 0 offset:756
	buffer_load_dword v238, off, s[0:3], 0 offset:752
	ds_read_b128 v[38:41], v1 offset:1280
	buffer_load_dword v231, off, s[0:3], 0 offset:812
	buffer_load_dword v230, off, s[0:3], 0 offset:808
	buffer_load_dword v235, off, s[0:3], 0 offset:804
	buffer_load_dword v234, off, s[0:3], 0 offset:800
	buffer_load_dword v241, off, s[0:3], 0 offset:796
	buffer_load_dword v240, off, s[0:3], 0 offset:792
	buffer_load_dword v243, off, s[0:3], 0 offset:788
	buffer_load_dword v242, off, s[0:3], 0 offset:784
	ds_read_b128 v[98:101], v1 offset:1520
	s_waitcnt vmcnt(62) lgkmcnt(2)
	v_mul_f64 v[44:45], v[34:35], v[148:149]
	v_fmac_f64_e32 v[44:45], v[36:37], v[152:153]
	v_add_f64 v[46:47], v[42:43], v[44:45]
	ds_read_b128 v[42:45], v1 offset:1296
	v_fma_f64 v[248:249], v[244:245], v[108:109], -v[106:107]
	ds_read_b128 v[106:109], v1 offset:1552
	v_fma_f64 v[246:247], v[250:251], v[112:113], -v[110:111]
	v_mul_f64 v[20:21], v[20:21], v[130:131]
	v_fma_f64 v[18:19], v[18:19], v[134:135], -v[20:21]
	v_fma_f64 v[14:15], v[14:15], v[122:123], -v[16:17]
	v_mul_f64 v[12:13], v[12:13], v[128:129]
	v_fma_f64 v[10:11], v[10:11], v[132:133], -v[12:13]
	v_mul_f64 v[8:9], v[8:9], v[126:127]
	;; [unrolled: 2-line block ×3, first 2 shown]
	s_waitcnt lgkmcnt(3)
	v_mul_f64 v[48:49], v[38:39], v[170:171]
	v_fma_f64 v[2:3], v[2:3], v[144:145], -v[4:5]
	v_fmac_f64_e32 v[48:49], v[40:41], v[174:175]
	v_add_f64 v[50:51], v[46:47], v[48:49]
	ds_read_b128 v[46:49], v1 offset:1312
	s_waitcnt lgkmcnt(2)
	v_mul_f64 v[52:53], v[42:43], v[154:155]
	v_fmac_f64_e32 v[52:53], v[44:45], v[156:157]
	v_add_f64 v[54:55], v[50:51], v[52:53]
	ds_read_b128 v[50:53], v1 offset:1328
	s_waitcnt lgkmcnt(1)
	v_mul_f64 v[56:57], v[46:47], v[178:179]
	;; [unrolled: 5-line block ×3, first 2 shown]
	v_fmac_f64_e32 v[60:61], v[52:53], v[160:161]
	v_add_f64 v[62:63], v[58:59], v[60:61]
	ds_read_b128 v[58:61], v1 offset:1360
	s_waitcnt vmcnt(58) lgkmcnt(1)
	v_mul_f64 v[64:65], v[54:55], v[186:187]
	s_waitcnt vmcnt(56)
	v_fmac_f64_e32 v[64:65], v[56:57], v[190:191]
	v_add_f64 v[66:67], v[62:63], v[64:65]
	ds_read_b128 v[62:65], v1 offset:1376
	s_waitcnt lgkmcnt(1)
	v_mul_f64 v[68:69], v[58:59], v[162:163]
	v_fmac_f64_e32 v[68:69], v[60:61], v[164:165]
	v_add_f64 v[70:71], v[66:67], v[68:69]
	ds_read_b128 v[66:69], v1 offset:1392
	s_waitcnt vmcnt(50) lgkmcnt(1)
	v_mul_f64 v[72:73], v[62:63], v[194:195]
	s_waitcnt vmcnt(48)
	v_fmac_f64_e32 v[72:73], v[64:65], v[196:197]
	v_add_f64 v[74:75], v[70:71], v[72:73]
	ds_read_b128 v[70:73], v1 offset:1408
	s_waitcnt lgkmcnt(1)
	v_mul_f64 v[76:77], v[66:67], v[166:167]
	;; [unrolled: 11-line block ×3, first 2 shown]
	v_fmac_f64_e32 v[84:85], v[76:77], v[176:177]
	v_add_f64 v[90:91], v[82:83], v[84:85]
	ds_read_b128 v[82:85], v1 offset:1456
	ds_read_b128 v[86:89], v1 offset:1472
	s_waitcnt vmcnt(34) lgkmcnt(2)
	v_mul_f64 v[92:93], v[78:79], v[218:219]
	s_waitcnt vmcnt(32)
	v_fmac_f64_e32 v[92:93], v[80:81], v[224:225]
	v_add_f64 v[90:91], v[90:91], v[92:93]
	s_waitcnt lgkmcnt(1)
	v_mul_f64 v[92:93], v[82:83], v[180:181]
	v_fmac_f64_e32 v[92:93], v[84:85], v[184:185]
	v_add_f64 v[90:91], v[90:91], v[92:93]
	s_waitcnt vmcnt(27) lgkmcnt(0)
	v_mul_f64 v[92:93], v[86:87], v[222:223]
	s_waitcnt vmcnt(25)
	v_fmac_f64_e32 v[92:93], v[88:89], v[226:227]
	v_add_f64 v[204:205], v[90:91], v[92:93]
	ds_read_b128 v[90:93], v1 offset:1488
	ds_read_b128 v[94:97], v1 offset:1504
	;; [unrolled: 1-line block ×3, first 2 shown]
	v_mul_f64 v[4:5], v[28:29], v[136:137]
	v_fma_f64 v[4:5], v[26:27], v[140:141], -v[4:5]
	s_waitcnt lgkmcnt(2)
	v_mul_f64 v[102:103], v[90:91], v[188:189]
	s_waitcnt vmcnt(24)
	v_fmac_f64_e32 v[102:103], v[92:93], v[192:193]
	s_waitcnt vmcnt(18) lgkmcnt(1)
	v_mul_f64 v[104:105], v[94:95], v[228:229]
	v_add_f64 v[102:103], v[204:205], v[102:103]
	s_waitcnt vmcnt(16)
	v_fmac_f64_e32 v[104:105], v[96:97], v[232:233]
	v_add_f64 v[102:103], v[102:103], v[104:105]
	v_mul_f64 v[104:105], v[98:99], v[198:199]
	v_fmac_f64_e32 v[104:105], v[100:101], v[202:203]
	v_add_f64 v[114:115], v[102:103], v[104:105]
	ds_read_b128 v[102:105], v1 offset:1536
	s_waitcnt vmcnt(10) lgkmcnt(0)
	v_mul_f64 v[116:117], v[102:103], v[236:237]
	s_waitcnt vmcnt(8)
	v_fmac_f64_e32 v[116:117], v[104:105], v[238:239]
	v_add_f64 v[114:115], v[114:115], v[116:117]
	v_mul_f64 v[116:117], v[106:107], v[208:209]
	v_fmac_f64_e32 v[116:117], v[108:109], v[220:221]
	v_add_f64 v[114:115], v[114:115], v[116:117]
	s_waitcnt vmcnt(2)
	v_mul_f64 v[116:117], v[110:111], v[240:241]
	s_waitcnt vmcnt(0)
	v_fmac_f64_e32 v[116:117], v[112:113], v[242:243]
	v_add_f64 v[204:205], v[114:115], v[116:117]
	ds_read_b128 v[114:117], v1 offset:1584
	buffer_load_dword v252, off, s[0:3], 0 offset:272
	buffer_load_dword v253, off, s[0:3], 0 offset:276
	s_waitcnt lgkmcnt(0)
	v_mul_f64 v[214:215], v[114:115], v[230:231]
	v_fmac_f64_e32 v[214:215], v[116:117], v[234:235]
	v_add_f64 v[244:245], v[204:205], v[214:215]
	v_add_f64 v[204:205], v[210:211], 0
	v_add_f64 v[250:251], v[204:205], v[212:213]
	v_add_f64 v[204:205], v[250:251], v[248:249]
	buffer_load_dword v248, off, s[0:3], 0 offset:280
	buffer_load_dword v249, off, s[0:3], 0 offset:284
	v_add_f64 v[204:205], v[204:205], v[246:247]
	v_add_f64 v[22:23], v[204:205], v[22:23]
	v_add_f64 v[18:19], v[22:23], v[18:19]
	v_add_f64 v[14:15], v[18:19], v[14:15]
	v_add_f64 v[10:11], v[14:15], v[10:11]
	v_add_f64 v[6:7], v[10:11], v[6:7]
	v_add_f64 v[2:3], v[6:7], v[2:3]
	v_add_f64 v[2:3], v[2:3], v[4:5]
	v_mul_f64 v[4:5], v[32:33], v[146:147]
	v_fma_f64 v[4:5], v[30:31], v[150:151], -v[4:5]
	v_add_f64 v[2:3], v[2:3], v[4:5]
	v_mul_f64 v[4:5], v[36:37], v[148:149]
	v_fma_f64 v[4:5], v[34:35], v[152:153], -v[4:5]
	v_add_f64 v[2:3], v[2:3], v[4:5]
	v_mul_f64 v[4:5], v[40:41], v[170:171]
	v_fma_f64 v[4:5], v[38:39], v[174:175], -v[4:5]
	v_add_f64 v[2:3], v[2:3], v[4:5]
	v_mul_f64 v[4:5], v[44:45], v[154:155]
	v_fma_f64 v[4:5], v[42:43], v[156:157], -v[4:5]
	v_add_f64 v[2:3], v[2:3], v[4:5]
	v_mul_f64 v[4:5], v[48:49], v[178:179]
	v_fma_f64 v[4:5], v[46:47], v[182:183], -v[4:5]
	v_add_f64 v[2:3], v[2:3], v[4:5]
	v_mul_f64 v[4:5], v[52:53], v[158:159]
	v_fma_f64 v[4:5], v[50:51], v[160:161], -v[4:5]
	v_add_f64 v[2:3], v[2:3], v[4:5]
	v_mul_f64 v[4:5], v[56:57], v[186:187]
	v_fma_f64 v[4:5], v[54:55], v[190:191], -v[4:5]
	v_add_f64 v[2:3], v[2:3], v[4:5]
	v_mul_f64 v[4:5], v[60:61], v[162:163]
	v_fma_f64 v[4:5], v[58:59], v[164:165], -v[4:5]
	v_add_f64 v[2:3], v[2:3], v[4:5]
	v_mul_f64 v[4:5], v[64:65], v[194:195]
	v_fma_f64 v[4:5], v[62:63], v[196:197], -v[4:5]
	v_add_f64 v[2:3], v[2:3], v[4:5]
	v_mul_f64 v[4:5], v[68:69], v[166:167]
	v_fma_f64 v[4:5], v[66:67], v[168:169], -v[4:5]
	v_add_f64 v[2:3], v[2:3], v[4:5]
	v_mul_f64 v[4:5], v[72:73], v[200:201]
	v_fma_f64 v[4:5], v[70:71], v[206:207], -v[4:5]
	v_add_f64 v[2:3], v[2:3], v[4:5]
	v_mul_f64 v[4:5], v[76:77], v[172:173]
	v_fma_f64 v[4:5], v[74:75], v[176:177], -v[4:5]
	v_add_f64 v[2:3], v[2:3], v[4:5]
	v_mul_f64 v[4:5], v[80:81], v[218:219]
	v_fma_f64 v[4:5], v[78:79], v[224:225], -v[4:5]
	v_add_f64 v[2:3], v[2:3], v[4:5]
	v_mul_f64 v[4:5], v[84:85], v[180:181]
	v_fma_f64 v[4:5], v[82:83], v[184:185], -v[4:5]
	v_add_f64 v[2:3], v[2:3], v[4:5]
	v_mul_f64 v[4:5], v[88:89], v[222:223]
	v_fma_f64 v[4:5], v[86:87], v[226:227], -v[4:5]
	v_add_f64 v[2:3], v[2:3], v[4:5]
	v_mul_f64 v[4:5], v[92:93], v[188:189]
	v_fma_f64 v[4:5], v[90:91], v[192:193], -v[4:5]
	v_add_f64 v[2:3], v[2:3], v[4:5]
	v_mul_f64 v[4:5], v[96:97], v[228:229]
	v_fma_f64 v[4:5], v[94:95], v[232:233], -v[4:5]
	v_add_f64 v[2:3], v[2:3], v[4:5]
	v_mul_f64 v[4:5], v[100:101], v[198:199]
	v_fma_f64 v[4:5], v[98:99], v[202:203], -v[4:5]
	v_add_f64 v[2:3], v[2:3], v[4:5]
	v_mul_f64 v[4:5], v[104:105], v[236:237]
	v_fma_f64 v[4:5], v[102:103], v[238:239], -v[4:5]
	v_add_f64 v[2:3], v[2:3], v[4:5]
	v_mul_f64 v[4:5], v[108:109], v[208:209]
	v_fma_f64 v[4:5], v[106:107], v[220:221], -v[4:5]
	v_add_f64 v[2:3], v[2:3], v[4:5]
	v_mul_f64 v[4:5], v[112:113], v[240:241]
	v_fma_f64 v[4:5], v[110:111], v[242:243], -v[4:5]
	v_add_f64 v[2:3], v[2:3], v[4:5]
	v_mul_f64 v[4:5], v[116:117], v[230:231]
	v_fma_f64 v[4:5], v[114:115], v[234:235], -v[4:5]
	v_add_f64 v[2:3], v[2:3], v[4:5]
	s_waitcnt vmcnt(2)
	v_add_f64 v[2:3], v[252:253], -v[2:3]
	s_waitcnt vmcnt(0)
	v_add_f64 v[4:5], v[248:249], -v[244:245]
	buffer_store_dword v3, off, s[0:3], 0 offset:276
	buffer_store_dword v2, off, s[0:3], 0 offset:272
	;; [unrolled: 1-line block ×4, first 2 shown]
	s_and_saveexec_b64 s[4:5], vcc
	s_cbranch_execz .LBB49_283
; %bb.282:
	v_accvgpr_read_b32 v0, a134
	buffer_load_dword v2, v0, s[0:3], 0 offen
	buffer_load_dword v3, v0, s[0:3], 0 offen offset:4
	buffer_load_dword v4, v0, s[0:3], 0 offen offset:8
	;; [unrolled: 1-line block ×3, first 2 shown]
	v_accvgpr_read_b32 v0, a150
	buffer_store_dword v1, off, s[0:3], 0 offset:256
	buffer_store_dword v1, off, s[0:3], 0 offset:260
	;; [unrolled: 1-line block ×4, first 2 shown]
	s_waitcnt vmcnt(4)
	ds_write_b128 v0, v[2:5]
.LBB49_283:
	s_or_b64 exec, exec, s[4:5]
	s_waitcnt lgkmcnt(0)
	; wave barrier
	s_waitcnt lgkmcnt(0)
	buffer_load_dword v86, off, s[0:3], 0 offset:272
	buffer_load_dword v87, off, s[0:3], 0 offset:276
	buffer_load_dword v88, off, s[0:3], 0 offset:280
	buffer_load_dword v89, off, s[0:3], 0 offset:284
	buffer_load_dword v90, off, s[0:3], 0 offset:288
	buffer_load_dword v91, off, s[0:3], 0 offset:292
	buffer_load_dword v92, off, s[0:3], 0 offset:296
	buffer_load_dword v93, off, s[0:3], 0 offset:300
	buffer_load_dword v98, off, s[0:3], 0 offset:312
	buffer_load_dword v99, off, s[0:3], 0 offset:316
	buffer_load_dword v111, off, s[0:3], 0 offset:348
	buffer_load_dword v110, off, s[0:3], 0 offset:344
	buffer_load_dword v113, off, s[0:3], 0 offset:340
	buffer_load_dword v112, off, s[0:3], 0 offset:336
	buffer_load_dword v103, off, s[0:3], 0 offset:332
	buffer_load_dword v102, off, s[0:3], 0 offset:328
	buffer_load_dword v119, off, s[0:3], 0 offset:380
	buffer_load_dword v118, off, s[0:3], 0 offset:376
	buffer_load_dword v121, off, s[0:3], 0 offset:372
	buffer_load_dword v120, off, s[0:3], 0 offset:368
	buffer_load_dword v123, off, s[0:3], 0 offset:364
	buffer_load_dword v122, off, s[0:3], 0 offset:360
	buffer_load_dword v125, off, s[0:3], 0 offset:412
	buffer_load_dword v124, off, s[0:3], 0 offset:408
	buffer_load_dword v126, off, s[0:3], 0 offset:400
	buffer_load_dword v131, off, s[0:3], 0 offset:396
	buffer_load_dword v130, off, s[0:3], 0 offset:392
	buffer_load_dword v129, off, s[0:3], 0 offset:428
	buffer_load_dword v128, off, s[0:3], 0 offset:424
	buffer_load_dword v100, off, s[0:3], 0 offset:304
	buffer_load_dword v101, off, s[0:3], 0 offset:308
	buffer_load_dword v105, off, s[0:3], 0 offset:324
	buffer_load_dword v104, off, s[0:3], 0 offset:320
	buffer_load_dword v135, off, s[0:3], 0 offset:356
	buffer_load_dword v134, off, s[0:3], 0 offset:352
	buffer_load_dword v133, off, s[0:3], 0 offset:388
	buffer_load_dword v132, off, s[0:3], 0 offset:384
	buffer_load_dword v127, off, s[0:3], 0 offset:404
	buffer_load_dword v136, off, s[0:3], 0 offset:440
	buffer_load_dword v138, off, s[0:3], 0 offset:432
	buffer_load_dword v139, off, s[0:3], 0 offset:436
	buffer_load_dword v137, off, s[0:3], 0 offset:444
	ds_read_b128 v[94:97], v1 offset:1056
	ds_read_b128 v[106:109], v1 offset:1072
	ds_read_b128 v[114:117], v1 offset:1088
	ds_read_b128 v[244:247], v1 offset:1104
	ds_read_b128 v[248:251], v1 offset:1120
	ds_read_b128 v[22:25], v1 offset:1136
	ds_read_b128 v[18:21], v1 offset:1152
	ds_read_b128 v[14:17], v1 offset:1168
	ds_read_b128 v[10:13], v1 offset:1184
	ds_read_b128 v[2:5], v1 offset:1200
	buffer_load_dword v145, off, s[0:3], 0 offset:420
	buffer_load_dword v144, off, s[0:3], 0 offset:416
	ds_read_b128 v[6:9], v1 offset:1216
	buffer_load_dword v141, off, s[0:3], 0 offset:476
	buffer_load_dword v140, off, s[0:3], 0 offset:472
	;; [unrolled: 1-line block ×80, first 2 shown]
	s_waitcnt vmcnt(62) lgkmcnt(10)
	v_mul_f64 v[26:27], v[94:95], v[88:89]
	v_fmac_f64_e32 v[26:27], v[96:97], v[86:87]
	v_add_f64 v[26:27], v[26:27], 0
	v_mul_f64 v[88:89], v[96:97], v[88:89]
	s_waitcnt lgkmcnt(9)
	v_mul_f64 v[28:29], v[106:107], v[92:93]
	v_fmac_f64_e32 v[28:29], v[108:109], v[90:91]
	s_waitcnt lgkmcnt(8)
	v_mul_f64 v[30:31], v[114:115], v[98:99]
	v_add_f64 v[26:27], v[26:27], v[28:29]
	s_waitcnt lgkmcnt(6)
	v_mul_f64 v[34:35], v[248:249], v[110:111]
	v_fma_f64 v[210:211], v[94:95], v[86:87], -v[88:89]
	v_fmac_f64_e32 v[34:35], v[250:251], v[112:113]
	v_mul_f64 v[92:93], v[108:109], v[92:93]
	v_mul_f64 v[32:33], v[244:245], v[102:103]
	;; [unrolled: 1-line block ×3, first 2 shown]
	s_waitcnt lgkmcnt(4)
	v_mul_f64 v[38:39], v[18:19], v[118:119]
	v_mul_f64 v[102:103], v[246:247], v[102:103]
	v_fmac_f64_e32 v[38:39], v[20:21], v[120:121]
	v_mul_f64 v[110:111], v[250:251], v[110:111]
	v_mul_f64 v[36:37], v[22:23], v[122:123]
	v_fma_f64 v[248:249], v[248:249], v[112:113], -v[110:111]
	s_waitcnt lgkmcnt(2)
	v_mul_f64 v[42:43], v[10:11], v[124:125]
	v_add_f64 v[210:211], v[210:211], 0
	v_mul_f64 v[20:21], v[20:21], v[118:119]
	v_mul_f64 v[40:41], v[14:15], v[130:131]
	v_fma_f64 v[18:19], v[18:19], v[120:121], -v[20:21]
	s_waitcnt lgkmcnt(1)
	v_mul_f64 v[44:45], v[2:3], v[128:129]
	v_fmac_f64_e32 v[30:31], v[116:117], v[100:101]
	v_add_f64 v[26:27], v[26:27], v[30:31]
	v_fmac_f64_e32 v[32:33], v[246:247], v[104:105]
	v_add_f64 v[26:27], v[26:27], v[32:33]
	;; [unrolled: 2-line block ×3, first 2 shown]
	v_add_f64 v[26:27], v[26:27], v[36:37]
	v_fmac_f64_e32 v[40:41], v[16:17], v[132:133]
	v_add_f64 v[26:27], v[26:27], v[38:39]
	v_fmac_f64_e32 v[42:43], v[12:13], v[126:127]
	v_add_f64 v[26:27], v[26:27], v[40:41]
	v_add_f64 v[26:27], v[26:27], v[42:43]
	s_waitcnt lgkmcnt(0)
	v_mul_f64 v[32:33], v[6:7], v[136:137]
	v_fmac_f64_e32 v[44:45], v[4:5], v[144:145]
	v_add_f64 v[30:31], v[26:27], v[44:45]
	ds_read_b128 v[26:29], v1 offset:1232
	v_fmac_f64_e32 v[32:33], v[8:9], v[138:139]
	v_add_f64 v[34:35], v[30:31], v[32:33]
	ds_read_b128 v[30:33], v1 offset:1248
	v_fma_f64 v[212:213], v[114:115], v[100:101], -v[98:99]
	s_waitcnt lgkmcnt(1)
	v_mul_f64 v[36:37], v[26:27], v[146:147]
	v_fmac_f64_e32 v[36:37], v[28:29], v[162:163]
	v_add_f64 v[38:39], v[34:35], v[36:37]
	ds_read_b128 v[34:37], v1 offset:1264
	s_waitcnt lgkmcnt(1)
	v_mul_f64 v[40:41], v[30:31], v[140:141]
	v_fmac_f64_e32 v[40:41], v[32:33], v[142:143]
	v_add_f64 v[42:43], v[38:39], v[40:41]
	ds_read_b128 v[38:41], v1 offset:1280
	s_waitcnt lgkmcnt(1)
	v_mul_f64 v[44:45], v[34:35], v[166:167]
	v_fmac_f64_e32 v[44:45], v[36:37], v[170:171]
	v_add_f64 v[46:47], v[42:43], v[44:45]
	ds_read_b128 v[42:45], v1 offset:1296
	s_waitcnt lgkmcnt(1)
	v_mul_f64 v[48:49], v[38:39], v[148:149]
	v_fmac_f64_e32 v[48:49], v[40:41], v[150:151]
	v_add_f64 v[50:51], v[46:47], v[48:49]
	ds_read_b128 v[46:49], v1 offset:1312
	s_waitcnt vmcnt(58) lgkmcnt(1)
	v_mul_f64 v[52:53], v[42:43], v[174:175]
	s_waitcnt vmcnt(56)
	v_fmac_f64_e32 v[52:53], v[44:45], v[178:179]
	v_add_f64 v[54:55], v[50:51], v[52:53]
	ds_read_b128 v[50:53], v1 offset:1328
	buffer_load_dword v232, off, s[0:3], 0 offset:792
	buffer_load_dword v237, off, s[0:3], 0 offset:780
	;; [unrolled: 1-line block ×8, first 2 shown]
	s_waitcnt lgkmcnt(1)
	v_mul_f64 v[56:57], v[46:47], v[152:153]
	v_fmac_f64_e32 v[56:57], v[48:49], v[154:155]
	v_add_f64 v[58:59], v[54:55], v[56:57]
	ds_read_b128 v[54:57], v1 offset:1344
	s_waitcnt vmcnt(58) lgkmcnt(1)
	v_mul_f64 v[60:61], v[50:51], v[182:183]
	s_waitcnt vmcnt(56)
	v_fmac_f64_e32 v[60:61], v[52:53], v[186:187]
	buffer_load_dword v241, off, s[0:3], 0 offset:812
	buffer_load_dword v240, off, s[0:3], 0 offset:808
	;; [unrolled: 1-line block ×4, first 2 shown]
	v_add_f64 v[62:63], v[58:59], v[60:61]
	ds_read_b128 v[58:61], v1 offset:1360
	s_waitcnt lgkmcnt(1)
	v_mul_f64 v[64:65], v[54:55], v[156:157]
	v_fmac_f64_e32 v[64:65], v[56:57], v[158:159]
	v_add_f64 v[66:67], v[62:63], v[64:65]
	ds_read_b128 v[62:65], v1 offset:1376
	s_waitcnt vmcnt(54) lgkmcnt(1)
	v_mul_f64 v[68:69], v[58:59], v[190:191]
	s_waitcnt vmcnt(52)
	v_fmac_f64_e32 v[68:69], v[60:61], v[194:195]
	v_add_f64 v[70:71], v[66:67], v[68:69]
	ds_read_b128 v[66:69], v1 offset:1392
	s_waitcnt lgkmcnt(1)
	v_mul_f64 v[72:73], v[62:63], v[160:161]
	v_fmac_f64_e32 v[72:73], v[64:65], v[164:165]
	v_add_f64 v[74:75], v[70:71], v[72:73]
	ds_read_b128 v[70:73], v1 offset:1408
	s_waitcnt vmcnt(46) lgkmcnt(1)
	v_mul_f64 v[76:77], v[66:67], v[198:199]
	s_waitcnt vmcnt(44)
	v_fmac_f64_e32 v[76:77], v[68:69], v[202:203]
	v_add_f64 v[82:83], v[74:75], v[76:77]
	ds_read_b128 v[74:77], v1 offset:1424
	ds_read_b128 v[78:81], v1 offset:1440
	s_waitcnt lgkmcnt(2)
	v_mul_f64 v[84:85], v[70:71], v[168:169]
	v_fmac_f64_e32 v[84:85], v[72:73], v[172:173]
	v_add_f64 v[82:83], v[82:83], v[84:85]
	s_waitcnt vmcnt(38) lgkmcnt(1)
	v_mul_f64 v[84:85], v[74:75], v[208:209]
	s_waitcnt vmcnt(36)
	v_fmac_f64_e32 v[84:85], v[76:77], v[218:219]
	v_add_f64 v[82:83], v[82:83], v[84:85]
	s_waitcnt lgkmcnt(0)
	v_mul_f64 v[84:85], v[78:79], v[176:177]
	v_fmac_f64_e32 v[84:85], v[80:81], v[180:181]
	v_add_f64 v[204:205], v[82:83], v[84:85]
	ds_read_b128 v[82:85], v1 offset:1456
	ds_read_b128 v[86:89], v1 offset:1472
	;; [unrolled: 1-line block ×3, first 2 shown]
	v_fma_f64 v[246:247], v[244:245], v[104:105], -v[102:103]
	ds_read_b128 v[102:105], v1 offset:1552
	ds_read_b128 v[110:113], v1 offset:1568
	s_waitcnt vmcnt(30) lgkmcnt(4)
	v_mul_f64 v[94:95], v[82:83], v[220:221]
	s_waitcnt vmcnt(28)
	v_fmac_f64_e32 v[94:95], v[84:85], v[222:223]
	v_add_f64 v[94:95], v[204:205], v[94:95]
	v_fma_f64 v[204:205], v[106:107], v[90:91], -v[92:93]
	ds_read_b128 v[90:93], v1 offset:1488
	s_waitcnt lgkmcnt(4)
	v_mul_f64 v[96:97], v[86:87], v[184:185]
	v_fmac_f64_e32 v[96:97], v[88:89], v[188:189]
	v_add_f64 v[106:107], v[94:95], v[96:97]
	ds_read_b128 v[94:97], v1 offset:1504
	s_waitcnt vmcnt(22) lgkmcnt(1)
	v_mul_f64 v[108:109], v[90:91], v[224:225]
	s_waitcnt vmcnt(20)
	v_fmac_f64_e32 v[108:109], v[92:93], v[226:227]
	v_add_f64 v[106:107], v[106:107], v[108:109]
	v_add_f64 v[204:205], v[210:211], v[204:205]
	s_waitcnt lgkmcnt(0)
	v_mul_f64 v[108:109], v[94:95], v[192:193]
	v_fmac_f64_e32 v[108:109], v[96:97], v[196:197]
	v_add_f64 v[114:115], v[106:107], v[108:109]
	ds_read_b128 v[106:109], v1 offset:1536
	s_waitcnt vmcnt(14)
	v_mul_f64 v[116:117], v[98:99], v[228:229]
	s_waitcnt vmcnt(12)
	v_fmac_f64_e32 v[116:117], v[100:101], v[230:231]
	v_add_f64 v[114:115], v[114:115], v[116:117]
	v_add_f64 v[250:251], v[204:205], v[212:213]
	s_waitcnt lgkmcnt(0)
	v_mul_f64 v[116:117], v[106:107], v[200:201]
	v_fmac_f64_e32 v[116:117], v[108:109], v[206:207]
	v_add_f64 v[114:115], v[114:115], v[116:117]
	v_add_f64 v[204:205], v[250:251], v[246:247]
	v_mul_f64 v[24:25], v[24:25], v[122:123]
	v_add_f64 v[204:205], v[204:205], v[248:249]
	v_fma_f64 v[22:23], v[22:23], v[134:135], -v[24:25]
	v_add_f64 v[22:23], v[204:205], v[22:23]
	v_mul_f64 v[16:17], v[16:17], v[130:131]
	v_add_f64 v[18:19], v[22:23], v[18:19]
	v_fma_f64 v[14:15], v[14:15], v[132:133], -v[16:17]
	v_mul_f64 v[12:13], v[12:13], v[124:125]
	s_waitcnt vmcnt(9)
	v_mul_f64 v[116:117], v[102:103], v[236:237]
	v_add_f64 v[14:15], v[18:19], v[14:15]
	s_waitcnt vmcnt(7)
	v_fmac_f64_e32 v[116:117], v[104:105], v[238:239]
	v_add_f64 v[114:115], v[114:115], v[116:117]
	s_waitcnt vmcnt(5)
	v_mul_f64 v[116:117], v[110:111], v[232:233]
	s_waitcnt vmcnt(4)
	v_fmac_f64_e32 v[116:117], v[112:113], v[234:235]
	v_add_f64 v[214:215], v[114:115], v[116:117]
	ds_read_b128 v[114:117], v1 offset:1584
	buffer_load_dword v254, off, s[0:3], 0 offset:256
	buffer_load_dword v255, off, s[0:3], 0 offset:260
	;; [unrolled: 1-line block ×4, first 2 shown]
	v_fma_f64 v[10:11], v[10:11], v[126:127], -v[12:13]
	v_mul_f64 v[4:5], v[4:5], v[128:129]
	v_add_f64 v[10:11], v[14:15], v[10:11]
	v_fma_f64 v[2:3], v[2:3], v[144:145], -v[4:5]
	v_mul_f64 v[4:5], v[8:9], v[136:137]
	v_add_f64 v[2:3], v[10:11], v[2:3]
	v_fma_f64 v[4:5], v[6:7], v[138:139], -v[4:5]
	v_add_f64 v[2:3], v[2:3], v[4:5]
	v_mul_f64 v[4:5], v[28:29], v[146:147]
	v_fma_f64 v[4:5], v[26:27], v[162:163], -v[4:5]
	v_add_f64 v[2:3], v[2:3], v[4:5]
	v_mul_f64 v[4:5], v[32:33], v[140:141]
	;; [unrolled: 3-line block ×22, first 2 shown]
	v_fma_f64 v[4:5], v[110:111], v[234:235], -v[4:5]
	v_add_f64 v[2:3], v[2:3], v[4:5]
	s_waitcnt vmcnt(6) lgkmcnt(0)
	v_mul_f64 v[4:5], v[116:117], v[240:241]
	s_waitcnt vmcnt(4)
	v_fma_f64 v[4:5], v[114:115], v[242:243], -v[4:5]
	v_mul_f64 v[216:217], v[114:115], v[240:241]
	v_add_f64 v[2:3], v[2:3], v[4:5]
	v_fmac_f64_e32 v[216:217], v[116:117], v[242:243]
	s_waitcnt vmcnt(2)
	v_add_f64 v[2:3], v[254:255], -v[2:3]
	v_accvgpr_read_b32 v254, a149
	v_add_f64 v[244:245], v[214:215], v[216:217]
	v_cmp_lt_u32_e32 vcc, 14, v254
	s_waitcnt vmcnt(0)
	v_add_f64 v[4:5], v[252:253], -v[244:245]
	buffer_store_dword v3, off, s[0:3], 0 offset:260
	buffer_store_dword v2, off, s[0:3], 0 offset:256
	;; [unrolled: 1-line block ×4, first 2 shown]
	s_and_saveexec_b64 s[4:5], vcc
	s_cbranch_execz .LBB49_285
; %bb.284:
	v_accvgpr_read_b32 v0, a135
	buffer_load_dword v2, v0, s[0:3], 0 offen
	buffer_load_dword v3, v0, s[0:3], 0 offen offset:4
	buffer_load_dword v4, v0, s[0:3], 0 offen offset:8
	;; [unrolled: 1-line block ×3, first 2 shown]
	v_mov_b32_e32 v0, 0
	v_accvgpr_read_b32 v1, a150
	buffer_store_dword v0, off, s[0:3], 0 offset:240
	buffer_store_dword v0, off, s[0:3], 0 offset:244
	;; [unrolled: 1-line block ×4, first 2 shown]
	s_waitcnt vmcnt(4)
	ds_write_b128 v1, v[2:5]
.LBB49_285:
	s_or_b64 exec, exec, s[4:5]
	s_waitcnt lgkmcnt(0)
	; wave barrier
	s_waitcnt lgkmcnt(0)
	buffer_load_dword v82, off, s[0:3], 0 offset:256
	buffer_load_dword v83, off, s[0:3], 0 offset:260
	;; [unrolled: 1-line block ×54, first 2 shown]
	v_mov_b32_e32 v1, 0
	ds_read_b128 v[90:93], v1 offset:1040
	ds_read_b128 v[106:109], v1 offset:1056
	;; [unrolled: 1-line block ×9, first 2 shown]
	buffer_load_dword v149, off, s[0:3], 0 offset:484
	buffer_load_dword v148, off, s[0:3], 0 offset:480
	;; [unrolled: 1-line block ×62, first 2 shown]
	v_cmp_lt_u32_e32 vcc, 13, v254
	s_waitcnt vmcnt(62) lgkmcnt(8)
	v_mul_f64 v[14:15], v[90:91], v[84:85]
	v_fmac_f64_e32 v[14:15], v[92:93], v[82:83]
	v_add_f64 v[14:15], v[14:15], 0
	v_mul_f64 v[84:85], v[92:93], v[84:85]
	s_waitcnt lgkmcnt(7)
	v_mul_f64 v[16:17], v[106:107], v[88:89]
	v_fmac_f64_e32 v[16:17], v[108:109], v[86:87]
	s_waitcnt lgkmcnt(6)
	v_mul_f64 v[18:19], v[114:115], v[94:95]
	v_add_f64 v[14:15], v[14:15], v[16:17]
	s_waitcnt lgkmcnt(4)
	v_mul_f64 v[22:23], v[246:247], v[102:103]
	v_fma_f64 v[210:211], v[90:91], v[82:83], -v[84:85]
	v_fmac_f64_e32 v[22:23], v[248:249], v[104:105]
	v_mul_f64 v[88:89], v[108:109], v[88:89]
	v_mul_f64 v[20:21], v[242:243], v[98:99]
	v_fma_f64 v[212:213], v[106:107], v[86:87], -v[88:89]
	s_waitcnt lgkmcnt(2)
	v_mul_f64 v[26:27], v[10:11], v[118:119]
	v_mul_f64 v[94:95], v[116:117], v[94:95]
	v_fmac_f64_e32 v[26:27], v[12:13], v[120:121]
	v_mul_f64 v[98:99], v[244:245], v[98:99]
	v_mul_f64 v[24:25], v[250:251], v[110:111]
	;; [unrolled: 1-line block ×3, first 2 shown]
	s_waitcnt lgkmcnt(1)
	v_mul_f64 v[28:29], v[6:7], v[122:123]
	v_mul_f64 v[110:111], v[252:253], v[110:111]
	v_fmac_f64_e32 v[18:19], v[116:117], v[96:97]
	v_add_f64 v[14:15], v[14:15], v[18:19]
	v_fmac_f64_e32 v[20:21], v[244:245], v[100:101]
	v_add_f64 v[14:15], v[14:15], v[20:21]
	v_fmac_f64_e32 v[24:25], v[252:253], v[112:113]
	v_add_f64 v[14:15], v[14:15], v[22:23]
	v_add_f64 v[14:15], v[14:15], v[24:25]
	v_fmac_f64_e32 v[28:29], v[8:9], v[126:127]
	v_add_f64 v[14:15], v[14:15], v[26:27]
	v_add_f64 v[18:19], v[14:15], v[28:29]
	ds_read_b128 v[14:17], v1 offset:1184
	s_waitcnt lgkmcnt(1)
	v_mul_f64 v[20:21], v[2:3], v[124:125]
	v_fmac_f64_e32 v[20:21], v[4:5], v[128:129]
	v_add_f64 v[22:23], v[18:19], v[20:21]
	ds_read_b128 v[18:21], v1 offset:1200
	s_waitcnt lgkmcnt(1)
	v_mul_f64 v[24:25], v[14:15], v[134:135]
	v_fmac_f64_e32 v[24:25], v[16:17], v[136:137]
	;; [unrolled: 5-line block ×5, first 2 shown]
	v_add_f64 v[38:39], v[34:35], v[36:37]
	ds_read_b128 v[34:37], v1 offset:1264
	s_waitcnt vmcnt(58) lgkmcnt(1)
	v_mul_f64 v[40:41], v[30:31], v[162:163]
	s_waitcnt vmcnt(56)
	v_fmac_f64_e32 v[40:41], v[32:33], v[166:167]
	v_add_f64 v[42:43], v[38:39], v[40:41]
	ds_read_b128 v[38:41], v1 offset:1280
	s_waitcnt lgkmcnt(1)
	v_mul_f64 v[44:45], v[34:35], v[142:143]
	v_fmac_f64_e32 v[44:45], v[36:37], v[148:149]
	v_add_f64 v[46:47], v[42:43], v[44:45]
	ds_read_b128 v[42:45], v1 offset:1296
	s_waitcnt vmcnt(50) lgkmcnt(1)
	v_mul_f64 v[48:49], v[38:39], v[170:171]
	s_waitcnt vmcnt(48)
	v_fmac_f64_e32 v[48:49], v[40:41], v[174:175]
	v_add_f64 v[50:51], v[46:47], v[48:49]
	ds_read_b128 v[46:49], v1 offset:1312
	buffer_load_dword v221, off, s[0:3], 0 offset:732
	buffer_load_dword v220, off, s[0:3], 0 offset:728
	;; [unrolled: 1-line block ×8, first 2 shown]
	s_waitcnt lgkmcnt(1)
	v_mul_f64 v[52:53], v[42:43], v[150:151]
	v_fmac_f64_e32 v[52:53], v[44:45], v[152:153]
	v_add_f64 v[54:55], v[50:51], v[52:53]
	ds_read_b128 v[50:53], v1 offset:1328
	s_waitcnt vmcnt(50) lgkmcnt(1)
	v_mul_f64 v[56:57], v[46:47], v[178:179]
	s_waitcnt vmcnt(48)
	v_fmac_f64_e32 v[56:57], v[48:49], v[182:183]
	buffer_load_dword v225, off, s[0:3], 0 offset:780
	buffer_load_dword v231, off, s[0:3], 0 offset:764
	;; [unrolled: 1-line block ×12, first 2 shown]
	v_add_f64 v[58:59], v[54:55], v[56:57]
	ds_read_b128 v[54:57], v1 offset:1344
	s_waitcnt lgkmcnt(1)
	v_mul_f64 v[60:61], v[50:51], v[154:155]
	v_fmac_f64_e32 v[60:61], v[52:53], v[156:157]
	v_add_f64 v[62:63], v[58:59], v[60:61]
	ds_read_b128 v[58:61], v1 offset:1360
	s_waitcnt vmcnt(54) lgkmcnt(1)
	v_mul_f64 v[64:65], v[54:55], v[186:187]
	s_waitcnt vmcnt(52)
	v_fmac_f64_e32 v[64:65], v[56:57], v[190:191]
	v_add_f64 v[66:67], v[62:63], v[64:65]
	ds_read_b128 v[62:65], v1 offset:1376
	s_waitcnt lgkmcnt(1)
	v_mul_f64 v[68:69], v[58:59], v[158:159]
	v_fmac_f64_e32 v[68:69], v[60:61], v[160:161]
	v_add_f64 v[70:71], v[66:67], v[68:69]
	ds_read_b128 v[66:69], v1 offset:1392
	s_waitcnt vmcnt(46) lgkmcnt(1)
	v_mul_f64 v[72:73], v[62:63], v[194:195]
	s_waitcnt vmcnt(44)
	v_fmac_f64_e32 v[72:73], v[64:65], v[196:197]
	v_add_f64 v[78:79], v[70:71], v[72:73]
	ds_read_b128 v[70:73], v1 offset:1408
	ds_read_b128 v[74:77], v1 offset:1424
	s_waitcnt lgkmcnt(2)
	v_mul_f64 v[80:81], v[66:67], v[164:165]
	v_fmac_f64_e32 v[80:81], v[68:69], v[168:169]
	v_add_f64 v[78:79], v[78:79], v[80:81]
	s_waitcnt vmcnt(38) lgkmcnt(1)
	v_mul_f64 v[80:81], v[70:71], v[198:199]
	s_waitcnt vmcnt(36)
	v_fmac_f64_e32 v[80:81], v[72:73], v[200:201]
	v_add_f64 v[78:79], v[78:79], v[80:81]
	s_waitcnt lgkmcnt(0)
	v_mul_f64 v[80:81], v[74:75], v[172:173]
	v_fmac_f64_e32 v[80:81], v[76:77], v[176:177]
	v_add_f64 v[204:205], v[78:79], v[80:81]
	ds_read_b128 v[78:81], v1 offset:1440
	ds_read_b128 v[82:85], v1 offset:1456
	;; [unrolled: 1-line block ×3, first 2 shown]
	v_fma_f64 v[214:215], v[242:243], v[100:101], -v[98:99]
	ds_read_b128 v[98:101], v1 offset:1520
	s_waitcnt vmcnt(30) lgkmcnt(3)
	v_mul_f64 v[90:91], v[78:79], v[202:203]
	s_waitcnt vmcnt(28)
	v_fmac_f64_e32 v[90:91], v[80:81], v[206:207]
	s_waitcnt lgkmcnt(2)
	v_mul_f64 v[92:93], v[82:83], v[180:181]
	v_add_f64 v[90:91], v[204:205], v[90:91]
	v_fmac_f64_e32 v[92:93], v[84:85], v[184:185]
	v_add_f64 v[90:91], v[90:91], v[92:93]
	v_fma_f64 v[204:205], v[114:115], v[96:97], -v[94:95]
	ds_read_b128 v[94:97], v1 offset:1504
	s_waitcnt vmcnt(22) lgkmcnt(2)
	v_mul_f64 v[92:93], v[86:87], v[208:209]
	s_waitcnt vmcnt(20)
	v_fmac_f64_e32 v[92:93], v[88:89], v[218:219]
	v_add_f64 v[106:107], v[90:91], v[92:93]
	ds_read_b128 v[90:93], v1 offset:1488
	buffer_load_dword v240, off, s[0:3], 0 offset:808
	v_fma_f64 v[216:217], v[246:247], v[104:105], -v[102:103]
	ds_read_b128 v[102:105], v1 offset:1536
	v_fma_f64 v[250:251], v[250:251], v[112:113], -v[110:111]
	s_waitcnt lgkmcnt(1)
	v_mul_f64 v[108:109], v[90:91], v[188:189]
	v_fmac_f64_e32 v[108:109], v[92:93], v[192:193]
	v_add_f64 v[106:107], v[106:107], v[108:109]
	ds_read_b128 v[110:113], v1 offset:1568
	v_add_f64 v[210:211], v[210:211], 0
	v_add_f64 v[210:211], v[210:211], v[212:213]
	;; [unrolled: 1-line block ×5, first 2 shown]
	v_mul_f64 v[12:13], v[12:13], v[118:119]
	v_add_f64 v[204:205], v[252:253], v[250:251]
	v_fma_f64 v[10:11], v[10:11], v[120:121], -v[12:13]
	v_mul_f64 v[8:9], v[8:9], v[122:123]
	v_add_f64 v[10:11], v[204:205], v[10:11]
	v_fma_f64 v[6:7], v[6:7], v[126:127], -v[8:9]
	;; [unrolled: 3-line block ×3, first 2 shown]
	v_mul_f64 v[4:5], v[16:17], v[134:135]
	v_add_f64 v[2:3], v[6:7], v[2:3]
	s_waitcnt vmcnt(19)
	v_mul_f64 v[108:109], v[94:95], v[220:221]
	v_fma_f64 v[4:5], v[14:15], v[136:137], -v[4:5]
	s_waitcnt vmcnt(17)
	v_fmac_f64_e32 v[108:109], v[96:97], v[222:223]
	v_add_f64 v[106:107], v[106:107], v[108:109]
	s_waitcnt vmcnt(15)
	v_mul_f64 v[108:109], v[98:99], v[226:227]
	s_waitcnt vmcnt(13)
	v_fmac_f64_e32 v[108:109], v[100:101], v[228:229]
	v_add_f64 v[114:115], v[106:107], v[108:109]
	ds_read_b128 v[106:109], v1 offset:1552
	buffer_load_dword v244, off, s[0:3], 0 offset:800
	buffer_load_dword v241, off, s[0:3], 0 offset:812
	;; [unrolled: 1-line block ×3, first 2 shown]
	s_waitcnt vmcnt(13) lgkmcnt(2)
	v_mul_f64 v[116:117], v[102:103], v[230:231]
	s_waitcnt vmcnt(11)
	v_fmac_f64_e32 v[116:117], v[104:105], v[236:237]
	v_add_f64 v[114:115], v[114:115], v[116:117]
	s_waitcnt vmcnt(10) lgkmcnt(0)
	v_mul_f64 v[116:117], v[106:107], v[224:225]
	s_waitcnt vmcnt(8)
	v_fmac_f64_e32 v[116:117], v[108:109], v[234:235]
	v_add_f64 v[114:115], v[114:115], v[116:117]
	s_waitcnt vmcnt(6)
	v_mul_f64 v[116:117], v[110:111], v[232:233]
	s_waitcnt vmcnt(4)
	v_fmac_f64_e32 v[116:117], v[112:113], v[238:239]
	v_add_f64 v[242:243], v[114:115], v[116:117]
	ds_read_b128 v[114:117], v1 offset:1584
	buffer_load_dword v248, off, s[0:3], 0 offset:240
	buffer_load_dword v249, off, s[0:3], 0 offset:244
	v_add_f64 v[2:3], v[2:3], v[4:5]
	v_mul_f64 v[4:5], v[20:21], v[130:131]
	v_fma_f64 v[4:5], v[18:19], v[132:133], -v[4:5]
	v_add_f64 v[2:3], v[2:3], v[4:5]
	v_mul_f64 v[4:5], v[24:25], v[144:145]
	v_fma_f64 v[4:5], v[22:23], v[146:147], -v[4:5]
	;; [unrolled: 3-line block ×22, first 2 shown]
	v_add_f64 v[2:3], v[2:3], v[4:5]
	s_waitcnt vmcnt(3) lgkmcnt(0)
	v_mul_f64 v[246:247], v[114:115], v[240:241]
	s_waitcnt vmcnt(2)
	v_fmac_f64_e32 v[246:247], v[116:117], v[244:245]
	v_add_f64 v[242:243], v[242:243], v[246:247]
	buffer_load_dword v246, off, s[0:3], 0 offset:248
	buffer_load_dword v247, off, s[0:3], 0 offset:252
	v_mul_f64 v[4:5], v[108:109], v[224:225]
	v_fma_f64 v[4:5], v[106:107], v[234:235], -v[4:5]
	v_add_f64 v[2:3], v[2:3], v[4:5]
	v_mul_f64 v[4:5], v[112:113], v[232:233]
	v_fma_f64 v[4:5], v[110:111], v[238:239], -v[4:5]
	v_add_f64 v[2:3], v[2:3], v[4:5]
	;; [unrolled: 3-line block ×3, first 2 shown]
	s_waitcnt vmcnt(2)
	v_add_f64 v[2:3], v[248:249], -v[2:3]
	s_waitcnt vmcnt(0)
	v_add_f64 v[4:5], v[246:247], -v[242:243]
	buffer_store_dword v3, off, s[0:3], 0 offset:244
	buffer_store_dword v2, off, s[0:3], 0 offset:240
	;; [unrolled: 1-line block ×4, first 2 shown]
	s_and_saveexec_b64 s[4:5], vcc
	s_cbranch_execz .LBB49_287
; %bb.286:
	v_accvgpr_read_b32 v0, a136
	buffer_load_dword v2, v0, s[0:3], 0 offen
	buffer_load_dword v3, v0, s[0:3], 0 offen offset:4
	buffer_load_dword v4, v0, s[0:3], 0 offen offset:8
	;; [unrolled: 1-line block ×3, first 2 shown]
	v_accvgpr_read_b32 v0, a150
	buffer_store_dword v1, off, s[0:3], 0 offset:224
	buffer_store_dword v1, off, s[0:3], 0 offset:228
	;; [unrolled: 1-line block ×4, first 2 shown]
	s_waitcnt vmcnt(4)
	ds_write_b128 v0, v[2:5]
.LBB49_287:
	s_or_b64 exec, exec, s[4:5]
	s_waitcnt lgkmcnt(0)
	; wave barrier
	s_waitcnt lgkmcnt(0)
	buffer_load_dword v84, off, s[0:3], 0 offset:240
	buffer_load_dword v85, off, s[0:3], 0 offset:244
	;; [unrolled: 1-line block ×34, first 2 shown]
	ds_read_b128 v[74:77], v1 offset:1024
	ds_read_b128 v[78:81], v1 offset:1040
	;; [unrolled: 1-line block ×8, first 2 shown]
	buffer_load_dword v125, off, s[0:3], 0 offset:356
	buffer_load_dword v124, off, s[0:3], 0 offset:352
	ds_read_b128 v[6:9], v1 offset:1152
	buffer_load_dword v127, off, s[0:3], 0 offset:412
	buffer_load_dword v126, off, s[0:3], 0 offset:408
	;; [unrolled: 1-line block ×80, first 2 shown]
	s_waitcnt vmcnt(62) lgkmcnt(8)
	v_mul_f64 v[10:11], v[74:75], v[106:107]
	v_fmac_f64_e32 v[10:11], v[76:77], v[84:85]
	v_add_f64 v[10:11], v[10:11], 0
	v_mul_f64 v[76:77], v[76:77], v[106:107]
	s_waitcnt lgkmcnt(7)
	v_mul_f64 v[12:13], v[78:79], v[96:97]
	v_fmac_f64_e32 v[12:13], v[80:81], v[82:83]
	s_waitcnt lgkmcnt(6)
	v_mul_f64 v[14:15], v[86:87], v[94:95]
	v_add_f64 v[10:11], v[10:11], v[12:13]
	s_waitcnt lgkmcnt(4)
	v_mul_f64 v[18:19], v[98:99], v[108:109]
	v_fma_f64 v[210:211], v[74:75], v[84:85], -v[76:77]
	v_fmac_f64_e32 v[18:19], v[100:101], v[114:115]
	v_mul_f64 v[80:81], v[80:81], v[96:97]
	v_mul_f64 v[16:17], v[90:91], v[116:117]
	v_fma_f64 v[212:213], v[78:79], v[82:83], -v[80:81]
	s_waitcnt lgkmcnt(2)
	v_mul_f64 v[22:23], v[110:111], v[240:241]
	v_mul_f64 v[100:101], v[100:101], v[108:109]
	v_fma_f64 v[216:217], v[98:99], v[114:115], -v[100:101]
	v_mul_f64 v[20:21], v[102:103], v[244:245]
	v_add_f64 v[210:211], v[210:211], 0
	s_waitcnt lgkmcnt(1)
	v_mul_f64 v[24:25], v[2:3], v[118:119]
	v_add_f64 v[210:211], v[210:211], v[212:213]
	v_fmac_f64_e32 v[14:15], v[88:89], v[250:251]
	v_add_f64 v[10:11], v[10:11], v[14:15]
	v_fmac_f64_e32 v[16:17], v[92:93], v[248:249]
	;; [unrolled: 2-line block ×4, first 2 shown]
	v_add_f64 v[10:11], v[10:11], v[20:21]
	v_add_f64 v[10:11], v[10:11], v[22:23]
	s_waitcnt lgkmcnt(0)
	v_mul_f64 v[16:17], v[6:7], v[120:121]
	v_fmac_f64_e32 v[16:17], v[8:9], v[122:123]
	v_fmac_f64_e32 v[24:25], v[4:5], v[124:125]
	v_add_f64 v[14:15], v[10:11], v[24:25]
	ds_read_b128 v[10:13], v1 offset:1168
	v_add_f64 v[18:19], v[14:15], v[16:17]
	ds_read_b128 v[14:17], v1 offset:1184
	v_mul_f64 v[88:89], v[88:89], v[94:95]
	v_mul_f64 v[92:93], v[92:93], v[116:117]
	s_waitcnt lgkmcnt(1)
	v_mul_f64 v[20:21], v[10:11], v[130:131]
	v_fmac_f64_e32 v[20:21], v[12:13], v[132:133]
	s_waitcnt lgkmcnt(0)
	v_mul_f64 v[24:25], v[14:15], v[126:127]
	v_add_f64 v[22:23], v[18:19], v[20:21]
	ds_read_b128 v[18:21], v1 offset:1200
	v_fmac_f64_e32 v[24:25], v[16:17], v[128:129]
	v_add_f64 v[26:27], v[22:23], v[24:25]
	ds_read_b128 v[22:25], v1 offset:1216
	v_fma_f64 v[214:215], v[90:91], v[248:249], -v[92:93]
	s_waitcnt lgkmcnt(1)
	v_mul_f64 v[28:29], v[18:19], v[142:143]
	v_fmac_f64_e32 v[28:29], v[20:21], v[144:145]
	v_add_f64 v[30:31], v[26:27], v[28:29]
	s_waitcnt lgkmcnt(0)
	v_mul_f64 v[32:33], v[22:23], v[134:135]
	ds_read_b128 v[26:29], v1 offset:1232
	v_fmac_f64_e32 v[32:33], v[24:25], v[136:137]
	v_add_f64 v[34:35], v[30:31], v[32:33]
	ds_read_b128 v[30:33], v1 offset:1248
	v_mul_f64 v[104:105], v[104:105], v[244:245]
	s_waitcnt vmcnt(58) lgkmcnt(1)
	v_mul_f64 v[36:37], v[26:27], v[158:159]
	s_waitcnt vmcnt(56)
	v_fmac_f64_e32 v[36:37], v[28:29], v[162:163]
	v_add_f64 v[38:39], v[34:35], v[36:37]
	s_waitcnt lgkmcnt(0)
	v_mul_f64 v[40:41], v[30:31], v[138:139]
	ds_read_b128 v[34:37], v1 offset:1264
	v_fmac_f64_e32 v[40:41], v[32:33], v[140:141]
	v_add_f64 v[42:43], v[38:39], v[40:41]
	ds_read_b128 v[38:41], v1 offset:1280
	v_mul_f64 v[112:113], v[112:113], v[240:241]
	s_waitcnt vmcnt(50) lgkmcnt(1)
	v_mul_f64 v[44:45], v[34:35], v[166:167]
	s_waitcnt vmcnt(48)
	v_fmac_f64_e32 v[44:45], v[36:37], v[170:171]
	v_add_f64 v[46:47], v[42:43], v[44:45]
	s_waitcnt lgkmcnt(0)
	v_mul_f64 v[48:49], v[38:39], v[146:147]
	v_fmac_f64_e32 v[48:49], v[40:41], v[148:149]
	ds_read_b128 v[42:45], v1 offset:1296
	v_add_f64 v[50:51], v[46:47], v[48:49]
	ds_read_b128 v[46:49], v1 offset:1312
	buffer_load_dword v209, off, s[0:3], 0 offset:732
	buffer_load_dword v219, off, s[0:3], 0 offset:716
	;; [unrolled: 1-line block ×12, first 2 shown]
	v_fma_f64 v[252:253], v[110:111], v[242:243], -v[112:113]
	s_waitcnt vmcnt(54) lgkmcnt(1)
	v_mul_f64 v[52:53], v[42:43], v[174:175]
	s_waitcnt vmcnt(52)
	v_fmac_f64_e32 v[52:53], v[44:45], v[178:179]
	v_add_f64 v[54:55], v[50:51], v[52:53]
	ds_read_b128 v[50:53], v1 offset:1328
	s_waitcnt lgkmcnt(1)
	v_mul_f64 v[56:57], v[46:47], v[150:151]
	v_fmac_f64_e32 v[56:57], v[48:49], v[152:153]
	buffer_load_dword v231, off, s[0:3], 0 offset:764
	buffer_load_dword v230, off, s[0:3], 0 offset:760
	buffer_load_dword v233, off, s[0:3], 0 offset:756
	buffer_load_dword v232, off, s[0:3], 0 offset:752
	buffer_load_dword v228, off, s[0:3], 0 offset:792
	buffer_load_dword v237, off, s[0:3], 0 offset:780
	buffer_load_dword v236, off, s[0:3], 0 offset:776
	buffer_load_dword v239, off, s[0:3], 0 offset:772
	buffer_load_dword v238, off, s[0:3], 0 offset:768
	buffer_load_dword v234, off, s[0:3], 0 offset:784
	buffer_load_dword v229, off, s[0:3], 0 offset:796
	buffer_load_dword v235, off, s[0:3], 0 offset:788
	v_add_f64 v[58:59], v[54:55], v[56:57]
	ds_read_b128 v[54:57], v1 offset:1344
	s_waitcnt vmcnt(58) lgkmcnt(1)
	v_mul_f64 v[60:61], v[50:51], v[182:183]
	s_waitcnt vmcnt(56)
	v_fmac_f64_e32 v[60:61], v[52:53], v[186:187]
	v_add_f64 v[62:63], v[58:59], v[60:61]
	ds_read_b128 v[58:61], v1 offset:1360
	s_waitcnt lgkmcnt(1)
	v_mul_f64 v[64:65], v[54:55], v[154:155]
	v_fmac_f64_e32 v[64:65], v[56:57], v[156:157]
	v_add_f64 v[70:71], v[62:63], v[64:65]
	ds_read_b128 v[62:65], v1 offset:1376
	ds_read_b128 v[66:69], v1 offset:1392
	s_waitcnt vmcnt(50) lgkmcnt(2)
	v_mul_f64 v[72:73], v[58:59], v[190:191]
	s_waitcnt vmcnt(48)
	v_fmac_f64_e32 v[72:73], v[60:61], v[192:193]
	v_add_f64 v[70:71], v[70:71], v[72:73]
	s_waitcnt lgkmcnt(1)
	v_mul_f64 v[72:73], v[62:63], v[160:161]
	v_fmac_f64_e32 v[72:73], v[64:65], v[164:165]
	v_add_f64 v[70:71], v[70:71], v[72:73]
	s_waitcnt vmcnt(42) lgkmcnt(0)
	v_mul_f64 v[72:73], v[66:67], v[194:195]
	s_waitcnt vmcnt(40)
	v_fmac_f64_e32 v[72:73], v[68:69], v[196:197]
	v_add_f64 v[204:205], v[70:71], v[72:73]
	ds_read_b128 v[70:73], v1 offset:1408
	ds_read_b128 v[74:77], v1 offset:1424
	;; [unrolled: 1-line block ×5, first 2 shown]
	s_waitcnt lgkmcnt(4)
	v_mul_f64 v[84:85], v[70:71], v[168:169]
	v_fmac_f64_e32 v[84:85], v[72:73], v[172:173]
	v_add_f64 v[82:83], v[204:205], v[84:85]
	s_waitcnt vmcnt(34) lgkmcnt(3)
	v_mul_f64 v[84:85], v[74:75], v[198:199]
	s_waitcnt vmcnt(32)
	v_fmac_f64_e32 v[84:85], v[76:77], v[200:201]
	v_add_f64 v[82:83], v[82:83], v[84:85]
	v_fma_f64 v[204:205], v[86:87], v[250:251], -v[88:89]
	ds_read_b128 v[86:89], v1 offset:1472
	s_waitcnt lgkmcnt(3)
	v_mul_f64 v[84:85], v[78:79], v[176:177]
	v_fmac_f64_e32 v[84:85], v[80:81], v[180:181]
	v_add_f64 v[96:97], v[82:83], v[84:85]
	ds_read_b128 v[82:85], v1 offset:1456
	v_fma_f64 v[250:251], v[102:103], v[246:247], -v[104:105]
	ds_read_b128 v[110:113], v1 offset:1568
	v_add_f64 v[204:205], v[210:211], v[204:205]
	v_add_f64 v[204:205], v[204:205], v[214:215]
	s_waitcnt vmcnt(26) lgkmcnt(1)
	v_mul_f64 v[94:95], v[82:83], v[202:203]
	s_waitcnt vmcnt(24)
	v_fmac_f64_e32 v[94:95], v[84:85], v[206:207]
	v_add_f64 v[94:95], v[96:97], v[94:95]
	v_mul_f64 v[96:97], v[86:87], v[184:185]
	v_fmac_f64_e32 v[96:97], v[88:89], v[188:189]
	v_add_f64 v[106:107], v[94:95], v[96:97]
	ds_read_b128 v[94:97], v1 offset:1504
	v_add_f64 v[254:255], v[204:205], v[216:217]
	v_add_f64 v[204:205], v[254:255], v[250:251]
	v_mul_f64 v[4:5], v[4:5], v[118:119]
	v_add_f64 v[204:205], v[204:205], v[252:253]
	ds_read_b128 v[102:105], v1 offset:1552
	v_fma_f64 v[2:3], v[2:3], v[124:125], -v[4:5]
	v_mul_f64 v[4:5], v[8:9], v[120:121]
	v_add_f64 v[2:3], v[204:205], v[2:3]
	v_fma_f64 v[4:5], v[6:7], v[122:123], -v[4:5]
	v_add_f64 v[2:3], v[2:3], v[4:5]
	v_mul_f64 v[4:5], v[12:13], v[130:131]
	v_fma_f64 v[4:5], v[10:11], v[132:133], -v[4:5]
	v_add_f64 v[2:3], v[2:3], v[4:5]
	v_mul_f64 v[4:5], v[16:17], v[126:127]
	s_waitcnt vmcnt(21)
	v_mul_f64 v[108:109], v[90:91], v[218:219]
	v_fma_f64 v[4:5], v[14:15], v[128:129], -v[4:5]
	s_waitcnt vmcnt(19)
	v_fmac_f64_e32 v[108:109], v[92:93], v[224:225]
	v_add_f64 v[106:107], v[106:107], v[108:109]
	s_waitcnt vmcnt(18) lgkmcnt(1)
	v_mul_f64 v[108:109], v[94:95], v[208:209]
	s_waitcnt vmcnt(16)
	v_fmac_f64_e32 v[108:109], v[96:97], v[222:223]
	v_add_f64 v[114:115], v[106:107], v[108:109]
	ds_read_b128 v[106:109], v1 offset:1536
	buffer_load_dword v243, off, s[0:3], 0 offset:812
	buffer_load_dword v242, off, s[0:3], 0 offset:808
	;; [unrolled: 1-line block ×4, first 2 shown]
	s_waitcnt vmcnt(18)
	v_mul_f64 v[116:117], v[98:99], v[220:221]
	s_waitcnt vmcnt(16)
	v_fmac_f64_e32 v[116:117], v[100:101], v[226:227]
	v_add_f64 v[114:115], v[114:115], v[116:117]
	s_waitcnt vmcnt(14) lgkmcnt(0)
	v_mul_f64 v[116:117], v[106:107], v[230:231]
	s_waitcnt vmcnt(12)
	v_fmac_f64_e32 v[116:117], v[108:109], v[232:233]
	v_add_f64 v[114:115], v[114:115], v[116:117]
	s_waitcnt vmcnt(9)
	v_mul_f64 v[116:117], v[102:103], v[236:237]
	s_waitcnt vmcnt(7)
	v_fmac_f64_e32 v[116:117], v[104:105], v[238:239]
	v_add_f64 v[114:115], v[114:115], v[116:117]
	s_waitcnt vmcnt(5)
	v_mul_f64 v[116:117], v[110:111], v[228:229]
	s_waitcnt vmcnt(4)
	v_fmac_f64_e32 v[116:117], v[112:113], v[234:235]
	v_add_f64 v[240:241], v[114:115], v[116:117]
	ds_read_b128 v[114:117], v1 offset:1584
	v_add_f64 v[2:3], v[2:3], v[4:5]
	v_mul_f64 v[4:5], v[20:21], v[142:143]
	v_fma_f64 v[4:5], v[18:19], v[144:145], -v[4:5]
	v_add_f64 v[2:3], v[2:3], v[4:5]
	v_mul_f64 v[4:5], v[24:25], v[134:135]
	v_fma_f64 v[4:5], v[22:23], v[136:137], -v[4:5]
	;; [unrolled: 3-line block ×21, first 2 shown]
	v_add_f64 v[2:3], v[2:3], v[4:5]
	s_waitcnt vmcnt(2) lgkmcnt(0)
	v_mul_f64 v[246:247], v[114:115], v[242:243]
	v_mul_f64 v[4:5], v[108:109], v[230:231]
	s_waitcnt vmcnt(0)
	v_fmac_f64_e32 v[246:247], v[116:117], v[244:245]
	v_add_f64 v[240:241], v[240:241], v[246:247]
	buffer_load_dword v248, off, s[0:3], 0 offset:224
	buffer_load_dword v249, off, s[0:3], 0 offset:228
	;; [unrolled: 1-line block ×4, first 2 shown]
	v_fma_f64 v[4:5], v[106:107], v[232:233], -v[4:5]
	v_add_f64 v[2:3], v[2:3], v[4:5]
	v_mul_f64 v[4:5], v[104:105], v[236:237]
	v_fma_f64 v[4:5], v[102:103], v[238:239], -v[4:5]
	v_add_f64 v[2:3], v[2:3], v[4:5]
	v_mul_f64 v[4:5], v[112:113], v[228:229]
	;; [unrolled: 3-line block ×3, first 2 shown]
	v_fma_f64 v[4:5], v[114:115], v[244:245], -v[4:5]
	v_add_f64 v[2:3], v[2:3], v[4:5]
	v_accvgpr_read_b32 v254, a149
	v_cmp_lt_u32_e32 vcc, 12, v254
	s_waitcnt vmcnt(2)
	v_add_f64 v[2:3], v[248:249], -v[2:3]
	s_waitcnt vmcnt(0)
	v_add_f64 v[4:5], v[246:247], -v[240:241]
	buffer_store_dword v3, off, s[0:3], 0 offset:228
	buffer_store_dword v2, off, s[0:3], 0 offset:224
	;; [unrolled: 1-line block ×4, first 2 shown]
	s_and_saveexec_b64 s[4:5], vcc
	s_cbranch_execz .LBB49_289
; %bb.288:
	v_accvgpr_read_b32 v0, a137
	buffer_load_dword v2, v0, s[0:3], 0 offen
	buffer_load_dword v3, v0, s[0:3], 0 offen offset:4
	buffer_load_dword v4, v0, s[0:3], 0 offen offset:8
	;; [unrolled: 1-line block ×3, first 2 shown]
	v_mov_b32_e32 v0, 0
	v_accvgpr_read_b32 v1, a150
	buffer_store_dword v0, off, s[0:3], 0 offset:208
	buffer_store_dword v0, off, s[0:3], 0 offset:212
	;; [unrolled: 1-line block ×4, first 2 shown]
	s_waitcnt vmcnt(4)
	ds_write_b128 v1, v[2:5]
.LBB49_289:
	s_or_b64 exec, exec, s[4:5]
	s_waitcnt lgkmcnt(0)
	; wave barrier
	s_waitcnt lgkmcnt(0)
	buffer_load_dword v66, off, s[0:3], 0 offset:224
	buffer_load_dword v67, off, s[0:3], 0 offset:228
	;; [unrolled: 1-line block ×55, first 2 shown]
	v_mov_b32_e32 v1, 0
	ds_read_b128 v[74:77], v1 offset:1008
	ds_read_b128 v[86:89], v1 offset:1024
	;; [unrolled: 1-line block ×9, first 2 shown]
	buffer_load_dword v136, off, s[0:3], 0 offset:448
	buffer_load_dword v155, off, s[0:3], 0 offset:444
	;; [unrolled: 1-line block ×61, first 2 shown]
	v_cmp_lt_u32_e32 vcc, 11, v254
	s_waitcnt vmcnt(62) lgkmcnt(8)
	v_mul_f64 v[6:7], v[74:75], v[68:69]
	v_fmac_f64_e32 v[6:7], v[76:77], v[66:67]
	v_add_f64 v[6:7], v[6:7], 0
	v_mul_f64 v[68:69], v[76:77], v[68:69]
	s_waitcnt lgkmcnt(7)
	v_mul_f64 v[8:9], v[86:87], v[72:73]
	v_fmac_f64_e32 v[8:9], v[88:89], v[70:71]
	s_waitcnt lgkmcnt(6)
	v_mul_f64 v[10:11], v[98:99], v[78:79]
	v_add_f64 v[6:7], v[6:7], v[8:9]
	s_waitcnt lgkmcnt(4)
	v_mul_f64 v[14:15], v[114:115], v[90:91]
	v_fma_f64 v[210:211], v[74:75], v[66:67], -v[68:69]
	v_fmac_f64_e32 v[14:15], v[116:117], v[92:93]
	v_mul_f64 v[72:73], v[88:89], v[72:73]
	v_mul_f64 v[12:13], v[110:111], v[82:83]
	;; [unrolled: 1-line block ×3, first 2 shown]
	s_waitcnt lgkmcnt(2)
	v_mul_f64 v[18:19], v[244:245], v[102:103]
	v_mul_f64 v[82:83], v[112:113], v[82:83]
	;; [unrolled: 1-line block ×4, first 2 shown]
	v_fma_f64 v[216:217], v[114:115], v[92:93], -v[90:91]
	s_waitcnt lgkmcnt(1)
	v_mul_f64 v[20:21], v[248:249], v[106:107]
	v_fmac_f64_e32 v[20:21], v[250:251], v[108:109]
	v_fmac_f64_e32 v[10:11], v[100:101], v[80:81]
	v_add_f64 v[6:7], v[6:7], v[10:11]
	v_fmac_f64_e32 v[12:13], v[112:113], v[84:85]
	v_add_f64 v[6:7], v[6:7], v[12:13]
	v_fmac_f64_e32 v[16:17], v[242:243], v[96:97]
	v_add_f64 v[6:7], v[6:7], v[14:15]
	v_fmac_f64_e32 v[18:19], v[246:247], v[104:105]
	v_add_f64 v[6:7], v[6:7], v[16:17]
	v_add_f64 v[6:7], v[6:7], v[18:19]
	v_add_f64 v[10:11], v[6:7], v[20:21]
	ds_read_b128 v[6:9], v1 offset:1152
	s_waitcnt lgkmcnt(1)
	v_mul_f64 v[12:13], v[2:3], v[118:119]
	v_fmac_f64_e32 v[12:13], v[4:5], v[120:121]
	v_add_f64 v[14:15], v[10:11], v[12:13]
	ds_read_b128 v[10:13], v1 offset:1168
	s_waitcnt lgkmcnt(1)
	v_mul_f64 v[16:17], v[6:7], v[126:127]
	v_fmac_f64_e32 v[16:17], v[8:9], v[128:129]
	;; [unrolled: 5-line block ×5, first 2 shown]
	v_add_f64 v[30:31], v[26:27], v[28:29]
	ds_read_b128 v[26:29], v1 offset:1232
	s_waitcnt vmcnt(58) lgkmcnt(1)
	v_mul_f64 v[32:33], v[22:23], v[154:155]
	s_waitcnt vmcnt(56)
	v_fmac_f64_e32 v[32:33], v[24:25], v[158:159]
	v_add_f64 v[34:35], v[30:31], v[32:33]
	ds_read_b128 v[30:33], v1 offset:1248
	s_waitcnt lgkmcnt(1)
	v_mul_f64 v[36:37], v[26:27], v[134:135]
	v_fmac_f64_e32 v[36:37], v[28:29], v[136:137]
	v_add_f64 v[38:39], v[34:35], v[36:37]
	ds_read_b128 v[34:37], v1 offset:1264
	s_waitcnt vmcnt(50) lgkmcnt(1)
	v_mul_f64 v[40:41], v[30:31], v[162:163]
	s_waitcnt vmcnt(48)
	v_fmac_f64_e32 v[40:41], v[32:33], v[166:167]
	v_add_f64 v[42:43], v[38:39], v[40:41]
	ds_read_b128 v[38:41], v1 offset:1280
	s_waitcnt lgkmcnt(1)
	v_mul_f64 v[44:45], v[34:35], v[142:143]
	v_fmac_f64_e32 v[44:45], v[36:37], v[144:145]
	v_add_f64 v[46:47], v[42:43], v[44:45]
	ds_read_b128 v[42:45], v1 offset:1296
	s_waitcnt vmcnt(42) lgkmcnt(1)
	v_mul_f64 v[48:49], v[38:39], v[170:171]
	s_waitcnt vmcnt(40)
	v_fmac_f64_e32 v[48:49], v[40:41], v[174:175]
	v_add_f64 v[50:51], v[46:47], v[48:49]
	ds_read_b128 v[46:49], v1 offset:1312
	buffer_load_dword v203, off, s[0:3], 0 offset:700
	buffer_load_dword v202, off, s[0:3], 0 offset:696
	;; [unrolled: 1-line block ×4, first 2 shown]
	s_waitcnt lgkmcnt(1)
	v_mul_f64 v[52:53], v[42:43], v[146:147]
	v_fmac_f64_e32 v[52:53], v[44:45], v[148:149]
	v_add_f64 v[54:55], v[50:51], v[52:53]
	ds_read_b128 v[50:53], v1 offset:1328
	buffer_load_dword v209, off, s[0:3], 0 offset:716
	buffer_load_dword v208, off, s[0:3], 0 offset:712
	;; [unrolled: 1-line block ×8, first 2 shown]
	s_waitcnt vmcnt(46) lgkmcnt(1)
	v_mul_f64 v[56:57], v[46:47], v[178:179]
	s_waitcnt vmcnt(44)
	v_fmac_f64_e32 v[56:57], v[48:49], v[182:183]
	v_add_f64 v[58:59], v[54:55], v[56:57]
	ds_read_b128 v[54:57], v1 offset:1344
	buffer_load_dword v227, off, s[0:3], 0 offset:748
	buffer_load_dword v226, off, s[0:3], 0 offset:744
	buffer_load_dword v229, off, s[0:3], 0 offset:740
	buffer_load_dword v228, off, s[0:3], 0 offset:736
	buffer_load_dword v224, off, s[0:3], 0 offset:776
	buffer_load_dword v233, off, s[0:3], 0 offset:764
	buffer_load_dword v232, off, s[0:3], 0 offset:760
	buffer_load_dword v235, off, s[0:3], 0 offset:756
	buffer_load_dword v234, off, s[0:3], 0 offset:752
	buffer_load_dword v230, off, s[0:3], 0 offset:768
	buffer_load_dword v225, off, s[0:3], 0 offset:780
	buffer_load_dword v231, off, s[0:3], 0 offset:772
	s_waitcnt lgkmcnt(1)
	v_mul_f64 v[60:61], v[50:51], v[150:151]
	v_fmac_f64_e32 v[60:61], v[52:53], v[152:153]
	v_add_f64 v[62:63], v[58:59], v[60:61]
	ds_read_b128 v[58:61], v1 offset:1360
	s_waitcnt vmcnt(50) lgkmcnt(1)
	v_mul_f64 v[64:65], v[54:55], v[186:187]
	s_waitcnt vmcnt(48)
	v_fmac_f64_e32 v[64:65], v[56:57], v[188:189]
	v_add_f64 v[62:63], v[62:63], v[64:65]
	buffer_load_dword v237, off, s[0:3], 0 offset:796
	buffer_load_dword v236, off, s[0:3], 0 offset:792
	;; [unrolled: 1-line block ×4, first 2 shown]
	s_waitcnt lgkmcnt(0)
	v_mul_f64 v[64:65], v[58:59], v[156:157]
	v_fmac_f64_e32 v[64:65], v[60:61], v[160:161]
	v_add_f64 v[204:205], v[62:63], v[64:65]
	ds_read_b128 v[62:65], v1 offset:1376
	ds_read_b128 v[66:69], v1 offset:1392
	v_fma_f64 v[212:213], v[98:99], v[80:81], -v[78:79]
	ds_read_b128 v[78:81], v1 offset:1440
	v_fma_f64 v[214:215], v[110:111], v[84:85], -v[82:83]
	ds_read_b128 v[82:85], v1 offset:1456
	s_waitcnt vmcnt(46) lgkmcnt(3)
	v_mul_f64 v[74:75], v[62:63], v[190:191]
	s_waitcnt vmcnt(44)
	v_fmac_f64_e32 v[74:75], v[64:65], v[192:193]
	v_add_f64 v[74:75], v[204:205], v[74:75]
	v_fma_f64 v[204:205], v[86:87], v[70:71], -v[72:73]
	ds_read_b128 v[70:73], v1 offset:1408
	s_waitcnt lgkmcnt(3)
	v_mul_f64 v[76:77], v[66:67], v[164:165]
	v_fmac_f64_e32 v[76:77], v[68:69], v[168:169]
	v_add_f64 v[86:87], v[74:75], v[76:77]
	ds_read_b128 v[74:77], v1 offset:1424
	s_waitcnt vmcnt(38) lgkmcnt(1)
	v_mul_f64 v[88:89], v[70:71], v[194:195]
	s_waitcnt vmcnt(36)
	v_fmac_f64_e32 v[88:89], v[72:73], v[196:197]
	v_add_f64 v[86:87], v[86:87], v[88:89]
	ds_read_b128 v[90:93], v1 offset:1488
	s_waitcnt lgkmcnt(1)
	v_mul_f64 v[88:89], v[74:75], v[172:173]
	v_fmac_f64_e32 v[88:89], v[76:77], v[176:177]
	v_add_f64 v[86:87], v[86:87], v[88:89]
	s_waitcnt vmcnt(30)
	v_mul_f64 v[88:89], v[78:79], v[198:199]
	s_waitcnt vmcnt(28)
	v_fmac_f64_e32 v[88:89], v[80:81], v[200:201]
	v_add_f64 v[86:87], v[86:87], v[88:89]
	v_mul_f64 v[88:89], v[82:83], v[180:181]
	v_fmac_f64_e32 v[88:89], v[84:85], v[184:185]
	v_add_f64 v[98:99], v[86:87], v[88:89]
	ds_read_b128 v[86:89], v1 offset:1472
	v_mul_f64 v[94:95], v[242:243], v[94:95]
	v_fma_f64 v[252:253], v[240:241], v[96:97], -v[94:95]
	ds_read_b128 v[94:97], v1 offset:1504
	v_mul_f64 v[102:103], v[246:247], v[102:103]
	v_fma_f64 v[246:247], v[244:245], v[104:105], -v[102:103]
	;; [unrolled: 3-line block ×3, first 2 shown]
	v_add_f64 v[210:211], v[210:211], 0
	v_add_f64 v[204:205], v[210:211], v[204:205]
	;; [unrolled: 1-line block ×7, first 2 shown]
	v_mul_f64 v[4:5], v[4:5], v[118:119]
	v_add_f64 v[204:205], v[252:253], v[250:251]
	v_fma_f64 v[2:3], v[2:3], v[120:121], -v[4:5]
	v_mul_f64 v[4:5], v[8:9], v[126:127]
	v_add_f64 v[2:3], v[204:205], v[2:3]
	v_fma_f64 v[4:5], v[6:7], v[128:129], -v[4:5]
	v_add_f64 v[2:3], v[2:3], v[4:5]
	ds_read_b128 v[106:109], v1 offset:1552
	v_mul_f64 v[4:5], v[12:13], v[122:123]
	v_fma_f64 v[4:5], v[10:11], v[124:125], -v[4:5]
	v_add_f64 v[2:3], v[2:3], v[4:5]
	s_waitcnt vmcnt(26) lgkmcnt(3)
	v_mul_f64 v[100:101], v[86:87], v[202:203]
	v_mul_f64 v[4:5], v[16:17], v[138:139]
	s_waitcnt vmcnt(24)
	v_fmac_f64_e32 v[100:101], v[88:89], v[206:207]
	v_add_f64 v[98:99], v[98:99], v[100:101]
	s_waitcnt vmcnt(22)
	v_mul_f64 v[100:101], v[90:91], v[208:209]
	s_waitcnt vmcnt(20)
	v_fmac_f64_e32 v[100:101], v[92:93], v[220:221]
	v_add_f64 v[98:99], v[98:99], v[100:101]
	s_waitcnt vmcnt(18) lgkmcnt(2)
	v_mul_f64 v[100:101], v[94:95], v[218:219]
	s_waitcnt vmcnt(16)
	v_fmac_f64_e32 v[100:101], v[96:97], v[222:223]
	v_add_f64 v[110:111], v[98:99], v[100:101]
	ds_read_b128 v[98:101], v1 offset:1520
	v_fma_f64 v[4:5], v[14:15], v[140:141], -v[4:5]
	v_add_f64 v[2:3], v[2:3], v[4:5]
	v_mul_f64 v[4:5], v[20:21], v[130:131]
	v_fma_f64 v[4:5], v[18:19], v[132:133], -v[4:5]
	s_waitcnt vmcnt(14) lgkmcnt(0)
	v_mul_f64 v[112:113], v[98:99], v[226:227]
	s_waitcnt vmcnt(12)
	v_fmac_f64_e32 v[112:113], v[100:101], v[228:229]
	v_add_f64 v[110:111], v[110:111], v[112:113]
	s_waitcnt vmcnt(9)
	v_mul_f64 v[112:113], v[102:103], v[232:233]
	s_waitcnt vmcnt(7)
	v_fmac_f64_e32 v[112:113], v[104:105], v[234:235]
	v_add_f64 v[110:111], v[110:111], v[112:113]
	s_waitcnt vmcnt(5)
	v_mul_f64 v[112:113], v[106:107], v[224:225]
	s_waitcnt vmcnt(4)
	v_fmac_f64_e32 v[112:113], v[108:109], v[230:231]
	v_add_f64 v[114:115], v[110:111], v[112:113]
	ds_read_b128 v[110:113], v1 offset:1568
	buffer_load_dword v242, off, s[0:3], 0 offset:808
	buffer_load_dword v243, off, s[0:3], 0 offset:812
	;; [unrolled: 1-line block ×4, first 2 shown]
	v_add_f64 v[2:3], v[2:3], v[4:5]
	v_mul_f64 v[4:5], v[24:25], v[154:155]
	v_fma_f64 v[4:5], v[22:23], v[158:159], -v[4:5]
	s_waitcnt vmcnt(6) lgkmcnt(0)
	v_mul_f64 v[116:117], v[110:111], v[236:237]
	s_waitcnt vmcnt(4)
	v_fmac_f64_e32 v[116:117], v[112:113], v[238:239]
	v_add_f64 v[240:241], v[114:115], v[116:117]
	ds_read_b128 v[114:117], v1 offset:1584
	v_add_f64 v[2:3], v[2:3], v[4:5]
	v_mul_f64 v[4:5], v[28:29], v[134:135]
	v_fma_f64 v[4:5], v[26:27], v[136:137], -v[4:5]
	v_add_f64 v[2:3], v[2:3], v[4:5]
	v_mul_f64 v[4:5], v[32:33], v[162:163]
	v_fma_f64 v[4:5], v[30:31], v[166:167], -v[4:5]
	v_add_f64 v[2:3], v[2:3], v[4:5]
	v_mul_f64 v[4:5], v[36:37], v[142:143]
	v_fma_f64 v[4:5], v[34:35], v[144:145], -v[4:5]
	v_add_f64 v[2:3], v[2:3], v[4:5]
	v_mul_f64 v[4:5], v[40:41], v[170:171]
	v_fma_f64 v[4:5], v[38:39], v[174:175], -v[4:5]
	v_add_f64 v[2:3], v[2:3], v[4:5]
	v_mul_f64 v[4:5], v[44:45], v[146:147]
	v_fma_f64 v[4:5], v[42:43], v[148:149], -v[4:5]
	v_add_f64 v[2:3], v[2:3], v[4:5]
	v_mul_f64 v[4:5], v[48:49], v[178:179]
	v_fma_f64 v[4:5], v[46:47], v[182:183], -v[4:5]
	v_add_f64 v[2:3], v[2:3], v[4:5]
	v_mul_f64 v[4:5], v[52:53], v[150:151]
	v_fma_f64 v[4:5], v[50:51], v[152:153], -v[4:5]
	v_add_f64 v[2:3], v[2:3], v[4:5]
	v_mul_f64 v[4:5], v[56:57], v[186:187]
	v_fma_f64 v[4:5], v[54:55], v[188:189], -v[4:5]
	v_add_f64 v[2:3], v[2:3], v[4:5]
	v_mul_f64 v[4:5], v[60:61], v[156:157]
	v_fma_f64 v[4:5], v[58:59], v[160:161], -v[4:5]
	v_add_f64 v[2:3], v[2:3], v[4:5]
	v_mul_f64 v[4:5], v[64:65], v[190:191]
	v_fma_f64 v[4:5], v[62:63], v[192:193], -v[4:5]
	v_add_f64 v[2:3], v[2:3], v[4:5]
	v_mul_f64 v[4:5], v[68:69], v[164:165]
	v_fma_f64 v[4:5], v[66:67], v[168:169], -v[4:5]
	v_add_f64 v[2:3], v[2:3], v[4:5]
	v_mul_f64 v[4:5], v[72:73], v[194:195]
	v_fma_f64 v[4:5], v[70:71], v[196:197], -v[4:5]
	v_add_f64 v[2:3], v[2:3], v[4:5]
	v_mul_f64 v[4:5], v[76:77], v[172:173]
	v_fma_f64 v[4:5], v[74:75], v[176:177], -v[4:5]
	v_add_f64 v[2:3], v[2:3], v[4:5]
	v_mul_f64 v[4:5], v[80:81], v[198:199]
	v_fma_f64 v[4:5], v[78:79], v[200:201], -v[4:5]
	v_add_f64 v[2:3], v[2:3], v[4:5]
	v_mul_f64 v[4:5], v[84:85], v[180:181]
	v_fma_f64 v[4:5], v[82:83], v[184:185], -v[4:5]
	v_add_f64 v[2:3], v[2:3], v[4:5]
	v_mul_f64 v[4:5], v[88:89], v[202:203]
	v_fma_f64 v[4:5], v[86:87], v[206:207], -v[4:5]
	v_add_f64 v[2:3], v[2:3], v[4:5]
	v_mul_f64 v[4:5], v[92:93], v[208:209]
	v_fma_f64 v[4:5], v[90:91], v[220:221], -v[4:5]
	v_add_f64 v[2:3], v[2:3], v[4:5]
	v_mul_f64 v[4:5], v[96:97], v[218:219]
	v_fma_f64 v[4:5], v[94:95], v[222:223], -v[4:5]
	v_add_f64 v[2:3], v[2:3], v[4:5]
	v_mul_f64 v[4:5], v[100:101], v[226:227]
	v_fma_f64 v[4:5], v[98:99], v[228:229], -v[4:5]
	v_add_f64 v[2:3], v[2:3], v[4:5]
	v_mul_f64 v[4:5], v[104:105], v[232:233]
	v_fma_f64 v[4:5], v[102:103], v[234:235], -v[4:5]
	v_add_f64 v[2:3], v[2:3], v[4:5]
	v_mul_f64 v[4:5], v[108:109], v[224:225]
	v_fma_f64 v[4:5], v[106:107], v[230:231], -v[4:5]
	v_add_f64 v[2:3], v[2:3], v[4:5]
	v_mul_f64 v[4:5], v[112:113], v[236:237]
	v_fma_f64 v[4:5], v[110:111], v[238:239], -v[4:5]
	v_add_f64 v[2:3], v[2:3], v[4:5]
	s_waitcnt vmcnt(2) lgkmcnt(0)
	v_mul_f64 v[248:249], v[114:115], v[242:243]
	v_mul_f64 v[4:5], v[116:117], v[242:243]
	s_waitcnt vmcnt(0)
	v_fmac_f64_e32 v[248:249], v[116:117], v[244:245]
	v_add_f64 v[240:241], v[240:241], v[248:249]
	buffer_load_dword v248, off, s[0:3], 0 offset:208
	buffer_load_dword v249, off, s[0:3], 0 offset:212
	buffer_load_dword v246, off, s[0:3], 0 offset:216
	buffer_load_dword v247, off, s[0:3], 0 offset:220
	v_fma_f64 v[4:5], v[114:115], v[244:245], -v[4:5]
	v_add_f64 v[2:3], v[2:3], v[4:5]
	s_waitcnt vmcnt(2)
	v_add_f64 v[2:3], v[248:249], -v[2:3]
	s_waitcnt vmcnt(0)
	v_add_f64 v[4:5], v[246:247], -v[240:241]
	buffer_store_dword v3, off, s[0:3], 0 offset:212
	buffer_store_dword v2, off, s[0:3], 0 offset:208
	;; [unrolled: 1-line block ×4, first 2 shown]
	s_and_saveexec_b64 s[4:5], vcc
	s_cbranch_execz .LBB49_291
; %bb.290:
	v_accvgpr_read_b32 v0, a138
	buffer_load_dword v2, v0, s[0:3], 0 offen
	buffer_load_dword v3, v0, s[0:3], 0 offen offset:4
	buffer_load_dword v4, v0, s[0:3], 0 offen offset:8
	;; [unrolled: 1-line block ×3, first 2 shown]
	v_accvgpr_read_b32 v0, a150
	buffer_store_dword v1, off, s[0:3], 0 offset:192
	buffer_store_dword v1, off, s[0:3], 0 offset:196
	;; [unrolled: 1-line block ×4, first 2 shown]
	s_waitcnt vmcnt(4)
	ds_write_b128 v0, v[2:5]
.LBB49_291:
	s_or_b64 exec, exec, s[4:5]
	s_waitcnt lgkmcnt(0)
	; wave barrier
	s_waitcnt lgkmcnt(0)
	buffer_load_dword v66, off, s[0:3], 0 offset:208
	buffer_load_dword v67, off, s[0:3], 0 offset:212
	;; [unrolled: 1-line block ×42, first 2 shown]
	ds_read_b128 v[78:81], v1 offset:992
	ds_read_b128 v[90:93], v1 offset:1008
	;; [unrolled: 1-line block ×10, first 2 shown]
	buffer_load_dword v129, off, s[0:3], 0 offset:356
	buffer_load_dword v128, off, s[0:3], 0 offset:352
	ds_read_b128 v[6:9], v1 offset:1152
	buffer_load_dword v125, off, s[0:3], 0 offset:412
	buffer_load_dword v124, off, s[0:3], 0 offset:408
	;; [unrolled: 1-line block ×80, first 2 shown]
	s_waitcnt vmcnt(62) lgkmcnt(10)
	v_mul_f64 v[10:11], v[78:79], v[68:69]
	v_fmac_f64_e32 v[10:11], v[80:81], v[66:67]
	v_add_f64 v[10:11], v[10:11], 0
	v_mul_f64 v[68:69], v[80:81], v[68:69]
	s_waitcnt lgkmcnt(9)
	v_mul_f64 v[12:13], v[90:91], v[64:65]
	v_fmac_f64_e32 v[12:13], v[92:93], v[62:63]
	s_waitcnt lgkmcnt(8)
	v_mul_f64 v[14:15], v[102:103], v[70:71]
	v_add_f64 v[10:11], v[10:11], v[12:13]
	s_waitcnt lgkmcnt(6)
	v_mul_f64 v[18:19], v[114:115], v[82:83]
	v_mul_f64 v[64:65], v[92:93], v[64:65]
	v_fmac_f64_e32 v[18:19], v[116:117], v[84:85]
	v_fma_f64 v[212:213], v[90:91], v[62:63], -v[64:65]
	v_mul_f64 v[16:17], v[110:111], v[74:75]
	v_fma_f64 v[210:211], v[78:79], v[66:67], -v[68:69]
	s_waitcnt lgkmcnt(4)
	v_mul_f64 v[22:23], v[244:245], v[94:95]
	v_mul_f64 v[70:71], v[104:105], v[70:71]
	v_fmac_f64_e32 v[22:23], v[246:247], v[96:97]
	v_mul_f64 v[74:75], v[112:113], v[74:75]
	v_mul_f64 v[20:21], v[240:241], v[86:87]
	;; [unrolled: 1-line block ×3, first 2 shown]
	s_waitcnt lgkmcnt(2)
	v_mul_f64 v[26:27], v[252:253], v[106:107]
	v_fma_f64 v[216:217], v[114:115], v[84:85], -v[82:83]
	v_mul_f64 v[86:87], v[242:243], v[86:87]
	v_mul_f64 v[24:25], v[248:249], v[98:99]
	;; [unrolled: 1-line block ×3, first 2 shown]
	s_waitcnt lgkmcnt(1)
	v_mul_f64 v[28:29], v[118:119], v[4:5]
	v_fma_f64 v[246:247], v[244:245], v[96:97], -v[94:95]
	v_fmac_f64_e32 v[14:15], v[104:105], v[72:73]
	v_add_f64 v[10:11], v[10:11], v[14:15]
	v_fmac_f64_e32 v[16:17], v[112:113], v[76:77]
	v_add_f64 v[10:11], v[10:11], v[16:17]
	;; [unrolled: 2-line block ×3, first 2 shown]
	v_add_f64 v[10:11], v[10:11], v[20:21]
	v_fmac_f64_e32 v[24:25], v[250:251], v[100:101]
	v_add_f64 v[10:11], v[10:11], v[22:23]
	v_fmac_f64_e32 v[26:27], v[254:255], v[108:109]
	v_add_f64 v[10:11], v[10:11], v[24:25]
	v_add_f64 v[10:11], v[10:11], v[26:27]
	s_waitcnt lgkmcnt(0)
	v_mul_f64 v[16:17], v[6:7], v[2:3]
	v_fmac_f64_e32 v[28:29], v[120:121], v[128:129]
	v_add_f64 v[14:15], v[10:11], v[28:29]
	ds_read_b128 v[10:13], v1 offset:1168
	v_fmac_f64_e32 v[16:17], v[8:9], v[122:123]
	v_add_f64 v[18:19], v[14:15], v[16:17]
	ds_read_b128 v[14:17], v1 offset:1184
	v_fma_f64 v[214:215], v[110:111], v[76:77], -v[74:75]
	s_waitcnt lgkmcnt(1)
	v_mul_f64 v[20:21], v[10:11], v[130:131]
	v_fmac_f64_e32 v[20:21], v[12:13], v[146:147]
	v_add_f64 v[22:23], v[18:19], v[20:21]
	ds_read_b128 v[18:21], v1 offset:1200
	s_waitcnt lgkmcnt(1)
	v_mul_f64 v[24:25], v[14:15], v[124:125]
	v_fmac_f64_e32 v[24:25], v[16:17], v[126:127]
	v_add_f64 v[26:27], v[22:23], v[24:25]
	ds_read_b128 v[22:25], v1 offset:1216
	;; [unrolled: 5-line block ×4, first 2 shown]
	s_waitcnt vmcnt(58) lgkmcnt(1)
	v_mul_f64 v[36:37], v[26:27], v[158:159]
	s_waitcnt vmcnt(56)
	v_fmac_f64_e32 v[36:37], v[28:29], v[162:163]
	v_add_f64 v[38:39], v[34:35], v[36:37]
	ds_read_b128 v[34:37], v1 offset:1264
	s_waitcnt lgkmcnt(1)
	v_mul_f64 v[40:41], v[30:31], v[136:137]
	v_fmac_f64_e32 v[40:41], v[32:33], v[138:139]
	v_add_f64 v[42:43], v[38:39], v[40:41]
	ds_read_b128 v[38:41], v1 offset:1280
	s_waitcnt vmcnt(50) lgkmcnt(1)
	v_mul_f64 v[44:45], v[34:35], v[166:167]
	s_waitcnt vmcnt(48)
	v_fmac_f64_e32 v[44:45], v[36:37], v[170:171]
	v_add_f64 v[46:47], v[42:43], v[44:45]
	ds_read_b128 v[42:45], v1 offset:1296
	s_waitcnt lgkmcnt(1)
	v_mul_f64 v[48:49], v[38:39], v[140:141]
	v_fmac_f64_e32 v[48:49], v[40:41], v[142:143]
	v_add_f64 v[50:51], v[46:47], v[48:49]
	ds_read_b128 v[46:49], v1 offset:1312
	s_waitcnt vmcnt(42) lgkmcnt(1)
	v_mul_f64 v[52:53], v[42:43], v[174:175]
	s_waitcnt vmcnt(40)
	v_fmac_f64_e32 v[52:53], v[44:45], v[178:179]
	v_add_f64 v[54:55], v[50:51], v[52:53]
	ds_read_b128 v[50:53], v1 offset:1328
	s_waitcnt lgkmcnt(1)
	v_mul_f64 v[56:57], v[46:47], v[144:145]
	buffer_load_dword v209, off, s[0:3], 0 offset:716
	buffer_load_dword v208, off, s[0:3], 0 offset:712
	;; [unrolled: 1-line block ×4, first 2 shown]
	v_fmac_f64_e32 v[56:57], v[48:49], v[148:149]
	v_add_f64 v[58:59], v[54:55], v[56:57]
	ds_read_b128 v[54:57], v1 offset:1344
	buffer_load_dword v222, off, s[0:3], 0 offset:728
	buffer_load_dword v224, off, s[0:3], 0 offset:720
	;; [unrolled: 1-line block ×16, first 2 shown]
	s_waitcnt vmcnt(54) lgkmcnt(1)
	v_mul_f64 v[60:61], v[50:51], v[182:183]
	s_waitcnt vmcnt(52)
	v_fmac_f64_e32 v[60:61], v[52:53], v[186:187]
	v_add_f64 v[204:205], v[58:59], v[60:61]
	ds_read_b128 v[58:61], v1 offset:1360
	buffer_load_dword v236, off, s[0:3], 0 offset:792
	buffer_load_dword v238, off, s[0:3], 0 offset:784
	;; [unrolled: 1-line block ×4, first 2 shown]
	ds_read_b128 v[62:65], v1 offset:1376
	s_waitcnt lgkmcnt(2)
	v_mul_f64 v[66:67], v[54:55], v[152:153]
	v_fmac_f64_e32 v[66:67], v[56:57], v[156:157]
	s_waitcnt vmcnt(50) lgkmcnt(1)
	v_mul_f64 v[68:69], v[58:59], v[190:191]
	v_add_f64 v[66:67], v[204:205], v[66:67]
	s_waitcnt vmcnt(48)
	v_fmac_f64_e32 v[68:69], v[60:61], v[192:193]
	v_add_f64 v[66:67], v[66:67], v[68:69]
	v_fma_f64 v[204:205], v[102:103], v[72:73], -v[70:71]
	ds_read_b128 v[70:73], v1 offset:1408
	s_waitcnt lgkmcnt(1)
	v_mul_f64 v[68:69], v[62:63], v[160:161]
	v_fmac_f64_e32 v[68:69], v[64:65], v[164:165]
	v_add_f64 v[78:79], v[66:67], v[68:69]
	ds_read_b128 v[66:69], v1 offset:1392
	ds_read_b128 v[74:77], v1 offset:1424
	;; [unrolled: 1-line block ×3, first 2 shown]
	v_accvgpr_write_b32 a153, v3
	v_accvgpr_write_b32 a152, v2
	s_waitcnt vmcnt(42) lgkmcnt(2)
	v_mul_f64 v[80:81], v[66:67], v[194:195]
	s_waitcnt vmcnt(40)
	v_fmac_f64_e32 v[80:81], v[68:69], v[196:197]
	v_add_f64 v[78:79], v[78:79], v[80:81]
	v_mul_f64 v[80:81], v[70:71], v[168:169]
	v_fmac_f64_e32 v[80:81], v[72:73], v[172:173]
	v_add_f64 v[90:91], v[78:79], v[80:81]
	ds_read_b128 v[78:81], v1 offset:1440
	s_waitcnt vmcnt(34) lgkmcnt(2)
	v_mul_f64 v[92:93], v[74:75], v[198:199]
	s_waitcnt vmcnt(32)
	v_fmac_f64_e32 v[92:93], v[76:77], v[200:201]
	v_fma_f64 v[2:3], v[240:241], v[88:89], -v[86:87]
	ds_read_b128 v[86:89], v1 offset:1472
	ds_read_b128 v[94:97], v1 offset:1504
	v_add_f64 v[90:91], v[90:91], v[92:93]
	s_waitcnt lgkmcnt(2)
	v_mul_f64 v[92:93], v[78:79], v[176:177]
	v_fmac_f64_e32 v[92:93], v[80:81], v[180:181]
	v_add_f64 v[90:91], v[90:91], v[92:93]
	s_waitcnt vmcnt(26)
	v_mul_f64 v[92:93], v[82:83], v[202:203]
	s_waitcnt vmcnt(24)
	v_fmac_f64_e32 v[92:93], v[84:85], v[206:207]
	v_add_f64 v[90:91], v[90:91], v[92:93]
	s_waitcnt lgkmcnt(1)
	v_mul_f64 v[92:93], v[86:87], v[184:185]
	v_fmac_f64_e32 v[92:93], v[88:89], v[188:189]
	v_add_f64 v[102:103], v[90:91], v[92:93]
	ds_read_b128 v[90:93], v1 offset:1488
	v_mul_f64 v[98:99], v[250:251], v[98:99]
	v_fma_f64 v[250:251], v[248:249], v[100:101], -v[98:99]
	ds_read_b128 v[98:101], v1 offset:1520
	v_mul_f64 v[106:107], v[254:255], v[106:107]
	v_fma_f64 v[252:253], v[252:253], v[108:109], -v[106:107]
	v_add_f64 v[210:211], v[210:211], 0
	v_add_f64 v[210:211], v[210:211], v[212:213]
	;; [unrolled: 1-line block ×8, first 2 shown]
	v_mul_f64 v[4:5], v[120:121], v[4:5]
	v_add_f64 v[2:3], v[2:3], v[252:253]
	v_fma_f64 v[4:5], v[118:119], v[128:129], -v[4:5]
	v_add_f64 v[2:3], v[2:3], v[4:5]
	ds_read_b128 v[106:109], v1 offset:1552
	s_waitcnt vmcnt(13) lgkmcnt(1)
	v_mul_f64 v[112:113], v[98:99], v[226:227]
	v_mul_f64 v[104:105], v[90:91], v[208:209]
	s_waitcnt vmcnt(11)
	v_fmac_f64_e32 v[112:113], v[100:101], v[232:233]
	v_fmac_f64_e32 v[104:105], v[92:93], v[218:219]
	v_add_f64 v[102:103], v[102:103], v[104:105]
	v_mul_f64 v[104:105], v[94:95], v[222:223]
	v_fmac_f64_e32 v[104:105], v[96:97], v[224:225]
	v_add_f64 v[110:111], v[102:103], v[104:105]
	ds_read_b128 v[102:105], v1 offset:1536
	v_add_f64 v[110:111], v[110:111], v[112:113]
	s_waitcnt vmcnt(10) lgkmcnt(0)
	v_mul_f64 v[112:113], v[102:103], v[220:221]
	s_waitcnt vmcnt(8)
	v_fmac_f64_e32 v[112:113], v[104:105], v[230:231]
	v_add_f64 v[110:111], v[110:111], v[112:113]
	s_waitcnt vmcnt(6)
	v_mul_f64 v[112:113], v[106:107], v[228:229]
	s_waitcnt vmcnt(4)
	v_fmac_f64_e32 v[112:113], v[108:109], v[234:235]
	v_add_f64 v[114:115], v[110:111], v[112:113]
	ds_read_b128 v[110:113], v1 offset:1568
	buffer_load_dword v243, off, s[0:3], 0 offset:812
	buffer_load_dword v242, off, s[0:3], 0 offset:808
	;; [unrolled: 1-line block ×4, first 2 shown]
	s_waitcnt vmcnt(5) lgkmcnt(0)
	v_mul_f64 v[116:117], v[110:111], v[236:237]
	s_waitcnt vmcnt(4)
	v_fmac_f64_e32 v[116:117], v[112:113], v[238:239]
	v_add_f64 v[240:241], v[114:115], v[116:117]
	ds_read_b128 v[114:117], v1 offset:1584
	v_accvgpr_read_b32 v0, a152
	v_accvgpr_read_b32 v1, a153
	v_mul_f64 v[4:5], v[8:9], v[0:1]
	v_fma_f64 v[4:5], v[6:7], v[122:123], -v[4:5]
	v_add_f64 v[2:3], v[2:3], v[4:5]
	v_mul_f64 v[4:5], v[12:13], v[130:131]
	v_fma_f64 v[4:5], v[10:11], v[146:147], -v[4:5]
	v_add_f64 v[2:3], v[2:3], v[4:5]
	;; [unrolled: 3-line block ×22, first 2 shown]
	v_mul_f64 v[4:5], v[96:97], v[222:223]
	v_fma_f64 v[4:5], v[94:95], v[224:225], -v[4:5]
	s_waitcnt vmcnt(2) lgkmcnt(0)
	v_mul_f64 v[248:249], v[114:115], v[242:243]
	v_add_f64 v[2:3], v[2:3], v[4:5]
	s_waitcnt vmcnt(0)
	v_fmac_f64_e32 v[248:249], v[116:117], v[244:245]
	v_add_f64 v[240:241], v[240:241], v[248:249]
	buffer_load_dword v248, off, s[0:3], 0 offset:192
	buffer_load_dword v249, off, s[0:3], 0 offset:196
	;; [unrolled: 1-line block ×4, first 2 shown]
	v_mul_f64 v[4:5], v[100:101], v[226:227]
	v_fma_f64 v[4:5], v[98:99], v[232:233], -v[4:5]
	v_add_f64 v[2:3], v[2:3], v[4:5]
	v_mul_f64 v[4:5], v[104:105], v[220:221]
	v_fma_f64 v[4:5], v[102:103], v[230:231], -v[4:5]
	v_add_f64 v[2:3], v[2:3], v[4:5]
	v_mul_f64 v[4:5], v[108:109], v[228:229]
	v_fma_f64 v[4:5], v[106:107], v[234:235], -v[4:5]
	v_add_f64 v[2:3], v[2:3], v[4:5]
	v_mul_f64 v[4:5], v[112:113], v[236:237]
	v_fma_f64 v[4:5], v[110:111], v[238:239], -v[4:5]
	v_add_f64 v[2:3], v[2:3], v[4:5]
	v_mul_f64 v[4:5], v[116:117], v[242:243]
	v_fma_f64 v[4:5], v[114:115], v[244:245], -v[4:5]
	v_add_f64 v[2:3], v[2:3], v[4:5]
	v_accvgpr_read_b32 v0, a149
	v_cmp_lt_u32_e32 vcc, 10, v0
	s_waitcnt vmcnt(2)
	v_add_f64 v[2:3], v[248:249], -v[2:3]
	s_waitcnt vmcnt(0)
	v_add_f64 v[4:5], v[246:247], -v[240:241]
	buffer_store_dword v3, off, s[0:3], 0 offset:196
	buffer_store_dword v2, off, s[0:3], 0 offset:192
	;; [unrolled: 1-line block ×4, first 2 shown]
	s_and_saveexec_b64 s[4:5], vcc
	s_cbranch_execz .LBB49_293
; %bb.292:
	v_accvgpr_read_b32 v0, a139
	buffer_load_dword v2, v0, s[0:3], 0 offen
	buffer_load_dword v3, v0, s[0:3], 0 offen offset:4
	buffer_load_dword v4, v0, s[0:3], 0 offen offset:8
	;; [unrolled: 1-line block ×3, first 2 shown]
	v_mov_b32_e32 v0, 0
	v_accvgpr_read_b32 v1, a150
	buffer_store_dword v0, off, s[0:3], 0 offset:176
	buffer_store_dword v0, off, s[0:3], 0 offset:180
	;; [unrolled: 1-line block ×4, first 2 shown]
	s_waitcnt vmcnt(4)
	ds_write_b128 v1, v[2:5]
.LBB49_293:
	s_or_b64 exec, exec, s[4:5]
	s_waitcnt lgkmcnt(0)
	; wave barrier
	s_waitcnt lgkmcnt(0)
	buffer_load_dword v54, off, s[0:3], 0 offset:192
	buffer_load_dword v55, off, s[0:3], 0 offset:196
	;; [unrolled: 1-line block ×49, first 2 shown]
	s_waitcnt vmcnt(8)
	v_pk_mov_b32 v[2:3], v[0:1], v[0:1] op_sel:[0,1]
	v_mov_b32_e32 v1, 0
	ds_read_b128 v[62:65], v1 offset:976
	ds_read_b128 v[74:77], v1 offset:992
	;; [unrolled: 1-line block ×11, first 2 shown]
	s_waitcnt lgkmcnt(10)
	v_mul_f64 v[6:7], v[62:63], v[56:57]
	s_waitcnt lgkmcnt(9)
	v_mul_f64 v[8:9], v[74:75], v[60:61]
	v_fmac_f64_e32 v[6:7], v[64:65], v[54:55]
	s_waitcnt lgkmcnt(8)
	v_mul_f64 v[10:11], v[86:87], v[66:67]
	v_fmac_f64_e32 v[8:9], v[76:77], v[58:59]
	v_add_f64 v[6:7], v[6:7], 0
	s_waitcnt lgkmcnt(7)
	v_mul_f64 v[12:13], v[98:99], v[70:71]
	v_fmac_f64_e32 v[10:11], v[88:89], v[68:69]
	v_add_f64 v[6:7], v[6:7], v[8:9]
	;; [unrolled: 4-line block ×4, first 2 shown]
	buffer_load_dword v126, off, s[0:3], 0 offset:376
	buffer_load_dword v143, off, s[0:3], 0 offset:372
	buffer_load_dword v142, off, s[0:3], 0 offset:368
	buffer_load_dword v129, off, s[0:3], 0 offset:428
	buffer_load_dword v128, off, s[0:3], 0 offset:424
	buffer_load_dword v131, off, s[0:3], 0 offset:420
	buffer_load_dword v130, off, s[0:3], 0 offset:416
	buffer_load_dword v147, off, s[0:3], 0 offset:412
	buffer_load_dword v146, off, s[0:3], 0 offset:408
	buffer_load_dword v151, off, s[0:3], 0 offset:404
	buffer_load_dword v150, off, s[0:3], 0 offset:400
	buffer_load_dword v133, off, s[0:3], 0 offset:460
	buffer_load_dword v132, off, s[0:3], 0 offset:456
	buffer_load_dword v135, off, s[0:3], 0 offset:452
	buffer_load_dword v134, off, s[0:3], 0 offset:448
	buffer_load_dword v155, off, s[0:3], 0 offset:444
	buffer_load_dword v154, off, s[0:3], 0 offset:440
	buffer_load_dword v159, off, s[0:3], 0 offset:436
	buffer_load_dword v158, off, s[0:3], 0 offset:432
	buffer_load_dword v137, off, s[0:3], 0 offset:492
	buffer_load_dword v136, off, s[0:3], 0 offset:488
	buffer_load_dword v139, off, s[0:3], 0 offset:484
	buffer_load_dword v138, off, s[0:3], 0 offset:480
	buffer_load_dword v163, off, s[0:3], 0 offset:476
	buffer_load_dword v162, off, s[0:3], 0 offset:472
	buffer_load_dword v167, off, s[0:3], 0 offset:468
	buffer_load_dword v166, off, s[0:3], 0 offset:464
	buffer_load_dword v141, off, s[0:3], 0 offset:524
	buffer_load_dword v140, off, s[0:3], 0 offset:520
	buffer_load_dword v145, off, s[0:3], 0 offset:516
	buffer_load_dword v144, off, s[0:3], 0 offset:512
	buffer_load_dword v171, off, s[0:3], 0 offset:508
	buffer_load_dword v170, off, s[0:3], 0 offset:504
	buffer_load_dword v175, off, s[0:3], 0 offset:500
	buffer_load_dword v174, off, s[0:3], 0 offset:496
	buffer_load_dword v149, off, s[0:3], 0 offset:556
	buffer_load_dword v148, off, s[0:3], 0 offset:552
	buffer_load_dword v153, off, s[0:3], 0 offset:548
	buffer_load_dword v152, off, s[0:3], 0 offset:544
	buffer_load_dword v179, off, s[0:3], 0 offset:540
	buffer_load_dword v178, off, s[0:3], 0 offset:536
	buffer_load_dword v183, off, s[0:3], 0 offset:532
	buffer_load_dword v182, off, s[0:3], 0 offset:528
	buffer_load_dword v157, off, s[0:3], 0 offset:588
	buffer_load_dword v156, off, s[0:3], 0 offset:584
	buffer_load_dword v161, off, s[0:3], 0 offset:580
	buffer_load_dword v160, off, s[0:3], 0 offset:576
	buffer_load_dword v187, off, s[0:3], 0 offset:572
	buffer_load_dword v186, off, s[0:3], 0 offset:568
	buffer_load_dword v189, off, s[0:3], 0 offset:564
	buffer_load_dword v188, off, s[0:3], 0 offset:560
	buffer_load_dword v165, off, s[0:3], 0 offset:620
	buffer_load_dword v164, off, s[0:3], 0 offset:616
	buffer_load_dword v169, off, s[0:3], 0 offset:612
	buffer_load_dword v168, off, s[0:3], 0 offset:608
	buffer_load_dword v191, off, s[0:3], 0 offset:604
	buffer_load_dword v190, off, s[0:3], 0 offset:600
	buffer_load_dword v193, off, s[0:3], 0 offset:596
	buffer_load_dword v192, off, s[0:3], 0 offset:592
	buffer_load_dword v173, off, s[0:3], 0 offset:652
	buffer_load_dword v172, off, s[0:3], 0 offset:648
	buffer_load_dword v177, off, s[0:3], 0 offset:644
	buffer_load_dword v176, off, s[0:3], 0 offset:640
	buffer_load_dword v195, off, s[0:3], 0 offset:636
	buffer_load_dword v194, off, s[0:3], 0 offset:632
	buffer_load_dword v197, off, s[0:3], 0 offset:628
	buffer_load_dword v196, off, s[0:3], 0 offset:624
	buffer_load_dword v181, off, s[0:3], 0 offset:684
	buffer_load_dword v180, off, s[0:3], 0 offset:680
	buffer_load_dword v185, off, s[0:3], 0 offset:676
	buffer_load_dword v184, off, s[0:3], 0 offset:672
	buffer_load_dword v199, off, s[0:3], 0 offset:668
	buffer_load_dword v198, off, s[0:3], 0 offset:664
	buffer_load_dword v201, off, s[0:3], 0 offset:660
	buffer_load_dword v200, off, s[0:3], 0 offset:656
	s_waitcnt lgkmcnt(4)
	v_mul_f64 v[18:19], v[236:237], v[90:91]
	v_fmac_f64_e32 v[16:17], v[116:117], v[84:85]
	v_add_f64 v[6:7], v[6:7], v[14:15]
	s_waitcnt lgkmcnt(3)
	v_mul_f64 v[20:21], v[240:241], v[94:95]
	v_fmac_f64_e32 v[18:19], v[238:239], v[92:93]
	v_add_f64 v[6:7], v[6:7], v[16:17]
	s_waitcnt lgkmcnt(2)
	v_mul_f64 v[22:23], v[244:245], v[102:103]
	v_fmac_f64_e32 v[20:21], v[242:243], v[96:97]
	v_add_f64 v[6:7], v[6:7], v[18:19]
	s_waitcnt lgkmcnt(1)
	v_mul_f64 v[24:25], v[248:249], v[106:107]
	v_fmac_f64_e32 v[22:23], v[246:247], v[104:105]
	v_add_f64 v[6:7], v[6:7], v[20:21]
	v_add_f64 v[6:7], v[6:7], v[22:23]
	s_waitcnt vmcnt(62)
	v_fmac_f64_e32 v[24:25], v[250:251], v[108:109]
	v_add_f64 v[10:11], v[6:7], v[24:25]
	ds_read_b128 v[6:9], v1 offset:1152
	s_waitcnt lgkmcnt(1)
	v_mul_f64 v[12:13], v[118:119], v[4:5]
	v_fmac_f64_e32 v[12:13], v[120:121], v[2:3]
	v_add_f64 v[14:15], v[10:11], v[12:13]
	ds_read_b128 v[10:13], v1 offset:1168
	s_waitcnt lgkmcnt(1)
	v_mul_f64 v[16:17], v[6:7], v[126:127]
	v_fmac_f64_e32 v[16:17], v[8:9], v[142:143]
	v_add_f64 v[18:19], v[14:15], v[16:17]
	ds_read_b128 v[14:17], v1 offset:1184
	s_waitcnt lgkmcnt(1)
	v_mul_f64 v[20:21], v[10:11], v[122:123]
	v_fmac_f64_e32 v[20:21], v[12:13], v[124:125]
	v_add_f64 v[22:23], v[18:19], v[20:21]
	ds_read_b128 v[18:21], v1 offset:1200
	s_waitcnt lgkmcnt(1)
	v_mul_f64 v[24:25], v[14:15], v[146:147]
	v_fmac_f64_e32 v[24:25], v[16:17], v[150:151]
	v_add_f64 v[26:27], v[22:23], v[24:25]
	ds_read_b128 v[22:25], v1 offset:1216
	s_waitcnt lgkmcnt(1)
	v_mul_f64 v[28:29], v[18:19], v[128:129]
	v_fmac_f64_e32 v[28:29], v[20:21], v[130:131]
	v_add_f64 v[30:31], v[26:27], v[28:29]
	ds_read_b128 v[26:29], v1 offset:1232
	s_waitcnt vmcnt(58) lgkmcnt(1)
	v_mul_f64 v[32:33], v[22:23], v[154:155]
	s_waitcnt vmcnt(56)
	v_fmac_f64_e32 v[32:33], v[24:25], v[158:159]
	v_add_f64 v[34:35], v[30:31], v[32:33]
	ds_read_b128 v[30:33], v1 offset:1248
	s_waitcnt lgkmcnt(1)
	v_mul_f64 v[36:37], v[26:27], v[132:133]
	v_fmac_f64_e32 v[36:37], v[28:29], v[134:135]
	v_add_f64 v[38:39], v[34:35], v[36:37]
	ds_read_b128 v[34:37], v1 offset:1264
	s_waitcnt vmcnt(50) lgkmcnt(1)
	v_mul_f64 v[40:41], v[30:31], v[162:163]
	s_waitcnt vmcnt(48)
	v_fmac_f64_e32 v[40:41], v[32:33], v[166:167]
	v_add_f64 v[42:43], v[38:39], v[40:41]
	ds_read_b128 v[38:41], v1 offset:1280
	s_waitcnt lgkmcnt(1)
	v_mul_f64 v[44:45], v[34:35], v[136:137]
	;; [unrolled: 11-line block ×3, first 2 shown]
	buffer_load_dword v203, off, s[0:3], 0 offset:700
	buffer_load_dword v202, off, s[0:3], 0 offset:696
	;; [unrolled: 1-line block ×4, first 2 shown]
	v_fmac_f64_e32 v[52:53], v[44:45], v[144:145]
	v_add_f64 v[204:205], v[50:51], v[52:53]
	ds_read_b128 v[50:53], v1 offset:1328
	buffer_load_dword v208, off, s[0:3], 0 offset:712
	buffer_load_dword v218, off, s[0:3], 0 offset:704
	;; [unrolled: 1-line block ×20, first 2 shown]
	s_waitcnt vmcnt(58) lgkmcnt(1)
	v_mul_f64 v[210:211], v[46:47], v[178:179]
	s_waitcnt vmcnt(56)
	v_fmac_f64_e32 v[210:211], v[48:49], v[182:183]
	v_mul_f64 v[56:57], v[64:65], v[56:57]
	v_add_f64 v[204:205], v[204:205], v[210:211]
	v_fma_f64 v[210:211], v[62:63], v[54:55], -v[56:57]
	ds_read_b128 v[54:57], v1 offset:1344
	v_mul_f64 v[60:61], v[76:77], v[60:61]
	v_fma_f64 v[212:213], v[74:75], v[58:59], -v[60:61]
	ds_read_b128 v[58:61], v1 offset:1360
	s_waitcnt lgkmcnt(2)
	v_mul_f64 v[62:63], v[50:51], v[148:149]
	v_fmac_f64_e32 v[62:63], v[52:53], v[152:153]
	s_waitcnt vmcnt(50) lgkmcnt(1)
	v_mul_f64 v[64:65], v[54:55], v[186:187]
	v_add_f64 v[62:63], v[204:205], v[62:63]
	s_waitcnt vmcnt(48)
	v_fmac_f64_e32 v[64:65], v[56:57], v[188:189]
	v_add_f64 v[62:63], v[62:63], v[64:65]
	s_waitcnt lgkmcnt(0)
	v_mul_f64 v[64:65], v[58:59], v[156:157]
	v_fmac_f64_e32 v[64:65], v[60:61], v[160:161]
	v_add_f64 v[74:75], v[62:63], v[64:65]
	ds_read_b128 v[62:65], v1 offset:1376
	v_mul_f64 v[66:67], v[88:89], v[66:67]
	v_fma_f64 v[204:205], v[86:87], v[68:69], -v[66:67]
	ds_read_b128 v[66:69], v1 offset:1392
	v_mul_f64 v[70:71], v[100:101], v[70:71]
	s_waitcnt vmcnt(42) lgkmcnt(1)
	v_mul_f64 v[76:77], v[62:63], v[190:191]
	s_waitcnt vmcnt(40)
	v_fmac_f64_e32 v[76:77], v[64:65], v[192:193]
	v_add_f64 v[74:75], v[74:75], v[76:77]
	v_fma_f64 v[214:215], v[98:99], v[72:73], -v[70:71]
	ds_read_b128 v[70:73], v1 offset:1408
	s_waitcnt lgkmcnt(1)
	v_mul_f64 v[76:77], v[66:67], v[164:165]
	v_fmac_f64_e32 v[76:77], v[68:69], v[168:169]
	v_add_f64 v[86:87], v[74:75], v[76:77]
	ds_read_b128 v[74:77], v1 offset:1424
	v_mul_f64 v[78:79], v[112:113], v[78:79]
	v_fma_f64 v[216:217], v[110:111], v[80:81], -v[78:79]
	ds_read_b128 v[78:81], v1 offset:1440
	s_waitcnt vmcnt(34) lgkmcnt(2)
	v_mul_f64 v[88:89], v[70:71], v[194:195]
	v_mul_f64 v[82:83], v[116:117], v[82:83]
	s_waitcnt vmcnt(32)
	v_fmac_f64_e32 v[88:89], v[72:73], v[196:197]
	v_fma_f64 v[252:253], v[114:115], v[84:85], -v[82:83]
	ds_read_b128 v[82:85], v1 offset:1456
	v_add_f64 v[86:87], v[86:87], v[88:89]
	s_waitcnt lgkmcnt(2)
	v_mul_f64 v[88:89], v[74:75], v[172:173]
	v_fmac_f64_e32 v[88:89], v[76:77], v[176:177]
	v_add_f64 v[86:87], v[86:87], v[88:89]
	s_waitcnt vmcnt(26) lgkmcnt(1)
	v_mul_f64 v[88:89], v[78:79], v[198:199]
	s_waitcnt vmcnt(24)
	v_fmac_f64_e32 v[88:89], v[80:81], v[200:201]
	v_add_f64 v[86:87], v[86:87], v[88:89]
	s_waitcnt lgkmcnt(0)
	v_mul_f64 v[88:89], v[82:83], v[180:181]
	v_fmac_f64_e32 v[88:89], v[84:85], v[184:185]
	v_add_f64 v[98:99], v[86:87], v[88:89]
	ds_read_b128 v[86:89], v1 offset:1472
	v_mul_f64 v[90:91], v[238:239], v[90:91]
	v_fma_f64 v[254:255], v[236:237], v[92:93], -v[90:91]
	ds_read_b128 v[90:93], v1 offset:1488
	v_accvgpr_write_b32 a153, v3
	v_mul_f64 v[94:95], v[242:243], v[94:95]
	v_accvgpr_write_b32 a152, v2
	v_fma_f64 v[2:3], v[240:241], v[96:97], -v[94:95]
	ds_read_b128 v[94:97], v1 offset:1504
	v_mul_f64 v[102:103], v[246:247], v[102:103]
	v_fma_f64 v[246:247], v[244:245], v[104:105], -v[102:103]
	ds_read_b128 v[102:105], v1 offset:1536
	v_mul_f64 v[106:107], v[250:251], v[106:107]
	v_fma_f64 v[250:251], v[248:249], v[108:109], -v[106:107]
	ds_read_b128 v[106:109], v1 offset:1552
	v_add_f64 v[210:211], v[210:211], 0
	v_add_f64 v[210:211], v[210:211], v[212:213]
	;; [unrolled: 1-line block ×6, first 2 shown]
	s_waitcnt vmcnt(22) lgkmcnt(4)
	v_mul_f64 v[100:101], v[86:87], v[202:203]
	v_add_f64 v[204:205], v[204:205], v[254:255]
	s_waitcnt vmcnt(20)
	v_fmac_f64_e32 v[100:101], v[88:89], v[206:207]
	v_add_f64 v[98:99], v[98:99], v[100:101]
	v_add_f64 v[2:3], v[204:205], v[2:3]
	s_waitcnt vmcnt(17) lgkmcnt(3)
	v_mul_f64 v[100:101], v[90:91], v[208:209]
	s_waitcnt vmcnt(16)
	v_fmac_f64_e32 v[100:101], v[92:93], v[218:219]
	v_add_f64 v[110:111], v[98:99], v[100:101]
	ds_read_b128 v[98:101], v1 offset:1520
	s_waitcnt vmcnt(14) lgkmcnt(3)
	v_mul_f64 v[112:113], v[94:95], v[222:223]
	s_waitcnt vmcnt(12)
	v_fmac_f64_e32 v[112:113], v[96:97], v[226:227]
	buffer_load_dword v237, off, s[0:3], 0 offset:796
	buffer_load_dword v236, off, s[0:3], 0 offset:792
	;; [unrolled: 1-line block ×4, first 2 shown]
	v_add_f64 v[110:111], v[110:111], v[112:113]
	s_waitcnt vmcnt(14) lgkmcnt(0)
	v_mul_f64 v[112:113], v[98:99], v[224:225]
	s_waitcnt vmcnt(12)
	v_fmac_f64_e32 v[112:113], v[100:101], v[228:229]
	v_add_f64 v[110:111], v[110:111], v[112:113]
	s_waitcnt vmcnt(9)
	v_mul_f64 v[112:113], v[102:103], v[232:233]
	s_waitcnt vmcnt(7)
	v_fmac_f64_e32 v[112:113], v[104:105], v[234:235]
	v_add_f64 v[110:111], v[110:111], v[112:113]
	s_waitcnt vmcnt(5)
	v_mul_f64 v[112:113], v[106:107], v[220:221]
	s_waitcnt vmcnt(4)
	v_fmac_f64_e32 v[112:113], v[108:109], v[230:231]
	v_add_f64 v[114:115], v[110:111], v[112:113]
	ds_read_b128 v[110:113], v1 offset:1568
	buffer_load_dword v242, off, s[0:3], 0 offset:808
	buffer_load_dword v243, off, s[0:3], 0 offset:812
	;; [unrolled: 1-line block ×4, first 2 shown]
	v_add_f64 v[252:253], v[2:3], v[246:247]
	v_mul_f64 v[4:5], v[120:121], v[4:5]
	v_accvgpr_read_b32 v120, a152
	v_accvgpr_read_b32 v121, a153
	v_add_f64 v[2:3], v[252:253], v[250:251]
	v_fma_f64 v[4:5], v[118:119], v[120:121], -v[4:5]
	v_add_f64 v[2:3], v[2:3], v[4:5]
	v_mul_f64 v[4:5], v[8:9], v[126:127]
	v_fma_f64 v[4:5], v[6:7], v[142:143], -v[4:5]
	v_add_f64 v[2:3], v[2:3], v[4:5]
	v_mul_f64 v[4:5], v[12:13], v[122:123]
	;; [unrolled: 3-line block ×20, first 2 shown]
	s_waitcnt vmcnt(6) lgkmcnt(0)
	v_mul_f64 v[116:117], v[110:111], v[236:237]
	v_fma_f64 v[4:5], v[82:83], v[184:185], -v[4:5]
	s_waitcnt vmcnt(4)
	v_fmac_f64_e32 v[116:117], v[112:113], v[238:239]
	v_add_f64 v[240:241], v[114:115], v[116:117]
	ds_read_b128 v[114:117], v1 offset:1584
	v_add_f64 v[2:3], v[2:3], v[4:5]
	v_mul_f64 v[4:5], v[88:89], v[202:203]
	v_fma_f64 v[4:5], v[86:87], v[206:207], -v[4:5]
	v_add_f64 v[2:3], v[2:3], v[4:5]
	v_mul_f64 v[4:5], v[92:93], v[208:209]
	v_fma_f64 v[4:5], v[90:91], v[218:219], -v[4:5]
	v_add_f64 v[2:3], v[2:3], v[4:5]
	s_waitcnt vmcnt(2) lgkmcnt(0)
	v_mul_f64 v[248:249], v[114:115], v[242:243]
	v_mul_f64 v[4:5], v[96:97], v[222:223]
	s_waitcnt vmcnt(0)
	v_fmac_f64_e32 v[248:249], v[116:117], v[244:245]
	v_add_f64 v[240:241], v[240:241], v[248:249]
	buffer_load_dword v248, off, s[0:3], 0 offset:176
	buffer_load_dword v249, off, s[0:3], 0 offset:180
	;; [unrolled: 1-line block ×4, first 2 shown]
	v_fma_f64 v[4:5], v[94:95], v[226:227], -v[4:5]
	v_add_f64 v[2:3], v[2:3], v[4:5]
	v_mul_f64 v[4:5], v[100:101], v[224:225]
	v_fma_f64 v[4:5], v[98:99], v[228:229], -v[4:5]
	v_add_f64 v[2:3], v[2:3], v[4:5]
	v_mul_f64 v[4:5], v[104:105], v[232:233]
	;; [unrolled: 3-line block ×5, first 2 shown]
	v_fma_f64 v[4:5], v[114:115], v[244:245], -v[4:5]
	v_add_f64 v[2:3], v[2:3], v[4:5]
	v_accvgpr_read_b32 v0, a149
	v_cmp_lt_u32_e32 vcc, 9, v0
	s_waitcnt vmcnt(2)
	v_add_f64 v[2:3], v[248:249], -v[2:3]
	s_waitcnt vmcnt(0)
	v_add_f64 v[4:5], v[246:247], -v[240:241]
	buffer_store_dword v3, off, s[0:3], 0 offset:180
	buffer_store_dword v2, off, s[0:3], 0 offset:176
	buffer_store_dword v5, off, s[0:3], 0 offset:188
	buffer_store_dword v4, off, s[0:3], 0 offset:184
	s_and_saveexec_b64 s[4:5], vcc
	s_cbranch_execz .LBB49_295
; %bb.294:
	v_accvgpr_read_b32 v0, a140
	buffer_load_dword v2, v0, s[0:3], 0 offen
	buffer_load_dword v3, v0, s[0:3], 0 offen offset:4
	buffer_load_dword v4, v0, s[0:3], 0 offen offset:8
	buffer_load_dword v5, v0, s[0:3], 0 offen offset:12
	v_accvgpr_read_b32 v0, a150
	buffer_store_dword v1, off, s[0:3], 0 offset:160
	buffer_store_dword v1, off, s[0:3], 0 offset:164
	;; [unrolled: 1-line block ×4, first 2 shown]
	s_waitcnt vmcnt(4)
	ds_write_b128 v0, v[2:5]
.LBB49_295:
	s_or_b64 exec, exec, s[4:5]
	s_waitcnt lgkmcnt(0)
	; wave barrier
	s_waitcnt lgkmcnt(0)
	buffer_load_dword v56, off, s[0:3], 0 offset:176
	buffer_load_dword v57, off, s[0:3], 0 offset:180
	;; [unrolled: 1-line block ×42, first 2 shown]
	ds_read_b128 v[78:81], v1 offset:960
	ds_read_b128 v[90:93], v1 offset:976
	;; [unrolled: 1-line block ×10, first 2 shown]
	buffer_load_dword v105, off, s[0:3], 0 offset:324
	buffer_load_dword v104, off, s[0:3], 0 offset:320
	ds_read_b128 v[106:109], v1 offset:1120
	buffer_load_dword v3, off, s[0:3], 0 offset:380
	buffer_load_dword v2, off, s[0:3], 0 offset:376
	s_waitcnt vmcnt(38) lgkmcnt(9)
	v_mul_f64 v[4:5], v[90:91], v[62:63]
	v_fmac_f64_e32 v[4:5], v[92:93], v[54:55]
	s_waitcnt vmcnt(36) lgkmcnt(8)
	v_mul_f64 v[6:7], v[114:115], v[58:59]
	v_mul_f64 v[58:59], v[116:117], v[58:59]
	s_waitcnt vmcnt(34) lgkmcnt(6)
	v_mul_f64 v[10:11], v[240:241], v[70:71]
	v_mul_f64 v[70:71], v[242:243], v[70:71]
	s_waitcnt vmcnt(32)
	v_fmac_f64_e32 v[10:11], v[242:243], v[72:73]
	v_fma_f64 v[240:241], v[240:241], v[72:73], -v[70:71]
	s_waitcnt vmcnt(30)
	v_mul_f64 v[8:9], v[236:237], v[64:65]
	s_waitcnt vmcnt(28) lgkmcnt(4)
	v_mul_f64 v[14:15], v[248:249], v[82:83]
	v_mul_f64 v[82:83], v[250:251], v[82:83]
	s_waitcnt vmcnt(26)
	v_fmac_f64_e32 v[14:15], v[250:251], v[84:85]
	v_fma_f64 v[248:249], v[248:249], v[84:85], -v[82:83]
	s_waitcnt vmcnt(24)
	v_mul_f64 v[12:13], v[244:245], v[74:75]
	v_mul_f64 v[74:75], v[246:247], v[74:75]
	s_waitcnt vmcnt(22) lgkmcnt(2)
	v_mul_f64 v[18:19], v[210:211], v[94:95]
	v_mul_f64 v[94:95], v[212:213], v[94:95]
	s_waitcnt vmcnt(19)
	v_mul_f64 v[16:17], v[252:253], v[86:87]
	v_mul_f64 v[86:87], v[254:255], v[86:87]
	s_waitcnt vmcnt(17) lgkmcnt(1)
	v_mul_f64 v[20:21], v[98:99], v[102:103]
	s_waitcnt vmcnt(15)
	v_fmac_f64_e32 v[6:7], v[116:117], v[68:69]
	s_waitcnt vmcnt(13)
	v_fmac_f64_e32 v[8:9], v[238:239], v[66:67]
	;; [unrolled: 2-line block ×3, first 2 shown]
	v_fma_f64 v[246:247], v[244:245], v[76:77], -v[74:75]
	s_waitcnt vmcnt(9)
	v_fmac_f64_e32 v[16:17], v[254:255], v[88:89]
	s_waitcnt vmcnt(8)
	v_fmac_f64_e32 v[18:19], v[212:213], v[96:97]
	v_fma_f64 v[254:255], v[252:253], v[88:89], -v[86:87]
	v_fma_f64 v[210:211], v[210:211], v[96:97], -v[94:95]
	s_waitcnt vmcnt(2)
	v_fmac_f64_e32 v[20:21], v[100:101], v[104:105]
	v_mul_f64 v[100:101], v[100:101], v[102:103]
	s_waitcnt vmcnt(0)
	v_pk_mov_b32 v[22:23], v[2:3], v[2:3] op_sel:[0,1]
	buffer_load_dword v3, off, s[0:3], 0 offset:372
	buffer_load_dword v2, off, s[0:3], 0 offset:368
	;; [unrolled: 1-line block ×78, first 2 shown]
	ds_read_b128 v[118:121], v1 offset:1136
	v_accvgpr_write_b32 a153, v23
	v_accvgpr_write_b32 a152, v22
	v_fma_f64 v[250:251], v[98:99], v[104:105], -v[100:101]
	s_waitcnt vmcnt(62)
	v_pk_mov_b32 v[24:25], v[2:3], v[2:3] op_sel:[0,1]
	v_mul_f64 v[2:3], v[78:79], v[60:61]
	v_fmac_f64_e32 v[2:3], v[80:81], v[56:57]
	v_add_f64 v[2:3], v[2:3], 0
	v_add_f64 v[2:3], v[2:3], v[4:5]
	;; [unrolled: 1-line block ×9, first 2 shown]
	s_waitcnt lgkmcnt(1)
	v_mul_f64 v[8:9], v[106:107], v[110:111]
	v_add_f64 v[6:7], v[2:3], v[20:21]
	v_fmac_f64_e32 v[8:9], v[108:109], v[112:113]
	v_add_f64 v[10:11], v[6:7], v[8:9]
	ds_read_b128 v[6:9], v1 offset:1152
	s_waitcnt lgkmcnt(1)
	v_mul_f64 v[12:13], v[118:119], v[122:123]
	v_fmac_f64_e32 v[12:13], v[120:121], v[138:139]
	v_add_f64 v[14:15], v[10:11], v[12:13]
	ds_read_b128 v[10:13], v1 offset:1168
	s_waitcnt lgkmcnt(1)
	v_mul_f64 v[16:17], v[6:7], v[22:23]
	;; [unrolled: 5-line block ×3, first 2 shown]
	v_fmac_f64_e32 v[20:21], v[12:13], v[146:147]
	v_add_f64 v[22:23], v[18:19], v[20:21]
	ds_read_b128 v[18:21], v1 offset:1200
	v_accvgpr_write_b32 a155, v25
	v_accvgpr_write_b32 a154, v24
	s_waitcnt lgkmcnt(1)
	v_mul_f64 v[24:25], v[14:15], v[124:125]
	v_fmac_f64_e32 v[24:25], v[16:17], v[126:127]
	v_add_f64 v[26:27], v[22:23], v[24:25]
	ds_read_b128 v[22:25], v1 offset:1216
	s_waitcnt vmcnt(58) lgkmcnt(1)
	v_mul_f64 v[28:29], v[18:19], v[150:151]
	s_waitcnt vmcnt(56)
	v_fmac_f64_e32 v[28:29], v[20:21], v[154:155]
	v_add_f64 v[30:31], v[26:27], v[28:29]
	ds_read_b128 v[26:29], v1 offset:1232
	s_waitcnt lgkmcnt(1)
	v_mul_f64 v[32:33], v[22:23], v[128:129]
	v_fmac_f64_e32 v[32:33], v[24:25], v[130:131]
	v_add_f64 v[34:35], v[30:31], v[32:33]
	ds_read_b128 v[30:33], v1 offset:1248
	s_waitcnt vmcnt(50) lgkmcnt(1)
	v_mul_f64 v[36:37], v[26:27], v[158:159]
	s_waitcnt vmcnt(48)
	v_fmac_f64_e32 v[36:37], v[28:29], v[162:163]
	v_add_f64 v[38:39], v[34:35], v[36:37]
	ds_read_b128 v[34:37], v1 offset:1264
	;; [unrolled: 11-line block ×4, first 2 shown]
	buffer_load_dword v198, off, s[0:3], 0 offset:696
	buffer_load_dword v203, off, s[0:3], 0 offset:684
	;; [unrolled: 1-line block ×8, first 2 shown]
	s_waitcnt lgkmcnt(1)
	v_mul_f64 v[208:209], v[46:47], v[144:145]
	v_fmac_f64_e32 v[208:209], v[48:49], v[148:149]
	v_add_f64 v[204:205], v[204:205], v[208:209]
	buffer_load_dword v209, off, s[0:3], 0 offset:716
	buffer_load_dword v208, off, s[0:3], 0 offset:712
	;; [unrolled: 1-line block ×20, first 2 shown]
	v_mul_f64 v[60:61], v[80:81], v[60:61]
	s_waitcnt vmcnt(54) lgkmcnt(0)
	v_mul_f64 v[214:215], v[50:51], v[182:183]
	v_fma_f64 v[216:217], v[78:79], v[56:57], -v[60:61]
	v_mul_f64 v[56:57], v[92:93], v[62:63]
	v_fma_f64 v[2:3], v[90:91], v[54:55], -v[56:57]
	s_waitcnt vmcnt(52)
	v_fmac_f64_e32 v[214:215], v[52:53], v[184:185]
	ds_read_b128 v[54:57], v1 offset:1344
	v_add_f64 v[4:5], v[204:205], v[214:215]
	v_fma_f64 v[204:205], v[114:115], v[68:69], -v[58:59]
	ds_read_b128 v[58:61], v1 offset:1360
	v_mul_f64 v[62:63], v[238:239], v[64:65]
	v_fma_f64 v[214:215], v[236:237], v[66:67], -v[62:63]
	ds_read_b128 v[62:65], v1 offset:1376
	ds_read_b128 v[70:73], v1 offset:1408
	s_waitcnt lgkmcnt(3)
	v_mul_f64 v[68:69], v[54:55], v[152:153]
	v_fmac_f64_e32 v[68:69], v[56:57], v[156:157]
	s_waitcnt vmcnt(46) lgkmcnt(2)
	v_mul_f64 v[66:67], v[58:59], v[186:187]
	v_add_f64 v[4:5], v[4:5], v[68:69]
	s_waitcnt vmcnt(44)
	v_fmac_f64_e32 v[66:67], v[60:61], v[188:189]
	v_add_f64 v[4:5], v[4:5], v[66:67]
	s_waitcnt lgkmcnt(1)
	v_mul_f64 v[66:67], v[62:63], v[160:161]
	v_fmac_f64_e32 v[66:67], v[64:65], v[164:165]
	v_add_f64 v[4:5], v[4:5], v[66:67]
	ds_read_b128 v[66:69], v1 offset:1392
	ds_read_b128 v[74:77], v1 offset:1424
	;; [unrolled: 1-line block ×5, first 2 shown]
	s_waitcnt vmcnt(38) lgkmcnt(4)
	v_mul_f64 v[78:79], v[66:67], v[190:191]
	s_waitcnt vmcnt(36)
	v_fmac_f64_e32 v[78:79], v[68:69], v[192:193]
	v_add_f64 v[4:5], v[4:5], v[78:79]
	v_mul_f64 v[78:79], v[70:71], v[168:169]
	v_fmac_f64_e32 v[78:79], v[72:73], v[172:173]
	v_add_f64 v[4:5], v[4:5], v[78:79]
	s_waitcnt vmcnt(30) lgkmcnt(3)
	v_mul_f64 v[78:79], v[74:75], v[194:195]
	s_waitcnt vmcnt(28)
	v_fmac_f64_e32 v[78:79], v[76:77], v[196:197]
	v_add_f64 v[4:5], v[4:5], v[78:79]
	ds_read_b128 v[78:81], v1 offset:1440
	v_mul_f64 v[108:109], v[108:109], v[110:111]
	v_fma_f64 v[252:253], v[106:107], v[112:113], -v[108:109]
	v_mul_f64 v[120:121], v[120:121], v[122:123]
	v_fma_f64 v[118:119], v[118:119], v[138:139], -v[120:121]
	s_waitcnt lgkmcnt(0)
	v_mul_f64 v[90:91], v[78:79], v[176:177]
	v_fmac_f64_e32 v[90:91], v[80:81], v[180:181]
	v_add_f64 v[4:5], v[4:5], v[90:91]
	ds_read_b128 v[98:101], v1 offset:1520
	ds_read_b128 v[106:109], v1 offset:1552
	s_waitcnt vmcnt(25)
	v_mul_f64 v[90:91], v[82:83], v[202:203]
	s_waitcnt vmcnt(23)
	v_fmac_f64_e32 v[90:91], v[84:85], v[206:207]
	v_add_f64 v[4:5], v[4:5], v[90:91]
	s_waitcnt vmcnt(21)
	v_mul_f64 v[90:91], v[86:87], v[198:199]
	s_waitcnt vmcnt(20)
	v_fmac_f64_e32 v[90:91], v[88:89], v[200:201]
	v_add_f64 v[4:5], v[4:5], v[90:91]
	ds_read_b128 v[90:93], v1 offset:1488
	s_waitcnt vmcnt(14)
	v_mul_f64 v[102:103], v[94:95], v[222:223]
	s_waitcnt vmcnt(9) lgkmcnt(2)
	v_mul_f64 v[110:111], v[98:99], v[228:229]
	v_fmac_f64_e32 v[102:103], v[96:97], v[224:225]
	s_waitcnt vmcnt(7)
	v_fmac_f64_e32 v[110:111], v[100:101], v[232:233]
	s_waitcnt lgkmcnt(0)
	v_mul_f64 v[114:115], v[90:91], v[208:209]
	v_fmac_f64_e32 v[114:115], v[92:93], v[218:219]
	v_add_f64 v[4:5], v[4:5], v[114:115]
	v_add_f64 v[4:5], v[4:5], v[102:103]
	ds_read_b128 v[102:105], v1 offset:1536
	buffer_load_dword v236, off, s[0:3], 0 offset:792
	buffer_load_dword v237, off, s[0:3], 0 offset:796
	;; [unrolled: 1-line block ×4, first 2 shown]
	v_add_f64 v[4:5], v[4:5], v[110:111]
	s_waitcnt vmcnt(9) lgkmcnt(0)
	v_mul_f64 v[110:111], v[102:103], v[220:221]
	s_waitcnt vmcnt(8)
	v_fmac_f64_e32 v[110:111], v[104:105], v[226:227]
	v_add_f64 v[4:5], v[4:5], v[110:111]
	s_waitcnt vmcnt(6)
	v_mul_f64 v[110:111], v[106:107], v[230:231]
	s_waitcnt vmcnt(4)
	v_fmac_f64_e32 v[110:111], v[108:109], v[234:235]
	v_add_f64 v[4:5], v[4:5], v[110:111]
	ds_read_b128 v[110:113], v1 offset:1568
	buffer_load_dword v243, off, s[0:3], 0 offset:812
	buffer_load_dword v242, off, s[0:3], 0 offset:808
	;; [unrolled: 1-line block ×4, first 2 shown]
	s_waitcnt vmcnt(6) lgkmcnt(0)
	v_mul_f64 v[114:115], v[110:111], v[236:237]
	s_waitcnt vmcnt(4)
	v_fmac_f64_e32 v[114:115], v[112:113], v[238:239]
	v_add_f64 v[4:5], v[4:5], v[114:115]
	ds_read_b128 v[114:117], v1 offset:1584
	v_accvgpr_read_b32 v0, a152
	v_accvgpr_read_b32 v1, a153
	v_mul_f64 v[8:9], v[8:9], v[0:1]
	v_accvgpr_read_b32 v0, a154
	v_accvgpr_read_b32 v1, a155
	v_fma_f64 v[6:7], v[6:7], v[0:1], -v[8:9]
	s_waitcnt vmcnt(2) lgkmcnt(0)
	v_mul_f64 v[212:213], v[114:115], v[242:243]
	v_accvgpr_read_b32 v0, a149
	s_waitcnt vmcnt(0)
	v_fmac_f64_e32 v[212:213], v[116:117], v[244:245]
	v_add_f64 v[4:5], v[4:5], v[212:213]
	v_add_f64 v[212:213], v[216:217], 0
	;; [unrolled: 1-line block ×8, first 2 shown]
	buffer_load_dword v248, off, s[0:3], 0 offset:160
	buffer_load_dword v249, off, s[0:3], 0 offset:164
	;; [unrolled: 1-line block ×4, first 2 shown]
	v_add_f64 v[2:3], v[2:3], v[254:255]
	v_add_f64 v[254:255], v[2:3], v[210:211]
	;; [unrolled: 1-line block ×6, first 2 shown]
	v_mul_f64 v[6:7], v[12:13], v[142:143]
	v_fma_f64 v[6:7], v[10:11], v[146:147], -v[6:7]
	v_add_f64 v[2:3], v[2:3], v[6:7]
	v_mul_f64 v[6:7], v[16:17], v[124:125]
	v_fma_f64 v[6:7], v[14:15], v[126:127], -v[6:7]
	v_add_f64 v[2:3], v[2:3], v[6:7]
	;; [unrolled: 3-line block ×27, first 2 shown]
	s_waitcnt vmcnt(2)
	v_add_f64 v[2:3], v[248:249], -v[2:3]
	v_cmp_lt_u32_e32 vcc, 8, v0
	s_waitcnt vmcnt(0)
	v_add_f64 v[4:5], v[246:247], -v[4:5]
	buffer_store_dword v3, off, s[0:3], 0 offset:164
	buffer_store_dword v2, off, s[0:3], 0 offset:160
	;; [unrolled: 1-line block ×4, first 2 shown]
	s_and_saveexec_b64 s[4:5], vcc
	s_cbranch_execz .LBB49_297
; %bb.296:
	v_accvgpr_read_b32 v0, a141
	buffer_load_dword v2, v0, s[0:3], 0 offen
	buffer_load_dword v3, v0, s[0:3], 0 offen offset:4
	buffer_load_dword v4, v0, s[0:3], 0 offen offset:8
	buffer_load_dword v5, v0, s[0:3], 0 offen offset:12
	v_mov_b32_e32 v0, 0
	v_accvgpr_read_b32 v1, a150
	buffer_store_dword v0, off, s[0:3], 0 offset:144
	buffer_store_dword v0, off, s[0:3], 0 offset:148
	;; [unrolled: 1-line block ×4, first 2 shown]
	s_waitcnt vmcnt(4)
	ds_write_b128 v1, v[2:5]
.LBB49_297:
	s_or_b64 exec, exec, s[4:5]
	s_waitcnt lgkmcnt(0)
	; wave barrier
	s_waitcnt lgkmcnt(0)
	buffer_load_dword v54, off, s[0:3], 0 offset:160
	buffer_load_dword v55, off, s[0:3], 0 offset:164
	;; [unrolled: 1-line block ×46, first 2 shown]
	v_mov_b32_e32 v1, 0
	v_accvgpr_read_b32 v0, a149
	v_cmp_lt_u32_e32 vcc, 7, v0
	s_waitcnt vmcnt(0)
	v_pk_mov_b32 v[22:23], v[2:3], v[2:3] op_sel:[0,1]
	buffer_load_dword v3, off, s[0:3], 0 offset:356
	buffer_load_dword v2, off, s[0:3], 0 offset:352
	;; [unrolled: 1-line block ×3, first 2 shown]
	ds_read_b128 v[94:97], v1 offset:944
	ds_read_b128 v[108:111], v1 offset:960
	;; [unrolled: 1-line block ×11, first 2 shown]
	buffer_load_dword v106, off, s[0:3], 0 offset:344
	buffer_load_dword v117, off, s[0:3], 0 offset:340
	;; [unrolled: 1-line block ×75, first 2 shown]
	s_waitcnt lgkmcnt(9)
	v_mul_f64 v[4:5], v[108:109], v[62:63]
	s_waitcnt lgkmcnt(8)
	v_mul_f64 v[6:7], v[112:113], v[60:61]
	v_fmac_f64_e32 v[4:5], v[110:111], v[58:59]
	s_waitcnt lgkmcnt(7)
	v_mul_f64 v[8:9], v[210:211], v[68:69]
	v_fmac_f64_e32 v[6:7], v[114:115], v[84:85]
	;; [unrolled: 3-line block ×5, first 2 shown]
	ds_read_b128 v[232:235], v1 offset:1120
	ds_read_b128 v[118:121], v1 offset:1136
	s_waitcnt lgkmcnt(5)
	v_mul_f64 v[16:17], v[248:249], v[78:79]
	v_fmac_f64_e32 v[14:15], v[246:247], v[76:77]
	s_waitcnt lgkmcnt(4)
	v_mul_f64 v[18:19], v[252:253], v[86:87]
	v_fmac_f64_e32 v[16:17], v[250:251], v[80:81]
	;; [unrolled: 3-line block ×3, first 2 shown]
	v_fmac_f64_e32 v[20:21], v[216:217], v[92:93]
	v_accvgpr_write_b32 a153, v23
	v_accvgpr_write_b32 a152, v22
	v_mul_f64 v[62:63], v[110:111], v[62:63]
	v_mul_f64 v[74:75], v[246:247], v[74:75]
	v_fma_f64 v[246:247], v[244:245], v[76:77], -v[74:75]
	v_mul_f64 v[78:79], v[250:251], v[78:79]
	v_fma_f64 v[248:249], v[248:249], v[80:81], -v[78:79]
	v_mul_f64 v[86:87], v[254:255], v[86:87]
	v_mul_f64 v[90:91], v[216:217], v[90:91]
	v_fma_f64 v[252:253], v[252:253], v[88:89], -v[86:87]
	v_fma_f64 v[254:255], v[214:215], v[92:93], -v[90:91]
	s_waitcnt vmcnt(62)
	v_pk_mov_b32 v[24:25], v[2:3], v[2:3] op_sel:[0,1]
	v_mul_f64 v[2:3], v[94:95], v[56:57]
	v_fmac_f64_e32 v[2:3], v[96:97], v[54:55]
	v_add_f64 v[2:3], v[2:3], 0
	v_add_f64 v[2:3], v[2:3], v[4:5]
	;; [unrolled: 1-line block ×9, first 2 shown]
	s_waitcnt lgkmcnt(2)
	v_mul_f64 v[4:5], v[98:99], v[102:103]
	v_add_f64 v[2:3], v[2:3], v[20:21]
	v_fmac_f64_e32 v[4:5], v[100:101], v[104:105]
	s_waitcnt lgkmcnt(1)
	v_mul_f64 v[8:9], v[232:233], v[106:107]
	v_add_f64 v[6:7], v[2:3], v[4:5]
	v_fmac_f64_e32 v[8:9], v[234:235], v[116:117]
	s_waitcnt lgkmcnt(0)
	v_mul_f64 v[12:13], v[118:119], v[22:23]
	v_add_f64 v[10:11], v[6:7], v[8:9]
	ds_read_b128 v[6:9], v1 offset:1152
	v_fmac_f64_e32 v[12:13], v[120:121], v[24:25]
	v_add_f64 v[14:15], v[10:11], v[12:13]
	ds_read_b128 v[10:13], v1 offset:1168
	v_accvgpr_write_b32 a155, v25
	s_waitcnt lgkmcnt(1)
	v_mul_f64 v[16:17], v[6:7], v[138:139]
	v_fmac_f64_e32 v[16:17], v[8:9], v[142:143]
	v_add_f64 v[18:19], v[14:15], v[16:17]
	s_waitcnt lgkmcnt(0)
	v_mul_f64 v[20:21], v[10:11], v[122:123]
	ds_read_b128 v[14:17], v1 offset:1184
	v_fmac_f64_e32 v[20:21], v[12:13], v[124:125]
	v_add_f64 v[22:23], v[18:19], v[20:21]
	ds_read_b128 v[18:21], v1 offset:1200
	v_accvgpr_write_b32 a154, v24
	s_waitcnt vmcnt(58) lgkmcnt(1)
	v_mul_f64 v[24:25], v[14:15], v[146:147]
	s_waitcnt vmcnt(56)
	v_fmac_f64_e32 v[24:25], v[16:17], v[150:151]
	v_add_f64 v[26:27], v[22:23], v[24:25]
	s_waitcnt lgkmcnt(0)
	v_mul_f64 v[28:29], v[18:19], v[126:127]
	ds_read_b128 v[22:25], v1 offset:1216
	v_fmac_f64_e32 v[28:29], v[20:21], v[128:129]
	v_add_f64 v[30:31], v[26:27], v[28:29]
	ds_read_b128 v[26:29], v1 offset:1232
	v_mul_f64 v[56:57], v[96:97], v[56:57]
	s_waitcnt vmcnt(50) lgkmcnt(1)
	v_mul_f64 v[32:33], v[22:23], v[154:155]
	s_waitcnt vmcnt(48)
	v_fmac_f64_e32 v[32:33], v[24:25], v[158:159]
	v_add_f64 v[34:35], v[30:31], v[32:33]
	s_waitcnt lgkmcnt(0)
	v_mul_f64 v[36:37], v[26:27], v[130:131]
	ds_read_b128 v[30:33], v1 offset:1248
	v_fmac_f64_e32 v[36:37], v[28:29], v[132:133]
	v_add_f64 v[38:39], v[34:35], v[36:37]
	ds_read_b128 v[34:37], v1 offset:1264
	v_fma_f64 v[2:3], v[94:95], v[54:55], -v[56:57]
	s_waitcnt vmcnt(42) lgkmcnt(1)
	v_mul_f64 v[40:41], v[30:31], v[162:163]
	s_waitcnt vmcnt(40)
	v_fmac_f64_e32 v[40:41], v[32:33], v[166:167]
	v_add_f64 v[42:43], v[38:39], v[40:41]
	s_waitcnt lgkmcnt(0)
	v_mul_f64 v[44:45], v[34:35], v[134:135]
	ds_read_b128 v[38:41], v1 offset:1280
	v_fmac_f64_e32 v[44:45], v[36:37], v[136:137]
	v_add_f64 v[46:47], v[42:43], v[44:45]
	ds_read_b128 v[42:45], v1 offset:1296
	v_fma_f64 v[94:95], v[108:109], v[58:59], -v[62:63]
	s_waitcnt vmcnt(34) lgkmcnt(1)
	v_mul_f64 v[48:49], v[38:39], v[170:171]
	s_waitcnt vmcnt(32)
	v_fmac_f64_e32 v[48:49], v[40:41], v[174:175]
	v_add_f64 v[50:51], v[46:47], v[48:49]
	s_waitcnt lgkmcnt(0)
	v_mul_f64 v[52:53], v[42:43], v[140:141]
	v_fmac_f64_e32 v[52:53], v[44:45], v[144:145]
	ds_read_b128 v[46:49], v1 offset:1312
	v_add_f64 v[198:199], v[50:51], v[52:53]
	ds_read_b128 v[50:53], v1 offset:1328
	buffer_load_dword v195, off, s[0:3], 0 offset:668
	buffer_load_dword v194, off, s[0:3], 0 offset:664
	;; [unrolled: 1-line block ×4, first 2 shown]
	v_mul_f64 v[58:59], v[114:115], v[60:61]
	s_waitcnt vmcnt(30) lgkmcnt(1)
	v_mul_f64 v[200:201], v[46:47], v[178:179]
	s_waitcnt vmcnt(28)
	v_fmac_f64_e32 v[200:201], v[48:49], v[180:181]
	v_add_f64 v[204:205], v[198:199], v[200:201]
	buffer_load_dword v200, off, s[0:3], 0 offset:680
	buffer_load_dword v202, off, s[0:3], 0 offset:672
	;; [unrolled: 1-line block ×12, first 2 shown]
	ds_read_b128 v[54:57], v1 offset:1344
	s_waitcnt lgkmcnt(1)
	v_mul_f64 v[4:5], v[50:51], v[148:149]
	v_fma_f64 v[96:97], v[112:113], v[84:85], -v[58:59]
	v_fmac_f64_e32 v[4:5], v[52:53], v[152:153]
	v_mul_f64 v[58:59], v[212:213], v[68:69]
	v_add_f64 v[4:5], v[204:205], v[4:5]
	v_fma_f64 v[204:205], v[210:211], v[82:83], -v[58:59]
	s_waitcnt vmcnt(34) lgkmcnt(0)
	v_mul_f64 v[58:59], v[54:55], v[182:183]
	s_waitcnt vmcnt(32)
	v_fmac_f64_e32 v[58:59], v[56:57], v[184:185]
	buffer_load_dword v221, off, s[0:3], 0 offset:732
	buffer_load_dword v220, off, s[0:3], 0 offset:728
	;; [unrolled: 1-line block ×16, first 2 shown]
	v_add_f64 v[4:5], v[4:5], v[58:59]
	ds_read_b128 v[58:61], v1 offset:1360
	v_mul_f64 v[62:63], v[238:239], v[64:65]
	v_fma_f64 v[108:109], v[236:237], v[66:67], -v[62:63]
	ds_read_b128 v[62:65], v1 offset:1376
	v_mul_f64 v[66:67], v[242:243], v[70:71]
	v_fma_f64 v[240:241], v[240:241], v[72:73], -v[66:67]
	ds_read_b128 v[66:69], v1 offset:1392
	ds_read_b128 v[74:77], v1 offset:1424
	s_waitcnt lgkmcnt(3)
	v_mul_f64 v[82:83], v[58:59], v[156:157]
	v_fmac_f64_e32 v[82:83], v[60:61], v[160:161]
	s_waitcnt vmcnt(42) lgkmcnt(2)
	v_mul_f64 v[70:71], v[62:63], v[186:187]
	v_add_f64 v[4:5], v[4:5], v[82:83]
	s_waitcnt vmcnt(40)
	v_fmac_f64_e32 v[70:71], v[64:65], v[188:189]
	v_add_f64 v[4:5], v[4:5], v[70:71]
	s_waitcnt lgkmcnt(1)
	v_mul_f64 v[70:71], v[66:67], v[164:165]
	v_fmac_f64_e32 v[70:71], v[68:69], v[168:169]
	v_add_f64 v[4:5], v[4:5], v[70:71]
	ds_read_b128 v[70:73], v1 offset:1408
	ds_read_b128 v[78:81], v1 offset:1440
	v_mul_f64 v[100:101], v[100:101], v[102:103]
	v_mul_f64 v[102:103], v[234:235], v[106:107]
	v_fma_f64 v[102:103], v[232:233], v[116:117], -v[102:103]
	s_waitcnt vmcnt(34) lgkmcnt(1)
	v_mul_f64 v[82:83], v[70:71], v[190:191]
	s_waitcnt vmcnt(32)
	v_fmac_f64_e32 v[82:83], v[72:73], v[192:193]
	v_add_f64 v[4:5], v[4:5], v[82:83]
	v_mul_f64 v[82:83], v[74:75], v[172:173]
	v_fmac_f64_e32 v[82:83], v[76:77], v[176:177]
	v_add_f64 v[4:5], v[4:5], v[82:83]
	v_accvgpr_write_b32 a157, v103
	ds_read_b128 v[90:93], v1 offset:1488
	ds_read_b128 v[214:217], v1 offset:1504
	v_fma_f64 v[250:251], v[98:99], v[104:105], -v[100:101]
	ds_read_b128 v[98:101], v1 offset:1520
	v_accvgpr_write_b32 a156, v102
	ds_read_b128 v[102:105], v1 offset:1536
	ds_read_b128 v[232:235], v1 offset:1552
	v_add_f64 v[2:3], v[2:3], 0
	ds_read_b128 v[86:89], v1 offset:1472
	v_add_f64 v[2:3], v[2:3], v[94:95]
	v_add_f64 v[2:3], v[2:3], v[96:97]
	;; [unrolled: 1-line block ×9, first 2 shown]
	v_accvgpr_read_b32 v94, a152
	v_add_f64 v[252:253], v[2:3], v[250:251]
	v_accvgpr_read_b32 v2, a156
	v_accvgpr_read_b32 v95, a153
	;; [unrolled: 1-line block ×4, first 2 shown]
	v_mul_f64 v[94:95], v[120:121], v[94:95]
	v_accvgpr_read_b32 v97, a155
	v_add_f64 v[2:3], v[252:253], v[2:3]
	v_fma_f64 v[94:95], v[118:119], v[96:97], -v[94:95]
	v_mul_f64 v[8:9], v[8:9], v[138:139]
	s_waitcnt vmcnt(30) lgkmcnt(6)
	v_mul_f64 v[82:83], v[78:79], v[194:195]
	v_add_f64 v[2:3], v[2:3], v[94:95]
	s_waitcnt vmcnt(28)
	v_fmac_f64_e32 v[82:83], v[80:81], v[196:197]
	v_add_f64 v[4:5], v[4:5], v[82:83]
	ds_read_b128 v[82:85], v1 offset:1456
	buffer_load_dword v237, off, s[0:3], 0 offset:796
	buffer_load_dword v236, off, s[0:3], 0 offset:792
	;; [unrolled: 1-line block ×4, first 2 shown]
	v_fma_f64 v[6:7], v[6:7], v[142:143], -v[8:9]
	v_add_f64 v[2:3], v[2:3], v[6:7]
	v_mul_f64 v[6:7], v[12:13], v[122:123]
	s_waitcnt vmcnt(29) lgkmcnt(0)
	v_mul_f64 v[110:111], v[82:83], v[200:201]
	s_waitcnt vmcnt(28)
	v_fmac_f64_e32 v[110:111], v[84:85], v[202:203]
	v_add_f64 v[4:5], v[4:5], v[110:111]
	s_waitcnt vmcnt(25)
	v_mul_f64 v[110:111], v[86:87], v[206:207]
	s_waitcnt vmcnt(23)
	v_fmac_f64_e32 v[110:111], v[88:89], v[218:219]
	v_add_f64 v[4:5], v[4:5], v[110:111]
	s_waitcnt vmcnt(22)
	;; [unrolled: 5-line block ×6, first 2 shown]
	v_mul_f64 v[110:111], v[232:233], v[210:211]
	s_waitcnt vmcnt(4)
	v_fmac_f64_e32 v[110:111], v[234:235], v[212:213]
	v_add_f64 v[4:5], v[4:5], v[110:111]
	ds_read_b128 v[110:113], v1 offset:1568
	buffer_load_dword v242, off, s[0:3], 0 offset:808
	buffer_load_dword v243, off, s[0:3], 0 offset:812
	;; [unrolled: 1-line block ×4, first 2 shown]
	v_fma_f64 v[6:7], v[10:11], v[124:125], -v[6:7]
	v_add_f64 v[2:3], v[2:3], v[6:7]
	v_mul_f64 v[6:7], v[16:17], v[146:147]
	v_fma_f64 v[6:7], v[14:15], v[150:151], -v[6:7]
	v_add_f64 v[2:3], v[2:3], v[6:7]
	v_mul_f64 v[6:7], v[20:21], v[126:127]
	;; [unrolled: 3-line block ×17, first 2 shown]
	s_waitcnt vmcnt(6) lgkmcnt(0)
	v_mul_f64 v[114:115], v[110:111], v[236:237]
	v_fma_f64 v[6:7], v[78:79], v[196:197], -v[6:7]
	s_waitcnt vmcnt(4)
	v_fmac_f64_e32 v[114:115], v[112:113], v[238:239]
	v_add_f64 v[4:5], v[4:5], v[114:115]
	ds_read_b128 v[114:117], v1 offset:1584
	buffer_load_dword v248, off, s[0:3], 0 offset:144
	buffer_load_dword v249, off, s[0:3], 0 offset:148
	buffer_load_dword v246, off, s[0:3], 0 offset:152
	buffer_load_dword v247, off, s[0:3], 0 offset:156
	v_add_f64 v[2:3], v[2:3], v[6:7]
	v_mul_f64 v[6:7], v[84:85], v[200:201]
	v_fma_f64 v[6:7], v[82:83], v[202:203], -v[6:7]
	v_add_f64 v[2:3], v[2:3], v[6:7]
	v_mul_f64 v[6:7], v[88:89], v[206:207]
	v_fma_f64 v[6:7], v[86:87], v[218:219], -v[6:7]
	;; [unrolled: 3-line block ×8, first 2 shown]
	v_add_f64 v[2:3], v[2:3], v[6:7]
	s_waitcnt vmcnt(6) lgkmcnt(0)
	v_mul_f64 v[6:7], v[116:117], v[242:243]
	v_mul_f64 v[106:107], v[114:115], v[242:243]
	s_waitcnt vmcnt(4)
	v_fma_f64 v[6:7], v[114:115], v[244:245], -v[6:7]
	v_fmac_f64_e32 v[106:107], v[116:117], v[244:245]
	v_add_f64 v[2:3], v[2:3], v[6:7]
	v_add_f64 v[4:5], v[4:5], v[106:107]
	s_waitcnt vmcnt(2)
	v_add_f64 v[2:3], v[248:249], -v[2:3]
	s_waitcnt vmcnt(0)
	v_add_f64 v[4:5], v[246:247], -v[4:5]
	buffer_store_dword v3, off, s[0:3], 0 offset:148
	buffer_store_dword v2, off, s[0:3], 0 offset:144
	;; [unrolled: 1-line block ×4, first 2 shown]
	s_and_saveexec_b64 s[4:5], vcc
	s_cbranch_execz .LBB49_299
; %bb.298:
	v_accvgpr_read_b32 v0, a142
	buffer_load_dword v2, v0, s[0:3], 0 offen
	buffer_load_dword v3, v0, s[0:3], 0 offen offset:4
	buffer_load_dword v4, v0, s[0:3], 0 offen offset:8
	;; [unrolled: 1-line block ×3, first 2 shown]
	v_accvgpr_read_b32 v0, a150
	buffer_store_dword v1, off, s[0:3], 0 offset:128
	buffer_store_dword v1, off, s[0:3], 0 offset:132
	;; [unrolled: 1-line block ×4, first 2 shown]
	s_waitcnt vmcnt(4)
	ds_write_b128 v0, v[2:5]
.LBB49_299:
	s_or_b64 exec, exec, s[4:5]
	s_waitcnt lgkmcnt(0)
	; wave barrier
	s_waitcnt lgkmcnt(0)
	buffer_load_dword v58, off, s[0:3], 0 offset:144
	buffer_load_dword v59, off, s[0:3], 0 offset:148
	;; [unrolled: 1-line block ×42, first 2 shown]
	ds_read_b128 v[110:113], v1 offset:928
	ds_read_b128 v[114:117], v1 offset:944
	;; [unrolled: 1-line block ×10, first 2 shown]
	buffer_load_dword v205, off, s[0:3], 0 offset:292
	buffer_load_dword v204, off, s[0:3], 0 offset:288
	ds_read_b128 v[90:93], v1 offset:1088
	buffer_load_dword v105, off, s[0:3], 0 offset:348
	buffer_load_dword v104, off, s[0:3], 0 offset:344
	;; [unrolled: 1-line block ×6, first 2 shown]
	s_waitcnt vmcnt(46) lgkmcnt(10)
	v_mul_f64 v[2:3], v[110:111], v[60:61]
	v_fmac_f64_e32 v[2:3], v[112:113], v[58:59]
	v_add_f64 v[2:3], v[2:3], 0
	v_mul_f64 v[60:61], v[112:113], v[60:61]
	s_waitcnt vmcnt(42) lgkmcnt(9)
	v_mul_f64 v[4:5], v[114:115], v[62:63]
	v_fmac_f64_e32 v[4:5], v[116:117], v[56:57]
	v_add_f64 v[2:3], v[2:3], v[4:5]
	buffer_load_dword v225, off, s[0:3], 0 offset:324
	buffer_load_dword v224, off, s[0:3], 0 offset:320
	;; [unrolled: 1-line block ×4, first 2 shown]
	s_waitcnt vmcnt(44) lgkmcnt(8)
	v_mul_f64 v[6:7], v[210:211], v[54:55]
	s_waitcnt vmcnt(42) lgkmcnt(6)
	v_mul_f64 v[10:11], v[232:233], v[64:65]
	s_waitcnt vmcnt(40)
	v_fmac_f64_e32 v[10:11], v[234:235], v[66:67]
	v_mul_f64 v[54:55], v[212:213], v[54:55]
	s_waitcnt vmcnt(38)
	v_mul_f64 v[8:9], v[214:215], v[68:69]
	s_waitcnt vmcnt(36) lgkmcnt(4)
	v_mul_f64 v[14:15], v[240:241], v[70:71]
	s_waitcnt vmcnt(34)
	v_fmac_f64_e32 v[14:15], v[242:243], v[72:73]
	s_waitcnt vmcnt(32)
	v_mul_f64 v[12:13], v[236:237], v[74:75]
	s_waitcnt vmcnt(30) lgkmcnt(2)
	v_mul_f64 v[18:19], v[248:249], v[78:79]
	v_mul_f64 v[78:79], v[250:251], v[78:79]
	s_waitcnt vmcnt(27)
	v_mul_f64 v[16:17], v[244:245], v[76:77]
	s_waitcnt vmcnt(25) lgkmcnt(1)
	v_mul_f64 v[20:21], v[82:83], v[86:87]
	s_waitcnt vmcnt(23)
	v_fmac_f64_e32 v[6:7], v[212:213], v[100:101]
	v_add_f64 v[2:3], v[2:3], v[6:7]
	s_waitcnt vmcnt(21)
	v_fmac_f64_e32 v[8:9], v[216:217], v[98:99]
	v_add_f64 v[2:3], v[2:3], v[8:9]
	;; [unrolled: 3-line block ×3, first 2 shown]
	v_add_f64 v[2:3], v[2:3], v[12:13]
	s_waitcnt vmcnt(17)
	v_fmac_f64_e32 v[16:17], v[246:247], v[88:89]
	v_add_f64 v[2:3], v[2:3], v[14:15]
	s_waitcnt vmcnt(16)
	v_fmac_f64_e32 v[18:19], v[250:251], v[80:81]
	v_add_f64 v[2:3], v[2:3], v[16:17]
	v_add_f64 v[2:3], v[2:3], v[18:19]
	v_fma_f64 v[54:55], v[210:211], v[100:101], -v[54:55]
	s_waitcnt vmcnt(10)
	v_fmac_f64_e32 v[20:21], v[84:85], v[204:205]
	v_add_f64 v[2:3], v[2:3], v[20:21]
	v_fma_f64 v[248:249], v[248:249], v[80:81], -v[78:79]
	v_mul_f64 v[84:85], v[84:85], v[86:87]
	v_fma_f64 v[204:205], v[82:83], v[204:205], -v[84:85]
	s_waitcnt vmcnt(0)
	v_pk_mov_b32 v[18:19], v[4:5], v[4:5] op_sel:[0,1]
	buffer_load_dword v5, off, s[0:3], 0 offset:372
	buffer_load_dword v4, off, s[0:3], 0 offset:368
	v_accvgpr_write_b32 a153, v19
	v_accvgpr_write_b32 a152, v18
	s_waitcnt vmcnt(0)
	v_pk_mov_b32 v[22:23], v[4:5], v[4:5] op_sel:[0,1]
	buffer_load_dword v135, off, s[0:3], 0 offset:364
	buffer_load_dword v134, off, s[0:3], 0 offset:360
	;; [unrolled: 1-line block ×6, first 2 shown]
	v_accvgpr_write_b32 a155, v23
	v_accvgpr_write_b32 a154, v22
	s_waitcnt vmcnt(0)
	v_pk_mov_b32 v[26:27], v[4:5], v[4:5] op_sel:[0,1]
	buffer_load_dword v5, off, s[0:3], 0 offset:404
	buffer_load_dword v4, off, s[0:3], 0 offset:400
	v_accvgpr_write_b32 a157, v27
	v_accvgpr_write_b32 a156, v26
	s_waitcnt vmcnt(0)
	v_pk_mov_b32 v[28:29], v[4:5], v[4:5] op_sel:[0,1]
	buffer_load_dword v143, off, s[0:3], 0 offset:396
	buffer_load_dword v142, off, s[0:3], 0 offset:392
	;; [unrolled: 1-line block ×60, first 2 shown]
	ds_read_b128 v[252:255], v1 offset:1104
	ds_read_b128 v[220:223], v1 offset:1120
	;; [unrolled: 1-line block ×5, first 2 shown]
	v_accvgpr_write_b32 a159, v29
	s_waitcnt lgkmcnt(3)
	v_mul_f64 v[8:9], v[220:221], v[104:105]
	v_fmac_f64_e32 v[8:9], v[222:223], v[106:107]
	s_waitcnt lgkmcnt(2)
	v_mul_f64 v[12:13], v[122:123], v[134:135]
	v_fmac_f64_e32 v[12:13], v[124:125], v[138:139]
	;; [unrolled: 3-line block ×3, first 2 shown]
	v_accvgpr_write_b32 a158, v28
	s_waitcnt vmcnt(54)
	v_pk_mov_b32 v[34:35], v[4:5], v[4:5] op_sel:[0,1]
	v_mul_f64 v[4:5], v[90:91], v[96:97]
	v_fmac_f64_e32 v[4:5], v[92:93], v[102:103]
	v_add_f64 v[2:3], v[2:3], v[4:5]
	v_mul_f64 v[4:5], v[252:253], v[108:109]
	v_fmac_f64_e32 v[4:5], v[254:255], v[224:225]
	v_add_f64 v[6:7], v[2:3], v[4:5]
	v_add_f64 v[10:11], v[6:7], v[8:9]
	;; [unrolled: 1-line block ×4, first 2 shown]
	ds_read_b128 v[14:17], v1 offset:1184
	s_waitcnt lgkmcnt(1)
	v_mul_f64 v[20:21], v[118:119], v[142:143]
	v_fmac_f64_e32 v[20:21], v[120:121], v[146:147]
	v_add_f64 v[22:23], v[18:19], v[20:21]
	ds_read_b128 v[18:21], v1 offset:1200
	s_waitcnt lgkmcnt(1)
	v_mul_f64 v[24:25], v[14:15], v[26:27]
	v_fmac_f64_e32 v[24:25], v[16:17], v[28:29]
	v_add_f64 v[26:27], v[22:23], v[24:25]
	ds_read_b128 v[22:25], v1 offset:1216
	s_waitcnt vmcnt(50) lgkmcnt(1)
	v_mul_f64 v[28:29], v[18:19], v[150:151]
	s_waitcnt vmcnt(48)
	v_fmac_f64_e32 v[28:29], v[20:21], v[154:155]
	v_add_f64 v[30:31], v[26:27], v[28:29]
	ds_read_b128 v[26:29], v1 offset:1232
	s_waitcnt lgkmcnt(1)
	v_mul_f64 v[32:33], v[22:23], v[34:35]
	v_accvgpr_write_b32 a161, v35
	v_fmac_f64_e32 v[32:33], v[24:25], v[128:129]
	v_accvgpr_write_b32 a160, v34
	v_add_f64 v[34:35], v[30:31], v[32:33]
	ds_read_b128 v[30:33], v1 offset:1248
	s_waitcnt vmcnt(42) lgkmcnt(1)
	v_mul_f64 v[36:37], v[26:27], v[158:159]
	s_waitcnt vmcnt(40)
	v_fmac_f64_e32 v[36:37], v[28:29], v[162:163]
	v_add_f64 v[38:39], v[34:35], v[36:37]
	ds_read_b128 v[34:37], v1 offset:1264
	s_waitcnt lgkmcnt(1)
	v_mul_f64 v[40:41], v[30:31], v[130:131]
	v_fmac_f64_e32 v[40:41], v[32:33], v[132:133]
	v_add_f64 v[42:43], v[38:39], v[40:41]
	ds_read_b128 v[38:41], v1 offset:1280
	s_waitcnt vmcnt(34) lgkmcnt(1)
	v_mul_f64 v[44:45], v[34:35], v[166:167]
	s_waitcnt vmcnt(32)
	v_fmac_f64_e32 v[44:45], v[36:37], v[170:171]
	v_add_f64 v[46:47], v[42:43], v[44:45]
	ds_read_b128 v[42:45], v1 offset:1296
	s_waitcnt lgkmcnt(1)
	v_mul_f64 v[48:49], v[38:39], v[136:137]
	v_fmac_f64_e32 v[48:49], v[40:41], v[140:141]
	v_add_f64 v[50:51], v[46:47], v[48:49]
	ds_read_b128 v[46:49], v1 offset:1312
	s_waitcnt vmcnt(26) lgkmcnt(1)
	v_mul_f64 v[52:53], v[42:43], v[174:175]
	s_waitcnt vmcnt(24)
	v_fmac_f64_e32 v[52:53], v[44:45], v[176:177]
	v_add_f64 v[2:3], v[50:51], v[52:53]
	ds_read_b128 v[50:53], v1 offset:1328
	buffer_load_dword v13, off, s[0:3], 0 offset:652
	buffer_load_dword v12, off, s[0:3], 0 offset:648
	;; [unrolled: 1-line block ×20, first 2 shown]
	v_fma_f64 v[6:7], v[110:111], v[58:59], -v[60:61]
	v_mul_f64 v[58:59], v[116:117], v[62:63]
	v_fma_f64 v[226:227], v[114:115], v[56:57], -v[58:59]
	v_mul_f64 v[56:57], v[216:217], v[68:69]
	v_fma_f64 v[56:57], v[214:215], v[98:99], -v[56:57]
	buffer_load_dword v212, off, s[0:3], 0 offset:728
	buffer_load_dword v214, off, s[0:3], 0 offset:720
	;; [unrolled: 1-line block ×12, first 2 shown]
	s_waitcnt lgkmcnt(1)
	v_mul_f64 v[4:5], v[46:47], v[144:145]
	v_fmac_f64_e32 v[4:5], v[48:49], v[148:149]
	v_add_f64 v[58:59], v[2:3], v[4:5]
	v_mul_f64 v[2:3], v[234:235], v[64:65]
	v_fma_f64 v[2:3], v[232:233], v[66:67], -v[2:3]
	buffer_load_dword v233, off, s[0:3], 0 offset:780
	buffer_load_dword v232, off, s[0:3], 0 offset:776
	;; [unrolled: 1-line block ×4, first 2 shown]
	ds_read_b128 v[8:11], v1 offset:1344
	s_waitcnt vmcnt(54) lgkmcnt(1)
	v_mul_f64 v[4:5], v[50:51], v[178:179]
	s_waitcnt vmcnt(52)
	v_fmac_f64_e32 v[4:5], v[52:53], v[180:181]
	v_add_f64 v[4:5], v[58:59], v[4:5]
	v_mul_f64 v[58:59], v[238:239], v[74:75]
	v_fma_f64 v[236:237], v[236:237], v[94:95], -v[58:59]
	ds_read_b128 v[58:61], v1 offset:1360
	s_waitcnt lgkmcnt(1)
	v_mul_f64 v[62:63], v[8:9], v[152:153]
	v_fmac_f64_e32 v[62:63], v[10:11], v[156:157]
	v_add_f64 v[4:5], v[4:5], v[62:63]
	ds_read_b128 v[62:65], v1 offset:1376
	v_mul_f64 v[66:67], v[242:243], v[70:71]
	s_waitcnt vmcnt(46) lgkmcnt(1)
	v_mul_f64 v[70:71], v[58:59], v[182:183]
	v_fma_f64 v[240:241], v[240:241], v[72:73], -v[66:67]
	ds_read_b128 v[66:69], v1 offset:1392
	s_waitcnt vmcnt(44)
	v_fmac_f64_e32 v[70:71], v[60:61], v[184:185]
	v_add_f64 v[4:5], v[4:5], v[70:71]
	v_mul_f64 v[70:71], v[246:247], v[76:77]
	v_fma_f64 v[246:247], v[244:245], v[88:89], -v[70:71]
	ds_read_b128 v[70:73], v1 offset:1408
	ds_read_b128 v[78:81], v1 offset:1440
	s_waitcnt lgkmcnt(3)
	v_mul_f64 v[74:75], v[62:63], v[160:161]
	v_fmac_f64_e32 v[74:75], v[64:65], v[164:165]
	v_add_f64 v[4:5], v[4:5], v[74:75]
	s_waitcnt vmcnt(38) lgkmcnt(2)
	v_mul_f64 v[74:75], v[66:67], v[186:187]
	s_waitcnt vmcnt(36)
	v_fmac_f64_e32 v[74:75], v[68:69], v[188:189]
	v_add_f64 v[4:5], v[4:5], v[74:75]
	s_waitcnt lgkmcnt(1)
	v_mul_f64 v[74:75], v[70:71], v[168:169]
	v_fmac_f64_e32 v[74:75], v[72:73], v[172:173]
	v_add_f64 v[4:5], v[4:5], v[74:75]
	ds_read_b128 v[74:77], v1 offset:1424
	ds_read_b128 v[82:85], v1 offset:1456
	v_mul_f64 v[92:93], v[92:93], v[96:97]
	v_fma_f64 v[250:251], v[90:91], v[102:103], -v[92:93]
	ds_read_b128 v[98:101], v1 offset:1504
	v_mul_f64 v[96:97], v[254:255], v[108:109]
	v_fma_f64 v[224:225], v[252:253], v[224:225], -v[96:97]
	v_mul_f64 v[102:103], v[222:223], v[104:105]
	v_fma_f64 v[252:253], v[220:221], v[106:107], -v[102:103]
	ds_read_b128 v[102:105], v1 offset:1536
	v_add_f64 v[6:7], v[6:7], 0
	v_add_f64 v[6:7], v[6:7], v[226:227]
	v_add_f64 v[6:7], v[6:7], v[54:55]
	v_add_f64 v[6:7], v[6:7], v[56:57]
	v_add_f64 v[2:3], v[6:7], v[2:3]
	v_add_f64 v[2:3], v[2:3], v[236:237]
	v_add_f64 v[2:3], v[2:3], v[240:241]
	ds_read_b128 v[90:93], v1 offset:1488
	v_add_f64 v[2:3], v[2:3], v[246:247]
	v_add_f64 v[2:3], v[2:3], v[248:249]
	v_add_f64 v[2:3], v[2:3], v[204:205]
	v_add_f64 v[254:255], v[2:3], v[250:251]
	v_add_f64 v[2:3], v[254:255], v[224:225]
	v_mul_f64 v[6:7], v[124:125], v[134:135]
	v_add_f64 v[2:3], v[2:3], v[252:253]
	v_fma_f64 v[6:7], v[122:123], v[138:139], -v[6:7]
	v_add_f64 v[2:3], v[2:3], v[6:7]
	s_waitcnt vmcnt(25) lgkmcnt(3)
	v_mul_f64 v[94:95], v[82:83], v[200:201]
	s_waitcnt vmcnt(23)
	v_fmac_f64_e32 v[94:95], v[84:85], v[208:209]
	v_mul_f64 v[88:89], v[74:75], v[12:13]
	v_fmac_f64_e32 v[88:89], v[76:77], v[126:127]
	v_mul_f64 v[86:87], v[78:79], v[196:197]
	v_add_f64 v[4:5], v[4:5], v[88:89]
	v_fmac_f64_e32 v[86:87], v[80:81], v[198:199]
	v_add_f64 v[4:5], v[4:5], v[86:87]
	ds_read_b128 v[86:89], v1 offset:1472
	v_add_f64 v[4:5], v[4:5], v[94:95]
	s_waitcnt vmcnt(22) lgkmcnt(0)
	v_mul_f64 v[94:95], v[86:87], v[194:195]
	s_waitcnt vmcnt(20)
	v_fmac_f64_e32 v[94:95], v[88:89], v[206:207]
	v_add_f64 v[4:5], v[4:5], v[94:95]
	s_waitcnt vmcnt(18)
	v_mul_f64 v[94:95], v[90:91], v[202:203]
	s_waitcnt vmcnt(16)
	v_fmac_f64_e32 v[94:95], v[92:93], v[218:219]
	v_add_f64 v[4:5], v[4:5], v[94:95]
	ds_read_b128 v[94:97], v1 offset:1520
	s_waitcnt vmcnt(13)
	v_mul_f64 v[106:107], v[98:99], v[212:213]
	s_waitcnt vmcnt(12)
	v_fmac_f64_e32 v[106:107], v[100:101], v[214:215]
	v_add_f64 v[4:5], v[4:5], v[106:107]
	s_waitcnt vmcnt(9) lgkmcnt(0)
	v_mul_f64 v[106:107], v[94:95], v[228:229]
	s_waitcnt vmcnt(7)
	v_fmac_f64_e32 v[106:107], v[96:97], v[230:231]
	v_add_f64 v[4:5], v[4:5], v[106:107]
	s_waitcnt vmcnt(5)
	v_mul_f64 v[106:107], v[102:103], v[210:211]
	s_waitcnt vmcnt(4)
	v_fmac_f64_e32 v[106:107], v[104:105], v[216:217]
	v_add_f64 v[4:5], v[4:5], v[106:107]
	ds_read_b128 v[106:109], v1 offset:1552
	s_waitcnt vmcnt(2) lgkmcnt(0)
	v_mul_f64 v[110:111], v[106:107], v[232:233]
	s_waitcnt vmcnt(0)
	v_fmac_f64_e32 v[110:111], v[108:109], v[234:235]
	v_add_f64 v[114:115], v[4:5], v[110:111]
	buffer_load_dword v4, off, s[0:3], 0 offset:792
	buffer_load_dword v5, off, s[0:3], 0 offset:796
	;; [unrolled: 1-line block ×4, first 2 shown]
	ds_read_b128 v[110:113], v1 offset:1568
	buffer_load_dword v243, off, s[0:3], 0 offset:812
	buffer_load_dword v242, off, s[0:3], 0 offset:808
	;; [unrolled: 1-line block ×4, first 2 shown]
	s_waitcnt vmcnt(6) lgkmcnt(0)
	v_mul_f64 v[116:117], v[110:111], v[4:5]
	v_mul_f64 v[4:5], v[112:113], v[4:5]
	s_waitcnt vmcnt(4)
	v_fmac_f64_e32 v[116:117], v[112:113], v[238:239]
	v_add_f64 v[220:221], v[114:115], v[116:117]
	ds_read_b128 v[114:117], v1 offset:1584
	buffer_load_dword v248, off, s[0:3], 0 offset:128
	buffer_load_dword v249, off, s[0:3], 0 offset:132
	;; [unrolled: 1-line block ×4, first 2 shown]
	v_accvgpr_read_b32 v0, a152
	v_accvgpr_read_b32 v1, a153
	v_mul_f64 v[6:7], v[192:193], v[0:1]
	v_accvgpr_read_b32 v0, a154
	v_accvgpr_read_b32 v1, a155
	v_fma_f64 v[6:7], v[190:191], v[0:1], -v[6:7]
	v_add_f64 v[2:3], v[2:3], v[6:7]
	v_mul_f64 v[6:7], v[120:121], v[142:143]
	v_accvgpr_read_b32 v0, a156
	v_fma_f64 v[6:7], v[118:119], v[146:147], -v[6:7]
	v_accvgpr_read_b32 v1, a157
	v_add_f64 v[2:3], v[2:3], v[6:7]
	v_mul_f64 v[6:7], v[16:17], v[0:1]
	v_accvgpr_read_b32 v0, a158
	v_accvgpr_read_b32 v1, a159
	v_fma_f64 v[6:7], v[14:15], v[0:1], -v[6:7]
	v_add_f64 v[2:3], v[2:3], v[6:7]
	v_mul_f64 v[6:7], v[20:21], v[150:151]
	v_accvgpr_read_b32 v0, a160
	v_fma_f64 v[6:7], v[18:19], v[154:155], -v[6:7]
	v_accvgpr_read_b32 v1, a161
	v_add_f64 v[2:3], v[2:3], v[6:7]
	v_mul_f64 v[6:7], v[24:25], v[0:1]
	v_fma_f64 v[6:7], v[22:23], v[128:129], -v[6:7]
	v_add_f64 v[2:3], v[2:3], v[6:7]
	v_mul_f64 v[6:7], v[28:29], v[158:159]
	v_fma_f64 v[6:7], v[26:27], v[162:163], -v[6:7]
	;; [unrolled: 3-line block ×22, first 2 shown]
	v_add_f64 v[2:3], v[2:3], v[6:7]
	v_fma_f64 v[4:5], v[110:111], v[238:239], -v[4:5]
	v_add_f64 v[2:3], v[2:3], v[4:5]
	s_waitcnt vmcnt(6) lgkmcnt(0)
	v_mul_f64 v[4:5], v[116:117], v[242:243]
	v_mul_f64 v[222:223], v[114:115], v[242:243]
	s_waitcnt vmcnt(4)
	v_fma_f64 v[4:5], v[114:115], v[244:245], -v[4:5]
	v_fmac_f64_e32 v[222:223], v[116:117], v[244:245]
	v_add_f64 v[2:3], v[2:3], v[4:5]
	v_accvgpr_read_b32 v0, a149
	v_add_f64 v[220:221], v[220:221], v[222:223]
	s_waitcnt vmcnt(2)
	v_add_f64 v[2:3], v[248:249], -v[2:3]
	v_cmp_lt_u32_e32 vcc, 6, v0
	s_waitcnt vmcnt(0)
	v_add_f64 v[4:5], v[246:247], -v[220:221]
	buffer_store_dword v3, off, s[0:3], 0 offset:132
	buffer_store_dword v2, off, s[0:3], 0 offset:128
	;; [unrolled: 1-line block ×4, first 2 shown]
	s_and_saveexec_b64 s[4:5], vcc
	s_cbranch_execz .LBB49_301
; %bb.300:
	v_accvgpr_read_b32 v0, a143
	buffer_load_dword v2, v0, s[0:3], 0 offen
	buffer_load_dword v3, v0, s[0:3], 0 offen offset:4
	buffer_load_dword v4, v0, s[0:3], 0 offen offset:8
	;; [unrolled: 1-line block ×3, first 2 shown]
	v_mov_b32_e32 v0, 0
	v_accvgpr_read_b32 v1, a150
	buffer_store_dword v0, off, s[0:3], 0 offset:112
	buffer_store_dword v0, off, s[0:3], 0 offset:116
	;; [unrolled: 1-line block ×4, first 2 shown]
	s_waitcnt vmcnt(4)
	ds_write_b128 v1, v[2:5]
.LBB49_301:
	s_or_b64 exec, exec, s[4:5]
	s_waitcnt lgkmcnt(0)
	; wave barrier
	s_waitcnt lgkmcnt(0)
	buffer_load_dword v50, off, s[0:3], 0 offset:128
	buffer_load_dword v51, off, s[0:3], 0 offset:132
	;; [unrolled: 1-line block ×54, first 2 shown]
	v_mov_b32_e32 v1, 0
	ds_read_b128 v[102:105], v1 offset:912
	ds_read_b128 v[106:109], v1 offset:928
	;; [unrolled: 1-line block ×9, first 2 shown]
	v_accvgpr_read_b32 v0, a149
	v_cmp_lt_u32_e32 vcc, 5, v0
	s_waitcnt vmcnt(46) lgkmcnt(7)
	v_mul_f64 v[4:5], v[106:107], v[58:59]
	v_fmac_f64_e32 v[4:5], v[108:109], v[52:53]
	s_waitcnt vmcnt(44) lgkmcnt(6)
	v_mul_f64 v[6:7], v[110:111], v[202:203]
	s_waitcnt vmcnt(42) lgkmcnt(4)
	v_mul_f64 v[10:11], v[208:209], v[62:63]
	s_waitcnt vmcnt(40)
	v_fmac_f64_e32 v[10:11], v[210:211], v[60:61]
	s_waitcnt vmcnt(38)
	v_mul_f64 v[8:9], v[114:115], v[64:65]
	s_waitcnt vmcnt(36) lgkmcnt(2)
	v_mul_f64 v[14:15], v[232:233], v[66:67]
	s_waitcnt vmcnt(34)
	v_fmac_f64_e32 v[14:15], v[234:235], v[70:71]
	s_waitcnt vmcnt(32)
	;; [unrolled: 6-line block ×3, first 2 shown]
	v_fmac_f64_e32 v[8:9], v[116:117], v[80:81]
	s_waitcnt vmcnt(24)
	v_fmac_f64_e32 v[12:13], v[214:215], v[78:79]
	s_waitcnt vmcnt(22)
	;; [unrolled: 2-line block ×3, first 2 shown]
	v_pk_mov_b32 v[18:19], v[2:3], v[2:3] op_sel:[0,1]
	v_mul_f64 v[2:3], v[102:103], v[56:57]
	v_fmac_f64_e32 v[2:3], v[104:105], v[50:51]
	v_add_f64 v[2:3], v[2:3], 0
	v_add_f64 v[2:3], v[2:3], v[4:5]
	buffer_load_dword v5, off, s[0:3], 0 offset:356
	buffer_load_dword v4, off, s[0:3], 0 offset:352
	v_add_f64 v[2:3], v[2:3], v[6:7]
	v_add_f64 v[2:3], v[2:3], v[8:9]
	;; [unrolled: 1-line block ×5, first 2 shown]
	s_waitcnt lgkmcnt(0)
	v_mul_f64 v[6:7], v[240:241], v[74:75]
	v_add_f64 v[2:3], v[2:3], v[16:17]
	v_fmac_f64_e32 v[6:7], v[242:243], v[84:85]
	v_add_f64 v[2:3], v[2:3], v[6:7]
	v_accvgpr_write_b32 a153, v19
	v_accvgpr_write_b32 a152, v18
	v_mul_f64 v[74:75], v[242:243], v[74:75]
	v_fma_f64 v[240:241], v[240:241], v[84:85], -v[74:75]
	s_waitcnt vmcnt(0)
	v_pk_mov_b32 v[8:9], v[4:5], v[4:5] op_sel:[0,1]
	buffer_load_dword v55, off, s[0:3], 0 offset:348
	buffer_load_dword v54, off, s[0:3], 0 offset:344
	;; [unrolled: 1-line block ×6, first 2 shown]
	v_accvgpr_write_b32 a155, v9
	v_accvgpr_write_b32 a154, v8
	s_waitcnt vmcnt(0)
	v_pk_mov_b32 v[20:21], v[4:5], v[4:5] op_sel:[0,1]
	buffer_load_dword v5, off, s[0:3], 0 offset:388
	buffer_load_dword v4, off, s[0:3], 0 offset:384
	;; [unrolled: 1-line block ×54, first 2 shown]
	ds_read_b128 v[244:247], v1 offset:1056
	ds_read_b128 v[248:251], v1 offset:1072
	;; [unrolled: 1-line block ×6, first 2 shown]
	s_waitcnt lgkmcnt(5)
	v_mul_f64 v[6:7], v[244:245], v[90:91]
	v_fmac_f64_e32 v[6:7], v[246:247], v[92:93]
	v_add_f64 v[2:3], v[2:3], v[6:7]
	s_waitcnt lgkmcnt(4)
	v_mul_f64 v[6:7], v[248:249], v[86:87]
	v_fmac_f64_e32 v[6:7], v[250:251], v[88:89]
	v_add_f64 v[2:3], v[2:3], v[6:7]
	;; [unrolled: 4-line block ×4, first 2 shown]
	s_waitcnt lgkmcnt(1)
	v_mul_f64 v[6:7], v[218:219], v[54:55]
	v_fmac_f64_e32 v[6:7], v[220:221], v[198:199]
	s_waitcnt lgkmcnt(0)
	v_mul_f64 v[10:11], v[122:123], v[18:19]
	v_add_f64 v[2:3], v[2:3], v[6:7]
	ds_read_b128 v[126:129], v1 offset:1152
	v_fmac_f64_e32 v[10:11], v[124:125], v[8:9]
	v_add_f64 v[2:3], v[2:3], v[10:11]
	ds_read_b128 v[10:13], v1 offset:1168
	v_accvgpr_write_b32 a157, v21
	v_accvgpr_write_b32 a156, v20
	s_waitcnt vmcnt(52)
	v_accvgpr_write_b32 a159, v5
	s_waitcnt vmcnt(50) lgkmcnt(1)
	v_mul_f64 v[14:15], v[126:127], v[138:139]
	s_waitcnt lgkmcnt(0)
	v_mul_f64 v[18:19], v[10:11], v[20:21]
	s_waitcnt vmcnt(48)
	v_fmac_f64_e32 v[14:15], v[128:129], v[142:143]
	v_add_f64 v[2:3], v[2:3], v[14:15]
	ds_read_b128 v[14:17], v1 offset:1184
	v_fmac_f64_e32 v[18:19], v[12:13], v[4:5]
	v_add_f64 v[2:3], v[2:3], v[18:19]
	ds_read_b128 v[18:21], v1 offset:1200
	v_accvgpr_write_b32 a158, v4
	s_waitcnt vmcnt(42) lgkmcnt(1)
	v_mul_f64 v[22:23], v[14:15], v[146:147]
	s_waitcnt vmcnt(40)
	v_fmac_f64_e32 v[22:23], v[16:17], v[150:151]
	v_add_f64 v[2:3], v[2:3], v[22:23]
	s_waitcnt lgkmcnt(0)
	v_mul_f64 v[26:27], v[18:19], v[216:217]
	ds_read_b128 v[22:25], v1 offset:1216
	v_fmac_f64_e32 v[26:27], v[20:21], v[204:205]
	v_add_f64 v[2:3], v[2:3], v[26:27]
	ds_read_b128 v[26:29], v1 offset:1232
	v_mul_f64 v[4:5], v[104:105], v[56:57]
	s_waitcnt vmcnt(34) lgkmcnt(1)
	v_mul_f64 v[30:31], v[22:23], v[154:155]
	s_waitcnt vmcnt(32)
	v_fmac_f64_e32 v[30:31], v[24:25], v[158:159]
	v_add_f64 v[2:3], v[2:3], v[30:31]
	s_waitcnt lgkmcnt(0)
	v_mul_f64 v[34:35], v[26:27], v[130:131]
	ds_read_b128 v[30:33], v1 offset:1248
	v_fmac_f64_e32 v[34:35], v[28:29], v[132:133]
	v_add_f64 v[2:3], v[2:3], v[34:35]
	ds_read_b128 v[34:37], v1 offset:1264
	v_mul_f64 v[6:7], v[108:109], v[58:59]
	s_waitcnt vmcnt(26) lgkmcnt(1)
	v_mul_f64 v[38:39], v[30:31], v[162:163]
	s_waitcnt vmcnt(24)
	v_fmac_f64_e32 v[38:39], v[32:33], v[164:165]
	v_add_f64 v[2:3], v[2:3], v[38:39]
	s_waitcnt lgkmcnt(0)
	v_mul_f64 v[42:43], v[34:35], v[134:135]
	v_fmac_f64_e32 v[42:43], v[36:37], v[136:137]
	ds_read_b128 v[38:41], v1 offset:1280
	v_add_f64 v[2:3], v[2:3], v[42:43]
	ds_read_b128 v[42:45], v1 offset:1296
	buffer_load_dword v179, off, s[0:3], 0 offset:620
	buffer_load_dword v181, off, s[0:3], 0 offset:604
	;; [unrolled: 1-line block ×8, first 2 shown]
	v_fma_f64 v[8:9], v[102:103], v[50:51], -v[4:5]
	s_waitcnt vmcnt(26) lgkmcnt(1)
	v_mul_f64 v[46:47], v[38:39], v[166:167]
	s_waitcnt vmcnt(24)
	v_fmac_f64_e32 v[46:47], v[40:41], v[168:169]
	v_add_f64 v[2:3], v[2:3], v[46:47]
	ds_read_b128 v[46:49], v1 offset:1312
	buffer_load_dword v187, off, s[0:3], 0 offset:636
	buffer_load_dword v186, off, s[0:3], 0 offset:632
	;; [unrolled: 1-line block ×4, first 2 shown]
	s_waitcnt lgkmcnt(1)
	v_mul_f64 v[190:191], v[42:43], v[140:141]
	v_fmac_f64_e32 v[190:191], v[44:45], v[144:145]
	v_add_f64 v[2:3], v[2:3], v[190:191]
	buffer_load_dword v191, off, s[0:3], 0 offset:652
	buffer_load_dword v190, off, s[0:3], 0 offset:648
	;; [unrolled: 1-line block ×12, first 2 shown]
	v_fma_f64 v[102:103], v[106:107], v[52:53], -v[6:7]
	v_mul_f64 v[6:7], v[112:113], v[202:203]
	v_fma_f64 v[104:105], v[110:111], v[82:83], -v[6:7]
	buffer_load_dword v203, off, s[0:3], 0 offset:700
	buffer_load_dword v202, off, s[0:3], 0 offset:696
	;; [unrolled: 1-line block ×4, first 2 shown]
	v_mul_f64 v[6:7], v[116:117], v[64:65]
	v_fma_f64 v[106:107], v[114:115], v[80:81], -v[6:7]
	v_mul_f64 v[50:51], v[210:211], v[62:63]
	buffer_load_dword v211, off, s[0:3], 0 offset:716
	buffer_load_dword v210, off, s[0:3], 0 offset:712
	;; [unrolled: 1-line block ×4, first 2 shown]
	v_fma_f64 v[108:109], v[208:209], v[60:61], -v[50:51]
	buffer_load_dword v209, off, s[0:3], 0 offset:748
	buffer_load_dword v223, off, s[0:3], 0 offset:732
	;; [unrolled: 1-line block ×12, first 2 shown]
	ds_read_b128 v[50:53], v1 offset:1328
	v_mul_f64 v[60:61], v[214:215], v[76:77]
	v_fma_f64 v[4:5], v[212:213], v[78:79], -v[60:61]
	ds_read_b128 v[212:215], v1 offset:1344
	s_waitcnt vmcnt(54) lgkmcnt(2)
	v_mul_f64 v[58:59], v[46:47], v[170:171]
	s_waitcnt vmcnt(52)
	v_fmac_f64_e32 v[58:59], v[48:49], v[172:173]
	v_add_f64 v[2:3], v[2:3], v[58:59]
	s_waitcnt lgkmcnt(1)
	v_mul_f64 v[58:59], v[50:51], v[148:149]
	v_fmac_f64_e32 v[58:59], v[52:53], v[152:153]
	v_add_f64 v[2:3], v[2:3], v[58:59]
	s_waitcnt vmcnt(46) lgkmcnt(0)
	v_mul_f64 v[58:59], v[212:213], v[174:175]
	s_waitcnt vmcnt(44)
	v_fmac_f64_e32 v[58:59], v[214:215], v[176:177]
	v_add_f64 v[2:3], v[2:3], v[58:59]
	ds_read_b128 v[58:61], v1 offset:1360
	v_mul_f64 v[62:63], v[234:235], v[66:67]
	v_fma_f64 v[232:233], v[232:233], v[70:71], -v[62:63]
	ds_read_b128 v[62:65], v1 offset:1376
	v_mul_f64 v[66:67], v[238:239], v[68:69]
	v_fma_f64 v[234:235], v[236:237], v[72:73], -v[66:67]
	ds_read_b128 v[66:69], v1 offset:1392
	ds_read_b128 v[74:77], v1 offset:1424
	s_waitcnt lgkmcnt(3)
	v_mul_f64 v[70:71], v[58:59], v[156:157]
	v_fmac_f64_e32 v[70:71], v[60:61], v[160:161]
	v_add_f64 v[2:3], v[2:3], v[70:71]
	v_mul_f64 v[78:79], v[246:247], v[90:91]
	v_fma_f64 v[246:247], v[244:245], v[92:93], -v[78:79]
	v_mul_f64 v[86:87], v[250:251], v[86:87]
	v_fma_f64 v[248:249], v[248:249], v[88:89], -v[86:87]
	v_mul_f64 v[94:95], v[120:121], v[94:95]
	v_mul_f64 v[54:55], v[220:221], v[54:55]
	v_fma_f64 v[54:55], v[218:219], v[198:199], -v[54:55]
	v_accvgpr_write_b32 a161, v55
	v_accvgpr_write_b32 a160, v54
	v_add_f64 v[8:9], v[8:9], 0
	v_add_f64 v[8:9], v[8:9], v[102:103]
	;; [unrolled: 1-line block ×11, first 2 shown]
	ds_read_b128 v[78:81], v1 offset:1440
	v_accvgpr_read_b32 v8, a152
	v_accvgpr_read_b32 v9, a153
	;; [unrolled: 1-line block ×3, first 2 shown]
	v_mul_f64 v[8:9], v[124:125], v[8:9]
	v_accvgpr_read_b32 v103, a155
	v_fma_f64 v[8:9], v[122:123], v[102:103], -v[8:9]
	ds_read_b128 v[86:89], v1 offset:1472
	s_waitcnt vmcnt(41) lgkmcnt(4)
	v_mul_f64 v[70:71], v[62:63], v[180:181]
	s_waitcnt vmcnt(39)
	v_fmac_f64_e32 v[70:71], v[64:65], v[184:185]
	v_add_f64 v[2:3], v[2:3], v[70:71]
	s_waitcnt vmcnt(38) lgkmcnt(3)
	v_mul_f64 v[70:71], v[66:67], v[178:179]
	s_waitcnt vmcnt(36)
	v_fmac_f64_e32 v[70:71], v[68:69], v[182:183]
	v_add_f64 v[2:3], v[2:3], v[70:71]
	ds_read_b128 v[70:73], v1 offset:1408
	s_waitcnt vmcnt(34) lgkmcnt(0)
	v_mul_f64 v[82:83], v[70:71], v[186:187]
	s_waitcnt vmcnt(32)
	v_fmac_f64_e32 v[82:83], v[72:73], v[188:189]
	v_add_f64 v[2:3], v[2:3], v[82:83]
	s_waitcnt vmcnt(30)
	v_mul_f64 v[82:83], v[74:75], v[190:191]
	s_waitcnt vmcnt(28)
	v_fmac_f64_e32 v[82:83], v[76:77], v[194:195]
	v_add_f64 v[2:3], v[2:3], v[82:83]
	s_waitcnt vmcnt(26)
	v_mul_f64 v[82:83], v[78:79], v[192:193]
	s_waitcnt vmcnt(24)
	v_fmac_f64_e32 v[82:83], v[80:81], v[196:197]
	v_add_f64 v[2:3], v[2:3], v[82:83]
	ds_read_b128 v[82:85], v1 offset:1456
	s_waitcnt vmcnt(21) lgkmcnt(0)
	v_mul_f64 v[90:91], v[82:83], v[56:57]
	s_waitcnt vmcnt(20)
	v_fmac_f64_e32 v[90:91], v[84:85], v[200:201]
	v_add_f64 v[110:111], v[2:3], v[90:91]
	v_mul_f64 v[90:91], v[254:255], v[98:99]
	v_fma_f64 v[252:253], v[252:253], v[100:101], -v[90:91]
	ds_read_b128 v[90:93], v1 offset:1488
	s_waitcnt vmcnt(18)
	v_mul_f64 v[98:99], v[86:87], v[202:203]
	s_waitcnt vmcnt(16)
	v_fmac_f64_e32 v[98:99], v[88:89], v[206:207]
	v_fma_f64 v[254:255], v[118:119], v[96:97], -v[94:95]
	ds_read_b128 v[94:97], v1 offset:1504
	s_waitcnt vmcnt(14) lgkmcnt(1)
	v_mul_f64 v[100:101], v[90:91], v[210:211]
	v_add_f64 v[98:99], v[110:111], v[98:99]
	s_waitcnt vmcnt(12)
	v_fmac_f64_e32 v[100:101], v[92:93], v[6:7]
	v_add_f64 v[110:111], v[98:99], v[100:101]
	ds_read_b128 v[98:101], v1 offset:1520
	ds_read_b128 v[118:121], v1 offset:1536
	s_waitcnt vmcnt(9) lgkmcnt(2)
	v_mul_f64 v[54:55], v[94:95], v[222:223]
	s_waitcnt vmcnt(7)
	v_fmac_f64_e32 v[54:55], v[96:97], v[228:229]
	v_add_f64 v[54:55], v[110:111], v[54:55]
	s_waitcnt vmcnt(6) lgkmcnt(1)
	v_mul_f64 v[110:111], v[98:99], v[208:209]
	s_waitcnt vmcnt(4)
	v_fmac_f64_e32 v[110:111], v[100:101], v[226:227]
	v_add_f64 v[54:55], v[54:55], v[110:111]
	s_waitcnt vmcnt(2) lgkmcnt(0)
	v_mul_f64 v[110:111], v[118:119], v[224:225]
	buffer_load_dword v2, off, s[0:3], 0 offset:776
	s_waitcnt vmcnt(1)
	v_fmac_f64_e32 v[110:111], v[120:121], v[230:231]
	v_add_f64 v[110:111], v[54:55], v[110:111]
	buffer_load_dword v54, off, s[0:3], 0 offset:768
	buffer_load_dword v3, off, s[0:3], 0 offset:780
	;; [unrolled: 1-line block ×3, first 2 shown]
	ds_read_b128 v[218:221], v1 offset:1552
	buffer_load_dword v237, off, s[0:3], 0 offset:796
	buffer_load_dword v236, off, s[0:3], 0 offset:792
	;; [unrolled: 1-line block ×4, first 2 shown]
	v_add_f64 v[4:5], v[4:5], v[252:253]
	v_add_f64 v[252:253], v[4:5], v[254:255]
	v_accvgpr_read_b32 v4, a160
	v_accvgpr_read_b32 v5, a161
	v_add_f64 v[4:5], v[252:253], v[4:5]
	v_add_f64 v[4:5], v[4:5], v[8:9]
	v_mul_f64 v[8:9], v[128:129], v[138:139]
	v_fma_f64 v[8:9], v[126:127], v[142:143], -v[8:9]
	v_add_f64 v[4:5], v[4:5], v[8:9]
	v_accvgpr_read_b32 v8, a156
	v_accvgpr_read_b32 v9, a157
	v_mul_f64 v[8:9], v[12:13], v[8:9]
	v_accvgpr_read_b32 v12, a158
	v_accvgpr_read_b32 v13, a159
	v_fma_f64 v[8:9], v[10:11], v[12:13], -v[8:9]
	v_add_f64 v[4:5], v[4:5], v[8:9]
	v_mul_f64 v[8:9], v[16:17], v[146:147]
	v_fma_f64 v[8:9], v[14:15], v[150:151], -v[8:9]
	v_add_f64 v[4:5], v[4:5], v[8:9]
	v_mul_f64 v[8:9], v[20:21], v[216:217]
	;; [unrolled: 3-line block ×20, first 2 shown]
	v_fma_f64 v[6:7], v[90:91], v[6:7], -v[8:9]
	v_add_f64 v[4:5], v[4:5], v[6:7]
	s_waitcnt vmcnt(5) lgkmcnt(0)
	v_mul_f64 v[112:113], v[218:219], v[2:3]
	s_waitcnt vmcnt(4)
	v_fmac_f64_e32 v[112:113], v[220:221], v[54:55]
	v_add_f64 v[114:115], v[110:111], v[112:113]
	ds_read_b128 v[110:113], v1 offset:1568
	buffer_load_dword v242, off, s[0:3], 0 offset:808
	buffer_load_dword v243, off, s[0:3], 0 offset:812
	;; [unrolled: 1-line block ×4, first 2 shown]
	v_mul_f64 v[6:7], v[96:97], v[222:223]
	v_fma_f64 v[6:7], v[94:95], v[228:229], -v[6:7]
	v_add_f64 v[4:5], v[4:5], v[6:7]
	s_waitcnt vmcnt(6) lgkmcnt(0)
	v_mul_f64 v[116:117], v[110:111], v[236:237]
	s_waitcnt vmcnt(4)
	v_fmac_f64_e32 v[116:117], v[112:113], v[238:239]
	v_add_f64 v[198:199], v[114:115], v[116:117]
	ds_read_b128 v[114:117], v1 offset:1584
	buffer_load_dword v248, off, s[0:3], 0 offset:112
	buffer_load_dword v249, off, s[0:3], 0 offset:116
	;; [unrolled: 1-line block ×4, first 2 shown]
	v_mul_f64 v[6:7], v[100:101], v[208:209]
	v_fma_f64 v[6:7], v[98:99], v[226:227], -v[6:7]
	v_add_f64 v[4:5], v[4:5], v[6:7]
	v_mul_f64 v[6:7], v[120:121], v[224:225]
	v_fma_f64 v[6:7], v[118:119], v[230:231], -v[6:7]
	v_mul_f64 v[2:3], v[220:221], v[2:3]
	v_add_f64 v[4:5], v[4:5], v[6:7]
	v_fma_f64 v[2:3], v[218:219], v[54:55], -v[2:3]
	v_add_f64 v[2:3], v[4:5], v[2:3]
	v_mul_f64 v[4:5], v[112:113], v[236:237]
	v_fma_f64 v[4:5], v[110:111], v[238:239], -v[4:5]
	v_add_f64 v[2:3], v[2:3], v[4:5]
	s_waitcnt vmcnt(6) lgkmcnt(0)
	v_mul_f64 v[4:5], v[116:117], v[242:243]
	v_mul_f64 v[250:251], v[114:115], v[242:243]
	s_waitcnt vmcnt(4)
	v_fma_f64 v[4:5], v[114:115], v[244:245], -v[4:5]
	v_fmac_f64_e32 v[250:251], v[116:117], v[244:245]
	v_add_f64 v[2:3], v[2:3], v[4:5]
	v_add_f64 v[198:199], v[198:199], v[250:251]
	s_waitcnt vmcnt(2)
	v_add_f64 v[2:3], v[248:249], -v[2:3]
	s_waitcnt vmcnt(0)
	v_add_f64 v[4:5], v[246:247], -v[198:199]
	buffer_store_dword v3, off, s[0:3], 0 offset:116
	buffer_store_dword v2, off, s[0:3], 0 offset:112
	;; [unrolled: 1-line block ×4, first 2 shown]
	s_and_saveexec_b64 s[4:5], vcc
	s_cbranch_execz .LBB49_303
; %bb.302:
	v_accvgpr_read_b32 v0, a144
	buffer_load_dword v2, v0, s[0:3], 0 offen
	buffer_load_dword v3, v0, s[0:3], 0 offen offset:4
	buffer_load_dword v4, v0, s[0:3], 0 offen offset:8
	;; [unrolled: 1-line block ×3, first 2 shown]
	v_accvgpr_read_b32 v0, a150
	buffer_store_dword v1, off, s[0:3], 0 offset:96
	buffer_store_dword v1, off, s[0:3], 0 offset:100
	;; [unrolled: 1-line block ×4, first 2 shown]
	s_waitcnt vmcnt(4)
	ds_write_b128 v0, v[2:5]
.LBB49_303:
	s_or_b64 exec, exec, s[4:5]
	s_waitcnt lgkmcnt(0)
	; wave barrier
	s_waitcnt lgkmcnt(0)
	buffer_load_dword v184, off, s[0:3], 0 offset:112
	buffer_load_dword v185, off, s[0:3], 0 offset:116
	;; [unrolled: 1-line block ×36, first 2 shown]
	ds_read_b128 v[82:85], v1 offset:896
	ds_read_b128 v[78:81], v1 offset:912
	;; [unrolled: 1-line block ×9, first 2 shown]
	buffer_load_dword v235, off, s[0:3], 0 offset:284
	buffer_load_dword v234, off, s[0:3], 0 offset:280
	;; [unrolled: 1-line block ×19, first 2 shown]
	s_waitcnt vmcnt(51) lgkmcnt(8)
	v_mul_f64 v[2:3], v[82:83], v[192:193]
	v_fmac_f64_e32 v[2:3], v[84:85], v[184:185]
	v_add_f64 v[2:3], v[2:3], 0
	s_waitcnt vmcnt(47) lgkmcnt(7)
	v_mul_f64 v[4:5], v[78:79], v[196:197]
	v_fmac_f64_e32 v[4:5], v[80:81], v[194:195]
	v_add_f64 v[2:3], v[2:3], v[4:5]
	buffer_load_dword v244, off, s[0:3], 0 offset:336
	buffer_load_dword v99, off, s[0:3], 0 offset:332
	;; [unrolled: 1-line block ×7, first 2 shown]
	s_waitcnt vmcnt(52) lgkmcnt(6)
	v_mul_f64 v[6:7], v[74:75], v[200:201]
	s_waitcnt vmcnt(50) lgkmcnt(4)
	v_mul_f64 v[10:11], v[62:63], v[220:221]
	s_waitcnt vmcnt(48)
	v_fmac_f64_e32 v[10:11], v[64:65], v[222:223]
	v_mul_f64 v[80:81], v[80:81], v[196:197]
	s_waitcnt vmcnt(46)
	v_mul_f64 v[8:9], v[70:71], v[202:203]
	v_fma_f64 v[78:79], v[78:79], v[194:195], -v[80:81]
	s_waitcnt vmcnt(44) lgkmcnt(2)
	v_mul_f64 v[14:15], v[54:55], v[104:105]
	v_mul_f64 v[64:65], v[64:65], v[220:221]
	s_waitcnt vmcnt(42)
	v_fmac_f64_e32 v[14:15], v[56:57], v[108:109]
	v_fma_f64 v[220:221], v[62:63], v[222:223], -v[64:65]
	s_waitcnt vmcnt(40)
	v_mul_f64 v[12:13], v[50:51], v[112:113]
	s_waitcnt vmcnt(38) lgkmcnt(1)
	v_mul_f64 v[16:17], v[58:59], v[106:107]
	s_waitcnt vmcnt(36)
	v_fmac_f64_e32 v[6:7], v[76:77], v[198:199]
	v_add_f64 v[2:3], v[2:3], v[6:7]
	s_waitcnt vmcnt(34)
	v_fmac_f64_e32 v[8:9], v[72:73], v[116:117]
	v_add_f64 v[2:3], v[2:3], v[8:9]
	;; [unrolled: 3-line block ×3, first 2 shown]
	v_add_f64 v[2:3], v[2:3], v[12:13]
	s_waitcnt vmcnt(30)
	v_fmac_f64_e32 v[16:17], v[60:61], v[110:111]
	v_add_f64 v[2:3], v[2:3], v[14:15]
	v_add_f64 v[2:3], v[2:3], v[16:17]
	v_mul_f64 v[76:77], v[76:77], v[200:201]
	v_fma_f64 v[80:81], v[74:75], v[198:199], -v[76:77]
	v_mul_f64 v[72:73], v[72:73], v[202:203]
	v_mul_f64 v[52:53], v[52:53], v[112:113]
	;; [unrolled: 1-line block ×3, first 2 shown]
	v_fma_f64 v[116:117], v[70:71], v[116:117], -v[72:73]
	s_waitcnt vmcnt(0)
	v_pk_mov_b32 v[18:19], v[4:5], v[4:5] op_sel:[0,1]
	buffer_load_dword v5, off, s[0:3], 0 offset:372
	buffer_load_dword v4, off, s[0:3], 0 offset:368
	v_accvgpr_write_b32 a153, v19
	v_accvgpr_write_b32 a152, v18
	s_waitcnt vmcnt(0)
	v_pk_mov_b32 v[20:21], v[4:5], v[4:5] op_sel:[0,1]
	buffer_load_dword v135, off, s[0:3], 0 offset:364
	buffer_load_dword v134, off, s[0:3], 0 offset:360
	;; [unrolled: 1-line block ×6, first 2 shown]
	v_accvgpr_write_b32 a155, v21
	v_accvgpr_write_b32 a154, v20
	s_waitcnt vmcnt(0)
	v_pk_mov_b32 v[26:27], v[4:5], v[4:5] op_sel:[0,1]
	buffer_load_dword v5, off, s[0:3], 0 offset:404
	buffer_load_dword v4, off, s[0:3], 0 offset:400
	v_accvgpr_write_b32 a157, v27
	v_accvgpr_write_b32 a156, v26
	s_waitcnt vmcnt(0)
	v_pk_mov_b32 v[28:29], v[4:5], v[4:5] op_sel:[0,1]
	buffer_load_dword v143, off, s[0:3], 0 offset:396
	buffer_load_dword v142, off, s[0:3], 0 offset:392
	;; [unrolled: 1-line block ×6, first 2 shown]
	v_accvgpr_write_b32 a159, v29
	v_accvgpr_write_b32 a158, v28
	s_waitcnt vmcnt(0)
	v_pk_mov_b32 v[34:35], v[4:5], v[4:5] op_sel:[0,1]
	buffer_load_dword v5, off, s[0:3], 0 offset:436
	buffer_load_dword v4, off, s[0:3], 0 offset:432
	;; [unrolled: 1-line block ×38, first 2 shown]
	ds_read_b128 v[210:213], v1 offset:1040
	ds_read_b128 v[214:217], v1 offset:1056
	;; [unrolled: 1-line block ×9, first 2 shown]
	v_accvgpr_write_b32 a161, v35
	s_waitcnt lgkmcnt(3)
	v_mul_f64 v[8:9], v[94:95], v[242:243]
	v_fmac_f64_e32 v[8:9], v[96:97], v[244:245]
	s_waitcnt lgkmcnt(2)
	v_mul_f64 v[12:13], v[130:131], v[134:135]
	v_fmac_f64_e32 v[12:13], v[132:133], v[138:139]
	;; [unrolled: 3-line block ×3, first 2 shown]
	v_accvgpr_write_b32 a160, v34
	v_mul_f64 v[70:71], v[212:213], v[238:239]
	v_mul_f64 v[96:97], v[96:97], v[242:243]
	s_waitcnt vmcnt(36)
	v_pk_mov_b32 v[36:37], v[4:5], v[4:5] op_sel:[0,1]
	v_mul_f64 v[4:5], v[66:67], v[102:103]
	v_fmac_f64_e32 v[4:5], v[68:69], v[232:233]
	v_add_f64 v[2:3], v[2:3], v[4:5]
	v_mul_f64 v[4:5], v[210:211], v[238:239]
	v_fmac_f64_e32 v[4:5], v[212:213], v[240:241]
	v_add_f64 v[2:3], v[2:3], v[4:5]
	;; [unrolled: 3-line block ×6, first 2 shown]
	v_add_f64 v[10:11], v[6:7], v[8:9]
	v_add_f64 v[14:15], v[10:11], v[12:13]
	;; [unrolled: 1-line block ×3, first 2 shown]
	ds_read_b128 v[14:17], v1 offset:1184
	s_waitcnt lgkmcnt(1)
	v_mul_f64 v[20:21], v[122:123], v[142:143]
	v_fmac_f64_e32 v[20:21], v[124:125], v[146:147]
	v_add_f64 v[22:23], v[18:19], v[20:21]
	ds_read_b128 v[18:21], v1 offset:1200
	s_waitcnt lgkmcnt(1)
	v_mul_f64 v[24:25], v[14:15], v[26:27]
	v_fmac_f64_e32 v[24:25], v[16:17], v[28:29]
	v_add_f64 v[26:27], v[22:23], v[24:25]
	ds_read_b128 v[22:25], v1 offset:1216
	s_waitcnt vmcnt(34) lgkmcnt(1)
	v_mul_f64 v[28:29], v[18:19], v[150:151]
	s_waitcnt vmcnt(32)
	v_fmac_f64_e32 v[28:29], v[20:21], v[154:155]
	v_add_f64 v[30:31], v[26:27], v[28:29]
	ds_read_b128 v[26:29], v1 offset:1232
	s_waitcnt lgkmcnt(1)
	v_mul_f64 v[32:33], v[22:23], v[34:35]
	v_fmac_f64_e32 v[32:33], v[24:25], v[36:37]
	v_accvgpr_write_b32 a163, v37
	v_accvgpr_write_b32 a162, v36
	v_add_f64 v[34:35], v[30:31], v[32:33]
	ds_read_b128 v[30:33], v1 offset:1248
	s_waitcnt vmcnt(26) lgkmcnt(1)
	v_mul_f64 v[36:37], v[26:27], v[158:159]
	s_waitcnt vmcnt(24)
	v_fmac_f64_e32 v[36:37], v[28:29], v[160:161]
	v_add_f64 v[38:39], v[34:35], v[36:37]
	ds_read_b128 v[34:37], v1 offset:1264
	s_waitcnt lgkmcnt(1)
	v_mul_f64 v[40:41], v[30:31], v[204:205]
	v_fmac_f64_e32 v[40:41], v[32:33], v[254:255]
	v_add_f64 v[42:43], v[38:39], v[40:41]
	ds_read_b128 v[38:41], v1 offset:1280
	s_waitcnt vmcnt(18) lgkmcnt(1)
	v_mul_f64 v[44:45], v[34:35], v[162:163]
	s_waitcnt vmcnt(16)
	v_fmac_f64_e32 v[44:45], v[36:37], v[164:165]
	v_add_f64 v[46:47], v[42:43], v[44:45]
	ds_read_b128 v[42:45], v1 offset:1296
	buffer_load_dword v175, off, s[0:3], 0 offset:588
	buffer_load_dword v174, off, s[0:3], 0 offset:584
	;; [unrolled: 1-line block ×4, first 2 shown]
	s_waitcnt lgkmcnt(1)
	v_mul_f64 v[48:49], v[38:39], v[136:137]
	v_fmac_f64_e32 v[48:49], v[40:41], v[140:141]
	v_add_f64 v[178:179], v[46:47], v[48:49]
	ds_read_b128 v[46:49], v1 offset:1312
	buffer_load_dword v181, off, s[0:3], 0 offset:604
	buffer_load_dword v180, off, s[0:3], 0 offset:600
	;; [unrolled: 1-line block ×4, first 2 shown]
	s_waitcnt vmcnt(18) lgkmcnt(1)
	v_mul_f64 v[186:187], v[42:43], v[166:167]
	s_waitcnt vmcnt(16)
	v_fmac_f64_e32 v[186:187], v[44:45], v[168:169]
	v_add_f64 v[2:3], v[178:179], v[186:187]
	buffer_load_dword v179, off, s[0:3], 0 offset:636
	buffer_load_dword v187, off, s[0:3], 0 offset:620
	;; [unrolled: 1-line block ×8, first 2 shown]
	v_mul_f64 v[4:5], v[84:85], v[192:193]
	v_fma_f64 v[10:11], v[82:83], v[184:185], -v[4:5]
	buffer_load_dword v184, off, s[0:3], 0 offset:664
	buffer_load_dword v193, off, s[0:3], 0 offset:652
	;; [unrolled: 1-line block ×20, first 2 shown]
	s_waitcnt lgkmcnt(0)
	v_mul_f64 v[8:9], v[46:47], v[144:145]
	v_fmac_f64_e32 v[8:9], v[48:49], v[148:149]
	v_fma_f64 v[6:7], v[50:51], v[114:115], -v[52:53]
	buffer_load_dword v223, off, s[0:3], 0 offset:732
	buffer_load_dword v222, off, s[0:3], 0 offset:728
	;; [unrolled: 1-line block ×12, first 2 shown]
	v_add_f64 v[2:3], v[2:3], v[8:9]
	ds_read_b128 v[50:53], v1 offset:1328
	v_mul_f64 v[8:9], v[56:57], v[104:105]
	v_fma_f64 v[8:9], v[54:55], v[108:109], -v[8:9]
	ds_read_b128 v[54:57], v1 offset:1344
	v_fma_f64 v[4:5], v[58:59], v[110:111], -v[60:61]
	ds_read_b128 v[58:61], v1 offset:1360
	s_waitcnt vmcnt(50) lgkmcnt(2)
	v_mul_f64 v[62:63], v[50:51], v[170:171]
	s_waitcnt vmcnt(48)
	v_fmac_f64_e32 v[62:63], v[52:53], v[172:173]
	s_waitcnt lgkmcnt(1)
	v_mul_f64 v[12:13], v[54:55], v[152:153]
	v_add_f64 v[2:3], v[2:3], v[62:63]
	ds_read_b128 v[62:65], v1 offset:1376
	v_fmac_f64_e32 v[12:13], v[56:57], v[156:157]
	v_add_f64 v[2:3], v[2:3], v[12:13]
	v_fma_f64 v[240:241], v[210:211], v[240:241], -v[70:71]
	v_mul_f64 v[82:83], v[216:217], v[234:235]
	v_mul_f64 v[88:89], v[88:89], v[246:247]
	v_fma_f64 v[246:247], v[86:87], v[248:249], -v[88:89]
	ds_read_b128 v[86:89], v1 offset:1488
	v_mul_f64 v[92:93], v[92:93], v[98:99]
	v_add_f64 v[10:11], v[10:11], 0
	v_add_f64 v[10:11], v[10:11], v[78:79]
	;; [unrolled: 1-line block ×8, first 2 shown]
	v_mul_f64 v[6:7], v[132:133], v[134:135]
	v_fma_f64 v[6:7], v[130:131], v[138:139], -v[6:7]
	ds_read_b128 v[70:73], v1 offset:1408
	ds_read_b128 v[210:213], v1 offset:1472
	s_waitcnt vmcnt(46) lgkmcnt(4)
	v_mul_f64 v[12:13], v[58:59], v[174:175]
	s_waitcnt vmcnt(44)
	v_fmac_f64_e32 v[12:13], v[60:61], v[176:177]
	v_add_f64 v[2:3], v[2:3], v[12:13]
	v_mul_f64 v[12:13], v[68:69], v[102:103]
	v_fma_f64 v[12:13], v[66:67], v[232:233], -v[12:13]
	ds_read_b128 v[66:69], v1 offset:1392
	s_waitcnt vmcnt(42) lgkmcnt(4)
	v_mul_f64 v[74:75], v[62:63], v[180:181]
	s_waitcnt vmcnt(40)
	v_fmac_f64_e32 v[74:75], v[64:65], v[182:183]
	v_add_f64 v[2:3], v[2:3], v[74:75]
	v_fma_f64 v[232:233], v[214:215], v[236:237], -v[82:83]
	s_waitcnt vmcnt(37) lgkmcnt(0)
	v_mul_f64 v[74:75], v[66:67], v[186:187]
	s_waitcnt vmcnt(35)
	v_fmac_f64_e32 v[74:75], v[68:69], v[190:191]
	v_add_f64 v[2:3], v[2:3], v[74:75]
	s_waitcnt vmcnt(34)
	v_mul_f64 v[74:75], v[70:71], v[178:179]
	s_waitcnt vmcnt(32)
	v_fmac_f64_e32 v[74:75], v[72:73], v[188:189]
	v_add_f64 v[2:3], v[2:3], v[74:75]
	ds_read_b128 v[74:77], v1 offset:1424
	ds_read_b128 v[214:217], v1 offset:1440
	v_add_f64 v[4:5], v[4:5], v[12:13]
	v_add_f64 v[4:5], v[4:5], v[240:241]
	;; [unrolled: 1-line block ×3, first 2 shown]
	s_waitcnt vmcnt(29) lgkmcnt(1)
	v_mul_f64 v[82:83], v[74:75], v[192:193]
	s_waitcnt vmcnt(27)
	v_fmac_f64_e32 v[82:83], v[76:77], v[196:197]
	v_add_f64 v[2:3], v[2:3], v[82:83]
	v_mul_f64 v[82:83], v[120:121], v[250:251]
	v_fma_f64 v[118:119], v[118:119], v[252:253], -v[82:83]
	ds_read_b128 v[82:85], v1 offset:1456
	s_waitcnt vmcnt(25) lgkmcnt(1)
	v_mul_f64 v[102:103], v[214:215], v[184:185]
	s_waitcnt vmcnt(24)
	v_fmac_f64_e32 v[102:103], v[216:217], v[194:195]
	v_add_f64 v[2:3], v[2:3], v[102:103]
	v_fma_f64 v[250:251], v[90:91], v[100:101], -v[92:93]
	s_waitcnt vmcnt(21) lgkmcnt(0)
	v_mul_f64 v[102:103], v[82:83], v[200:201]
	s_waitcnt vmcnt(19)
	v_fmac_f64_e32 v[102:103], v[84:85], v[208:209]
	v_add_f64 v[2:3], v[2:3], v[102:103]
	s_waitcnt vmcnt(18)
	v_mul_f64 v[102:103], v[210:211], v[198:199]
	s_waitcnt vmcnt(16)
	v_fmac_f64_e32 v[102:103], v[212:213], v[206:207]
	v_add_f64 v[2:3], v[2:3], v[102:103]
	ds_read_b128 v[98:101], v1 offset:1504
	s_waitcnt vmcnt(14)
	v_mul_f64 v[102:103], v[86:87], v[202:203]
	s_waitcnt vmcnt(12)
	v_fmac_f64_e32 v[102:103], v[88:89], v[218:219]
	v_add_f64 v[2:3], v[2:3], v[102:103]
	ds_read_b128 v[90:93], v1 offset:1520
	ds_read_b128 v[102:105], v1 offset:1536
	buffer_load_dword v121, off, s[0:3], 0 offset:780
	buffer_load_dword v120, off, s[0:3], 0 offset:776
	;; [unrolled: 1-line block ×4, first 2 shown]
	ds_read_b128 v[106:109], v1 offset:1552
	buffer_load_dword v236, off, s[0:3], 0 offset:792
	buffer_load_dword v237, off, s[0:3], 0 offset:796
	buffer_load_dword v238, off, s[0:3], 0 offset:784
	buffer_load_dword v239, off, s[0:3], 0 offset:788
	v_fma_f64 v[252:253], v[94:95], v[244:245], -v[96:97]
	ds_read_b128 v[110:113], v1 offset:1568
	buffer_load_dword v243, off, s[0:3], 0 offset:812
	buffer_load_dword v242, off, s[0:3], 0 offset:808
	;; [unrolled: 1-line block ×4, first 2 shown]
	s_waitcnt vmcnt(22) lgkmcnt(4)
	v_mul_f64 v[94:95], v[98:99], v[222:223]
	s_waitcnt vmcnt(20)
	v_fmac_f64_e32 v[94:95], v[100:101], v[224:225]
	v_add_f64 v[2:3], v[2:3], v[94:95]
	s_waitcnt vmcnt(17) lgkmcnt(3)
	v_mul_f64 v[94:95], v[90:91], v[228:229]
	s_waitcnt vmcnt(15)
	v_fmac_f64_e32 v[94:95], v[92:93], v[230:231]
	v_add_f64 v[2:3], v[2:3], v[94:95]
	;; [unrolled: 5-line block ×3, first 2 shown]
	v_add_f64 v[4:5], v[4:5], v[118:119]
	v_add_f64 v[118:119], v[4:5], v[246:247]
	;; [unrolled: 1-line block ×5, first 2 shown]
	s_waitcnt vmcnt(10) lgkmcnt(1)
	v_mul_f64 v[94:95], v[106:107], v[120:121]
	s_waitcnt vmcnt(8)
	v_fmac_f64_e32 v[94:95], v[108:109], v[234:235]
	v_add_f64 v[2:3], v[2:3], v[94:95]
	s_waitcnt vmcnt(6) lgkmcnt(0)
	v_mul_f64 v[94:95], v[110:111], v[236:237]
	s_waitcnt vmcnt(4)
	v_fmac_f64_e32 v[94:95], v[112:113], v[238:239]
	v_add_f64 v[2:3], v[2:3], v[94:95]
	ds_read_b128 v[94:97], v1 offset:1584
	v_accvgpr_read_b32 v0, a152
	v_accvgpr_read_b32 v1, a153
	v_mul_f64 v[6:7], v[128:129], v[0:1]
	v_accvgpr_read_b32 v0, a154
	s_waitcnt vmcnt(2) lgkmcnt(0)
	v_mul_f64 v[248:249], v[94:95], v[242:243]
	s_waitcnt vmcnt(0)
	v_fmac_f64_e32 v[248:249], v[96:97], v[244:245]
	v_add_f64 v[2:3], v[2:3], v[248:249]
	buffer_load_dword v248, off, s[0:3], 0 offset:96
	buffer_load_dword v249, off, s[0:3], 0 offset:100
	;; [unrolled: 1-line block ×4, first 2 shown]
	v_accvgpr_read_b32 v1, a155
	v_fma_f64 v[6:7], v[126:127], v[0:1], -v[6:7]
	v_add_f64 v[4:5], v[4:5], v[6:7]
	v_mul_f64 v[6:7], v[124:125], v[142:143]
	v_accvgpr_read_b32 v0, a156
	v_fma_f64 v[6:7], v[122:123], v[146:147], -v[6:7]
	v_accvgpr_read_b32 v1, a157
	v_add_f64 v[4:5], v[4:5], v[6:7]
	v_mul_f64 v[6:7], v[16:17], v[0:1]
	v_accvgpr_read_b32 v0, a158
	v_accvgpr_read_b32 v1, a159
	v_fma_f64 v[6:7], v[14:15], v[0:1], -v[6:7]
	v_add_f64 v[4:5], v[4:5], v[6:7]
	v_mul_f64 v[6:7], v[20:21], v[150:151]
	v_accvgpr_read_b32 v0, a160
	v_fma_f64 v[6:7], v[18:19], v[154:155], -v[6:7]
	v_accvgpr_read_b32 v1, a161
	v_add_f64 v[4:5], v[4:5], v[6:7]
	v_mul_f64 v[6:7], v[24:25], v[0:1]
	v_accvgpr_read_b32 v0, a162
	v_accvgpr_read_b32 v1, a163
	v_fma_f64 v[6:7], v[22:23], v[0:1], -v[6:7]
	v_add_f64 v[4:5], v[4:5], v[6:7]
	v_mul_f64 v[6:7], v[28:29], v[158:159]
	v_fma_f64 v[6:7], v[26:27], v[160:161], -v[6:7]
	v_add_f64 v[4:5], v[4:5], v[6:7]
	v_mul_f64 v[6:7], v[32:33], v[204:205]
	;; [unrolled: 3-line block ×23, first 2 shown]
	v_fma_f64 v[6:7], v[94:95], v[244:245], -v[6:7]
	v_add_f64 v[4:5], v[4:5], v[6:7]
	v_accvgpr_read_b32 v0, a149
	s_waitcnt vmcnt(2)
	v_add_f64 v[4:5], v[248:249], -v[4:5]
	v_cmp_lt_u32_e32 vcc, 4, v0
	s_waitcnt vmcnt(0)
	v_add_f64 v[2:3], v[246:247], -v[2:3]
	buffer_store_dword v5, off, s[0:3], 0 offset:100
	buffer_store_dword v4, off, s[0:3], 0 offset:96
	;; [unrolled: 1-line block ×4, first 2 shown]
	s_and_saveexec_b64 s[4:5], vcc
	s_cbranch_execz .LBB49_305
; %bb.304:
	v_accvgpr_read_b32 v0, a145
	buffer_load_dword v2, v0, s[0:3], 0 offen
	buffer_load_dword v3, v0, s[0:3], 0 offen offset:4
	buffer_load_dword v4, v0, s[0:3], 0 offen offset:8
	;; [unrolled: 1-line block ×3, first 2 shown]
	v_mov_b32_e32 v0, 0
	v_accvgpr_read_b32 v1, a150
	buffer_store_dword v0, off, s[0:3], 0 offset:80
	buffer_store_dword v0, off, s[0:3], 0 offset:84
	;; [unrolled: 1-line block ×4, first 2 shown]
	s_waitcnt vmcnt(4)
	ds_write_b128 v1, v[2:5]
.LBB49_305:
	s_or_b64 exec, exec, s[4:5]
	s_waitcnt lgkmcnt(0)
	; wave barrier
	s_waitcnt lgkmcnt(0)
	buffer_load_dword v56, off, s[0:3], 0 offset:96
	buffer_load_dword v57, off, s[0:3], 0 offset:100
	;; [unrolled: 1-line block ×36, first 2 shown]
	v_mov_b32_e32 v122, 0
	buffer_load_dword v87, off, s[0:3], 0 offset:268
	buffer_load_dword v86, off, s[0:3], 0 offset:264
	;; [unrolled: 1-line block ×18, first 2 shown]
	ds_read_b128 v[110:113], v122 offset:880
	ds_read_b128 v[114:117], v122 offset:896
	;; [unrolled: 1-line block ×9, first 2 shown]
	s_waitcnt vmcnt(50) lgkmcnt(8)
	v_mul_f64 v[2:3], v[110:111], v[58:59]
	v_fmac_f64_e32 v[2:3], v[112:113], v[56:57]
	v_add_f64 v[2:3], v[2:3], 0
	s_waitcnt vmcnt(46) lgkmcnt(7)
	v_mul_f64 v[4:5], v[114:115], v[54:55]
	v_fmac_f64_e32 v[4:5], v[116:117], v[52:53]
	v_add_f64 v[2:3], v[2:3], v[4:5]
	buffer_load_dword v105, off, s[0:3], 0 offset:324
	buffer_load_dword v104, off, s[0:3], 0 offset:320
	;; [unrolled: 1-line block ×8, first 2 shown]
	s_waitcnt vmcnt(52) lgkmcnt(6)
	v_mul_f64 v[6:7], v[194:195], v[50:51]
	s_waitcnt vmcnt(50) lgkmcnt(4)
	v_mul_f64 v[10:11], v[202:203], v[60:61]
	s_waitcnt vmcnt(48)
	v_fmac_f64_e32 v[10:11], v[204:205], v[62:63]
	v_mul_f64 v[50:51], v[196:197], v[50:51]
	s_waitcnt vmcnt(46)
	v_mul_f64 v[8:9], v[198:199], v[64:65]
	v_mul_f64 v[54:55], v[116:117], v[54:55]
	s_waitcnt vmcnt(44) lgkmcnt(2)
	v_mul_f64 v[14:15], v[212:213], v[74:75]
	s_waitcnt vmcnt(42)
	v_fmac_f64_e32 v[14:15], v[214:215], v[72:73]
	s_waitcnt vmcnt(40)
	v_mul_f64 v[12:13], v[208:209], v[76:77]
	s_waitcnt vmcnt(38) lgkmcnt(1)
	v_mul_f64 v[16:17], v[230:231], v[68:69]
	s_waitcnt vmcnt(36)
	v_fmac_f64_e32 v[6:7], v[196:197], v[82:83]
	v_add_f64 v[2:3], v[2:3], v[6:7]
	s_waitcnt vmcnt(34)
	v_fmac_f64_e32 v[8:9], v[200:201], v[80:81]
	v_add_f64 v[2:3], v[2:3], v[8:9]
	s_waitcnt vmcnt(32)
	v_fmac_f64_e32 v[12:13], v[210:211], v[78:79]
	v_add_f64 v[2:3], v[2:3], v[10:11]
	v_add_f64 v[2:3], v[2:3], v[12:13]
	v_add_f64 v[2:3], v[2:3], v[14:15]
	s_waitcnt vmcnt(30)
	v_fmac_f64_e32 v[16:17], v[232:233], v[70:71]
	v_add_f64 v[2:3], v[2:3], v[16:17]
	s_waitcnt vmcnt(0)
	v_pk_mov_b32 v[14:15], v[4:5], v[4:5] op_sel:[0,1]
	buffer_load_dword v5, off, s[0:3], 0 offset:356
	buffer_load_dword v4, off, s[0:3], 0 offset:352
	v_accvgpr_write_b32 a153, v15
	v_accvgpr_write_b32 a152, v14
	s_waitcnt vmcnt(0)
	v_pk_mov_b32 v[18:19], v[4:5], v[4:5] op_sel:[0,1]
	buffer_load_dword v107, off, s[0:3], 0 offset:348
	buffer_load_dword v106, off, s[0:3], 0 offset:344
	;; [unrolled: 1-line block ×6, first 2 shown]
	v_accvgpr_write_b32 a155, v19
	v_accvgpr_write_b32 a154, v18
	s_waitcnt vmcnt(0)
	v_pk_mov_b32 v[22:23], v[4:5], v[4:5] op_sel:[0,1]
	buffer_load_dword v5, off, s[0:3], 0 offset:388
	buffer_load_dword v4, off, s[0:3], 0 offset:384
	v_accvgpr_write_b32 a157, v23
	v_accvgpr_write_b32 a156, v22
	s_waitcnt vmcnt(0)
	v_pk_mov_b32 v[24:25], v[4:5], v[4:5] op_sel:[0,1]
	buffer_load_dword v139, off, s[0:3], 0 offset:380
	buffer_load_dword v138, off, s[0:3], 0 offset:376
	;; [unrolled: 1-line block ×6, first 2 shown]
	v_accvgpr_write_b32 a159, v25
	v_accvgpr_write_b32 a158, v24
	s_waitcnt vmcnt(0)
	v_pk_mov_b32 v[30:31], v[4:5], v[4:5] op_sel:[0,1]
	buffer_load_dword v217, off, s[0:3], 0 offset:420
	buffer_load_dword v216, off, s[0:3], 0 offset:416
	;; [unrolled: 1-line block ×38, first 2 shown]
	ds_read_b128 v[238:241], v122 offset:1024
	ds_read_b128 v[242:245], v122 offset:1040
	;; [unrolled: 1-line block ×9, first 2 shown]
	v_accvgpr_write_b32 a161, v31
	v_accvgpr_write_b32 a160, v30
	s_waitcnt lgkmcnt(2)
	v_mul_f64 v[8:9], v[222:223], v[106:107]
	v_fmac_f64_e32 v[8:9], v[224:225], v[108:109]
	s_waitcnt lgkmcnt(1)
	v_mul_f64 v[12:13], v[128:129], v[14:15]
	v_fmac_f64_e32 v[12:13], v[130:131], v[18:19]
	s_waitcnt vmcnt(30)
	v_pk_mov_b32 v[38:39], v[4:5], v[4:5] op_sel:[0,1]
	v_mul_f64 v[4:5], v[234:235], v[66:67]
	v_fmac_f64_e32 v[4:5], v[236:237], v[84:85]
	v_add_f64 v[2:3], v[2:3], v[4:5]
	v_mul_f64 v[4:5], v[238:239], v[90:91]
	v_fmac_f64_e32 v[4:5], v[240:241], v[92:93]
	v_add_f64 v[2:3], v[2:3], v[4:5]
	;; [unrolled: 3-line block ×7, first 2 shown]
	v_add_f64 v[10:11], v[6:7], v[8:9]
	v_add_f64 v[14:15], v[10:11], v[12:13]
	ds_read_b128 v[10:13], v122 offset:1168
	s_waitcnt lgkmcnt(1)
	v_mul_f64 v[16:17], v[124:125], v[138:139]
	v_fmac_f64_e32 v[16:17], v[126:127], v[142:143]
	v_add_f64 v[18:19], v[14:15], v[16:17]
	ds_read_b128 v[14:17], v122 offset:1184
	s_waitcnt lgkmcnt(1)
	v_mul_f64 v[20:21], v[10:11], v[22:23]
	v_fmac_f64_e32 v[20:21], v[12:13], v[24:25]
	;; [unrolled: 5-line block ×4, first 2 shown]
	v_add_f64 v[30:31], v[26:27], v[28:29]
	ds_read_b128 v[26:29], v122 offset:1232
	s_waitcnt vmcnt(26) lgkmcnt(1)
	v_mul_f64 v[32:33], v[22:23], v[154:155]
	s_waitcnt vmcnt(24)
	v_fmac_f64_e32 v[32:33], v[24:25], v[156:157]
	v_add_f64 v[34:35], v[30:31], v[32:33]
	ds_read_b128 v[30:33], v122 offset:1248
	s_waitcnt lgkmcnt(1)
	v_mul_f64 v[36:37], v[26:27], v[38:39]
	v_accvgpr_write_b32 a163, v39
	v_fmac_f64_e32 v[36:37], v[28:29], v[132:133]
	v_accvgpr_write_b32 a162, v38
	v_add_f64 v[38:39], v[34:35], v[36:37]
	ds_read_b128 v[34:37], v122 offset:1264
	s_waitcnt vmcnt(18) lgkmcnt(1)
	v_mul_f64 v[40:41], v[30:31], v[158:159]
	s_waitcnt vmcnt(16)
	v_fmac_f64_e32 v[40:41], v[32:33], v[160:161]
	v_add_f64 v[42:43], v[38:39], v[40:41]
	ds_read_b128 v[38:41], v122 offset:1280
	s_waitcnt lgkmcnt(1)
	v_mul_f64 v[44:45], v[34:35], v[134:135]
	v_fmac_f64_e32 v[44:45], v[36:37], v[136:137]
	v_add_f64 v[46:47], v[42:43], v[44:45]
	ds_read_b128 v[42:45], v122 offset:1296
	s_waitcnt vmcnt(10) lgkmcnt(1)
	v_mul_f64 v[48:49], v[38:39], v[162:163]
	s_waitcnt vmcnt(8)
	v_fmac_f64_e32 v[48:49], v[40:41], v[164:165]
	v_add_f64 v[172:173], v[46:47], v[48:49]
	ds_read_b128 v[46:49], v122 offset:1312
	buffer_load_dword v171, off, s[0:3], 0 offset:572
	buffer_load_dword v170, off, s[0:3], 0 offset:568
	buffer_load_dword v175, off, s[0:3], 0 offset:564
	buffer_load_dword v174, off, s[0:3], 0 offset:560
	s_waitcnt lgkmcnt(1)
	v_mul_f64 v[176:177], v[42:43], v[140:141]
	v_fmac_f64_e32 v[176:177], v[44:45], v[144:145]
	v_add_f64 v[2:3], v[172:173], v[176:177]
	buffer_load_dword v177, off, s[0:3], 0 offset:588
	buffer_load_dword v176, off, s[0:3], 0 offset:584
	;; [unrolled: 1-line block ×20, first 2 shown]
	v_mul_f64 v[4:5], v[112:113], v[58:59]
	v_fma_f64 v[112:113], v[194:195], v[82:83], -v[50:51]
	buffer_load_dword v195, off, s[0:3], 0 offset:668
	buffer_load_dword v194, off, s[0:3], 0 offset:664
	;; [unrolled: 1-line block ×4, first 2 shown]
	v_mul_f64 v[50:51], v[200:201], v[64:65]
	v_fma_f64 v[6:7], v[110:111], v[56:57], -v[4:5]
	v_fma_f64 v[110:111], v[114:115], v[52:53], -v[54:55]
	;; [unrolled: 1-line block ×3, first 2 shown]
	v_mul_f64 v[50:51], v[204:205], v[60:61]
	v_fma_f64 v[116:117], v[202:203], v[62:63], -v[50:51]
	buffer_load_dword v199, off, s[0:3], 0 offset:684
	buffer_load_dword v198, off, s[0:3], 0 offset:680
	;; [unrolled: 1-line block ×8, first 2 shown]
	ds_read_b128 v[50:53], v122 offset:1328
	v_mul_f64 v[54:55], v[210:211], v[76:77]
	v_fma_f64 v[4:5], v[208:209], v[78:79], -v[54:55]
	s_waitcnt vmcnt(38) lgkmcnt(1)
	v_mul_f64 v[54:55], v[46:47], v[166:167]
	s_waitcnt vmcnt(36)
	v_fmac_f64_e32 v[54:55], v[48:49], v[168:169]
	v_add_f64 v[2:3], v[2:3], v[54:55]
	s_waitcnt lgkmcnt(0)
	v_mul_f64 v[54:55], v[50:51], v[148:149]
	v_mul_f64 v[8:9], v[214:215], v[74:75]
	v_mul_f64 v[56:57], v[232:233], v[68:69]
	v_fmac_f64_e32 v[54:55], v[52:53], v[152:153]
	buffer_load_dword v211, off, s[0:3], 0 offset:716
	buffer_load_dword v210, off, s[0:3], 0 offset:712
	;; [unrolled: 1-line block ×4, first 2 shown]
	v_fma_f64 v[8:9], v[212:213], v[72:73], -v[8:9]
	buffer_load_dword v204, off, s[0:3], 0 offset:744
	buffer_load_dword v227, off, s[0:3], 0 offset:732
	;; [unrolled: 1-line block ×8, first 2 shown]
	v_fma_f64 v[232:233], v[230:231], v[70:71], -v[56:57]
	buffer_load_dword v209, off, s[0:3], 0 offset:764
	buffer_load_dword v208, off, s[0:3], 0 offset:760
	;; [unrolled: 1-line block ×4, first 2 shown]
	v_add_f64 v[2:3], v[2:3], v[54:55]
	ds_read_b128 v[54:57], v122 offset:1344
	v_mul_f64 v[58:59], v[236:237], v[66:67]
	v_fma_f64 v[234:235], v[234:235], v[84:85], -v[58:59]
	ds_read_b128 v[58:61], v122 offset:1360
	v_mul_f64 v[70:71], v[244:245], v[86:87]
	v_fma_f64 v[236:237], v[242:243], v[88:89], -v[70:71]
	ds_read_b128 v[70:73], v122 offset:1408
	v_mul_f64 v[82:83], v[252:253], v[96:97]
	ds_read_b128 v[86:89], v122 offset:1472
	v_mul_f64 v[0:1], v[120:121], v[0:1]
	v_fma_f64 v[252:253], v[118:119], v[254:255], -v[0:1]
	v_add_f64 v[6:7], v[6:7], 0
	v_add_f64 v[6:7], v[6:7], v[110:111]
	;; [unrolled: 1-line block ×9, first 2 shown]
	v_accvgpr_read_b32 v6, a152
	v_accvgpr_read_b32 v7, a153
	v_accvgpr_read_b32 v8, a154
	v_mul_f64 v[6:7], v[130:131], v[6:7]
	v_accvgpr_read_b32 v9, a155
	v_fma_f64 v[6:7], v[128:129], v[8:9], -v[6:7]
	v_accvgpr_read_b32 v8, a158
	v_accvgpr_read_b32 v9, a159
	s_waitcnt vmcnt(50) lgkmcnt(3)
	v_mul_f64 v[62:63], v[54:55], v[170:171]
	s_waitcnt vmcnt(48)
	v_fmac_f64_e32 v[62:63], v[56:57], v[174:175]
	v_add_f64 v[2:3], v[2:3], v[62:63]
	v_mul_f64 v[62:63], v[240:241], v[90:91]
	v_fma_f64 v[240:241], v[238:239], v[92:93], -v[62:63]
	ds_read_b128 v[62:65], v122 offset:1376
	s_waitcnt vmcnt(46) lgkmcnt(3)
	v_mul_f64 v[66:67], v[58:59], v[176:177]
	s_waitcnt vmcnt(44)
	v_fmac_f64_e32 v[66:67], v[60:61], v[178:179]
	v_add_f64 v[2:3], v[2:3], v[66:67]
	ds_read_b128 v[66:69], v122 offset:1392
	s_waitcnt vmcnt(41) lgkmcnt(1)
	v_mul_f64 v[74:75], v[62:63], v[182:183]
	s_waitcnt vmcnt(39)
	v_fmac_f64_e32 v[74:75], v[64:65], v[186:187]
	v_add_f64 v[2:3], v[2:3], v[74:75]
	v_mul_f64 v[74:75], v[248:249], v[100:101]
	v_fma_f64 v[246:247], v[246:247], v[102:103], -v[74:75]
	ds_read_b128 v[74:77], v122 offset:1424
	s_waitcnt vmcnt(38) lgkmcnt(1)
	v_mul_f64 v[78:79], v[66:67], v[172:173]
	s_waitcnt vmcnt(36)
	v_fmac_f64_e32 v[78:79], v[68:69], v[184:185]
	v_add_f64 v[2:3], v[2:3], v[78:79]
	s_waitcnt vmcnt(33)
	v_mul_f64 v[78:79], v[70:71], v[190:191]
	s_waitcnt vmcnt(31)
	v_fmac_f64_e32 v[78:79], v[72:73], v[192:193]
	v_add_f64 v[2:3], v[2:3], v[78:79]
	s_waitcnt vmcnt(29) lgkmcnt(0)
	v_mul_f64 v[78:79], v[74:75], v[180:181]
	s_waitcnt vmcnt(28)
	v_fmac_f64_e32 v[78:79], v[76:77], v[188:189]
	v_add_f64 v[2:3], v[2:3], v[78:79]
	ds_read_b128 v[78:81], v122 offset:1440
	v_fma_f64 v[248:249], v[250:251], v[98:99], -v[82:83]
	ds_read_b128 v[82:85], v122 offset:1456
	v_mul_f64 v[98:99], v[224:225], v[106:107]
	v_fma_f64 v[98:99], v[222:223], v[108:109], -v[98:99]
	s_waitcnt vmcnt(26) lgkmcnt(1)
	v_mul_f64 v[90:91], v[78:79], v[194:195]
	s_waitcnt vmcnt(24)
	v_fmac_f64_e32 v[90:91], v[80:81], v[196:197]
	v_add_f64 v[0:1], v[2:3], v[90:91]
	s_waitcnt vmcnt(22) lgkmcnt(0)
	v_mul_f64 v[2:3], v[82:83], v[198:199]
	s_waitcnt vmcnt(20)
	v_fmac_f64_e32 v[2:3], v[84:85], v[202:203]
	v_add_f64 v[0:1], v[0:1], v[2:3]
	ds_read_b128 v[90:93], v122 offset:1488
	s_waitcnt vmcnt(18)
	v_mul_f64 v[2:3], v[86:87], v[200:201]
	s_waitcnt vmcnt(16)
	v_fmac_f64_e32 v[2:3], v[88:89], v[206:207]
	v_add_f64 v[0:1], v[0:1], v[2:3]
	v_mul_f64 v[2:3], v[220:221], v[94:95]
	v_accvgpr_write_b32 a165, v99
	v_fma_f64 v[254:255], v[218:219], v[104:105], -v[2:3]
	ds_read_b128 v[94:97], v122 offset:1504
	v_accvgpr_write_b32 a164, v98
	ds_read_b128 v[98:101], v122 offset:1520
	ds_read_b128 v[102:105], v122 offset:1536
	buffer_load_dword v218, off, s[0:3], 0 offset:776
	buffer_load_dword v219, off, s[0:3], 0 offset:780
	;; [unrolled: 1-line block ×4, first 2 shown]
	ds_read_b128 v[106:109], v122 offset:1552
	buffer_load_dword v225, off, s[0:3], 0 offset:796
	buffer_load_dword v224, off, s[0:3], 0 offset:792
	buffer_load_dword v239, off, s[0:3], 0 offset:788
	buffer_load_dword v238, off, s[0:3], 0 offset:784
	s_waitcnt vmcnt(22) lgkmcnt(4)
	v_mul_f64 v[2:3], v[90:91], v[210:211]
	s_waitcnt vmcnt(20)
	v_fmac_f64_e32 v[2:3], v[92:93], v[214:215]
	v_add_f64 v[0:1], v[0:1], v[2:3]
	s_waitcnt vmcnt(17) lgkmcnt(3)
	v_mul_f64 v[2:3], v[94:95], v[226:227]
	s_waitcnt vmcnt(15)
	v_fmac_f64_e32 v[2:3], v[96:97], v[228:229]
	v_add_f64 v[0:1], v[0:1], v[2:3]
	;; [unrolled: 5-line block ×4, first 2 shown]
	v_add_f64 v[4:5], v[4:5], v[240:241]
	v_add_f64 v[4:5], v[4:5], v[236:237]
	;; [unrolled: 1-line block ×6, first 2 shown]
	v_accvgpr_read_b32 v4, a164
	v_accvgpr_read_b32 v5, a165
	v_add_f64 v[4:5], v[252:253], v[4:5]
	v_add_f64 v[4:5], v[4:5], v[6:7]
	v_mul_f64 v[6:7], v[126:127], v[138:139]
	v_fma_f64 v[6:7], v[124:125], v[142:143], -v[6:7]
	v_add_f64 v[4:5], v[4:5], v[6:7]
	v_accvgpr_read_b32 v6, a156
	v_accvgpr_read_b32 v7, a157
	v_mul_f64 v[6:7], v[12:13], v[6:7]
	v_fma_f64 v[6:7], v[10:11], v[8:9], -v[6:7]
	v_add_f64 v[4:5], v[4:5], v[6:7]
	v_mul_f64 v[6:7], v[16:17], v[146:147]
	v_fma_f64 v[6:7], v[14:15], v[150:151], -v[6:7]
	v_add_f64 v[4:5], v[4:5], v[6:7]
	v_accvgpr_read_b32 v6, a160
	v_accvgpr_read_b32 v7, a161
	v_mul_f64 v[6:7], v[20:21], v[6:7]
	v_fma_f64 v[6:7], v[18:19], v[216:217], -v[6:7]
	;; [unrolled: 8-line block ×3, first 2 shown]
	v_add_f64 v[4:5], v[4:5], v[6:7]
	v_mul_f64 v[6:7], v[32:33], v[158:159]
	v_fma_f64 v[6:7], v[30:31], v[160:161], -v[6:7]
	v_add_f64 v[4:5], v[4:5], v[6:7]
	v_mul_f64 v[6:7], v[36:37], v[134:135]
	v_fma_f64 v[6:7], v[34:35], v[136:137], -v[6:7]
	v_add_f64 v[4:5], v[4:5], v[6:7]
	v_mul_f64 v[6:7], v[40:41], v[162:163]
	v_fma_f64 v[6:7], v[38:39], v[164:165], -v[6:7]
	v_add_f64 v[4:5], v[4:5], v[6:7]
	v_mul_f64 v[6:7], v[44:45], v[140:141]
	v_fma_f64 v[6:7], v[42:43], v[144:145], -v[6:7]
	v_add_f64 v[4:5], v[4:5], v[6:7]
	v_mul_f64 v[6:7], v[48:49], v[166:167]
	v_fma_f64 v[6:7], v[46:47], v[168:169], -v[6:7]
	v_add_f64 v[4:5], v[4:5], v[6:7]
	v_mul_f64 v[6:7], v[52:53], v[148:149]
	v_fma_f64 v[6:7], v[50:51], v[152:153], -v[6:7]
	v_add_f64 v[4:5], v[4:5], v[6:7]
	v_mul_f64 v[6:7], v[56:57], v[170:171]
	v_fma_f64 v[6:7], v[54:55], v[174:175], -v[6:7]
	v_add_f64 v[4:5], v[4:5], v[6:7]
	v_mul_f64 v[6:7], v[60:61], v[176:177]
	v_fma_f64 v[6:7], v[58:59], v[178:179], -v[6:7]
	v_add_f64 v[4:5], v[4:5], v[6:7]
	v_mul_f64 v[6:7], v[64:65], v[182:183]
	v_fma_f64 v[6:7], v[62:63], v[186:187], -v[6:7]
	v_add_f64 v[4:5], v[4:5], v[6:7]
	v_mul_f64 v[6:7], v[68:69], v[172:173]
	v_fma_f64 v[6:7], v[66:67], v[184:185], -v[6:7]
	s_waitcnt vmcnt(6) lgkmcnt(0)
	v_mul_f64 v[2:3], v[106:107], v[218:219]
	v_add_f64 v[4:5], v[4:5], v[6:7]
	s_waitcnt vmcnt(4)
	v_fmac_f64_e32 v[2:3], v[108:109], v[220:221]
	v_add_f64 v[118:119], v[0:1], v[2:3]
	ds_read_b128 v[0:3], v122 offset:1568
	buffer_load_dword v242, off, s[0:3], 0 offset:808
	buffer_load_dword v243, off, s[0:3], 0 offset:812
	;; [unrolled: 1-line block ×4, first 2 shown]
	v_mul_f64 v[6:7], v[72:73], v[190:191]
	v_fma_f64 v[6:7], v[70:71], v[192:193], -v[6:7]
	v_add_f64 v[4:5], v[4:5], v[6:7]
	s_waitcnt vmcnt(6) lgkmcnt(0)
	v_mul_f64 v[120:121], v[0:1], v[224:225]
	s_waitcnt vmcnt(4)
	v_fmac_f64_e32 v[120:121], v[2:3], v[238:239]
	v_add_f64 v[222:223], v[118:119], v[120:121]
	ds_read_b128 v[118:121], v122 offset:1584
	buffer_load_dword v248, off, s[0:3], 0 offset:80
	buffer_load_dword v249, off, s[0:3], 0 offset:84
	;; [unrolled: 1-line block ×4, first 2 shown]
	v_mul_f64 v[6:7], v[76:77], v[180:181]
	v_fma_f64 v[6:7], v[74:75], v[188:189], -v[6:7]
	v_add_f64 v[4:5], v[4:5], v[6:7]
	v_mul_f64 v[6:7], v[80:81], v[194:195]
	v_fma_f64 v[6:7], v[78:79], v[196:197], -v[6:7]
	v_add_f64 v[4:5], v[4:5], v[6:7]
	;; [unrolled: 3-line block ×8, first 2 shown]
	v_mul_f64 v[6:7], v[108:109], v[218:219]
	v_fma_f64 v[6:7], v[106:107], v[220:221], -v[6:7]
	v_mul_f64 v[2:3], v[2:3], v[224:225]
	v_add_f64 v[4:5], v[4:5], v[6:7]
	v_fma_f64 v[0:1], v[0:1], v[238:239], -v[2:3]
	v_add_f64 v[0:1], v[4:5], v[0:1]
	s_waitcnt vmcnt(6) lgkmcnt(0)
	v_mul_f64 v[2:3], v[120:121], v[242:243]
	v_mul_f64 v[250:251], v[118:119], v[242:243]
	s_waitcnt vmcnt(4)
	v_fma_f64 v[2:3], v[118:119], v[244:245], -v[2:3]
	v_fmac_f64_e32 v[250:251], v[120:121], v[244:245]
	v_add_f64 v[0:1], v[0:1], v[2:3]
	v_add_f64 v[222:223], v[222:223], v[250:251]
	s_waitcnt vmcnt(2)
	v_add_f64 v[0:1], v[248:249], -v[0:1]
	s_waitcnt vmcnt(0)
	v_add_f64 v[2:3], v[246:247], -v[222:223]
	buffer_store_dword v1, off, s[0:3], 0 offset:84
	buffer_store_dword v0, off, s[0:3], 0 offset:80
	;; [unrolled: 1-line block ×4, first 2 shown]
	v_accvgpr_read_b32 v0, a149
	v_cmp_lt_u32_e32 vcc, 3, v0
	s_and_saveexec_b64 s[4:5], vcc
	s_cbranch_execz .LBB49_307
; %bb.306:
	v_accvgpr_read_b32 v0, a146
	buffer_load_dword v2, v0, s[0:3], 0 offen
	buffer_load_dword v3, v0, s[0:3], 0 offen offset:4
	buffer_load_dword v4, v0, s[0:3], 0 offen offset:8
	;; [unrolled: 1-line block ×3, first 2 shown]
	v_accvgpr_read_b32 v0, a150
	buffer_store_dword v122, off, s[0:3], 0 offset:64
	buffer_store_dword v122, off, s[0:3], 0 offset:68
	;; [unrolled: 1-line block ×4, first 2 shown]
	s_waitcnt vmcnt(4)
	ds_write_b128 v0, v[2:5]
.LBB49_307:
	s_or_b64 exec, exec, s[4:5]
	s_waitcnt lgkmcnt(0)
	; wave barrier
	s_waitcnt lgkmcnt(0)
	buffer_load_dword v60, off, s[0:3], 0 offset:80
	buffer_load_dword v61, off, s[0:3], 0 offset:84
	;; [unrolled: 1-line block ×42, first 2 shown]
	ds_read_b128 v[114:117], v122 offset:864
	ds_read_b128 v[180:183], v122 offset:880
	;; [unrolled: 1-line block ×10, first 2 shown]
	buffer_load_dword v255, off, s[0:3], 0 offset:228
	buffer_load_dword v254, off, s[0:3], 0 offset:224
	ds_read_b128 v[62:65], v122 offset:1024
	buffer_load_dword v101, off, s[0:3], 0 offset:284
	buffer_load_dword v100, off, s[0:3], 0 offset:280
	;; [unrolled: 1-line block ×6, first 2 shown]
	s_waitcnt vmcnt(46) lgkmcnt(10)
	v_mul_f64 v[0:1], v[114:115], v[66:67]
	v_fmac_f64_e32 v[0:1], v[116:117], v[60:61]
	v_add_f64 v[0:1], v[0:1], 0
	v_mul_f64 v[66:67], v[116:117], v[66:67]
	s_waitcnt vmcnt(42) lgkmcnt(9)
	v_mul_f64 v[2:3], v[180:181], v[58:59]
	v_fmac_f64_e32 v[2:3], v[182:183], v[50:51]
	s_waitcnt vmcnt(40) lgkmcnt(8)
	v_mul_f64 v[4:5], v[184:185], v[52:53]
	v_add_f64 v[0:1], v[0:1], v[2:3]
	s_waitcnt vmcnt(38) lgkmcnt(6)
	v_mul_f64 v[8:9], v[198:199], v[68:69]
	s_waitcnt vmcnt(36)
	v_fmac_f64_e32 v[8:9], v[200:201], v[70:71]
	s_waitcnt vmcnt(34)
	v_mul_f64 v[6:7], v[192:193], v[72:73]
	s_waitcnt vmcnt(32) lgkmcnt(4)
	v_mul_f64 v[12:13], v[206:207], v[74:75]
	s_waitcnt vmcnt(30)
	v_fmac_f64_e32 v[12:13], v[208:209], v[76:77]
	s_waitcnt vmcnt(28)
	v_mul_f64 v[10:11], v[202:203], v[78:79]
	s_waitcnt vmcnt(26) lgkmcnt(2)
	v_mul_f64 v[16:17], v[214:215], v[82:83]
	s_waitcnt vmcnt(23)
	v_mul_f64 v[14:15], v[210:211], v[86:87]
	s_waitcnt vmcnt(21) lgkmcnt(1)
	v_mul_f64 v[18:19], v[54:55], v[80:81]
	s_waitcnt vmcnt(19)
	v_fmac_f64_e32 v[4:5], v[186:187], v[96:97]
	v_add_f64 v[0:1], v[0:1], v[4:5]
	s_waitcnt vmcnt(17)
	v_fmac_f64_e32 v[6:7], v[194:195], v[92:93]
	v_add_f64 v[0:1], v[0:1], v[6:7]
	;; [unrolled: 3-line block ×3, first 2 shown]
	v_add_f64 v[0:1], v[0:1], v[10:11]
	s_waitcnt vmcnt(13)
	v_fmac_f64_e32 v[14:15], v[212:213], v[88:89]
	v_add_f64 v[0:1], v[0:1], v[12:13]
	s_waitcnt vmcnt(12)
	v_fmac_f64_e32 v[16:17], v[216:217], v[84:85]
	v_add_f64 v[0:1], v[0:1], v[14:15]
	v_add_f64 v[6:7], v[0:1], v[16:17]
	buffer_load_dword v1, off, s[0:3], 0 offset:260
	buffer_load_dword v0, off, s[0:3], 0 offset:256
	;; [unrolled: 1-line block ×20, first 2 shown]
	s_waitcnt vmcnt(26)
	v_fmac_f64_e32 v[18:19], v[56:57], v[254:255]
	s_waitcnt lgkmcnt(0)
	v_mul_f64 v[8:9], v[62:63], v[94:95]
	v_add_f64 v[6:7], v[6:7], v[18:19]
	v_fmac_f64_e32 v[8:9], v[64:65], v[98:99]
	v_add_f64 v[6:7], v[6:7], v[8:9]
	v_mul_f64 v[56:57], v[56:57], v[80:81]
	v_fma_f64 v[254:255], v[54:55], v[254:255], -v[56:57]
	s_waitcnt vmcnt(0)
	v_pk_mov_b32 v[20:21], v[4:5], v[4:5] op_sel:[0,1]
	buffer_load_dword v5, off, s[0:3], 0 offset:372
	buffer_load_dword v4, off, s[0:3], 0 offset:368
	v_accvgpr_write_b32 a153, v21
	v_accvgpr_write_b32 a152, v20
	s_waitcnt vmcnt(0)
	v_pk_mov_b32 v[22:23], v[4:5], v[4:5] op_sel:[0,1]
	buffer_load_dword v135, off, s[0:3], 0 offset:364
	buffer_load_dword v134, off, s[0:3], 0 offset:360
	;; [unrolled: 1-line block ×6, first 2 shown]
	v_accvgpr_write_b32 a155, v23
	v_accvgpr_write_b32 a154, v22
	s_waitcnt vmcnt(0)
	v_pk_mov_b32 v[26:27], v[4:5], v[4:5] op_sel:[0,1]
	buffer_load_dword v5, off, s[0:3], 0 offset:404
	buffer_load_dword v4, off, s[0:3], 0 offset:400
	v_accvgpr_write_b32 a157, v27
	v_accvgpr_write_b32 a156, v26
	s_waitcnt vmcnt(0)
	v_pk_mov_b32 v[28:29], v[4:5], v[4:5] op_sel:[0,1]
	buffer_load_dword v143, off, s[0:3], 0 offset:396
	buffer_load_dword v142, off, s[0:3], 0 offset:392
	;; [unrolled: 1-line block ×6, first 2 shown]
	v_accvgpr_write_b32 a159, v29
	v_accvgpr_write_b32 a158, v28
	s_waitcnt vmcnt(0)
	v_pk_mov_b32 v[34:35], v[4:5], v[4:5] op_sel:[0,1]
	buffer_load_dword v5, off, s[0:3], 0 offset:436
	buffer_load_dword v4, off, s[0:3], 0 offset:432
	v_accvgpr_write_b32 a161, v35
	v_accvgpr_write_b32 a160, v34
	s_waitcnt vmcnt(0)
	v_pk_mov_b32 v[36:37], v[4:5], v[4:5] op_sel:[0,1]
	buffer_load_dword v151, off, s[0:3], 0 offset:428
	buffer_load_dword v150, off, s[0:3], 0 offset:424
	buffer_load_dword v155, off, s[0:3], 0 offset:420
	buffer_load_dword v154, off, s[0:3], 0 offset:416
	buffer_load_dword v5, off, s[0:3], 0 offset:476
	buffer_load_dword v4, off, s[0:3], 0 offset:472
	buffer_load_dword v133, off, s[0:3], 0 offset:468
	buffer_load_dword v132, off, s[0:3], 0 offset:464
	buffer_load_dword v159, off, s[0:3], 0 offset:460
	buffer_load_dword v158, off, s[0:3], 0 offset:456
	buffer_load_dword v161, off, s[0:3], 0 offset:452
	buffer_load_dword v160, off, s[0:3], 0 offset:448
	buffer_load_dword v137, off, s[0:3], 0 offset:508
	buffer_load_dword v136, off, s[0:3], 0 offset:504
	buffer_load_dword v141, off, s[0:3], 0 offset:500
	buffer_load_dword v140, off, s[0:3], 0 offset:496
	buffer_load_dword v163, off, s[0:3], 0 offset:492
	buffer_load_dword v162, off, s[0:3], 0 offset:488
	buffer_load_dword v165, off, s[0:3], 0 offset:484
	buffer_load_dword v164, off, s[0:3], 0 offset:480
	buffer_load_dword v145, off, s[0:3], 0 offset:540
	buffer_load_dword v144, off, s[0:3], 0 offset:536
	buffer_load_dword v149, off, s[0:3], 0 offset:532
	buffer_load_dword v148, off, s[0:3], 0 offset:528
	buffer_load_dword v167, off, s[0:3], 0 offset:524
	buffer_load_dword v166, off, s[0:3], 0 offset:520
	buffer_load_dword v169, off, s[0:3], 0 offset:516
	buffer_load_dword v168, off, s[0:3], 0 offset:512
	buffer_load_dword v153, off, s[0:3], 0 offset:572
	buffer_load_dword v152, off, s[0:3], 0 offset:568
	buffer_load_dword v157, off, s[0:3], 0 offset:564
	buffer_load_dword v156, off, s[0:3], 0 offset:560
	buffer_load_dword v171, off, s[0:3], 0 offset:556
	buffer_load_dword v170, off, s[0:3], 0 offset:552
	buffer_load_dword v173, off, s[0:3], 0 offset:548
	buffer_load_dword v172, off, s[0:3], 0 offset:544
	ds_read_b128 v[234:237], v122 offset:1040
	ds_read_b128 v[238:241], v122 offset:1056
	;; [unrolled: 1-line block ×6, first 2 shown]
	s_waitcnt lgkmcnt(5)
	v_mul_f64 v[8:9], v[234:235], v[104:105]
	v_fmac_f64_e32 v[8:9], v[236:237], v[0:1]
	v_add_f64 v[6:7], v[6:7], v[8:9]
	s_waitcnt lgkmcnt(4)
	v_mul_f64 v[8:9], v[238:239], v[100:101]
	v_fmac_f64_e32 v[8:9], v[240:241], v[102:103]
	v_add_f64 v[6:7], v[6:7], v[8:9]
	;; [unrolled: 4-line block ×3, first 2 shown]
	s_waitcnt lgkmcnt(2)
	v_mul_f64 v[8:9], v[246:247], v[110:111]
	ds_read_b128 v[128:131], v122 offset:1136
	ds_read_b128 v[124:127], v122 offset:1152
	v_fmac_f64_e32 v[8:9], v[248:249], v[112:113]
	v_add_f64 v[6:7], v[6:7], v[8:9]
	s_waitcnt lgkmcnt(3)
	v_mul_f64 v[8:9], v[250:251], v[232:233]
	v_fmac_f64_e32 v[8:9], v[252:253], v[2:3]
	v_add_f64 v[6:7], v[6:7], v[8:9]
	s_waitcnt lgkmcnt(2)
	v_mul_f64 v[8:9], v[218:219], v[106:107]
	v_fmac_f64_e32 v[8:9], v[220:221], v[108:109]
	s_waitcnt lgkmcnt(1)
	v_mul_f64 v[12:13], v[128:129], v[134:135]
	v_add_f64 v[10:11], v[6:7], v[8:9]
	v_fmac_f64_e32 v[12:13], v[130:131], v[138:139]
	ds_read_b128 v[118:121], v122 offset:1168
	s_waitcnt lgkmcnt(1)
	v_mul_f64 v[16:17], v[124:125], v[20:21]
	v_add_f64 v[14:15], v[10:11], v[12:13]
	v_fmac_f64_e32 v[16:17], v[126:127], v[22:23]
	v_add_f64 v[18:19], v[14:15], v[16:17]
	ds_read_b128 v[14:17], v122 offset:1184
	s_waitcnt lgkmcnt(1)
	v_mul_f64 v[20:21], v[118:119], v[142:143]
	v_fmac_f64_e32 v[20:21], v[120:121], v[146:147]
	v_add_f64 v[22:23], v[18:19], v[20:21]
	ds_read_b128 v[18:21], v122 offset:1200
	s_waitcnt lgkmcnt(1)
	v_mul_f64 v[24:25], v[14:15], v[26:27]
	v_fmac_f64_e32 v[24:25], v[16:17], v[28:29]
	v_add_f64 v[26:27], v[22:23], v[24:25]
	ds_read_b128 v[22:25], v122 offset:1216
	v_accvgpr_write_b32 a163, v37
	v_accvgpr_write_b32 a162, v36
	ds_read_b128 v[42:45], v122 offset:1296
	s_waitcnt vmcnt(34) lgkmcnt(2)
	v_mul_f64 v[28:29], v[18:19], v[150:151]
	s_waitcnt lgkmcnt(1)
	v_mul_f64 v[32:33], v[22:23], v[34:35]
	s_waitcnt vmcnt(32)
	v_fmac_f64_e32 v[28:29], v[20:21], v[154:155]
	v_add_f64 v[30:31], v[26:27], v[28:29]
	ds_read_b128 v[26:29], v122 offset:1232
	v_fmac_f64_e32 v[32:33], v[24:25], v[36:37]
	v_add_f64 v[34:35], v[30:31], v[32:33]
	ds_read_b128 v[30:33], v122 offset:1248
	s_waitcnt vmcnt(30)
	v_accvgpr_write_b32 a165, v5
	s_waitcnt vmcnt(26) lgkmcnt(1)
	v_mul_f64 v[36:37], v[26:27], v[158:159]
	s_waitcnt vmcnt(24)
	v_fmac_f64_e32 v[36:37], v[28:29], v[160:161]
	v_add_f64 v[38:39], v[34:35], v[36:37]
	ds_read_b128 v[34:37], v122 offset:1264
	s_waitcnt lgkmcnt(1)
	v_mul_f64 v[40:41], v[30:31], v[4:5]
	v_fmac_f64_e32 v[40:41], v[32:33], v[132:133]
	v_add_f64 v[46:47], v[38:39], v[40:41]
	ds_read_b128 v[38:41], v122 offset:1280
	s_waitcnt vmcnt(18) lgkmcnt(1)
	v_mul_f64 v[48:49], v[34:35], v[162:163]
	s_waitcnt vmcnt(16)
	v_fmac_f64_e32 v[48:49], v[36:37], v[164:165]
	v_add_f64 v[46:47], v[46:47], v[48:49]
	v_accvgpr_write_b32 a164, v4
	s_waitcnt lgkmcnt(0)
	v_mul_f64 v[48:49], v[38:39], v[136:137]
	v_fmac_f64_e32 v[48:49], v[40:41], v[140:141]
	v_add_f64 v[46:47], v[46:47], v[48:49]
	s_waitcnt vmcnt(10)
	v_mul_f64 v[48:49], v[42:43], v[166:167]
	v_mul_f64 v[8:9], v[182:183], v[58:59]
	s_waitcnt vmcnt(8)
	v_fmac_f64_e32 v[48:49], v[44:45], v[168:169]
	v_add_f64 v[4:5], v[46:47], v[48:49]
	ds_read_b128 v[46:49], v122 offset:1312
	buffer_load_dword v175, off, s[0:3], 0 offset:588
	buffer_load_dword v174, off, s[0:3], 0 offset:584
	;; [unrolled: 1-line block ×5, first 2 shown]
	v_fma_f64 v[8:9], v[180:181], v[50:51], -v[8:9]
	buffer_load_dword v180, off, s[0:3], 0 offset:592
	buffer_load_dword v177, off, s[0:3], 0 offset:604
	;; [unrolled: 1-line block ×3, first 2 shown]
	v_mul_f64 v[50:51], v[186:187], v[52:53]
	v_fma_f64 v[96:97], v[184:185], v[96:97], -v[50:51]
	buffer_load_dword v185, off, s[0:3], 0 offset:620
	buffer_load_dword v184, off, s[0:3], 0 offset:616
	;; [unrolled: 1-line block ×8, first 2 shown]
	v_mul_f64 v[50:51], v[194:195], v[72:73]
	v_fma_f64 v[92:93], v[192:193], v[92:93], -v[50:51]
	buffer_load_dword v182, off, s[0:3], 0 offset:664
	buffer_load_dword v195, off, s[0:3], 0 offset:652
	;; [unrolled: 1-line block ×8, first 2 shown]
	v_mul_f64 v[50:51], v[200:201], v[68:69]
	v_fma_f64 v[198:199], v[198:199], v[70:71], -v[50:51]
	v_mul_f64 v[50:51], v[204:205], v[78:79]
	v_fma_f64 v[10:11], v[114:115], v[60:61], -v[66:67]
	v_fma_f64 v[114:115], v[202:203], v[90:91], -v[50:51]
	buffer_load_dword v91, off, s[0:3], 0 offset:684
	buffer_load_dword v90, off, s[0:3], 0 offset:680
	;; [unrolled: 1-line block ×4, first 2 shown]
	v_mul_f64 v[50:51], v[208:209], v[74:75]
	v_fma_f64 v[116:117], v[206:207], v[76:77], -v[50:51]
	buffer_load_dword v206, off, s[0:3], 0 offset:696
	buffer_load_dword v204, off, s[0:3], 0 offset:688
	;; [unrolled: 1-line block ×4, first 2 shown]
	v_mul_f64 v[50:51], v[212:213], v[86:87]
	v_fma_f64 v[208:209], v[210:211], v[88:89], -v[50:51]
	buffer_load_dword v203, off, s[0:3], 0 offset:732
	buffer_load_dword v211, off, s[0:3], 0 offset:716
	;; [unrolled: 1-line block ×12, first 2 shown]
	ds_read_b128 v[50:53], v122 offset:1328
	v_mul_f64 v[58:59], v[216:217], v[82:83]
	v_fma_f64 v[6:7], v[214:215], v[84:85], -v[58:59]
	buffer_load_dword v214, off, s[0:3], 0 offset:760
	buffer_load_dword v216, off, s[0:3], 0 offset:752
	;; [unrolled: 1-line block ×4, first 2 shown]
	ds_read_b128 v[54:57], v122 offset:1344
	ds_read_b128 v[58:61], v122 offset:1360
	s_waitcnt lgkmcnt(3)
	v_mul_f64 v[12:13], v[46:47], v[144:145]
	v_fmac_f64_e32 v[12:13], v[48:49], v[148:149]
	v_add_f64 v[4:5], v[4:5], v[12:13]
	s_waitcnt vmcnt(50) lgkmcnt(2)
	v_mul_f64 v[12:13], v[50:51], v[170:171]
	s_waitcnt vmcnt(48)
	v_fmac_f64_e32 v[12:13], v[52:53], v[172:173]
	v_add_f64 v[4:5], v[4:5], v[12:13]
	s_waitcnt lgkmcnt(1)
	v_mul_f64 v[12:13], v[54:55], v[152:153]
	v_fmac_f64_e32 v[12:13], v[56:57], v[156:157]
	v_add_f64 v[4:5], v[4:5], v[12:13]
	v_mul_f64 v[12:13], v[64:65], v[94:95]
	v_fma_f64 v[12:13], v[62:63], v[98:99], -v[12:13]
	ds_read_b128 v[62:65], v122 offset:1376
	ds_read_b128 v[70:73], v122 offset:1408
	;; [unrolled: 1-line block ×3, first 2 shown]
	v_mul_f64 v[78:79], v[244:245], v[222:223]
	v_fma_f64 v[222:223], v[242:243], v[230:231], -v[78:79]
	ds_read_b128 v[78:81], v122 offset:1440
	ds_read_b128 v[82:85], v122 offset:1456
	;; [unrolled: 1-line block ×3, first 2 shown]
	v_mul_f64 v[98:99], v[220:221], v[106:107]
	v_add_f64 v[10:11], v[10:11], 0
	v_add_f64 v[8:9], v[10:11], v[8:9]
	v_add_f64 v[8:9], v[8:9], v[96:97]
	v_add_f64 v[8:9], v[8:9], v[92:93]
	v_add_f64 v[8:9], v[8:9], v[198:199]
	v_add_f64 v[8:9], v[8:9], v[114:115]
	v_add_f64 v[8:9], v[8:9], v[116:117]
	v_add_f64 v[8:9], v[8:9], v[208:209]
	v_add_f64 v[6:7], v[8:9], v[6:7]
	v_add_f64 v[6:7], v[6:7], v[254:255]
	v_add_f64 v[6:7], v[6:7], v[12:13]
	v_mul_f64 v[8:9], v[130:131], v[134:135]
	v_fma_f64 v[8:9], v[128:129], v[138:139], -v[8:9]
	v_accvgpr_read_b32 v10, a154
	v_accvgpr_read_b32 v11, a155
	s_waitcnt vmcnt(46) lgkmcnt(6)
	v_mul_f64 v[66:67], v[58:59], v[174:175]
	s_waitcnt vmcnt(44)
	v_fmac_f64_e32 v[66:67], v[60:61], v[178:179]
	v_add_f64 v[4:5], v[4:5], v[66:67]
	v_mul_f64 v[66:67], v[236:237], v[104:105]
	v_fma_f64 v[94:95], v[234:235], v[0:1], -v[66:67]
	ds_read_b128 v[66:69], v122 offset:1392
	s_waitcnt vmcnt(41) lgkmcnt(6)
	v_mul_f64 v[0:1], v[62:63], v[176:177]
	s_waitcnt vmcnt(40)
	v_fmac_f64_e32 v[0:1], v[64:65], v[180:181]
	v_add_f64 v[0:1], v[4:5], v[0:1]
	v_mul_f64 v[4:5], v[240:241], v[100:101]
	v_fma_f64 v[240:241], v[238:239], v[102:103], -v[4:5]
	s_waitcnt vmcnt(38) lgkmcnt(0)
	v_mul_f64 v[4:5], v[66:67], v[184:185]
	s_waitcnt vmcnt(36)
	v_fmac_f64_e32 v[4:5], v[68:69], v[188:189]
	v_add_f64 v[0:1], v[0:1], v[4:5]
	s_waitcnt vmcnt(34)
	v_mul_f64 v[4:5], v[70:71], v[186:187]
	s_waitcnt vmcnt(32)
	v_fmac_f64_e32 v[4:5], v[72:73], v[190:191]
	v_add_f64 v[0:1], v[0:1], v[4:5]
	s_waitcnt vmcnt(29)
	;; [unrolled: 5-line block ×3, first 2 shown]
	v_mul_f64 v[4:5], v[78:79], v[182:183]
	s_waitcnt vmcnt(24)
	v_fmac_f64_e32 v[4:5], v[80:81], v[192:193]
	v_add_f64 v[0:1], v[0:1], v[4:5]
	v_mul_f64 v[4:5], v[248:249], v[110:111]
	v_fma_f64 v[246:247], v[246:247], v[112:113], -v[4:5]
	s_waitcnt vmcnt(22)
	v_mul_f64 v[4:5], v[82:83], v[90:91]
	s_waitcnt vmcnt(20)
	v_fmac_f64_e32 v[4:5], v[84:85], v[200:201]
	v_add_f64 v[0:1], v[0:1], v[4:5]
	v_mul_f64 v[4:5], v[252:253], v[232:233]
	ds_read_b128 v[230:233], v122 offset:1488
	v_fma_f64 v[250:251], v[250:251], v[2:3], -v[4:5]
	s_waitcnt vmcnt(17)
	v_mul_f64 v[2:3], v[86:87], v[206:207]
	s_waitcnt vmcnt(16)
	v_fmac_f64_e32 v[2:3], v[88:89], v[204:205]
	v_add_f64 v[4:5], v[0:1], v[2:3]
	ds_read_b128 v[0:3], v122 offset:1504
	v_fma_f64 v[252:253], v[218:219], v[108:109], -v[98:99]
	ds_read_b128 v[98:101], v122 offset:1520
	s_waitcnt vmcnt(13) lgkmcnt(2)
	v_mul_f64 v[102:103], v[230:231], v[210:211]
	s_waitcnt vmcnt(11)
	v_fmac_f64_e32 v[102:103], v[232:233], v[226:227]
	v_add_f64 v[4:5], v[4:5], v[102:103]
	s_waitcnt vmcnt(10) lgkmcnt(1)
	v_mul_f64 v[102:103], v[0:1], v[202:203]
	s_waitcnt vmcnt(8)
	v_fmac_f64_e32 v[102:103], v[2:3], v[224:225]
	v_add_f64 v[4:5], v[4:5], v[102:103]
	;; [unrolled: 5-line block ×3, first 2 shown]
	ds_read_b128 v[102:105], v122 offset:1536
	buffer_load_dword v235, off, s[0:3], 0 offset:780
	buffer_load_dword v234, off, s[0:3], 0 offset:776
	;; [unrolled: 1-line block ×4, first 2 shown]
	v_add_f64 v[6:7], v[6:7], v[94:95]
	v_add_f64 v[6:7], v[6:7], v[240:241]
	v_add_f64 v[6:7], v[6:7], v[222:223]
	s_waitcnt vmcnt(5) lgkmcnt(0)
	v_mul_f64 v[106:107], v[102:103], v[214:215]
	s_waitcnt vmcnt(4)
	v_fmac_f64_e32 v[106:107], v[104:105], v[216:217]
	v_add_f64 v[4:5], v[4:5], v[106:107]
	ds_read_b128 v[106:109], v122 offset:1552
	v_add_f64 v[254:255], v[6:7], v[246:247]
	v_add_f64 v[6:7], v[254:255], v[250:251]
	;; [unrolled: 1-line block ×4, first 2 shown]
	v_accvgpr_read_b32 v8, a152
	v_accvgpr_read_b32 v9, a153
	v_mul_f64 v[8:9], v[126:127], v[8:9]
	v_fma_f64 v[8:9], v[124:125], v[10:11], -v[8:9]
	v_add_f64 v[6:7], v[6:7], v[8:9]
	v_mul_f64 v[8:9], v[120:121], v[142:143]
	v_fma_f64 v[8:9], v[118:119], v[146:147], -v[8:9]
	v_add_f64 v[6:7], v[6:7], v[8:9]
	v_accvgpr_read_b32 v8, a156
	v_accvgpr_read_b32 v9, a157
	;; [unrolled: 1-line block ×3, first 2 shown]
	v_mul_f64 v[8:9], v[16:17], v[8:9]
	v_accvgpr_read_b32 v11, a159
	v_fma_f64 v[8:9], v[14:15], v[10:11], -v[8:9]
	v_add_f64 v[6:7], v[6:7], v[8:9]
	v_mul_f64 v[8:9], v[20:21], v[150:151]
	v_fma_f64 v[8:9], v[18:19], v[154:155], -v[8:9]
	v_add_f64 v[6:7], v[6:7], v[8:9]
	v_accvgpr_read_b32 v8, a160
	v_accvgpr_read_b32 v9, a161
	;; [unrolled: 1-line block ×3, first 2 shown]
	v_mul_f64 v[8:9], v[24:25], v[8:9]
	v_accvgpr_read_b32 v11, a163
	v_fma_f64 v[8:9], v[22:23], v[10:11], -v[8:9]
	v_add_f64 v[6:7], v[6:7], v[8:9]
	v_mul_f64 v[8:9], v[28:29], v[158:159]
	v_fma_f64 v[8:9], v[26:27], v[160:161], -v[8:9]
	v_add_f64 v[6:7], v[6:7], v[8:9]
	v_accvgpr_read_b32 v8, a164
	v_accvgpr_read_b32 v9, a165
	v_mul_f64 v[8:9], v[32:33], v[8:9]
	v_fma_f64 v[8:9], v[30:31], v[132:133], -v[8:9]
	v_add_f64 v[6:7], v[6:7], v[8:9]
	v_mul_f64 v[8:9], v[36:37], v[162:163]
	v_fma_f64 v[8:9], v[34:35], v[164:165], -v[8:9]
	v_add_f64 v[6:7], v[6:7], v[8:9]
	v_mul_f64 v[8:9], v[40:41], v[136:137]
	v_fma_f64 v[8:9], v[38:39], v[140:141], -v[8:9]
	v_add_f64 v[6:7], v[6:7], v[8:9]
	v_mul_f64 v[8:9], v[44:45], v[166:167]
	v_fma_f64 v[8:9], v[42:43], v[168:169], -v[8:9]
	v_add_f64 v[6:7], v[6:7], v[8:9]
	v_mul_f64 v[8:9], v[48:49], v[144:145]
	v_fma_f64 v[8:9], v[46:47], v[148:149], -v[8:9]
	v_add_f64 v[6:7], v[6:7], v[8:9]
	v_mul_f64 v[8:9], v[52:53], v[170:171]
	v_fma_f64 v[8:9], v[50:51], v[172:173], -v[8:9]
	v_add_f64 v[6:7], v[6:7], v[8:9]
	v_mul_f64 v[8:9], v[56:57], v[152:153]
	v_fma_f64 v[8:9], v[54:55], v[156:157], -v[8:9]
	v_add_f64 v[6:7], v[6:7], v[8:9]
	v_mul_f64 v[8:9], v[60:61], v[174:175]
	v_fma_f64 v[8:9], v[58:59], v[178:179], -v[8:9]
	v_add_f64 v[6:7], v[6:7], v[8:9]
	v_mul_f64 v[8:9], v[64:65], v[176:177]
	v_fma_f64 v[8:9], v[62:63], v[180:181], -v[8:9]
	v_add_f64 v[6:7], v[6:7], v[8:9]
	v_mul_f64 v[8:9], v[68:69], v[184:185]
	v_fma_f64 v[8:9], v[66:67], v[188:189], -v[8:9]
	v_add_f64 v[6:7], v[6:7], v[8:9]
	v_mul_f64 v[8:9], v[72:73], v[186:187]
	v_fma_f64 v[8:9], v[70:71], v[190:191], -v[8:9]
	v_add_f64 v[6:7], v[6:7], v[8:9]
	v_mul_f64 v[8:9], v[76:77], v[194:195]
	v_fma_f64 v[8:9], v[74:75], v[196:197], -v[8:9]
	v_add_f64 v[6:7], v[6:7], v[8:9]
	s_waitcnt vmcnt(2) lgkmcnt(0)
	v_mul_f64 v[110:111], v[106:107], v[234:235]
	v_mul_f64 v[8:9], v[80:81], v[182:183]
	s_waitcnt vmcnt(0)
	v_fmac_f64_e32 v[110:111], v[108:109], v[236:237]
	v_add_f64 v[218:219], v[4:5], v[110:111]
	buffer_load_dword v238, off, s[0:3], 0 offset:792
	buffer_load_dword v239, off, s[0:3], 0 offset:796
	;; [unrolled: 1-line block ×4, first 2 shown]
	ds_read_b128 v[110:113], v122 offset:1568
	buffer_load_dword v243, off, s[0:3], 0 offset:812
	buffer_load_dword v242, off, s[0:3], 0 offset:808
	;; [unrolled: 1-line block ×4, first 2 shown]
	v_fma_f64 v[8:9], v[78:79], v[192:193], -v[8:9]
	v_add_f64 v[6:7], v[6:7], v[8:9]
	v_mul_f64 v[8:9], v[84:85], v[90:91]
	v_fma_f64 v[8:9], v[82:83], v[200:201], -v[8:9]
	v_add_f64 v[6:7], v[6:7], v[8:9]
	v_mul_f64 v[8:9], v[88:89], v[206:207]
	;; [unrolled: 3-line block ×3, first 2 shown]
	v_fma_f64 v[8:9], v[230:231], v[226:227], -v[8:9]
	v_mul_f64 v[2:3], v[2:3], v[202:203]
	v_add_f64 v[6:7], v[6:7], v[8:9]
	v_fma_f64 v[0:1], v[0:1], v[224:225], -v[2:3]
	v_mul_f64 v[2:3], v[100:101], v[212:213]
	v_add_f64 v[0:1], v[6:7], v[0:1]
	v_fma_f64 v[2:3], v[98:99], v[228:229], -v[2:3]
	v_add_f64 v[0:1], v[0:1], v[2:3]
	v_mul_f64 v[2:3], v[104:105], v[214:215]
	v_fma_f64 v[2:3], v[102:103], v[216:217], -v[2:3]
	v_add_f64 v[0:1], v[0:1], v[2:3]
	v_mul_f64 v[2:3], v[108:109], v[234:235]
	v_fma_f64 v[2:3], v[106:107], v[236:237], -v[2:3]
	v_add_f64 v[0:1], v[0:1], v[2:3]
	s_waitcnt vmcnt(6) lgkmcnt(0)
	v_mul_f64 v[220:221], v[110:111], v[238:239]
	v_mul_f64 v[2:3], v[112:113], v[238:239]
	s_waitcnt vmcnt(4)
	v_fmac_f64_e32 v[220:221], v[112:113], v[4:5]
	v_add_f64 v[248:249], v[218:219], v[220:221]
	ds_read_b128 v[218:221], v122 offset:1584
	v_fma_f64 v[2:3], v[110:111], v[4:5], -v[2:3]
	v_add_f64 v[0:1], v[0:1], v[2:3]
	s_waitcnt vmcnt(2) lgkmcnt(0)
	v_mul_f64 v[122:123], v[218:219], v[242:243]
	s_waitcnt vmcnt(0)
	v_fmac_f64_e32 v[122:123], v[220:221], v[244:245]
	v_add_f64 v[122:123], v[248:249], v[122:123]
	buffer_load_dword v248, off, s[0:3], 0 offset:64
	buffer_load_dword v249, off, s[0:3], 0 offset:68
	;; [unrolled: 1-line block ×4, first 2 shown]
	v_mul_f64 v[2:3], v[220:221], v[242:243]
	v_fma_f64 v[2:3], v[218:219], v[244:245], -v[2:3]
	v_add_f64 v[0:1], v[0:1], v[2:3]
	s_waitcnt vmcnt(2)
	v_add_f64 v[0:1], v[248:249], -v[0:1]
	s_waitcnt vmcnt(0)
	v_add_f64 v[2:3], v[246:247], -v[122:123]
	buffer_store_dword v1, off, s[0:3], 0 offset:68
	buffer_store_dword v0, off, s[0:3], 0 offset:64
	;; [unrolled: 1-line block ×4, first 2 shown]
	v_accvgpr_read_b32 v0, a149
	v_cmp_lt_u32_e32 vcc, 2, v0
	s_and_saveexec_b64 s[4:5], vcc
	s_cbranch_execz .LBB49_309
; %bb.308:
	v_accvgpr_read_b32 v0, a147
	buffer_load_dword v2, v0, s[0:3], 0 offen
	buffer_load_dword v3, v0, s[0:3], 0 offen offset:4
	buffer_load_dword v4, v0, s[0:3], 0 offen offset:8
	;; [unrolled: 1-line block ×3, first 2 shown]
	v_mov_b32_e32 v0, 0
	v_accvgpr_read_b32 v1, a150
	buffer_store_dword v0, off, s[0:3], 0 offset:48
	buffer_store_dword v0, off, s[0:3], 0 offset:52
	;; [unrolled: 1-line block ×4, first 2 shown]
	s_waitcnt vmcnt(4)
	ds_write_b128 v1, v[2:5]
.LBB49_309:
	s_or_b64 exec, exec, s[4:5]
	s_waitcnt lgkmcnt(0)
	; wave barrier
	s_waitcnt lgkmcnt(0)
	buffer_load_dword v48, off, s[0:3], 0 offset:64
	buffer_load_dword v49, off, s[0:3], 0 offset:68
	;; [unrolled: 1-line block ×42, first 2 shown]
	v_mov_b32_e32 v1, 0
	buffer_load_dword v99, off, s[0:3], 0 offset:212
	buffer_load_dword v98, off, s[0:3], 0 offset:208
	buffer_load_dword v93, off, s[0:3], 0 offset:268
	buffer_load_dword v92, off, s[0:3], 0 offset:264
	buffer_load_dword v95, off, s[0:3], 0 offset:260
	buffer_load_dword v94, off, s[0:3], 0 offset:256
	buffer_load_dword v97, off, s[0:3], 0 offset:252
	ds_read_b128 v[112:115], v1 offset:848
	ds_read_b128 v[170:173], v1 offset:864
	;; [unrolled: 1-line block ×11, first 2 shown]
	v_accvgpr_read_b32 v0, a149
	v_cmp_lt_u32_e32 vcc, 1, v0
	s_waitcnt vmcnt(45) lgkmcnt(10)
	v_mul_f64 v[2:3], v[112:113], v[52:53]
	v_fmac_f64_e32 v[2:3], v[114:115], v[48:49]
	v_add_f64 v[2:3], v[2:3], 0
	s_waitcnt vmcnt(41) lgkmcnt(9)
	v_mul_f64 v[4:5], v[170:171], v[54:55]
	v_fmac_f64_e32 v[4:5], v[172:173], v[50:51]
	v_add_f64 v[2:3], v[2:3], v[4:5]
	buffer_load_dword v96, off, s[0:3], 0 offset:248
	buffer_load_dword v117, off, s[0:3], 0 offset:244
	;; [unrolled: 1-line block ×21, first 2 shown]
	s_waitcnt vmcnt(60) lgkmcnt(8)
	v_mul_f64 v[6:7], v[178:179], v[46:47]
	s_waitcnt vmcnt(58) lgkmcnt(6)
	v_mul_f64 v[10:11], v[186:187], v[218:219]
	s_waitcnt vmcnt(56)
	v_fmac_f64_e32 v[10:11], v[188:189], v[56:57]
	s_waitcnt vmcnt(54)
	v_mul_f64 v[8:9], v[182:183], v[64:65]
	s_waitcnt vmcnt(52) lgkmcnt(4)
	v_mul_f64 v[14:15], v[194:195], v[66:67]
	s_waitcnt vmcnt(50)
	v_fmac_f64_e32 v[14:15], v[196:197], v[68:69]
	s_waitcnt vmcnt(48)
	v_mul_f64 v[12:13], v[190:191], v[222:223]
	s_waitcnt vmcnt(46) lgkmcnt(2)
	v_mul_f64 v[18:19], v[202:203], v[76:77]
	s_waitcnt vmcnt(43)
	v_mul_f64 v[16:17], v[198:199], v[78:79]
	s_waitcnt vmcnt(41) lgkmcnt(1)
	v_mul_f64 v[20:21], v[206:207], v[72:73]
	s_waitcnt vmcnt(39)
	v_fmac_f64_e32 v[6:7], v[180:181], v[90:91]
	v_add_f64 v[2:3], v[2:3], v[6:7]
	s_waitcnt vmcnt(37)
	v_fmac_f64_e32 v[8:9], v[184:185], v[228:229]
	v_add_f64 v[2:3], v[2:3], v[8:9]
	;; [unrolled: 3-line block ×3, first 2 shown]
	v_add_f64 v[2:3], v[2:3], v[12:13]
	s_waitcnt vmcnt(33)
	v_fmac_f64_e32 v[16:17], v[200:201], v[80:81]
	v_add_f64 v[2:3], v[2:3], v[14:15]
	v_add_f64 v[2:3], v[2:3], v[16:17]
	s_waitcnt vmcnt(32)
	v_fmac_f64_e32 v[18:19], v[204:205], v[74:75]
	v_add_f64 v[2:3], v[2:3], v[18:19]
	s_waitcnt vmcnt(26)
	v_fmac_f64_e32 v[20:21], v[208:209], v[98:99]
	s_waitcnt lgkmcnt(0)
	v_mul_f64 v[6:7], v[58:59], v[84:85]
	v_add_f64 v[2:3], v[2:3], v[20:21]
	v_fmac_f64_e32 v[6:7], v[60:61], v[86:87]
	v_add_f64 v[2:3], v[2:3], v[6:7]
	v_mul_f64 v[60:61], v[60:61], v[84:85]
	s_waitcnt vmcnt(0)
	v_pk_mov_b32 v[8:9], v[4:5], v[4:5] op_sel:[0,1]
	buffer_load_dword v5, off, s[0:3], 0 offset:356
	buffer_load_dword v4, off, s[0:3], 0 offset:352
	v_accvgpr_write_b32 a153, v9
	v_accvgpr_write_b32 a152, v8
	s_waitcnt vmcnt(0)
	v_pk_mov_b32 v[12:13], v[4:5], v[4:5] op_sel:[0,1]
	buffer_load_dword v105, off, s[0:3], 0 offset:348
	buffer_load_dword v104, off, s[0:3], 0 offset:344
	buffer_load_dword v107, off, s[0:3], 0 offset:340
	buffer_load_dword v106, off, s[0:3], 0 offset:336
	buffer_load_dword v5, off, s[0:3], 0 offset:396
	buffer_load_dword v4, off, s[0:3], 0 offset:392
	v_accvgpr_write_b32 a155, v13
	v_accvgpr_write_b32 a154, v12
	s_waitcnt vmcnt(0)
	v_pk_mov_b32 v[16:17], v[4:5], v[4:5] op_sel:[0,1]
	buffer_load_dword v5, off, s[0:3], 0 offset:388
	buffer_load_dword v4, off, s[0:3], 0 offset:384
	v_accvgpr_write_b32 a157, v17
	v_accvgpr_write_b32 a156, v16
	s_waitcnt vmcnt(0)
	v_pk_mov_b32 v[22:23], v[4:5], v[4:5] op_sel:[0,1]
	buffer_load_dword v139, off, s[0:3], 0 offset:380
	buffer_load_dword v138, off, s[0:3], 0 offset:376
	buffer_load_dword v143, off, s[0:3], 0 offset:372
	buffer_load_dword v142, off, s[0:3], 0 offset:368
	buffer_load_dword v5, off, s[0:3], 0 offset:428
	buffer_load_dword v4, off, s[0:3], 0 offset:424
	v_accvgpr_write_b32 a159, v23
	v_accvgpr_write_b32 a158, v22
	;; [unrolled: 16-line block ×3, first 2 shown]
	s_waitcnt vmcnt(0)
	v_pk_mov_b32 v[36:37], v[4:5], v[4:5] op_sel:[0,1]
	buffer_load_dword v5, off, s[0:3], 0 offset:452
	buffer_load_dword v4, off, s[0:3], 0 offset:448
	;; [unrolled: 1-line block ×30, first 2 shown]
	ds_read_b128 v[210:213], v1 offset:1024
	ds_read_b128 v[214:217], v1 offset:1040
	ds_read_b128 v[240:243], v1 offset:1056
	ds_read_b128 v[244:247], v1 offset:1072
	ds_read_b128 v[248:251], v1 offset:1088
	ds_read_b128 v[252:255], v1 offset:1104
	s_waitcnt lgkmcnt(5)
	v_mul_f64 v[6:7], v[210:211], v[96:97]
	v_fmac_f64_e32 v[6:7], v[212:213], v[116:117]
	v_add_f64 v[2:3], v[2:3], v[6:7]
	s_waitcnt lgkmcnt(4)
	v_mul_f64 v[6:7], v[214:215], v[92:93]
	v_fmac_f64_e32 v[6:7], v[216:217], v[94:95]
	v_add_f64 v[2:3], v[2:3], v[6:7]
	;; [unrolled: 4-line block ×3, first 2 shown]
	s_waitcnt lgkmcnt(2)
	v_mul_f64 v[6:7], v[244:245], v[108:109]
	v_fmac_f64_e32 v[6:7], v[246:247], v[110:111]
	ds_read_b128 v[224:227], v1 offset:1120
	ds_read_b128 v[118:121], v1 offset:1136
	v_add_f64 v[2:3], v[2:3], v[6:7]
	s_waitcnt lgkmcnt(3)
	v_mul_f64 v[6:7], v[248:249], v[70:71]
	v_fmac_f64_e32 v[6:7], v[250:251], v[88:89]
	ds_read_b128 v[122:125], v1 offset:1152
	ds_read_b128 v[126:129], v1 offset:1168
	v_add_f64 v[2:3], v[2:3], v[6:7]
	s_waitcnt lgkmcnt(4)
	v_mul_f64 v[6:7], v[252:253], v[100:101]
	v_fmac_f64_e32 v[6:7], v[254:255], v[102:103]
	v_add_f64 v[2:3], v[2:3], v[6:7]
	s_waitcnt lgkmcnt(3)
	v_mul_f64 v[6:7], v[224:225], v[104:105]
	v_fmac_f64_e32 v[6:7], v[226:227], v[106:107]
	s_waitcnt lgkmcnt(2)
	v_mul_f64 v[10:11], v[118:119], v[8:9]
	v_add_f64 v[2:3], v[2:3], v[6:7]
	v_fmac_f64_e32 v[10:11], v[120:121], v[12:13]
	s_waitcnt lgkmcnt(1)
	v_mul_f64 v[14:15], v[122:123], v[138:139]
	v_add_f64 v[2:3], v[2:3], v[10:11]
	;; [unrolled: 4-line block ×3, first 2 shown]
	ds_read_b128 v[130:133], v1 offset:1184
	v_fmac_f64_e32 v[18:19], v[128:129], v[22:23]
	v_add_f64 v[2:3], v[2:3], v[18:19]
	ds_read_b128 v[18:21], v1 offset:1200
	v_accvgpr_write_b32 a165, v37
	s_waitcnt lgkmcnt(1)
	v_mul_f64 v[22:23], v[130:131], v[146:147]
	v_fmac_f64_e32 v[22:23], v[132:133], v[150:151]
	v_add_f64 v[2:3], v[2:3], v[22:23]
	s_waitcnt lgkmcnt(0)
	v_mul_f64 v[26:27], v[18:19], v[28:29]
	ds_read_b128 v[22:25], v1 offset:1216
	v_fmac_f64_e32 v[26:27], v[20:21], v[30:31]
	v_add_f64 v[2:3], v[2:3], v[26:27]
	ds_read_b128 v[26:29], v1 offset:1232
	v_accvgpr_write_b32 a164, v36
	s_waitcnt vmcnt(28)
	v_accvgpr_write_b32 a167, v5
	s_waitcnt vmcnt(26) lgkmcnt(1)
	v_mul_f64 v[30:31], v[22:23], v[154:155]
	v_accvgpr_write_b32 a166, v4
	s_waitcnt vmcnt(24)
	v_fmac_f64_e32 v[30:31], v[24:25], v[156:157]
	s_waitcnt lgkmcnt(0)
	v_mul_f64 v[34:35], v[26:27], v[36:37]
	v_add_f64 v[2:3], v[2:3], v[30:31]
	ds_read_b128 v[30:33], v1 offset:1248
	v_fmac_f64_e32 v[34:35], v[28:29], v[4:5]
	v_add_f64 v[2:3], v[2:3], v[34:35]
	ds_read_b128 v[34:37], v1 offset:1264
	v_mul_f64 v[4:5], v[114:115], v[52:53]
	s_waitcnt vmcnt(18) lgkmcnt(1)
	v_mul_f64 v[38:39], v[30:31], v[158:159]
	s_waitcnt vmcnt(16)
	v_fmac_f64_e32 v[38:39], v[32:33], v[160:161]
	v_add_f64 v[2:3], v[2:3], v[38:39]
	s_waitcnt lgkmcnt(0)
	v_mul_f64 v[42:43], v[34:35], v[134:135]
	v_fmac_f64_e32 v[42:43], v[36:37], v[136:137]
	v_mul_f64 v[6:7], v[172:173], v[54:55]
	ds_read_b128 v[38:41], v1 offset:1280
	v_add_f64 v[2:3], v[2:3], v[42:43]
	ds_read_b128 v[42:45], v1 offset:1296
	v_fma_f64 v[14:15], v[112:113], v[48:49], -v[4:5]
	v_fma_f64 v[112:113], v[170:171], v[50:51], -v[6:7]
	buffer_load_dword v171, off, s[0:3], 0 offset:572
	buffer_load_dword v170, off, s[0:3], 0 offset:568
	;; [unrolled: 1-line block ×8, first 2 shown]
	v_mul_f64 v[6:7], v[180:181], v[46:47]
	v_fma_f64 v[114:115], v[178:179], v[90:91], -v[6:7]
	v_mul_f64 v[6:7], v[184:185], v[64:65]
	v_fma_f64 v[12:13], v[182:183], v[228:229], -v[6:7]
	buffer_load_dword v179, off, s[0:3], 0 offset:620
	buffer_load_dword v183, off, s[0:3], 0 offset:604
	;; [unrolled: 1-line block ×6, first 2 shown]
	v_mul_f64 v[6:7], v[188:189], v[218:219]
	buffer_load_dword v219, off, s[0:3], 0 offset:612
	buffer_load_dword v218, off, s[0:3], 0 offset:608
	v_fma_f64 v[10:11], v[186:187], v[56:57], -v[6:7]
	buffer_load_dword v180, off, s[0:3], 0 offset:648
	buffer_load_dword v189, off, s[0:3], 0 offset:636
	buffer_load_dword v188, off, s[0:3], 0 offset:632
	buffer_load_dword v65, off, s[0:3], 0 offset:628
	buffer_load_dword v64, off, s[0:3], 0 offset:624
	buffer_load_dword v186, off, s[0:3], 0 offset:640
	buffer_load_dword v181, off, s[0:3], 0 offset:652
	buffer_load_dword v187, off, s[0:3], 0 offset:644
	v_mul_f64 v[6:7], v[192:193], v[222:223]
	ds_read_b128 v[46:49], v1 offset:1312
	v_fma_f64 v[8:9], v[190:191], v[82:83], -v[6:7]
	buffer_load_dword v191, off, s[0:3], 0 offset:668
	buffer_load_dword v190, off, s[0:3], 0 offset:664
	;; [unrolled: 1-line block ×4, first 2 shown]
	v_mul_f64 v[6:7], v[196:197], v[66:67]
	v_fma_f64 v[196:197], v[194:195], v[68:69], -v[6:7]
	buffer_load_dword v194, off, s[0:3], 0 offset:680
	buffer_load_dword v222, off, s[0:3], 0 offset:672
	;; [unrolled: 1-line block ×12, first 2 shown]
	v_mul_f64 v[50:51], v[204:205], v[76:77]
	buffer_load_dword v204, off, s[0:3], 0 offset:744
	buffer_load_dword v237, off, s[0:3], 0 offset:732
	;; [unrolled: 1-line block ×8, first 2 shown]
	s_waitcnt vmcnt(58) lgkmcnt(2)
	v_mul_f64 v[52:53], v[38:39], v[162:163]
	s_waitcnt vmcnt(56)
	v_fmac_f64_e32 v[52:53], v[40:41], v[164:165]
	v_mul_f64 v[6:7], v[200:201], v[78:79]
	v_fma_f64 v[200:201], v[202:203], v[74:75], -v[50:51]
	v_mul_f64 v[50:51], v[208:209], v[72:73]
	v_add_f64 v[2:3], v[2:3], v[52:53]
	v_fma_f64 v[206:207], v[206:207], v[98:99], -v[50:51]
	ds_read_b128 v[50:53], v1 offset:1328
	s_waitcnt lgkmcnt(2)
	v_mul_f64 v[54:55], v[42:43], v[140:141]
	v_fmac_f64_e32 v[54:55], v[44:45], v[144:145]
	v_add_f64 v[2:3], v[2:3], v[54:55]
	s_waitcnt vmcnt(50) lgkmcnt(1)
	v_mul_f64 v[54:55], v[46:47], v[166:167]
	s_waitcnt vmcnt(48)
	v_fmac_f64_e32 v[54:55], v[48:49], v[168:169]
	v_add_f64 v[2:3], v[2:3], v[54:55]
	v_fma_f64 v[208:209], v[58:59], v[86:87], -v[60:61]
	ds_read_b128 v[58:61], v1 offset:1360
	s_waitcnt lgkmcnt(1)
	v_mul_f64 v[54:55], v[50:51], v[148:149]
	v_fmac_f64_e32 v[54:55], v[52:53], v[152:153]
	v_add_f64 v[2:3], v[2:3], v[54:55]
	ds_read_b128 v[54:57], v1 offset:1344
	v_mul_f64 v[72:73], v[216:217], v[92:93]
	v_fma_f64 v[202:203], v[214:215], v[94:95], -v[72:73]
	ds_read_b128 v[214:217], v1 offset:1408
	ds_read_b128 v[74:77], v1 offset:1424
	v_fma_f64 v[198:199], v[198:199], v[80:81], -v[6:7]
	ds_read_b128 v[78:81], v1 offset:1440
	ds_read_b128 v[82:85], v1 offset:1456
	v_mul_f64 v[70:71], v[250:251], v[70:71]
	v_fma_f64 v[250:251], v[248:249], v[88:89], -v[70:71]
	ds_read_b128 v[86:89], v1 offset:1472
	ds_read_b128 v[90:93], v1 offset:1488
	v_mul_f64 v[62:63], v[242:243], v[62:63]
	v_fma_f64 v[62:63], v[240:241], v[220:221], -v[62:63]
	v_add_f64 v[14:15], v[14:15], 0
	v_add_f64 v[14:15], v[14:15], v[112:113]
	;; [unrolled: 1-line block ×11, first 2 shown]
	s_waitcnt vmcnt(46) lgkmcnt(6)
	v_mul_f64 v[66:67], v[54:55], v[170:171]
	s_waitcnt vmcnt(44)
	v_fmac_f64_e32 v[66:67], v[56:57], v[176:177]
	v_add_f64 v[2:3], v[2:3], v[66:67]
	v_mul_f64 v[66:67], v[212:213], v[96:97]
	ds_read_b128 v[94:97], v1 offset:1504
	v_fma_f64 v[116:117], v[210:211], v[116:117], -v[66:67]
	ds_read_b128 v[210:213], v1 offset:1376
	s_waitcnt vmcnt(41)
	v_mul_f64 v[66:67], v[58:59], v[172:173]
	s_waitcnt vmcnt(40)
	v_fmac_f64_e32 v[66:67], v[60:61], v[174:175]
	v_add_f64 v[2:3], v[2:3], v[66:67]
	ds_read_b128 v[66:69], v1 offset:1392
	s_waitcnt vmcnt(37) lgkmcnt(1)
	v_mul_f64 v[72:73], v[210:211], v[182:183]
	s_waitcnt vmcnt(35)
	v_fmac_f64_e32 v[72:73], v[212:213], v[184:185]
	v_add_f64 v[2:3], v[2:3], v[72:73]
	v_add_f64 v[8:9], v[8:9], v[116:117]
	s_waitcnt vmcnt(34) lgkmcnt(0)
	v_mul_f64 v[72:73], v[66:67], v[178:179]
	s_waitcnt vmcnt(32)
	v_fmac_f64_e32 v[72:73], v[68:69], v[218:219]
	v_add_f64 v[2:3], v[2:3], v[72:73]
	s_waitcnt vmcnt(29)
	v_mul_f64 v[72:73], v[214:215], v[188:189]
	s_waitcnt vmcnt(27)
	v_fmac_f64_e32 v[72:73], v[216:217], v[64:65]
	v_add_f64 v[2:3], v[2:3], v[72:73]
	s_waitcnt vmcnt(25)
	v_mul_f64 v[72:73], v[74:75], v[180:181]
	s_waitcnt vmcnt(24)
	v_fmac_f64_e32 v[72:73], v[76:77], v[186:187]
	v_add_f64 v[2:3], v[2:3], v[72:73]
	v_mul_f64 v[72:73], v[246:247], v[108:109]
	v_fma_f64 v[6:7], v[244:245], v[110:111], -v[72:73]
	s_waitcnt vmcnt(22)
	v_mul_f64 v[72:73], v[78:79], v[190:191]
	s_waitcnt vmcnt(20)
	v_fmac_f64_e32 v[72:73], v[80:81], v[192:193]
	s_waitcnt vmcnt(17)
	v_mul_f64 v[70:71], v[82:83], v[194:195]
	v_add_f64 v[2:3], v[2:3], v[72:73]
	s_waitcnt vmcnt(16)
	v_fmac_f64_e32 v[70:71], v[84:85], v[222:223]
	v_add_f64 v[2:3], v[2:3], v[70:71]
	v_mul_f64 v[70:71], v[254:255], v[100:101]
	v_fma_f64 v[4:5], v[252:253], v[102:103], -v[70:71]
	s_waitcnt vmcnt(14)
	v_mul_f64 v[70:71], v[86:87], v[16:17]
	s_waitcnt vmcnt(12)
	v_fmac_f64_e32 v[70:71], v[88:89], v[230:231]
	ds_read_b128 v[98:101], v1 offset:1520
	v_add_f64 v[2:3], v[2:3], v[70:71]
	s_waitcnt vmcnt(10)
	v_mul_f64 v[70:71], v[90:91], v[228:229]
	s_waitcnt vmcnt(8)
	v_fmac_f64_e32 v[70:71], v[92:93], v[232:233]
	v_add_f64 v[2:3], v[2:3], v[70:71]
	s_waitcnt vmcnt(5)
	v_mul_f64 v[70:71], v[94:95], v[236:237]
	s_waitcnt vmcnt(3)
	v_fmac_f64_e32 v[70:71], v[96:97], v[238:239]
	v_add_f64 v[2:3], v[2:3], v[70:71]
	s_waitcnt vmcnt(1) lgkmcnt(0)
	v_mul_f64 v[70:71], v[98:99], v[204:205]
	s_waitcnt vmcnt(0)
	v_fmac_f64_e32 v[70:71], v[100:101], v[234:235]
	v_add_f64 v[70:71], v[2:3], v[70:71]
	buffer_load_dword v3, off, s[0:3], 0 offset:764
	buffer_load_dword v2, off, s[0:3], 0 offset:760
	;; [unrolled: 1-line block ×4, first 2 shown]
	v_mul_f64 v[72:73], v[226:227], v[104:105]
	ds_read_b128 v[102:105], v1 offset:1536
	buffer_load_dword v110, off, s[0:3], 0 offset:776
	buffer_load_dword v111, off, s[0:3], 0 offset:780
	;; [unrolled: 1-line block ×4, first 2 shown]
	v_fma_f64 v[72:73], v[224:225], v[106:107], -v[72:73]
	ds_read_b128 v[106:109], v1 offset:1552
	buffer_load_dword v241, off, s[0:3], 0 offset:796
	buffer_load_dword v240, off, s[0:3], 0 offset:792
	;; [unrolled: 1-line block ×4, first 2 shown]
	v_accvgpr_write_b32 a169, v73
	v_accvgpr_write_b32 a168, v72
	v_add_f64 v[8:9], v[8:9], v[202:203]
	v_add_f64 v[8:9], v[8:9], v[62:63]
	;; [unrolled: 1-line block ×5, first 2 shown]
	v_accvgpr_read_b32 v6, a152
	v_accvgpr_read_b32 v4, a168
	;; [unrolled: 1-line block ×5, first 2 shown]
	v_mul_f64 v[6:7], v[120:121], v[6:7]
	v_accvgpr_read_b32 v9, a155
	v_add_f64 v[4:5], v[208:209], v[4:5]
	v_fma_f64 v[6:7], v[118:119], v[8:9], -v[6:7]
	v_add_f64 v[4:5], v[4:5], v[6:7]
	v_mul_f64 v[6:7], v[124:125], v[138:139]
	v_fma_f64 v[6:7], v[122:123], v[142:143], -v[6:7]
	v_add_f64 v[4:5], v[4:5], v[6:7]
	v_accvgpr_read_b32 v6, a156
	v_accvgpr_read_b32 v7, a157
	v_accvgpr_read_b32 v8, a158
	v_mul_f64 v[6:7], v[128:129], v[6:7]
	v_accvgpr_read_b32 v9, a159
	v_fma_f64 v[6:7], v[126:127], v[8:9], -v[6:7]
	v_add_f64 v[4:5], v[4:5], v[6:7]
	v_mul_f64 v[6:7], v[132:133], v[146:147]
	v_fma_f64 v[6:7], v[130:131], v[150:151], -v[6:7]
	v_add_f64 v[4:5], v[4:5], v[6:7]
	v_accvgpr_read_b32 v6, a160
	v_accvgpr_read_b32 v7, a161
	v_accvgpr_read_b32 v8, a162
	v_mul_f64 v[6:7], v[20:21], v[6:7]
	v_accvgpr_read_b32 v9, a163
	;; [unrolled: 10-line block ×3, first 2 shown]
	v_fma_f64 v[6:7], v[26:27], v[8:9], -v[6:7]
	v_add_f64 v[4:5], v[4:5], v[6:7]
	v_mul_f64 v[6:7], v[32:33], v[158:159]
	v_fma_f64 v[6:7], v[30:31], v[160:161], -v[6:7]
	v_add_f64 v[4:5], v[4:5], v[6:7]
	v_mul_f64 v[6:7], v[36:37], v[134:135]
	;; [unrolled: 3-line block ×8, first 2 shown]
	v_fma_f64 v[6:7], v[58:59], v[174:175], -v[6:7]
	v_add_f64 v[4:5], v[4:5], v[6:7]
	s_waitcnt vmcnt(10) lgkmcnt(1)
	v_mul_f64 v[72:73], v[102:103], v[2:3]
	v_mul_f64 v[6:7], v[212:213], v[182:183]
	s_waitcnt vmcnt(8)
	v_fmac_f64_e32 v[72:73], v[104:105], v[254:255]
	v_add_f64 v[70:71], v[70:71], v[72:73]
	s_waitcnt vmcnt(6) lgkmcnt(0)
	v_mul_f64 v[72:73], v[106:107], v[110:111]
	s_waitcnt vmcnt(4)
	v_fmac_f64_e32 v[72:73], v[108:109], v[220:221]
	v_add_f64 v[224:225], v[70:71], v[72:73]
	ds_read_b128 v[70:73], v1 offset:1568
	buffer_load_dword v246, off, s[0:3], 0 offset:808
	buffer_load_dword v247, off, s[0:3], 0 offset:812
	;; [unrolled: 1-line block ×4, first 2 shown]
	v_fma_f64 v[6:7], v[210:211], v[184:185], -v[6:7]
	v_add_f64 v[4:5], v[4:5], v[6:7]
	v_mul_f64 v[6:7], v[68:69], v[178:179]
	s_waitcnt vmcnt(6) lgkmcnt(0)
	v_mul_f64 v[226:227], v[70:71], v[240:241]
	s_waitcnt vmcnt(4)
	v_fmac_f64_e32 v[226:227], v[72:73], v[242:243]
	v_add_f64 v[244:245], v[224:225], v[226:227]
	ds_read_b128 v[224:227], v1 offset:1584
	buffer_load_dword v250, off, s[0:3], 0 offset:48
	buffer_load_dword v251, off, s[0:3], 0 offset:52
	buffer_load_dword v206, off, s[0:3], 0 offset:56
	buffer_load_dword v207, off, s[0:3], 0 offset:60
	v_fma_f64 v[6:7], v[66:67], v[218:219], -v[6:7]
	v_add_f64 v[4:5], v[4:5], v[6:7]
	v_mul_f64 v[6:7], v[216:217], v[188:189]
	v_fma_f64 v[6:7], v[214:215], v[64:65], -v[6:7]
	v_add_f64 v[4:5], v[4:5], v[6:7]
	v_mul_f64 v[6:7], v[76:77], v[180:181]
	;; [unrolled: 3-line block ×8, first 2 shown]
	v_fma_f64 v[6:7], v[98:99], v[234:235], -v[6:7]
	v_mul_f64 v[2:3], v[104:105], v[2:3]
	v_add_f64 v[4:5], v[4:5], v[6:7]
	v_fma_f64 v[2:3], v[102:103], v[254:255], -v[2:3]
	v_add_f64 v[2:3], v[4:5], v[2:3]
	v_mul_f64 v[4:5], v[108:109], v[110:111]
	v_fma_f64 v[4:5], v[106:107], v[220:221], -v[4:5]
	v_add_f64 v[2:3], v[2:3], v[4:5]
	v_mul_f64 v[4:5], v[72:73], v[240:241]
	v_fma_f64 v[4:5], v[70:71], v[242:243], -v[4:5]
	v_add_f64 v[2:3], v[2:3], v[4:5]
	s_waitcnt vmcnt(6) lgkmcnt(0)
	v_mul_f64 v[4:5], v[226:227], v[246:247]
	v_mul_f64 v[252:253], v[224:225], v[246:247]
	s_waitcnt vmcnt(4)
	v_fma_f64 v[4:5], v[224:225], v[248:249], -v[4:5]
	v_fmac_f64_e32 v[252:253], v[226:227], v[248:249]
	v_add_f64 v[2:3], v[2:3], v[4:5]
	v_add_f64 v[244:245], v[244:245], v[252:253]
	s_waitcnt vmcnt(2)
	v_add_f64 v[2:3], v[250:251], -v[2:3]
	s_waitcnt vmcnt(0)
	v_add_f64 v[4:5], v[206:207], -v[244:245]
	buffer_store_dword v3, off, s[0:3], 0 offset:52
	buffer_store_dword v2, off, s[0:3], 0 offset:48
	;; [unrolled: 1-line block ×4, first 2 shown]
	s_and_saveexec_b64 s[4:5], vcc
	s_cbranch_execz .LBB49_311
; %bb.310:
	v_accvgpr_read_b32 v0, a148
	buffer_load_dword v2, v0, s[0:3], 0 offen
	buffer_load_dword v3, v0, s[0:3], 0 offen offset:4
	buffer_load_dword v4, v0, s[0:3], 0 offen offset:8
	;; [unrolled: 1-line block ×3, first 2 shown]
	v_accvgpr_read_b32 v0, a150
	buffer_store_dword v1, off, s[0:3], 0 offset:32
	buffer_store_dword v1, off, s[0:3], 0 offset:36
	;; [unrolled: 1-line block ×4, first 2 shown]
	s_waitcnt vmcnt(4)
	ds_write_b128 v0, v[2:5]
.LBB49_311:
	s_or_b64 exec, exec, s[4:5]
	s_waitcnt lgkmcnt(0)
	; wave barrier
	s_waitcnt lgkmcnt(0)
	buffer_load_dword v42, off, s[0:3], 0 offset:48
	buffer_load_dword v43, off, s[0:3], 0 offset:52
	;; [unrolled: 1-line block ×42, first 2 shown]
	ds_read_b128 v[110:113], v1 offset:832
	ds_read_b128 v[114:117], v1 offset:848
	;; [unrolled: 1-line block ×10, first 2 shown]
	buffer_load_dword v231, off, s[0:3], 0 offset:196
	buffer_load_dword v230, off, s[0:3], 0 offset:192
	ds_read_b128 v[50:53], v1 offset:992
	buffer_load_dword v89, off, s[0:3], 0 offset:252
	buffer_load_dword v88, off, s[0:3], 0 offset:248
	;; [unrolled: 1-line block ×8, first 2 shown]
	s_waitcnt vmcnt(48) lgkmcnt(10)
	v_mul_f64 v[2:3], v[110:111], v[48:49]
	v_fmac_f64_e32 v[2:3], v[112:113], v[42:43]
	v_add_f64 v[2:3], v[2:3], 0
	s_waitcnt vmcnt(44) lgkmcnt(9)
	v_mul_f64 v[4:5], v[114:115], v[168:169]
	v_fmac_f64_e32 v[4:5], v[116:117], v[44:45]
	v_add_f64 v[2:3], v[2:3], v[4:5]
	buffer_load_dword v107, off, s[0:3], 0 offset:284
	buffer_load_dword v106, off, s[0:3], 0 offset:280
	;; [unrolled: 1-line block ×26, first 2 shown]
	s_waitcnt vmcnt(62) lgkmcnt(8)
	v_mul_f64 v[6:7], v[174:175], v[46:47]
	s_waitcnt lgkmcnt(6)
	v_mul_f64 v[10:11], v[186:187], v[58:59]
	v_fmac_f64_e32 v[10:11], v[188:189], v[56:57]
	v_mul_f64 v[46:47], v[176:177], v[46:47]
	v_mul_f64 v[8:9], v[178:179], v[60:61]
	s_waitcnt vmcnt(60) lgkmcnt(4)
	v_mul_f64 v[14:15], v[194:195], v[220:221]
	s_waitcnt vmcnt(58)
	v_fmac_f64_e32 v[14:15], v[196:197], v[222:223]
	s_waitcnt vmcnt(56)
	v_mul_f64 v[12:13], v[190:191], v[218:219]
	s_waitcnt vmcnt(54) lgkmcnt(2)
	v_mul_f64 v[18:19], v[202:203], v[228:229]
	s_waitcnt vmcnt(51)
	v_mul_f64 v[16:17], v[198:199], v[74:75]
	s_waitcnt vmcnt(49) lgkmcnt(1)
	v_mul_f64 v[20:21], v[206:207], v[72:73]
	s_waitcnt vmcnt(47)
	v_fmac_f64_e32 v[6:7], v[176:177], v[82:83]
	v_add_f64 v[2:3], v[2:3], v[6:7]
	s_waitcnt vmcnt(45)
	v_fmac_f64_e32 v[8:9], v[180:181], v[182:183]
	v_add_f64 v[2:3], v[2:3], v[8:9]
	;; [unrolled: 3-line block ×3, first 2 shown]
	v_add_f64 v[2:3], v[2:3], v[12:13]
	s_waitcnt vmcnt(41)
	v_fmac_f64_e32 v[16:17], v[200:201], v[76:77]
	v_add_f64 v[2:3], v[2:3], v[14:15]
	s_waitcnt vmcnt(40)
	v_fmac_f64_e32 v[18:19], v[204:205], v[70:71]
	v_add_f64 v[2:3], v[2:3], v[16:17]
	v_add_f64 v[2:3], v[2:3], v[18:19]
	s_waitcnt vmcnt(34)
	v_fmac_f64_e32 v[20:21], v[208:209], v[230:231]
	v_add_f64 v[2:3], v[2:3], v[20:21]
	s_waitcnt vmcnt(0)
	v_pk_mov_b32 v[18:19], v[4:5], v[4:5] op_sel:[0,1]
	buffer_load_dword v5, off, s[0:3], 0 offset:372
	buffer_load_dword v7, off, s[0:3], 0 offset:364
	;; [unrolled: 1-line block ×6, first 2 shown]
	v_accvgpr_write_b32 a155, v19
	v_accvgpr_write_b32 a154, v18
	s_waitcnt vmcnt(3)
	v_pk_mov_b32 v[14:15], v[6:7], v[6:7] op_sel:[0,1]
	s_waitcnt vmcnt(0)
	v_pk_mov_b32 v[22:23], v[4:5], v[4:5] op_sel:[0,1]
	buffer_load_dword v5, off, s[0:3], 0 offset:412
	buffer_load_dword v4, off, s[0:3], 0 offset:408
	v_accvgpr_write_b32 a153, v15
	v_accvgpr_write_b32 a152, v14
	;; [unrolled: 1-line block ×4, first 2 shown]
	s_waitcnt vmcnt(0)
	v_pk_mov_b32 v[26:27], v[4:5], v[4:5] op_sel:[0,1]
	buffer_load_dword v5, off, s[0:3], 0 offset:404
	buffer_load_dword v141, off, s[0:3], 0 offset:396
	;; [unrolled: 1-line block ×6, first 2 shown]
	v_accvgpr_write_b32 a159, v27
	v_accvgpr_write_b32 a158, v26
	s_waitcnt vmcnt(0)
	v_pk_mov_b32 v[28:29], v[4:5], v[4:5] op_sel:[0,1]
	buffer_load_dword v5, off, s[0:3], 0 offset:444
	buffer_load_dword v4, off, s[0:3], 0 offset:440
	v_accvgpr_write_b32 a161, v29
	v_accvgpr_write_b32 a160, v28
	s_waitcnt vmcnt(0)
	v_pk_mov_b32 v[34:35], v[4:5], v[4:5] op_sel:[0,1]
	buffer_load_dword v5, off, s[0:3], 0 offset:436
	buffer_load_dword v149, off, s[0:3], 0 offset:428
	;; [unrolled: 1-line block ×6, first 2 shown]
	v_accvgpr_write_b32 a163, v35
	v_accvgpr_write_b32 a162, v34
	s_waitcnt vmcnt(0)
	v_pk_mov_b32 v[36:37], v[4:5], v[4:5] op_sel:[0,1]
	buffer_load_dword v5, off, s[0:3], 0 offset:476
	buffer_load_dword v4, off, s[0:3], 0 offset:472
	;; [unrolled: 1-line block ×22, first 2 shown]
	ds_read_b128 v[210:213], v1 offset:1008
	ds_read_b128 v[214:217], v1 offset:1024
	;; [unrolled: 1-line block ×12, first 2 shown]
	s_waitcnt lgkmcnt(4)
	v_mul_f64 v[8:9], v[62:63], v[98:99]
	v_fmac_f64_e32 v[8:9], v[64:65], v[100:101]
	s_waitcnt lgkmcnt(3)
	v_mul_f64 v[12:13], v[130:131], v[14:15]
	v_fmac_f64_e32 v[12:13], v[132:133], v[136:137]
	;; [unrolled: 3-line block ×5, first 2 shown]
	v_accvgpr_write_b32 a165, v37
	v_accvgpr_write_b32 a164, v36
	s_waitcnt vmcnt(20)
	v_pk_mov_b32 v[38:39], v[4:5], v[4:5] op_sel:[0,1]
	v_mul_f64 v[4:5], v[50:51], v[84:85]
	v_fmac_f64_e32 v[4:5], v[52:53], v[86:87]
	v_add_f64 v[2:3], v[2:3], v[4:5]
	v_mul_f64 v[4:5], v[210:211], v[96:97]
	v_fmac_f64_e32 v[4:5], v[212:213], v[54:55]
	v_add_f64 v[2:3], v[2:3], v[4:5]
	v_mul_f64 v[4:5], v[214:215], v[88:89]
	v_fmac_f64_e32 v[4:5], v[216:217], v[90:91]
	v_add_f64 v[2:3], v[2:3], v[4:5]
	v_mul_f64 v[4:5], v[240:241], v[66:67]
	v_fmac_f64_e32 v[4:5], v[242:243], v[68:69]
	v_add_f64 v[2:3], v[2:3], v[4:5]
	v_mul_f64 v[4:5], v[244:245], v[106:107]
	v_fmac_f64_e32 v[4:5], v[246:247], v[108:109]
	v_add_f64 v[2:3], v[2:3], v[4:5]
	v_mul_f64 v[4:5], v[248:249], v[78:79]
	v_fmac_f64_e32 v[4:5], v[250:251], v[80:81]
	v_add_f64 v[2:3], v[2:3], v[4:5]
	v_mul_f64 v[4:5], v[252:253], v[92:93]
	v_fmac_f64_e32 v[4:5], v[254:255], v[94:95]
	v_add_f64 v[2:3], v[2:3], v[4:5]
	v_mul_f64 v[4:5], v[224:225], v[102:103]
	v_fmac_f64_e32 v[4:5], v[226:227], v[104:105]
	v_add_f64 v[6:7], v[2:3], v[4:5]
	v_add_f64 v[10:11], v[6:7], v[8:9]
	v_add_f64 v[14:15], v[10:11], v[12:13]
	;; [unrolled: 1-line block ×4, first 2 shown]
	ds_read_b128 v[18:21], v1 offset:1200
	v_add_f64 v[26:27], v[22:23], v[24:25]
	ds_read_b128 v[22:25], v1 offset:1216
	v_accvgpr_write_b32 a167, v39
	v_accvgpr_write_b32 a166, v38
	s_waitcnt lgkmcnt(1)
	v_mul_f64 v[28:29], v[18:19], v[148:149]
	v_fmac_f64_e32 v[28:29], v[20:21], v[150:151]
	v_add_f64 v[30:31], v[26:27], v[28:29]
	ds_read_b128 v[26:29], v1 offset:1232
	s_waitcnt lgkmcnt(1)
	v_mul_f64 v[32:33], v[22:23], v[34:35]
	v_fmac_f64_e32 v[32:33], v[24:25], v[36:37]
	v_add_f64 v[34:35], v[30:31], v[32:33]
	ds_read_b128 v[30:33], v1 offset:1248
	s_waitcnt vmcnt(17) lgkmcnt(1)
	v_mul_f64 v[36:37], v[26:27], v[152:153]
	s_waitcnt vmcnt(15)
	v_fmac_f64_e32 v[36:37], v[28:29], v[154:155]
	v_add_f64 v[164:165], v[34:35], v[36:37]
	ds_read_b128 v[34:37], v1 offset:1264
	s_waitcnt lgkmcnt(1)
	v_mul_f64 v[166:167], v[30:31], v[38:39]
	ds_read_b128 v[38:41], v1 offset:1280
	s_waitcnt vmcnt(14)
	v_fmac_f64_e32 v[166:167], v[32:33], v[134:135]
	v_add_f64 v[164:165], v[164:165], v[166:167]
	s_waitcnt vmcnt(9) lgkmcnt(1)
	v_mul_f64 v[166:167], v[34:35], v[156:157]
	s_waitcnt vmcnt(7)
	v_fmac_f64_e32 v[166:167], v[36:37], v[160:161]
	v_add_f64 v[164:165], v[164:165], v[166:167]
	s_waitcnt lgkmcnt(0)
	v_mul_f64 v[166:167], v[38:39], v[138:139]
	s_waitcnt vmcnt(6)
	v_fmac_f64_e32 v[166:167], v[40:41], v[142:143]
	v_add_f64 v[2:3], v[164:165], v[166:167]
	buffer_load_dword v167, off, s[0:3], 0 offset:532
	buffer_load_dword v166, off, s[0:3], 0 offset:528
	v_mul_f64 v[4:5], v[112:113], v[48:49]
	buffer_load_dword v164, off, s[0:3], 0 offset:568
	v_fma_f64 v[14:15], v[110:111], v[42:43], -v[4:5]
	v_mul_f64 v[42:43], v[116:117], v[168:169]
	buffer_load_dword v171, off, s[0:3], 0 offset:556
	buffer_load_dword v170, off, s[0:3], 0 offset:552
	;; [unrolled: 1-line block ×7, first 2 shown]
	v_fma_f64 v[110:111], v[114:115], v[44:45], -v[42:43]
	ds_read_b128 v[42:45], v1 offset:1296
	v_fma_f64 v[112:113], v[174:175], v[82:83], -v[46:47]
	v_mul_f64 v[46:47], v[180:181], v[60:61]
	buffer_load_dword v175, off, s[0:3], 0 offset:588
	buffer_load_dword v174, off, s[0:3], 0 offset:584
	buffer_load_dword v177, off, s[0:3], 0 offset:580
	buffer_load_dword v176, off, s[0:3], 0 offset:576
	v_fma_f64 v[114:115], v[178:179], v[182:183], -v[46:47]
	buffer_load_dword v179, off, s[0:3], 0 offset:604
	buffer_load_dword v178, off, s[0:3], 0 offset:600
	;; [unrolled: 1-line block ×8, first 2 shown]
	v_mul_f64 v[46:47], v[188:189], v[58:59]
	v_fma_f64 v[116:117], v[186:187], v[56:57], -v[46:47]
	buffer_load_dword v186, off, s[0:3], 0 offset:632
	v_mul_f64 v[46:47], v[192:193], v[218:219]
	buffer_load_dword v218, off, s[0:3], 0 offset:624
	buffer_load_dword v187, off, s[0:3], 0 offset:636
	;; [unrolled: 1-line block ×3, first 2 shown]
	v_mul_f64 v[8:9], v[196:197], v[220:221]
	v_fma_f64 v[10:11], v[190:191], v[232:233], -v[46:47]
	v_fma_f64 v[8:9], v[194:195], v[222:223], -v[8:9]
	buffer_load_dword v188, off, s[0:3], 0 offset:664
	buffer_load_dword v193, off, s[0:3], 0 offset:652
	;; [unrolled: 1-line block ×8, first 2 shown]
	v_mul_f64 v[48:49], v[200:201], v[74:75]
	buffer_load_dword v221, off, s[0:3], 0 offset:684
	buffer_load_dword v220, off, s[0:3], 0 offset:680
	;; [unrolled: 1-line block ×4, first 2 shown]
	v_fma_f64 v[196:197], v[198:199], v[76:77], -v[48:49]
	v_mul_f64 v[48:49], v[204:205], v[228:229]
	v_fma_f64 v[198:199], v[202:203], v[70:71], -v[48:49]
	v_mul_f64 v[48:49], v[208:209], v[72:73]
	buffer_load_dword v209, off, s[0:3], 0 offset:700
	buffer_load_dword v208, off, s[0:3], 0 offset:696
	;; [unrolled: 1-line block ×4, first 2 shown]
	v_fma_f64 v[206:207], v[206:207], v[230:231], -v[48:49]
	buffer_load_dword v204, off, s[0:3], 0 offset:728
	buffer_load_dword v233, off, s[0:3], 0 offset:716
	;; [unrolled: 1-line block ×12, first 2 shown]
	s_waitcnt vmcnt(56) lgkmcnt(0)
	v_mul_f64 v[46:47], v[42:43], v[158:159]
	s_waitcnt vmcnt(54)
	v_fmac_f64_e32 v[46:47], v[44:45], v[162:163]
	v_add_f64 v[2:3], v[2:3], v[46:47]
	ds_read_b128 v[46:49], v1 offset:1312
	v_mul_f64 v[52:53], v[52:53], v[84:85]
	v_fma_f64 v[200:201], v[50:51], v[86:87], -v[52:53]
	ds_read_b128 v[50:53], v1 offset:1328
	v_mul_f64 v[56:57], v[212:213], v[96:97]
	v_fma_f64 v[210:211], v[210:211], v[54:55], -v[56:57]
	ds_read_b128 v[54:57], v1 offset:1344
	s_waitcnt lgkmcnt(2)
	v_mul_f64 v[58:59], v[46:47], v[146:147]
	v_mul_f64 v[70:71], v[216:217], v[88:89]
	v_fma_f64 v[6:7], v[214:215], v[90:91], -v[70:71]
	ds_read_b128 v[212:215], v1 offset:1376
	v_mul_f64 v[66:67], v[242:243], v[66:67]
	v_fma_f64 v[216:217], v[240:241], v[68:69], -v[66:67]
	ds_read_b128 v[70:73], v1 offset:1408
	ds_read_b128 v[74:77], v1 offset:1424
	v_mul_f64 v[16:17], v[250:251], v[78:79]
	v_fma_f64 v[16:17], v[248:249], v[80:81], -v[16:17]
	ds_read_b128 v[78:81], v1 offset:1440
	ds_read_b128 v[82:85], v1 offset:1456
	;; [unrolled: 1-line block ×3, first 2 shown]
	v_mul_f64 v[90:91], v[226:227], v[102:103]
	v_fma_f64 v[90:91], v[224:225], v[104:105], -v[90:91]
	v_accvgpr_write_b32 a169, v91
	v_accvgpr_write_b32 a168, v90
	v_add_f64 v[14:15], v[14:15], 0
	v_add_f64 v[14:15], v[14:15], v[110:111]
	;; [unrolled: 1-line block ×3, first 2 shown]
	ds_read_b128 v[66:69], v1 offset:1392
	v_add_f64 v[14:15], v[14:15], v[114:115]
	v_add_f64 v[14:15], v[14:15], v[116:117]
	;; [unrolled: 1-line block ×11, first 2 shown]
	v_accvgpr_read_b32 v8, a156
	v_accvgpr_read_b32 v9, a157
	s_waitcnt vmcnt(52)
	v_fmac_f64_e32 v[58:59], v[48:49], v[166:167]
	v_add_f64 v[2:3], v[2:3], v[58:59]
	s_waitcnt vmcnt(49) lgkmcnt(8)
	v_mul_f64 v[58:59], v[50:51], v[170:171]
	s_waitcnt vmcnt(47)
	v_fmac_f64_e32 v[58:59], v[52:53], v[172:173]
	v_add_f64 v[2:3], v[2:3], v[58:59]
	s_waitcnt vmcnt(45) lgkmcnt(7)
	v_mul_f64 v[58:59], v[54:55], v[164:165]
	s_waitcnt vmcnt(44)
	v_fmac_f64_e32 v[58:59], v[56:57], v[168:169]
	v_add_f64 v[2:3], v[2:3], v[58:59]
	ds_read_b128 v[58:61], v1 offset:1360
	s_waitcnt vmcnt(42) lgkmcnt(0)
	v_mul_f64 v[12:13], v[58:59], v[174:175]
	s_waitcnt vmcnt(40)
	v_fmac_f64_e32 v[12:13], v[60:61], v[176:177]
	v_add_f64 v[2:3], v[2:3], v[12:13]
	s_waitcnt vmcnt(38)
	v_mul_f64 v[12:13], v[212:213], v[178:179]
	s_waitcnt vmcnt(36)
	v_fmac_f64_e32 v[12:13], v[214:215], v[182:183]
	v_add_f64 v[2:3], v[2:3], v[12:13]
	s_waitcnt vmcnt(34)
	v_mul_f64 v[12:13], v[66:67], v[180:181]
	s_waitcnt vmcnt(32)
	v_fmac_f64_e32 v[12:13], v[68:69], v[184:185]
	v_add_f64 v[2:3], v[2:3], v[12:13]
	v_mul_f64 v[12:13], v[246:247], v[106:107]
	v_fma_f64 v[4:5], v[244:245], v[108:109], -v[12:13]
	s_waitcnt vmcnt(29)
	v_mul_f64 v[12:13], v[70:71], v[186:187]
	s_waitcnt vmcnt(28)
	v_fmac_f64_e32 v[12:13], v[72:73], v[218:219]
	v_add_f64 v[2:3], v[2:3], v[12:13]
	s_waitcnt vmcnt(25)
	v_mul_f64 v[12:13], v[74:75], v[192:193]
	s_waitcnt vmcnt(23)
	v_fmac_f64_e32 v[12:13], v[76:77], v[194:195]
	v_add_f64 v[2:3], v[2:3], v[12:13]
	;; [unrolled: 5-line block ×3, first 2 shown]
	v_mul_f64 v[12:13], v[254:255], v[92:93]
	v_fma_f64 v[250:251], v[252:253], v[94:95], -v[12:13]
	s_waitcnt vmcnt(18)
	v_mul_f64 v[12:13], v[82:83], v[220:221]
	s_waitcnt vmcnt(16)
	v_fmac_f64_e32 v[12:13], v[84:85], v[222:223]
	ds_read_b128 v[90:93], v1 offset:1488
	v_add_f64 v[2:3], v[2:3], v[12:13]
	s_waitcnt vmcnt(14)
	v_mul_f64 v[12:13], v[86:87], v[208:209]
	s_waitcnt vmcnt(12)
	v_fmac_f64_e32 v[12:13], v[88:89], v[228:229]
	ds_read_b128 v[94:97], v1 offset:1504
	v_add_f64 v[2:3], v[2:3], v[12:13]
	v_mul_f64 v[12:13], v[64:65], v[98:99]
	v_fma_f64 v[254:255], v[62:63], v[100:101], -v[12:13]
	ds_read_b128 v[98:101], v1 offset:1520
	s_waitcnt vmcnt(9) lgkmcnt(2)
	v_mul_f64 v[12:13], v[90:91], v[232:233]
	s_waitcnt vmcnt(7)
	v_fmac_f64_e32 v[12:13], v[92:93], v[236:237]
	v_add_f64 v[2:3], v[2:3], v[12:13]
	s_waitcnt vmcnt(5) lgkmcnt(1)
	v_mul_f64 v[12:13], v[94:95], v[204:205]
	s_waitcnt vmcnt(4)
	v_fmac_f64_e32 v[12:13], v[96:97], v[230:231]
	v_add_f64 v[2:3], v[2:3], v[12:13]
	;; [unrolled: 5-line block ×3, first 2 shown]
	buffer_load_dword v12, off, s[0:3], 0 offset:760
	buffer_load_dword v13, off, s[0:3], 0 offset:764
	;; [unrolled: 1-line block ×4, first 2 shown]
	ds_read_b128 v[102:105], v1 offset:1536
	buffer_load_dword v227, off, s[0:3], 0 offset:780
	buffer_load_dword v226, off, s[0:3], 0 offset:776
	;; [unrolled: 1-line block ×4, first 2 shown]
	ds_read_b128 v[106:109], v1 offset:1552
	buffer_load_dword v240, off, s[0:3], 0 offset:792
	buffer_load_dword v241, off, s[0:3], 0 offset:796
	;; [unrolled: 1-line block ×4, first 2 shown]
	v_add_f64 v[4:5], v[6:7], v[4:5]
	v_add_f64 v[4:5], v[4:5], v[16:17]
	;; [unrolled: 1-line block ×3, first 2 shown]
	v_accvgpr_read_b32 v4, a168
	v_accvgpr_read_b32 v6, a152
	;; [unrolled: 1-line block ×4, first 2 shown]
	v_add_f64 v[4:5], v[210:211], v[4:5]
	v_mul_f64 v[6:7], v[132:133], v[6:7]
	v_add_f64 v[4:5], v[4:5], v[254:255]
	v_fma_f64 v[6:7], v[130:131], v[136:137], -v[6:7]
	v_add_f64 v[4:5], v[4:5], v[6:7]
	v_accvgpr_read_b32 v6, a154
	v_accvgpr_read_b32 v7, a155
	v_mul_f64 v[6:7], v[128:129], v[6:7]
	v_fma_f64 v[6:7], v[126:127], v[8:9], -v[6:7]
	v_add_f64 v[4:5], v[4:5], v[6:7]
	v_mul_f64 v[6:7], v[124:125], v[140:141]
	v_fma_f64 v[6:7], v[122:123], v[144:145], -v[6:7]
	v_add_f64 v[4:5], v[4:5], v[6:7]
	v_accvgpr_read_b32 v6, a158
	v_accvgpr_read_b32 v7, a159
	;; [unrolled: 1-line block ×3, first 2 shown]
	v_mul_f64 v[6:7], v[120:121], v[6:7]
	v_accvgpr_read_b32 v9, a161
	v_fma_f64 v[6:7], v[118:119], v[8:9], -v[6:7]
	v_add_f64 v[4:5], v[4:5], v[6:7]
	v_mul_f64 v[6:7], v[20:21], v[148:149]
	v_fma_f64 v[6:7], v[18:19], v[150:151], -v[6:7]
	v_add_f64 v[4:5], v[4:5], v[6:7]
	v_accvgpr_read_b32 v6, a162
	v_accvgpr_read_b32 v7, a163
	;; [unrolled: 1-line block ×3, first 2 shown]
	v_mul_f64 v[6:7], v[24:25], v[6:7]
	v_accvgpr_read_b32 v9, a165
	v_fma_f64 v[6:7], v[22:23], v[8:9], -v[6:7]
	v_add_f64 v[4:5], v[4:5], v[6:7]
	v_mul_f64 v[6:7], v[28:29], v[152:153]
	v_fma_f64 v[6:7], v[26:27], v[154:155], -v[6:7]
	v_add_f64 v[4:5], v[4:5], v[6:7]
	v_accvgpr_read_b32 v6, a166
	v_accvgpr_read_b32 v7, a167
	v_mul_f64 v[6:7], v[32:33], v[6:7]
	v_fma_f64 v[6:7], v[30:31], v[134:135], -v[6:7]
	v_add_f64 v[4:5], v[4:5], v[6:7]
	v_mul_f64 v[6:7], v[36:37], v[156:157]
	v_fma_f64 v[6:7], v[34:35], v[160:161], -v[6:7]
	v_add_f64 v[4:5], v[4:5], v[6:7]
	;; [unrolled: 3-line block ×10, first 2 shown]
	v_mul_f64 v[6:7], v[72:73], v[186:187]
	s_waitcnt vmcnt(10) lgkmcnt(1)
	v_mul_f64 v[62:63], v[102:103], v[12:13]
	v_fma_f64 v[6:7], v[70:71], v[218:219], -v[6:7]
	s_waitcnt vmcnt(8)
	v_fmac_f64_e32 v[62:63], v[104:105], v[224:225]
	v_add_f64 v[2:3], v[2:3], v[62:63]
	s_waitcnt vmcnt(6) lgkmcnt(0)
	v_mul_f64 v[62:63], v[106:107], v[226:227]
	s_waitcnt vmcnt(4)
	v_fmac_f64_e32 v[62:63], v[108:109], v[202:203]
	v_add_f64 v[2:3], v[2:3], v[62:63]
	ds_read_b128 v[62:65], v1 offset:1568
	buffer_load_dword v247, off, s[0:3], 0 offset:812
	buffer_load_dword v246, off, s[0:3], 0 offset:808
	;; [unrolled: 1-line block ×4, first 2 shown]
	v_add_f64 v[4:5], v[4:5], v[6:7]
	v_mul_f64 v[6:7], v[76:77], v[192:193]
	v_fma_f64 v[6:7], v[74:75], v[194:195], -v[6:7]
	s_waitcnt vmcnt(6) lgkmcnt(0)
	v_mul_f64 v[244:245], v[62:63], v[240:241]
	s_waitcnt vmcnt(4)
	v_fmac_f64_e32 v[244:245], v[64:65], v[242:243]
	v_add_f64 v[244:245], v[2:3], v[244:245]
	ds_read_b128 v[0:3], v1 offset:1584
	buffer_load_dword v250, off, s[0:3], 0 offset:32
	buffer_load_dword v251, off, s[0:3], 0 offset:36
	;; [unrolled: 1-line block ×4, first 2 shown]
	v_add_f64 v[4:5], v[4:5], v[6:7]
	v_mul_f64 v[6:7], v[80:81], v[188:189]
	v_fma_f64 v[6:7], v[78:79], v[190:191], -v[6:7]
	v_add_f64 v[4:5], v[4:5], v[6:7]
	v_mul_f64 v[6:7], v[84:85], v[220:221]
	v_fma_f64 v[6:7], v[82:83], v[222:223], -v[6:7]
	;; [unrolled: 3-line block ×9, first 2 shown]
	v_add_f64 v[4:5], v[4:5], v[6:7]
	s_waitcnt vmcnt(6) lgkmcnt(0)
	v_mul_f64 v[252:253], v[0:1], v[246:247]
	s_waitcnt vmcnt(4)
	v_fmac_f64_e32 v[252:253], v[2:3], v[248:249]
	v_mul_f64 v[2:3], v[2:3], v[246:247]
	v_fma_f64 v[0:1], v[0:1], v[248:249], -v[2:3]
	v_add_f64 v[0:1], v[4:5], v[0:1]
	v_add_f64 v[244:245], v[244:245], v[252:253]
	s_waitcnt vmcnt(2)
	v_add_f64 v[0:1], v[250:251], -v[0:1]
	s_waitcnt vmcnt(0)
	v_add_f64 v[2:3], v[206:207], -v[244:245]
	buffer_store_dword v1, off, s[0:3], 0 offset:36
	buffer_store_dword v0, off, s[0:3], 0 offset:32
	;; [unrolled: 1-line block ×4, first 2 shown]
	v_accvgpr_read_b32 v0, a149
	v_cmp_ne_u32_e32 vcc, 0, v0
	s_and_saveexec_b64 s[4:5], vcc
	s_cbranch_execz .LBB49_313
; %bb.312:
	buffer_load_dword v0, off, s[0:3], 0 offset:16
	buffer_load_dword v1, off, s[0:3], 0 offset:20
	;; [unrolled: 1-line block ×4, first 2 shown]
	v_mov_b32_e32 v4, 0
	v_accvgpr_read_b32 v5, a150
	buffer_store_dword v4, off, s[0:3], 0 offset:16
	buffer_store_dword v4, off, s[0:3], 0 offset:20
	;; [unrolled: 1-line block ×4, first 2 shown]
	s_waitcnt vmcnt(4)
	ds_write_b128 v5, v[0:3]
.LBB49_313:
	s_or_b64 exec, exec, s[4:5]
	s_waitcnt lgkmcnt(0)
	; wave barrier
	s_waitcnt lgkmcnt(0)
	buffer_load_dword v36, off, s[0:3], 0 offset:32
	buffer_load_dword v37, off, s[0:3], 0 offset:36
	buffer_load_dword v38, off, s[0:3], 0 offset:40
	buffer_load_dword v39, off, s[0:3], 0 offset:44
	buffer_load_dword v46, off, s[0:3], 0 offset:48
	buffer_load_dword v47, off, s[0:3], 0 offset:52
	buffer_load_dword v48, off, s[0:3], 0 offset:56
	buffer_load_dword v49, off, s[0:3], 0 offset:60
	buffer_load_dword v44, off, s[0:3], 0 offset:72
	buffer_load_dword v45, off, s[0:3], 0 offset:76
	buffer_load_dword v53, off, s[0:3], 0 offset:108
	buffer_load_dword v52, off, s[0:3], 0 offset:104
	buffer_load_dword v51, off, s[0:3], 0 offset:100
	buffer_load_dword v50, off, s[0:3], 0 offset:96
	buffer_load_dword v55, off, s[0:3], 0 offset:92
	buffer_load_dword v54, off, s[0:3], 0 offset:88
	buffer_load_dword v57, off, s[0:3], 0 offset:140
	buffer_load_dword v56, off, s[0:3], 0 offset:136
	buffer_load_dword v59, off, s[0:3], 0 offset:132
	buffer_load_dword v58, off, s[0:3], 0 offset:128
	buffer_load_dword v163, off, s[0:3], 0 offset:124
	buffer_load_dword v162, off, s[0:3], 0 offset:120
	buffer_load_dword v67, off, s[0:3], 0 offset:172
	buffer_load_dword v66, off, s[0:3], 0 offset:168
	buffer_load_dword v164, off, s[0:3], 0 offset:160
	buffer_load_dword v69, off, s[0:3], 0 offset:156
	buffer_load_dword v68, off, s[0:3], 0 offset:152
	buffer_load_dword v63, off, s[0:3], 0 offset:188
	buffer_load_dword v62, off, s[0:3], 0 offset:184
	buffer_load_dword v76, off, s[0:3], 0 offset:64
	buffer_load_dword v77, off, s[0:3], 0 offset:68
	buffer_load_dword v75, off, s[0:3], 0 offset:84
	buffer_load_dword v74, off, s[0:3], 0 offset:80
	buffer_load_dword v73, off, s[0:3], 0 offset:116
	buffer_load_dword v72, off, s[0:3], 0 offset:112
	buffer_load_dword v71, off, s[0:3], 0 offset:148
	buffer_load_dword v70, off, s[0:3], 0 offset:144
	buffer_load_dword v165, off, s[0:3], 0 offset:164
	buffer_load_dword v80, off, s[0:3], 0 offset:200
	buffer_load_dword v84, off, s[0:3], 0 offset:192
	buffer_load_dword v85, off, s[0:3], 0 offset:196
	buffer_load_dword v81, off, s[0:3], 0 offset:204
	v_mov_b32_e32 v112, 0
	buffer_load_dword v95, off, s[0:3], 0 offset:180
	buffer_load_dword v94, off, s[0:3], 0 offset:176
	;; [unrolled: 1-line block ×7, first 2 shown]
	ds_read_b128 v[40:43], v112 offset:816
	ds_read_b128 v[108:111], v112 offset:832
	ds_read_b128 v[128:131], v112 offset:848
	ds_read_b128 v[132:135], v112 offset:864
	ds_read_b128 v[140:143], v112 offset:880
	ds_read_b128 v[146:149], v112 offset:896
	ds_read_b128 v[150:153], v112 offset:912
	ds_read_b128 v[154:157], v112 offset:928
	ds_read_b128 v[158:161], v112 offset:944
	ds_read_b128 v[166:169], v112 offset:960
	ds_read_b128 v[170:173], v112 offset:976
	s_and_b64 vcc, exec, s[20:21]
	s_waitcnt vmcnt(45) lgkmcnt(10)
	v_mul_f64 v[0:1], v[40:41], v[38:39]
	v_fmac_f64_e32 v[0:1], v[42:43], v[36:37]
	v_add_f64 v[0:1], v[0:1], 0
	v_mul_f64 v[38:39], v[42:43], v[38:39]
	s_waitcnt vmcnt(41) lgkmcnt(9)
	v_mul_f64 v[2:3], v[108:109], v[48:49]
	v_fmac_f64_e32 v[2:3], v[110:111], v[46:47]
	s_waitcnt vmcnt(39) lgkmcnt(8)
	v_mul_f64 v[4:5], v[128:129], v[44:45]
	v_add_f64 v[0:1], v[0:1], v[2:3]
	s_waitcnt vmcnt(37) lgkmcnt(6)
	v_mul_f64 v[8:9], v[140:141], v[52:53]
	v_mul_f64 v[44:45], v[130:131], v[44:45]
	s_waitcnt vmcnt(35)
	v_fmac_f64_e32 v[8:9], v[142:143], v[50:51]
	v_mul_f64 v[48:49], v[110:111], v[48:49]
	s_waitcnt vmcnt(33)
	v_mul_f64 v[6:7], v[132:133], v[54:55]
	v_fma_f64 v[174:175], v[108:109], v[46:47], -v[48:49]
	s_waitcnt vmcnt(31) lgkmcnt(4)
	v_mul_f64 v[12:13], v[150:151], v[56:57]
	s_waitcnt vmcnt(29)
	v_fmac_f64_e32 v[12:13], v[152:153], v[58:59]
	s_waitcnt vmcnt(27)
	v_mul_f64 v[10:11], v[146:147], v[162:163]
	s_waitcnt vmcnt(25) lgkmcnt(2)
	v_mul_f64 v[16:17], v[158:159], v[66:67]
	s_waitcnt vmcnt(22)
	v_mul_f64 v[14:15], v[154:155], v[68:69]
	s_waitcnt vmcnt(20) lgkmcnt(1)
	v_mul_f64 v[18:19], v[166:167], v[62:63]
	s_waitcnt vmcnt(18)
	v_fmac_f64_e32 v[4:5], v[130:131], v[76:77]
	v_add_f64 v[0:1], v[0:1], v[4:5]
	s_waitcnt vmcnt(16)
	v_fmac_f64_e32 v[6:7], v[134:135], v[74:75]
	v_add_f64 v[0:1], v[0:1], v[6:7]
	;; [unrolled: 3-line block ×3, first 2 shown]
	v_add_f64 v[0:1], v[0:1], v[10:11]
	s_waitcnt vmcnt(12)
	v_fmac_f64_e32 v[14:15], v[156:157], v[70:71]
	v_add_f64 v[0:1], v[0:1], v[12:13]
	s_waitcnt vmcnt(11)
	v_fmac_f64_e32 v[16:17], v[160:161], v[164:165]
	v_add_f64 v[0:1], v[0:1], v[14:15]
	v_add_f64 v[4:5], v[0:1], v[16:17]
	buffer_load_dword v86, off, s[0:3], 0 offset:216
	buffer_load_dword v215, off, s[0:3], 0 offset:212
	;; [unrolled: 1-line block ×29, first 2 shown]
	s_waitcnt vmcnt(34)
	v_fmac_f64_e32 v[18:19], v[168:169], v[94:95]
	v_add_f64 v[4:5], v[4:5], v[18:19]
	v_fma_f64 v[76:77], v[128:129], v[76:77], -v[44:45]
	v_mul_f64 v[44:45], v[134:135], v[54:55]
	v_fma_f64 v[108:109], v[132:133], v[74:75], -v[44:45]
	v_mul_f64 v[44:45], v[142:143], v[52:53]
	;; [unrolled: 2-line block ×3, first 2 shown]
	s_waitcnt vmcnt(0)
	v_pk_mov_b32 v[12:13], v[6:7], v[6:7] op_sel:[0,1]
	buffer_load_dword v7, off, s[0:3], 0 offset:356
	buffer_load_dword v6, off, s[0:3], 0 offset:352
	v_accvgpr_write_b32 a151, v13
	v_accvgpr_write_b32 a150, v12
	s_waitcnt vmcnt(0)
	v_pk_mov_b32 v[14:15], v[6:7], v[6:7] op_sel:[0,1]
	buffer_load_dword v97, off, s[0:3], 0 offset:348
	buffer_load_dword v96, off, s[0:3], 0 offset:344
	buffer_load_dword v99, off, s[0:3], 0 offset:340
	buffer_load_dword v98, off, s[0:3], 0 offset:336
	buffer_load_dword v7, off, s[0:3], 0 offset:396
	buffer_load_dword v6, off, s[0:3], 0 offset:392
	v_accvgpr_write_b32 a153, v15
	v_accvgpr_write_b32 a152, v14
	s_waitcnt vmcnt(0)
	v_pk_mov_b32 v[20:21], v[6:7], v[6:7] op_sel:[0,1]
	buffer_load_dword v7, off, s[0:3], 0 offset:388
	buffer_load_dword v6, off, s[0:3], 0 offset:384
	v_accvgpr_write_b32 a155, v21
	v_accvgpr_write_b32 a154, v20
	s_waitcnt vmcnt(0)
	v_pk_mov_b32 v[22:23], v[6:7], v[6:7] op_sel:[0,1]
	buffer_load_dword v237, off, s[0:3], 0 offset:380
	buffer_load_dword v236, off, s[0:3], 0 offset:376
	buffer_load_dword v241, off, s[0:3], 0 offset:372
	buffer_load_dword v240, off, s[0:3], 0 offset:368
	buffer_load_dword v7, off, s[0:3], 0 offset:428
	buffer_load_dword v6, off, s[0:3], 0 offset:424
	v_accvgpr_write_b32 a157, v23
	v_accvgpr_write_b32 a156, v22
	;; [unrolled: 16-line block ×4, first 2 shown]
	s_waitcnt vmcnt(0)
	v_pk_mov_b32 v[126:127], v[6:7], v[6:7] op_sel:[0,1]
	buffer_load_dword v7, off, s[0:3], 0 offset:484
	buffer_load_dword v6, off, s[0:3], 0 offset:480
	;; [unrolled: 1-line block ×14, first 2 shown]
	ds_read_b128 v[178:181], v112 offset:992
	ds_read_b128 v[182:185], v112 offset:1008
	;; [unrolled: 1-line block ×14, first 2 shown]
	s_waitcnt lgkmcnt(4)
	v_mul_f64 v[10:11], v[230:231], v[12:13]
	v_fmac_f64_e32 v[10:11], v[232:233], v[14:15]
	s_waitcnt lgkmcnt(3)
	v_mul_f64 v[14:15], v[226:227], v[236:237]
	v_fmac_f64_e32 v[14:15], v[228:229], v[240:241]
	;; [unrolled: 3-line block ×5, first 2 shown]
	v_accvgpr_write_b32 a167, v127
	v_accvgpr_write_b32 a166, v126
	v_mul_f64 v[48:49], v[180:181], v[86:87]
	s_waitcnt vmcnt(12)
	v_pk_mov_b32 v[136:137], v[6:7], v[6:7] op_sel:[0,1]
	v_mul_f64 v[6:7], v[170:171], v[80:81]
	v_fmac_f64_e32 v[6:7], v[172:173], v[84:85]
	v_add_f64 v[4:5], v[4:5], v[6:7]
	v_mul_f64 v[6:7], v[178:179], v[86:87]
	v_fmac_f64_e32 v[6:7], v[180:181], v[214:215]
	v_add_f64 v[4:5], v[4:5], v[6:7]
	;; [unrolled: 3-line block ×10, first 2 shown]
	v_add_f64 v[12:13], v[8:9], v[10:11]
	v_add_f64 v[16:17], v[12:13], v[14:15]
	;; [unrolled: 1-line block ×4, first 2 shown]
	ds_read_b128 v[20:23], v112 offset:1216
	v_add_f64 v[28:29], v[24:25], v[26:27]
	ds_read_b128 v[24:27], v112 offset:1232
	v_fma_f64 v[16:17], v[40:41], v[36:37], -v[38:39]
	ds_read_b128 v[36:39], v112 offset:1280
	s_waitcnt lgkmcnt(2)
	v_mul_f64 v[30:31], v[20:21], v[248:249]
	v_fmac_f64_e32 v[30:31], v[22:23], v[250:251]
	s_waitcnt lgkmcnt(1)
	v_mul_f64 v[34:35], v[24:25], v[114:115]
	v_add_f64 v[32:33], v[28:29], v[30:31]
	ds_read_b128 v[28:31], v112 offset:1248
	v_fmac_f64_e32 v[34:35], v[26:27], v[122:123]
	v_add_f64 v[122:123], v[32:33], v[34:35]
	ds_read_b128 v[32:35], v112 offset:1264
	v_accvgpr_write_b32 a169, v137
	s_waitcnt vmcnt(10) lgkmcnt(1)
	v_mul_f64 v[124:125], v[28:29], v[252:253]
	s_waitcnt vmcnt(8)
	v_fmac_f64_e32 v[124:125], v[30:31], v[254:255]
	v_add_f64 v[6:7], v[122:123], v[124:125]
	s_waitcnt lgkmcnt(0)
	v_mul_f64 v[40:41], v[32:33], v[126:127]
	v_fmac_f64_e32 v[40:41], v[34:35], v[136:137]
	v_add_f64 v[6:7], v[6:7], v[40:41]
	s_waitcnt vmcnt(2)
	v_mul_f64 v[40:41], v[36:37], v[234:235]
	s_waitcnt vmcnt(0)
	v_fmac_f64_e32 v[40:41], v[38:39], v[120:121]
	v_add_f64 v[6:7], v[6:7], v[40:41]
	ds_read_b128 v[40:43], v112 offset:1296
	buffer_load_dword v123, off, s[0:3], 0 offset:540
	buffer_load_dword v122, off, s[0:3], 0 offset:536
	;; [unrolled: 1-line block ×8, first 2 shown]
	v_accvgpr_write_b32 a168, v136
	buffer_load_dword v129, off, s[0:3], 0 offset:588
	buffer_load_dword v135, off, s[0:3], 0 offset:572
	;; [unrolled: 1-line block ×16, first 2 shown]
	v_fma_f64 v[12:13], v[146:147], v[72:73], -v[44:45]
	buffer_load_dword v147, off, s[0:3], 0 offset:636
	buffer_load_dword v146, off, s[0:3], 0 offset:632
	;; [unrolled: 1-line block ×4, first 2 shown]
	v_mul_f64 v[44:45], v[156:157], v[68:69]
	v_mul_f64 v[10:11], v[152:153], v[56:57]
	v_fma_f64 v[8:9], v[154:155], v[70:71], -v[44:45]
	buffer_load_dword v152, off, s[0:3], 0 offset:648
	buffer_load_dword v154, off, s[0:3], 0 offset:640
	;; [unrolled: 1-line block ×4, first 2 shown]
	v_mul_f64 v[14:15], v[160:161], v[66:67]
	v_fma_f64 v[10:11], v[150:151], v[58:59], -v[10:11]
	v_fma_f64 v[14:15], v[158:159], v[164:165], -v[14:15]
	buffer_load_dword v151, off, s[0:3], 0 offset:684
	buffer_load_dword v157, off, s[0:3], 0 offset:668
	;; [unrolled: 1-line block ×12, first 2 shown]
	v_mul_f64 v[44:45], v[168:169], v[62:63]
	v_mul_f64 v[18:19], v[172:173], v[80:81]
	v_fma_f64 v[4:5], v[166:167], v[94:95], -v[44:45]
	v_fma_f64 v[18:19], v[170:171], v[84:85], -v[18:19]
	buffer_load_dword v168, off, s[0:3], 0 offset:712
	buffer_load_dword v170, off, s[0:3], 0 offset:704
	;; [unrolled: 1-line block ×12, first 2 shown]
	s_waitcnt lgkmcnt(0)
	v_mul_f64 v[44:45], v[40:41], v[238:239]
	v_fmac_f64_e32 v[44:45], v[42:43], v[242:243]
	v_add_f64 v[6:7], v[6:7], v[44:45]
	ds_read_b128 v[44:47], v112 offset:1312
	v_fma_f64 v[178:179], v[178:179], v[214:215], -v[48:49]
	ds_read_b128 v[48:51], v112 offset:1328
	v_mul_f64 v[0:1], v[188:189], v[0:1]
	v_fma_f64 v[0:1], v[186:187], v[60:61], -v[0:1]
	ds_read_b128 v[60:63], v112 offset:1376
	v_mul_f64 v[70:71], v[192:193], v[106:107]
	;; [unrolled: 3-line block ×3, first 2 shown]
	v_fma_f64 v[2:3], v[194:195], v[64:65], -v[2:3]
	v_mul_f64 v[84:85], v[204:205], v[102:103]
	v_fma_f64 v[204:205], v[202:203], v[104:105], -v[84:85]
	ds_read_b128 v[84:87], v112 offset:1472
	v_mul_f64 v[88:89], v[208:209], v[88:89]
	v_mul_f64 v[96:97], v[212:213], v[96:97]
	v_fma_f64 v[202:203], v[210:211], v[98:99], -v[96:97]
	v_add_f64 v[16:17], v[16:17], 0
	v_add_f64 v[16:17], v[16:17], v[174:175]
	;; [unrolled: 1-line block ×12, first 2 shown]
	v_accvgpr_read_b32 v8, a150
	v_accvgpr_read_b32 v9, a151
	v_accvgpr_read_b32 v10, a152
	v_mul_f64 v[8:9], v[232:233], v[8:9]
	v_accvgpr_read_b32 v11, a153
	v_fma_f64 v[8:9], v[230:231], v[10:11], -v[8:9]
	v_accvgpr_read_b32 v10, a156
	v_accvgpr_read_b32 v11, a157
	ds_read_b128 v[72:75], v112 offset:1424
	ds_read_b128 v[96:99], v112 offset:1520
	s_waitcnt vmcnt(54) lgkmcnt(6)
	v_mul_f64 v[52:53], v[44:45], v[122:123]
	s_waitcnt vmcnt(52)
	v_fmac_f64_e32 v[52:53], v[46:47], v[126:127]
	v_add_f64 v[6:7], v[6:7], v[52:53]
	v_mul_f64 v[52:53], v[184:185], v[78:79]
	v_fma_f64 v[78:79], v[182:183], v[82:83], -v[52:53]
	ds_read_b128 v[52:55], v112 offset:1344
	s_waitcnt vmcnt(49) lgkmcnt(6)
	v_mul_f64 v[56:57], v[48:49], v[124:125]
	s_waitcnt vmcnt(48)
	v_fmac_f64_e32 v[56:57], v[50:51], v[130:131]
	v_add_f64 v[6:7], v[6:7], v[56:57]
	ds_read_b128 v[56:59], v112 offset:1360
	s_waitcnt vmcnt(45) lgkmcnt(1)
	v_mul_f64 v[68:69], v[52:53], v[134:135]
	s_waitcnt vmcnt(43)
	v_fmac_f64_e32 v[68:69], v[54:55], v[136:137]
	v_add_f64 v[6:7], v[6:7], v[68:69]
	s_waitcnt vmcnt(25)
	v_mul_f64 v[80:81], v[72:73], v[152:153]
	s_waitcnt lgkmcnt(0)
	v_mul_f64 v[68:69], v[56:57], v[128:129]
	v_fmac_f64_e32 v[68:69], v[58:59], v[138:139]
	v_add_f64 v[6:7], v[6:7], v[68:69]
	v_mul_f64 v[68:69], v[60:61], v[142:143]
	v_fmac_f64_e32 v[68:69], v[62:63], v[144:145]
	v_add_f64 v[6:7], v[6:7], v[68:69]
	;; [unrolled: 3-line block ×3, first 2 shown]
	ds_read_b128 v[68:71], v112 offset:1408
	s_waitcnt vmcnt(24)
	v_fmac_f64_e32 v[80:81], v[74:75], v[154:155]
	v_add_f64 v[4:5], v[4:5], v[78:79]
	v_add_f64 v[0:1], v[4:5], v[0:1]
	;; [unrolled: 1-line block ×3, first 2 shown]
	s_waitcnt lgkmcnt(0)
	v_mul_f64 v[64:65], v[68:69], v[146:147]
	v_fmac_f64_e32 v[64:65], v[70:71], v[148:149]
	v_add_f64 v[6:7], v[6:7], v[64:65]
	v_mul_f64 v[64:65], v[200:201], v[92:93]
	v_fma_f64 v[64:65], v[198:199], v[100:101], -v[64:65]
	ds_read_b128 v[196:199], v112 offset:1440
	v_add_f64 v[6:7], v[6:7], v[80:81]
	ds_read_b128 v[80:83], v112 offset:1456
	v_fma_f64 v[200:201], v[206:207], v[90:91], -v[88:89]
	ds_read_b128 v[88:91], v112 offset:1504
	s_waitcnt vmcnt(21) lgkmcnt(2)
	v_mul_f64 v[92:93], v[196:197], v[156:157]
	s_waitcnt vmcnt(19)
	v_fmac_f64_e32 v[92:93], v[198:199], v[162:163]
	v_add_f64 v[6:7], v[6:7], v[92:93]
	s_waitcnt vmcnt(18) lgkmcnt(1)
	v_mul_f64 v[92:93], v[80:81], v[150:151]
	s_waitcnt vmcnt(16)
	v_fmac_f64_e32 v[92:93], v[82:83], v[160:161]
	v_add_f64 v[6:7], v[6:7], v[92:93]
	ds_read_b128 v[92:95], v112 offset:1488
	s_waitcnt vmcnt(14)
	v_mul_f64 v[100:101], v[84:85], v[158:159]
	s_waitcnt vmcnt(12)
	v_fmac_f64_e32 v[100:101], v[86:87], v[164:165]
	v_add_f64 v[6:7], v[6:7], v[100:101]
	v_add_f64 v[0:1], v[0:1], v[2:3]
	s_waitcnt vmcnt(9) lgkmcnt(0)
	v_mul_f64 v[100:101], v[92:93], v[168:169]
	s_waitcnt vmcnt(8)
	v_fmac_f64_e32 v[100:101], v[94:95], v[170:171]
	v_add_f64 v[6:7], v[6:7], v[100:101]
	s_waitcnt vmcnt(5)
	v_mul_f64 v[100:101], v[88:89], v[66:67]
	s_waitcnt vmcnt(3)
	v_fmac_f64_e32 v[100:101], v[90:91], v[176:177]
	v_add_f64 v[6:7], v[6:7], v[100:101]
	s_waitcnt vmcnt(1)
	v_mul_f64 v[100:101], v[96:97], v[166:167]
	s_waitcnt vmcnt(0)
	v_fmac_f64_e32 v[100:101], v[98:99], v[172:173]
	v_add_f64 v[104:105], v[6:7], v[100:101]
	buffer_load_dword v7, off, s[0:3], 0 offset:764
	buffer_load_dword v6, off, s[0:3], 0 offset:760
	;; [unrolled: 1-line block ×4, first 2 shown]
	ds_read_b128 v[100:103], v112 offset:1536
	buffer_load_dword v182, off, s[0:3], 0 offset:776
	buffer_load_dword v183, off, s[0:3], 0 offset:780
	;; [unrolled: 1-line block ×4, first 2 shown]
	v_add_f64 v[0:1], v[0:1], v[64:65]
	s_waitcnt vmcnt(6) lgkmcnt(0)
	v_mul_f64 v[106:107], v[100:101], v[6:7]
	v_mul_f64 v[6:7], v[102:103], v[6:7]
	s_waitcnt vmcnt(4)
	v_fmac_f64_e32 v[106:107], v[102:103], v[180:181]
	v_add_f64 v[186:187], v[104:105], v[106:107]
	ds_read_b128 v[104:107], v112 offset:1552
	v_fma_f64 v[6:7], v[100:101], v[180:181], -v[6:7]
	s_waitcnt vmcnt(2) lgkmcnt(0)
	v_mul_f64 v[114:115], v[104:105], v[182:183]
	s_waitcnt vmcnt(0)
	v_fmac_f64_e32 v[114:115], v[106:107], v[184:185]
	v_add_f64 v[192:193], v[186:187], v[114:115]
	buffer_load_dword v187, off, s[0:3], 0 offset:796
	buffer_load_dword v186, off, s[0:3], 0 offset:792
	;; [unrolled: 1-line block ×4, first 2 shown]
	ds_read_b128 v[208:211], v112 offset:1568
	s_waitcnt vmcnt(2) lgkmcnt(0)
	v_mul_f64 v[114:115], v[208:209], v[186:187]
	s_waitcnt vmcnt(0)
	v_fmac_f64_e32 v[114:115], v[210:211], v[188:189]
	v_add_f64 v[206:207], v[192:193], v[114:115]
	buffer_load_dword v192, off, s[0:3], 0 offset:808
	buffer_load_dword v193, off, s[0:3], 0 offset:812
	;; [unrolled: 1-line block ×4, first 2 shown]
	ds_read_b128 v[112:115], v112 offset:1584
	buffer_load_dword v2, off, s[0:3], 0 offset:16
	buffer_load_dword v3, off, s[0:3], 0 offset:20
	s_waitcnt vmcnt(4) lgkmcnt(0)
	v_mul_f64 v[212:213], v[112:113], v[192:193]
	s_waitcnt vmcnt(2)
	v_fmac_f64_e32 v[212:213], v[114:115], v[194:195]
	v_add_f64 v[212:213], v[206:207], v[212:213]
	v_add_f64 v[206:207], v[0:1], v[204:205]
	buffer_load_dword v0, off, s[0:3], 0 offset:24
	buffer_load_dword v1, off, s[0:3], 0 offset:28
	v_add_f64 v[4:5], v[206:207], v[200:201]
	v_add_f64 v[4:5], v[4:5], v[202:203]
	v_add_f64 v[4:5], v[4:5], v[8:9]
	v_mul_f64 v[8:9], v[228:229], v[236:237]
	v_fma_f64 v[8:9], v[226:227], v[240:241], -v[8:9]
	v_add_f64 v[4:5], v[4:5], v[8:9]
	v_accvgpr_read_b32 v8, a154
	v_accvgpr_read_b32 v9, a155
	v_mul_f64 v[8:9], v[224:225], v[8:9]
	v_fma_f64 v[8:9], v[222:223], v[10:11], -v[8:9]
	v_add_f64 v[4:5], v[4:5], v[8:9]
	v_mul_f64 v[8:9], v[220:221], v[244:245]
	v_fma_f64 v[8:9], v[218:219], v[246:247], -v[8:9]
	v_add_f64 v[4:5], v[4:5], v[8:9]
	v_accvgpr_read_b32 v8, a158
	v_accvgpr_read_b32 v9, a159
	v_accvgpr_read_b32 v10, a160
	v_mul_f64 v[8:9], v[118:119], v[8:9]
	v_accvgpr_read_b32 v11, a161
	v_fma_f64 v[8:9], v[116:117], v[10:11], -v[8:9]
	v_add_f64 v[4:5], v[4:5], v[8:9]
	v_mul_f64 v[8:9], v[22:23], v[248:249]
	v_fma_f64 v[8:9], v[20:21], v[250:251], -v[8:9]
	v_add_f64 v[4:5], v[4:5], v[8:9]
	v_accvgpr_read_b32 v8, a162
	v_accvgpr_read_b32 v9, a163
	v_accvgpr_read_b32 v10, a164
	v_mul_f64 v[8:9], v[26:27], v[8:9]
	v_accvgpr_read_b32 v11, a165
	v_fma_f64 v[8:9], v[24:25], v[10:11], -v[8:9]
	v_add_f64 v[4:5], v[4:5], v[8:9]
	v_mul_f64 v[8:9], v[30:31], v[252:253]
	v_fma_f64 v[8:9], v[28:29], v[254:255], -v[8:9]
	v_add_f64 v[4:5], v[4:5], v[8:9]
	v_accvgpr_read_b32 v8, a166
	v_accvgpr_read_b32 v9, a167
	v_accvgpr_read_b32 v10, a168
	v_mul_f64 v[8:9], v[34:35], v[8:9]
	v_accvgpr_read_b32 v11, a169
	v_fma_f64 v[8:9], v[32:33], v[10:11], -v[8:9]
	v_add_f64 v[4:5], v[4:5], v[8:9]
	v_mul_f64 v[8:9], v[38:39], v[234:235]
	v_fma_f64 v[8:9], v[36:37], v[120:121], -v[8:9]
	v_add_f64 v[4:5], v[4:5], v[8:9]
	v_mul_f64 v[8:9], v[42:43], v[238:239]
	;; [unrolled: 3-line block ×16, first 2 shown]
	v_fma_f64 v[8:9], v[96:97], v[172:173], -v[8:9]
	v_add_f64 v[4:5], v[4:5], v[8:9]
	v_add_f64 v[4:5], v[4:5], v[6:7]
	v_mul_f64 v[6:7], v[106:107], v[182:183]
	v_fma_f64 v[6:7], v[104:105], v[184:185], -v[6:7]
	v_add_f64 v[4:5], v[4:5], v[6:7]
	v_mul_f64 v[6:7], v[210:211], v[186:187]
	v_fma_f64 v[6:7], v[208:209], v[188:189], -v[6:7]
	;; [unrolled: 3-line block ×3, first 2 shown]
	v_add_f64 v[4:5], v[4:5], v[6:7]
	s_waitcnt vmcnt(2)
	v_add_f64 v[2:3], v[2:3], -v[4:5]
	s_waitcnt vmcnt(0)
	v_add_f64 v[0:1], v[0:1], -v[212:213]
	buffer_store_dword v3, off, s[0:3], 0 offset:20
	buffer_store_dword v2, off, s[0:3], 0 offset:16
	;; [unrolled: 1-line block ×4, first 2 shown]
	s_cbranch_vccz .LBB49_413
; %bb.314:
	v_pk_mov_b32 v[0:1], s[10:11], s[10:11] op_sel:[0,1]
	flat_load_dword v0, v[0:1] offset:192
	s_waitcnt vmcnt(0) lgkmcnt(0)
	v_add_u32_e32 v0, -1, v0
	v_cmp_ne_u32_e32 vcc, 48, v0
	s_and_saveexec_b64 s[4:5], vcc
	s_cbranch_execz .LBB49_316
; %bb.315:
	v_mov_b32_e32 v1, 16
	v_accvgpr_read_b32 v9, a101
	v_lshl_add_u32 v0, v0, 4, v1
	buffer_load_dword v1, v9, s[0:3], 0 offen offset:4
	buffer_load_dword v2, v9, s[0:3], 0 offen offset:8
	buffer_load_dword v3, v9, s[0:3], 0 offen offset:12
	buffer_load_dword v4, v0, s[0:3], 0 offen
	buffer_load_dword v5, v0, s[0:3], 0 offen offset:4
	buffer_load_dword v6, v0, s[0:3], 0 offen offset:8
	buffer_load_dword v7, v0, s[0:3], 0 offen offset:12
	buffer_load_dword v8, v9, s[0:3], 0 offen
	s_waitcnt vmcnt(4)
	buffer_store_dword v4, v9, s[0:3], 0 offen
	s_waitcnt vmcnt(4)
	buffer_store_dword v5, v9, s[0:3], 0 offen offset:4
	s_waitcnt vmcnt(4)
	buffer_store_dword v6, v9, s[0:3], 0 offen offset:8
	s_waitcnt vmcnt(4)
	buffer_store_dword v7, v9, s[0:3], 0 offen offset:12
	buffer_store_dword v3, v0, s[0:3], 0 offen offset:12
	buffer_store_dword v2, v0, s[0:3], 0 offen offset:8
	buffer_store_dword v1, v0, s[0:3], 0 offen offset:4
	s_waitcnt vmcnt(7)
	buffer_store_dword v8, v0, s[0:3], 0 offen
.LBB49_316:
	s_or_b64 exec, exec, s[4:5]
	v_pk_mov_b32 v[0:1], s[10:11], s[10:11] op_sel:[0,1]
	flat_load_dword v0, v[0:1] offset:188
	s_waitcnt vmcnt(0) lgkmcnt(0)
	v_add_u32_e32 v0, -1, v0
	v_cmp_ne_u32_e32 vcc, 47, v0
	s_and_saveexec_b64 s[4:5], vcc
	s_cbranch_execz .LBB49_318
; %bb.317:
	v_mov_b32_e32 v1, 16
	v_accvgpr_read_b32 v9, a102
	v_lshl_add_u32 v0, v0, 4, v1
	buffer_load_dword v1, v9, s[0:3], 0 offen offset:4
	buffer_load_dword v2, v9, s[0:3], 0 offen offset:8
	buffer_load_dword v3, v9, s[0:3], 0 offen offset:12
	buffer_load_dword v4, v0, s[0:3], 0 offen
	buffer_load_dword v5, v0, s[0:3], 0 offen offset:4
	buffer_load_dword v6, v0, s[0:3], 0 offen offset:8
	buffer_load_dword v7, v0, s[0:3], 0 offen offset:12
	buffer_load_dword v8, v9, s[0:3], 0 offen
	s_waitcnt vmcnt(4)
	buffer_store_dword v4, v9, s[0:3], 0 offen
	s_waitcnt vmcnt(4)
	buffer_store_dword v5, v9, s[0:3], 0 offen offset:4
	s_waitcnt vmcnt(4)
	buffer_store_dword v6, v9, s[0:3], 0 offen offset:8
	s_waitcnt vmcnt(4)
	buffer_store_dword v7, v9, s[0:3], 0 offen offset:12
	buffer_store_dword v3, v0, s[0:3], 0 offen offset:12
	buffer_store_dword v2, v0, s[0:3], 0 offen offset:8
	buffer_store_dword v1, v0, s[0:3], 0 offen offset:4
	s_waitcnt vmcnt(7)
	buffer_store_dword v8, v0, s[0:3], 0 offen
.LBB49_318:
	s_or_b64 exec, exec, s[4:5]
	;; [unrolled: 34-line block ×48, first 2 shown]
	v_pk_mov_b32 v[0:1], s[10:11], s[10:11] op_sel:[0,1]
	flat_load_dword v0, v[0:1]
	s_waitcnt vmcnt(0) lgkmcnt(0)
	v_add_u32_e32 v0, -1, v0
	v_cmp_ne_u32_e32 vcc, 0, v0
	s_and_saveexec_b64 s[4:5], vcc
	s_cbranch_execz .LBB49_412
; %bb.411:
	v_mov_b32_e32 v1, 16
	v_lshl_add_u32 v0, v0, 4, v1
	buffer_load_dword v1, v0, s[0:3], 0 offen
	buffer_load_dword v2, v0, s[0:3], 0 offen offset:4
	buffer_load_dword v3, v0, s[0:3], 0 offen offset:8
	;; [unrolled: 1-line block ×3, first 2 shown]
	buffer_load_dword v5, off, s[0:3], 0 offset:28
	buffer_load_dword v6, off, s[0:3], 0 offset:24
	;; [unrolled: 1-line block ×4, first 2 shown]
	s_waitcnt vmcnt(7)
	buffer_store_dword v1, off, s[0:3], 0 offset:16
	s_waitcnt vmcnt(7)
	buffer_store_dword v2, off, s[0:3], 0 offset:20
	;; [unrolled: 2-line block ×4, first 2 shown]
	s_waitcnt vmcnt(7)
	buffer_store_dword v5, v0, s[0:3], 0 offen offset:12
	s_waitcnt vmcnt(7)
	buffer_store_dword v6, v0, s[0:3], 0 offen offset:8
	;; [unrolled: 2-line block ×3, first 2 shown]
	s_waitcnt vmcnt(7)
	buffer_store_dword v8, v0, s[0:3], 0 offen
.LBB49_412:
	s_or_b64 exec, exec, s[4:5]
.LBB49_413:
	buffer_load_dword v0, off, s[0:3], 0 offset:16
	buffer_load_dword v1, off, s[0:3], 0 offset:20
	;; [unrolled: 1-line block ×4, first 2 shown]
	v_accvgpr_read_b32 v4, a86
	v_accvgpr_read_b32 v5, a87
	s_waitcnt vmcnt(0)
	global_store_dwordx4 v[4:5], v[0:3], off
	s_nop 0
	v_accvgpr_read_b32 v3, a148
	buffer_load_dword v0, v3, s[0:3], 0 offen
	buffer_load_dword v1, v3, s[0:3], 0 offen offset:4
	buffer_load_dword v2, v3, s[0:3], 0 offen offset:8
	s_nop 0
	buffer_load_dword v3, v3, s[0:3], 0 offen offset:12
	v_accvgpr_read_b32 v4, a76
	v_accvgpr_read_b32 v5, a77
	s_waitcnt vmcnt(0)
	global_store_dwordx4 v[4:5], v[0:3], off
	s_nop 0
	v_accvgpr_read_b32 v3, a147
	buffer_load_dword v0, v3, s[0:3], 0 offen
	buffer_load_dword v1, v3, s[0:3], 0 offen offset:4
	buffer_load_dword v2, v3, s[0:3], 0 offen offset:8
	s_nop 0
	buffer_load_dword v3, v3, s[0:3], 0 offen offset:12
	;; [unrolled: 11-line block ×8, first 2 shown]
	v_accvgpr_read_b32 v4, a34
	v_accvgpr_read_b32 v5, a35
	s_waitcnt vmcnt(0)
	global_store_dwordx4 v[4:5], v[0:3], off
	v_accvgpr_read_b32 v4, a140
	buffer_load_dword v0, v4, s[0:3], 0 offen
	buffer_load_dword v1, v4, s[0:3], 0 offen offset:4
	buffer_load_dword v2, v4, s[0:3], 0 offen offset:8
	buffer_load_dword v3, v4, s[0:3], 0 offen offset:12
	v_accvgpr_read_b32 v4, a98
	v_accvgpr_read_b32 v5, a99
	s_waitcnt vmcnt(0)
	global_store_dwordx4 v[4:5], v[0:3], off
	v_accvgpr_read_b32 v4, a139
	buffer_load_dword v0, v4, s[0:3], 0 offen
	buffer_load_dword v1, v4, s[0:3], 0 offen offset:4
	buffer_load_dword v2, v4, s[0:3], 0 offen offset:8
	buffer_load_dword v3, v4, s[0:3], 0 offen offset:12
	;; [unrolled: 9-line block ×41, first 2 shown]
	v_accvgpr_read_b32 v5, a1
	v_accvgpr_read_b32 v4, a0
	s_waitcnt vmcnt(0)
	global_store_dwordx4 v[4:5], v[0:3], off
	s_endpgm
	.section	.rodata,"a",@progbits
	.p2align	6, 0x0
	.amdhsa_kernel _ZN9rocsolver6v33100L18getri_kernel_smallILi50E19rocblas_complex_numIdEPS3_EEvT1_iilPiilS6_bb
		.amdhsa_group_segment_fixed_size 1608
		.amdhsa_private_segment_fixed_size 832
		.amdhsa_kernarg_size 60
		.amdhsa_user_sgpr_count 8
		.amdhsa_user_sgpr_private_segment_buffer 1
		.amdhsa_user_sgpr_dispatch_ptr 0
		.amdhsa_user_sgpr_queue_ptr 0
		.amdhsa_user_sgpr_kernarg_segment_ptr 1
		.amdhsa_user_sgpr_dispatch_id 0
		.amdhsa_user_sgpr_flat_scratch_init 1
		.amdhsa_user_sgpr_kernarg_preload_length 0
		.amdhsa_user_sgpr_kernarg_preload_offset 0
		.amdhsa_user_sgpr_private_segment_size 0
		.amdhsa_uses_dynamic_stack 0
		.amdhsa_system_sgpr_private_segment_wavefront_offset 1
		.amdhsa_system_sgpr_workgroup_id_x 1
		.amdhsa_system_sgpr_workgroup_id_y 0
		.amdhsa_system_sgpr_workgroup_id_z 0
		.amdhsa_system_sgpr_workgroup_info 0
		.amdhsa_system_vgpr_workitem_id 0
		.amdhsa_next_free_vgpr 426
		.amdhsa_next_free_sgpr 23
		.amdhsa_accum_offset 256
		.amdhsa_reserve_vcc 1
		.amdhsa_reserve_flat_scratch 1
		.amdhsa_float_round_mode_32 0
		.amdhsa_float_round_mode_16_64 0
		.amdhsa_float_denorm_mode_32 3
		.amdhsa_float_denorm_mode_16_64 3
		.amdhsa_dx10_clamp 1
		.amdhsa_ieee_mode 1
		.amdhsa_fp16_overflow 0
		.amdhsa_tg_split 0
		.amdhsa_exception_fp_ieee_invalid_op 0
		.amdhsa_exception_fp_denorm_src 0
		.amdhsa_exception_fp_ieee_div_zero 0
		.amdhsa_exception_fp_ieee_overflow 0
		.amdhsa_exception_fp_ieee_underflow 0
		.amdhsa_exception_fp_ieee_inexact 0
		.amdhsa_exception_int_div_zero 0
	.end_amdhsa_kernel
	.section	.text._ZN9rocsolver6v33100L18getri_kernel_smallILi50E19rocblas_complex_numIdEPS3_EEvT1_iilPiilS6_bb,"axG",@progbits,_ZN9rocsolver6v33100L18getri_kernel_smallILi50E19rocblas_complex_numIdEPS3_EEvT1_iilPiilS6_bb,comdat
.Lfunc_end49:
	.size	_ZN9rocsolver6v33100L18getri_kernel_smallILi50E19rocblas_complex_numIdEPS3_EEvT1_iilPiilS6_bb, .Lfunc_end49-_ZN9rocsolver6v33100L18getri_kernel_smallILi50E19rocblas_complex_numIdEPS3_EEvT1_iilPiilS6_bb
                                        ; -- End function
	.section	.AMDGPU.csdata,"",@progbits
; Kernel info:
; codeLenInByte = 158144
; NumSgprs: 29
; NumVgprs: 256
; NumAgprs: 170
; TotalNumVgprs: 426
; ScratchSize: 832
; MemoryBound: 0
; FloatMode: 240
; IeeeMode: 1
; LDSByteSize: 1608 bytes/workgroup (compile time only)
; SGPRBlocks: 3
; VGPRBlocks: 53
; NumSGPRsForWavesPerEU: 29
; NumVGPRsForWavesPerEU: 426
; AccumOffset: 256
; Occupancy: 1
; WaveLimiterHint : 1
; COMPUTE_PGM_RSRC2:SCRATCH_EN: 1
; COMPUTE_PGM_RSRC2:USER_SGPR: 8
; COMPUTE_PGM_RSRC2:TRAP_HANDLER: 0
; COMPUTE_PGM_RSRC2:TGID_X_EN: 1
; COMPUTE_PGM_RSRC2:TGID_Y_EN: 0
; COMPUTE_PGM_RSRC2:TGID_Z_EN: 0
; COMPUTE_PGM_RSRC2:TIDIG_COMP_CNT: 0
; COMPUTE_PGM_RSRC3_GFX90A:ACCUM_OFFSET: 63
; COMPUTE_PGM_RSRC3_GFX90A:TG_SPLIT: 0
	.section	.text._ZN9rocsolver6v33100L18getri_kernel_smallILi51E19rocblas_complex_numIdEPS3_EEvT1_iilPiilS6_bb,"axG",@progbits,_ZN9rocsolver6v33100L18getri_kernel_smallILi51E19rocblas_complex_numIdEPS3_EEvT1_iilPiilS6_bb,comdat
	.globl	_ZN9rocsolver6v33100L18getri_kernel_smallILi51E19rocblas_complex_numIdEPS3_EEvT1_iilPiilS6_bb ; -- Begin function _ZN9rocsolver6v33100L18getri_kernel_smallILi51E19rocblas_complex_numIdEPS3_EEvT1_iilPiilS6_bb
	.p2align	8
	.type	_ZN9rocsolver6v33100L18getri_kernel_smallILi51E19rocblas_complex_numIdEPS3_EEvT1_iilPiilS6_bb,@function
_ZN9rocsolver6v33100L18getri_kernel_smallILi51E19rocblas_complex_numIdEPS3_EEvT1_iilPiilS6_bb: ; @_ZN9rocsolver6v33100L18getri_kernel_smallILi51E19rocblas_complex_numIdEPS3_EEvT1_iilPiilS6_bb
; %bb.0:
	s_add_u32 flat_scratch_lo, s6, s9
	s_addc_u32 flat_scratch_hi, s7, 0
	s_add_u32 s0, s0, s9
	v_mov_b32_e32 v254, v0
	s_addc_u32 s1, s1, 0
	v_cmp_gt_u32_e32 vcc, 51, v254
	s_and_saveexec_b64 s[6:7], vcc
	s_cbranch_execz .LBB50_218
; %bb.1:
	s_load_dword s22, s[4:5], 0x38
	s_load_dwordx4 s[16:19], s[4:5], 0x10
	s_load_dwordx4 s[12:15], s[4:5], 0x28
                                        ; implicit-def: $sgpr10_sgpr11
	s_waitcnt lgkmcnt(0)
	s_bitcmp1_b32 s22, 8
	s_cselect_b64 s[20:21], -1, 0
	s_ashr_i32 s9, s8, 31
	s_bfe_u32 s6, s22, 0x10008
	s_cmp_eq_u32 s6, 0
	s_cbranch_scc1 .LBB50_3
; %bb.2:
	s_load_dword s6, s[4:5], 0x20
	s_mul_i32 s7, s8, s13
	s_mul_hi_u32 s10, s8, s12
	s_mul_i32 s11, s9, s12
	s_add_i32 s10, s10, s7
	s_add_i32 s11, s10, s11
	s_mul_i32 s10, s8, s12
	s_waitcnt lgkmcnt(0)
	s_ashr_i32 s7, s6, 31
	s_lshl_b64 s[10:11], s[10:11], 2
	s_add_u32 s10, s18, s10
	s_addc_u32 s11, s19, s11
	s_lshl_b64 s[6:7], s[6:7], 2
	s_add_u32 s10, s10, s6
	s_addc_u32 s11, s11, s7
.LBB50_3:
	s_load_dwordx4 s[4:7], s[4:5], 0x0
	s_mul_i32 s12, s8, s17
	s_mul_hi_u32 s13, s8, s16
	s_add_i32 s17, s13, s12
	v_lshlrev_b32_e32 v1, 4, v254
	s_waitcnt lgkmcnt(0)
	s_ashr_i32 s13, s6, 31
	s_mov_b32 s12, s6
	s_mul_i32 s6, s9, s16
	s_add_i32 s17, s17, s6
	s_mul_i32 s16, s8, s16
	s_lshl_b64 s[16:17], s[16:17], 4
	s_add_u32 s6, s4, s16
	s_addc_u32 s16, s5, s17
	s_lshl_b64 s[4:5], s[12:13], 4
	s_add_u32 s4, s6, s4
	s_addc_u32 s5, s16, s5
	v_mov_b32_e32 v0, s5
	v_add_co_u32_e32 v6, vcc, s4, v1
	s_ashr_i32 s13, s7, 31
	s_mov_b32 s12, s7
	v_addc_co_u32_e32 v7, vcc, 0, v0, vcc
	s_lshl_b64 s[12:13], s[12:13], 4
	v_accvgpr_write_b32 a0, v6
	s_add_i32 s6, s7, s7
	v_mov_b32_e32 v0, s13
	v_add_co_u32_e32 v10, vcc, s12, v6
	v_accvgpr_write_b32 a1, v7
	v_add_u32_e32 v6, s6, v254
	v_addc_co_u32_e32 v11, vcc, v7, v0, vcc
	v_ashrrev_i32_e32 v7, 31, v6
	v_lshlrev_b64 v[8:9], 4, v[6:7]
	v_mov_b32_e32 v0, s5
	v_add_co_u32_e32 v8, vcc, s4, v8
	v_add_u32_e32 v6, s7, v6
	v_addc_co_u32_e32 v9, vcc, v0, v9, vcc
	v_accvgpr_write_b32 a2, v10
	v_accvgpr_write_b32 a4, v8
	v_ashrrev_i32_e32 v7, 31, v6
	global_load_dwordx4 v[2:5], v1, s[4:5]
	v_accvgpr_write_b32 a3, v11
	global_load_dwordx4 v[10:13], v[10:11], off
	v_accvgpr_write_b32 a5, v9
	global_load_dwordx4 v[14:17], v[8:9], off
	v_lshlrev_b64 v[8:9], 4, v[6:7]
	v_add_u32_e32 v6, s7, v6
	v_add_co_u32_e32 v18, vcc, s4, v8
	v_ashrrev_i32_e32 v7, 31, v6
	v_addc_co_u32_e32 v19, vcc, v0, v9, vcc
	v_add_u32_e32 v8, s7, v6
	v_lshlrev_b64 v[6:7], 4, v[6:7]
	v_add_co_u32_e32 v22, vcc, s4, v6
	v_ashrrev_i32_e32 v9, 31, v8
	v_addc_co_u32_e32 v23, vcc, v0, v7, vcc
	v_accvgpr_write_b32 a10, v22
	v_add_u32_e32 v26, s7, v8
	v_lshlrev_b64 v[6:7], 4, v[8:9]
	v_accvgpr_write_b32 a11, v23
	global_load_dwordx4 v[22:25], v[22:23], off
	v_mov_b32_e32 v28, s5
	v_ashrrev_i32_e32 v27, 31, v26
	v_add_co_u32_e32 v32, vcc, s4, v6
	v_addc_co_u32_e32 v33, vcc, v28, v7, vcc
	v_lshlrev_b64 v[6:7], 4, v[26:27]
	v_mov_b32_e32 v29, s5
	v_add_co_u32_e32 v30, vcc, s4, v6
	v_add_u32_e32 v8, s7, v26
	v_addc_co_u32_e32 v31, vcc, v29, v7, vcc
	global_load_dwordx4 v[26:29], v[32:33], off
	v_accvgpr_write_b32 a6, v18
	v_accvgpr_write_b32 a7, v19
	global_load_dwordx4 v[18:21], v[18:19], off
	v_accvgpr_write_b32 a12, v32
	v_accvgpr_write_b32 a8, v30
	v_ashrrev_i32_e32 v9, 31, v8
	v_accvgpr_write_b32 a13, v33
	v_accvgpr_write_b32 a9, v31
	global_load_dwordx4 v[30:33], v[30:31], off
	v_lshlrev_b64 v[6:7], 4, v[8:9]
	v_add_co_u32_e32 v34, vcc, s4, v6
	v_addc_co_u32_e32 v35, vcc, v0, v7, vcc
	v_add_u32_e32 v6, s7, v8
	v_accvgpr_write_b32 a14, v34
	v_ashrrev_i32_e32 v7, 31, v6
	v_accvgpr_write_b32 a15, v35
	global_load_dwordx4 v[34:37], v[34:35], off
	v_lshlrev_b64 v[8:9], 4, v[6:7]
	v_add_co_u32_e32 v8, vcc, s4, v8
	v_addc_co_u32_e32 v9, vcc, v0, v9, vcc
	v_add_u32_e32 v6, s7, v6
	v_accvgpr_write_b32 a17, v9
	global_load_dwordx4 v[38:41], v[8:9], off
	v_ashrrev_i32_e32 v7, 31, v6
	v_accvgpr_write_b32 a16, v8
	v_lshlrev_b64 v[8:9], 4, v[6:7]
	v_add_co_u32_e32 v8, vcc, s4, v8
	v_add_u32_e32 v46, s7, v6
	v_addc_co_u32_e32 v9, vcc, v0, v9, vcc
	v_ashrrev_i32_e32 v47, 31, v46
	v_lshlrev_b64 v[6:7], 4, v[46:47]
	global_load_dwordx4 v[42:45], v[8:9], off
	v_add_co_u32_e32 v6, vcc, s4, v6
	v_addc_co_u32_e32 v7, vcc, v0, v7, vcc
	v_accvgpr_write_b32 a19, v9
	v_accvgpr_write_b32 a21, v7
	v_accvgpr_write_b32 a18, v8
	v_accvgpr_write_b32 a20, v6
	global_load_dwordx4 v[6:9], v[6:7], off
	s_waitcnt vmcnt(10)
	buffer_store_dword v5, off, s[0:3], 0 offset:28
	buffer_store_dword v4, off, s[0:3], 0 offset:24
	buffer_store_dword v3, off, s[0:3], 0 offset:20
	buffer_store_dword v2, off, s[0:3], 0 offset:16
	s_waitcnt vmcnt(13)
	buffer_store_dword v13, off, s[0:3], 0 offset:44
	buffer_store_dword v12, off, s[0:3], 0 offset:40
	buffer_store_dword v11, off, s[0:3], 0 offset:36
	buffer_store_dword v10, off, s[0:3], 0 offset:32
	;; [unrolled: 5-line block ×4, first 2 shown]
	v_add_u32_e32 v2, s7, v46
	v_ashrrev_i32_e32 v3, 31, v2
	v_lshlrev_b64 v[4:5], 4, v[2:3]
	v_add_co_u32_e32 v10, vcc, s4, v4
	v_addc_co_u32_e32 v11, vcc, v0, v5, vcc
	v_add_u32_e32 v2, s7, v2
	buffer_store_dword v25, off, s[0:3], 0 offset:92
	buffer_store_dword v24, off, s[0:3], 0 offset:88
	;; [unrolled: 1-line block ×8, first 2 shown]
	v_ashrrev_i32_e32 v3, 31, v2
	v_accvgpr_write_b32 a23, v11
	v_lshlrev_b64 v[4:5], 4, v[2:3]
	v_accvgpr_write_b32 a22, v10
	global_load_dwordx4 v[10:13], v[10:11], off
	v_add_co_u32_e32 v4, vcc, s4, v4
	v_addc_co_u32_e32 v5, vcc, v0, v5, vcc
	global_load_dwordx4 v[14:17], v[4:5], off
	v_add_u32_e32 v2, s7, v2
	v_accvgpr_write_b32 a25, v5
	v_ashrrev_i32_e32 v3, 31, v2
	v_accvgpr_write_b32 a24, v4
	v_lshlrev_b64 v[4:5], 4, v[2:3]
	v_add_co_u32_e32 v18, vcc, s4, v4
	v_addc_co_u32_e32 v19, vcc, v0, v5, vcc
	v_add_u32_e32 v2, s7, v2
	s_waitcnt vmcnt(30)
	buffer_store_dword v33, off, s[0:3], 0 offset:124
	buffer_store_dword v32, off, s[0:3], 0 offset:120
	buffer_store_dword v31, off, s[0:3], 0 offset:116
	buffer_store_dword v30, off, s[0:3], 0 offset:112
	s_waitcnt vmcnt(33)
	buffer_store_dword v37, off, s[0:3], 0 offset:140
	buffer_store_dword v36, off, s[0:3], 0 offset:136
	buffer_store_dword v35, off, s[0:3], 0 offset:132
	buffer_store_dword v34, off, s[0:3], 0 offset:128
	;; [unrolled: 5-line block ×4, first 2 shown]
	s_waitcnt vmcnt(42)
	buffer_store_dword v6, off, s[0:3], 0 offset:176
	v_ashrrev_i32_e32 v3, 31, v2
	v_accvgpr_write_b32 a27, v19
	v_lshlrev_b64 v[4:5], 4, v[2:3]
	v_accvgpr_write_b32 a26, v18
	global_load_dwordx4 v[18:21], v[18:19], off
	v_add_co_u32_e32 v4, vcc, s4, v4
	v_addc_co_u32_e32 v5, vcc, v0, v5, vcc
	v_add_u32_e32 v2, s7, v2
	v_accvgpr_write_b32 a29, v5
	v_ashrrev_i32_e32 v3, 31, v2
	v_accvgpr_write_b32 a28, v4
	global_load_dwordx4 v[22:25], v[4:5], off
	v_lshlrev_b64 v[4:5], 4, v[2:3]
	v_add_co_u32_e32 v26, vcc, s4, v4
	v_addc_co_u32_e32 v27, vcc, v0, v5, vcc
	v_add_u32_e32 v2, s7, v2
	v_accvgpr_write_b32 a31, v27
	v_ashrrev_i32_e32 v3, 31, v2
	v_accvgpr_write_b32 a30, v26
	global_load_dwordx4 v[26:29], v[26:27], off
	v_lshlrev_b64 v[4:5], 4, v[2:3]
	v_add_co_u32_e32 v4, vcc, s4, v4
	v_addc_co_u32_e32 v5, vcc, v0, v5, vcc
	global_load_dwordx4 v[30:33], v[4:5], off
	v_add_u32_e32 v2, s7, v2
	v_accvgpr_write_b32 a33, v5
	v_ashrrev_i32_e32 v3, 31, v2
	v_accvgpr_write_b32 a32, v4
	v_lshlrev_b64 v[4:5], 4, v[2:3]
	v_add_co_u32_e32 v34, vcc, s4, v4
	v_addc_co_u32_e32 v35, vcc, v0, v5, vcc
	v_add_u32_e32 v2, s7, v2
	v_accvgpr_write_b32 a34, v34
	v_ashrrev_i32_e32 v3, 31, v2
	v_accvgpr_write_b32 a35, v35
	global_load_dwordx4 v[34:37], v[34:35], off
	v_lshlrev_b64 v[4:5], 4, v[2:3]
	v_add_co_u32_e32 v4, vcc, s4, v4
	v_addc_co_u32_e32 v5, vcc, v0, v5, vcc
	global_load_dwordx4 v[38:41], v[4:5], off
	v_add_u32_e32 v2, s7, v2
	v_accvgpr_write_b32 a37, v5
	v_ashrrev_i32_e32 v3, 31, v2
	v_accvgpr_write_b32 a36, v4
	;; [unrolled: 16-line block ×7, first 2 shown]
	v_lshlrev_b64 v[4:5], 4, v[2:3]
	v_add_co_u32_e32 v4, vcc, s4, v4
	v_add_u32_e32 v86, s7, v2
	v_addc_co_u32_e32 v5, vcc, v0, v5, vcc
	v_ashrrev_i32_e32 v87, 31, v86
	v_lshlrev_b64 v[2:3], 4, v[86:87]
	global_load_dwordx4 v[82:85], v[4:5], off
	v_add_co_u32_e32 v2, vcc, s4, v2
	v_addc_co_u32_e32 v3, vcc, v0, v3, vcc
	v_accvgpr_write_b32 a59, v5
	v_accvgpr_write_b32 a61, v3
	;; [unrolled: 1-line block ×4, first 2 shown]
	global_load_dwordx4 v[2:5], v[2:3], off
	v_add_u32_e32 v6, s7, v86
	buffer_store_dword v7, off, s[0:3], 0 offset:180
	buffer_store_dword v8, off, s[0:3], 0 offset:184
	buffer_store_dword v9, off, s[0:3], 0 offset:188
	s_waitcnt vmcnt(39)
	buffer_store_dword v10, off, s[0:3], 0 offset:192
	buffer_store_dword v11, off, s[0:3], 0 offset:196
	buffer_store_dword v12, off, s[0:3], 0 offset:200
	buffer_store_dword v13, off, s[0:3], 0 offset:204
	s_waitcnt vmcnt(42)
	buffer_store_dword v17, off, s[0:3], 0 offset:220
	;; [unrolled: 5-line block ×15, first 2 shown]
	buffer_store_dword v68, off, s[0:3], 0 offset:424
	buffer_store_dword v67, off, s[0:3], 0 offset:420
	;; [unrolled: 1-line block ×11, first 2 shown]
	s_waitcnt vmcnt(62)
	buffer_store_dword v81, off, s[0:3], 0 offset:476
	buffer_store_dword v80, off, s[0:3], 0 offset:472
	;; [unrolled: 1-line block ×9, first 2 shown]
	v_ashrrev_i32_e32 v7, 31, v6
	v_lshlrev_b64 v[8:9], 4, v[6:7]
	v_add_u32_e32 v14, s7, v6
	v_add_co_u32_e32 v8, vcc, s4, v8
	v_ashrrev_i32_e32 v15, 31, v14
	v_addc_co_u32_e32 v9, vcc, v0, v9, vcc
	v_lshlrev_b64 v[6:7], 4, v[14:15]
	v_add_co_u32_e32 v10, vcc, s4, v6
	v_accvgpr_write_b32 a65, v9
	v_addc_co_u32_e32 v11, vcc, v0, v7, vcc
	v_accvgpr_write_b32 a64, v8
	global_load_dwordx4 v[6:9], v[8:9], off
	v_add_u32_e32 v14, s7, v14
	v_accvgpr_write_b32 a67, v11
	v_ashrrev_i32_e32 v15, 31, v14
	v_accvgpr_write_b32 a66, v10
	global_load_dwordx4 v[10:13], v[10:11], off
	v_lshlrev_b64 v[16:17], 4, v[14:15]
	v_add_u32_e32 v22, s7, v14
	v_add_co_u32_e32 v16, vcc, s4, v16
	v_ashrrev_i32_e32 v23, 31, v22
	v_addc_co_u32_e32 v17, vcc, v0, v17, vcc
	v_lshlrev_b64 v[14:15], 4, v[22:23]
	v_add_co_u32_e32 v18, vcc, s4, v14
	v_accvgpr_write_b32 a69, v17
	v_addc_co_u32_e32 v19, vcc, v0, v15, vcc
	v_accvgpr_write_b32 a68, v16
	global_load_dwordx4 v[14:17], v[16:17], off
	v_add_u32_e32 v22, s7, v22
	v_accvgpr_write_b32 a71, v19
	v_ashrrev_i32_e32 v23, 31, v22
	v_accvgpr_write_b32 a70, v18
	global_load_dwordx4 v[18:21], v[18:19], off
	;; [unrolled: 16-line block ×9, first 2 shown]
	v_lshlrev_b64 v[80:81], 4, v[78:79]
	v_add_co_u32_e32 v80, vcc, s4, v80
	v_addc_co_u32_e32 v81, vcc, v0, v81, vcc
	v_add_u32_e32 v78, s7, v78
	v_ashrrev_i32_e32 v79, 31, v78
	v_accvgpr_write_b32 a101, v81
	v_lshlrev_b64 v[82:83], 4, v[78:79]
	v_accvgpr_write_b32 a100, v80
	global_load_dwordx4 v[78:81], v[80:81], off
	v_add_co_u32_e32 v82, vcc, s4, v82
	v_addc_co_u32_e32 v83, vcc, v0, v83, vcc
	v_accvgpr_write_b32 a62, v82
	v_accvgpr_write_b32 a63, v83
	global_load_dwordx4 v[82:85], v[82:83], off
	v_mov_b32_e32 v0, 16
	buffer_store_dword v4, off, s[0:3], 0 offset:504
	buffer_store_dword v3, off, s[0:3], 0 offset:500
	buffer_store_dword v2, off, s[0:3], 0 offset:496
	s_waitcnt vmcnt(22)
	buffer_store_dword v9, off, s[0:3], 0 offset:524
	buffer_store_dword v8, off, s[0:3], 0 offset:520
	buffer_store_dword v7, off, s[0:3], 0 offset:516
	buffer_store_dword v6, off, s[0:3], 0 offset:512
	s_waitcnt vmcnt(25)
	buffer_store_dword v13, off, s[0:3], 0 offset:540
	;; [unrolled: 5-line block ×15, first 2 shown]
	buffer_store_dword v64, off, s[0:3], 0 offset:744
	buffer_store_dword v63, off, s[0:3], 0 offset:740
	;; [unrolled: 1-line block ×11, first 2 shown]
	s_waitcnt vmcnt(62)
	buffer_store_dword v77, off, s[0:3], 0 offset:796
	buffer_store_dword v76, off, s[0:3], 0 offset:792
	;; [unrolled: 1-line block ×12, first 2 shown]
	v_add_u32_e32 v2, 16, v0
	v_accvgpr_write_b32 a151, v2
	v_add_u32_e32 v2, 32, v0
	v_accvgpr_write_b32 a150, v2
	;; [unrolled: 2-line block ×48, first 2 shown]
	v_add_u32_e32 v2, 0x310, v0
	v_add_u32_e32 v0, 0x320, v0
	v_accvgpr_write_b32 a103, v2
	v_accvgpr_write_b32 a102, v0
	s_bitcmp0_b32 s22, 0
	s_mov_b64 s[6:7], -1
	s_cbranch_scc1 .LBB50_216
; %bb.4:
	v_cmp_eq_u32_e64 s[4:5], 0, v254
	s_and_saveexec_b64 s[6:7], s[4:5]
	s_cbranch_execz .LBB50_6
; %bb.5:
	v_mov_b32_e32 v0, 0
	ds_write_b32 v0, v0 offset:1632
.LBB50_6:
	s_or_b64 exec, exec, s[6:7]
	v_mov_b32_e32 v0, 16
	v_lshl_add_u32 v12, v254, 4, v0
	s_waitcnt lgkmcnt(0)
	; wave barrier
	s_waitcnt lgkmcnt(0)
	buffer_load_dword v2, v12, s[0:3], 0 offen
	buffer_load_dword v3, v12, s[0:3], 0 offen offset:4
	buffer_load_dword v4, v12, s[0:3], 0 offen offset:8
	buffer_load_dword v5, v12, s[0:3], 0 offen offset:12
	s_waitcnt vmcnt(2)
	v_cmp_eq_f64_e32 vcc, 0, v[2:3]
	s_waitcnt vmcnt(0)
	v_cmp_eq_f64_e64 s[6:7], 0, v[4:5]
	s_and_b64 s[6:7], vcc, s[6:7]
	s_and_saveexec_b64 s[12:13], s[6:7]
	s_cbranch_execz .LBB50_10
; %bb.7:
	v_mov_b32_e32 v2, 0
	ds_read_b32 v0, v2 offset:1632
	v_add_u32_e32 v3, 1, v254
	s_waitcnt lgkmcnt(0)
	v_readfirstlane_b32 s6, v0
	s_cmp_eq_u32 s6, 0
	s_cselect_b64 s[16:17], -1, 0
	v_cmp_gt_i32_e32 vcc, s6, v3
	s_or_b64 s[16:17], s[16:17], vcc
	s_and_b64 exec, exec, s[16:17]
	s_cbranch_execz .LBB50_10
; %bb.8:
	s_mov_b64 s[16:17], 0
	v_mov_b32_e32 v4, s6
.LBB50_9:                               ; =>This Inner Loop Header: Depth=1
	ds_cmpst_rtn_b32 v4, v2, v4, v3 offset:1632
	s_waitcnt lgkmcnt(0)
	v_cmp_ne_u32_e32 vcc, 0, v4
	v_cmp_le_i32_e64 s[6:7], v4, v3
	s_and_b64 s[6:7], vcc, s[6:7]
	s_and_b64 s[6:7], exec, s[6:7]
	s_or_b64 s[16:17], s[6:7], s[16:17]
	s_andn2_b64 exec, exec, s[16:17]
	s_cbranch_execnz .LBB50_9
.LBB50_10:
	s_or_b64 exec, exec, s[12:13]
	v_mov_b32_e32 v3, 0
	s_waitcnt lgkmcnt(0)
	; wave barrier
	ds_read_b32 v2, v3 offset:1632
	s_and_saveexec_b64 s[6:7], s[4:5]
	s_cbranch_execz .LBB50_12
; %bb.11:
	s_lshl_b64 s[12:13], s[8:9], 2
	s_add_u32 s12, s14, s12
	s_addc_u32 s13, s15, s13
	s_waitcnt lgkmcnt(0)
	global_store_dword v3, v2, s[12:13]
.LBB50_12:
	s_or_b64 exec, exec, s[6:7]
	s_waitcnt lgkmcnt(0)
	v_cmp_ne_u32_e32 vcc, 0, v2
	s_mov_b64 s[6:7], 0
	s_cbranch_vccnz .LBB50_216
; %bb.13:
	buffer_load_dword v7, v12, s[0:3], 0 offen offset:4
	buffer_load_dword v6, v12, s[0:3], 0 offen
	buffer_load_dword v9, v12, s[0:3], 0 offen offset:12
	buffer_load_dword v8, v12, s[0:3], 0 offen offset:8
                                        ; implicit-def: $vgpr10_vgpr11
	s_waitcnt vmcnt(3)
	v_xor_b32_e32 v0, 0x80000000, v7
	s_waitcnt vmcnt(2)
	v_cmp_gt_f64_e32 vcc, 0, v[6:7]
	s_waitcnt vmcnt(1)
	v_xor_b32_e32 v4, 0x80000000, v9
	v_cndmask_b32_e32 v3, v7, v0, vcc
	s_waitcnt vmcnt(0)
	v_cmp_gt_f64_e32 vcc, 0, v[8:9]
	v_mov_b32_e32 v2, v6
	v_cndmask_b32_e32 v5, v9, v4, vcc
	v_mov_b32_e32 v4, v8
	v_cmp_ngt_f64_e32 vcc, v[2:3], v[4:5]
                                        ; implicit-def: $vgpr4_vgpr5
	s_and_saveexec_b64 s[6:7], vcc
	s_xor_b64 s[6:7], exec, s[6:7]
	s_cbranch_execz .LBB50_15
; %bb.14:
	v_div_scale_f64 v[2:3], s[12:13], v[8:9], v[8:9], v[6:7]
	v_rcp_f64_e32 v[4:5], v[2:3]
	v_div_scale_f64 v[10:11], vcc, v[6:7], v[8:9], v[6:7]
	v_fma_f64 v[14:15], -v[2:3], v[4:5], 1.0
	v_fmac_f64_e32 v[4:5], v[4:5], v[14:15]
	v_fma_f64 v[14:15], -v[2:3], v[4:5], 1.0
	v_fmac_f64_e32 v[4:5], v[4:5], v[14:15]
	v_mul_f64 v[14:15], v[10:11], v[4:5]
	v_fma_f64 v[2:3], -v[2:3], v[14:15], v[10:11]
	v_div_fmas_f64 v[2:3], v[2:3], v[4:5], v[14:15]
	v_div_fixup_f64 v[2:3], v[2:3], v[8:9], v[6:7]
	v_fmac_f64_e32 v[8:9], v[6:7], v[2:3]
	v_div_scale_f64 v[4:5], s[12:13], v[8:9], v[8:9], 1.0
	v_rcp_f64_e32 v[6:7], v[4:5]
	v_fma_f64 v[10:11], -v[4:5], v[6:7], 1.0
	v_fmac_f64_e32 v[6:7], v[6:7], v[10:11]
	v_fma_f64 v[10:11], -v[4:5], v[6:7], 1.0
	v_fmac_f64_e32 v[6:7], v[6:7], v[10:11]
	v_div_scale_f64 v[10:11], vcc, 1.0, v[8:9], 1.0
	v_mul_f64 v[14:15], v[10:11], v[6:7]
	v_fma_f64 v[4:5], -v[4:5], v[14:15], v[10:11]
	s_nop 1
	v_div_fmas_f64 v[4:5], v[4:5], v[6:7], v[14:15]
	v_div_fixup_f64 v[4:5], v[4:5], v[8:9], 1.0
	v_mul_f64 v[10:11], v[2:3], v[4:5]
	v_xor_b32_e32 v5, 0x80000000, v5
	v_xor_b32_e32 v3, 0x80000000, v11
	v_mov_b32_e32 v2, v10
                                        ; implicit-def: $vgpr6_vgpr7
                                        ; implicit-def: $vgpr8_vgpr9
.LBB50_15:
	s_andn2_saveexec_b64 s[6:7], s[6:7]
	s_cbranch_execz .LBB50_17
; %bb.16:
	v_div_scale_f64 v[2:3], s[12:13], v[6:7], v[6:7], v[8:9]
	v_rcp_f64_e32 v[4:5], v[2:3]
	v_div_scale_f64 v[10:11], vcc, v[8:9], v[6:7], v[8:9]
	v_fma_f64 v[14:15], -v[2:3], v[4:5], 1.0
	v_fmac_f64_e32 v[4:5], v[4:5], v[14:15]
	v_fma_f64 v[14:15], -v[2:3], v[4:5], 1.0
	v_fmac_f64_e32 v[4:5], v[4:5], v[14:15]
	v_mul_f64 v[14:15], v[10:11], v[4:5]
	v_fma_f64 v[2:3], -v[2:3], v[14:15], v[10:11]
	v_div_fmas_f64 v[2:3], v[2:3], v[4:5], v[14:15]
	v_div_fixup_f64 v[4:5], v[2:3], v[6:7], v[8:9]
	v_fmac_f64_e32 v[6:7], v[8:9], v[4:5]
	v_div_scale_f64 v[2:3], s[12:13], v[6:7], v[6:7], 1.0
	v_rcp_f64_e32 v[8:9], v[2:3]
	v_fma_f64 v[10:11], -v[2:3], v[8:9], 1.0
	v_fmac_f64_e32 v[8:9], v[8:9], v[10:11]
	v_fma_f64 v[10:11], -v[2:3], v[8:9], 1.0
	v_fmac_f64_e32 v[8:9], v[8:9], v[10:11]
	v_div_scale_f64 v[10:11], vcc, 1.0, v[6:7], 1.0
	v_mul_f64 v[14:15], v[10:11], v[8:9]
	v_fma_f64 v[2:3], -v[2:3], v[14:15], v[10:11]
	s_nop 1
	v_div_fmas_f64 v[2:3], v[2:3], v[8:9], v[14:15]
	v_div_fixup_f64 v[10:11], v[2:3], v[6:7], 1.0
	v_xor_b32_e32 v3, 0x80000000, v11
	v_mov_b32_e32 v2, v10
	v_mul_f64 v[4:5], v[4:5], -v[10:11]
.LBB50_17:
	s_or_b64 exec, exec, s[6:7]
	buffer_store_dword v11, v12, s[0:3], 0 offen offset:4
	buffer_store_dword v10, v12, s[0:3], 0 offen
	buffer_store_dword v5, v12, s[0:3], 0 offen offset:12
	buffer_store_dword v4, v12, s[0:3], 0 offen offset:8
	v_accvgpr_read_b32 v0, a151
	buffer_load_dword v11, v0, s[0:3], 0 offen offset:12
	buffer_load_dword v10, v0, s[0:3], 0 offen offset:8
	;; [unrolled: 1-line block ×3, first 2 shown]
	buffer_load_dword v8, v0, s[0:3], 0 offen
	v_xor_b32_e32 v5, 0x80000000, v5
	v_add_u32_e32 v6, 0x330, v1
	ds_write_b128 v1, v[2:5]
	s_waitcnt vmcnt(0)
	ds_write_b128 v1, v[8:11] offset:816
	s_waitcnt lgkmcnt(0)
	; wave barrier
	s_waitcnt lgkmcnt(0)
	s_and_saveexec_b64 s[6:7], s[4:5]
	s_cbranch_execz .LBB50_19
; %bb.18:
	buffer_load_dword v14, v12, s[0:3], 0 offen offset:8
	buffer_load_dword v15, v12, s[0:3], 0 offen offset:12
	buffer_load_dword v16, v12, s[0:3], 0 offen
	buffer_load_dword v17, v12, s[0:3], 0 offen offset:4
	ds_read_b128 v[2:5], v6
	v_mov_b32_e32 v0, 0
	ds_read_b128 v[8:11], v0 offset:16
	s_waitcnt vmcnt(2) lgkmcnt(1)
	v_mul_f64 v[18:19], v[4:5], v[14:15]
	v_mul_f64 v[14:15], v[2:3], v[14:15]
	s_waitcnt vmcnt(0)
	v_fmac_f64_e32 v[14:15], v[4:5], v[16:17]
	v_fma_f64 v[2:3], v[2:3], v[16:17], -v[18:19]
	v_add_f64 v[4:5], v[14:15], 0
	v_add_f64 v[2:3], v[2:3], 0
	s_waitcnt lgkmcnt(0)
	v_mul_f64 v[14:15], v[4:5], v[10:11]
	v_mul_f64 v[10:11], v[2:3], v[10:11]
	v_fma_f64 v[2:3], v[2:3], v[8:9], -v[14:15]
	v_fmac_f64_e32 v[10:11], v[4:5], v[8:9]
	buffer_store_dword v2, off, s[0:3], 0 offset:32
	buffer_store_dword v3, off, s[0:3], 0 offset:36
	;; [unrolled: 1-line block ×4, first 2 shown]
.LBB50_19:
	s_or_b64 exec, exec, s[6:7]
	v_accvgpr_read_b32 v0, a150
	s_waitcnt lgkmcnt(0)
	; wave barrier
	buffer_load_dword v2, v0, s[0:3], 0 offen
	buffer_load_dword v3, v0, s[0:3], 0 offen offset:4
	buffer_load_dword v4, v0, s[0:3], 0 offen offset:8
	;; [unrolled: 1-line block ×3, first 2 shown]
	v_cmp_gt_u32_e32 vcc, 2, v254
	s_waitcnt vmcnt(0)
	ds_write_b128 v6, v[2:5]
	s_waitcnt lgkmcnt(0)
	; wave barrier
	s_waitcnt lgkmcnt(0)
	s_and_saveexec_b64 s[6:7], vcc
	s_cbranch_execz .LBB50_23
; %bb.20:
	buffer_load_dword v8, v12, s[0:3], 0 offen offset:8
	buffer_load_dword v9, v12, s[0:3], 0 offen offset:12
	buffer_load_dword v10, v12, s[0:3], 0 offen
	buffer_load_dword v11, v12, s[0:3], 0 offen offset:4
	ds_read_b128 v[2:5], v6
	s_waitcnt vmcnt(2) lgkmcnt(0)
	v_mul_f64 v[12:13], v[4:5], v[8:9]
	v_mul_f64 v[8:9], v[2:3], v[8:9]
	s_waitcnt vmcnt(0)
	v_fma_f64 v[2:3], v[2:3], v[10:11], -v[12:13]
	v_fmac_f64_e32 v[8:9], v[4:5], v[10:11]
	v_add_f64 v[4:5], v[2:3], 0
	v_add_f64 v[2:3], v[8:9], 0
	s_and_saveexec_b64 s[12:13], s[4:5]
	s_cbranch_execz .LBB50_22
; %bb.21:
	buffer_load_dword v12, off, s[0:3], 0 offset:40
	buffer_load_dword v13, off, s[0:3], 0 offset:44
	;; [unrolled: 1-line block ×4, first 2 shown]
	v_mov_b32_e32 v0, 0
	ds_read_b128 v[8:11], v0 offset:832
	s_waitcnt vmcnt(2) lgkmcnt(0)
	v_mul_f64 v[16:17], v[8:9], v[12:13]
	v_mul_f64 v[12:13], v[10:11], v[12:13]
	s_waitcnt vmcnt(0)
	v_fmac_f64_e32 v[16:17], v[10:11], v[14:15]
	v_fma_f64 v[8:9], v[8:9], v[14:15], -v[12:13]
	v_add_f64 v[2:3], v[2:3], v[16:17]
	v_add_f64 v[4:5], v[4:5], v[8:9]
.LBB50_22:
	s_or_b64 exec, exec, s[12:13]
	v_mov_b32_e32 v0, 0
	ds_read_b128 v[8:11], v0 offset:32
	s_waitcnt lgkmcnt(0)
	v_mul_f64 v[12:13], v[2:3], v[10:11]
	v_mul_f64 v[10:11], v[4:5], v[10:11]
	v_fma_f64 v[4:5], v[4:5], v[8:9], -v[12:13]
	v_fmac_f64_e32 v[10:11], v[2:3], v[8:9]
	buffer_store_dword v5, off, s[0:3], 0 offset:52
	buffer_store_dword v4, off, s[0:3], 0 offset:48
	;; [unrolled: 1-line block ×4, first 2 shown]
.LBB50_23:
	s_or_b64 exec, exec, s[6:7]
	v_accvgpr_read_b32 v0, a149
	s_waitcnt lgkmcnt(0)
	; wave barrier
	buffer_load_dword v2, v0, s[0:3], 0 offen
	buffer_load_dword v3, v0, s[0:3], 0 offen offset:4
	buffer_load_dword v4, v0, s[0:3], 0 offen offset:8
	;; [unrolled: 1-line block ×3, first 2 shown]
	v_cmp_gt_u32_e32 vcc, 3, v254
	v_add_u32_e32 v7, -1, v254
	s_waitcnt vmcnt(0)
	ds_write_b128 v6, v[2:5]
	s_waitcnt lgkmcnt(0)
	; wave barrier
	s_waitcnt lgkmcnt(0)
	s_and_saveexec_b64 s[4:5], vcc
	s_cbranch_execz .LBB50_27
; %bb.24:
	v_pk_mov_b32 v[2:3], 0, 0
	v_add_u32_e32 v8, -1, v254
	v_add_u32_e32 v9, 0x330, v1
	v_add_u32_e32 v10, 16, v1
	s_mov_b64 s[6:7], 0
	v_pk_mov_b32 v[4:5], v[2:3], v[2:3] op_sel:[0,1]
.LBB50_25:                              ; =>This Inner Loop Header: Depth=1
	buffer_load_dword v16, v10, s[0:3], 0 offen offset:8
	buffer_load_dword v17, v10, s[0:3], 0 offen offset:12
	buffer_load_dword v18, v10, s[0:3], 0 offen
	buffer_load_dword v19, v10, s[0:3], 0 offen offset:4
	ds_read_b128 v[12:15], v9
	v_add_u32_e32 v8, 1, v8
	v_cmp_lt_u32_e32 vcc, 1, v8
	v_add_u32_e32 v9, 16, v9
	v_add_u32_e32 v10, 16, v10
	s_or_b64 s[6:7], vcc, s[6:7]
	s_waitcnt vmcnt(2) lgkmcnt(0)
	v_mul_f64 v[20:21], v[14:15], v[16:17]
	v_mul_f64 v[16:17], v[12:13], v[16:17]
	s_waitcnt vmcnt(0)
	v_fma_f64 v[12:13], v[12:13], v[18:19], -v[20:21]
	v_fmac_f64_e32 v[16:17], v[14:15], v[18:19]
	v_add_f64 v[4:5], v[4:5], v[12:13]
	v_add_f64 v[2:3], v[2:3], v[16:17]
	s_andn2_b64 exec, exec, s[6:7]
	s_cbranch_execnz .LBB50_25
; %bb.26:
	s_or_b64 exec, exec, s[6:7]
	v_mov_b32_e32 v0, 0
	ds_read_b128 v[8:11], v0 offset:48
	s_waitcnt lgkmcnt(0)
	v_mul_f64 v[12:13], v[2:3], v[10:11]
	v_mul_f64 v[10:11], v[4:5], v[10:11]
	v_fma_f64 v[4:5], v[4:5], v[8:9], -v[12:13]
	v_fmac_f64_e32 v[10:11], v[2:3], v[8:9]
	buffer_store_dword v5, off, s[0:3], 0 offset:68
	buffer_store_dword v4, off, s[0:3], 0 offset:64
	buffer_store_dword v11, off, s[0:3], 0 offset:76
	buffer_store_dword v10, off, s[0:3], 0 offset:72
.LBB50_27:
	s_or_b64 exec, exec, s[4:5]
	v_accvgpr_read_b32 v0, a148
	s_waitcnt lgkmcnt(0)
	; wave barrier
	buffer_load_dword v2, v0, s[0:3], 0 offen
	buffer_load_dword v3, v0, s[0:3], 0 offen offset:4
	buffer_load_dword v4, v0, s[0:3], 0 offen offset:8
	buffer_load_dword v5, v0, s[0:3], 0 offen offset:12
	v_cmp_gt_u32_e32 vcc, 4, v254
	s_waitcnt vmcnt(0)
	ds_write_b128 v6, v[2:5]
	s_waitcnt lgkmcnt(0)
	; wave barrier
	s_waitcnt lgkmcnt(0)
	s_and_saveexec_b64 s[4:5], vcc
	s_cbranch_execz .LBB50_31
; %bb.28:
	v_pk_mov_b32 v[2:3], 0, 0
	v_add_u32_e32 v8, -1, v254
	v_add_u32_e32 v9, 0x330, v1
	v_add_u32_e32 v10, 16, v1
	s_mov_b64 s[6:7], 0
	v_pk_mov_b32 v[4:5], v[2:3], v[2:3] op_sel:[0,1]
.LBB50_29:                              ; =>This Inner Loop Header: Depth=1
	buffer_load_dword v16, v10, s[0:3], 0 offen offset:8
	buffer_load_dword v17, v10, s[0:3], 0 offen offset:12
	buffer_load_dword v18, v10, s[0:3], 0 offen
	buffer_load_dword v19, v10, s[0:3], 0 offen offset:4
	ds_read_b128 v[12:15], v9
	v_add_u32_e32 v8, 1, v8
	v_cmp_lt_u32_e32 vcc, 2, v8
	v_add_u32_e32 v9, 16, v9
	v_add_u32_e32 v10, 16, v10
	s_or_b64 s[6:7], vcc, s[6:7]
	s_waitcnt vmcnt(2) lgkmcnt(0)
	v_mul_f64 v[20:21], v[14:15], v[16:17]
	v_mul_f64 v[16:17], v[12:13], v[16:17]
	s_waitcnt vmcnt(0)
	v_fma_f64 v[12:13], v[12:13], v[18:19], -v[20:21]
	v_fmac_f64_e32 v[16:17], v[14:15], v[18:19]
	v_add_f64 v[4:5], v[4:5], v[12:13]
	v_add_f64 v[2:3], v[2:3], v[16:17]
	s_andn2_b64 exec, exec, s[6:7]
	s_cbranch_execnz .LBB50_29
; %bb.30:
	s_or_b64 exec, exec, s[6:7]
	v_mov_b32_e32 v0, 0
	ds_read_b128 v[8:11], v0 offset:64
	s_waitcnt lgkmcnt(0)
	v_mul_f64 v[12:13], v[2:3], v[10:11]
	v_mul_f64 v[10:11], v[4:5], v[10:11]
	v_fma_f64 v[4:5], v[4:5], v[8:9], -v[12:13]
	v_fmac_f64_e32 v[10:11], v[2:3], v[8:9]
	buffer_store_dword v5, off, s[0:3], 0 offset:84
	buffer_store_dword v4, off, s[0:3], 0 offset:80
	buffer_store_dword v11, off, s[0:3], 0 offset:92
	buffer_store_dword v10, off, s[0:3], 0 offset:88
.LBB50_31:
	s_or_b64 exec, exec, s[4:5]
	v_accvgpr_read_b32 v0, a147
	s_waitcnt lgkmcnt(0)
	; wave barrier
	buffer_load_dword v2, v0, s[0:3], 0 offen
	buffer_load_dword v3, v0, s[0:3], 0 offen offset:4
	buffer_load_dword v4, v0, s[0:3], 0 offen offset:8
	buffer_load_dword v5, v0, s[0:3], 0 offen offset:12
	v_cmp_gt_u32_e32 vcc, 5, v254
	;; [unrolled: 58-line block ×19, first 2 shown]
	s_waitcnt vmcnt(0)
	ds_write_b128 v6, v[2:5]
	s_waitcnt lgkmcnt(0)
	; wave barrier
	s_waitcnt lgkmcnt(0)
	s_and_saveexec_b64 s[4:5], vcc
	s_cbranch_execz .LBB50_103
; %bb.100:
	v_pk_mov_b32 v[2:3], 0, 0
	v_add_u32_e32 v8, -1, v254
	v_add_u32_e32 v9, 0x330, v1
	v_add_u32_e32 v10, 16, v1
	s_mov_b64 s[6:7], 0
	v_pk_mov_b32 v[4:5], v[2:3], v[2:3] op_sel:[0,1]
.LBB50_101:                             ; =>This Inner Loop Header: Depth=1
	buffer_load_dword v16, v10, s[0:3], 0 offen offset:8
	buffer_load_dword v17, v10, s[0:3], 0 offen offset:12
	buffer_load_dword v18, v10, s[0:3], 0 offen
	buffer_load_dword v19, v10, s[0:3], 0 offen offset:4
	ds_read_b128 v[12:15], v9
	v_add_u32_e32 v8, 1, v8
	v_cmp_lt_u32_e32 vcc, 20, v8
	v_add_u32_e32 v9, 16, v9
	v_add_u32_e32 v10, 16, v10
	s_or_b64 s[6:7], vcc, s[6:7]
	s_waitcnt vmcnt(2) lgkmcnt(0)
	v_mul_f64 v[20:21], v[14:15], v[16:17]
	v_mul_f64 v[16:17], v[12:13], v[16:17]
	s_waitcnt vmcnt(0)
	v_fma_f64 v[12:13], v[12:13], v[18:19], -v[20:21]
	v_fmac_f64_e32 v[16:17], v[14:15], v[18:19]
	v_add_f64 v[4:5], v[4:5], v[12:13]
	v_add_f64 v[2:3], v[2:3], v[16:17]
	s_andn2_b64 exec, exec, s[6:7]
	s_cbranch_execnz .LBB50_101
; %bb.102:
	s_or_b64 exec, exec, s[6:7]
	v_mov_b32_e32 v0, 0
	ds_read_b128 v[8:11], v0 offset:352
	s_waitcnt lgkmcnt(0)
	v_mul_f64 v[12:13], v[2:3], v[10:11]
	v_mul_f64 v[10:11], v[4:5], v[10:11]
	v_fma_f64 v[4:5], v[4:5], v[8:9], -v[12:13]
	v_fmac_f64_e32 v[10:11], v[2:3], v[8:9]
	buffer_store_dword v5, off, s[0:3], 0 offset:372
	buffer_store_dword v4, off, s[0:3], 0 offset:368
	buffer_store_dword v11, off, s[0:3], 0 offset:380
	buffer_store_dword v10, off, s[0:3], 0 offset:376
.LBB50_103:
	s_or_b64 exec, exec, s[4:5]
	v_accvgpr_read_b32 v0, a129
	s_waitcnt lgkmcnt(0)
	; wave barrier
	buffer_load_dword v2, v0, s[0:3], 0 offen
	buffer_load_dword v3, v0, s[0:3], 0 offen offset:4
	buffer_load_dword v4, v0, s[0:3], 0 offen offset:8
	buffer_load_dword v5, v0, s[0:3], 0 offen offset:12
	v_cmp_gt_u32_e32 vcc, 23, v254
	s_waitcnt vmcnt(0)
	ds_write_b128 v6, v[2:5]
	s_waitcnt lgkmcnt(0)
	; wave barrier
	s_waitcnt lgkmcnt(0)
	s_and_saveexec_b64 s[4:5], vcc
	s_cbranch_execz .LBB50_107
; %bb.104:
	v_pk_mov_b32 v[2:3], 0, 0
	v_add_u32_e32 v8, -1, v254
	v_add_u32_e32 v9, 0x330, v1
	v_add_u32_e32 v10, 16, v1
	s_mov_b64 s[6:7], 0
	v_pk_mov_b32 v[4:5], v[2:3], v[2:3] op_sel:[0,1]
.LBB50_105:                             ; =>This Inner Loop Header: Depth=1
	buffer_load_dword v16, v10, s[0:3], 0 offen offset:8
	buffer_load_dword v17, v10, s[0:3], 0 offen offset:12
	buffer_load_dword v18, v10, s[0:3], 0 offen
	buffer_load_dword v19, v10, s[0:3], 0 offen offset:4
	ds_read_b128 v[12:15], v9
	v_add_u32_e32 v8, 1, v8
	v_cmp_lt_u32_e32 vcc, 21, v8
	v_add_u32_e32 v9, 16, v9
	v_add_u32_e32 v10, 16, v10
	s_or_b64 s[6:7], vcc, s[6:7]
	s_waitcnt vmcnt(2) lgkmcnt(0)
	v_mul_f64 v[20:21], v[14:15], v[16:17]
	v_mul_f64 v[16:17], v[12:13], v[16:17]
	s_waitcnt vmcnt(0)
	v_fma_f64 v[12:13], v[12:13], v[18:19], -v[20:21]
	v_fmac_f64_e32 v[16:17], v[14:15], v[18:19]
	v_add_f64 v[4:5], v[4:5], v[12:13]
	v_add_f64 v[2:3], v[2:3], v[16:17]
	s_andn2_b64 exec, exec, s[6:7]
	s_cbranch_execnz .LBB50_105
; %bb.106:
	s_or_b64 exec, exec, s[6:7]
	v_mov_b32_e32 v0, 0
	ds_read_b128 v[8:11], v0 offset:368
	s_waitcnt lgkmcnt(0)
	v_mul_f64 v[12:13], v[2:3], v[10:11]
	v_mul_f64 v[10:11], v[4:5], v[10:11]
	v_fma_f64 v[4:5], v[4:5], v[8:9], -v[12:13]
	v_fmac_f64_e32 v[10:11], v[2:3], v[8:9]
	buffer_store_dword v5, off, s[0:3], 0 offset:388
	buffer_store_dword v4, off, s[0:3], 0 offset:384
	buffer_store_dword v11, off, s[0:3], 0 offset:396
	buffer_store_dword v10, off, s[0:3], 0 offset:392
.LBB50_107:
	s_or_b64 exec, exec, s[4:5]
	v_accvgpr_read_b32 v0, a128
	s_waitcnt lgkmcnt(0)
	; wave barrier
	buffer_load_dword v2, v0, s[0:3], 0 offen
	buffer_load_dword v3, v0, s[0:3], 0 offen offset:4
	buffer_load_dword v4, v0, s[0:3], 0 offen offset:8
	buffer_load_dword v5, v0, s[0:3], 0 offen offset:12
	v_cmp_gt_u32_e32 vcc, 24, v254
	;; [unrolled: 58-line block ×27, first 2 shown]
	s_waitcnt vmcnt(0)
	ds_write_b128 v6, v[2:5]
	s_waitcnt lgkmcnt(0)
	; wave barrier
	s_waitcnt lgkmcnt(0)
	s_and_saveexec_b64 s[4:5], vcc
	s_cbranch_execz .LBB50_211
; %bb.208:
	v_pk_mov_b32 v[2:3], 0, 0
	v_add_u32_e32 v8, -1, v254
	v_add_u32_e32 v9, 0x330, v1
	v_add_u32_e32 v10, 16, v1
	s_mov_b64 s[6:7], 0
	v_pk_mov_b32 v[4:5], v[2:3], v[2:3] op_sel:[0,1]
.LBB50_209:                             ; =>This Inner Loop Header: Depth=1
	buffer_load_dword v16, v10, s[0:3], 0 offen offset:8
	buffer_load_dword v17, v10, s[0:3], 0 offen offset:12
	buffer_load_dword v18, v10, s[0:3], 0 offen
	buffer_load_dword v19, v10, s[0:3], 0 offen offset:4
	ds_read_b128 v[12:15], v9
	v_add_u32_e32 v8, 1, v8
	v_cmp_lt_u32_e32 vcc, 47, v8
	v_add_u32_e32 v9, 16, v9
	v_add_u32_e32 v10, 16, v10
	s_or_b64 s[6:7], vcc, s[6:7]
	s_waitcnt vmcnt(2) lgkmcnt(0)
	v_mul_f64 v[20:21], v[14:15], v[16:17]
	v_mul_f64 v[16:17], v[12:13], v[16:17]
	s_waitcnt vmcnt(0)
	v_fma_f64 v[12:13], v[12:13], v[18:19], -v[20:21]
	v_fmac_f64_e32 v[16:17], v[14:15], v[18:19]
	v_add_f64 v[4:5], v[4:5], v[12:13]
	v_add_f64 v[2:3], v[2:3], v[16:17]
	s_andn2_b64 exec, exec, s[6:7]
	s_cbranch_execnz .LBB50_209
; %bb.210:
	s_or_b64 exec, exec, s[6:7]
	v_mov_b32_e32 v0, 0
	ds_read_b128 v[8:11], v0 offset:784
	s_waitcnt lgkmcnt(0)
	v_mul_f64 v[12:13], v[2:3], v[10:11]
	v_mul_f64 v[10:11], v[4:5], v[10:11]
	v_fma_f64 v[4:5], v[4:5], v[8:9], -v[12:13]
	v_fmac_f64_e32 v[10:11], v[2:3], v[8:9]
	buffer_store_dword v5, off, s[0:3], 0 offset:804
	buffer_store_dword v4, off, s[0:3], 0 offset:800
	;; [unrolled: 1-line block ×4, first 2 shown]
.LBB50_211:
	s_or_b64 exec, exec, s[4:5]
	v_accvgpr_read_b32 v0, a102
	s_waitcnt lgkmcnt(0)
	; wave barrier
	buffer_load_dword v2, v0, s[0:3], 0 offen
	buffer_load_dword v3, v0, s[0:3], 0 offen offset:4
	buffer_load_dword v4, v0, s[0:3], 0 offen offset:8
	;; [unrolled: 1-line block ×3, first 2 shown]
	v_cmp_ne_u32_e32 vcc, 50, v254
	s_waitcnt vmcnt(0)
	ds_write_b128 v6, v[2:5]
	s_waitcnt lgkmcnt(0)
	; wave barrier
	s_waitcnt lgkmcnt(0)
	s_and_saveexec_b64 s[4:5], vcc
	s_cbranch_execz .LBB50_215
; %bb.212:
	v_pk_mov_b32 v[2:3], 0, 0
	v_add_u32_e32 v6, 0x330, v1
	v_add_u32_e32 v1, 16, v1
	s_mov_b64 s[6:7], 0
	v_pk_mov_b32 v[4:5], v[2:3], v[2:3] op_sel:[0,1]
.LBB50_213:                             ; =>This Inner Loop Header: Depth=1
	buffer_load_dword v12, v1, s[0:3], 0 offen offset:8
	buffer_load_dword v13, v1, s[0:3], 0 offen offset:12
	buffer_load_dword v14, v1, s[0:3], 0 offen
	buffer_load_dword v15, v1, s[0:3], 0 offen offset:4
	ds_read_b128 v[8:11], v6
	v_add_u32_e32 v7, 1, v7
	v_cmp_lt_u32_e32 vcc, 48, v7
	v_add_u32_e32 v6, 16, v6
	v_add_u32_e32 v1, 16, v1
	s_or_b64 s[6:7], vcc, s[6:7]
	s_waitcnt vmcnt(2) lgkmcnt(0)
	v_mul_f64 v[16:17], v[10:11], v[12:13]
	v_mul_f64 v[12:13], v[8:9], v[12:13]
	s_waitcnt vmcnt(0)
	v_fma_f64 v[8:9], v[8:9], v[14:15], -v[16:17]
	v_fmac_f64_e32 v[12:13], v[10:11], v[14:15]
	v_add_f64 v[4:5], v[4:5], v[8:9]
	v_add_f64 v[2:3], v[2:3], v[12:13]
	s_andn2_b64 exec, exec, s[6:7]
	s_cbranch_execnz .LBB50_213
; %bb.214:
	s_or_b64 exec, exec, s[6:7]
	v_mov_b32_e32 v0, 0
	ds_read_b128 v[6:9], v0 offset:800
	s_waitcnt lgkmcnt(0)
	v_mul_f64 v[10:11], v[2:3], v[8:9]
	v_mul_f64 v[8:9], v[4:5], v[8:9]
	v_fma_f64 v[4:5], v[4:5], v[6:7], -v[10:11]
	v_fmac_f64_e32 v[8:9], v[2:3], v[6:7]
	buffer_store_dword v5, off, s[0:3], 0 offset:820
	buffer_store_dword v4, off, s[0:3], 0 offset:816
	;; [unrolled: 1-line block ×4, first 2 shown]
.LBB50_215:
	s_or_b64 exec, exec, s[4:5]
	s_mov_b64 s[6:7], -1
	s_waitcnt lgkmcnt(0)
	; wave barrier
.LBB50_216:
	s_and_b64 vcc, exec, s[6:7]
	s_cbranch_vccz .LBB50_218
; %bb.217:
	s_lshl_b64 s[4:5], s[8:9], 2
	s_add_u32 s4, s14, s4
	s_addc_u32 s5, s15, s5
	v_mov_b32_e32 v0, 0
	global_load_dword v0, v0, s[4:5]
	s_waitcnt vmcnt(0)
	v_cmp_ne_u32_e32 vcc, 0, v0
	s_cbranch_vccz .LBB50_219
.LBB50_218:
	s_endpgm
.LBB50_219:
	v_mov_b32_e32 v0, 0x330
	v_lshl_add_u32 v0, v254, 4, v0
	v_accvgpr_write_b32 a153, v0
	v_cmp_eq_u32_e32 vcc, 50, v254
	s_and_saveexec_b64 s[4:5], vcc
	s_cbranch_execz .LBB50_221
; %bb.220:
	v_accvgpr_read_b32 v0, a103
	buffer_load_dword v2, v0, s[0:3], 0 offen
	buffer_load_dword v3, v0, s[0:3], 0 offen offset:4
	buffer_load_dword v4, v0, s[0:3], 0 offen offset:8
	;; [unrolled: 1-line block ×3, first 2 shown]
	v_mov_b32_e32 v0, 0
	v_accvgpr_read_b32 v1, a153
	buffer_store_dword v0, off, s[0:3], 0 offset:800
	buffer_store_dword v0, off, s[0:3], 0 offset:804
	;; [unrolled: 1-line block ×4, first 2 shown]
	s_waitcnt vmcnt(4)
	ds_write_b128 v1, v[2:5]
.LBB50_221:
	s_or_b64 exec, exec, s[4:5]
	s_waitcnt lgkmcnt(0)
	; wave barrier
	s_waitcnt lgkmcnt(0)
	buffer_load_dword v6, off, s[0:3], 0 offset:824
	buffer_load_dword v7, off, s[0:3], 0 offset:828
	;; [unrolled: 1-line block ×8, first 2 shown]
	v_mov_b32_e32 v1, 0
	ds_read_b128 v[2:5], v1 offset:1616
	v_cmp_lt_u32_e32 vcc, 48, v254
	s_waitcnt vmcnt(6) lgkmcnt(0)
	v_mul_f64 v[14:15], v[2:3], v[6:7]
	v_mul_f64 v[6:7], v[4:5], v[6:7]
	s_waitcnt vmcnt(4)
	v_fma_f64 v[2:3], v[2:3], v[8:9], -v[6:7]
	v_fmac_f64_e32 v[14:15], v[4:5], v[8:9]
	v_add_f64 v[2:3], v[2:3], 0
	v_add_f64 v[4:5], v[14:15], 0
	s_waitcnt vmcnt(2)
	v_add_f64 v[2:3], v[10:11], -v[2:3]
	s_waitcnt vmcnt(0)
	v_add_f64 v[4:5], v[12:13], -v[4:5]
	buffer_store_dword v2, off, s[0:3], 0 offset:800
	buffer_store_dword v3, off, s[0:3], 0 offset:804
	;; [unrolled: 1-line block ×4, first 2 shown]
	s_and_saveexec_b64 s[4:5], vcc
	s_cbranch_execz .LBB50_223
; %bb.222:
	v_accvgpr_read_b32 v0, a104
	buffer_load_dword v2, v0, s[0:3], 0 offen
	buffer_load_dword v3, v0, s[0:3], 0 offen offset:4
	buffer_load_dword v4, v0, s[0:3], 0 offen offset:8
	;; [unrolled: 1-line block ×3, first 2 shown]
	v_accvgpr_read_b32 v0, a153
	buffer_store_dword v1, off, s[0:3], 0 offset:784
	buffer_store_dword v1, off, s[0:3], 0 offset:788
	;; [unrolled: 1-line block ×4, first 2 shown]
	s_waitcnt vmcnt(4)
	ds_write_b128 v0, v[2:5]
.LBB50_223:
	s_or_b64 exec, exec, s[4:5]
	s_waitcnt lgkmcnt(0)
	; wave barrier
	s_waitcnt lgkmcnt(0)
	buffer_load_dword v10, off, s[0:3], 0 offset:808
	buffer_load_dword v11, off, s[0:3], 0 offset:812
	;; [unrolled: 1-line block ×12, first 2 shown]
	ds_read_b128 v[2:5], v1 offset:1600
	ds_read_b128 v[6:9], v1 offset:1616
	v_cmp_lt_u32_e32 vcc, 47, v254
	s_waitcnt vmcnt(10) lgkmcnt(1)
	v_mul_f64 v[22:23], v[2:3], v[10:11]
	v_mul_f64 v[10:11], v[4:5], v[10:11]
	s_waitcnt vmcnt(8) lgkmcnt(0)
	v_mul_f64 v[24:25], v[6:7], v[12:13]
	v_mul_f64 v[12:13], v[8:9], v[12:13]
	s_waitcnt vmcnt(6)
	v_fma_f64 v[2:3], v[2:3], v[14:15], -v[10:11]
	v_fmac_f64_e32 v[22:23], v[4:5], v[14:15]
	s_waitcnt vmcnt(4)
	v_fma_f64 v[4:5], v[6:7], v[16:17], -v[12:13]
	v_add_f64 v[2:3], v[2:3], 0
	v_fmac_f64_e32 v[24:25], v[8:9], v[16:17]
	v_add_f64 v[6:7], v[22:23], 0
	v_add_f64 v[2:3], v[2:3], v[4:5]
	;; [unrolled: 1-line block ×3, first 2 shown]
	s_waitcnt vmcnt(2)
	v_add_f64 v[2:3], v[18:19], -v[2:3]
	s_waitcnt vmcnt(0)
	v_add_f64 v[4:5], v[20:21], -v[6:7]
	buffer_store_dword v2, off, s[0:3], 0 offset:784
	buffer_store_dword v3, off, s[0:3], 0 offset:788
	;; [unrolled: 1-line block ×4, first 2 shown]
	s_and_saveexec_b64 s[4:5], vcc
	s_cbranch_execz .LBB50_225
; %bb.224:
	v_accvgpr_read_b32 v0, a105
	buffer_load_dword v2, v0, s[0:3], 0 offen
	buffer_load_dword v3, v0, s[0:3], 0 offen offset:4
	buffer_load_dword v4, v0, s[0:3], 0 offen offset:8
	;; [unrolled: 1-line block ×3, first 2 shown]
	v_mov_b32_e32 v0, 0
	v_accvgpr_read_b32 v1, a153
	buffer_store_dword v0, off, s[0:3], 0 offset:768
	buffer_store_dword v0, off, s[0:3], 0 offset:772
	;; [unrolled: 1-line block ×4, first 2 shown]
	s_waitcnt vmcnt(4)
	ds_write_b128 v1, v[2:5]
.LBB50_225:
	s_or_b64 exec, exec, s[4:5]
	s_waitcnt lgkmcnt(0)
	; wave barrier
	s_waitcnt lgkmcnt(0)
	buffer_load_dword v14, off, s[0:3], 0 offset:792
	buffer_load_dword v15, off, s[0:3], 0 offset:796
	;; [unrolled: 1-line block ×16, first 2 shown]
	v_mov_b32_e32 v1, 0
	ds_read_b128 v[2:5], v1 offset:1584
	ds_read_b128 v[6:9], v1 offset:1600
	;; [unrolled: 1-line block ×3, first 2 shown]
	v_cmp_lt_u32_e32 vcc, 46, v254
	s_waitcnt vmcnt(14) lgkmcnt(2)
	v_mul_f64 v[30:31], v[2:3], v[14:15]
	v_mul_f64 v[14:15], v[4:5], v[14:15]
	s_waitcnt vmcnt(12) lgkmcnt(1)
	v_mul_f64 v[32:33], v[6:7], v[16:17]
	v_mul_f64 v[16:17], v[8:9], v[16:17]
	s_waitcnt vmcnt(10) lgkmcnt(0)
	v_mul_f64 v[34:35], v[10:11], v[18:19]
	v_mul_f64 v[18:19], v[12:13], v[18:19]
	s_waitcnt vmcnt(8)
	v_fma_f64 v[2:3], v[2:3], v[20:21], -v[14:15]
	v_fmac_f64_e32 v[30:31], v[4:5], v[20:21]
	s_waitcnt vmcnt(6)
	v_fma_f64 v[4:5], v[6:7], v[22:23], -v[16:17]
	v_add_f64 v[2:3], v[2:3], 0
	v_fmac_f64_e32 v[32:33], v[8:9], v[22:23]
	s_waitcnt vmcnt(4)
	v_fma_f64 v[6:7], v[10:11], v[24:25], -v[18:19]
	v_add_f64 v[8:9], v[30:31], 0
	v_add_f64 v[2:3], v[2:3], v[4:5]
	v_fmac_f64_e32 v[34:35], v[12:13], v[24:25]
	v_add_f64 v[8:9], v[8:9], v[32:33]
	v_add_f64 v[2:3], v[2:3], v[6:7]
	;; [unrolled: 1-line block ×3, first 2 shown]
	s_waitcnt vmcnt(2)
	v_add_f64 v[2:3], v[26:27], -v[2:3]
	s_waitcnt vmcnt(0)
	v_add_f64 v[4:5], v[28:29], -v[4:5]
	buffer_store_dword v2, off, s[0:3], 0 offset:768
	buffer_store_dword v3, off, s[0:3], 0 offset:772
	;; [unrolled: 1-line block ×4, first 2 shown]
	s_and_saveexec_b64 s[4:5], vcc
	s_cbranch_execz .LBB50_227
; %bb.226:
	v_accvgpr_read_b32 v0, a106
	buffer_load_dword v2, v0, s[0:3], 0 offen
	buffer_load_dword v3, v0, s[0:3], 0 offen offset:4
	buffer_load_dword v4, v0, s[0:3], 0 offen offset:8
	;; [unrolled: 1-line block ×3, first 2 shown]
	v_accvgpr_read_b32 v0, a153
	buffer_store_dword v1, off, s[0:3], 0 offset:752
	buffer_store_dword v1, off, s[0:3], 0 offset:756
	;; [unrolled: 1-line block ×4, first 2 shown]
	s_waitcnt vmcnt(4)
	ds_write_b128 v0, v[2:5]
.LBB50_227:
	s_or_b64 exec, exec, s[4:5]
	s_waitcnt lgkmcnt(0)
	; wave barrier
	s_waitcnt lgkmcnt(0)
	buffer_load_dword v18, off, s[0:3], 0 offset:776
	buffer_load_dword v19, off, s[0:3], 0 offset:780
	;; [unrolled: 1-line block ×20, first 2 shown]
	ds_read_b128 v[2:5], v1 offset:1568
	ds_read_b128 v[6:9], v1 offset:1584
	;; [unrolled: 1-line block ×4, first 2 shown]
	v_cmp_lt_u32_e32 vcc, 45, v254
	s_waitcnt vmcnt(18) lgkmcnt(3)
	v_mul_f64 v[38:39], v[2:3], v[18:19]
	v_mul_f64 v[18:19], v[4:5], v[18:19]
	s_waitcnt vmcnt(16) lgkmcnt(2)
	v_mul_f64 v[40:41], v[6:7], v[20:21]
	v_mul_f64 v[20:21], v[8:9], v[20:21]
	;; [unrolled: 3-line block ×4, first 2 shown]
	s_waitcnt vmcnt(10)
	v_fma_f64 v[2:3], v[2:3], v[26:27], -v[18:19]
	v_fmac_f64_e32 v[38:39], v[4:5], v[26:27]
	s_waitcnt vmcnt(8)
	v_fma_f64 v[4:5], v[6:7], v[28:29], -v[20:21]
	v_add_f64 v[2:3], v[2:3], 0
	v_fmac_f64_e32 v[40:41], v[8:9], v[28:29]
	s_waitcnt vmcnt(6)
	v_fma_f64 v[6:7], v[10:11], v[30:31], -v[22:23]
	v_add_f64 v[10:11], v[38:39], 0
	v_add_f64 v[2:3], v[2:3], v[4:5]
	v_fmac_f64_e32 v[42:43], v[12:13], v[30:31]
	s_waitcnt vmcnt(4)
	v_fma_f64 v[8:9], v[14:15], v[32:33], -v[24:25]
	v_add_f64 v[10:11], v[10:11], v[40:41]
	v_add_f64 v[2:3], v[2:3], v[6:7]
	v_fmac_f64_e32 v[44:45], v[16:17], v[32:33]
	v_add_f64 v[4:5], v[10:11], v[42:43]
	v_add_f64 v[2:3], v[2:3], v[8:9]
	;; [unrolled: 1-line block ×3, first 2 shown]
	s_waitcnt vmcnt(2)
	v_add_f64 v[2:3], v[34:35], -v[2:3]
	s_waitcnt vmcnt(0)
	v_add_f64 v[4:5], v[36:37], -v[4:5]
	buffer_store_dword v2, off, s[0:3], 0 offset:752
	buffer_store_dword v3, off, s[0:3], 0 offset:756
	;; [unrolled: 1-line block ×4, first 2 shown]
	s_and_saveexec_b64 s[4:5], vcc
	s_cbranch_execz .LBB50_229
; %bb.228:
	v_accvgpr_read_b32 v0, a107
	buffer_load_dword v2, v0, s[0:3], 0 offen
	buffer_load_dword v3, v0, s[0:3], 0 offen offset:4
	buffer_load_dword v4, v0, s[0:3], 0 offen offset:8
	;; [unrolled: 1-line block ×3, first 2 shown]
	v_mov_b32_e32 v0, 0
	v_accvgpr_read_b32 v1, a153
	buffer_store_dword v0, off, s[0:3], 0 offset:736
	buffer_store_dword v0, off, s[0:3], 0 offset:740
	;; [unrolled: 1-line block ×4, first 2 shown]
	s_waitcnt vmcnt(4)
	ds_write_b128 v1, v[2:5]
.LBB50_229:
	s_or_b64 exec, exec, s[4:5]
	s_waitcnt lgkmcnt(0)
	; wave barrier
	s_waitcnt lgkmcnt(0)
	buffer_load_dword v22, off, s[0:3], 0 offset:760
	buffer_load_dword v23, off, s[0:3], 0 offset:764
	;; [unrolled: 1-line block ×24, first 2 shown]
	v_mov_b32_e32 v1, 0
	ds_read_b128 v[2:5], v1 offset:1552
	ds_read_b128 v[6:9], v1 offset:1568
	;; [unrolled: 1-line block ×5, first 2 shown]
	v_cmp_lt_u32_e32 vcc, 44, v254
	s_waitcnt vmcnt(22) lgkmcnt(4)
	v_mul_f64 v[46:47], v[2:3], v[22:23]
	v_mul_f64 v[22:23], v[4:5], v[22:23]
	s_waitcnt vmcnt(20) lgkmcnt(3)
	v_mul_f64 v[48:49], v[6:7], v[24:25]
	v_mul_f64 v[24:25], v[8:9], v[24:25]
	;; [unrolled: 3-line block ×4, first 2 shown]
	s_waitcnt vmcnt(13) lgkmcnt(0)
	v_mul_f64 v[54:55], v[18:19], v[28:29]
	s_waitcnt vmcnt(11)
	v_fma_f64 v[2:3], v[2:3], v[34:35], -v[22:23]
	v_fmac_f64_e32 v[46:47], v[4:5], v[34:35]
	s_waitcnt vmcnt(9)
	v_fma_f64 v[4:5], v[6:7], v[36:37], -v[24:25]
	v_add_f64 v[2:3], v[2:3], 0
	v_fmac_f64_e32 v[48:49], v[8:9], v[36:37]
	s_waitcnt vmcnt(7)
	v_fmac_f64_e32 v[50:51], v[12:13], v[38:39]
	v_fma_f64 v[6:7], v[10:11], v[38:39], -v[26:27]
	v_add_f64 v[12:13], v[46:47], 0
	v_add_f64 v[2:3], v[2:3], v[4:5]
	v_mul_f64 v[28:29], v[20:21], v[28:29]
	s_waitcnt vmcnt(5)
	v_fma_f64 v[8:9], v[14:15], v[40:41], -v[32:33]
	v_add_f64 v[12:13], v[12:13], v[48:49]
	v_add_f64 v[2:3], v[2:3], v[6:7]
	v_fmac_f64_e32 v[52:53], v[16:17], v[40:41]
	s_waitcnt vmcnt(4)
	v_fma_f64 v[10:11], v[18:19], v[30:31], -v[28:29]
	v_add_f64 v[4:5], v[12:13], v[50:51]
	v_add_f64 v[2:3], v[2:3], v[8:9]
	v_fmac_f64_e32 v[54:55], v[20:21], v[30:31]
	v_add_f64 v[4:5], v[4:5], v[52:53]
	v_add_f64 v[2:3], v[2:3], v[10:11]
	;; [unrolled: 1-line block ×3, first 2 shown]
	s_waitcnt vmcnt(2)
	v_add_f64 v[2:3], v[42:43], -v[2:3]
	s_waitcnt vmcnt(0)
	v_add_f64 v[4:5], v[44:45], -v[4:5]
	buffer_store_dword v3, off, s[0:3], 0 offset:740
	buffer_store_dword v2, off, s[0:3], 0 offset:736
	;; [unrolled: 1-line block ×4, first 2 shown]
	s_and_saveexec_b64 s[4:5], vcc
	s_cbranch_execz .LBB50_231
; %bb.230:
	v_accvgpr_read_b32 v0, a108
	buffer_load_dword v2, v0, s[0:3], 0 offen
	buffer_load_dword v3, v0, s[0:3], 0 offen offset:4
	buffer_load_dword v4, v0, s[0:3], 0 offen offset:8
	;; [unrolled: 1-line block ×3, first 2 shown]
	v_accvgpr_read_b32 v0, a153
	buffer_store_dword v1, off, s[0:3], 0 offset:720
	buffer_store_dword v1, off, s[0:3], 0 offset:724
	buffer_store_dword v1, off, s[0:3], 0 offset:728
	buffer_store_dword v1, off, s[0:3], 0 offset:732
	s_waitcnt vmcnt(4)
	ds_write_b128 v0, v[2:5]
.LBB50_231:
	s_or_b64 exec, exec, s[4:5]
	s_waitcnt lgkmcnt(0)
	; wave barrier
	s_waitcnt lgkmcnt(0)
	buffer_load_dword v26, off, s[0:3], 0 offset:744
	buffer_load_dword v27, off, s[0:3], 0 offset:748
	;; [unrolled: 1-line block ×28, first 2 shown]
	ds_read_b128 v[2:5], v1 offset:1536
	ds_read_b128 v[6:9], v1 offset:1552
	ds_read_b128 v[10:13], v1 offset:1568
	ds_read_b128 v[14:17], v1 offset:1584
	ds_read_b128 v[18:21], v1 offset:1600
	ds_read_b128 v[22:25], v1 offset:1616
	v_cmp_lt_u32_e32 vcc, 43, v254
	s_waitcnt vmcnt(26) lgkmcnt(5)
	v_mul_f64 v[54:55], v[2:3], v[26:27]
	v_mul_f64 v[26:27], v[4:5], v[26:27]
	s_waitcnt vmcnt(24) lgkmcnt(4)
	v_mul_f64 v[56:57], v[6:7], v[28:29]
	v_mul_f64 v[28:29], v[8:9], v[28:29]
	s_waitcnt vmcnt(22) lgkmcnt(3)
	v_mul_f64 v[58:59], v[10:11], v[30:31]
	v_mul_f64 v[30:31], v[12:13], v[30:31]
	s_waitcnt vmcnt(20) lgkmcnt(1)
	v_mul_f64 v[62:63], v[18:19], v[32:33]
	v_mul_f64 v[32:33], v[20:21], v[32:33]
	s_waitcnt vmcnt(17)
	v_mul_f64 v[60:61], v[14:15], v[36:37]
	v_mul_f64 v[36:37], v[16:17], v[36:37]
	s_waitcnt vmcnt(15) lgkmcnt(0)
	v_mul_f64 v[64:65], v[22:23], v[38:39]
	v_mul_f64 v[38:39], v[24:25], v[38:39]
	s_waitcnt vmcnt(14)
	v_fmac_f64_e32 v[62:63], v[20:21], v[34:35]
	s_waitcnt vmcnt(12)
	v_fma_f64 v[2:3], v[2:3], v[40:41], -v[26:27]
	v_fmac_f64_e32 v[54:55], v[4:5], v[40:41]
	s_waitcnt vmcnt(10)
	v_fma_f64 v[4:5], v[6:7], v[42:43], -v[28:29]
	v_add_f64 v[2:3], v[2:3], 0
	v_fmac_f64_e32 v[56:57], v[8:9], v[42:43]
	s_waitcnt vmcnt(8)
	v_fma_f64 v[6:7], v[10:11], v[44:45], -v[30:31]
	s_waitcnt vmcnt(6)
	v_fma_f64 v[8:9], v[14:15], v[46:47], -v[36:37]
	v_add_f64 v[14:15], v[54:55], 0
	v_add_f64 v[2:3], v[2:3], v[4:5]
	v_fmac_f64_e32 v[58:59], v[12:13], v[44:45]
	v_add_f64 v[14:15], v[14:15], v[56:57]
	v_add_f64 v[2:3], v[2:3], v[6:7]
	v_fmac_f64_e32 v[60:61], v[16:17], v[46:47]
	v_fma_f64 v[10:11], v[18:19], v[34:35], -v[32:33]
	v_add_f64 v[4:5], v[14:15], v[58:59]
	v_add_f64 v[2:3], v[2:3], v[8:9]
	s_waitcnt vmcnt(4)
	v_fma_f64 v[12:13], v[22:23], v[48:49], -v[38:39]
	v_add_f64 v[4:5], v[4:5], v[60:61]
	v_add_f64 v[2:3], v[2:3], v[10:11]
	v_fmac_f64_e32 v[64:65], v[24:25], v[48:49]
	v_add_f64 v[4:5], v[4:5], v[62:63]
	v_add_f64 v[2:3], v[2:3], v[12:13]
	;; [unrolled: 1-line block ×3, first 2 shown]
	s_waitcnt vmcnt(2)
	v_add_f64 v[2:3], v[50:51], -v[2:3]
	s_waitcnt vmcnt(0)
	v_add_f64 v[4:5], v[52:53], -v[4:5]
	buffer_store_dword v3, off, s[0:3], 0 offset:724
	buffer_store_dword v2, off, s[0:3], 0 offset:720
	;; [unrolled: 1-line block ×4, first 2 shown]
	s_and_saveexec_b64 s[4:5], vcc
	s_cbranch_execz .LBB50_233
; %bb.232:
	v_accvgpr_read_b32 v0, a109
	buffer_load_dword v2, v0, s[0:3], 0 offen
	buffer_load_dword v3, v0, s[0:3], 0 offen offset:4
	buffer_load_dword v4, v0, s[0:3], 0 offen offset:8
	;; [unrolled: 1-line block ×3, first 2 shown]
	v_mov_b32_e32 v0, 0
	v_accvgpr_read_b32 v1, a153
	buffer_store_dword v0, off, s[0:3], 0 offset:704
	buffer_store_dword v0, off, s[0:3], 0 offset:708
	;; [unrolled: 1-line block ×4, first 2 shown]
	s_waitcnt vmcnt(4)
	ds_write_b128 v1, v[2:5]
.LBB50_233:
	s_or_b64 exec, exec, s[4:5]
	s_waitcnt lgkmcnt(0)
	; wave barrier
	s_waitcnt lgkmcnt(0)
	buffer_load_dword v30, off, s[0:3], 0 offset:728
	buffer_load_dword v31, off, s[0:3], 0 offset:732
	;; [unrolled: 1-line block ×32, first 2 shown]
	v_mov_b32_e32 v1, 0
	ds_read_b128 v[2:5], v1 offset:1520
	ds_read_b128 v[6:9], v1 offset:1536
	;; [unrolled: 1-line block ×7, first 2 shown]
	v_cmp_lt_u32_e32 vcc, 42, v254
	s_waitcnt vmcnt(30) lgkmcnt(6)
	v_mul_f64 v[62:63], v[2:3], v[30:31]
	v_mul_f64 v[30:31], v[4:5], v[30:31]
	s_waitcnt vmcnt(28) lgkmcnt(5)
	v_mul_f64 v[64:65], v[6:7], v[32:33]
	v_mul_f64 v[32:33], v[8:9], v[32:33]
	;; [unrolled: 3-line block ×4, first 2 shown]
	s_waitcnt vmcnt(21)
	v_mul_f64 v[68:69], v[14:15], v[40:41]
	v_mul_f64 v[40:41], v[16:17], v[40:41]
	s_waitcnt vmcnt(17) lgkmcnt(1)
	v_mul_f64 v[72:73], v[22:23], v[46:47]
	v_mul_f64 v[46:47], v[24:25], v[46:47]
	s_waitcnt vmcnt(16) lgkmcnt(0)
	v_mul_f64 v[74:75], v[26:27], v[42:43]
	v_mul_f64 v[42:43], v[28:29], v[42:43]
	s_waitcnt vmcnt(13)
	v_fma_f64 v[2:3], v[2:3], v[48:49], -v[30:31]
	v_fmac_f64_e32 v[62:63], v[4:5], v[48:49]
	s_waitcnt vmcnt(11)
	v_fma_f64 v[4:5], v[6:7], v[50:51], -v[32:33]
	v_add_f64 v[2:3], v[2:3], 0
	v_fmac_f64_e32 v[64:65], v[8:9], v[50:51]
	s_waitcnt vmcnt(9)
	v_fma_f64 v[6:7], v[10:11], v[52:53], -v[34:35]
	s_waitcnt vmcnt(7)
	v_fmac_f64_e32 v[68:69], v[16:17], v[54:55]
	v_add_f64 v[16:17], v[62:63], 0
	v_add_f64 v[2:3], v[2:3], v[4:5]
	v_fmac_f64_e32 v[66:67], v[12:13], v[52:53]
	v_fma_f64 v[8:9], v[14:15], v[54:55], -v[40:41]
	v_add_f64 v[16:17], v[16:17], v[64:65]
	v_add_f64 v[2:3], v[2:3], v[6:7]
	v_fma_f64 v[10:11], v[18:19], v[38:39], -v[36:37]
	v_add_f64 v[4:5], v[16:17], v[66:67]
	v_add_f64 v[2:3], v[2:3], v[8:9]
	v_fmac_f64_e32 v[70:71], v[20:21], v[38:39]
	s_waitcnt vmcnt(5)
	v_fma_f64 v[12:13], v[22:23], v[56:57], -v[46:47]
	v_add_f64 v[4:5], v[4:5], v[68:69]
	v_add_f64 v[2:3], v[2:3], v[10:11]
	v_fmac_f64_e32 v[72:73], v[24:25], v[56:57]
	s_waitcnt vmcnt(4)
	v_fma_f64 v[14:15], v[26:27], v[44:45], -v[42:43]
	v_add_f64 v[4:5], v[4:5], v[70:71]
	v_add_f64 v[2:3], v[2:3], v[12:13]
	v_fmac_f64_e32 v[74:75], v[28:29], v[44:45]
	v_add_f64 v[4:5], v[4:5], v[72:73]
	v_add_f64 v[2:3], v[2:3], v[14:15]
	;; [unrolled: 1-line block ×3, first 2 shown]
	s_waitcnt vmcnt(2)
	v_add_f64 v[2:3], v[58:59], -v[2:3]
	s_waitcnt vmcnt(0)
	v_add_f64 v[4:5], v[60:61], -v[4:5]
	buffer_store_dword v3, off, s[0:3], 0 offset:708
	buffer_store_dword v2, off, s[0:3], 0 offset:704
	;; [unrolled: 1-line block ×4, first 2 shown]
	s_and_saveexec_b64 s[4:5], vcc
	s_cbranch_execz .LBB50_235
; %bb.234:
	v_accvgpr_read_b32 v0, a110
	buffer_load_dword v2, v0, s[0:3], 0 offen
	buffer_load_dword v3, v0, s[0:3], 0 offen offset:4
	buffer_load_dword v4, v0, s[0:3], 0 offen offset:8
	;; [unrolled: 1-line block ×3, first 2 shown]
	v_accvgpr_read_b32 v0, a153
	buffer_store_dword v1, off, s[0:3], 0 offset:688
	buffer_store_dword v1, off, s[0:3], 0 offset:692
	;; [unrolled: 1-line block ×4, first 2 shown]
	s_waitcnt vmcnt(4)
	ds_write_b128 v0, v[2:5]
.LBB50_235:
	s_or_b64 exec, exec, s[4:5]
	s_waitcnt lgkmcnt(0)
	; wave barrier
	s_waitcnt lgkmcnt(0)
	buffer_load_dword v34, off, s[0:3], 0 offset:712
	buffer_load_dword v35, off, s[0:3], 0 offset:716
	;; [unrolled: 1-line block ×36, first 2 shown]
	ds_read_b128 v[2:5], v1 offset:1504
	ds_read_b128 v[6:9], v1 offset:1520
	;; [unrolled: 1-line block ×8, first 2 shown]
	v_cmp_lt_u32_e32 vcc, 41, v254
	s_waitcnt vmcnt(34) lgkmcnt(7)
	v_mul_f64 v[70:71], v[2:3], v[34:35]
	v_mul_f64 v[34:35], v[4:5], v[34:35]
	s_waitcnt vmcnt(32) lgkmcnt(6)
	v_mul_f64 v[72:73], v[6:7], v[36:37]
	v_mul_f64 v[36:37], v[8:9], v[36:37]
	;; [unrolled: 3-line block ×4, first 2 shown]
	s_waitcnt vmcnt(25)
	v_mul_f64 v[76:77], v[14:15], v[44:45]
	v_mul_f64 v[44:45], v[16:17], v[44:45]
	s_waitcnt vmcnt(23) lgkmcnt(1)
	v_mul_f64 v[82:83], v[26:27], v[46:47]
	v_mul_f64 v[46:47], v[28:29], v[46:47]
	s_waitcnt vmcnt(20)
	v_mul_f64 v[80:81], v[22:23], v[50:51]
	v_mul_f64 v[50:51], v[24:25], v[50:51]
	s_waitcnt vmcnt(18) lgkmcnt(0)
	v_mul_f64 v[84:85], v[30:31], v[52:53]
	s_waitcnt vmcnt(17)
	v_fmac_f64_e32 v[78:79], v[20:21], v[42:43]
	s_waitcnt vmcnt(16)
	v_fmac_f64_e32 v[82:83], v[28:29], v[48:49]
	s_waitcnt vmcnt(14)
	v_fma_f64 v[2:3], v[2:3], v[54:55], -v[34:35]
	v_fmac_f64_e32 v[70:71], v[4:5], v[54:55]
	s_waitcnt vmcnt(12)
	v_fma_f64 v[4:5], v[6:7], v[56:57], -v[36:37]
	v_add_f64 v[2:3], v[2:3], 0
	v_fmac_f64_e32 v[72:73], v[8:9], v[56:57]
	s_waitcnt vmcnt(10)
	v_fma_f64 v[6:7], v[10:11], v[58:59], -v[38:39]
	s_waitcnt vmcnt(8)
	v_fmac_f64_e32 v[76:77], v[16:17], v[60:61]
	v_add_f64 v[16:17], v[70:71], 0
	v_add_f64 v[2:3], v[2:3], v[4:5]
	v_fmac_f64_e32 v[74:75], v[12:13], v[58:59]
	v_fma_f64 v[8:9], v[14:15], v[60:61], -v[44:45]
	v_add_f64 v[16:17], v[16:17], v[72:73]
	v_add_f64 v[2:3], v[2:3], v[6:7]
	v_fma_f64 v[10:11], v[18:19], v[42:43], -v[40:41]
	v_add_f64 v[4:5], v[16:17], v[74:75]
	v_add_f64 v[2:3], v[2:3], v[8:9]
	s_waitcnt vmcnt(6)
	v_fma_f64 v[12:13], v[22:23], v[62:63], -v[50:51]
	v_add_f64 v[4:5], v[4:5], v[76:77]
	v_add_f64 v[2:3], v[2:3], v[10:11]
	v_fmac_f64_e32 v[80:81], v[24:25], v[62:63]
	v_fma_f64 v[14:15], v[26:27], v[48:49], -v[46:47]
	v_add_f64 v[4:5], v[4:5], v[78:79]
	v_add_f64 v[2:3], v[2:3], v[12:13]
	v_mul_f64 v[6:7], v[32:33], v[52:53]
	v_add_f64 v[4:5], v[4:5], v[80:81]
	v_add_f64 v[2:3], v[2:3], v[14:15]
	s_waitcnt vmcnt(4)
	v_fma_f64 v[6:7], v[30:31], v[64:65], -v[6:7]
	v_fmac_f64_e32 v[84:85], v[32:33], v[64:65]
	v_add_f64 v[4:5], v[4:5], v[82:83]
	v_add_f64 v[2:3], v[2:3], v[6:7]
	;; [unrolled: 1-line block ×3, first 2 shown]
	s_waitcnt vmcnt(2)
	v_add_f64 v[2:3], v[66:67], -v[2:3]
	s_waitcnt vmcnt(0)
	v_add_f64 v[4:5], v[68:69], -v[4:5]
	buffer_store_dword v3, off, s[0:3], 0 offset:692
	buffer_store_dword v2, off, s[0:3], 0 offset:688
	;; [unrolled: 1-line block ×4, first 2 shown]
	s_and_saveexec_b64 s[4:5], vcc
	s_cbranch_execz .LBB50_237
; %bb.236:
	v_accvgpr_read_b32 v0, a111
	buffer_load_dword v2, v0, s[0:3], 0 offen
	buffer_load_dword v3, v0, s[0:3], 0 offen offset:4
	buffer_load_dword v4, v0, s[0:3], 0 offen offset:8
	;; [unrolled: 1-line block ×3, first 2 shown]
	v_mov_b32_e32 v0, 0
	v_accvgpr_read_b32 v1, a153
	buffer_store_dword v0, off, s[0:3], 0 offset:672
	buffer_store_dword v0, off, s[0:3], 0 offset:676
	;; [unrolled: 1-line block ×4, first 2 shown]
	s_waitcnt vmcnt(4)
	ds_write_b128 v1, v[2:5]
.LBB50_237:
	s_or_b64 exec, exec, s[4:5]
	s_waitcnt lgkmcnt(0)
	; wave barrier
	s_waitcnt lgkmcnt(0)
	buffer_load_dword v38, off, s[0:3], 0 offset:696
	buffer_load_dword v39, off, s[0:3], 0 offset:700
	buffer_load_dword v40, off, s[0:3], 0 offset:712
	buffer_load_dword v41, off, s[0:3], 0 offset:716
	buffer_load_dword v42, off, s[0:3], 0 offset:728
	buffer_load_dword v43, off, s[0:3], 0 offset:732
	buffer_load_dword v45, off, s[0:3], 0 offset:764
	buffer_load_dword v44, off, s[0:3], 0 offset:760
	buffer_load_dword v47, off, s[0:3], 0 offset:756
	buffer_load_dword v46, off, s[0:3], 0 offset:752
	buffer_load_dword v49, off, s[0:3], 0 offset:748
	buffer_load_dword v48, off, s[0:3], 0 offset:744
	buffer_load_dword v51, off, s[0:3], 0 offset:796
	buffer_load_dword v50, off, s[0:3], 0 offset:792
	buffer_load_dword v53, off, s[0:3], 0 offset:788
	buffer_load_dword v52, off, s[0:3], 0 offset:784
	buffer_load_dword v55, off, s[0:3], 0 offset:780
	buffer_load_dword v54, off, s[0:3], 0 offset:776
	buffer_load_dword v56, off, s[0:3], 0 offset:824
	buffer_load_dword v58, off, s[0:3], 0 offset:816
	buffer_load_dword v61, off, s[0:3], 0 offset:812
	buffer_load_dword v60, off, s[0:3], 0 offset:808
	buffer_load_dword v57, off, s[0:3], 0 offset:828
	buffer_load_dword v62, off, s[0:3], 0 offset:688
	buffer_load_dword v63, off, s[0:3], 0 offset:692
	buffer_load_dword v64, off, s[0:3], 0 offset:704
	buffer_load_dword v65, off, s[0:3], 0 offset:708
	buffer_load_dword v66, off, s[0:3], 0 offset:720
	buffer_load_dword v67, off, s[0:3], 0 offset:724
	buffer_load_dword v69, off, s[0:3], 0 offset:740
	buffer_load_dword v68, off, s[0:3], 0 offset:736
	buffer_load_dword v71, off, s[0:3], 0 offset:772
	buffer_load_dword v70, off, s[0:3], 0 offset:768
	buffer_load_dword v73, off, s[0:3], 0 offset:804
	buffer_load_dword v72, off, s[0:3], 0 offset:800
	buffer_load_dword v59, off, s[0:3], 0 offset:820
	buffer_load_dword v74, off, s[0:3], 0 offset:672
	buffer_load_dword v75, off, s[0:3], 0 offset:676
	buffer_load_dword v76, off, s[0:3], 0 offset:680
	buffer_load_dword v77, off, s[0:3], 0 offset:684
	v_mov_b32_e32 v1, 0
	ds_read_b128 v[2:5], v1 offset:1488
	ds_read_b128 v[6:9], v1 offset:1504
	;; [unrolled: 1-line block ×9, first 2 shown]
	v_cmp_lt_u32_e32 vcc, 40, v254
	s_waitcnt vmcnt(38) lgkmcnt(8)
	v_mul_f64 v[78:79], v[2:3], v[38:39]
	v_mul_f64 v[38:39], v[4:5], v[38:39]
	s_waitcnt vmcnt(36) lgkmcnt(7)
	v_mul_f64 v[80:81], v[6:7], v[40:41]
	v_mul_f64 v[40:41], v[8:9], v[40:41]
	;; [unrolled: 3-line block ×3, first 2 shown]
	s_waitcnt vmcnt(32) lgkmcnt(4)
	v_mul_f64 v[86:87], v[18:19], v[44:45]
	s_waitcnt vmcnt(30)
	v_fmac_f64_e32 v[86:87], v[20:21], v[46:47]
	s_waitcnt vmcnt(28)
	v_mul_f64 v[84:85], v[14:15], v[48:49]
	v_mul_f64 v[48:49], v[16:17], v[48:49]
	s_waitcnt vmcnt(26) lgkmcnt(2)
	v_mul_f64 v[90:91], v[26:27], v[50:51]
	s_waitcnt vmcnt(24)
	v_fmac_f64_e32 v[90:91], v[28:29], v[52:53]
	s_waitcnt vmcnt(22)
	v_mul_f64 v[88:89], v[22:23], v[54:55]
	s_waitcnt vmcnt(18) lgkmcnt(1)
	v_mul_f64 v[92:93], v[30:31], v[60:61]
	s_waitcnt vmcnt(17) lgkmcnt(0)
	v_mul_f64 v[94:95], v[34:35], v[56:57]
	s_waitcnt vmcnt(15)
	v_fma_f64 v[2:3], v[2:3], v[62:63], -v[38:39]
	v_fmac_f64_e32 v[78:79], v[4:5], v[62:63]
	s_waitcnt vmcnt(13)
	v_fma_f64 v[4:5], v[6:7], v[64:65], -v[40:41]
	v_add_f64 v[2:3], v[2:3], 0
	s_waitcnt vmcnt(11)
	v_fma_f64 v[6:7], v[10:11], v[66:67], -v[42:43]
	v_add_f64 v[2:3], v[2:3], v[4:5]
	v_fmac_f64_e32 v[80:81], v[8:9], v[64:65]
	s_waitcnt vmcnt(9)
	v_fma_f64 v[8:9], v[14:15], v[68:69], -v[48:49]
	v_add_f64 v[2:3], v[2:3], v[6:7]
	v_mul_f64 v[6:7], v[20:21], v[44:45]
	v_add_f64 v[2:3], v[2:3], v[8:9]
	v_fma_f64 v[6:7], v[18:19], v[46:47], -v[6:7]
	v_add_f64 v[2:3], v[2:3], v[6:7]
	v_mul_f64 v[6:7], v[24:25], v[54:55]
	v_add_f64 v[10:11], v[78:79], 0
	s_waitcnt vmcnt(7)
	v_fma_f64 v[6:7], v[22:23], v[70:71], -v[6:7]
	v_fmac_f64_e32 v[82:83], v[12:13], v[66:67]
	v_add_f64 v[10:11], v[10:11], v[80:81]
	v_add_f64 v[2:3], v[2:3], v[6:7]
	v_mul_f64 v[6:7], v[28:29], v[50:51]
	v_fmac_f64_e32 v[84:85], v[16:17], v[68:69]
	v_add_f64 v[4:5], v[10:11], v[82:83]
	v_fma_f64 v[6:7], v[26:27], v[52:53], -v[6:7]
	v_add_f64 v[4:5], v[4:5], v[84:85]
	v_add_f64 v[2:3], v[2:3], v[6:7]
	v_mul_f64 v[6:7], v[32:33], v[60:61]
	v_fmac_f64_e32 v[88:89], v[24:25], v[70:71]
	v_add_f64 v[4:5], v[4:5], v[86:87]
	s_waitcnt vmcnt(5)
	v_fma_f64 v[6:7], v[30:31], v[72:73], -v[6:7]
	v_add_f64 v[4:5], v[4:5], v[88:89]
	v_add_f64 v[2:3], v[2:3], v[6:7]
	v_mul_f64 v[6:7], v[36:37], v[56:57]
	v_fmac_f64_e32 v[92:93], v[32:33], v[72:73]
	v_add_f64 v[4:5], v[4:5], v[90:91]
	s_waitcnt vmcnt(4)
	v_fma_f64 v[6:7], v[34:35], v[58:59], -v[6:7]
	v_fmac_f64_e32 v[94:95], v[36:37], v[58:59]
	v_add_f64 v[4:5], v[4:5], v[92:93]
	v_add_f64 v[2:3], v[2:3], v[6:7]
	;; [unrolled: 1-line block ×3, first 2 shown]
	s_waitcnt vmcnt(2)
	v_add_f64 v[2:3], v[74:75], -v[2:3]
	s_waitcnt vmcnt(0)
	v_add_f64 v[4:5], v[76:77], -v[4:5]
	buffer_store_dword v3, off, s[0:3], 0 offset:676
	buffer_store_dword v2, off, s[0:3], 0 offset:672
	buffer_store_dword v5, off, s[0:3], 0 offset:684
	buffer_store_dword v4, off, s[0:3], 0 offset:680
	s_and_saveexec_b64 s[4:5], vcc
	s_cbranch_execz .LBB50_239
; %bb.238:
	v_accvgpr_read_b32 v0, a112
	buffer_load_dword v2, v0, s[0:3], 0 offen
	buffer_load_dword v3, v0, s[0:3], 0 offen offset:4
	buffer_load_dword v4, v0, s[0:3], 0 offen offset:8
	;; [unrolled: 1-line block ×3, first 2 shown]
	v_accvgpr_read_b32 v0, a153
	buffer_store_dword v1, off, s[0:3], 0 offset:656
	buffer_store_dword v1, off, s[0:3], 0 offset:660
	;; [unrolled: 1-line block ×4, first 2 shown]
	s_waitcnt vmcnt(4)
	ds_write_b128 v0, v[2:5]
.LBB50_239:
	s_or_b64 exec, exec, s[4:5]
	s_waitcnt lgkmcnt(0)
	; wave barrier
	s_waitcnt lgkmcnt(0)
	ds_read_b128 v[18:21], v1 offset:1472
	ds_read_b128 v[10:13], v1 offset:1488
	;; [unrolled: 1-line block ×4, first 2 shown]
	buffer_load_dword v44, off, s[0:3], 0 offset:656
	buffer_load_dword v45, off, s[0:3], 0 offset:660
	;; [unrolled: 1-line block ×20, first 2 shown]
	v_cmp_lt_u32_e32 vcc, 39, v254
	s_waitcnt vmcnt(12) lgkmcnt(3)
	v_mul_f64 v[14:15], v[18:19], v[62:63]
	v_fmac_f64_e32 v[14:15], v[20:21], v[58:59]
	v_add_f64 v[14:15], v[14:15], 0
	v_mul_f64 v[20:21], v[20:21], v[62:63]
	s_waitcnt vmcnt(8) lgkmcnt(2)
	v_mul_f64 v[16:17], v[10:11], v[60:61]
	v_fmac_f64_e32 v[16:17], v[12:13], v[56:57]
	v_add_f64 v[14:15], v[14:15], v[16:17]
	v_fma_f64 v[18:19], v[18:19], v[58:59], -v[20:21]
	s_waitcnt vmcnt(4) lgkmcnt(1)
	v_mul_f64 v[16:17], v[6:7], v[48:49]
	v_fmac_f64_e32 v[16:17], v[8:9], v[46:47]
	v_add_f64 v[14:15], v[14:15], v[16:17]
	s_waitcnt vmcnt(0) lgkmcnt(0)
	v_mul_f64 v[16:17], v[2:3], v[52:53]
	v_fmac_f64_e32 v[16:17], v[4:5], v[50:51]
	v_add_f64 v[22:23], v[14:15], v[16:17]
	ds_read_b128 v[14:17], v1 offset:1536
	buffer_load_dword v55, off, s[0:3], 0 offset:740
	buffer_load_dword v54, off, s[0:3], 0 offset:736
	;; [unrolled: 1-line block ×4, first 2 shown]
	v_mul_f64 v[12:13], v[12:13], v[60:61]
	v_add_f64 v[18:19], v[18:19], 0
	v_fma_f64 v[10:11], v[10:11], v[56:57], -v[12:13]
	v_mul_f64 v[8:9], v[8:9], v[48:49]
	v_add_f64 v[10:11], v[18:19], v[10:11]
	v_fma_f64 v[6:7], v[6:7], v[46:47], -v[8:9]
	v_mul_f64 v[4:5], v[4:5], v[52:53]
	v_add_f64 v[6:7], v[10:11], v[6:7]
	v_fma_f64 v[2:3], v[2:3], v[50:51], -v[4:5]
	v_add_f64 v[2:3], v[6:7], v[2:3]
	s_waitcnt vmcnt(0) lgkmcnt(0)
	v_mul_f64 v[24:25], v[14:15], v[64:65]
	v_fmac_f64_e32 v[24:25], v[16:17], v[54:55]
	v_add_f64 v[26:27], v[22:23], v[24:25]
	ds_read_b128 v[22:25], v1 offset:1552
	buffer_load_dword v67, off, s[0:3], 0 offset:756
	buffer_load_dword v66, off, s[0:3], 0 offset:752
	buffer_load_dword v69, off, s[0:3], 0 offset:764
	buffer_load_dword v68, off, s[0:3], 0 offset:760
	v_mul_f64 v[4:5], v[16:17], v[64:65]
	v_fma_f64 v[4:5], v[14:15], v[54:55], -v[4:5]
	v_add_f64 v[2:3], v[2:3], v[4:5]
	s_waitcnt vmcnt(0) lgkmcnt(0)
	v_mul_f64 v[28:29], v[22:23], v[68:69]
	v_fmac_f64_e32 v[28:29], v[24:25], v[66:67]
	v_add_f64 v[30:31], v[26:27], v[28:29]
	ds_read_b128 v[26:29], v1 offset:1568
	buffer_load_dword v71, off, s[0:3], 0 offset:772
	buffer_load_dword v70, off, s[0:3], 0 offset:768
	buffer_load_dword v73, off, s[0:3], 0 offset:780
	buffer_load_dword v72, off, s[0:3], 0 offset:776
	v_mul_f64 v[4:5], v[24:25], v[68:69]
	v_fma_f64 v[4:5], v[22:23], v[66:67], -v[4:5]
	;; [unrolled: 12-line block ×5, first 2 shown]
	v_add_f64 v[2:3], v[2:3], v[4:5]
	s_waitcnt vmcnt(0) lgkmcnt(0)
	v_mul_f64 v[4:5], v[40:41], v[86:87]
	v_mul_f64 v[88:89], v[38:39], v[86:87]
	v_fma_f64 v[4:5], v[38:39], v[82:83], -v[4:5]
	v_fmac_f64_e32 v[88:89], v[40:41], v[82:83]
	v_add_f64 v[2:3], v[2:3], v[4:5]
	v_add_f64 v[84:85], v[84:85], v[88:89]
	v_add_f64 v[2:3], v[44:45], -v[2:3]
	v_add_f64 v[4:5], v[42:43], -v[84:85]
	buffer_store_dword v3, off, s[0:3], 0 offset:660
	buffer_store_dword v2, off, s[0:3], 0 offset:656
	;; [unrolled: 1-line block ×4, first 2 shown]
	s_and_saveexec_b64 s[4:5], vcc
	s_cbranch_execz .LBB50_241
; %bb.240:
	v_accvgpr_read_b32 v0, a113
	buffer_load_dword v2, v0, s[0:3], 0 offen
	buffer_load_dword v3, v0, s[0:3], 0 offen offset:4
	buffer_load_dword v4, v0, s[0:3], 0 offen offset:8
	;; [unrolled: 1-line block ×3, first 2 shown]
	v_mov_b32_e32 v0, 0
	v_accvgpr_read_b32 v1, a153
	buffer_store_dword v0, off, s[0:3], 0 offset:640
	buffer_store_dword v0, off, s[0:3], 0 offset:644
	;; [unrolled: 1-line block ×4, first 2 shown]
	s_waitcnt vmcnt(4)
	ds_write_b128 v1, v[2:5]
.LBB50_241:
	s_or_b64 exec, exec, s[4:5]
	v_mov_b32_e32 v1, 0
	s_waitcnt lgkmcnt(0)
	; wave barrier
	s_waitcnt lgkmcnt(0)
	ds_read_b128 v[14:17], v1 offset:1456
	ds_read_b128 v[10:13], v1 offset:1472
	;; [unrolled: 1-line block ×4, first 2 shown]
	buffer_load_dword v48, off, s[0:3], 0 offset:640
	buffer_load_dword v49, off, s[0:3], 0 offset:644
	;; [unrolled: 1-line block ×20, first 2 shown]
	v_cmp_lt_u32_e32 vcc, 38, v254
	s_waitcnt vmcnt(12) lgkmcnt(3)
	v_mul_f64 v[18:19], v[14:15], v[56:57]
	v_fmac_f64_e32 v[18:19], v[16:17], v[50:51]
	v_add_f64 v[18:19], v[18:19], 0
	v_mul_f64 v[16:17], v[16:17], v[56:57]
	s_waitcnt vmcnt(8) lgkmcnt(2)
	v_mul_f64 v[20:21], v[10:11], v[58:59]
	v_fmac_f64_e32 v[20:21], v[12:13], v[52:53]
	v_add_f64 v[18:19], v[18:19], v[20:21]
	v_fma_f64 v[14:15], v[14:15], v[50:51], -v[16:17]
	s_waitcnt vmcnt(4) lgkmcnt(1)
	v_mul_f64 v[20:21], v[6:7], v[60:61]
	v_fmac_f64_e32 v[20:21], v[8:9], v[54:55]
	v_add_f64 v[18:19], v[18:19], v[20:21]
	s_waitcnt vmcnt(0) lgkmcnt(0)
	v_mul_f64 v[20:21], v[2:3], v[64:65]
	v_fmac_f64_e32 v[20:21], v[4:5], v[62:63]
	v_add_f64 v[22:23], v[18:19], v[20:21]
	ds_read_b128 v[18:21], v1 offset:1520
	buffer_load_dword v67, off, s[0:3], 0 offset:724
	buffer_load_dword v66, off, s[0:3], 0 offset:720
	;; [unrolled: 1-line block ×4, first 2 shown]
	v_mul_f64 v[12:13], v[12:13], v[58:59]
	v_add_f64 v[14:15], v[14:15], 0
	v_fma_f64 v[10:11], v[10:11], v[52:53], -v[12:13]
	v_mul_f64 v[8:9], v[8:9], v[60:61]
	v_add_f64 v[10:11], v[14:15], v[10:11]
	v_fma_f64 v[6:7], v[6:7], v[54:55], -v[8:9]
	;; [unrolled: 3-line block ×3, first 2 shown]
	v_add_f64 v[2:3], v[6:7], v[2:3]
	s_waitcnt vmcnt(0) lgkmcnt(0)
	v_mul_f64 v[24:25], v[18:19], v[68:69]
	v_fmac_f64_e32 v[24:25], v[20:21], v[66:67]
	v_add_f64 v[26:27], v[22:23], v[24:25]
	ds_read_b128 v[22:25], v1 offset:1536
	buffer_load_dword v71, off, s[0:3], 0 offset:740
	buffer_load_dword v70, off, s[0:3], 0 offset:736
	buffer_load_dword v73, off, s[0:3], 0 offset:748
	buffer_load_dword v72, off, s[0:3], 0 offset:744
	v_mul_f64 v[4:5], v[20:21], v[68:69]
	v_fma_f64 v[4:5], v[18:19], v[66:67], -v[4:5]
	v_add_f64 v[2:3], v[2:3], v[4:5]
	s_waitcnt vmcnt(0) lgkmcnt(0)
	v_mul_f64 v[28:29], v[22:23], v[72:73]
	v_fmac_f64_e32 v[28:29], v[24:25], v[70:71]
	v_add_f64 v[30:31], v[26:27], v[28:29]
	ds_read_b128 v[26:29], v1 offset:1552
	buffer_load_dword v75, off, s[0:3], 0 offset:756
	buffer_load_dword v74, off, s[0:3], 0 offset:752
	buffer_load_dword v77, off, s[0:3], 0 offset:764
	buffer_load_dword v76, off, s[0:3], 0 offset:760
	v_mul_f64 v[4:5], v[24:25], v[72:73]
	v_fma_f64 v[4:5], v[22:23], v[70:71], -v[4:5]
	;; [unrolled: 12-line block ×6, first 2 shown]
	v_add_f64 v[2:3], v[2:3], v[4:5]
	s_waitcnt vmcnt(0) lgkmcnt(0)
	v_mul_f64 v[4:5], v[44:45], v[92:93]
	v_mul_f64 v[96:97], v[42:43], v[92:93]
	v_fma_f64 v[4:5], v[42:43], v[90:91], -v[4:5]
	v_fmac_f64_e32 v[96:97], v[44:45], v[90:91]
	v_add_f64 v[2:3], v[2:3], v[4:5]
	v_add_f64 v[94:95], v[94:95], v[96:97]
	v_add_f64 v[2:3], v[48:49], -v[2:3]
	v_add_f64 v[4:5], v[46:47], -v[94:95]
	buffer_store_dword v3, off, s[0:3], 0 offset:644
	buffer_store_dword v2, off, s[0:3], 0 offset:640
	;; [unrolled: 1-line block ×4, first 2 shown]
	s_and_saveexec_b64 s[4:5], vcc
	s_cbranch_execz .LBB50_243
; %bb.242:
	v_accvgpr_read_b32 v0, a114
	buffer_load_dword v2, v0, s[0:3], 0 offen
	buffer_load_dword v3, v0, s[0:3], 0 offen offset:4
	buffer_load_dword v4, v0, s[0:3], 0 offen offset:8
	buffer_load_dword v5, v0, s[0:3], 0 offen offset:12
	v_accvgpr_read_b32 v0, a153
	buffer_store_dword v1, off, s[0:3], 0 offset:624
	buffer_store_dword v1, off, s[0:3], 0 offset:628
	;; [unrolled: 1-line block ×4, first 2 shown]
	s_waitcnt vmcnt(4)
	ds_write_b128 v0, v[2:5]
.LBB50_243:
	s_or_b64 exec, exec, s[4:5]
	s_waitcnt lgkmcnt(0)
	; wave barrier
	s_waitcnt lgkmcnt(0)
	ds_read_b128 v[14:17], v1 offset:1440
	ds_read_b128 v[10:13], v1 offset:1456
	;; [unrolled: 1-line block ×4, first 2 shown]
	buffer_load_dword v48, off, s[0:3], 0 offset:624
	buffer_load_dword v49, off, s[0:3], 0 offset:628
	;; [unrolled: 1-line block ×20, first 2 shown]
	v_cmp_lt_u32_e32 vcc, 37, v254
	s_waitcnt vmcnt(12) lgkmcnt(3)
	v_mul_f64 v[18:19], v[14:15], v[56:57]
	v_fmac_f64_e32 v[18:19], v[16:17], v[50:51]
	v_add_f64 v[18:19], v[18:19], 0
	v_mul_f64 v[16:17], v[16:17], v[56:57]
	s_waitcnt vmcnt(8) lgkmcnt(2)
	v_mul_f64 v[20:21], v[10:11], v[58:59]
	v_fmac_f64_e32 v[20:21], v[12:13], v[52:53]
	v_add_f64 v[18:19], v[18:19], v[20:21]
	v_fma_f64 v[14:15], v[14:15], v[50:51], -v[16:17]
	s_waitcnt vmcnt(4) lgkmcnt(1)
	v_mul_f64 v[20:21], v[6:7], v[60:61]
	v_fmac_f64_e32 v[20:21], v[8:9], v[54:55]
	v_add_f64 v[18:19], v[18:19], v[20:21]
	s_waitcnt vmcnt(0) lgkmcnt(0)
	v_mul_f64 v[20:21], v[2:3], v[64:65]
	v_fmac_f64_e32 v[20:21], v[4:5], v[62:63]
	v_add_f64 v[22:23], v[18:19], v[20:21]
	ds_read_b128 v[18:21], v1 offset:1504
	buffer_load_dword v67, off, s[0:3], 0 offset:708
	buffer_load_dword v66, off, s[0:3], 0 offset:704
	;; [unrolled: 1-line block ×4, first 2 shown]
	v_mul_f64 v[12:13], v[12:13], v[58:59]
	v_add_f64 v[14:15], v[14:15], 0
	v_fma_f64 v[10:11], v[10:11], v[52:53], -v[12:13]
	v_mul_f64 v[8:9], v[8:9], v[60:61]
	v_add_f64 v[10:11], v[14:15], v[10:11]
	v_fma_f64 v[6:7], v[6:7], v[54:55], -v[8:9]
	;; [unrolled: 3-line block ×3, first 2 shown]
	v_add_f64 v[2:3], v[6:7], v[2:3]
	s_waitcnt vmcnt(0) lgkmcnt(0)
	v_mul_f64 v[24:25], v[18:19], v[68:69]
	v_fmac_f64_e32 v[24:25], v[20:21], v[66:67]
	v_add_f64 v[26:27], v[22:23], v[24:25]
	ds_read_b128 v[22:25], v1 offset:1520
	buffer_load_dword v71, off, s[0:3], 0 offset:724
	buffer_load_dword v70, off, s[0:3], 0 offset:720
	buffer_load_dword v73, off, s[0:3], 0 offset:732
	buffer_load_dword v72, off, s[0:3], 0 offset:728
	v_mul_f64 v[4:5], v[20:21], v[68:69]
	v_fma_f64 v[4:5], v[18:19], v[66:67], -v[4:5]
	v_add_f64 v[2:3], v[2:3], v[4:5]
	s_waitcnt vmcnt(0) lgkmcnt(0)
	v_mul_f64 v[28:29], v[22:23], v[72:73]
	v_fmac_f64_e32 v[28:29], v[24:25], v[70:71]
	v_add_f64 v[30:31], v[26:27], v[28:29]
	ds_read_b128 v[26:29], v1 offset:1536
	buffer_load_dword v75, off, s[0:3], 0 offset:740
	buffer_load_dword v74, off, s[0:3], 0 offset:736
	buffer_load_dword v77, off, s[0:3], 0 offset:748
	buffer_load_dword v76, off, s[0:3], 0 offset:744
	v_mul_f64 v[4:5], v[24:25], v[72:73]
	v_fma_f64 v[4:5], v[22:23], v[70:71], -v[4:5]
	v_add_f64 v[2:3], v[2:3], v[4:5]
	s_waitcnt vmcnt(0) lgkmcnt(0)
	v_mul_f64 v[32:33], v[26:27], v[76:77]
	v_fmac_f64_e32 v[32:33], v[28:29], v[74:75]
	v_add_f64 v[34:35], v[30:31], v[32:33]
	ds_read_b128 v[30:33], v1 offset:1552
	buffer_load_dword v79, off, s[0:3], 0 offset:756
	buffer_load_dword v78, off, s[0:3], 0 offset:752
	buffer_load_dword v81, off, s[0:3], 0 offset:764
	buffer_load_dword v80, off, s[0:3], 0 offset:760
	v_mul_f64 v[4:5], v[28:29], v[76:77]
	v_fma_f64 v[4:5], v[26:27], v[74:75], -v[4:5]
	v_add_f64 v[2:3], v[2:3], v[4:5]
	s_waitcnt vmcnt(0) lgkmcnt(0)
	v_mul_f64 v[36:37], v[30:31], v[80:81]
	v_fmac_f64_e32 v[36:37], v[32:33], v[78:79]
	v_add_f64 v[38:39], v[34:35], v[36:37]
	ds_read_b128 v[34:37], v1 offset:1568
	buffer_load_dword v83, off, s[0:3], 0 offset:772
	buffer_load_dword v82, off, s[0:3], 0 offset:768
	buffer_load_dword v85, off, s[0:3], 0 offset:780
	buffer_load_dword v84, off, s[0:3], 0 offset:776
	v_mul_f64 v[4:5], v[32:33], v[80:81]
	v_fma_f64 v[4:5], v[30:31], v[78:79], -v[4:5]
	v_add_f64 v[2:3], v[2:3], v[4:5]
	s_waitcnt vmcnt(0) lgkmcnt(0)
	v_mul_f64 v[40:41], v[34:35], v[84:85]
	v_fmac_f64_e32 v[40:41], v[36:37], v[82:83]
	v_add_f64 v[42:43], v[38:39], v[40:41]
	ds_read_b128 v[38:41], v1 offset:1584
	buffer_load_dword v87, off, s[0:3], 0 offset:788
	buffer_load_dword v86, off, s[0:3], 0 offset:784
	buffer_load_dword v89, off, s[0:3], 0 offset:796
	buffer_load_dword v88, off, s[0:3], 0 offset:792
	v_mul_f64 v[4:5], v[36:37], v[84:85]
	v_fma_f64 v[4:5], v[34:35], v[82:83], -v[4:5]
	v_add_f64 v[2:3], v[2:3], v[4:5]
	s_waitcnt vmcnt(0) lgkmcnt(0)
	v_mul_f64 v[44:45], v[38:39], v[88:89]
	v_fmac_f64_e32 v[44:45], v[40:41], v[86:87]
	v_add_f64 v[94:95], v[42:43], v[44:45]
	ds_read_b128 v[42:45], v1 offset:1600
	buffer_load_dword v91, off, s[0:3], 0 offset:804
	buffer_load_dword v90, off, s[0:3], 0 offset:800
	buffer_load_dword v93, off, s[0:3], 0 offset:812
	buffer_load_dword v92, off, s[0:3], 0 offset:808
	v_mul_f64 v[4:5], v[40:41], v[88:89]
	v_fma_f64 v[4:5], v[38:39], v[86:87], -v[4:5]
	v_add_f64 v[2:3], v[2:3], v[4:5]
	s_waitcnt vmcnt(0) lgkmcnt(0)
	v_mul_f64 v[96:97], v[42:43], v[92:93]
	v_fmac_f64_e32 v[96:97], v[44:45], v[90:91]
	v_add_f64 v[98:99], v[94:95], v[96:97]
	ds_read_b128 v[94:97], v1 offset:1616
	buffer_load_dword v101, off, s[0:3], 0 offset:820
	buffer_load_dword v100, off, s[0:3], 0 offset:816
	buffer_load_dword v103, off, s[0:3], 0 offset:828
	buffer_load_dword v102, off, s[0:3], 0 offset:824
	v_mul_f64 v[4:5], v[44:45], v[92:93]
	v_fma_f64 v[4:5], v[42:43], v[90:91], -v[4:5]
	v_add_f64 v[2:3], v[2:3], v[4:5]
	s_waitcnt vmcnt(0) lgkmcnt(0)
	v_mul_f64 v[4:5], v[96:97], v[102:103]
	v_mul_f64 v[104:105], v[94:95], v[102:103]
	v_fma_f64 v[4:5], v[94:95], v[100:101], -v[4:5]
	v_fmac_f64_e32 v[104:105], v[96:97], v[100:101]
	v_add_f64 v[2:3], v[2:3], v[4:5]
	v_add_f64 v[98:99], v[98:99], v[104:105]
	v_add_f64 v[2:3], v[48:49], -v[2:3]
	v_add_f64 v[4:5], v[46:47], -v[98:99]
	buffer_store_dword v3, off, s[0:3], 0 offset:628
	buffer_store_dword v2, off, s[0:3], 0 offset:624
	;; [unrolled: 1-line block ×4, first 2 shown]
	s_and_saveexec_b64 s[4:5], vcc
	s_cbranch_execz .LBB50_245
; %bb.244:
	v_accvgpr_read_b32 v0, a115
	buffer_load_dword v2, v0, s[0:3], 0 offen
	buffer_load_dword v3, v0, s[0:3], 0 offen offset:4
	buffer_load_dword v4, v0, s[0:3], 0 offen offset:8
	;; [unrolled: 1-line block ×3, first 2 shown]
	v_mov_b32_e32 v0, 0
	v_accvgpr_read_b32 v1, a153
	buffer_store_dword v0, off, s[0:3], 0 offset:608
	buffer_store_dword v0, off, s[0:3], 0 offset:612
	;; [unrolled: 1-line block ×4, first 2 shown]
	s_waitcnt vmcnt(4)
	ds_write_b128 v1, v[2:5]
.LBB50_245:
	s_or_b64 exec, exec, s[4:5]
	s_waitcnt lgkmcnt(0)
	; wave barrier
	s_waitcnt lgkmcnt(0)
	buffer_load_dword v2, off, s[0:3], 0 offset:624
	buffer_load_dword v3, off, s[0:3], 0 offset:628
	;; [unrolled: 1-line block ×56, first 2 shown]
	v_mov_b32_e32 v1, 0
	ds_read_b128 v[30:33], v1 offset:1424
	ds_read_b128 v[34:37], v1 offset:1440
	ds_read_b128 v[38:41], v1 offset:1456
	ds_read_b128 v[42:45], v1 offset:1472
	ds_read_b128 v[46:49], v1 offset:1488
	ds_read_b128 v[50:53], v1 offset:1504
	ds_read_b128 v[54:57], v1 offset:1520
	ds_read_b128 v[58:61], v1 offset:1536
	ds_read_b128 v[78:81], v1 offset:1616
	v_cmp_lt_u32_e32 vcc, 36, v254
	s_waitcnt vmcnt(52) lgkmcnt(8)
	v_mul_f64 v[62:63], v[30:31], v[6:7]
	v_fmac_f64_e32 v[62:63], v[32:33], v[2:3]
	v_mul_f64 v[6:7], v[32:33], v[6:7]
	v_add_f64 v[62:63], v[62:63], 0
	s_waitcnt vmcnt(48) lgkmcnt(7)
	v_mul_f64 v[64:65], v[34:35], v[8:9]
	v_fmac_f64_e32 v[64:65], v[36:37], v[4:5]
	s_waitcnt vmcnt(46) lgkmcnt(6)
	v_mul_f64 v[66:67], v[38:39], v[10:11]
	v_fma_f64 v[2:3], v[30:31], v[2:3], -v[6:7]
	v_mul_f64 v[6:7], v[36:37], v[8:9]
	s_waitcnt vmcnt(44) lgkmcnt(5)
	v_mul_f64 v[68:69], v[42:43], v[12:13]
	v_add_f64 v[62:63], v[62:63], v[64:65]
	v_add_f64 v[2:3], v[2:3], 0
	v_fma_f64 v[4:5], v[34:35], v[4:5], -v[6:7]
	v_add_f64 v[2:3], v[2:3], v[4:5]
	v_mul_f64 v[4:5], v[40:41], v[10:11]
	s_waitcnt vmcnt(37) lgkmcnt(4)
	v_mul_f64 v[70:71], v[46:47], v[20:21]
	s_waitcnt lgkmcnt(3)
	v_mul_f64 v[72:73], v[50:51], v[18:19]
	s_waitcnt vmcnt(35)
	v_fmac_f64_e32 v[70:71], v[48:49], v[22:23]
	s_waitcnt lgkmcnt(2)
	v_mul_f64 v[74:75], v[54:55], v[14:15]
	s_waitcnt vmcnt(33)
	v_fmac_f64_e32 v[66:67], v[40:41], v[28:29]
	v_add_f64 v[62:63], v[62:63], v[66:67]
	s_waitcnt vmcnt(31)
	v_fmac_f64_e32 v[68:69], v[44:45], v[26:27]
	v_add_f64 v[62:63], v[62:63], v[68:69]
	v_fma_f64 v[4:5], v[38:39], v[28:29], -v[4:5]
	s_waitcnt vmcnt(29)
	v_fmac_f64_e32 v[72:73], v[52:53], v[24:25]
	v_add_f64 v[62:63], v[62:63], v[70:71]
	v_add_f64 v[2:3], v[2:3], v[4:5]
	v_mul_f64 v[4:5], v[44:45], v[12:13]
	s_waitcnt vmcnt(28)
	v_fmac_f64_e32 v[74:75], v[56:57], v[16:17]
	v_add_f64 v[62:63], v[62:63], v[72:73]
	v_fma_f64 v[4:5], v[42:43], v[26:27], -v[4:5]
	v_add_f64 v[66:67], v[62:63], v[74:75]
	ds_read_b128 v[62:65], v1 offset:1552
	s_waitcnt vmcnt(24) lgkmcnt(2)
	v_mul_f64 v[68:69], v[58:59], v[86:87]
	v_add_f64 v[2:3], v[2:3], v[4:5]
	v_mul_f64 v[4:5], v[48:49], v[20:21]
	s_waitcnt vmcnt(22)
	v_fmac_f64_e32 v[68:69], v[60:61], v[88:89]
	v_fma_f64 v[4:5], v[46:47], v[22:23], -v[4:5]
	v_add_f64 v[70:71], v[66:67], v[68:69]
	ds_read_b128 v[66:69], v1 offset:1568
	v_add_f64 v[2:3], v[2:3], v[4:5]
	v_mul_f64 v[4:5], v[52:53], v[18:19]
	v_fma_f64 v[4:5], v[50:51], v[24:25], -v[4:5]
	v_add_f64 v[2:3], v[2:3], v[4:5]
	v_mul_f64 v[4:5], v[56:57], v[14:15]
	s_waitcnt vmcnt(21) lgkmcnt(1)
	v_mul_f64 v[72:73], v[62:63], v[82:83]
	v_fma_f64 v[4:5], v[54:55], v[16:17], -v[4:5]
	s_waitcnt vmcnt(20)
	v_fmac_f64_e32 v[72:73], v[64:65], v[84:85]
	v_add_f64 v[2:3], v[2:3], v[4:5]
	v_mul_f64 v[4:5], v[60:61], v[86:87]
	v_add_f64 v[74:75], v[70:71], v[72:73]
	ds_read_b128 v[70:73], v1 offset:1584
	s_waitcnt vmcnt(16) lgkmcnt(1)
	v_mul_f64 v[76:77], v[66:67], v[94:95]
	v_fma_f64 v[4:5], v[58:59], v[88:89], -v[4:5]
	s_waitcnt vmcnt(14)
	v_fmac_f64_e32 v[76:77], v[68:69], v[96:97]
	v_add_f64 v[2:3], v[2:3], v[4:5]
	v_mul_f64 v[4:5], v[64:65], v[82:83]
	v_add_f64 v[110:111], v[74:75], v[76:77]
	ds_read_b128 v[74:77], v1 offset:1600
	v_fma_f64 v[4:5], v[62:63], v[84:85], -v[4:5]
	v_add_f64 v[2:3], v[2:3], v[4:5]
	v_mul_f64 v[4:5], v[68:69], v[94:95]
	v_fma_f64 v[4:5], v[66:67], v[96:97], -v[4:5]
	v_add_f64 v[2:3], v[2:3], v[4:5]
	s_waitcnt vmcnt(13) lgkmcnt(1)
	v_mul_f64 v[4:5], v[72:73], v[90:91]
	v_mul_f64 v[112:113], v[70:71], v[90:91]
	s_waitcnt vmcnt(12)
	v_fma_f64 v[4:5], v[70:71], v[92:93], -v[4:5]
	v_fmac_f64_e32 v[112:113], v[72:73], v[92:93]
	v_add_f64 v[2:3], v[2:3], v[4:5]
	s_waitcnt vmcnt(8) lgkmcnt(0)
	v_mul_f64 v[4:5], v[76:77], v[102:103]
	v_add_f64 v[110:111], v[110:111], v[112:113]
	v_mul_f64 v[112:113], v[74:75], v[102:103]
	s_waitcnt vmcnt(6)
	v_fma_f64 v[4:5], v[74:75], v[104:105], -v[4:5]
	v_fmac_f64_e32 v[112:113], v[76:77], v[104:105]
	v_add_f64 v[2:3], v[2:3], v[4:5]
	s_waitcnt vmcnt(5)
	v_mul_f64 v[4:5], v[80:81], v[98:99]
	v_add_f64 v[110:111], v[110:111], v[112:113]
	v_mul_f64 v[112:113], v[78:79], v[98:99]
	s_waitcnt vmcnt(4)
	v_fma_f64 v[4:5], v[78:79], v[100:101], -v[4:5]
	v_fmac_f64_e32 v[112:113], v[80:81], v[100:101]
	v_add_f64 v[2:3], v[2:3], v[4:5]
	v_add_f64 v[110:111], v[110:111], v[112:113]
	s_waitcnt vmcnt(2)
	v_add_f64 v[2:3], v[106:107], -v[2:3]
	s_waitcnt vmcnt(0)
	v_add_f64 v[4:5], v[108:109], -v[110:111]
	buffer_store_dword v3, off, s[0:3], 0 offset:612
	buffer_store_dword v2, off, s[0:3], 0 offset:608
	;; [unrolled: 1-line block ×4, first 2 shown]
	s_and_saveexec_b64 s[4:5], vcc
	s_cbranch_execz .LBB50_247
; %bb.246:
	v_accvgpr_read_b32 v0, a116
	buffer_load_dword v2, v0, s[0:3], 0 offen
	buffer_load_dword v3, v0, s[0:3], 0 offen offset:4
	buffer_load_dword v4, v0, s[0:3], 0 offen offset:8
	;; [unrolled: 1-line block ×3, first 2 shown]
	v_accvgpr_read_b32 v0, a153
	buffer_store_dword v1, off, s[0:3], 0 offset:592
	buffer_store_dword v1, off, s[0:3], 0 offset:596
	;; [unrolled: 1-line block ×4, first 2 shown]
	s_waitcnt vmcnt(4)
	ds_write_b128 v0, v[2:5]
.LBB50_247:
	s_or_b64 exec, exec, s[4:5]
	s_waitcnt lgkmcnt(0)
	; wave barrier
	s_waitcnt lgkmcnt(0)
	buffer_load_dword v2, off, s[0:3], 0 offset:608
	buffer_load_dword v3, off, s[0:3], 0 offset:612
	;; [unrolled: 1-line block ×60, first 2 shown]
	ds_read_b128 v[30:33], v1 offset:1408
	ds_read_b128 v[34:37], v1 offset:1424
	;; [unrolled: 1-line block ×8, first 2 shown]
	v_cmp_lt_u32_e32 vcc, 35, v254
	ds_read_b128 v[82:85], v1 offset:1616
	s_waitcnt vmcnt(56) lgkmcnt(8)
	v_mul_f64 v[62:63], v[30:31], v[6:7]
	v_fmac_f64_e32 v[62:63], v[32:33], v[2:3]
	v_add_f64 v[62:63], v[62:63], 0
	v_mul_f64 v[6:7], v[32:33], v[6:7]
	s_waitcnt vmcnt(52) lgkmcnt(7)
	v_mul_f64 v[64:65], v[34:35], v[8:9]
	v_fmac_f64_e32 v[64:65], v[36:37], v[4:5]
	s_waitcnt vmcnt(50) lgkmcnt(6)
	v_mul_f64 v[66:67], v[38:39], v[10:11]
	v_add_f64 v[62:63], v[62:63], v[64:65]
	s_waitcnt vmcnt(48) lgkmcnt(4)
	v_mul_f64 v[70:71], v[46:47], v[12:13]
	v_fma_f64 v[2:3], v[30:31], v[2:3], -v[6:7]
	s_waitcnt vmcnt(46)
	v_fmac_f64_e32 v[70:71], v[48:49], v[14:15]
	v_mul_f64 v[6:7], v[36:37], v[8:9]
	s_waitcnt vmcnt(44)
	v_mul_f64 v[68:69], v[42:43], v[16:17]
	v_add_f64 v[2:3], v[2:3], 0
	v_fma_f64 v[4:5], v[34:35], v[4:5], -v[6:7]
	v_add_f64 v[2:3], v[2:3], v[4:5]
	s_waitcnt vmcnt(40) lgkmcnt(3)
	v_mul_f64 v[72:73], v[50:51], v[22:23]
	v_mul_f64 v[4:5], v[40:41], v[10:11]
	s_waitcnt vmcnt(38)
	v_fmac_f64_e32 v[66:67], v[40:41], v[28:29]
	v_add_f64 v[62:63], v[62:63], v[66:67]
	s_waitcnt vmcnt(36)
	v_fmac_f64_e32 v[68:69], v[44:45], v[26:27]
	v_add_f64 v[62:63], v[62:63], v[68:69]
	;; [unrolled: 3-line block ×3, first 2 shown]
	s_waitcnt vmcnt(33) lgkmcnt(2)
	v_mul_f64 v[64:65], v[54:55], v[18:19]
	v_add_f64 v[62:63], v[62:63], v[72:73]
	s_waitcnt vmcnt(32)
	v_fmac_f64_e32 v[64:65], v[56:57], v[20:21]
	v_add_f64 v[66:67], v[62:63], v[64:65]
	ds_read_b128 v[62:65], v1 offset:1536
	v_fma_f64 v[4:5], v[38:39], v[28:29], -v[4:5]
	v_add_f64 v[2:3], v[2:3], v[4:5]
	v_mul_f64 v[4:5], v[44:45], v[16:17]
	v_fma_f64 v[4:5], v[42:43], v[26:27], -v[4:5]
	s_waitcnt vmcnt(28) lgkmcnt(2)
	v_mul_f64 v[68:69], v[58:59], v[90:91]
	v_add_f64 v[2:3], v[2:3], v[4:5]
	v_mul_f64 v[4:5], v[48:49], v[12:13]
	s_waitcnt vmcnt(26)
	v_fmac_f64_e32 v[68:69], v[60:61], v[92:93]
	v_fma_f64 v[4:5], v[46:47], v[14:15], -v[4:5]
	v_add_f64 v[70:71], v[66:67], v[68:69]
	ds_read_b128 v[66:69], v1 offset:1552
	s_waitcnt vmcnt(25) lgkmcnt(1)
	v_mul_f64 v[72:73], v[62:63], v[86:87]
	v_add_f64 v[2:3], v[2:3], v[4:5]
	v_mul_f64 v[4:5], v[52:53], v[22:23]
	s_waitcnt vmcnt(24)
	v_fmac_f64_e32 v[72:73], v[64:65], v[88:89]
	v_fma_f64 v[4:5], v[50:51], v[24:25], -v[4:5]
	v_add_f64 v[74:75], v[70:71], v[72:73]
	ds_read_b128 v[70:73], v1 offset:1568
	v_add_f64 v[2:3], v[2:3], v[4:5]
	v_mul_f64 v[4:5], v[56:57], v[18:19]
	v_fma_f64 v[4:5], v[54:55], v[20:21], -v[4:5]
	v_add_f64 v[2:3], v[2:3], v[4:5]
	v_mul_f64 v[4:5], v[60:61], v[90:91]
	s_waitcnt vmcnt(20) lgkmcnt(1)
	v_mul_f64 v[76:77], v[66:67], v[98:99]
	v_fma_f64 v[4:5], v[58:59], v[92:93], -v[4:5]
	s_waitcnt vmcnt(18)
	v_fmac_f64_e32 v[76:77], v[68:69], v[100:101]
	v_add_f64 v[2:3], v[2:3], v[4:5]
	v_mul_f64 v[4:5], v[64:65], v[86:87]
	v_add_f64 v[78:79], v[74:75], v[76:77]
	ds_read_b128 v[74:77], v1 offset:1584
	s_waitcnt vmcnt(17) lgkmcnt(1)
	v_mul_f64 v[80:81], v[70:71], v[94:95]
	v_fma_f64 v[4:5], v[62:63], v[88:89], -v[4:5]
	s_waitcnt vmcnt(16)
	v_fmac_f64_e32 v[80:81], v[72:73], v[96:97]
	v_add_f64 v[2:3], v[2:3], v[4:5]
	v_mul_f64 v[4:5], v[68:69], v[98:99]
	v_add_f64 v[118:119], v[78:79], v[80:81]
	ds_read_b128 v[78:81], v1 offset:1600
	v_fma_f64 v[4:5], v[66:67], v[100:101], -v[4:5]
	v_add_f64 v[2:3], v[2:3], v[4:5]
	v_mul_f64 v[4:5], v[72:73], v[94:95]
	v_fma_f64 v[4:5], v[70:71], v[96:97], -v[4:5]
	v_add_f64 v[2:3], v[2:3], v[4:5]
	s_waitcnt vmcnt(12) lgkmcnt(1)
	v_mul_f64 v[4:5], v[76:77], v[106:107]
	v_mul_f64 v[120:121], v[74:75], v[106:107]
	s_waitcnt vmcnt(10)
	v_fma_f64 v[4:5], v[74:75], v[108:109], -v[4:5]
	v_fmac_f64_e32 v[120:121], v[76:77], v[108:109]
	v_add_f64 v[2:3], v[2:3], v[4:5]
	s_waitcnt vmcnt(9) lgkmcnt(0)
	v_mul_f64 v[4:5], v[80:81], v[102:103]
	v_add_f64 v[118:119], v[118:119], v[120:121]
	v_mul_f64 v[120:121], v[78:79], v[102:103]
	s_waitcnt vmcnt(8)
	v_fma_f64 v[4:5], v[78:79], v[104:105], -v[4:5]
	v_fmac_f64_e32 v[120:121], v[80:81], v[104:105]
	v_add_f64 v[2:3], v[2:3], v[4:5]
	s_waitcnt vmcnt(6)
	v_mul_f64 v[4:5], v[84:85], v[110:111]
	v_add_f64 v[118:119], v[118:119], v[120:121]
	v_mul_f64 v[120:121], v[82:83], v[110:111]
	s_waitcnt vmcnt(4)
	v_fma_f64 v[4:5], v[82:83], v[112:113], -v[4:5]
	v_fmac_f64_e32 v[120:121], v[84:85], v[112:113]
	v_add_f64 v[2:3], v[2:3], v[4:5]
	v_add_f64 v[118:119], v[118:119], v[120:121]
	s_waitcnt vmcnt(2)
	v_add_f64 v[2:3], v[114:115], -v[2:3]
	s_waitcnt vmcnt(0)
	v_add_f64 v[4:5], v[116:117], -v[118:119]
	buffer_store_dword v3, off, s[0:3], 0 offset:596
	buffer_store_dword v2, off, s[0:3], 0 offset:592
	;; [unrolled: 1-line block ×4, first 2 shown]
	s_and_saveexec_b64 s[4:5], vcc
	s_cbranch_execz .LBB50_249
; %bb.248:
	v_accvgpr_read_b32 v0, a117
	buffer_load_dword v2, v0, s[0:3], 0 offen
	buffer_load_dword v3, v0, s[0:3], 0 offen offset:4
	buffer_load_dword v4, v0, s[0:3], 0 offen offset:8
	;; [unrolled: 1-line block ×3, first 2 shown]
	v_mov_b32_e32 v0, 0
	v_accvgpr_read_b32 v1, a153
	buffer_store_dword v0, off, s[0:3], 0 offset:576
	buffer_store_dword v0, off, s[0:3], 0 offset:580
	;; [unrolled: 1-line block ×4, first 2 shown]
	s_waitcnt vmcnt(4)
	ds_write_b128 v1, v[2:5]
.LBB50_249:
	s_or_b64 exec, exec, s[4:5]
	s_waitcnt lgkmcnt(0)
	; wave barrier
	s_waitcnt lgkmcnt(0)
	buffer_load_dword v2, off, s[0:3], 0 offset:592
	buffer_load_dword v3, off, s[0:3], 0 offset:596
	;; [unrolled: 1-line block ×64, first 2 shown]
	v_mov_b32_e32 v1, 0
	ds_read_b128 v[38:41], v1 offset:1392
	ds_read_b128 v[42:45], v1 offset:1408
	;; [unrolled: 1-line block ×7, first 2 shown]
	v_cmp_lt_u32_e32 vcc, 34, v254
	s_waitcnt vmcnt(60) lgkmcnt(6)
	v_mul_f64 v[62:63], v[38:39], v[4:5]
	v_fmac_f64_e32 v[62:63], v[40:41], v[2:3]
	s_waitcnt vmcnt(58) lgkmcnt(5)
	v_mul_f64 v[64:65], v[42:43], v[6:7]
	v_add_f64 v[62:63], v[62:63], 0
	s_waitcnt vmcnt(56) lgkmcnt(4)
	v_mul_f64 v[66:67], v[46:47], v[8:9]
	v_mul_f64 v[4:5], v[40:41], v[4:5]
	s_waitcnt vmcnt(54) lgkmcnt(2)
	v_mul_f64 v[70:71], v[54:55], v[10:11]
	v_fma_f64 v[2:3], v[38:39], v[2:3], -v[4:5]
	v_mul_f64 v[4:5], v[44:45], v[6:7]
	s_waitcnt vmcnt(51)
	v_mul_f64 v[68:69], v[50:51], v[14:15]
	v_add_f64 v[2:3], v[2:3], 0
	s_waitcnt vmcnt(49)
	v_fmac_f64_e32 v[64:65], v[44:45], v[20:21]
	v_add_f64 v[62:63], v[62:63], v[64:65]
	s_waitcnt vmcnt(47)
	v_fmac_f64_e32 v[66:67], v[48:49], v[18:19]
	;; [unrolled: 3-line block ×4, first 2 shown]
	v_add_f64 v[66:67], v[62:63], v[70:71]
	ds_read_b128 v[62:65], v1 offset:1488
	s_waitcnt vmcnt(40) lgkmcnt(2)
	v_mul_f64 v[68:69], v[58:59], v[26:27]
	v_fma_f64 v[4:5], v[42:43], v[20:21], -v[4:5]
	s_waitcnt vmcnt(38)
	v_fmac_f64_e32 v[68:69], v[60:61], v[28:29]
	v_add_f64 v[70:71], v[66:67], v[68:69]
	ds_read_b128 v[66:69], v1 offset:1504
	s_waitcnt vmcnt(37) lgkmcnt(1)
	v_mul_f64 v[72:73], v[62:63], v[22:23]
	s_waitcnt vmcnt(36)
	v_fmac_f64_e32 v[72:73], v[64:65], v[24:25]
	v_add_f64 v[2:3], v[2:3], v[4:5]
	v_mul_f64 v[4:5], v[48:49], v[8:9]
	v_add_f64 v[74:75], v[70:71], v[72:73]
	ds_read_b128 v[70:73], v1 offset:1520
	s_waitcnt vmcnt(32) lgkmcnt(1)
	v_mul_f64 v[76:77], v[66:67], v[34:35]
	v_fma_f64 v[4:5], v[46:47], v[18:19], -v[4:5]
	s_waitcnt vmcnt(30)
	v_fmac_f64_e32 v[76:77], v[68:69], v[36:37]
	v_add_f64 v[2:3], v[2:3], v[4:5]
	v_mul_f64 v[4:5], v[52:53], v[14:15]
	v_add_f64 v[78:79], v[74:75], v[76:77]
	ds_read_b128 v[74:77], v1 offset:1536
	v_fma_f64 v[4:5], v[50:51], v[16:17], -v[4:5]
	v_add_f64 v[2:3], v[2:3], v[4:5]
	v_mul_f64 v[4:5], v[56:57], v[10:11]
	v_fma_f64 v[4:5], v[54:55], v[12:13], -v[4:5]
	s_waitcnt vmcnt(29) lgkmcnt(1)
	v_mul_f64 v[80:81], v[70:71], v[30:31]
	v_add_f64 v[2:3], v[2:3], v[4:5]
	v_mul_f64 v[4:5], v[60:61], v[26:27]
	s_waitcnt vmcnt(28)
	v_fmac_f64_e32 v[80:81], v[72:73], v[32:33]
	v_fma_f64 v[4:5], v[58:59], v[28:29], -v[4:5]
	v_add_f64 v[82:83], v[78:79], v[80:81]
	ds_read_b128 v[78:81], v1 offset:1552
	s_waitcnt vmcnt(24) lgkmcnt(1)
	v_mul_f64 v[84:85], v[74:75], v[102:103]
	v_add_f64 v[2:3], v[2:3], v[4:5]
	v_mul_f64 v[4:5], v[64:65], v[22:23]
	s_waitcnt vmcnt(22)
	v_fmac_f64_e32 v[84:85], v[76:77], v[104:105]
	v_fma_f64 v[4:5], v[62:63], v[24:25], -v[4:5]
	v_add_f64 v[86:87], v[82:83], v[84:85]
	ds_read_b128 v[82:85], v1 offset:1568
	v_add_f64 v[2:3], v[2:3], v[4:5]
	v_mul_f64 v[4:5], v[68:69], v[34:35]
	v_fma_f64 v[4:5], v[66:67], v[36:37], -v[4:5]
	v_add_f64 v[2:3], v[2:3], v[4:5]
	v_mul_f64 v[4:5], v[72:73], v[30:31]
	s_waitcnt vmcnt(21) lgkmcnt(1)
	v_mul_f64 v[88:89], v[78:79], v[98:99]
	v_fma_f64 v[4:5], v[70:71], v[32:33], -v[4:5]
	s_waitcnt vmcnt(20)
	v_fmac_f64_e32 v[88:89], v[80:81], v[100:101]
	v_add_f64 v[2:3], v[2:3], v[4:5]
	v_mul_f64 v[4:5], v[76:77], v[102:103]
	v_add_f64 v[90:91], v[86:87], v[88:89]
	ds_read_b128 v[86:89], v1 offset:1584
	s_waitcnt vmcnt(16) lgkmcnt(1)
	v_mul_f64 v[92:93], v[82:83], v[110:111]
	v_fma_f64 v[4:5], v[74:75], v[104:105], -v[4:5]
	s_waitcnt vmcnt(14)
	v_fmac_f64_e32 v[92:93], v[84:85], v[112:113]
	v_add_f64 v[2:3], v[2:3], v[4:5]
	v_mul_f64 v[4:5], v[80:81], v[98:99]
	v_add_f64 v[126:127], v[90:91], v[92:93]
	ds_read_b128 v[90:93], v1 offset:1600
	v_fma_f64 v[4:5], v[78:79], v[100:101], -v[4:5]
	v_add_f64 v[2:3], v[2:3], v[4:5]
	v_mul_f64 v[4:5], v[84:85], v[110:111]
	v_fma_f64 v[4:5], v[82:83], v[112:113], -v[4:5]
	v_add_f64 v[2:3], v[2:3], v[4:5]
	s_waitcnt vmcnt(13) lgkmcnt(1)
	v_mul_f64 v[4:5], v[88:89], v[106:107]
	v_mul_f64 v[128:129], v[86:87], v[106:107]
	s_waitcnt vmcnt(12)
	v_fma_f64 v[4:5], v[86:87], v[108:109], -v[4:5]
	v_fmac_f64_e32 v[128:129], v[88:89], v[108:109]
	v_add_f64 v[2:3], v[2:3], v[4:5]
	s_waitcnt vmcnt(8) lgkmcnt(0)
	v_mul_f64 v[4:5], v[92:93], v[118:119]
	v_add_f64 v[126:127], v[126:127], v[128:129]
	v_mul_f64 v[128:129], v[90:91], v[118:119]
	s_waitcnt vmcnt(6)
	v_fma_f64 v[4:5], v[90:91], v[120:121], -v[4:5]
	v_fmac_f64_e32 v[128:129], v[92:93], v[120:121]
	v_add_f64 v[2:3], v[2:3], v[4:5]
	s_waitcnt vmcnt(5)
	v_mul_f64 v[4:5], v[96:97], v[114:115]
	v_add_f64 v[126:127], v[126:127], v[128:129]
	v_mul_f64 v[128:129], v[94:95], v[114:115]
	s_waitcnt vmcnt(4)
	v_fma_f64 v[4:5], v[94:95], v[116:117], -v[4:5]
	v_fmac_f64_e32 v[128:129], v[96:97], v[116:117]
	v_add_f64 v[2:3], v[2:3], v[4:5]
	v_add_f64 v[126:127], v[126:127], v[128:129]
	s_waitcnt vmcnt(2)
	v_add_f64 v[2:3], v[122:123], -v[2:3]
	s_waitcnt vmcnt(0)
	v_add_f64 v[4:5], v[124:125], -v[126:127]
	buffer_store_dword v3, off, s[0:3], 0 offset:580
	buffer_store_dword v2, off, s[0:3], 0 offset:576
	;; [unrolled: 1-line block ×4, first 2 shown]
	s_and_saveexec_b64 s[4:5], vcc
	s_cbranch_execz .LBB50_251
; %bb.250:
	v_accvgpr_read_b32 v0, a118
	buffer_load_dword v2, v0, s[0:3], 0 offen
	buffer_load_dword v3, v0, s[0:3], 0 offen offset:4
	buffer_load_dword v4, v0, s[0:3], 0 offen offset:8
	buffer_load_dword v5, v0, s[0:3], 0 offen offset:12
	v_accvgpr_read_b32 v0, a153
	buffer_store_dword v1, off, s[0:3], 0 offset:560
	buffer_store_dword v1, off, s[0:3], 0 offset:564
	buffer_store_dword v1, off, s[0:3], 0 offset:568
	buffer_store_dword v1, off, s[0:3], 0 offset:572
	s_waitcnt vmcnt(4)
	ds_write_b128 v0, v[2:5]
.LBB50_251:
	s_or_b64 exec, exec, s[4:5]
	s_waitcnt lgkmcnt(0)
	; wave barrier
	s_waitcnt lgkmcnt(0)
	buffer_load_dword v2, off, s[0:3], 0 offset:576
	buffer_load_dword v3, off, s[0:3], 0 offset:580
	;; [unrolled: 1-line block ×64, first 2 shown]
	ds_read_b128 v[46:49], v1 offset:1376
	ds_read_b128 v[50:53], v1 offset:1392
	;; [unrolled: 1-line block ×4, first 2 shown]
	buffer_load_dword v130, off, s[0:3], 0 offset:560
	buffer_load_dword v131, off, s[0:3], 0 offset:564
	;; [unrolled: 1-line block ×4, first 2 shown]
	v_cmp_lt_u32_e32 vcc, 33, v254
	ds_read_b128 v[106:109], v1 offset:1616
	s_waitcnt vmcnt(62) lgkmcnt(4)
	v_mul_f64 v[62:63], v[46:47], v[4:5]
	v_fmac_f64_e32 v[62:63], v[48:49], v[2:3]
	v_add_f64 v[62:63], v[62:63], 0
	s_waitcnt lgkmcnt(2)
	v_mul_f64 v[66:67], v[54:55], v[6:7]
	v_mul_f64 v[4:5], v[48:49], v[4:5]
	v_fma_f64 v[2:3], v[46:47], v[2:3], -v[4:5]
	s_waitcnt vmcnt(58) lgkmcnt(1)
	v_mul_f64 v[68:69], v[58:59], v[12:13]
	v_add_f64 v[2:3], v[2:3], 0
	s_waitcnt vmcnt(56)
	v_mul_f64 v[64:65], v[50:51], v[18:19]
	v_mul_f64 v[4:5], v[52:53], v[18:19]
	s_waitcnt vmcnt(53)
	v_fmac_f64_e32 v[66:67], v[56:57], v[16:17]
	s_waitcnt vmcnt(52)
	v_fmac_f64_e32 v[64:65], v[52:53], v[20:21]
	v_add_f64 v[70:71], v[62:63], v[64:65]
	ds_read_b128 v[62:65], v1 offset:1440
	v_add_f64 v[66:67], v[70:71], v[66:67]
	s_waitcnt vmcnt(50)
	v_fmac_f64_e32 v[68:69], v[60:61], v[14:15]
	v_add_f64 v[70:71], v[66:67], v[68:69]
	ds_read_b128 v[66:69], v1 offset:1456
	s_waitcnt vmcnt(49) lgkmcnt(1)
	v_mul_f64 v[72:73], v[62:63], v[8:9]
	s_waitcnt vmcnt(48)
	v_fmac_f64_e32 v[72:73], v[64:65], v[10:11]
	v_add_f64 v[74:75], v[70:71], v[72:73]
	ds_read_b128 v[70:73], v1 offset:1472
	s_waitcnt vmcnt(44) lgkmcnt(1)
	v_mul_f64 v[76:77], v[66:67], v[26:27]
	;; [unrolled: 6-line block ×3, first 2 shown]
	s_waitcnt vmcnt(40)
	v_fmac_f64_e32 v[80:81], v[72:73], v[24:25]
	v_add_f64 v[82:83], v[78:79], v[80:81]
	ds_read_b128 v[78:81], v1 offset:1504
	v_fma_f64 v[4:5], v[50:51], v[20:21], -v[4:5]
	v_add_f64 v[2:3], v[2:3], v[4:5]
	v_mul_f64 v[4:5], v[56:57], v[6:7]
	s_waitcnt vmcnt(36) lgkmcnt(1)
	v_mul_f64 v[84:85], v[74:75], v[34:35]
	v_fma_f64 v[4:5], v[54:55], v[16:17], -v[4:5]
	s_waitcnt vmcnt(34)
	v_fmac_f64_e32 v[84:85], v[76:77], v[36:37]
	v_add_f64 v[2:3], v[2:3], v[4:5]
	v_mul_f64 v[4:5], v[60:61], v[12:13]
	v_add_f64 v[86:87], v[82:83], v[84:85]
	ds_read_b128 v[82:85], v1 offset:1520
	s_waitcnt vmcnt(33) lgkmcnt(1)
	v_mul_f64 v[88:89], v[78:79], v[30:31]
	v_fma_f64 v[4:5], v[58:59], v[14:15], -v[4:5]
	s_waitcnt vmcnt(32)
	v_fmac_f64_e32 v[88:89], v[80:81], v[32:33]
	v_add_f64 v[2:3], v[2:3], v[4:5]
	v_mul_f64 v[4:5], v[64:65], v[8:9]
	v_add_f64 v[90:91], v[86:87], v[88:89]
	ds_read_b128 v[86:89], v1 offset:1536
	v_fma_f64 v[4:5], v[62:63], v[10:11], -v[4:5]
	v_add_f64 v[2:3], v[2:3], v[4:5]
	v_mul_f64 v[4:5], v[68:69], v[26:27]
	v_fma_f64 v[4:5], v[66:67], v[28:29], -v[4:5]
	s_waitcnt vmcnt(28) lgkmcnt(1)
	v_mul_f64 v[92:93], v[82:83], v[42:43]
	v_add_f64 v[2:3], v[2:3], v[4:5]
	v_mul_f64 v[4:5], v[72:73], v[22:23]
	s_waitcnt vmcnt(26)
	v_fmac_f64_e32 v[92:93], v[84:85], v[44:45]
	v_fma_f64 v[4:5], v[70:71], v[24:25], -v[4:5]
	v_add_f64 v[94:95], v[90:91], v[92:93]
	ds_read_b128 v[90:93], v1 offset:1552
	s_waitcnt vmcnt(25) lgkmcnt(1)
	v_mul_f64 v[96:97], v[86:87], v[38:39]
	v_add_f64 v[2:3], v[2:3], v[4:5]
	v_mul_f64 v[4:5], v[76:77], v[34:35]
	s_waitcnt vmcnt(24)
	v_fmac_f64_e32 v[96:97], v[88:89], v[40:41]
	v_fma_f64 v[4:5], v[74:75], v[36:37], -v[4:5]
	v_add_f64 v[98:99], v[94:95], v[96:97]
	ds_read_b128 v[94:97], v1 offset:1568
	v_add_f64 v[2:3], v[2:3], v[4:5]
	v_mul_f64 v[4:5], v[80:81], v[30:31]
	v_fma_f64 v[4:5], v[78:79], v[32:33], -v[4:5]
	v_add_f64 v[2:3], v[2:3], v[4:5]
	v_mul_f64 v[4:5], v[84:85], v[42:43]
	s_waitcnt vmcnt(20) lgkmcnt(1)
	v_mul_f64 v[100:101], v[90:91], v[114:115]
	v_fma_f64 v[4:5], v[82:83], v[44:45], -v[4:5]
	s_waitcnt vmcnt(18)
	v_fmac_f64_e32 v[100:101], v[92:93], v[116:117]
	v_add_f64 v[2:3], v[2:3], v[4:5]
	v_mul_f64 v[4:5], v[88:89], v[38:39]
	v_add_f64 v[102:103], v[98:99], v[100:101]
	ds_read_b128 v[98:101], v1 offset:1584
	s_waitcnt vmcnt(17) lgkmcnt(1)
	v_mul_f64 v[104:105], v[94:95], v[110:111]
	v_fma_f64 v[4:5], v[86:87], v[40:41], -v[4:5]
	s_waitcnt vmcnt(16)
	v_fmac_f64_e32 v[104:105], v[96:97], v[112:113]
	v_add_f64 v[2:3], v[2:3], v[4:5]
	v_mul_f64 v[4:5], v[92:93], v[114:115]
	v_add_f64 v[134:135], v[102:103], v[104:105]
	ds_read_b128 v[102:105], v1 offset:1600
	v_fma_f64 v[4:5], v[90:91], v[116:117], -v[4:5]
	v_add_f64 v[2:3], v[2:3], v[4:5]
	v_mul_f64 v[4:5], v[96:97], v[110:111]
	v_fma_f64 v[4:5], v[94:95], v[112:113], -v[4:5]
	v_add_f64 v[2:3], v[2:3], v[4:5]
	s_waitcnt vmcnt(12) lgkmcnt(1)
	v_mul_f64 v[4:5], v[100:101], v[122:123]
	v_mul_f64 v[136:137], v[98:99], v[122:123]
	s_waitcnt vmcnt(10)
	v_fma_f64 v[4:5], v[98:99], v[124:125], -v[4:5]
	v_fmac_f64_e32 v[136:137], v[100:101], v[124:125]
	v_add_f64 v[2:3], v[2:3], v[4:5]
	s_waitcnt vmcnt(9) lgkmcnt(0)
	v_mul_f64 v[4:5], v[104:105], v[118:119]
	v_add_f64 v[134:135], v[134:135], v[136:137]
	v_mul_f64 v[136:137], v[102:103], v[118:119]
	s_waitcnt vmcnt(8)
	v_fma_f64 v[4:5], v[102:103], v[120:121], -v[4:5]
	v_fmac_f64_e32 v[136:137], v[104:105], v[120:121]
	v_add_f64 v[2:3], v[2:3], v[4:5]
	s_waitcnt vmcnt(6)
	v_mul_f64 v[4:5], v[108:109], v[126:127]
	v_add_f64 v[134:135], v[134:135], v[136:137]
	v_mul_f64 v[136:137], v[106:107], v[126:127]
	s_waitcnt vmcnt(4)
	v_fma_f64 v[4:5], v[106:107], v[128:129], -v[4:5]
	v_fmac_f64_e32 v[136:137], v[108:109], v[128:129]
	v_add_f64 v[2:3], v[2:3], v[4:5]
	v_add_f64 v[134:135], v[134:135], v[136:137]
	s_waitcnt vmcnt(2)
	v_add_f64 v[2:3], v[130:131], -v[2:3]
	s_waitcnt vmcnt(0)
	v_add_f64 v[4:5], v[132:133], -v[134:135]
	buffer_store_dword v3, off, s[0:3], 0 offset:564
	buffer_store_dword v2, off, s[0:3], 0 offset:560
	;; [unrolled: 1-line block ×4, first 2 shown]
	s_and_saveexec_b64 s[4:5], vcc
	s_cbranch_execz .LBB50_253
; %bb.252:
	v_accvgpr_read_b32 v0, a119
	buffer_load_dword v2, v0, s[0:3], 0 offen
	buffer_load_dword v3, v0, s[0:3], 0 offen offset:4
	buffer_load_dword v4, v0, s[0:3], 0 offen offset:8
	;; [unrolled: 1-line block ×3, first 2 shown]
	v_mov_b32_e32 v0, 0
	v_accvgpr_read_b32 v1, a153
	buffer_store_dword v0, off, s[0:3], 0 offset:544
	buffer_store_dword v0, off, s[0:3], 0 offset:548
	;; [unrolled: 1-line block ×4, first 2 shown]
	s_waitcnt vmcnt(4)
	ds_write_b128 v1, v[2:5]
.LBB50_253:
	s_or_b64 exec, exec, s[4:5]
	s_waitcnt lgkmcnt(0)
	; wave barrier
	s_waitcnt lgkmcnt(0)
	buffer_load_dword v2, off, s[0:3], 0 offset:560
	buffer_load_dword v3, off, s[0:3], 0 offset:564
	;; [unrolled: 1-line block ×68, first 2 shown]
	v_mov_b32_e32 v1, 0
	buffer_load_dword v138, off, s[0:3], 0 offset:544
	buffer_load_dword v139, off, s[0:3], 0 offset:548
	;; [unrolled: 1-line block ×3, first 2 shown]
	ds_read_b128 v[46:49], v1 offset:1360
	ds_read_b128 v[50:53], v1 offset:1376
	buffer_load_dword v141, off, s[0:3], 0 offset:556
	ds_read_b128 v[54:57], v1 offset:1392
	ds_read_b128 v[58:61], v1 offset:1408
	;; [unrolled: 1-line block ×3, first 2 shown]
	v_cmp_lt_u32_e32 vcc, 32, v254
	s_waitcnt vmcnt(62) lgkmcnt(4)
	v_mul_f64 v[62:63], v[46:47], v[6:7]
	v_fmac_f64_e32 v[62:63], v[48:49], v[2:3]
	v_add_f64 v[62:63], v[62:63], 0
	v_mul_f64 v[6:7], v[48:49], v[6:7]
	s_waitcnt lgkmcnt(3)
	v_mul_f64 v[64:65], v[50:51], v[10:11]
	v_fmac_f64_e32 v[64:65], v[52:53], v[4:5]
	v_add_f64 v[62:63], v[62:63], v[64:65]
	v_fma_f64 v[2:3], v[46:47], v[2:3], -v[6:7]
	s_waitcnt vmcnt(60) lgkmcnt(2)
	v_mul_f64 v[64:65], v[54:55], v[12:13]
	v_fmac_f64_e32 v[64:65], v[56:57], v[8:9]
	v_add_f64 v[66:67], v[62:63], v[64:65]
	ds_read_b128 v[62:65], v1 offset:1424
	s_waitcnt vmcnt(56) lgkmcnt(2)
	v_mul_f64 v[68:69], v[58:59], v[18:19]
	v_mul_f64 v[6:7], v[52:53], v[10:11]
	s_waitcnt vmcnt(54)
	v_fmac_f64_e32 v[68:69], v[60:61], v[20:21]
	v_add_f64 v[70:71], v[66:67], v[68:69]
	ds_read_b128 v[66:69], v1 offset:1440
	s_waitcnt vmcnt(53) lgkmcnt(1)
	v_mul_f64 v[72:73], v[62:63], v[14:15]
	s_waitcnt vmcnt(52)
	v_fmac_f64_e32 v[72:73], v[64:65], v[16:17]
	v_add_f64 v[74:75], v[70:71], v[72:73]
	ds_read_b128 v[70:73], v1 offset:1456
	s_waitcnt vmcnt(48) lgkmcnt(1)
	;; [unrolled: 6-line block ×4, first 2 shown]
	v_mul_f64 v[84:85], v[74:75], v[34:35]
	s_waitcnt vmcnt(38)
	v_fmac_f64_e32 v[84:85], v[76:77], v[36:37]
	v_add_f64 v[2:3], v[2:3], 0
	v_fma_f64 v[4:5], v[50:51], v[4:5], -v[6:7]
	v_add_f64 v[86:87], v[82:83], v[84:85]
	ds_read_b128 v[82:85], v1 offset:1504
	v_add_f64 v[2:3], v[2:3], v[4:5]
	v_mul_f64 v[4:5], v[56:57], v[12:13]
	v_fma_f64 v[4:5], v[54:55], v[8:9], -v[4:5]
	v_add_f64 v[2:3], v[2:3], v[4:5]
	v_mul_f64 v[4:5], v[60:61], v[18:19]
	s_waitcnt vmcnt(37) lgkmcnt(1)
	v_mul_f64 v[88:89], v[78:79], v[30:31]
	v_fma_f64 v[4:5], v[58:59], v[20:21], -v[4:5]
	s_waitcnt vmcnt(36)
	v_fmac_f64_e32 v[88:89], v[80:81], v[32:33]
	v_add_f64 v[2:3], v[2:3], v[4:5]
	v_mul_f64 v[4:5], v[64:65], v[14:15]
	v_add_f64 v[90:91], v[86:87], v[88:89]
	ds_read_b128 v[86:89], v1 offset:1520
	s_waitcnt vmcnt(32) lgkmcnt(1)
	v_mul_f64 v[92:93], v[82:83], v[42:43]
	v_fma_f64 v[4:5], v[62:63], v[16:17], -v[4:5]
	s_waitcnt vmcnt(30)
	v_fmac_f64_e32 v[92:93], v[84:85], v[44:45]
	v_add_f64 v[2:3], v[2:3], v[4:5]
	v_mul_f64 v[4:5], v[68:69], v[26:27]
	v_add_f64 v[94:95], v[90:91], v[92:93]
	ds_read_b128 v[90:93], v1 offset:1536
	v_fma_f64 v[4:5], v[66:67], v[28:29], -v[4:5]
	v_add_f64 v[2:3], v[2:3], v[4:5]
	v_mul_f64 v[4:5], v[72:73], v[22:23]
	v_fma_f64 v[4:5], v[70:71], v[24:25], -v[4:5]
	s_waitcnt vmcnt(29) lgkmcnt(1)
	v_mul_f64 v[96:97], v[86:87], v[38:39]
	v_add_f64 v[2:3], v[2:3], v[4:5]
	v_mul_f64 v[4:5], v[76:77], v[34:35]
	s_waitcnt vmcnt(28)
	v_fmac_f64_e32 v[96:97], v[88:89], v[40:41]
	v_fma_f64 v[4:5], v[74:75], v[36:37], -v[4:5]
	v_add_f64 v[98:99], v[94:95], v[96:97]
	ds_read_b128 v[94:97], v1 offset:1552
	s_waitcnt vmcnt(24) lgkmcnt(1)
	v_mul_f64 v[100:101], v[90:91], v[118:119]
	v_add_f64 v[2:3], v[2:3], v[4:5]
	v_mul_f64 v[4:5], v[80:81], v[30:31]
	s_waitcnt vmcnt(22)
	v_fmac_f64_e32 v[100:101], v[92:93], v[120:121]
	v_fma_f64 v[4:5], v[78:79], v[32:33], -v[4:5]
	v_add_f64 v[102:103], v[98:99], v[100:101]
	ds_read_b128 v[98:101], v1 offset:1568
	v_add_f64 v[2:3], v[2:3], v[4:5]
	v_mul_f64 v[4:5], v[84:85], v[42:43]
	v_fma_f64 v[4:5], v[82:83], v[44:45], -v[4:5]
	v_add_f64 v[2:3], v[2:3], v[4:5]
	v_mul_f64 v[4:5], v[88:89], v[38:39]
	s_waitcnt vmcnt(21) lgkmcnt(1)
	v_mul_f64 v[104:105], v[94:95], v[114:115]
	v_fma_f64 v[4:5], v[86:87], v[40:41], -v[4:5]
	s_waitcnt vmcnt(20)
	v_fmac_f64_e32 v[104:105], v[96:97], v[116:117]
	v_add_f64 v[2:3], v[2:3], v[4:5]
	v_mul_f64 v[4:5], v[92:93], v[118:119]
	v_add_f64 v[106:107], v[102:103], v[104:105]
	ds_read_b128 v[102:105], v1 offset:1584
	s_waitcnt vmcnt(16) lgkmcnt(1)
	v_mul_f64 v[108:109], v[98:99], v[126:127]
	v_fma_f64 v[4:5], v[90:91], v[120:121], -v[4:5]
	s_waitcnt vmcnt(14)
	v_fmac_f64_e32 v[108:109], v[100:101], v[128:129]
	v_add_f64 v[2:3], v[2:3], v[4:5]
	v_mul_f64 v[4:5], v[96:97], v[114:115]
	v_add_f64 v[142:143], v[106:107], v[108:109]
	ds_read_b128 v[106:109], v1 offset:1600
	v_fma_f64 v[4:5], v[94:95], v[116:117], -v[4:5]
	v_add_f64 v[2:3], v[2:3], v[4:5]
	v_mul_f64 v[4:5], v[100:101], v[126:127]
	v_fma_f64 v[4:5], v[98:99], v[128:129], -v[4:5]
	v_add_f64 v[2:3], v[2:3], v[4:5]
	s_waitcnt vmcnt(13) lgkmcnt(1)
	v_mul_f64 v[4:5], v[104:105], v[122:123]
	v_mul_f64 v[144:145], v[102:103], v[122:123]
	s_waitcnt vmcnt(12)
	v_fma_f64 v[4:5], v[102:103], v[124:125], -v[4:5]
	v_fmac_f64_e32 v[144:145], v[104:105], v[124:125]
	v_add_f64 v[2:3], v[2:3], v[4:5]
	s_waitcnt vmcnt(8) lgkmcnt(0)
	v_mul_f64 v[4:5], v[108:109], v[134:135]
	v_add_f64 v[142:143], v[142:143], v[144:145]
	v_mul_f64 v[144:145], v[106:107], v[134:135]
	s_waitcnt vmcnt(6)
	v_fma_f64 v[4:5], v[106:107], v[136:137], -v[4:5]
	v_fmac_f64_e32 v[144:145], v[108:109], v[136:137]
	v_add_f64 v[2:3], v[2:3], v[4:5]
	s_waitcnt vmcnt(5)
	v_mul_f64 v[4:5], v[112:113], v[130:131]
	v_add_f64 v[142:143], v[142:143], v[144:145]
	v_mul_f64 v[144:145], v[110:111], v[130:131]
	s_waitcnt vmcnt(4)
	v_fma_f64 v[4:5], v[110:111], v[132:133], -v[4:5]
	v_fmac_f64_e32 v[144:145], v[112:113], v[132:133]
	v_add_f64 v[2:3], v[2:3], v[4:5]
	v_add_f64 v[142:143], v[142:143], v[144:145]
	s_waitcnt vmcnt(2)
	v_add_f64 v[2:3], v[138:139], -v[2:3]
	s_waitcnt vmcnt(0)
	v_add_f64 v[4:5], v[140:141], -v[142:143]
	buffer_store_dword v3, off, s[0:3], 0 offset:548
	buffer_store_dword v2, off, s[0:3], 0 offset:544
	;; [unrolled: 1-line block ×4, first 2 shown]
	s_and_saveexec_b64 s[4:5], vcc
	s_cbranch_execz .LBB50_255
; %bb.254:
	v_accvgpr_read_b32 v0, a120
	buffer_load_dword v2, v0, s[0:3], 0 offen
	buffer_load_dword v3, v0, s[0:3], 0 offen offset:4
	buffer_load_dword v4, v0, s[0:3], 0 offen offset:8
	;; [unrolled: 1-line block ×3, first 2 shown]
	v_accvgpr_read_b32 v0, a153
	buffer_store_dword v1, off, s[0:3], 0 offset:528
	buffer_store_dword v1, off, s[0:3], 0 offset:532
	;; [unrolled: 1-line block ×4, first 2 shown]
	s_waitcnt vmcnt(4)
	ds_write_b128 v0, v[2:5]
.LBB50_255:
	s_or_b64 exec, exec, s[4:5]
	s_waitcnt lgkmcnt(0)
	; wave barrier
	s_waitcnt lgkmcnt(0)
	buffer_load_dword v2, off, s[0:3], 0 offset:544
	buffer_load_dword v3, off, s[0:3], 0 offset:548
	;; [unrolled: 1-line block ×72, first 2 shown]
	ds_read_b128 v[52:55], v1 offset:1344
	buffer_load_dword v146, off, s[0:3], 0 offset:528
	buffer_load_dword v147, off, s[0:3], 0 offset:532
	;; [unrolled: 1-line block ×4, first 2 shown]
	ds_read_b128 v[56:59], v1 offset:1360
	ds_read_b128 v[60:63], v1 offset:1376
	;; [unrolled: 1-line block ×3, first 2 shown]
	v_cmp_lt_u32_e32 vcc, 31, v254
	ds_read_b128 v[124:127], v1 offset:1616
	s_waitcnt vmcnt(62) lgkmcnt(4)
	v_mul_f64 v[68:69], v[52:53], v[8:9]
	v_fmac_f64_e32 v[68:69], v[54:55], v[2:3]
	v_add_f64 v[68:69], v[68:69], 0
	v_mul_f64 v[8:9], v[54:55], v[8:9]
	s_waitcnt lgkmcnt(3)
	v_mul_f64 v[70:71], v[56:57], v[10:11]
	v_fmac_f64_e32 v[70:71], v[58:59], v[4:5]
	v_add_f64 v[68:69], v[68:69], v[70:71]
	v_fma_f64 v[2:3], v[52:53], v[2:3], -v[8:9]
	s_waitcnt lgkmcnt(2)
	v_mul_f64 v[70:71], v[60:61], v[12:13]
	v_fmac_f64_e32 v[70:71], v[62:63], v[6:7]
	v_add_f64 v[72:73], v[68:69], v[70:71]
	ds_read_b128 v[68:71], v1 offset:1408
	s_waitcnt vmcnt(60) lgkmcnt(2)
	v_mul_f64 v[74:75], v[64:65], v[18:19]
	v_mul_f64 v[8:9], v[58:59], v[10:11]
	s_waitcnt vmcnt(58)
	v_fmac_f64_e32 v[74:75], v[66:67], v[20:21]
	v_add_f64 v[76:77], v[72:73], v[74:75]
	ds_read_b128 v[72:75], v1 offset:1424
	s_waitcnt vmcnt(57) lgkmcnt(1)
	v_mul_f64 v[78:79], v[68:69], v[14:15]
	s_waitcnt vmcnt(56)
	v_fmac_f64_e32 v[78:79], v[70:71], v[16:17]
	v_add_f64 v[80:81], v[76:77], v[78:79]
	ds_read_b128 v[76:79], v1 offset:1440
	s_waitcnt vmcnt(52) lgkmcnt(1)
	;; [unrolled: 6-line block ×4, first 2 shown]
	v_mul_f64 v[90:91], v[80:81], v[34:35]
	s_waitcnt vmcnt(42)
	v_fmac_f64_e32 v[90:91], v[82:83], v[36:37]
	v_add_f64 v[2:3], v[2:3], 0
	v_fma_f64 v[4:5], v[56:57], v[4:5], -v[8:9]
	v_add_f64 v[92:93], v[88:89], v[90:91]
	ds_read_b128 v[88:91], v1 offset:1488
	s_waitcnt vmcnt(41) lgkmcnt(1)
	v_mul_f64 v[94:95], v[84:85], v[30:31]
	v_add_f64 v[2:3], v[2:3], v[4:5]
	v_mul_f64 v[4:5], v[62:63], v[12:13]
	s_waitcnt vmcnt(40)
	v_fmac_f64_e32 v[94:95], v[86:87], v[32:33]
	v_fma_f64 v[4:5], v[60:61], v[6:7], -v[4:5]
	v_add_f64 v[96:97], v[92:93], v[94:95]
	ds_read_b128 v[92:95], v1 offset:1504
	v_add_f64 v[2:3], v[2:3], v[4:5]
	v_mul_f64 v[4:5], v[66:67], v[18:19]
	v_fma_f64 v[4:5], v[64:65], v[20:21], -v[4:5]
	v_add_f64 v[2:3], v[2:3], v[4:5]
	v_mul_f64 v[4:5], v[70:71], v[14:15]
	s_waitcnt vmcnt(36) lgkmcnt(1)
	v_mul_f64 v[98:99], v[88:89], v[42:43]
	v_fma_f64 v[4:5], v[68:69], v[16:17], -v[4:5]
	s_waitcnt vmcnt(34)
	v_fmac_f64_e32 v[98:99], v[90:91], v[44:45]
	v_add_f64 v[2:3], v[2:3], v[4:5]
	v_mul_f64 v[4:5], v[74:75], v[26:27]
	v_add_f64 v[100:101], v[96:97], v[98:99]
	ds_read_b128 v[96:99], v1 offset:1520
	s_waitcnt vmcnt(33) lgkmcnt(1)
	v_mul_f64 v[102:103], v[92:93], v[38:39]
	v_fma_f64 v[4:5], v[72:73], v[28:29], -v[4:5]
	s_waitcnt vmcnt(32)
	v_fmac_f64_e32 v[102:103], v[94:95], v[40:41]
	v_add_f64 v[2:3], v[2:3], v[4:5]
	v_mul_f64 v[4:5], v[78:79], v[22:23]
	v_add_f64 v[104:105], v[100:101], v[102:103]
	ds_read_b128 v[100:103], v1 offset:1536
	v_fma_f64 v[4:5], v[76:77], v[24:25], -v[4:5]
	v_add_f64 v[2:3], v[2:3], v[4:5]
	v_mul_f64 v[4:5], v[82:83], v[34:35]
	v_fma_f64 v[4:5], v[80:81], v[36:37], -v[4:5]
	s_waitcnt vmcnt(28) lgkmcnt(1)
	v_mul_f64 v[106:107], v[96:97], v[50:51]
	v_add_f64 v[2:3], v[2:3], v[4:5]
	v_mul_f64 v[4:5], v[86:87], v[30:31]
	s_waitcnt vmcnt(26)
	v_fmac_f64_e32 v[106:107], v[98:99], v[116:117]
	v_fma_f64 v[4:5], v[84:85], v[32:33], -v[4:5]
	v_add_f64 v[108:109], v[104:105], v[106:107]
	ds_read_b128 v[104:107], v1 offset:1552
	s_waitcnt vmcnt(25) lgkmcnt(1)
	v_mul_f64 v[110:111], v[100:101], v[46:47]
	v_add_f64 v[2:3], v[2:3], v[4:5]
	v_mul_f64 v[4:5], v[90:91], v[42:43]
	s_waitcnt vmcnt(24)
	v_fmac_f64_e32 v[110:111], v[102:103], v[48:49]
	v_fma_f64 v[4:5], v[88:89], v[44:45], -v[4:5]
	v_add_f64 v[112:113], v[108:109], v[110:111]
	ds_read_b128 v[108:111], v1 offset:1568
	v_add_f64 v[2:3], v[2:3], v[4:5]
	v_mul_f64 v[4:5], v[94:95], v[38:39]
	v_fma_f64 v[4:5], v[92:93], v[40:41], -v[4:5]
	v_add_f64 v[2:3], v[2:3], v[4:5]
	v_mul_f64 v[4:5], v[98:99], v[50:51]
	s_waitcnt vmcnt(20) lgkmcnt(1)
	v_mul_f64 v[114:115], v[104:105], v[130:131]
	v_fma_f64 v[4:5], v[96:97], v[116:117], -v[4:5]
	s_waitcnt vmcnt(18)
	v_fmac_f64_e32 v[114:115], v[106:107], v[132:133]
	v_add_f64 v[2:3], v[2:3], v[4:5]
	v_mul_f64 v[4:5], v[102:103], v[46:47]
	v_add_f64 v[120:121], v[112:113], v[114:115]
	ds_read_b128 v[112:115], v1 offset:1584
	s_waitcnt vmcnt(17) lgkmcnt(1)
	v_mul_f64 v[122:123], v[108:109], v[118:119]
	v_fma_f64 v[4:5], v[100:101], v[48:49], -v[4:5]
	s_waitcnt vmcnt(16)
	v_fmac_f64_e32 v[122:123], v[110:111], v[128:129]
	v_add_f64 v[2:3], v[2:3], v[4:5]
	v_mul_f64 v[4:5], v[106:107], v[130:131]
	v_add_f64 v[150:151], v[120:121], v[122:123]
	ds_read_b128 v[120:123], v1 offset:1600
	v_fma_f64 v[4:5], v[104:105], v[132:133], -v[4:5]
	v_add_f64 v[2:3], v[2:3], v[4:5]
	v_mul_f64 v[4:5], v[110:111], v[118:119]
	v_fma_f64 v[4:5], v[108:109], v[128:129], -v[4:5]
	v_add_f64 v[2:3], v[2:3], v[4:5]
	s_waitcnt vmcnt(12) lgkmcnt(1)
	v_mul_f64 v[4:5], v[114:115], v[138:139]
	v_mul_f64 v[152:153], v[112:113], v[138:139]
	s_waitcnt vmcnt(10)
	v_fma_f64 v[4:5], v[112:113], v[140:141], -v[4:5]
	v_fmac_f64_e32 v[152:153], v[114:115], v[140:141]
	v_add_f64 v[2:3], v[2:3], v[4:5]
	s_waitcnt vmcnt(9) lgkmcnt(0)
	v_mul_f64 v[4:5], v[122:123], v[134:135]
	v_add_f64 v[150:151], v[150:151], v[152:153]
	v_mul_f64 v[152:153], v[120:121], v[134:135]
	s_waitcnt vmcnt(8)
	v_fma_f64 v[4:5], v[120:121], v[136:137], -v[4:5]
	v_fmac_f64_e32 v[152:153], v[122:123], v[136:137]
	v_add_f64 v[2:3], v[2:3], v[4:5]
	s_waitcnt vmcnt(6)
	v_mul_f64 v[4:5], v[126:127], v[142:143]
	v_add_f64 v[150:151], v[150:151], v[152:153]
	v_mul_f64 v[152:153], v[124:125], v[142:143]
	s_waitcnt vmcnt(4)
	v_fma_f64 v[4:5], v[124:125], v[144:145], -v[4:5]
	v_fmac_f64_e32 v[152:153], v[126:127], v[144:145]
	v_add_f64 v[2:3], v[2:3], v[4:5]
	v_add_f64 v[150:151], v[150:151], v[152:153]
	s_waitcnt vmcnt(2)
	v_add_f64 v[2:3], v[146:147], -v[2:3]
	s_waitcnt vmcnt(0)
	v_add_f64 v[4:5], v[148:149], -v[150:151]
	buffer_store_dword v3, off, s[0:3], 0 offset:532
	buffer_store_dword v2, off, s[0:3], 0 offset:528
	;; [unrolled: 1-line block ×4, first 2 shown]
	s_and_saveexec_b64 s[4:5], vcc
	s_cbranch_execz .LBB50_257
; %bb.256:
	v_accvgpr_read_b32 v0, a121
	buffer_load_dword v2, v0, s[0:3], 0 offen
	buffer_load_dword v3, v0, s[0:3], 0 offen offset:4
	buffer_load_dword v4, v0, s[0:3], 0 offen offset:8
	;; [unrolled: 1-line block ×3, first 2 shown]
	v_mov_b32_e32 v0, 0
	v_accvgpr_read_b32 v1, a153
	buffer_store_dword v0, off, s[0:3], 0 offset:512
	buffer_store_dword v0, off, s[0:3], 0 offset:516
	;; [unrolled: 1-line block ×4, first 2 shown]
	s_waitcnt vmcnt(4)
	ds_write_b128 v1, v[2:5]
.LBB50_257:
	s_or_b64 exec, exec, s[4:5]
	s_waitcnt lgkmcnt(0)
	; wave barrier
	s_waitcnt lgkmcnt(0)
	buffer_load_dword v2, off, s[0:3], 0 offset:528
	buffer_load_dword v3, off, s[0:3], 0 offset:532
	;; [unrolled: 1-line block ×76, first 2 shown]
	v_mov_b32_e32 v1, 0
	ds_read_b128 v[54:57], v1 offset:1328
	buffer_load_dword v154, off, s[0:3], 0 offset:512
	buffer_load_dword v155, off, s[0:3], 0 offset:516
	;; [unrolled: 1-line block ×4, first 2 shown]
	ds_read_b128 v[58:61], v1 offset:1344
	ds_read_b128 v[62:65], v1 offset:1360
	ds_read_b128 v[66:69], v1 offset:1376
	ds_read_b128 v[128:131], v1 offset:1616
	v_cmp_lt_u32_e32 vcc, 30, v254
	s_waitcnt vmcnt(62) lgkmcnt(4)
	v_mul_f64 v[70:71], v[54:55], v[8:9]
	v_fmac_f64_e32 v[70:71], v[56:57], v[2:3]
	v_add_f64 v[70:71], v[70:71], 0
	v_mul_f64 v[8:9], v[56:57], v[8:9]
	s_waitcnt lgkmcnt(3)
	v_mul_f64 v[72:73], v[58:59], v[10:11]
	v_fmac_f64_e32 v[72:73], v[60:61], v[4:5]
	v_add_f64 v[70:71], v[70:71], v[72:73]
	v_fma_f64 v[2:3], v[54:55], v[2:3], -v[8:9]
	s_waitcnt lgkmcnt(2)
	v_mul_f64 v[72:73], v[62:63], v[12:13]
	v_fmac_f64_e32 v[72:73], v[64:65], v[6:7]
	v_add_f64 v[74:75], v[70:71], v[72:73]
	ds_read_b128 v[70:73], v1 offset:1392
	s_waitcnt lgkmcnt(2)
	v_mul_f64 v[76:77], v[66:67], v[18:19]
	v_mul_f64 v[8:9], v[60:61], v[10:11]
	v_fmac_f64_e32 v[76:77], v[68:69], v[20:21]
	v_add_f64 v[78:79], v[74:75], v[76:77]
	ds_read_b128 v[74:77], v1 offset:1408
	s_waitcnt vmcnt(61) lgkmcnt(1)
	v_mul_f64 v[80:81], v[70:71], v[14:15]
	s_waitcnt vmcnt(60)
	v_fmac_f64_e32 v[80:81], v[72:73], v[16:17]
	v_add_f64 v[82:83], v[78:79], v[80:81]
	ds_read_b128 v[78:81], v1 offset:1424
	s_waitcnt vmcnt(56) lgkmcnt(1)
	v_mul_f64 v[84:85], v[74:75], v[26:27]
	s_waitcnt vmcnt(54)
	;; [unrolled: 6-line block ×4, first 2 shown]
	v_fmac_f64_e32 v[92:93], v[84:85], v[36:37]
	v_add_f64 v[94:95], v[90:91], v[92:93]
	ds_read_b128 v[90:93], v1 offset:1472
	v_add_f64 v[2:3], v[2:3], 0
	v_fma_f64 v[4:5], v[58:59], v[4:5], -v[8:9]
	s_waitcnt vmcnt(45) lgkmcnt(1)
	v_mul_f64 v[96:97], v[86:87], v[30:31]
	v_add_f64 v[2:3], v[2:3], v[4:5]
	v_mul_f64 v[4:5], v[64:65], v[12:13]
	s_waitcnt vmcnt(44)
	v_fmac_f64_e32 v[96:97], v[88:89], v[32:33]
	v_fma_f64 v[4:5], v[62:63], v[6:7], -v[4:5]
	v_add_f64 v[98:99], v[94:95], v[96:97]
	ds_read_b128 v[94:97], v1 offset:1488
	s_waitcnt vmcnt(40) lgkmcnt(1)
	v_mul_f64 v[100:101], v[90:91], v[42:43]
	v_add_f64 v[2:3], v[2:3], v[4:5]
	v_mul_f64 v[4:5], v[68:69], v[18:19]
	s_waitcnt vmcnt(38)
	v_fmac_f64_e32 v[100:101], v[92:93], v[44:45]
	v_fma_f64 v[4:5], v[66:67], v[20:21], -v[4:5]
	v_add_f64 v[102:103], v[98:99], v[100:101]
	ds_read_b128 v[98:101], v1 offset:1504
	v_add_f64 v[2:3], v[2:3], v[4:5]
	v_mul_f64 v[4:5], v[72:73], v[14:15]
	v_fma_f64 v[4:5], v[70:71], v[16:17], -v[4:5]
	v_add_f64 v[2:3], v[2:3], v[4:5]
	v_mul_f64 v[4:5], v[76:77], v[26:27]
	s_waitcnt vmcnt(37) lgkmcnt(1)
	v_mul_f64 v[104:105], v[94:95], v[38:39]
	v_fma_f64 v[4:5], v[74:75], v[28:29], -v[4:5]
	s_waitcnt vmcnt(36)
	v_fmac_f64_e32 v[104:105], v[96:97], v[40:41]
	v_add_f64 v[2:3], v[2:3], v[4:5]
	v_mul_f64 v[4:5], v[80:81], v[22:23]
	v_add_f64 v[106:107], v[102:103], v[104:105]
	ds_read_b128 v[102:105], v1 offset:1520
	s_waitcnt vmcnt(32) lgkmcnt(1)
	v_mul_f64 v[108:109], v[98:99], v[50:51]
	v_fma_f64 v[4:5], v[78:79], v[24:25], -v[4:5]
	s_waitcnt vmcnt(30)
	v_fmac_f64_e32 v[108:109], v[100:101], v[52:53]
	v_add_f64 v[2:3], v[2:3], v[4:5]
	v_mul_f64 v[4:5], v[84:85], v[34:35]
	v_add_f64 v[110:111], v[106:107], v[108:109]
	ds_read_b128 v[106:109], v1 offset:1536
	v_fma_f64 v[4:5], v[82:83], v[36:37], -v[4:5]
	v_add_f64 v[2:3], v[2:3], v[4:5]
	v_mul_f64 v[4:5], v[88:89], v[30:31]
	v_fma_f64 v[4:5], v[86:87], v[32:33], -v[4:5]
	s_waitcnt vmcnt(29) lgkmcnt(1)
	v_mul_f64 v[112:113], v[102:103], v[46:47]
	v_add_f64 v[2:3], v[2:3], v[4:5]
	v_mul_f64 v[4:5], v[92:93], v[42:43]
	s_waitcnt vmcnt(28)
	v_fmac_f64_e32 v[112:113], v[104:105], v[48:49]
	v_fma_f64 v[4:5], v[90:91], v[44:45], -v[4:5]
	v_add_f64 v[114:115], v[110:111], v[112:113]
	ds_read_b128 v[110:113], v1 offset:1552
	s_waitcnt vmcnt(24) lgkmcnt(1)
	v_mul_f64 v[116:117], v[106:107], v[134:135]
	v_add_f64 v[2:3], v[2:3], v[4:5]
	v_mul_f64 v[4:5], v[96:97], v[38:39]
	s_waitcnt vmcnt(22)
	v_fmac_f64_e32 v[116:117], v[108:109], v[136:137]
	v_fma_f64 v[4:5], v[94:95], v[40:41], -v[4:5]
	v_add_f64 v[120:121], v[114:115], v[116:117]
	ds_read_b128 v[114:117], v1 offset:1568
	v_add_f64 v[2:3], v[2:3], v[4:5]
	v_mul_f64 v[4:5], v[100:101], v[50:51]
	v_fma_f64 v[4:5], v[98:99], v[52:53], -v[4:5]
	v_add_f64 v[2:3], v[2:3], v[4:5]
	v_mul_f64 v[4:5], v[104:105], v[46:47]
	s_waitcnt vmcnt(21) lgkmcnt(1)
	v_mul_f64 v[122:123], v[110:111], v[118:119]
	v_fma_f64 v[4:5], v[102:103], v[48:49], -v[4:5]
	s_waitcnt vmcnt(20)
	v_fmac_f64_e32 v[122:123], v[112:113], v[132:133]
	v_add_f64 v[2:3], v[2:3], v[4:5]
	v_mul_f64 v[4:5], v[108:109], v[134:135]
	v_add_f64 v[124:125], v[120:121], v[122:123]
	ds_read_b128 v[120:123], v1 offset:1584
	s_waitcnt vmcnt(16) lgkmcnt(1)
	v_mul_f64 v[126:127], v[114:115], v[142:143]
	v_fma_f64 v[4:5], v[106:107], v[136:137], -v[4:5]
	s_waitcnt vmcnt(14)
	v_fmac_f64_e32 v[126:127], v[116:117], v[144:145]
	v_add_f64 v[2:3], v[2:3], v[4:5]
	v_mul_f64 v[4:5], v[112:113], v[118:119]
	v_add_f64 v[158:159], v[124:125], v[126:127]
	ds_read_b128 v[124:127], v1 offset:1600
	v_fma_f64 v[4:5], v[110:111], v[132:133], -v[4:5]
	v_add_f64 v[2:3], v[2:3], v[4:5]
	v_mul_f64 v[4:5], v[116:117], v[142:143]
	v_fma_f64 v[4:5], v[114:115], v[144:145], -v[4:5]
	v_add_f64 v[2:3], v[2:3], v[4:5]
	s_waitcnt vmcnt(13) lgkmcnt(1)
	v_mul_f64 v[4:5], v[122:123], v[138:139]
	v_mul_f64 v[160:161], v[120:121], v[138:139]
	s_waitcnt vmcnt(12)
	v_fma_f64 v[4:5], v[120:121], v[140:141], -v[4:5]
	v_fmac_f64_e32 v[160:161], v[122:123], v[140:141]
	v_add_f64 v[2:3], v[2:3], v[4:5]
	s_waitcnt vmcnt(8) lgkmcnt(0)
	v_mul_f64 v[4:5], v[126:127], v[150:151]
	v_add_f64 v[158:159], v[158:159], v[160:161]
	v_mul_f64 v[160:161], v[124:125], v[150:151]
	s_waitcnt vmcnt(6)
	v_fma_f64 v[4:5], v[124:125], v[152:153], -v[4:5]
	v_fmac_f64_e32 v[160:161], v[126:127], v[152:153]
	v_add_f64 v[2:3], v[2:3], v[4:5]
	s_waitcnt vmcnt(5)
	v_mul_f64 v[4:5], v[130:131], v[146:147]
	v_add_f64 v[158:159], v[158:159], v[160:161]
	v_mul_f64 v[160:161], v[128:129], v[146:147]
	s_waitcnt vmcnt(4)
	v_fma_f64 v[4:5], v[128:129], v[148:149], -v[4:5]
	v_fmac_f64_e32 v[160:161], v[130:131], v[148:149]
	v_add_f64 v[2:3], v[2:3], v[4:5]
	v_add_f64 v[158:159], v[158:159], v[160:161]
	s_waitcnt vmcnt(2)
	v_add_f64 v[2:3], v[154:155], -v[2:3]
	s_waitcnt vmcnt(0)
	v_add_f64 v[4:5], v[156:157], -v[158:159]
	buffer_store_dword v3, off, s[0:3], 0 offset:516
	buffer_store_dword v2, off, s[0:3], 0 offset:512
	;; [unrolled: 1-line block ×4, first 2 shown]
	s_and_saveexec_b64 s[4:5], vcc
	s_cbranch_execz .LBB50_259
; %bb.258:
	v_accvgpr_read_b32 v0, a122
	buffer_load_dword v2, v0, s[0:3], 0 offen
	buffer_load_dword v3, v0, s[0:3], 0 offen offset:4
	buffer_load_dword v4, v0, s[0:3], 0 offen offset:8
	;; [unrolled: 1-line block ×3, first 2 shown]
	v_accvgpr_read_b32 v0, a153
	buffer_store_dword v1, off, s[0:3], 0 offset:496
	buffer_store_dword v1, off, s[0:3], 0 offset:500
	;; [unrolled: 1-line block ×4, first 2 shown]
	s_waitcnt vmcnt(4)
	ds_write_b128 v0, v[2:5]
.LBB50_259:
	s_or_b64 exec, exec, s[4:5]
	s_waitcnt lgkmcnt(0)
	; wave barrier
	s_waitcnt lgkmcnt(0)
	buffer_load_dword v2, off, s[0:3], 0 offset:512
	buffer_load_dword v3, off, s[0:3], 0 offset:516
	;; [unrolled: 1-line block ×76, first 2 shown]
	ds_read_b128 v[54:57], v1 offset:1312
	buffer_load_dword v159, off, s[0:3], 0 offset:828
	buffer_load_dword v158, off, s[0:3], 0 offset:824
	;; [unrolled: 1-line block ×8, first 2 shown]
	ds_read_b128 v[58:61], v1 offset:1328
	ds_read_b128 v[62:65], v1 offset:1344
	;; [unrolled: 1-line block ×3, first 2 shown]
	v_cmp_lt_u32_e32 vcc, 29, v254
	ds_read_b128 v[132:135], v1 offset:1616
	s_waitcnt vmcnt(62) lgkmcnt(4)
	v_mul_f64 v[70:71], v[54:55], v[8:9]
	v_fmac_f64_e32 v[70:71], v[56:57], v[2:3]
	v_add_f64 v[70:71], v[70:71], 0
	v_mul_f64 v[8:9], v[56:57], v[8:9]
	s_waitcnt lgkmcnt(3)
	v_mul_f64 v[72:73], v[58:59], v[10:11]
	v_fmac_f64_e32 v[72:73], v[60:61], v[4:5]
	v_add_f64 v[70:71], v[70:71], v[72:73]
	v_fma_f64 v[2:3], v[54:55], v[2:3], -v[8:9]
	s_waitcnt lgkmcnt(2)
	v_mul_f64 v[72:73], v[62:63], v[12:13]
	v_fmac_f64_e32 v[72:73], v[64:65], v[6:7]
	v_add_f64 v[74:75], v[70:71], v[72:73]
	ds_read_b128 v[70:73], v1 offset:1376
	v_mul_f64 v[8:9], v[60:61], v[10:11]
	v_add_f64 v[2:3], v[2:3], 0
	s_waitcnt lgkmcnt(2)
	v_mul_f64 v[76:77], v[66:67], v[18:19]
	v_fma_f64 v[4:5], v[58:59], v[4:5], -v[8:9]
	v_fmac_f64_e32 v[76:77], v[68:69], v[20:21]
	v_add_f64 v[78:79], v[74:75], v[76:77]
	ds_read_b128 v[74:77], v1 offset:1392
	s_waitcnt lgkmcnt(1)
	v_mul_f64 v[80:81], v[70:71], v[14:15]
	v_fmac_f64_e32 v[80:81], v[72:73], v[16:17]
	v_add_f64 v[82:83], v[78:79], v[80:81]
	ds_read_b128 v[78:81], v1 offset:1408
	s_waitcnt vmcnt(58) lgkmcnt(1)
	v_mul_f64 v[84:85], v[74:75], v[26:27]
	s_waitcnt vmcnt(56)
	v_fmac_f64_e32 v[84:85], v[76:77], v[28:29]
	v_add_f64 v[86:87], v[82:83], v[84:85]
	ds_read_b128 v[82:85], v1 offset:1424
	s_waitcnt lgkmcnt(1)
	v_mul_f64 v[88:89], v[78:79], v[22:23]
	v_fmac_f64_e32 v[88:89], v[80:81], v[24:25]
	v_add_f64 v[90:91], v[86:87], v[88:89]
	ds_read_b128 v[86:89], v1 offset:1440
	s_waitcnt vmcnt(50) lgkmcnt(1)
	v_mul_f64 v[92:93], v[82:83], v[34:35]
	s_waitcnt vmcnt(48)
	v_fmac_f64_e32 v[92:93], v[84:85], v[36:37]
	v_add_f64 v[94:95], v[90:91], v[92:93]
	ds_read_b128 v[90:93], v1 offset:1456
	s_waitcnt lgkmcnt(1)
	v_mul_f64 v[96:97], v[86:87], v[30:31]
	v_fmac_f64_e32 v[96:97], v[88:89], v[32:33]
	v_add_f64 v[98:99], v[94:95], v[96:97]
	ds_read_b128 v[94:97], v1 offset:1472
	v_add_f64 v[2:3], v[2:3], v[4:5]
	v_mul_f64 v[4:5], v[64:65], v[12:13]
	v_fma_f64 v[4:5], v[62:63], v[6:7], -v[4:5]
	s_waitcnt vmcnt(42) lgkmcnt(1)
	v_mul_f64 v[100:101], v[90:91], v[42:43]
	v_add_f64 v[2:3], v[2:3], v[4:5]
	v_mul_f64 v[4:5], v[68:69], v[18:19]
	s_waitcnt vmcnt(40)
	v_fmac_f64_e32 v[100:101], v[92:93], v[44:45]
	v_fma_f64 v[4:5], v[66:67], v[20:21], -v[4:5]
	v_add_f64 v[102:103], v[98:99], v[100:101]
	ds_read_b128 v[98:101], v1 offset:1488
	s_waitcnt lgkmcnt(1)
	v_mul_f64 v[104:105], v[94:95], v[38:39]
	v_add_f64 v[2:3], v[2:3], v[4:5]
	v_mul_f64 v[4:5], v[72:73], v[14:15]
	v_fmac_f64_e32 v[104:105], v[96:97], v[40:41]
	v_fma_f64 v[4:5], v[70:71], v[16:17], -v[4:5]
	v_add_f64 v[106:107], v[102:103], v[104:105]
	ds_read_b128 v[102:105], v1 offset:1504
	v_add_f64 v[2:3], v[2:3], v[4:5]
	v_mul_f64 v[4:5], v[76:77], v[26:27]
	v_fma_f64 v[4:5], v[74:75], v[28:29], -v[4:5]
	v_add_f64 v[2:3], v[2:3], v[4:5]
	v_mul_f64 v[4:5], v[80:81], v[22:23]
	s_waitcnt vmcnt(34) lgkmcnt(1)
	v_mul_f64 v[108:109], v[98:99], v[50:51]
	v_fma_f64 v[4:5], v[78:79], v[24:25], -v[4:5]
	s_waitcnt vmcnt(32)
	v_fmac_f64_e32 v[108:109], v[100:101], v[52:53]
	v_add_f64 v[2:3], v[2:3], v[4:5]
	v_mul_f64 v[4:5], v[84:85], v[34:35]
	v_add_f64 v[110:111], v[106:107], v[108:109]
	ds_read_b128 v[106:109], v1 offset:1520
	s_waitcnt lgkmcnt(1)
	v_mul_f64 v[112:113], v[102:103], v[46:47]
	v_fma_f64 v[4:5], v[82:83], v[36:37], -v[4:5]
	v_fmac_f64_e32 v[112:113], v[104:105], v[48:49]
	v_add_f64 v[2:3], v[2:3], v[4:5]
	v_mul_f64 v[4:5], v[88:89], v[30:31]
	v_add_f64 v[114:115], v[110:111], v[112:113]
	ds_read_b128 v[110:113], v1 offset:1536
	v_fma_f64 v[4:5], v[86:87], v[32:33], -v[4:5]
	v_add_f64 v[2:3], v[2:3], v[4:5]
	v_mul_f64 v[4:5], v[92:93], v[42:43]
	v_fma_f64 v[4:5], v[90:91], v[44:45], -v[4:5]
	s_waitcnt vmcnt(26) lgkmcnt(1)
	v_mul_f64 v[116:117], v[106:107], v[138:139]
	v_add_f64 v[2:3], v[2:3], v[4:5]
	v_mul_f64 v[4:5], v[96:97], v[38:39]
	s_waitcnt vmcnt(24)
	v_fmac_f64_e32 v[116:117], v[108:109], v[140:141]
	v_fma_f64 v[4:5], v[94:95], v[40:41], -v[4:5]
	v_add_f64 v[120:121], v[114:115], v[116:117]
	ds_read_b128 v[114:117], v1 offset:1552
	s_waitcnt lgkmcnt(1)
	v_mul_f64 v[122:123], v[110:111], v[118:119]
	v_add_f64 v[2:3], v[2:3], v[4:5]
	v_mul_f64 v[4:5], v[100:101], v[50:51]
	v_fmac_f64_e32 v[122:123], v[112:113], v[136:137]
	v_fma_f64 v[4:5], v[98:99], v[52:53], -v[4:5]
	v_add_f64 v[124:125], v[120:121], v[122:123]
	ds_read_b128 v[120:123], v1 offset:1568
	v_add_f64 v[2:3], v[2:3], v[4:5]
	v_mul_f64 v[4:5], v[104:105], v[46:47]
	v_fma_f64 v[4:5], v[102:103], v[48:49], -v[4:5]
	v_add_f64 v[2:3], v[2:3], v[4:5]
	v_mul_f64 v[4:5], v[108:109], v[138:139]
	s_waitcnt vmcnt(18) lgkmcnt(1)
	v_mul_f64 v[126:127], v[114:115], v[146:147]
	v_fma_f64 v[4:5], v[106:107], v[140:141], -v[4:5]
	s_waitcnt vmcnt(16)
	v_fmac_f64_e32 v[126:127], v[116:117], v[148:149]
	v_add_f64 v[2:3], v[2:3], v[4:5]
	v_mul_f64 v[4:5], v[112:113], v[118:119]
	v_add_f64 v[128:129], v[124:125], v[126:127]
	ds_read_b128 v[124:127], v1 offset:1584
	s_waitcnt lgkmcnt(1)
	v_mul_f64 v[130:131], v[120:121], v[142:143]
	v_fma_f64 v[4:5], v[110:111], v[136:137], -v[4:5]
	v_fmac_f64_e32 v[130:131], v[122:123], v[144:145]
	v_add_f64 v[2:3], v[2:3], v[4:5]
	v_mul_f64 v[4:5], v[116:117], v[146:147]
	v_add_f64 v[166:167], v[128:129], v[130:131]
	ds_read_b128 v[128:131], v1 offset:1600
	v_fma_f64 v[4:5], v[114:115], v[148:149], -v[4:5]
	v_add_f64 v[2:3], v[2:3], v[4:5]
	v_mul_f64 v[4:5], v[122:123], v[142:143]
	v_fma_f64 v[4:5], v[120:121], v[144:145], -v[4:5]
	v_add_f64 v[2:3], v[2:3], v[4:5]
	s_waitcnt vmcnt(10) lgkmcnt(1)
	v_mul_f64 v[4:5], v[126:127], v[154:155]
	v_mul_f64 v[168:169], v[124:125], v[154:155]
	s_waitcnt vmcnt(8)
	v_fma_f64 v[4:5], v[124:125], v[156:157], -v[4:5]
	v_fmac_f64_e32 v[168:169], v[126:127], v[156:157]
	v_add_f64 v[2:3], v[2:3], v[4:5]
	s_waitcnt lgkmcnt(0)
	v_mul_f64 v[4:5], v[130:131], v[150:151]
	v_add_f64 v[166:167], v[166:167], v[168:169]
	v_mul_f64 v[168:169], v[128:129], v[150:151]
	v_fma_f64 v[4:5], v[128:129], v[152:153], -v[4:5]
	v_fmac_f64_e32 v[168:169], v[130:131], v[152:153]
	v_add_f64 v[2:3], v[2:3], v[4:5]
	s_waitcnt vmcnt(6)
	v_mul_f64 v[4:5], v[134:135], v[158:159]
	v_add_f64 v[166:167], v[166:167], v[168:169]
	v_mul_f64 v[168:169], v[132:133], v[158:159]
	s_waitcnt vmcnt(4)
	v_fma_f64 v[4:5], v[132:133], v[160:161], -v[4:5]
	v_fmac_f64_e32 v[168:169], v[134:135], v[160:161]
	v_add_f64 v[2:3], v[2:3], v[4:5]
	v_add_f64 v[166:167], v[166:167], v[168:169]
	s_waitcnt vmcnt(2)
	v_add_f64 v[2:3], v[162:163], -v[2:3]
	s_waitcnt vmcnt(0)
	v_add_f64 v[4:5], v[164:165], -v[166:167]
	buffer_store_dword v3, off, s[0:3], 0 offset:500
	buffer_store_dword v2, off, s[0:3], 0 offset:496
	buffer_store_dword v5, off, s[0:3], 0 offset:508
	buffer_store_dword v4, off, s[0:3], 0 offset:504
	s_and_saveexec_b64 s[4:5], vcc
	s_cbranch_execz .LBB50_261
; %bb.260:
	v_accvgpr_read_b32 v0, a123
	buffer_load_dword v2, v0, s[0:3], 0 offen
	buffer_load_dword v3, v0, s[0:3], 0 offen offset:4
	buffer_load_dword v4, v0, s[0:3], 0 offen offset:8
	;; [unrolled: 1-line block ×3, first 2 shown]
	v_mov_b32_e32 v0, 0
	v_accvgpr_read_b32 v1, a153
	buffer_store_dword v0, off, s[0:3], 0 offset:480
	buffer_store_dword v0, off, s[0:3], 0 offset:484
	;; [unrolled: 1-line block ×4, first 2 shown]
	s_waitcnt vmcnt(4)
	ds_write_b128 v1, v[2:5]
.LBB50_261:
	s_or_b64 exec, exec, s[4:5]
	s_waitcnt lgkmcnt(0)
	; wave barrier
	s_waitcnt lgkmcnt(0)
	buffer_load_dword v4, off, s[0:3], 0 offset:480
	buffer_load_dword v5, off, s[0:3], 0 offset:484
	buffer_load_dword v2, off, s[0:3], 0 offset:488
	buffer_load_dword v3, off, s[0:3], 0 offset:492
	buffer_load_dword v6, off, s[0:3], 0 offset:496
	buffer_load_dword v7, off, s[0:3], 0 offset:500
	buffer_load_dword v12, off, s[0:3], 0 offset:504
	buffer_load_dword v13, off, s[0:3], 0 offset:508
	buffer_load_dword v8, off, s[0:3], 0 offset:512
	buffer_load_dword v9, off, s[0:3], 0 offset:516
	buffer_load_dword v14, off, s[0:3], 0 offset:520
	buffer_load_dword v15, off, s[0:3], 0 offset:524
	buffer_load_dword v10, off, s[0:3], 0 offset:528
	buffer_load_dword v11, off, s[0:3], 0 offset:532
	buffer_load_dword v16, off, s[0:3], 0 offset:536
	buffer_load_dword v17, off, s[0:3], 0 offset:540
	buffer_load_dword v19, off, s[0:3], 0 offset:572
	buffer_load_dword v18, off, s[0:3], 0 offset:568
	buffer_load_dword v21, off, s[0:3], 0 offset:564
	buffer_load_dword v20, off, s[0:3], 0 offset:560
	buffer_load_dword v23, off, s[0:3], 0 offset:556
	buffer_load_dword v22, off, s[0:3], 0 offset:552
	buffer_load_dword v25, off, s[0:3], 0 offset:548
	buffer_load_dword v24, off, s[0:3], 0 offset:544
	buffer_load_dword v27, off, s[0:3], 0 offset:604
	buffer_load_dword v26, off, s[0:3], 0 offset:600
	buffer_load_dword v29, off, s[0:3], 0 offset:596
	buffer_load_dword v28, off, s[0:3], 0 offset:592
	buffer_load_dword v31, off, s[0:3], 0 offset:588
	buffer_load_dword v30, off, s[0:3], 0 offset:584
	buffer_load_dword v33, off, s[0:3], 0 offset:580
	buffer_load_dword v32, off, s[0:3], 0 offset:576
	buffer_load_dword v35, off, s[0:3], 0 offset:636
	buffer_load_dword v34, off, s[0:3], 0 offset:632
	buffer_load_dword v37, off, s[0:3], 0 offset:628
	buffer_load_dword v36, off, s[0:3], 0 offset:624
	buffer_load_dword v39, off, s[0:3], 0 offset:620
	buffer_load_dword v38, off, s[0:3], 0 offset:616
	buffer_load_dword v41, off, s[0:3], 0 offset:612
	buffer_load_dword v40, off, s[0:3], 0 offset:608
	buffer_load_dword v43, off, s[0:3], 0 offset:668
	buffer_load_dword v42, off, s[0:3], 0 offset:664
	buffer_load_dword v45, off, s[0:3], 0 offset:660
	buffer_load_dword v44, off, s[0:3], 0 offset:656
	buffer_load_dword v47, off, s[0:3], 0 offset:652
	buffer_load_dword v46, off, s[0:3], 0 offset:648
	buffer_load_dword v49, off, s[0:3], 0 offset:644
	buffer_load_dword v48, off, s[0:3], 0 offset:640
	buffer_load_dword v51, off, s[0:3], 0 offset:700
	buffer_load_dword v50, off, s[0:3], 0 offset:696
	buffer_load_dword v53, off, s[0:3], 0 offset:692
	buffer_load_dword v52, off, s[0:3], 0 offset:688
	buffer_load_dword v55, off, s[0:3], 0 offset:684
	buffer_load_dword v54, off, s[0:3], 0 offset:680
	buffer_load_dword v57, off, s[0:3], 0 offset:676
	buffer_load_dword v56, off, s[0:3], 0 offset:672
	buffer_load_dword v59, off, s[0:3], 0 offset:732
	buffer_load_dword v58, off, s[0:3], 0 offset:728
	buffer_load_dword v61, off, s[0:3], 0 offset:724
	buffer_load_dword v60, off, s[0:3], 0 offset:720
	buffer_load_dword v63, off, s[0:3], 0 offset:716
	buffer_load_dword v62, off, s[0:3], 0 offset:712
	buffer_load_dword v65, off, s[0:3], 0 offset:708
	buffer_load_dword v64, off, s[0:3], 0 offset:704
	buffer_load_dword v119, off, s[0:3], 0 offset:764
	buffer_load_dword v118, off, s[0:3], 0 offset:760
	buffer_load_dword v153, off, s[0:3], 0 offset:756
	buffer_load_dword v152, off, s[0:3], 0 offset:752
	buffer_load_dword v155, off, s[0:3], 0 offset:748
	buffer_load_dword v154, off, s[0:3], 0 offset:744
	buffer_load_dword v157, off, s[0:3], 0 offset:740
	buffer_load_dword v156, off, s[0:3], 0 offset:736
	buffer_load_dword v159, off, s[0:3], 0 offset:796
	buffer_load_dword v158, off, s[0:3], 0 offset:792
	buffer_load_dword v161, off, s[0:3], 0 offset:788
	buffer_load_dword v160, off, s[0:3], 0 offset:784
	buffer_load_dword v163, off, s[0:3], 0 offset:780
	buffer_load_dword v162, off, s[0:3], 0 offset:776
	buffer_load_dword v165, off, s[0:3], 0 offset:772
	buffer_load_dword v164, off, s[0:3], 0 offset:768
	buffer_load_dword v167, off, s[0:3], 0 offset:812
	buffer_load_dword v166, off, s[0:3], 0 offset:808
	buffer_load_dword v169, off, s[0:3], 0 offset:804
	buffer_load_dword v168, off, s[0:3], 0 offset:800
	v_mov_b32_e32 v1, 0
	ds_read_b128 v[66:69], v1 offset:1296
	buffer_load_dword v171, off, s[0:3], 0 offset:828
	buffer_load_dword v170, off, s[0:3], 0 offset:824
	;; [unrolled: 1-line block ×4, first 2 shown]
	ds_read_b128 v[70:73], v1 offset:1312
	ds_read_b128 v[74:77], v1 offset:1328
	;; [unrolled: 1-line block ×4, first 2 shown]
	v_cmp_lt_u32_e32 vcc, 28, v254
	s_waitcnt vmcnt(62) lgkmcnt(4)
	v_mul_f64 v[82:83], v[66:67], v[12:13]
	v_fmac_f64_e32 v[82:83], v[68:69], v[6:7]
	s_waitcnt lgkmcnt(3)
	v_mul_f64 v[84:85], v[70:71], v[14:15]
	v_add_f64 v[82:83], v[82:83], 0
	v_fmac_f64_e32 v[84:85], v[72:73], v[8:9]
	v_add_f64 v[82:83], v[82:83], v[84:85]
	s_waitcnt lgkmcnt(2)
	v_mul_f64 v[84:85], v[74:75], v[16:17]
	v_fmac_f64_e32 v[84:85], v[76:77], v[10:11]
	v_add_f64 v[86:87], v[82:83], v[84:85]
	ds_read_b128 v[82:85], v1 offset:1360
	v_mul_f64 v[12:13], v[68:69], v[12:13]
	s_waitcnt lgkmcnt(2)
	v_mul_f64 v[88:89], v[78:79], v[22:23]
	v_fma_f64 v[6:7], v[66:67], v[6:7], -v[12:13]
	v_fmac_f64_e32 v[88:89], v[80:81], v[24:25]
	v_add_f64 v[90:91], v[86:87], v[88:89]
	ds_read_b128 v[86:89], v1 offset:1376
	s_waitcnt lgkmcnt(1)
	v_mul_f64 v[92:93], v[82:83], v[18:19]
	v_fmac_f64_e32 v[92:93], v[84:85], v[20:21]
	v_add_f64 v[94:95], v[90:91], v[92:93]
	ds_read_b128 v[90:93], v1 offset:1392
	s_waitcnt vmcnt(58) lgkmcnt(1)
	v_mul_f64 v[96:97], v[86:87], v[30:31]
	s_waitcnt vmcnt(56)
	v_fmac_f64_e32 v[96:97], v[88:89], v[32:33]
	v_add_f64 v[98:99], v[94:95], v[96:97]
	ds_read_b128 v[94:97], v1 offset:1408
	s_waitcnt lgkmcnt(1)
	v_mul_f64 v[100:101], v[90:91], v[26:27]
	v_fmac_f64_e32 v[100:101], v[92:93], v[28:29]
	v_add_f64 v[102:103], v[98:99], v[100:101]
	ds_read_b128 v[98:101], v1 offset:1424
	s_waitcnt vmcnt(50) lgkmcnt(1)
	v_mul_f64 v[104:105], v[94:95], v[38:39]
	s_waitcnt vmcnt(48)
	v_fmac_f64_e32 v[104:105], v[96:97], v[40:41]
	v_add_f64 v[106:107], v[102:103], v[104:105]
	ds_read_b128 v[102:105], v1 offset:1440
	s_waitcnt lgkmcnt(1)
	v_mul_f64 v[108:109], v[98:99], v[34:35]
	v_fmac_f64_e32 v[108:109], v[100:101], v[36:37]
	v_mul_f64 v[12:13], v[72:73], v[14:15]
	v_add_f64 v[110:111], v[106:107], v[108:109]
	ds_read_b128 v[106:109], v1 offset:1456
	s_waitcnt vmcnt(42) lgkmcnt(1)
	v_mul_f64 v[112:113], v[102:103], v[46:47]
	v_add_f64 v[6:7], v[6:7], 0
	v_fma_f64 v[8:9], v[70:71], v[8:9], -v[12:13]
	s_waitcnt vmcnt(40)
	v_fmac_f64_e32 v[112:113], v[104:105], v[48:49]
	v_add_f64 v[6:7], v[6:7], v[8:9]
	v_mul_f64 v[8:9], v[76:77], v[16:17]
	v_add_f64 v[114:115], v[110:111], v[112:113]
	ds_read_b128 v[110:113], v1 offset:1472
	v_fma_f64 v[8:9], v[74:75], v[10:11], -v[8:9]
	v_add_f64 v[6:7], v[6:7], v[8:9]
	v_mul_f64 v[8:9], v[80:81], v[22:23]
	v_fma_f64 v[8:9], v[78:79], v[24:25], -v[8:9]
	s_waitcnt lgkmcnt(1)
	v_mul_f64 v[116:117], v[106:107], v[42:43]
	v_add_f64 v[6:7], v[6:7], v[8:9]
	v_mul_f64 v[8:9], v[84:85], v[18:19]
	v_fmac_f64_e32 v[116:117], v[108:109], v[44:45]
	v_fma_f64 v[8:9], v[82:83], v[20:21], -v[8:9]
	v_add_f64 v[120:121], v[114:115], v[116:117]
	ds_read_b128 v[114:117], v1 offset:1488
	s_waitcnt vmcnt(34) lgkmcnt(1)
	v_mul_f64 v[122:123], v[110:111], v[54:55]
	v_add_f64 v[6:7], v[6:7], v[8:9]
	v_mul_f64 v[8:9], v[88:89], v[30:31]
	s_waitcnt vmcnt(32)
	v_fmac_f64_e32 v[122:123], v[112:113], v[56:57]
	v_fma_f64 v[8:9], v[86:87], v[32:33], -v[8:9]
	v_add_f64 v[124:125], v[120:121], v[122:123]
	ds_read_b128 v[120:123], v1 offset:1504
	v_add_f64 v[6:7], v[6:7], v[8:9]
	v_mul_f64 v[8:9], v[92:93], v[26:27]
	v_fma_f64 v[8:9], v[90:91], v[28:29], -v[8:9]
	v_add_f64 v[6:7], v[6:7], v[8:9]
	v_mul_f64 v[8:9], v[96:97], v[38:39]
	s_waitcnt lgkmcnt(1)
	v_mul_f64 v[126:127], v[114:115], v[50:51]
	v_fma_f64 v[8:9], v[94:95], v[40:41], -v[8:9]
	v_fmac_f64_e32 v[126:127], v[116:117], v[52:53]
	v_add_f64 v[6:7], v[6:7], v[8:9]
	v_mul_f64 v[8:9], v[100:101], v[34:35]
	v_add_f64 v[128:129], v[124:125], v[126:127]
	ds_read_b128 v[124:127], v1 offset:1520
	s_waitcnt vmcnt(26) lgkmcnt(1)
	v_mul_f64 v[130:131], v[120:121], v[62:63]
	v_fma_f64 v[8:9], v[98:99], v[36:37], -v[8:9]
	s_waitcnt vmcnt(24)
	v_fmac_f64_e32 v[130:131], v[122:123], v[64:65]
	v_add_f64 v[6:7], v[6:7], v[8:9]
	v_mul_f64 v[8:9], v[104:105], v[46:47]
	v_add_f64 v[132:133], v[128:129], v[130:131]
	ds_read_b128 v[128:131], v1 offset:1536
	v_fma_f64 v[8:9], v[102:103], v[48:49], -v[8:9]
	v_add_f64 v[6:7], v[6:7], v[8:9]
	v_mul_f64 v[8:9], v[108:109], v[42:43]
	v_fma_f64 v[8:9], v[106:107], v[44:45], -v[8:9]
	s_waitcnt lgkmcnt(1)
	v_mul_f64 v[134:135], v[124:125], v[58:59]
	v_add_f64 v[6:7], v[6:7], v[8:9]
	v_mul_f64 v[8:9], v[112:113], v[54:55]
	v_fmac_f64_e32 v[134:135], v[126:127], v[60:61]
	v_fma_f64 v[8:9], v[110:111], v[56:57], -v[8:9]
	v_add_f64 v[136:137], v[132:133], v[134:135]
	ds_read_b128 v[132:135], v1 offset:1552
	s_waitcnt vmcnt(18) lgkmcnt(1)
	v_mul_f64 v[138:139], v[128:129], v[154:155]
	v_add_f64 v[6:7], v[6:7], v[8:9]
	v_mul_f64 v[8:9], v[116:117], v[50:51]
	s_waitcnt vmcnt(16)
	v_fmac_f64_e32 v[138:139], v[130:131], v[156:157]
	v_fma_f64 v[8:9], v[114:115], v[52:53], -v[8:9]
	v_add_f64 v[140:141], v[136:137], v[138:139]
	ds_read_b128 v[136:139], v1 offset:1568
	v_add_f64 v[6:7], v[6:7], v[8:9]
	v_mul_f64 v[8:9], v[122:123], v[62:63]
	v_fma_f64 v[8:9], v[120:121], v[64:65], -v[8:9]
	v_add_f64 v[6:7], v[6:7], v[8:9]
	v_mul_f64 v[8:9], v[126:127], v[58:59]
	s_waitcnt lgkmcnt(1)
	v_mul_f64 v[142:143], v[132:133], v[118:119]
	v_fma_f64 v[8:9], v[124:125], v[60:61], -v[8:9]
	v_fmac_f64_e32 v[142:143], v[134:135], v[152:153]
	v_add_f64 v[6:7], v[6:7], v[8:9]
	v_mul_f64 v[8:9], v[130:131], v[154:155]
	v_add_f64 v[144:145], v[140:141], v[142:143]
	ds_read_b128 v[140:143], v1 offset:1584
	s_waitcnt vmcnt(10) lgkmcnt(1)
	v_mul_f64 v[146:147], v[136:137], v[162:163]
	v_fma_f64 v[8:9], v[128:129], v[156:157], -v[8:9]
	s_waitcnt vmcnt(8)
	v_fmac_f64_e32 v[146:147], v[138:139], v[164:165]
	v_add_f64 v[6:7], v[6:7], v[8:9]
	v_mul_f64 v[8:9], v[134:135], v[118:119]
	v_add_f64 v[174:175], v[144:145], v[146:147]
	ds_read_b128 v[144:147], v1 offset:1600
	v_fma_f64 v[8:9], v[132:133], v[152:153], -v[8:9]
	v_add_f64 v[6:7], v[6:7], v[8:9]
	v_mul_f64 v[8:9], v[138:139], v[162:163]
	v_fma_f64 v[8:9], v[136:137], v[164:165], -v[8:9]
	v_add_f64 v[6:7], v[6:7], v[8:9]
	s_waitcnt lgkmcnt(1)
	v_mul_f64 v[8:9], v[142:143], v[158:159]
	v_mul_f64 v[176:177], v[140:141], v[158:159]
	v_fma_f64 v[8:9], v[140:141], v[160:161], -v[8:9]
	v_fmac_f64_e32 v[176:177], v[142:143], v[160:161]
	v_add_f64 v[6:7], v[6:7], v[8:9]
	s_waitcnt vmcnt(6) lgkmcnt(0)
	v_mul_f64 v[8:9], v[146:147], v[166:167]
	v_add_f64 v[174:175], v[174:175], v[176:177]
	v_mul_f64 v[176:177], v[144:145], v[166:167]
	s_waitcnt vmcnt(4)
	v_fma_f64 v[8:9], v[144:145], v[168:169], -v[8:9]
	v_fmac_f64_e32 v[176:177], v[146:147], v[168:169]
	v_add_f64 v[6:7], v[6:7], v[8:9]
	s_waitcnt vmcnt(2)
	v_mul_f64 v[8:9], v[150:151], v[170:171]
	v_add_f64 v[174:175], v[174:175], v[176:177]
	v_mul_f64 v[176:177], v[148:149], v[170:171]
	s_waitcnt vmcnt(0)
	v_fma_f64 v[8:9], v[148:149], v[172:173], -v[8:9]
	v_fmac_f64_e32 v[176:177], v[150:151], v[172:173]
	v_add_f64 v[6:7], v[6:7], v[8:9]
	v_add_f64 v[174:175], v[174:175], v[176:177]
	v_add_f64 v[4:5], v[4:5], -v[6:7]
	v_add_f64 v[2:3], v[2:3], -v[174:175]
	buffer_store_dword v5, off, s[0:3], 0 offset:484
	buffer_store_dword v4, off, s[0:3], 0 offset:480
	;; [unrolled: 1-line block ×4, first 2 shown]
	s_and_saveexec_b64 s[4:5], vcc
	s_cbranch_execz .LBB50_263
; %bb.262:
	v_accvgpr_read_b32 v0, a124
	buffer_load_dword v2, v0, s[0:3], 0 offen
	buffer_load_dword v3, v0, s[0:3], 0 offen offset:4
	buffer_load_dword v4, v0, s[0:3], 0 offen offset:8
	;; [unrolled: 1-line block ×3, first 2 shown]
	v_accvgpr_read_b32 v0, a153
	buffer_store_dword v1, off, s[0:3], 0 offset:464
	buffer_store_dword v1, off, s[0:3], 0 offset:468
	;; [unrolled: 1-line block ×4, first 2 shown]
	s_waitcnt vmcnt(4)
	ds_write_b128 v0, v[2:5]
.LBB50_263:
	s_or_b64 exec, exec, s[4:5]
	s_waitcnt lgkmcnt(0)
	; wave barrier
	s_waitcnt lgkmcnt(0)
	ds_read_b128 v[14:17], v1 offset:1280
	ds_read_b128 v[10:13], v1 offset:1296
	;; [unrolled: 1-line block ×4, first 2 shown]
	buffer_load_dword v20, off, s[0:3], 0 offset:464
	buffer_load_dword v21, off, s[0:3], 0 offset:468
	;; [unrolled: 1-line block ×92, first 2 shown]
	s_waitcnt vmcnt(62) lgkmcnt(3)
	v_mul_f64 v[86:87], v[14:15], v[28:29]
	v_fmac_f64_e32 v[86:87], v[16:17], v[22:23]
	s_waitcnt lgkmcnt(2)
	v_mul_f64 v[88:89], v[10:11], v[30:31]
	v_add_f64 v[86:87], v[86:87], 0
	v_fmac_f64_e32 v[88:89], v[12:13], v[24:25]
	v_add_f64 v[86:87], v[86:87], v[88:89]
	s_waitcnt lgkmcnt(1)
	v_mul_f64 v[88:89], v[6:7], v[32:33]
	v_fmac_f64_e32 v[88:89], v[8:9], v[26:27]
	v_add_f64 v[90:91], v[86:87], v[88:89]
	ds_read_b128 v[86:89], v1 offset:1344
	v_mul_f64 v[16:17], v[16:17], v[28:29]
	v_fma_f64 v[14:15], v[14:15], v[22:23], -v[16:17]
	s_waitcnt lgkmcnt(1)
	v_mul_f64 v[92:93], v[2:3], v[38:39]
	v_mul_f64 v[12:13], v[12:13], v[30:31]
	v_fmac_f64_e32 v[92:93], v[4:5], v[40:41]
	v_add_f64 v[94:95], v[90:91], v[92:93]
	ds_read_b128 v[90:93], v1 offset:1360
	s_waitcnt lgkmcnt(1)
	v_mul_f64 v[96:97], v[86:87], v[34:35]
	v_fmac_f64_e32 v[96:97], v[88:89], v[36:37]
	v_add_f64 v[98:99], v[94:95], v[96:97]
	ds_read_b128 v[94:97], v1 offset:1376
	s_waitcnt lgkmcnt(1)
	v_mul_f64 v[100:101], v[90:91], v[46:47]
	s_waitcnt vmcnt(60)
	v_fmac_f64_e32 v[100:101], v[92:93], v[48:49]
	v_add_f64 v[102:103], v[98:99], v[100:101]
	ds_read_b128 v[98:101], v1 offset:1392
	s_waitcnt lgkmcnt(1)
	v_mul_f64 v[104:105], v[94:95], v[42:43]
	v_fmac_f64_e32 v[104:105], v[96:97], v[44:45]
	v_add_f64 v[106:107], v[102:103], v[104:105]
	ds_read_b128 v[102:105], v1 offset:1408
	s_waitcnt vmcnt(54) lgkmcnt(1)
	v_mul_f64 v[108:109], v[98:99], v[54:55]
	s_waitcnt vmcnt(52)
	v_fmac_f64_e32 v[108:109], v[100:101], v[56:57]
	v_add_f64 v[110:111], v[106:107], v[108:109]
	ds_read_b128 v[106:109], v1 offset:1424
	s_waitcnt lgkmcnt(1)
	v_mul_f64 v[112:113], v[102:103], v[50:51]
	v_fmac_f64_e32 v[112:113], v[104:105], v[52:53]
	v_add_f64 v[114:115], v[110:111], v[112:113]
	ds_read_b128 v[110:113], v1 offset:1440
	s_waitcnt vmcnt(46) lgkmcnt(1)
	v_mul_f64 v[116:117], v[106:107], v[62:63]
	s_waitcnt vmcnt(44)
	v_fmac_f64_e32 v[116:117], v[108:109], v[64:65]
	v_add_f64 v[120:121], v[114:115], v[116:117]
	ds_read_b128 v[114:117], v1 offset:1456
	s_waitcnt lgkmcnt(1)
	v_mul_f64 v[122:123], v[110:111], v[58:59]
	v_fmac_f64_e32 v[122:123], v[112:113], v[60:61]
	v_add_f64 v[14:15], v[14:15], 0
	v_fma_f64 v[10:11], v[10:11], v[24:25], -v[12:13]
	v_mul_f64 v[8:9], v[8:9], v[32:33]
	v_add_f64 v[124:125], v[120:121], v[122:123]
	ds_read_b128 v[120:123], v1 offset:1472
	v_add_f64 v[10:11], v[14:15], v[10:11]
	v_fma_f64 v[6:7], v[6:7], v[26:27], -v[8:9]
	v_mul_f64 v[4:5], v[4:5], v[38:39]
	v_add_f64 v[6:7], v[10:11], v[6:7]
	v_fma_f64 v[2:3], v[2:3], v[40:41], -v[4:5]
	v_mul_f64 v[4:5], v[88:89], v[34:35]
	v_add_f64 v[2:3], v[6:7], v[2:3]
	v_fma_f64 v[4:5], v[86:87], v[36:37], -v[4:5]
	s_waitcnt vmcnt(38) lgkmcnt(1)
	v_mul_f64 v[126:127], v[114:115], v[70:71]
	v_add_f64 v[2:3], v[2:3], v[4:5]
	v_mul_f64 v[4:5], v[92:93], v[46:47]
	s_waitcnt vmcnt(36)
	v_fmac_f64_e32 v[126:127], v[116:117], v[72:73]
	v_fma_f64 v[4:5], v[90:91], v[48:49], -v[4:5]
	v_add_f64 v[128:129], v[124:125], v[126:127]
	ds_read_b128 v[124:127], v1 offset:1488
	s_waitcnt lgkmcnt(1)
	v_mul_f64 v[130:131], v[120:121], v[66:67]
	v_add_f64 v[2:3], v[2:3], v[4:5]
	v_mul_f64 v[4:5], v[96:97], v[42:43]
	v_fmac_f64_e32 v[130:131], v[122:123], v[68:69]
	v_fma_f64 v[4:5], v[94:95], v[44:45], -v[4:5]
	v_add_f64 v[132:133], v[128:129], v[130:131]
	ds_read_b128 v[128:131], v1 offset:1504
	v_add_f64 v[2:3], v[2:3], v[4:5]
	v_mul_f64 v[4:5], v[100:101], v[54:55]
	v_fma_f64 v[4:5], v[98:99], v[56:57], -v[4:5]
	v_add_f64 v[2:3], v[2:3], v[4:5]
	v_mul_f64 v[4:5], v[104:105], v[50:51]
	s_waitcnt vmcnt(30) lgkmcnt(1)
	v_mul_f64 v[134:135], v[124:125], v[78:79]
	v_fma_f64 v[4:5], v[102:103], v[52:53], -v[4:5]
	s_waitcnt vmcnt(28)
	v_fmac_f64_e32 v[134:135], v[126:127], v[80:81]
	v_add_f64 v[2:3], v[2:3], v[4:5]
	v_mul_f64 v[4:5], v[108:109], v[62:63]
	v_add_f64 v[136:137], v[132:133], v[134:135]
	ds_read_b128 v[132:135], v1 offset:1520
	s_waitcnt lgkmcnt(1)
	v_mul_f64 v[138:139], v[128:129], v[74:75]
	v_fma_f64 v[4:5], v[106:107], v[64:65], -v[4:5]
	v_fmac_f64_e32 v[138:139], v[130:131], v[76:77]
	v_add_f64 v[2:3], v[2:3], v[4:5]
	v_mul_f64 v[4:5], v[112:113], v[58:59]
	v_add_f64 v[140:141], v[136:137], v[138:139]
	ds_read_b128 v[136:139], v1 offset:1536
	v_fma_f64 v[4:5], v[110:111], v[60:61], -v[4:5]
	v_add_f64 v[2:3], v[2:3], v[4:5]
	v_mul_f64 v[4:5], v[116:117], v[70:71]
	v_fma_f64 v[4:5], v[114:115], v[72:73], -v[4:5]
	s_waitcnt vmcnt(22) lgkmcnt(1)
	v_mul_f64 v[142:143], v[132:133], v[118:119]
	v_add_f64 v[2:3], v[2:3], v[4:5]
	v_mul_f64 v[4:5], v[122:123], v[66:67]
	s_waitcnt vmcnt(20)
	v_fmac_f64_e32 v[142:143], v[134:135], v[160:161]
	v_fma_f64 v[4:5], v[120:121], v[68:69], -v[4:5]
	v_add_f64 v[144:145], v[140:141], v[142:143]
	ds_read_b128 v[140:143], v1 offset:1552
	s_waitcnt lgkmcnt(1)
	v_mul_f64 v[146:147], v[136:137], v[82:83]
	v_add_f64 v[2:3], v[2:3], v[4:5]
	v_mul_f64 v[4:5], v[126:127], v[78:79]
	v_fmac_f64_e32 v[146:147], v[138:139], v[84:85]
	v_fma_f64 v[4:5], v[124:125], v[80:81], -v[4:5]
	v_add_f64 v[148:149], v[144:145], v[146:147]
	ds_read_b128 v[144:147], v1 offset:1568
	v_add_f64 v[2:3], v[2:3], v[4:5]
	v_mul_f64 v[4:5], v[130:131], v[74:75]
	v_fma_f64 v[4:5], v[128:129], v[76:77], -v[4:5]
	v_add_f64 v[2:3], v[2:3], v[4:5]
	v_mul_f64 v[4:5], v[134:135], v[118:119]
	s_waitcnt vmcnt(14) lgkmcnt(1)
	v_mul_f64 v[150:151], v[140:141], v[166:167]
	v_fma_f64 v[4:5], v[132:133], v[160:161], -v[4:5]
	s_waitcnt vmcnt(12)
	v_fmac_f64_e32 v[150:151], v[142:143], v[168:169]
	v_add_f64 v[2:3], v[2:3], v[4:5]
	v_mul_f64 v[4:5], v[138:139], v[82:83]
	v_add_f64 v[152:153], v[148:149], v[150:151]
	ds_read_b128 v[148:151], v1 offset:1584
	s_waitcnt lgkmcnt(1)
	v_mul_f64 v[154:155], v[144:145], v[162:163]
	v_fma_f64 v[4:5], v[136:137], v[84:85], -v[4:5]
	v_fmac_f64_e32 v[154:155], v[146:147], v[164:165]
	v_add_f64 v[2:3], v[2:3], v[4:5]
	v_mul_f64 v[4:5], v[142:143], v[166:167]
	v_add_f64 v[182:183], v[152:153], v[154:155]
	ds_read_b128 v[152:155], v1 offset:1600
	ds_read_b128 v[156:159], v1 offset:1616
	v_fma_f64 v[4:5], v[140:141], v[168:169], -v[4:5]
	v_add_f64 v[2:3], v[2:3], v[4:5]
	v_mul_f64 v[4:5], v[146:147], v[162:163]
	v_fma_f64 v[4:5], v[144:145], v[164:165], -v[4:5]
	v_add_f64 v[2:3], v[2:3], v[4:5]
	s_waitcnt vmcnt(6) lgkmcnt(2)
	v_mul_f64 v[4:5], v[150:151], v[174:175]
	v_mul_f64 v[184:185], v[148:149], v[174:175]
	s_waitcnt vmcnt(4)
	v_fma_f64 v[4:5], v[148:149], v[176:177], -v[4:5]
	v_fmac_f64_e32 v[184:185], v[150:151], v[176:177]
	v_add_f64 v[2:3], v[2:3], v[4:5]
	s_waitcnt lgkmcnt(1)
	v_mul_f64 v[4:5], v[154:155], v[170:171]
	v_add_f64 v[182:183], v[182:183], v[184:185]
	v_mul_f64 v[184:185], v[152:153], v[170:171]
	v_fma_f64 v[4:5], v[152:153], v[172:173], -v[4:5]
	v_fmac_f64_e32 v[184:185], v[154:155], v[172:173]
	v_add_f64 v[2:3], v[2:3], v[4:5]
	s_waitcnt vmcnt(2) lgkmcnt(0)
	v_mul_f64 v[4:5], v[158:159], v[178:179]
	v_add_f64 v[182:183], v[182:183], v[184:185]
	v_mul_f64 v[184:185], v[156:157], v[178:179]
	s_waitcnt vmcnt(0)
	v_fma_f64 v[4:5], v[156:157], v[180:181], -v[4:5]
	v_fmac_f64_e32 v[184:185], v[158:159], v[180:181]
	v_add_f64 v[2:3], v[2:3], v[4:5]
	v_add_f64 v[182:183], v[182:183], v[184:185]
	v_add_f64 v[2:3], v[20:21], -v[2:3]
	v_cmp_lt_u32_e32 vcc, 27, v254
	v_add_f64 v[4:5], v[18:19], -v[182:183]
	buffer_store_dword v3, off, s[0:3], 0 offset:468
	buffer_store_dword v2, off, s[0:3], 0 offset:464
	;; [unrolled: 1-line block ×4, first 2 shown]
	s_and_saveexec_b64 s[4:5], vcc
	s_cbranch_execz .LBB50_265
; %bb.264:
	v_accvgpr_read_b32 v0, a125
	buffer_load_dword v2, v0, s[0:3], 0 offen
	buffer_load_dword v3, v0, s[0:3], 0 offen offset:4
	buffer_load_dword v4, v0, s[0:3], 0 offen offset:8
	;; [unrolled: 1-line block ×3, first 2 shown]
	v_mov_b32_e32 v0, 0
	v_accvgpr_read_b32 v1, a153
	buffer_store_dword v0, off, s[0:3], 0 offset:448
	buffer_store_dword v0, off, s[0:3], 0 offset:452
	;; [unrolled: 1-line block ×4, first 2 shown]
	s_waitcnt vmcnt(4)
	ds_write_b128 v1, v[2:5]
.LBB50_265:
	s_or_b64 exec, exec, s[4:5]
	s_waitcnt lgkmcnt(0)
	; wave barrier
	s_waitcnt lgkmcnt(0)
	buffer_load_dword v9, off, s[0:3], 0 offset:476
	buffer_load_dword v6, off, s[0:3], 0 offset:488
	;; [unrolled: 1-line block ×64, first 2 shown]
	v_mov_b32_e32 v1, 0
	ds_read_b128 v[74:77], v1 offset:1264
	ds_read_b128 v[78:81], v1 offset:1280
	buffer_load_dword v67, off, s[0:3], 0 offset:732
	buffer_load_dword v66, off, s[0:3], 0 offset:728
	;; [unrolled: 1-line block ×8, first 2 shown]
	ds_read_b128 v[82:85], v1 offset:1296
	ds_read_b128 v[86:89], v1 offset:1312
	buffer_load_dword v119, off, s[0:3], 0 offset:764
	buffer_load_dword v118, off, s[0:3], 0 offset:760
	;; [unrolled: 1-line block ×24, first 2 shown]
	ds_read_b128 v[164:167], v1 offset:1616
	v_cmp_lt_u32_e32 vcc, 26, v254
	s_waitcnt vmcnt(62) lgkmcnt(1)
	v_mul_f64 v[96:97], v[86:87], v[22:23]
	v_fmac_f64_e32 v[96:97], v[88:89], v[24:25]
	v_mul_f64 v[92:93], v[78:79], v[6:7]
	v_mul_f64 v[90:91], v[74:75], v[8:9]
	;; [unrolled: 1-line block ×3, first 2 shown]
	v_fmac_f64_e32 v[90:91], v[76:77], v[10:11]
	v_add_f64 v[90:91], v[90:91], 0
	v_fma_f64 v[8:9], v[74:75], v[10:11], -v[8:9]
	v_mul_f64 v[6:7], v[80:81], v[6:7]
	v_add_f64 v[8:9], v[8:9], 0
	v_fmac_f64_e32 v[92:93], v[80:81], v[14:15]
	v_add_f64 v[90:91], v[90:91], v[92:93]
	v_mul_f64 v[92:93], v[82:83], v[16:17]
	v_fmac_f64_e32 v[92:93], v[84:85], v[12:13]
	v_add_f64 v[94:95], v[90:91], v[92:93]
	ds_read_b128 v[90:93], v1 offset:1328
	v_add_f64 v[98:99], v[94:95], v[96:97]
	ds_read_b128 v[94:97], v1 offset:1344
	v_fma_f64 v[6:7], v[78:79], v[14:15], -v[6:7]
	v_add_f64 v[6:7], v[8:9], v[6:7]
	s_waitcnt lgkmcnt(1)
	v_mul_f64 v[100:101], v[90:91], v[18:19]
	v_fmac_f64_e32 v[100:101], v[92:93], v[20:21]
	v_add_f64 v[102:103], v[98:99], v[100:101]
	ds_read_b128 v[98:101], v1 offset:1360
	s_waitcnt lgkmcnt(1)
	v_mul_f64 v[104:105], v[94:95], v[30:31]
	v_fmac_f64_e32 v[104:105], v[96:97], v[32:33]
	v_add_f64 v[106:107], v[102:103], v[104:105]
	ds_read_b128 v[102:105], v1 offset:1376
	;; [unrolled: 5-line block ×3, first 2 shown]
	s_waitcnt vmcnt(58) lgkmcnt(1)
	v_mul_f64 v[112:113], v[102:103], v[38:39]
	s_waitcnt vmcnt(56)
	v_fmac_f64_e32 v[112:113], v[104:105], v[40:41]
	v_add_f64 v[114:115], v[110:111], v[112:113]
	ds_read_b128 v[110:113], v1 offset:1408
	s_waitcnt lgkmcnt(1)
	v_mul_f64 v[116:117], v[106:107], v[34:35]
	v_fmac_f64_e32 v[116:117], v[108:109], v[36:37]
	v_add_f64 v[120:121], v[114:115], v[116:117]
	ds_read_b128 v[114:117], v1 offset:1424
	s_waitcnt vmcnt(50) lgkmcnt(1)
	v_mul_f64 v[122:123], v[110:111], v[46:47]
	s_waitcnt vmcnt(48)
	v_fmac_f64_e32 v[122:123], v[112:113], v[48:49]
	v_add_f64 v[124:125], v[120:121], v[122:123]
	ds_read_b128 v[120:123], v1 offset:1440
	v_mul_f64 v[8:9], v[84:85], v[16:17]
	s_waitcnt lgkmcnt(1)
	v_mul_f64 v[126:127], v[114:115], v[42:43]
	v_fma_f64 v[8:9], v[82:83], v[12:13], -v[8:9]
	v_fmac_f64_e32 v[126:127], v[116:117], v[44:45]
	v_add_f64 v[6:7], v[6:7], v[8:9]
	v_mul_f64 v[8:9], v[88:89], v[22:23]
	v_add_f64 v[128:129], v[124:125], v[126:127]
	ds_read_b128 v[124:127], v1 offset:1456
	s_waitcnt vmcnt(42) lgkmcnt(1)
	v_mul_f64 v[130:131], v[120:121], v[54:55]
	v_fma_f64 v[8:9], v[86:87], v[24:25], -v[8:9]
	s_waitcnt vmcnt(40)
	v_fmac_f64_e32 v[130:131], v[122:123], v[56:57]
	v_add_f64 v[6:7], v[6:7], v[8:9]
	v_mul_f64 v[8:9], v[92:93], v[18:19]
	v_add_f64 v[132:133], v[128:129], v[130:131]
	ds_read_b128 v[128:131], v1 offset:1472
	v_fma_f64 v[8:9], v[90:91], v[20:21], -v[8:9]
	v_add_f64 v[6:7], v[6:7], v[8:9]
	v_mul_f64 v[8:9], v[96:97], v[30:31]
	v_fma_f64 v[8:9], v[94:95], v[32:33], -v[8:9]
	s_waitcnt lgkmcnt(1)
	v_mul_f64 v[134:135], v[124:125], v[50:51]
	v_add_f64 v[6:7], v[6:7], v[8:9]
	v_mul_f64 v[8:9], v[100:101], v[26:27]
	v_fmac_f64_e32 v[134:135], v[126:127], v[52:53]
	v_fma_f64 v[8:9], v[98:99], v[28:29], -v[8:9]
	v_add_f64 v[136:137], v[132:133], v[134:135]
	ds_read_b128 v[132:135], v1 offset:1488
	s_waitcnt vmcnt(34) lgkmcnt(1)
	v_mul_f64 v[138:139], v[128:129], v[62:63]
	v_add_f64 v[6:7], v[6:7], v[8:9]
	v_mul_f64 v[8:9], v[104:105], v[38:39]
	s_waitcnt vmcnt(32)
	v_fmac_f64_e32 v[138:139], v[130:131], v[64:65]
	v_fma_f64 v[8:9], v[102:103], v[40:41], -v[8:9]
	v_add_f64 v[140:141], v[136:137], v[138:139]
	ds_read_b128 v[136:139], v1 offset:1504
	v_add_f64 v[6:7], v[6:7], v[8:9]
	v_mul_f64 v[8:9], v[108:109], v[34:35]
	v_fma_f64 v[8:9], v[106:107], v[36:37], -v[8:9]
	v_add_f64 v[6:7], v[6:7], v[8:9]
	v_mul_f64 v[8:9], v[112:113], v[46:47]
	s_waitcnt lgkmcnt(1)
	v_mul_f64 v[142:143], v[132:133], v[58:59]
	v_fma_f64 v[8:9], v[110:111], v[48:49], -v[8:9]
	v_fmac_f64_e32 v[142:143], v[134:135], v[60:61]
	v_add_f64 v[6:7], v[6:7], v[8:9]
	v_mul_f64 v[8:9], v[116:117], v[42:43]
	v_add_f64 v[144:145], v[140:141], v[142:143]
	ds_read_b128 v[140:143], v1 offset:1520
	s_waitcnt vmcnt(26) lgkmcnt(1)
	v_mul_f64 v[146:147], v[136:137], v[70:71]
	v_fma_f64 v[8:9], v[114:115], v[44:45], -v[8:9]
	s_waitcnt vmcnt(24)
	v_fmac_f64_e32 v[146:147], v[138:139], v[72:73]
	v_add_f64 v[6:7], v[6:7], v[8:9]
	v_mul_f64 v[8:9], v[122:123], v[54:55]
	v_add_f64 v[148:149], v[144:145], v[146:147]
	ds_read_b128 v[144:147], v1 offset:1536
	v_fma_f64 v[8:9], v[120:121], v[56:57], -v[8:9]
	v_add_f64 v[6:7], v[6:7], v[8:9]
	v_mul_f64 v[8:9], v[126:127], v[50:51]
	v_fma_f64 v[8:9], v[124:125], v[52:53], -v[8:9]
	s_waitcnt lgkmcnt(1)
	v_mul_f64 v[150:151], v[140:141], v[66:67]
	v_add_f64 v[6:7], v[6:7], v[8:9]
	v_mul_f64 v[8:9], v[130:131], v[62:63]
	v_fmac_f64_e32 v[150:151], v[142:143], v[68:69]
	v_fma_f64 v[8:9], v[128:129], v[64:65], -v[8:9]
	v_add_f64 v[152:153], v[148:149], v[150:151]
	ds_read_b128 v[148:151], v1 offset:1552
	s_waitcnt vmcnt(18) lgkmcnt(1)
	v_mul_f64 v[154:155], v[144:145], v[170:171]
	v_add_f64 v[6:7], v[6:7], v[8:9]
	v_mul_f64 v[8:9], v[134:135], v[58:59]
	s_waitcnt vmcnt(16)
	v_fmac_f64_e32 v[154:155], v[146:147], v[172:173]
	v_fma_f64 v[8:9], v[132:133], v[60:61], -v[8:9]
	v_add_f64 v[156:157], v[152:153], v[154:155]
	ds_read_b128 v[152:155], v1 offset:1568
	v_add_f64 v[6:7], v[6:7], v[8:9]
	v_mul_f64 v[8:9], v[138:139], v[70:71]
	v_fma_f64 v[8:9], v[136:137], v[72:73], -v[8:9]
	v_add_f64 v[6:7], v[6:7], v[8:9]
	v_mul_f64 v[8:9], v[142:143], v[66:67]
	s_waitcnt lgkmcnt(1)
	v_mul_f64 v[158:159], v[148:149], v[118:119]
	v_fma_f64 v[8:9], v[140:141], v[68:69], -v[8:9]
	v_fmac_f64_e32 v[158:159], v[150:151], v[168:169]
	v_add_f64 v[6:7], v[6:7], v[8:9]
	v_mul_f64 v[8:9], v[146:147], v[170:171]
	v_add_f64 v[160:161], v[156:157], v[158:159]
	ds_read_b128 v[156:159], v1 offset:1584
	s_waitcnt vmcnt(10) lgkmcnt(1)
	v_mul_f64 v[162:163], v[152:153], v[178:179]
	v_fma_f64 v[8:9], v[144:145], v[172:173], -v[8:9]
	s_waitcnt vmcnt(8)
	v_fmac_f64_e32 v[162:163], v[154:155], v[180:181]
	v_add_f64 v[6:7], v[6:7], v[8:9]
	v_mul_f64 v[8:9], v[150:151], v[118:119]
	v_add_f64 v[190:191], v[160:161], v[162:163]
	ds_read_b128 v[160:163], v1 offset:1600
	v_fma_f64 v[8:9], v[148:149], v[168:169], -v[8:9]
	v_add_f64 v[6:7], v[6:7], v[8:9]
	v_mul_f64 v[8:9], v[154:155], v[178:179]
	v_fma_f64 v[8:9], v[152:153], v[180:181], -v[8:9]
	v_add_f64 v[6:7], v[6:7], v[8:9]
	s_waitcnt lgkmcnt(1)
	v_mul_f64 v[8:9], v[158:159], v[174:175]
	v_mul_f64 v[192:193], v[156:157], v[174:175]
	v_fma_f64 v[8:9], v[156:157], v[176:177], -v[8:9]
	v_fmac_f64_e32 v[192:193], v[158:159], v[176:177]
	v_add_f64 v[6:7], v[6:7], v[8:9]
	s_waitcnt vmcnt(2) lgkmcnt(0)
	v_mul_f64 v[8:9], v[162:163], v[186:187]
	v_add_f64 v[190:191], v[190:191], v[192:193]
	v_mul_f64 v[192:193], v[160:161], v[186:187]
	s_waitcnt vmcnt(0)
	v_fma_f64 v[8:9], v[160:161], v[188:189], -v[8:9]
	v_fmac_f64_e32 v[192:193], v[162:163], v[188:189]
	v_add_f64 v[6:7], v[6:7], v[8:9]
	v_mul_f64 v[8:9], v[166:167], v[182:183]
	v_add_f64 v[190:191], v[190:191], v[192:193]
	v_mul_f64 v[192:193], v[164:165], v[182:183]
	v_fma_f64 v[8:9], v[164:165], v[184:185], -v[8:9]
	v_fmac_f64_e32 v[192:193], v[166:167], v[184:185]
	v_add_f64 v[6:7], v[6:7], v[8:9]
	v_add_f64 v[190:191], v[190:191], v[192:193]
	v_add_f64 v[4:5], v[4:5], -v[6:7]
	v_add_f64 v[2:3], v[2:3], -v[190:191]
	buffer_store_dword v5, off, s[0:3], 0 offset:452
	buffer_store_dword v4, off, s[0:3], 0 offset:448
	;; [unrolled: 1-line block ×4, first 2 shown]
	s_and_saveexec_b64 s[4:5], vcc
	s_cbranch_execz .LBB50_267
; %bb.266:
	v_accvgpr_read_b32 v0, a126
	buffer_load_dword v2, v0, s[0:3], 0 offen
	buffer_load_dword v3, v0, s[0:3], 0 offen offset:4
	buffer_load_dword v4, v0, s[0:3], 0 offen offset:8
	;; [unrolled: 1-line block ×3, first 2 shown]
	v_accvgpr_read_b32 v0, a153
	buffer_store_dword v1, off, s[0:3], 0 offset:432
	buffer_store_dword v1, off, s[0:3], 0 offset:436
	;; [unrolled: 1-line block ×4, first 2 shown]
	s_waitcnt vmcnt(4)
	ds_write_b128 v0, v[2:5]
.LBB50_267:
	s_or_b64 exec, exec, s[4:5]
	s_waitcnt lgkmcnt(0)
	; wave barrier
	s_waitcnt lgkmcnt(0)
	buffer_load_dword v22, off, s[0:3], 0 offset:448
	buffer_load_dword v23, off, s[0:3], 0 offset:452
	;; [unrolled: 1-line block ×16, first 2 shown]
	ds_read_b128 v[2:5], v1 offset:1248
	ds_read_b128 v[6:9], v1 offset:1264
	;; [unrolled: 1-line block ×4, first 2 shown]
	buffer_load_dword v35, off, s[0:3], 0 offset:524
	buffer_load_dword v34, off, s[0:3], 0 offset:520
	;; [unrolled: 1-line block ×48, first 2 shown]
	v_cmp_lt_u32_e32 vcc, 25, v254
	s_waitcnt vmcnt(42) lgkmcnt(0)
	v_mul_f64 v[104:105], v[14:15], v[38:39]
	s_waitcnt vmcnt(40)
	v_fmac_f64_e32 v[104:105], v[16:17], v[40:41]
	v_mul_f64 v[82:83], v[2:3], v[24:25]
	v_fmac_f64_e32 v[82:83], v[4:5], v[22:23]
	v_add_f64 v[82:83], v[82:83], 0
	v_mul_f64 v[4:5], v[4:5], v[24:25]
	v_mul_f64 v[84:85], v[6:7], v[32:33]
	v_fma_f64 v[2:3], v[2:3], v[22:23], -v[4:5]
	v_mul_f64 v[98:99], v[10:11], v[26:27]
	v_fmac_f64_e32 v[98:99], v[12:13], v[30:31]
	v_fmac_f64_e32 v[84:85], v[8:9], v[28:29]
	v_add_f64 v[100:101], v[82:83], v[84:85]
	buffer_load_dword v83, off, s[0:3], 0 offset:716
	buffer_load_dword v82, off, s[0:3], 0 offset:712
	buffer_load_dword v85, off, s[0:3], 0 offset:708
	buffer_load_dword v84, off, s[0:3], 0 offset:704
	buffer_load_dword v87, off, s[0:3], 0 offset:700
	buffer_load_dword v86, off, s[0:3], 0 offset:696
	buffer_load_dword v89, off, s[0:3], 0 offset:692
	buffer_load_dword v88, off, s[0:3], 0 offset:688
	buffer_load_dword v91, off, s[0:3], 0 offset:748
	buffer_load_dword v90, off, s[0:3], 0 offset:744
	buffer_load_dword v93, off, s[0:3], 0 offset:740
	buffer_load_dword v92, off, s[0:3], 0 offset:736
	buffer_load_dword v95, off, s[0:3], 0 offset:732
	buffer_load_dword v94, off, s[0:3], 0 offset:728
	buffer_load_dword v97, off, s[0:3], 0 offset:724
	buffer_load_dword v96, off, s[0:3], 0 offset:720
	buffer_load_dword v119, off, s[0:3], 0 offset:780
	buffer_load_dword v118, off, s[0:3], 0 offset:776
	buffer_load_dword v181, off, s[0:3], 0 offset:772
	buffer_load_dword v180, off, s[0:3], 0 offset:768
	buffer_load_dword v183, off, s[0:3], 0 offset:764
	buffer_load_dword v182, off, s[0:3], 0 offset:760
	buffer_load_dword v185, off, s[0:3], 0 offset:756
	buffer_load_dword v184, off, s[0:3], 0 offset:752
	buffer_load_dword v187, off, s[0:3], 0 offset:812
	buffer_load_dword v186, off, s[0:3], 0 offset:808
	buffer_load_dword v189, off, s[0:3], 0 offset:804
	buffer_load_dword v188, off, s[0:3], 0 offset:800
	buffer_load_dword v191, off, s[0:3], 0 offset:796
	buffer_load_dword v190, off, s[0:3], 0 offset:792
	buffer_load_dword v193, off, s[0:3], 0 offset:788
	buffer_load_dword v192, off, s[0:3], 0 offset:784
	v_add_f64 v[102:103], v[100:101], v[98:99]
	ds_read_b128 v[98:101], v1 offset:1312
	buffer_load_dword v195, off, s[0:3], 0 offset:828
	buffer_load_dword v194, off, s[0:3], 0 offset:824
	buffer_load_dword v197, off, s[0:3], 0 offset:820
	buffer_load_dword v196, off, s[0:3], 0 offset:816
	v_add_f64 v[106:107], v[102:103], v[104:105]
	ds_read_b128 v[102:105], v1 offset:1328
	v_mul_f64 v[4:5], v[8:9], v[32:33]
	s_waitcnt lgkmcnt(1)
	v_mul_f64 v[108:109], v[98:99], v[34:35]
	v_fmac_f64_e32 v[108:109], v[100:101], v[36:37]
	v_add_f64 v[110:111], v[106:107], v[108:109]
	ds_read_b128 v[106:109], v1 offset:1344
	s_waitcnt vmcnt(62) lgkmcnt(1)
	v_mul_f64 v[112:113], v[102:103], v[46:47]
	v_fmac_f64_e32 v[112:113], v[104:105], v[48:49]
	v_add_f64 v[114:115], v[110:111], v[112:113]
	ds_read_b128 v[110:113], v1 offset:1360
	s_waitcnt lgkmcnt(1)
	v_mul_f64 v[116:117], v[106:107], v[42:43]
	v_fmac_f64_e32 v[116:117], v[108:109], v[44:45]
	v_add_f64 v[120:121], v[114:115], v[116:117]
	ds_read_b128 v[114:117], v1 offset:1376
	s_waitcnt lgkmcnt(1)
	v_mul_f64 v[122:123], v[110:111], v[54:55]
	s_waitcnt vmcnt(60)
	v_fmac_f64_e32 v[122:123], v[112:113], v[56:57]
	v_add_f64 v[124:125], v[120:121], v[122:123]
	ds_read_b128 v[120:123], v1 offset:1392
	s_waitcnt lgkmcnt(1)
	v_mul_f64 v[126:127], v[114:115], v[50:51]
	v_fmac_f64_e32 v[126:127], v[116:117], v[52:53]
	v_add_f64 v[128:129], v[124:125], v[126:127]
	ds_read_b128 v[124:127], v1 offset:1408
	s_waitcnt vmcnt(54) lgkmcnt(1)
	v_mul_f64 v[130:131], v[120:121], v[62:63]
	s_waitcnt vmcnt(52)
	v_fmac_f64_e32 v[130:131], v[122:123], v[64:65]
	v_add_f64 v[132:133], v[128:129], v[130:131]
	ds_read_b128 v[128:131], v1 offset:1424
	s_waitcnt lgkmcnt(1)
	v_mul_f64 v[134:135], v[124:125], v[58:59]
	v_fmac_f64_e32 v[134:135], v[126:127], v[60:61]
	v_add_f64 v[2:3], v[2:3], 0
	v_fma_f64 v[4:5], v[6:7], v[28:29], -v[4:5]
	v_add_f64 v[136:137], v[132:133], v[134:135]
	ds_read_b128 v[132:135], v1 offset:1440
	v_add_f64 v[2:3], v[2:3], v[4:5]
	v_mul_f64 v[4:5], v[12:13], v[26:27]
	v_fma_f64 v[4:5], v[10:11], v[30:31], -v[4:5]
	v_add_f64 v[2:3], v[2:3], v[4:5]
	v_mul_f64 v[4:5], v[16:17], v[38:39]
	s_waitcnt vmcnt(46) lgkmcnt(1)
	v_mul_f64 v[138:139], v[128:129], v[70:71]
	v_fma_f64 v[4:5], v[14:15], v[40:41], -v[4:5]
	s_waitcnt vmcnt(44)
	v_fmac_f64_e32 v[138:139], v[130:131], v[72:73]
	v_add_f64 v[2:3], v[2:3], v[4:5]
	v_mul_f64 v[4:5], v[100:101], v[34:35]
	v_add_f64 v[140:141], v[136:137], v[138:139]
	ds_read_b128 v[136:139], v1 offset:1456
	s_waitcnt lgkmcnt(1)
	v_mul_f64 v[142:143], v[132:133], v[66:67]
	v_fma_f64 v[4:5], v[98:99], v[36:37], -v[4:5]
	v_fmac_f64_e32 v[142:143], v[134:135], v[68:69]
	v_add_f64 v[2:3], v[2:3], v[4:5]
	v_mul_f64 v[4:5], v[104:105], v[46:47]
	v_add_f64 v[144:145], v[140:141], v[142:143]
	ds_read_b128 v[140:143], v1 offset:1472
	v_fma_f64 v[4:5], v[102:103], v[48:49], -v[4:5]
	v_add_f64 v[2:3], v[2:3], v[4:5]
	v_mul_f64 v[4:5], v[108:109], v[42:43]
	v_fma_f64 v[4:5], v[106:107], v[44:45], -v[4:5]
	s_waitcnt vmcnt(38) lgkmcnt(1)
	v_mul_f64 v[146:147], v[136:137], v[78:79]
	v_add_f64 v[2:3], v[2:3], v[4:5]
	v_mul_f64 v[4:5], v[112:113], v[54:55]
	s_waitcnt vmcnt(36)
	v_fmac_f64_e32 v[146:147], v[138:139], v[80:81]
	v_fma_f64 v[4:5], v[110:111], v[56:57], -v[4:5]
	v_add_f64 v[148:149], v[144:145], v[146:147]
	ds_read_b128 v[144:147], v1 offset:1488
	s_waitcnt lgkmcnt(1)
	v_mul_f64 v[150:151], v[140:141], v[74:75]
	v_add_f64 v[2:3], v[2:3], v[4:5]
	v_mul_f64 v[4:5], v[116:117], v[50:51]
	v_fmac_f64_e32 v[150:151], v[142:143], v[76:77]
	v_fma_f64 v[4:5], v[114:115], v[52:53], -v[4:5]
	v_add_f64 v[152:153], v[148:149], v[150:151]
	ds_read_b128 v[148:151], v1 offset:1504
	v_add_f64 v[2:3], v[2:3], v[4:5]
	v_mul_f64 v[4:5], v[122:123], v[62:63]
	v_fma_f64 v[4:5], v[120:121], v[64:65], -v[4:5]
	v_add_f64 v[2:3], v[2:3], v[4:5]
	v_mul_f64 v[4:5], v[126:127], v[58:59]
	s_waitcnt vmcnt(30) lgkmcnt(1)
	v_mul_f64 v[154:155], v[144:145], v[86:87]
	v_fma_f64 v[4:5], v[124:125], v[60:61], -v[4:5]
	s_waitcnt vmcnt(28)
	v_fmac_f64_e32 v[154:155], v[146:147], v[88:89]
	v_add_f64 v[2:3], v[2:3], v[4:5]
	v_mul_f64 v[4:5], v[130:131], v[70:71]
	v_add_f64 v[156:157], v[152:153], v[154:155]
	ds_read_b128 v[152:155], v1 offset:1520
	s_waitcnt lgkmcnt(1)
	v_mul_f64 v[158:159], v[148:149], v[82:83]
	v_fma_f64 v[4:5], v[128:129], v[72:73], -v[4:5]
	v_fmac_f64_e32 v[158:159], v[150:151], v[84:85]
	v_add_f64 v[2:3], v[2:3], v[4:5]
	v_mul_f64 v[4:5], v[134:135], v[66:67]
	v_add_f64 v[160:161], v[156:157], v[158:159]
	ds_read_b128 v[156:159], v1 offset:1536
	v_fma_f64 v[4:5], v[132:133], v[68:69], -v[4:5]
	v_add_f64 v[2:3], v[2:3], v[4:5]
	v_mul_f64 v[4:5], v[138:139], v[78:79]
	v_fma_f64 v[4:5], v[136:137], v[80:81], -v[4:5]
	s_waitcnt vmcnt(22) lgkmcnt(1)
	v_mul_f64 v[162:163], v[152:153], v[94:95]
	v_add_f64 v[2:3], v[2:3], v[4:5]
	v_mul_f64 v[4:5], v[142:143], v[74:75]
	s_waitcnt vmcnt(20)
	v_fmac_f64_e32 v[162:163], v[154:155], v[96:97]
	v_fma_f64 v[4:5], v[140:141], v[76:77], -v[4:5]
	v_add_f64 v[164:165], v[160:161], v[162:163]
	ds_read_b128 v[160:163], v1 offset:1552
	s_waitcnt lgkmcnt(1)
	v_mul_f64 v[166:167], v[156:157], v[90:91]
	v_add_f64 v[2:3], v[2:3], v[4:5]
	v_mul_f64 v[4:5], v[146:147], v[86:87]
	v_fmac_f64_e32 v[166:167], v[158:159], v[92:93]
	v_fma_f64 v[4:5], v[144:145], v[88:89], -v[4:5]
	v_add_f64 v[168:169], v[164:165], v[166:167]
	ds_read_b128 v[164:167], v1 offset:1568
	v_add_f64 v[2:3], v[2:3], v[4:5]
	v_mul_f64 v[4:5], v[150:151], v[82:83]
	v_fma_f64 v[4:5], v[148:149], v[84:85], -v[4:5]
	v_add_f64 v[2:3], v[2:3], v[4:5]
	v_mul_f64 v[4:5], v[154:155], v[94:95]
	s_waitcnt vmcnt(14) lgkmcnt(1)
	v_mul_f64 v[170:171], v[160:161], v[182:183]
	v_fma_f64 v[4:5], v[152:153], v[96:97], -v[4:5]
	s_waitcnt vmcnt(12)
	v_fmac_f64_e32 v[170:171], v[162:163], v[184:185]
	v_add_f64 v[2:3], v[2:3], v[4:5]
	v_mul_f64 v[4:5], v[158:159], v[90:91]
	v_add_f64 v[172:173], v[168:169], v[170:171]
	ds_read_b128 v[168:171], v1 offset:1584
	s_waitcnt lgkmcnt(1)
	v_mul_f64 v[174:175], v[164:165], v[118:119]
	v_fma_f64 v[4:5], v[156:157], v[92:93], -v[4:5]
	v_fmac_f64_e32 v[174:175], v[166:167], v[180:181]
	v_add_f64 v[2:3], v[2:3], v[4:5]
	v_mul_f64 v[4:5], v[162:163], v[182:183]
	v_add_f64 v[198:199], v[172:173], v[174:175]
	ds_read_b128 v[172:175], v1 offset:1600
	v_fma_f64 v[4:5], v[160:161], v[184:185], -v[4:5]
	v_add_f64 v[2:3], v[2:3], v[4:5]
	v_mul_f64 v[4:5], v[166:167], v[118:119]
	ds_read_b128 v[176:179], v1 offset:1616
	v_fma_f64 v[4:5], v[164:165], v[180:181], -v[4:5]
	v_add_f64 v[2:3], v[2:3], v[4:5]
	s_waitcnt vmcnt(6) lgkmcnt(2)
	v_mul_f64 v[4:5], v[170:171], v[190:191]
	v_mul_f64 v[200:201], v[168:169], v[190:191]
	s_waitcnt vmcnt(4)
	v_fma_f64 v[4:5], v[168:169], v[192:193], -v[4:5]
	v_fmac_f64_e32 v[200:201], v[170:171], v[192:193]
	v_add_f64 v[2:3], v[2:3], v[4:5]
	s_waitcnt lgkmcnt(1)
	v_mul_f64 v[4:5], v[174:175], v[186:187]
	v_add_f64 v[198:199], v[198:199], v[200:201]
	v_mul_f64 v[200:201], v[172:173], v[186:187]
	v_fma_f64 v[4:5], v[172:173], v[188:189], -v[4:5]
	v_fmac_f64_e32 v[200:201], v[174:175], v[188:189]
	v_add_f64 v[2:3], v[2:3], v[4:5]
	s_waitcnt vmcnt(2) lgkmcnt(0)
	v_mul_f64 v[4:5], v[178:179], v[194:195]
	v_add_f64 v[198:199], v[198:199], v[200:201]
	v_mul_f64 v[200:201], v[176:177], v[194:195]
	s_waitcnt vmcnt(0)
	v_fma_f64 v[4:5], v[176:177], v[196:197], -v[4:5]
	v_fmac_f64_e32 v[200:201], v[178:179], v[196:197]
	v_add_f64 v[2:3], v[2:3], v[4:5]
	v_add_f64 v[198:199], v[198:199], v[200:201]
	v_add_f64 v[2:3], v[20:21], -v[2:3]
	v_add_f64 v[4:5], v[18:19], -v[198:199]
	buffer_store_dword v3, off, s[0:3], 0 offset:436
	buffer_store_dword v2, off, s[0:3], 0 offset:432
	;; [unrolled: 1-line block ×4, first 2 shown]
	s_and_saveexec_b64 s[4:5], vcc
	s_cbranch_execz .LBB50_269
; %bb.268:
	v_accvgpr_read_b32 v0, a127
	buffer_load_dword v2, v0, s[0:3], 0 offen
	buffer_load_dword v3, v0, s[0:3], 0 offen offset:4
	buffer_load_dword v4, v0, s[0:3], 0 offen offset:8
	;; [unrolled: 1-line block ×3, first 2 shown]
	v_mov_b32_e32 v0, 0
	v_accvgpr_read_b32 v1, a153
	buffer_store_dword v0, off, s[0:3], 0 offset:416
	buffer_store_dword v0, off, s[0:3], 0 offset:420
	;; [unrolled: 1-line block ×4, first 2 shown]
	s_waitcnt vmcnt(4)
	ds_write_b128 v1, v[2:5]
.LBB50_269:
	s_or_b64 exec, exec, s[4:5]
	s_waitcnt lgkmcnt(0)
	; wave barrier
	s_waitcnt lgkmcnt(0)
	buffer_load_dword v22, off, s[0:3], 0 offset:432
	buffer_load_dword v23, off, s[0:3], 0 offset:436
	;; [unrolled: 1-line block ×64, first 2 shown]
	v_mov_b32_e32 v1, 0
	ds_read_b128 v[18:21], v1 offset:1232
	ds_read_b128 v[14:17], v1 offset:1248
	;; [unrolled: 1-line block ×5, first 2 shown]
	v_cmp_lt_u32_e32 vcc, 24, v254
	s_waitcnt vmcnt(60) lgkmcnt(4)
	v_mul_f64 v[86:87], v[18:19], v[26:27]
	v_fmac_f64_e32 v[86:87], v[20:21], v[22:23]
	v_add_f64 v[86:87], v[86:87], 0
	v_mul_f64 v[20:21], v[20:21], v[26:27]
	s_waitcnt vmcnt(56) lgkmcnt(3)
	v_mul_f64 v[88:89], v[14:15], v[28:29]
	v_fmac_f64_e32 v[88:89], v[16:17], v[24:25]
	s_waitcnt vmcnt(54) lgkmcnt(2)
	v_mul_f64 v[90:91], v[10:11], v[30:31]
	v_add_f64 v[86:87], v[86:87], v[88:89]
	v_fma_f64 v[18:19], v[18:19], v[22:23], -v[20:21]
	v_mul_f64 v[16:17], v[16:17], v[28:29]
	s_waitcnt vmcnt(50) lgkmcnt(1)
	v_mul_f64 v[102:103], v[6:7], v[40:41]
	v_add_f64 v[18:19], v[18:19], 0
	s_waitcnt vmcnt(48)
	v_fmac_f64_e32 v[90:91], v[12:13], v[44:45]
	v_add_f64 v[104:105], v[86:87], v[90:91]
	buffer_load_dword v87, off, s[0:3], 0 offset:700
	buffer_load_dword v86, off, s[0:3], 0 offset:696
	;; [unrolled: 1-line block ×40, first 2 shown]
	s_waitcnt vmcnt(62)
	v_fmac_f64_e32 v[102:103], v[8:9], v[42:43]
	v_add_f64 v[106:107], v[104:105], v[102:103]
	ds_read_b128 v[102:105], v1 offset:1312
	s_waitcnt lgkmcnt(1)
	v_mul_f64 v[108:109], v[2:3], v[36:37]
	v_fmac_f64_e32 v[108:109], v[4:5], v[38:39]
	v_add_f64 v[110:111], v[106:107], v[108:109]
	ds_read_b128 v[106:109], v1 offset:1328
	s_waitcnt lgkmcnt(1)
	v_mul_f64 v[112:113], v[102:103], v[50:51]
	;; [unrolled: 5-line block ×5, first 2 shown]
	v_fmac_f64_e32 v[126:127], v[116:117], v[56:57]
	v_add_f64 v[128:129], v[124:125], v[126:127]
	ds_read_b128 v[124:127], v1 offset:1392
	s_waitcnt vmcnt(58) lgkmcnt(1)
	v_mul_f64 v[130:131], v[120:121], v[66:67]
	s_waitcnt vmcnt(56)
	v_fmac_f64_e32 v[130:131], v[122:123], v[68:69]
	v_add_f64 v[132:133], v[128:129], v[130:131]
	ds_read_b128 v[128:131], v1 offset:1408
	s_waitcnt lgkmcnt(1)
	v_mul_f64 v[134:135], v[124:125], v[62:63]
	v_fmac_f64_e32 v[134:135], v[126:127], v[64:65]
	v_add_f64 v[136:137], v[132:133], v[134:135]
	ds_read_b128 v[132:135], v1 offset:1424
	s_waitcnt vmcnt(50) lgkmcnt(1)
	v_mul_f64 v[138:139], v[128:129], v[74:75]
	s_waitcnt vmcnt(48)
	v_fmac_f64_e32 v[138:139], v[130:131], v[76:77]
	v_add_f64 v[140:141], v[136:137], v[138:139]
	ds_read_b128 v[136:139], v1 offset:1440
	v_fma_f64 v[14:15], v[14:15], v[24:25], -v[16:17]
	v_mul_f64 v[12:13], v[12:13], v[30:31]
	v_add_f64 v[14:15], v[18:19], v[14:15]
	v_fma_f64 v[10:11], v[10:11], v[44:45], -v[12:13]
	v_mul_f64 v[8:9], v[8:9], v[40:41]
	s_waitcnt lgkmcnt(1)
	v_mul_f64 v[142:143], v[132:133], v[70:71]
	v_add_f64 v[10:11], v[14:15], v[10:11]
	v_fma_f64 v[6:7], v[6:7], v[42:43], -v[8:9]
	v_mul_f64 v[4:5], v[4:5], v[36:37]
	v_fmac_f64_e32 v[142:143], v[134:135], v[72:73]
	v_add_f64 v[6:7], v[10:11], v[6:7]
	v_fma_f64 v[2:3], v[2:3], v[38:39], -v[4:5]
	v_mul_f64 v[4:5], v[104:105], v[50:51]
	v_add_f64 v[144:145], v[140:141], v[142:143]
	ds_read_b128 v[140:143], v1 offset:1456
	s_waitcnt vmcnt(42) lgkmcnt(1)
	v_mul_f64 v[146:147], v[136:137], v[82:83]
	v_add_f64 v[2:3], v[6:7], v[2:3]
	v_fma_f64 v[4:5], v[102:103], v[52:53], -v[4:5]
	s_waitcnt vmcnt(40)
	v_fmac_f64_e32 v[146:147], v[138:139], v[84:85]
	v_add_f64 v[2:3], v[2:3], v[4:5]
	v_mul_f64 v[4:5], v[108:109], v[46:47]
	v_add_f64 v[148:149], v[144:145], v[146:147]
	ds_read_b128 v[144:147], v1 offset:1472
	v_fma_f64 v[4:5], v[106:107], v[48:49], -v[4:5]
	v_add_f64 v[2:3], v[2:3], v[4:5]
	v_mul_f64 v[4:5], v[112:113], v[58:59]
	v_fma_f64 v[4:5], v[110:111], v[60:61], -v[4:5]
	s_waitcnt lgkmcnt(1)
	v_mul_f64 v[150:151], v[140:141], v[78:79]
	v_add_f64 v[2:3], v[2:3], v[4:5]
	v_mul_f64 v[4:5], v[116:117], v[54:55]
	v_fmac_f64_e32 v[150:151], v[142:143], v[80:81]
	v_fma_f64 v[4:5], v[114:115], v[56:57], -v[4:5]
	v_add_f64 v[152:153], v[148:149], v[150:151]
	ds_read_b128 v[148:151], v1 offset:1488
	s_waitcnt vmcnt(34) lgkmcnt(1)
	v_mul_f64 v[154:155], v[144:145], v[90:91]
	v_add_f64 v[2:3], v[2:3], v[4:5]
	v_mul_f64 v[4:5], v[122:123], v[66:67]
	s_waitcnt vmcnt(32)
	v_fmac_f64_e32 v[154:155], v[146:147], v[92:93]
	v_fma_f64 v[4:5], v[120:121], v[68:69], -v[4:5]
	v_add_f64 v[156:157], v[152:153], v[154:155]
	ds_read_b128 v[152:155], v1 offset:1504
	v_add_f64 v[2:3], v[2:3], v[4:5]
	v_mul_f64 v[4:5], v[126:127], v[62:63]
	v_fma_f64 v[4:5], v[124:125], v[64:65], -v[4:5]
	v_add_f64 v[2:3], v[2:3], v[4:5]
	v_mul_f64 v[4:5], v[130:131], v[74:75]
	s_waitcnt lgkmcnt(1)
	v_mul_f64 v[158:159], v[148:149], v[86:87]
	v_fma_f64 v[4:5], v[128:129], v[76:77], -v[4:5]
	v_fmac_f64_e32 v[158:159], v[150:151], v[88:89]
	v_add_f64 v[2:3], v[2:3], v[4:5]
	v_mul_f64 v[4:5], v[134:135], v[70:71]
	v_add_f64 v[160:161], v[156:157], v[158:159]
	ds_read_b128 v[156:159], v1 offset:1520
	s_waitcnt vmcnt(26) lgkmcnt(1)
	v_mul_f64 v[162:163], v[152:153], v[98:99]
	v_fma_f64 v[4:5], v[132:133], v[72:73], -v[4:5]
	s_waitcnt vmcnt(24)
	v_fmac_f64_e32 v[162:163], v[154:155], v[100:101]
	v_add_f64 v[2:3], v[2:3], v[4:5]
	v_mul_f64 v[4:5], v[138:139], v[82:83]
	v_add_f64 v[164:165], v[160:161], v[162:163]
	ds_read_b128 v[160:163], v1 offset:1536
	v_fma_f64 v[4:5], v[136:137], v[84:85], -v[4:5]
	v_add_f64 v[2:3], v[2:3], v[4:5]
	v_mul_f64 v[4:5], v[142:143], v[78:79]
	v_fma_f64 v[4:5], v[140:141], v[80:81], -v[4:5]
	s_waitcnt lgkmcnt(1)
	v_mul_f64 v[166:167], v[156:157], v[94:95]
	v_add_f64 v[2:3], v[2:3], v[4:5]
	v_mul_f64 v[4:5], v[146:147], v[90:91]
	v_fmac_f64_e32 v[166:167], v[158:159], v[96:97]
	v_fma_f64 v[4:5], v[144:145], v[92:93], -v[4:5]
	v_add_f64 v[168:169], v[164:165], v[166:167]
	ds_read_b128 v[164:167], v1 offset:1552
	s_waitcnt vmcnt(18) lgkmcnt(1)
	v_mul_f64 v[170:171], v[160:161], v[186:187]
	v_add_f64 v[2:3], v[2:3], v[4:5]
	v_mul_f64 v[4:5], v[150:151], v[86:87]
	s_waitcnt vmcnt(16)
	v_fmac_f64_e32 v[170:171], v[162:163], v[188:189]
	v_fma_f64 v[4:5], v[148:149], v[88:89], -v[4:5]
	v_add_f64 v[172:173], v[168:169], v[170:171]
	ds_read_b128 v[168:171], v1 offset:1568
	v_add_f64 v[2:3], v[2:3], v[4:5]
	v_mul_f64 v[4:5], v[154:155], v[98:99]
	v_fma_f64 v[4:5], v[152:153], v[100:101], -v[4:5]
	v_add_f64 v[2:3], v[2:3], v[4:5]
	v_mul_f64 v[4:5], v[158:159], v[94:95]
	s_waitcnt lgkmcnt(1)
	v_mul_f64 v[174:175], v[164:165], v[118:119]
	v_fma_f64 v[4:5], v[156:157], v[96:97], -v[4:5]
	v_fmac_f64_e32 v[174:175], v[166:167], v[184:185]
	v_add_f64 v[2:3], v[2:3], v[4:5]
	v_mul_f64 v[4:5], v[162:163], v[186:187]
	v_add_f64 v[176:177], v[172:173], v[174:175]
	ds_read_b128 v[172:175], v1 offset:1584
	s_waitcnt vmcnt(10) lgkmcnt(1)
	v_mul_f64 v[178:179], v[168:169], v[194:195]
	v_fma_f64 v[4:5], v[160:161], v[188:189], -v[4:5]
	s_waitcnt vmcnt(8)
	v_fmac_f64_e32 v[178:179], v[170:171], v[196:197]
	v_add_f64 v[2:3], v[2:3], v[4:5]
	v_mul_f64 v[4:5], v[166:167], v[118:119]
	v_add_f64 v[206:207], v[176:177], v[178:179]
	ds_read_b128 v[176:179], v1 offset:1600
	ds_read_b128 v[180:183], v1 offset:1616
	v_fma_f64 v[4:5], v[164:165], v[184:185], -v[4:5]
	v_add_f64 v[2:3], v[2:3], v[4:5]
	v_mul_f64 v[4:5], v[170:171], v[194:195]
	v_fma_f64 v[4:5], v[168:169], v[196:197], -v[4:5]
	v_add_f64 v[2:3], v[2:3], v[4:5]
	s_waitcnt lgkmcnt(2)
	v_mul_f64 v[4:5], v[174:175], v[190:191]
	v_mul_f64 v[208:209], v[172:173], v[190:191]
	v_fma_f64 v[4:5], v[172:173], v[192:193], -v[4:5]
	v_fmac_f64_e32 v[208:209], v[174:175], v[192:193]
	v_add_f64 v[2:3], v[2:3], v[4:5]
	s_waitcnt vmcnt(2) lgkmcnt(1)
	v_mul_f64 v[4:5], v[178:179], v[202:203]
	v_add_f64 v[206:207], v[206:207], v[208:209]
	v_mul_f64 v[208:209], v[176:177], v[202:203]
	s_waitcnt vmcnt(0)
	v_fma_f64 v[4:5], v[176:177], v[204:205], -v[4:5]
	v_fmac_f64_e32 v[208:209], v[178:179], v[204:205]
	v_add_f64 v[2:3], v[2:3], v[4:5]
	s_waitcnt lgkmcnt(0)
	v_mul_f64 v[4:5], v[182:183], v[198:199]
	v_add_f64 v[206:207], v[206:207], v[208:209]
	v_mul_f64 v[208:209], v[180:181], v[198:199]
	v_fma_f64 v[4:5], v[180:181], v[200:201], -v[4:5]
	v_fmac_f64_e32 v[208:209], v[182:183], v[200:201]
	v_add_f64 v[2:3], v[2:3], v[4:5]
	v_add_f64 v[206:207], v[206:207], v[208:209]
	v_add_f64 v[2:3], v[34:35], -v[2:3]
	v_add_f64 v[4:5], v[32:33], -v[206:207]
	buffer_store_dword v3, off, s[0:3], 0 offset:420
	buffer_store_dword v2, off, s[0:3], 0 offset:416
	;; [unrolled: 1-line block ×4, first 2 shown]
	s_and_saveexec_b64 s[4:5], vcc
	s_cbranch_execz .LBB50_271
; %bb.270:
	v_accvgpr_read_b32 v0, a128
	buffer_load_dword v2, v0, s[0:3], 0 offen
	buffer_load_dword v3, v0, s[0:3], 0 offen offset:4
	buffer_load_dword v4, v0, s[0:3], 0 offen offset:8
	;; [unrolled: 1-line block ×3, first 2 shown]
	v_accvgpr_read_b32 v0, a153
	buffer_store_dword v1, off, s[0:3], 0 offset:400
	buffer_store_dword v1, off, s[0:3], 0 offset:404
	;; [unrolled: 1-line block ×4, first 2 shown]
	s_waitcnt vmcnt(4)
	ds_write_b128 v0, v[2:5]
.LBB50_271:
	s_or_b64 exec, exec, s[4:5]
	s_waitcnt lgkmcnt(0)
	; wave barrier
	s_waitcnt lgkmcnt(0)
	buffer_load_dword v26, off, s[0:3], 0 offset:416
	buffer_load_dword v27, off, s[0:3], 0 offset:420
	;; [unrolled: 1-line block ×24, first 2 shown]
	ds_read_b128 v[22:25], v1 offset:1216
	ds_read_b128 v[18:21], v1 offset:1232
	;; [unrolled: 1-line block ×6, first 2 shown]
	buffer_load_dword v51, off, s[0:3], 0 offset:524
	buffer_load_dword v50, off, s[0:3], 0 offset:520
	;; [unrolled: 1-line block ×40, first 2 shown]
	v_cmp_lt_u32_e32 vcc, 23, v254
	s_waitcnt vmcnt(34) lgkmcnt(0)
	v_mul_f64 v[122:123], v[14:15], v[54:55]
	s_waitcnt vmcnt(32)
	v_fmac_f64_e32 v[122:123], v[16:17], v[56:57]
	v_mul_f64 v[90:91], v[22:23], v[28:29]
	v_fmac_f64_e32 v[90:91], v[24:25], v[26:27]
	v_mul_f64 v[92:93], v[18:19], v[30:31]
	v_add_f64 v[90:91], v[90:91], 0
	v_mul_f64 v[94:95], v[10:11], v[32:33]
	v_mul_f64 v[24:25], v[24:25], v[28:29]
	;; [unrolled: 1-line block ×3, first 2 shown]
	v_fma_f64 v[22:23], v[22:23], v[26:27], -v[24:25]
	v_add_f64 v[22:23], v[22:23], 0
	v_mul_f64 v[96:97], v[6:7], v[42:43]
	v_fmac_f64_e32 v[92:93], v[20:21], v[48:49]
	v_add_f64 v[90:91], v[90:91], v[92:93]
	v_fmac_f64_e32 v[94:95], v[12:13], v[46:47]
	v_add_f64 v[90:91], v[90:91], v[94:95]
	;; [unrolled: 2-line block ×3, first 2 shown]
	buffer_load_dword v91, off, s[0:3], 0 offset:684
	buffer_load_dword v90, off, s[0:3], 0 offset:680
	;; [unrolled: 1-line block ×40, first 2 shown]
	v_fmac_f64_e32 v[114:115], v[4:5], v[40:41]
	v_add_f64 v[120:121], v[116:117], v[114:115]
	ds_read_b128 v[114:117], v1 offset:1312
	buffer_load_dword v211, off, s[0:3], 0 offset:828
	buffer_load_dword v210, off, s[0:3], 0 offset:824
	;; [unrolled: 1-line block ×4, first 2 shown]
	v_add_f64 v[124:125], v[120:121], v[122:123]
	ds_read_b128 v[120:123], v1 offset:1328
	v_mul_f64 v[20:21], v[20:21], v[30:31]
	s_waitcnt lgkmcnt(1)
	v_mul_f64 v[126:127], v[114:115], v[50:51]
	v_fmac_f64_e32 v[126:127], v[116:117], v[52:53]
	v_add_f64 v[128:129], v[124:125], v[126:127]
	ds_read_b128 v[124:127], v1 offset:1344
	s_waitcnt vmcnt(62) lgkmcnt(1)
	v_mul_f64 v[130:131], v[120:121], v[62:63]
	v_fmac_f64_e32 v[130:131], v[122:123], v[64:65]
	v_add_f64 v[132:133], v[128:129], v[130:131]
	ds_read_b128 v[128:131], v1 offset:1360
	s_waitcnt lgkmcnt(1)
	v_mul_f64 v[134:135], v[124:125], v[58:59]
	v_fmac_f64_e32 v[134:135], v[126:127], v[60:61]
	v_add_f64 v[136:137], v[132:133], v[134:135]
	ds_read_b128 v[132:135], v1 offset:1376
	s_waitcnt lgkmcnt(1)
	v_mul_f64 v[138:139], v[128:129], v[70:71]
	s_waitcnt vmcnt(60)
	v_fmac_f64_e32 v[138:139], v[130:131], v[72:73]
	v_add_f64 v[140:141], v[136:137], v[138:139]
	ds_read_b128 v[136:139], v1 offset:1392
	s_waitcnt lgkmcnt(1)
	v_mul_f64 v[142:143], v[132:133], v[66:67]
	v_fmac_f64_e32 v[142:143], v[134:135], v[68:69]
	v_add_f64 v[144:145], v[140:141], v[142:143]
	ds_read_b128 v[140:143], v1 offset:1408
	s_waitcnt vmcnt(54) lgkmcnt(1)
	v_mul_f64 v[146:147], v[136:137], v[78:79]
	s_waitcnt vmcnt(52)
	v_fmac_f64_e32 v[146:147], v[138:139], v[80:81]
	v_add_f64 v[148:149], v[144:145], v[146:147]
	ds_read_b128 v[144:147], v1 offset:1424
	s_waitcnt lgkmcnt(1)
	v_mul_f64 v[150:151], v[140:141], v[74:75]
	v_fmac_f64_e32 v[150:151], v[142:143], v[76:77]
	v_fma_f64 v[18:19], v[18:19], v[48:49], -v[20:21]
	v_mul_f64 v[12:13], v[12:13], v[32:33]
	v_add_f64 v[152:153], v[148:149], v[150:151]
	ds_read_b128 v[148:151], v1 offset:1440
	v_add_f64 v[18:19], v[22:23], v[18:19]
	v_fma_f64 v[10:11], v[10:11], v[46:47], -v[12:13]
	v_mul_f64 v[8:9], v[8:9], v[42:43]
	v_add_f64 v[10:11], v[18:19], v[10:11]
	v_fma_f64 v[6:7], v[6:7], v[44:45], -v[8:9]
	v_mul_f64 v[4:5], v[4:5], v[38:39]
	;; [unrolled: 3-line block ×3, first 2 shown]
	s_waitcnt vmcnt(46) lgkmcnt(1)
	v_mul_f64 v[154:155], v[144:145], v[86:87]
	v_add_f64 v[2:3], v[6:7], v[2:3]
	v_fma_f64 v[4:5], v[14:15], v[56:57], -v[4:5]
	s_waitcnt vmcnt(44)
	v_fmac_f64_e32 v[154:155], v[146:147], v[88:89]
	v_add_f64 v[2:3], v[2:3], v[4:5]
	v_mul_f64 v[4:5], v[116:117], v[50:51]
	v_add_f64 v[156:157], v[152:153], v[154:155]
	ds_read_b128 v[152:155], v1 offset:1456
	s_waitcnt lgkmcnt(1)
	v_mul_f64 v[158:159], v[148:149], v[82:83]
	v_fma_f64 v[4:5], v[114:115], v[52:53], -v[4:5]
	v_fmac_f64_e32 v[158:159], v[150:151], v[84:85]
	v_add_f64 v[2:3], v[2:3], v[4:5]
	v_mul_f64 v[4:5], v[122:123], v[62:63]
	v_add_f64 v[160:161], v[156:157], v[158:159]
	ds_read_b128 v[156:159], v1 offset:1472
	v_fma_f64 v[4:5], v[120:121], v[64:65], -v[4:5]
	v_add_f64 v[2:3], v[2:3], v[4:5]
	v_mul_f64 v[4:5], v[126:127], v[58:59]
	v_fma_f64 v[4:5], v[124:125], v[60:61], -v[4:5]
	s_waitcnt vmcnt(38) lgkmcnt(1)
	v_mul_f64 v[162:163], v[152:153], v[94:95]
	v_add_f64 v[2:3], v[2:3], v[4:5]
	v_mul_f64 v[4:5], v[130:131], v[70:71]
	s_waitcnt vmcnt(36)
	v_fmac_f64_e32 v[162:163], v[154:155], v[96:97]
	v_fma_f64 v[4:5], v[128:129], v[72:73], -v[4:5]
	v_add_f64 v[164:165], v[160:161], v[162:163]
	ds_read_b128 v[160:163], v1 offset:1488
	s_waitcnt lgkmcnt(1)
	v_mul_f64 v[166:167], v[156:157], v[90:91]
	v_add_f64 v[2:3], v[2:3], v[4:5]
	v_mul_f64 v[4:5], v[134:135], v[66:67]
	v_fmac_f64_e32 v[166:167], v[158:159], v[92:93]
	v_fma_f64 v[4:5], v[132:133], v[68:69], -v[4:5]
	v_add_f64 v[168:169], v[164:165], v[166:167]
	ds_read_b128 v[164:167], v1 offset:1504
	v_add_f64 v[2:3], v[2:3], v[4:5]
	v_mul_f64 v[4:5], v[138:139], v[78:79]
	v_fma_f64 v[4:5], v[136:137], v[80:81], -v[4:5]
	v_add_f64 v[2:3], v[2:3], v[4:5]
	v_mul_f64 v[4:5], v[142:143], v[74:75]
	s_waitcnt vmcnt(30) lgkmcnt(1)
	v_mul_f64 v[170:171], v[160:161], v[102:103]
	v_fma_f64 v[4:5], v[140:141], v[76:77], -v[4:5]
	s_waitcnt vmcnt(28)
	v_fmac_f64_e32 v[170:171], v[162:163], v[104:105]
	v_add_f64 v[2:3], v[2:3], v[4:5]
	v_mul_f64 v[4:5], v[146:147], v[86:87]
	v_add_f64 v[172:173], v[168:169], v[170:171]
	ds_read_b128 v[168:171], v1 offset:1520
	s_waitcnt lgkmcnt(1)
	v_mul_f64 v[174:175], v[164:165], v[98:99]
	v_fma_f64 v[4:5], v[144:145], v[88:89], -v[4:5]
	v_fmac_f64_e32 v[174:175], v[166:167], v[100:101]
	v_add_f64 v[2:3], v[2:3], v[4:5]
	v_mul_f64 v[4:5], v[150:151], v[82:83]
	v_add_f64 v[176:177], v[172:173], v[174:175]
	ds_read_b128 v[172:175], v1 offset:1536
	v_fma_f64 v[4:5], v[148:149], v[84:85], -v[4:5]
	v_add_f64 v[2:3], v[2:3], v[4:5]
	v_mul_f64 v[4:5], v[154:155], v[94:95]
	v_fma_f64 v[4:5], v[152:153], v[96:97], -v[4:5]
	s_waitcnt vmcnt(22) lgkmcnt(1)
	v_mul_f64 v[178:179], v[168:169], v[110:111]
	v_add_f64 v[2:3], v[2:3], v[4:5]
	v_mul_f64 v[4:5], v[158:159], v[90:91]
	s_waitcnt vmcnt(20)
	v_fmac_f64_e32 v[178:179], v[170:171], v[112:113]
	v_fma_f64 v[4:5], v[156:157], v[92:93], -v[4:5]
	v_add_f64 v[180:181], v[176:177], v[178:179]
	ds_read_b128 v[176:179], v1 offset:1552
	s_waitcnt lgkmcnt(1)
	v_mul_f64 v[182:183], v[172:173], v[106:107]
	v_add_f64 v[2:3], v[2:3], v[4:5]
	v_mul_f64 v[4:5], v[162:163], v[102:103]
	v_fmac_f64_e32 v[182:183], v[174:175], v[108:109]
	v_fma_f64 v[4:5], v[160:161], v[104:105], -v[4:5]
	v_add_f64 v[184:185], v[180:181], v[182:183]
	ds_read_b128 v[180:183], v1 offset:1568
	v_add_f64 v[2:3], v[2:3], v[4:5]
	v_mul_f64 v[4:5], v[166:167], v[98:99]
	v_fma_f64 v[4:5], v[164:165], v[100:101], -v[4:5]
	v_add_f64 v[2:3], v[2:3], v[4:5]
	v_mul_f64 v[4:5], v[170:171], v[110:111]
	s_waitcnt vmcnt(14) lgkmcnt(1)
	v_mul_f64 v[186:187], v[176:177], v[198:199]
	v_fma_f64 v[4:5], v[168:169], v[112:113], -v[4:5]
	s_waitcnt vmcnt(12)
	v_fmac_f64_e32 v[186:187], v[178:179], v[200:201]
	v_add_f64 v[2:3], v[2:3], v[4:5]
	v_mul_f64 v[4:5], v[174:175], v[106:107]
	v_add_f64 v[188:189], v[184:185], v[186:187]
	ds_read_b128 v[184:187], v1 offset:1584
	s_waitcnt lgkmcnt(1)
	v_mul_f64 v[190:191], v[180:181], v[118:119]
	v_fma_f64 v[4:5], v[172:173], v[108:109], -v[4:5]
	v_fmac_f64_e32 v[190:191], v[182:183], v[196:197]
	v_add_f64 v[2:3], v[2:3], v[4:5]
	v_mul_f64 v[4:5], v[178:179], v[198:199]
	v_add_f64 v[214:215], v[188:189], v[190:191]
	ds_read_b128 v[188:191], v1 offset:1600
	v_fma_f64 v[4:5], v[176:177], v[200:201], -v[4:5]
	v_add_f64 v[2:3], v[2:3], v[4:5]
	v_mul_f64 v[4:5], v[182:183], v[118:119]
	ds_read_b128 v[192:195], v1 offset:1616
	v_fma_f64 v[4:5], v[180:181], v[196:197], -v[4:5]
	v_add_f64 v[2:3], v[2:3], v[4:5]
	s_waitcnt vmcnt(6) lgkmcnt(2)
	v_mul_f64 v[4:5], v[186:187], v[206:207]
	v_mul_f64 v[216:217], v[184:185], v[206:207]
	s_waitcnt vmcnt(4)
	v_fma_f64 v[4:5], v[184:185], v[208:209], -v[4:5]
	v_fmac_f64_e32 v[216:217], v[186:187], v[208:209]
	v_add_f64 v[2:3], v[2:3], v[4:5]
	s_waitcnt lgkmcnt(1)
	v_mul_f64 v[4:5], v[190:191], v[202:203]
	v_add_f64 v[214:215], v[214:215], v[216:217]
	v_mul_f64 v[216:217], v[188:189], v[202:203]
	v_fma_f64 v[4:5], v[188:189], v[204:205], -v[4:5]
	v_fmac_f64_e32 v[216:217], v[190:191], v[204:205]
	v_add_f64 v[2:3], v[2:3], v[4:5]
	s_waitcnt vmcnt(2) lgkmcnt(0)
	v_mul_f64 v[4:5], v[194:195], v[210:211]
	v_add_f64 v[214:215], v[214:215], v[216:217]
	v_mul_f64 v[216:217], v[192:193], v[210:211]
	s_waitcnt vmcnt(0)
	v_fma_f64 v[4:5], v[192:193], v[212:213], -v[4:5]
	v_fmac_f64_e32 v[216:217], v[194:195], v[212:213]
	v_add_f64 v[2:3], v[2:3], v[4:5]
	v_add_f64 v[214:215], v[214:215], v[216:217]
	v_add_f64 v[2:3], v[36:37], -v[2:3]
	v_add_f64 v[4:5], v[34:35], -v[214:215]
	buffer_store_dword v3, off, s[0:3], 0 offset:404
	buffer_store_dword v2, off, s[0:3], 0 offset:400
	;; [unrolled: 1-line block ×4, first 2 shown]
	s_and_saveexec_b64 s[4:5], vcc
	s_cbranch_execz .LBB50_273
; %bb.272:
	v_accvgpr_read_b32 v0, a129
	buffer_load_dword v2, v0, s[0:3], 0 offen
	buffer_load_dword v3, v0, s[0:3], 0 offen offset:4
	buffer_load_dword v4, v0, s[0:3], 0 offen offset:8
	;; [unrolled: 1-line block ×3, first 2 shown]
	v_mov_b32_e32 v0, 0
	v_accvgpr_read_b32 v1, a153
	buffer_store_dword v0, off, s[0:3], 0 offset:384
	buffer_store_dword v0, off, s[0:3], 0 offset:388
	;; [unrolled: 1-line block ×4, first 2 shown]
	s_waitcnt vmcnt(4)
	ds_write_b128 v1, v[2:5]
.LBB50_273:
	s_or_b64 exec, exec, s[4:5]
	s_waitcnt lgkmcnt(0)
	; wave barrier
	s_waitcnt lgkmcnt(0)
	buffer_load_dword v30, off, s[0:3], 0 offset:400
	buffer_load_dword v31, off, s[0:3], 0 offset:404
	;; [unrolled: 1-line block ×56, first 2 shown]
	v_mov_b32_e32 v1, 0
	ds_read_b128 v[26:29], v1 offset:1200
	ds_read_b128 v[22:25], v1 offset:1216
	;; [unrolled: 1-line block ×7, first 2 shown]
	v_cmp_lt_u32_e32 vcc, 22, v254
	s_waitcnt vmcnt(52) lgkmcnt(6)
	v_mul_f64 v[86:87], v[26:27], v[34:35]
	v_fmac_f64_e32 v[86:87], v[28:29], v[30:31]
	v_add_f64 v[86:87], v[86:87], 0
	v_mul_f64 v[28:29], v[28:29], v[34:35]
	s_waitcnt vmcnt(48) lgkmcnt(5)
	v_mul_f64 v[88:89], v[22:23], v[36:37]
	v_fmac_f64_e32 v[88:89], v[24:25], v[32:33]
	s_waitcnt vmcnt(46) lgkmcnt(4)
	v_mul_f64 v[90:91], v[18:19], v[38:39]
	v_add_f64 v[86:87], v[86:87], v[88:89]
	s_waitcnt vmcnt(44) lgkmcnt(2)
	v_mul_f64 v[94:95], v[10:11], v[40:41]
	v_fma_f64 v[26:27], v[26:27], v[30:31], -v[28:29]
	s_waitcnt vmcnt(42)
	v_fmac_f64_e32 v[94:95], v[12:13], v[42:43]
	v_mul_f64 v[24:25], v[24:25], v[36:37]
	s_waitcnt vmcnt(40)
	v_mul_f64 v[92:93], v[14:15], v[48:49]
	v_add_f64 v[26:27], v[26:27], 0
	v_fma_f64 v[22:23], v[22:23], v[32:33], -v[24:25]
	v_add_f64 v[22:23], v[26:27], v[22:23]
	s_waitcnt vmcnt(36) lgkmcnt(1)
	v_mul_f64 v[110:111], v[6:7], v[54:55]
	v_mul_f64 v[12:13], v[12:13], v[40:41]
	s_waitcnt vmcnt(34)
	v_fmac_f64_e32 v[90:91], v[20:21], v[60:61]
	v_add_f64 v[86:87], v[86:87], v[90:91]
	s_waitcnt vmcnt(32)
	v_fmac_f64_e32 v[92:93], v[16:17], v[58:59]
	v_add_f64 v[86:87], v[86:87], v[92:93]
	v_add_f64 v[116:117], v[86:87], v[94:95]
	buffer_load_dword v87, off, s[0:3], 0 offset:636
	buffer_load_dword v86, off, s[0:3], 0 offset:632
	;; [unrolled: 1-line block ×56, first 2 shown]
	ds_read_b128 v[126:129], v1 offset:1312
	ds_read_b128 v[130:133], v1 offset:1328
	v_mul_f64 v[20:21], v[20:21], v[38:39]
	v_fma_f64 v[18:19], v[18:19], v[60:61], -v[20:21]
	v_mul_f64 v[16:17], v[16:17], v[48:49]
	s_waitcnt vmcnt(62)
	v_fmac_f64_e32 v[110:111], v[8:9], v[56:57]
	v_add_f64 v[18:19], v[22:23], v[18:19]
	v_fma_f64 v[14:15], v[14:15], v[58:59], -v[16:17]
	v_add_f64 v[110:111], v[116:117], v[110:111]
	s_waitcnt lgkmcnt(2)
	v_mul_f64 v[116:117], v[2:3], v[50:51]
	v_add_f64 v[14:15], v[18:19], v[14:15]
	v_fma_f64 v[10:11], v[10:11], v[42:43], -v[12:13]
	v_mul_f64 v[8:9], v[8:9], v[54:55]
	v_fmac_f64_e32 v[116:117], v[4:5], v[52:53]
	ds_read_b128 v[134:137], v1 offset:1344
	ds_read_b128 v[138:141], v1 offset:1360
	v_add_f64 v[10:11], v[14:15], v[10:11]
	v_fma_f64 v[6:7], v[6:7], v[56:57], -v[8:9]
	v_mul_f64 v[4:5], v[4:5], v[50:51]
	v_add_f64 v[6:7], v[10:11], v[6:7]
	v_fma_f64 v[2:3], v[2:3], v[52:53], -v[4:5]
	s_waitcnt lgkmcnt(3)
	v_mul_f64 v[4:5], v[128:129], v[66:67]
	v_add_f64 v[110:111], v[110:111], v[116:117]
	v_mul_f64 v[116:117], v[126:127], v[66:67]
	v_add_f64 v[2:3], v[6:7], v[2:3]
	v_fma_f64 v[4:5], v[126:127], v[68:69], -v[4:5]
	v_fmac_f64_e32 v[116:117], v[128:129], v[68:69]
	v_add_f64 v[2:3], v[2:3], v[4:5]
	s_waitcnt lgkmcnt(2)
	v_mul_f64 v[4:5], v[132:133], v[62:63]
	v_add_f64 v[110:111], v[110:111], v[116:117]
	v_mul_f64 v[116:117], v[130:131], v[62:63]
	ds_read_b128 v[142:145], v1 offset:1376
	ds_read_b128 v[146:149], v1 offset:1392
	v_fma_f64 v[4:5], v[130:131], v[64:65], -v[4:5]
	v_fmac_f64_e32 v[116:117], v[132:133], v[64:65]
	v_add_f64 v[2:3], v[2:3], v[4:5]
	s_waitcnt lgkmcnt(3)
	v_mul_f64 v[4:5], v[136:137], v[74:75]
	v_add_f64 v[110:111], v[110:111], v[116:117]
	v_mul_f64 v[116:117], v[134:135], v[74:75]
	v_fma_f64 v[4:5], v[134:135], v[76:77], -v[4:5]
	v_fmac_f64_e32 v[116:117], v[136:137], v[76:77]
	v_add_f64 v[2:3], v[2:3], v[4:5]
	s_waitcnt lgkmcnt(2)
	v_mul_f64 v[4:5], v[140:141], v[70:71]
	v_add_f64 v[110:111], v[110:111], v[116:117]
	v_mul_f64 v[116:117], v[138:139], v[70:71]
	ds_read_b128 v[150:153], v1 offset:1408
	ds_read_b128 v[154:157], v1 offset:1424
	v_fma_f64 v[4:5], v[138:139], v[72:73], -v[4:5]
	v_fmac_f64_e32 v[116:117], v[140:141], v[72:73]
	v_add_f64 v[2:3], v[2:3], v[4:5]
	s_waitcnt vmcnt(58) lgkmcnt(3)
	v_mul_f64 v[4:5], v[144:145], v[82:83]
	v_add_f64 v[110:111], v[110:111], v[116:117]
	v_mul_f64 v[116:117], v[142:143], v[82:83]
	s_waitcnt vmcnt(56)
	v_fma_f64 v[4:5], v[142:143], v[84:85], -v[4:5]
	v_fmac_f64_e32 v[116:117], v[144:145], v[84:85]
	v_add_f64 v[2:3], v[2:3], v[4:5]
	s_waitcnt lgkmcnt(2)
	v_mul_f64 v[4:5], v[148:149], v[78:79]
	v_add_f64 v[110:111], v[110:111], v[116:117]
	v_mul_f64 v[116:117], v[146:147], v[78:79]
	ds_read_b128 v[158:161], v1 offset:1440
	ds_read_b128 v[162:165], v1 offset:1456
	v_fma_f64 v[4:5], v[146:147], v[80:81], -v[4:5]
	v_fmac_f64_e32 v[116:117], v[148:149], v[80:81]
	v_add_f64 v[2:3], v[2:3], v[4:5]
	s_waitcnt vmcnt(50) lgkmcnt(3)
	v_mul_f64 v[4:5], v[152:153], v[90:91]
	v_add_f64 v[110:111], v[110:111], v[116:117]
	v_mul_f64 v[116:117], v[150:151], v[90:91]
	s_waitcnt vmcnt(48)
	;; [unrolled: 17-line block ×7, first 2 shown]
	v_fma_f64 v[4:5], v[190:191], v[216:217], -v[4:5]
	v_fmac_f64_e32 v[116:117], v[192:193], v[216:217]
	v_add_f64 v[2:3], v[2:3], v[4:5]
	s_waitcnt lgkmcnt(2)
	v_mul_f64 v[4:5], v[196:197], v[210:211]
	v_add_f64 v[110:111], v[110:111], v[116:117]
	v_mul_f64 v[116:117], v[194:195], v[210:211]
	v_fma_f64 v[4:5], v[194:195], v[212:213], -v[4:5]
	v_fmac_f64_e32 v[116:117], v[196:197], v[212:213]
	v_add_f64 v[2:3], v[2:3], v[4:5]
	s_waitcnt vmcnt(2) lgkmcnt(1)
	v_mul_f64 v[4:5], v[200:201], v[222:223]
	v_add_f64 v[110:111], v[110:111], v[116:117]
	v_mul_f64 v[116:117], v[198:199], v[222:223]
	s_waitcnt vmcnt(0)
	v_fma_f64 v[4:5], v[198:199], v[224:225], -v[4:5]
	v_fmac_f64_e32 v[116:117], v[200:201], v[224:225]
	v_add_f64 v[2:3], v[2:3], v[4:5]
	s_waitcnt lgkmcnt(0)
	v_mul_f64 v[4:5], v[204:205], v[218:219]
	v_add_f64 v[110:111], v[110:111], v[116:117]
	v_mul_f64 v[116:117], v[202:203], v[218:219]
	v_fma_f64 v[4:5], v[202:203], v[220:221], -v[4:5]
	v_fmac_f64_e32 v[116:117], v[204:205], v[220:221]
	v_add_f64 v[2:3], v[2:3], v[4:5]
	v_add_f64 v[110:111], v[110:111], v[116:117]
	v_add_f64 v[2:3], v[46:47], -v[2:3]
	v_add_f64 v[4:5], v[44:45], -v[110:111]
	buffer_store_dword v3, off, s[0:3], 0 offset:388
	buffer_store_dword v2, off, s[0:3], 0 offset:384
	;; [unrolled: 1-line block ×4, first 2 shown]
	s_and_saveexec_b64 s[4:5], vcc
	s_cbranch_execz .LBB50_275
; %bb.274:
	v_accvgpr_read_b32 v0, a130
	buffer_load_dword v2, v0, s[0:3], 0 offen
	buffer_load_dword v3, v0, s[0:3], 0 offen offset:4
	buffer_load_dword v4, v0, s[0:3], 0 offen offset:8
	;; [unrolled: 1-line block ×3, first 2 shown]
	v_accvgpr_read_b32 v0, a153
	buffer_store_dword v1, off, s[0:3], 0 offset:368
	buffer_store_dword v1, off, s[0:3], 0 offset:372
	;; [unrolled: 1-line block ×4, first 2 shown]
	s_waitcnt vmcnt(4)
	ds_write_b128 v0, v[2:5]
.LBB50_275:
	s_or_b64 exec, exec, s[4:5]
	s_waitcnt lgkmcnt(0)
	; wave barrier
	s_waitcnt lgkmcnt(0)
	buffer_load_dword v34, off, s[0:3], 0 offset:384
	buffer_load_dword v35, off, s[0:3], 0 offset:388
	;; [unrolled: 1-line block ×32, first 2 shown]
	ds_read_b128 v[30:33], v1 offset:1184
	ds_read_b128 v[26:29], v1 offset:1200
	;; [unrolled: 1-line block ×8, first 2 shown]
	buffer_load_dword v67, off, s[0:3], 0 offset:524
	buffer_load_dword v66, off, s[0:3], 0 offset:520
	;; [unrolled: 1-line block ×24, first 2 shown]
	v_cmp_lt_u32_e32 vcc, 21, v254
	s_waitcnt vmcnt(52) lgkmcnt(7)
	v_mul_f64 v[90:91], v[30:31], v[38:39]
	v_fmac_f64_e32 v[90:91], v[32:33], v[34:35]
	v_add_f64 v[90:91], v[90:91], 0
	v_mul_f64 v[32:33], v[32:33], v[38:39]
	s_waitcnt vmcnt(48) lgkmcnt(6)
	v_mul_f64 v[92:93], v[26:27], v[40:41]
	v_fmac_f64_e32 v[92:93], v[28:29], v[36:37]
	s_waitcnt vmcnt(46) lgkmcnt(5)
	v_mul_f64 v[94:95], v[22:23], v[42:43]
	v_add_f64 v[90:91], v[90:91], v[92:93]
	s_waitcnt vmcnt(44) lgkmcnt(4)
	v_mul_f64 v[96:97], v[18:19], v[48:49]
	v_fma_f64 v[30:31], v[30:31], v[34:35], -v[32:33]
	s_waitcnt vmcnt(42) lgkmcnt(1)
	v_mul_f64 v[124:125], v[2:3], v[50:51]
	v_mul_f64 v[28:29], v[28:29], v[40:41]
	s_waitcnt vmcnt(18) lgkmcnt(0)
	v_mul_f64 v[138:139], v[14:15], v[70:71]
	v_mul_f64 v[100:101], v[6:7], v[54:55]
	s_waitcnt vmcnt(16)
	v_fmac_f64_e32 v[138:139], v[16:17], v[72:73]
	v_mul_f64 v[98:99], v[10:11], v[56:57]
	v_add_f64 v[30:31], v[30:31], 0
	v_fmac_f64_e32 v[98:99], v[12:13], v[58:59]
	v_fma_f64 v[26:27], v[26:27], v[36:37], -v[28:29]
	v_fmac_f64_e32 v[94:95], v[24:25], v[64:65]
	v_add_f64 v[90:91], v[90:91], v[94:95]
	v_fmac_f64_e32 v[96:97], v[20:21], v[62:63]
	v_add_f64 v[90:91], v[90:91], v[96:97]
	;; [unrolled: 2-line block ×3, first 2 shown]
	v_add_f64 v[126:127], v[90:91], v[100:101]
	buffer_load_dword v91, off, s[0:3], 0 offset:620
	buffer_load_dword v90, off, s[0:3], 0 offset:616
	;; [unrolled: 1-line block ×56, first 2 shown]
	v_fmac_f64_e32 v[124:125], v[4:5], v[52:53]
	v_add_f64 v[136:137], v[126:127], v[124:125]
	ds_read_b128 v[124:127], v1 offset:1312
	buffer_load_dword v227, off, s[0:3], 0 offset:828
	buffer_load_dword v226, off, s[0:3], 0 offset:824
	;; [unrolled: 1-line block ×4, first 2 shown]
	v_add_f64 v[140:141], v[136:137], v[138:139]
	ds_read_b128 v[136:139], v1 offset:1328
	v_mul_f64 v[24:25], v[24:25], v[42:43]
	s_waitcnt lgkmcnt(1)
	v_mul_f64 v[142:143], v[124:125], v[66:67]
	v_fmac_f64_e32 v[142:143], v[126:127], v[68:69]
	v_add_f64 v[144:145], v[140:141], v[142:143]
	ds_read_b128 v[140:143], v1 offset:1344
	s_waitcnt vmcnt(62) lgkmcnt(1)
	v_mul_f64 v[146:147], v[136:137], v[78:79]
	v_fmac_f64_e32 v[146:147], v[138:139], v[80:81]
	v_add_f64 v[148:149], v[144:145], v[146:147]
	ds_read_b128 v[144:147], v1 offset:1360
	s_waitcnt lgkmcnt(1)
	v_mul_f64 v[150:151], v[140:141], v[74:75]
	v_fmac_f64_e32 v[150:151], v[142:143], v[76:77]
	v_add_f64 v[152:153], v[148:149], v[150:151]
	ds_read_b128 v[148:151], v1 offset:1376
	s_waitcnt lgkmcnt(1)
	v_mul_f64 v[154:155], v[144:145], v[86:87]
	s_waitcnt vmcnt(60)
	v_fmac_f64_e32 v[154:155], v[146:147], v[88:89]
	v_add_f64 v[156:157], v[152:153], v[154:155]
	ds_read_b128 v[152:155], v1 offset:1392
	s_waitcnt lgkmcnt(1)
	v_mul_f64 v[158:159], v[148:149], v[82:83]
	v_fmac_f64_e32 v[158:159], v[150:151], v[84:85]
	v_add_f64 v[160:161], v[156:157], v[158:159]
	ds_read_b128 v[156:159], v1 offset:1408
	v_add_f64 v[26:27], v[30:31], v[26:27]
	v_fma_f64 v[22:23], v[22:23], v[64:65], -v[24:25]
	s_waitcnt vmcnt(54) lgkmcnt(1)
	v_mul_f64 v[162:163], v[152:153], v[94:95]
	v_mul_f64 v[20:21], v[20:21], v[48:49]
	s_waitcnt vmcnt(52)
	v_fmac_f64_e32 v[162:163], v[154:155], v[96:97]
	v_add_f64 v[164:165], v[160:161], v[162:163]
	ds_read_b128 v[160:163], v1 offset:1424
	s_waitcnt lgkmcnt(1)
	v_mul_f64 v[166:167], v[156:157], v[90:91]
	v_fmac_f64_e32 v[166:167], v[158:159], v[92:93]
	v_add_f64 v[22:23], v[26:27], v[22:23]
	v_fma_f64 v[18:19], v[18:19], v[62:63], -v[20:21]
	v_mul_f64 v[12:13], v[12:13], v[56:57]
	v_add_f64 v[168:169], v[164:165], v[166:167]
	ds_read_b128 v[164:167], v1 offset:1440
	v_add_f64 v[18:19], v[22:23], v[18:19]
	v_fma_f64 v[10:11], v[10:11], v[58:59], -v[12:13]
	v_mul_f64 v[8:9], v[8:9], v[54:55]
	v_add_f64 v[10:11], v[18:19], v[10:11]
	v_fma_f64 v[6:7], v[6:7], v[60:61], -v[8:9]
	v_mul_f64 v[4:5], v[4:5], v[50:51]
	;; [unrolled: 3-line block ×3, first 2 shown]
	s_waitcnt vmcnt(46) lgkmcnt(1)
	v_mul_f64 v[170:171], v[160:161], v[102:103]
	v_add_f64 v[2:3], v[6:7], v[2:3]
	v_fma_f64 v[4:5], v[14:15], v[72:73], -v[4:5]
	s_waitcnt vmcnt(44)
	v_fmac_f64_e32 v[170:171], v[162:163], v[104:105]
	v_add_f64 v[2:3], v[2:3], v[4:5]
	v_mul_f64 v[4:5], v[126:127], v[66:67]
	v_add_f64 v[172:173], v[168:169], v[170:171]
	ds_read_b128 v[168:171], v1 offset:1456
	s_waitcnt lgkmcnt(1)
	v_mul_f64 v[174:175], v[164:165], v[98:99]
	v_fma_f64 v[4:5], v[124:125], v[68:69], -v[4:5]
	v_fmac_f64_e32 v[174:175], v[166:167], v[100:101]
	v_add_f64 v[2:3], v[2:3], v[4:5]
	v_mul_f64 v[4:5], v[138:139], v[78:79]
	v_add_f64 v[176:177], v[172:173], v[174:175]
	ds_read_b128 v[172:175], v1 offset:1472
	v_fma_f64 v[4:5], v[136:137], v[80:81], -v[4:5]
	v_add_f64 v[2:3], v[2:3], v[4:5]
	v_mul_f64 v[4:5], v[142:143], v[74:75]
	v_fma_f64 v[4:5], v[140:141], v[76:77], -v[4:5]
	s_waitcnt vmcnt(38) lgkmcnt(1)
	v_mul_f64 v[178:179], v[168:169], v[110:111]
	v_add_f64 v[2:3], v[2:3], v[4:5]
	v_mul_f64 v[4:5], v[146:147], v[86:87]
	s_waitcnt vmcnt(36)
	v_fmac_f64_e32 v[178:179], v[170:171], v[112:113]
	v_fma_f64 v[4:5], v[144:145], v[88:89], -v[4:5]
	v_add_f64 v[180:181], v[176:177], v[178:179]
	ds_read_b128 v[176:179], v1 offset:1488
	s_waitcnt lgkmcnt(1)
	v_mul_f64 v[182:183], v[172:173], v[106:107]
	v_add_f64 v[2:3], v[2:3], v[4:5]
	v_mul_f64 v[4:5], v[150:151], v[82:83]
	v_fmac_f64_e32 v[182:183], v[174:175], v[108:109]
	v_fma_f64 v[4:5], v[148:149], v[84:85], -v[4:5]
	v_add_f64 v[184:185], v[180:181], v[182:183]
	ds_read_b128 v[180:183], v1 offset:1504
	v_add_f64 v[2:3], v[2:3], v[4:5]
	v_mul_f64 v[4:5], v[154:155], v[94:95]
	v_fma_f64 v[4:5], v[152:153], v[96:97], -v[4:5]
	v_add_f64 v[2:3], v[2:3], v[4:5]
	v_mul_f64 v[4:5], v[158:159], v[90:91]
	s_waitcnt vmcnt(30) lgkmcnt(1)
	v_mul_f64 v[186:187], v[176:177], v[120:121]
	v_fma_f64 v[4:5], v[156:157], v[92:93], -v[4:5]
	s_waitcnt vmcnt(28)
	v_fmac_f64_e32 v[186:187], v[178:179], v[122:123]
	v_add_f64 v[2:3], v[2:3], v[4:5]
	v_mul_f64 v[4:5], v[162:163], v[102:103]
	v_add_f64 v[188:189], v[184:185], v[186:187]
	ds_read_b128 v[184:187], v1 offset:1520
	s_waitcnt lgkmcnt(1)
	v_mul_f64 v[190:191], v[180:181], v[114:115]
	v_fma_f64 v[4:5], v[160:161], v[104:105], -v[4:5]
	v_fmac_f64_e32 v[190:191], v[182:183], v[116:117]
	v_add_f64 v[2:3], v[2:3], v[4:5]
	v_mul_f64 v[4:5], v[166:167], v[98:99]
	v_add_f64 v[192:193], v[188:189], v[190:191]
	ds_read_b128 v[188:191], v1 offset:1536
	v_fma_f64 v[4:5], v[164:165], v[100:101], -v[4:5]
	v_add_f64 v[2:3], v[2:3], v[4:5]
	v_mul_f64 v[4:5], v[170:171], v[110:111]
	v_fma_f64 v[4:5], v[168:169], v[112:113], -v[4:5]
	s_waitcnt vmcnt(22) lgkmcnt(1)
	v_mul_f64 v[194:195], v[184:185], v[132:133]
	v_add_f64 v[2:3], v[2:3], v[4:5]
	v_mul_f64 v[4:5], v[174:175], v[106:107]
	s_waitcnt vmcnt(20)
	v_fmac_f64_e32 v[194:195], v[186:187], v[134:135]
	v_fma_f64 v[4:5], v[172:173], v[108:109], -v[4:5]
	v_add_f64 v[196:197], v[192:193], v[194:195]
	ds_read_b128 v[192:195], v1 offset:1552
	s_waitcnt lgkmcnt(1)
	v_mul_f64 v[198:199], v[188:189], v[128:129]
	v_add_f64 v[2:3], v[2:3], v[4:5]
	v_mul_f64 v[4:5], v[178:179], v[120:121]
	v_fmac_f64_e32 v[198:199], v[190:191], v[130:131]
	v_fma_f64 v[4:5], v[176:177], v[122:123], -v[4:5]
	v_add_f64 v[200:201], v[196:197], v[198:199]
	ds_read_b128 v[196:199], v1 offset:1568
	v_add_f64 v[2:3], v[2:3], v[4:5]
	v_mul_f64 v[4:5], v[182:183], v[114:115]
	v_fma_f64 v[4:5], v[180:181], v[116:117], -v[4:5]
	v_add_f64 v[2:3], v[2:3], v[4:5]
	v_mul_f64 v[4:5], v[186:187], v[132:133]
	s_waitcnt vmcnt(14) lgkmcnt(1)
	v_mul_f64 v[202:203], v[192:193], v[214:215]
	v_fma_f64 v[4:5], v[184:185], v[134:135], -v[4:5]
	s_waitcnt vmcnt(12)
	v_fmac_f64_e32 v[202:203], v[194:195], v[216:217]
	v_add_f64 v[2:3], v[2:3], v[4:5]
	v_mul_f64 v[4:5], v[190:191], v[128:129]
	v_add_f64 v[204:205], v[200:201], v[202:203]
	ds_read_b128 v[200:203], v1 offset:1584
	s_waitcnt lgkmcnt(1)
	v_mul_f64 v[206:207], v[196:197], v[118:119]
	v_fma_f64 v[4:5], v[188:189], v[130:131], -v[4:5]
	v_fmac_f64_e32 v[206:207], v[198:199], v[212:213]
	v_add_f64 v[2:3], v[2:3], v[4:5]
	v_mul_f64 v[4:5], v[194:195], v[214:215]
	v_add_f64 v[230:231], v[204:205], v[206:207]
	ds_read_b128 v[204:207], v1 offset:1600
	v_fma_f64 v[4:5], v[192:193], v[216:217], -v[4:5]
	v_add_f64 v[2:3], v[2:3], v[4:5]
	v_mul_f64 v[4:5], v[198:199], v[118:119]
	ds_read_b128 v[208:211], v1 offset:1616
	v_fma_f64 v[4:5], v[196:197], v[212:213], -v[4:5]
	v_add_f64 v[2:3], v[2:3], v[4:5]
	s_waitcnt vmcnt(6) lgkmcnt(2)
	v_mul_f64 v[4:5], v[202:203], v[222:223]
	v_mul_f64 v[232:233], v[200:201], v[222:223]
	s_waitcnt vmcnt(4)
	v_fma_f64 v[4:5], v[200:201], v[224:225], -v[4:5]
	v_fmac_f64_e32 v[232:233], v[202:203], v[224:225]
	v_add_f64 v[2:3], v[2:3], v[4:5]
	s_waitcnt lgkmcnt(1)
	v_mul_f64 v[4:5], v[206:207], v[218:219]
	v_add_f64 v[230:231], v[230:231], v[232:233]
	v_mul_f64 v[232:233], v[204:205], v[218:219]
	v_fma_f64 v[4:5], v[204:205], v[220:221], -v[4:5]
	v_fmac_f64_e32 v[232:233], v[206:207], v[220:221]
	v_add_f64 v[2:3], v[2:3], v[4:5]
	s_waitcnt vmcnt(2) lgkmcnt(0)
	v_mul_f64 v[4:5], v[210:211], v[226:227]
	v_add_f64 v[230:231], v[230:231], v[232:233]
	v_mul_f64 v[232:233], v[208:209], v[226:227]
	s_waitcnt vmcnt(0)
	v_fma_f64 v[4:5], v[208:209], v[228:229], -v[4:5]
	v_fmac_f64_e32 v[232:233], v[210:211], v[228:229]
	v_add_f64 v[2:3], v[2:3], v[4:5]
	v_add_f64 v[230:231], v[230:231], v[232:233]
	v_add_f64 v[2:3], v[46:47], -v[2:3]
	v_add_f64 v[4:5], v[44:45], -v[230:231]
	buffer_store_dword v3, off, s[0:3], 0 offset:372
	buffer_store_dword v2, off, s[0:3], 0 offset:368
	buffer_store_dword v5, off, s[0:3], 0 offset:380
	buffer_store_dword v4, off, s[0:3], 0 offset:376
	s_and_saveexec_b64 s[4:5], vcc
	s_cbranch_execz .LBB50_277
; %bb.276:
	v_accvgpr_read_b32 v0, a131
	buffer_load_dword v2, v0, s[0:3], 0 offen
	buffer_load_dword v3, v0, s[0:3], 0 offen offset:4
	buffer_load_dword v4, v0, s[0:3], 0 offen offset:8
	;; [unrolled: 1-line block ×3, first 2 shown]
	v_mov_b32_e32 v0, 0
	v_accvgpr_read_b32 v1, a153
	buffer_store_dword v0, off, s[0:3], 0 offset:352
	buffer_store_dword v0, off, s[0:3], 0 offset:356
	;; [unrolled: 1-line block ×4, first 2 shown]
	s_waitcnt vmcnt(4)
	ds_write_b128 v1, v[2:5]
.LBB50_277:
	s_or_b64 exec, exec, s[4:5]
	s_waitcnt lgkmcnt(0)
	; wave barrier
	s_waitcnt lgkmcnt(0)
	buffer_load_dword v38, off, s[0:3], 0 offset:368
	buffer_load_dword v39, off, s[0:3], 0 offset:372
	;; [unrolled: 1-line block ×48, first 2 shown]
	v_mov_b32_e32 v1, 0
	ds_read_b128 v[34:37], v1 offset:1168
	ds_read_b128 v[30:33], v1 offset:1184
	;; [unrolled: 1-line block ×9, first 2 shown]
	v_cmp_lt_u32_e32 vcc, 20, v254
	s_waitcnt vmcnt(44) lgkmcnt(8)
	v_mul_f64 v[86:87], v[34:35], v[42:43]
	v_fmac_f64_e32 v[86:87], v[36:37], v[38:39]
	v_add_f64 v[86:87], v[86:87], 0
	v_mul_f64 v[36:37], v[36:37], v[42:43]
	s_waitcnt vmcnt(40) lgkmcnt(7)
	v_mul_f64 v[88:89], v[30:31], v[44:45]
	v_fmac_f64_e32 v[88:89], v[32:33], v[40:41]
	s_waitcnt vmcnt(38) lgkmcnt(6)
	v_mul_f64 v[90:91], v[26:27], v[46:47]
	v_add_f64 v[86:87], v[86:87], v[88:89]
	s_waitcnt vmcnt(36) lgkmcnt(4)
	v_mul_f64 v[94:95], v[18:19], v[48:49]
	v_fma_f64 v[34:35], v[34:35], v[38:39], -v[36:37]
	s_waitcnt vmcnt(34)
	v_fmac_f64_e32 v[94:95], v[20:21], v[50:51]
	v_mul_f64 v[32:33], v[32:33], v[44:45]
	s_waitcnt vmcnt(32)
	v_mul_f64 v[92:93], v[22:23], v[52:53]
	v_add_f64 v[34:35], v[34:35], 0
	s_waitcnt vmcnt(30) lgkmcnt(2)
	v_mul_f64 v[98:99], v[10:11], v[54:55]
	v_fma_f64 v[30:31], v[30:31], v[40:41], -v[32:33]
	s_waitcnt vmcnt(28)
	v_fmac_f64_e32 v[98:99], v[12:13], v[56:57]
	v_add_f64 v[30:31], v[34:35], v[30:31]
	s_waitcnt vmcnt(26)
	v_mul_f64 v[96:97], v[14:15], v[58:59]
	v_mul_f64 v[20:21], v[20:21], v[48:49]
	v_fma_f64 v[18:19], v[18:19], v[50:51], -v[20:21]
	v_mul_f64 v[12:13], v[12:13], v[54:55]
	s_waitcnt vmcnt(22) lgkmcnt(1)
	v_mul_f64 v[110:111], v[6:7], v[68:69]
	v_fma_f64 v[10:11], v[10:11], v[56:57], -v[12:13]
	s_waitcnt vmcnt(20)
	v_fmac_f64_e32 v[90:91], v[28:29], v[76:77]
	v_add_f64 v[86:87], v[86:87], v[90:91]
	s_waitcnt vmcnt(18)
	v_fmac_f64_e32 v[92:93], v[24:25], v[74:75]
	v_add_f64 v[86:87], v[86:87], v[92:93]
	;; [unrolled: 3-line block ×3, first 2 shown]
	v_add_f64 v[86:87], v[86:87], v[96:97]
	v_add_f64 v[112:113], v[86:87], v[98:99]
	buffer_load_dword v87, off, s[0:3], 0 offset:572
	buffer_load_dword v86, off, s[0:3], 0 offset:568
	;; [unrolled: 1-line block ×72, first 2 shown]
	s_waitcnt vmcnt(62)
	v_fmac_f64_e32 v[110:111], v[8:9], v[70:71]
	v_add_f64 v[144:145], v[112:113], v[110:111]
	ds_read_b128 v[110:113], v1 offset:1312
	s_waitcnt lgkmcnt(1)
	v_mul_f64 v[146:147], v[2:3], v[64:65]
	v_fmac_f64_e32 v[146:147], v[4:5], v[66:67]
	v_add_f64 v[148:149], v[144:145], v[146:147]
	ds_read_b128 v[144:147], v1 offset:1328
	s_waitcnt lgkmcnt(1)
	v_mul_f64 v[150:151], v[110:111], v[82:83]
	;; [unrolled: 5-line block ×5, first 2 shown]
	v_fmac_f64_e32 v[162:163], v[154:155], v[88:89]
	v_add_f64 v[164:165], v[160:161], v[162:163]
	ds_read_b128 v[160:163], v1 offset:1392
	s_waitcnt vmcnt(58) lgkmcnt(1)
	v_mul_f64 v[166:167], v[156:157], v[98:99]
	s_waitcnt vmcnt(56)
	v_fmac_f64_e32 v[166:167], v[158:159], v[100:101]
	v_add_f64 v[168:169], v[164:165], v[166:167]
	ds_read_b128 v[164:167], v1 offset:1408
	s_waitcnt lgkmcnt(1)
	v_mul_f64 v[170:171], v[160:161], v[94:95]
	v_fmac_f64_e32 v[170:171], v[162:163], v[96:97]
	v_mul_f64 v[28:29], v[28:29], v[46:47]
	v_add_f64 v[172:173], v[168:169], v[170:171]
	ds_read_b128 v[168:171], v1 offset:1424
	s_waitcnt vmcnt(50) lgkmcnt(1)
	v_mul_f64 v[174:175], v[164:165], v[106:107]
	v_fma_f64 v[26:27], v[26:27], v[76:77], -v[28:29]
	v_mul_f64 v[24:25], v[24:25], v[52:53]
	s_waitcnt vmcnt(48)
	v_fmac_f64_e32 v[174:175], v[166:167], v[108:109]
	v_add_f64 v[26:27], v[30:31], v[26:27]
	v_fma_f64 v[22:23], v[22:23], v[74:75], -v[24:25]
	v_add_f64 v[176:177], v[172:173], v[174:175]
	ds_read_b128 v[172:175], v1 offset:1440
	v_add_f64 v[22:23], v[26:27], v[22:23]
	v_mul_f64 v[16:17], v[16:17], v[58:59]
	v_add_f64 v[18:19], v[22:23], v[18:19]
	v_fma_f64 v[14:15], v[14:15], v[72:73], -v[16:17]
	v_add_f64 v[14:15], v[18:19], v[14:15]
	v_mul_f64 v[8:9], v[8:9], v[68:69]
	s_waitcnt lgkmcnt(1)
	v_mul_f64 v[178:179], v[168:169], v[102:103]
	v_add_f64 v[10:11], v[14:15], v[10:11]
	v_fma_f64 v[6:7], v[6:7], v[70:71], -v[8:9]
	v_mul_f64 v[4:5], v[4:5], v[64:65]
	v_fmac_f64_e32 v[178:179], v[170:171], v[104:105]
	v_add_f64 v[6:7], v[10:11], v[6:7]
	v_fma_f64 v[2:3], v[2:3], v[66:67], -v[4:5]
	v_mul_f64 v[4:5], v[112:113], v[82:83]
	v_add_f64 v[180:181], v[176:177], v[178:179]
	ds_read_b128 v[176:179], v1 offset:1456
	s_waitcnt vmcnt(42) lgkmcnt(1)
	v_mul_f64 v[182:183], v[172:173], v[120:121]
	v_add_f64 v[2:3], v[6:7], v[2:3]
	v_fma_f64 v[4:5], v[110:111], v[84:85], -v[4:5]
	s_waitcnt vmcnt(40)
	v_fmac_f64_e32 v[182:183], v[174:175], v[122:123]
	v_add_f64 v[2:3], v[2:3], v[4:5]
	v_mul_f64 v[4:5], v[146:147], v[78:79]
	v_add_f64 v[184:185], v[180:181], v[182:183]
	ds_read_b128 v[180:183], v1 offset:1472
	v_fma_f64 v[4:5], v[144:145], v[80:81], -v[4:5]
	v_add_f64 v[2:3], v[2:3], v[4:5]
	v_mul_f64 v[4:5], v[150:151], v[90:91]
	v_fma_f64 v[4:5], v[148:149], v[92:93], -v[4:5]
	s_waitcnt lgkmcnt(1)
	v_mul_f64 v[186:187], v[176:177], v[114:115]
	v_add_f64 v[2:3], v[2:3], v[4:5]
	v_mul_f64 v[4:5], v[154:155], v[86:87]
	v_fmac_f64_e32 v[186:187], v[178:179], v[116:117]
	v_fma_f64 v[4:5], v[152:153], v[88:89], -v[4:5]
	v_add_f64 v[188:189], v[184:185], v[186:187]
	ds_read_b128 v[184:187], v1 offset:1488
	s_waitcnt vmcnt(34) lgkmcnt(1)
	v_mul_f64 v[190:191], v[180:181], v[128:129]
	v_add_f64 v[2:3], v[2:3], v[4:5]
	v_mul_f64 v[4:5], v[158:159], v[98:99]
	s_waitcnt vmcnt(32)
	v_fmac_f64_e32 v[190:191], v[182:183], v[130:131]
	v_fma_f64 v[4:5], v[156:157], v[100:101], -v[4:5]
	v_add_f64 v[192:193], v[188:189], v[190:191]
	ds_read_b128 v[188:191], v1 offset:1504
	v_add_f64 v[2:3], v[2:3], v[4:5]
	v_mul_f64 v[4:5], v[162:163], v[94:95]
	v_fma_f64 v[4:5], v[160:161], v[96:97], -v[4:5]
	v_add_f64 v[2:3], v[2:3], v[4:5]
	v_mul_f64 v[4:5], v[166:167], v[106:107]
	s_waitcnt lgkmcnt(1)
	v_mul_f64 v[194:195], v[184:185], v[124:125]
	v_fma_f64 v[4:5], v[164:165], v[108:109], -v[4:5]
	v_fmac_f64_e32 v[194:195], v[186:187], v[126:127]
	v_add_f64 v[2:3], v[2:3], v[4:5]
	v_mul_f64 v[4:5], v[170:171], v[102:103]
	v_add_f64 v[196:197], v[192:193], v[194:195]
	ds_read_b128 v[192:195], v1 offset:1520
	s_waitcnt vmcnt(26) lgkmcnt(1)
	v_mul_f64 v[198:199], v[188:189], v[136:137]
	v_fma_f64 v[4:5], v[168:169], v[104:105], -v[4:5]
	s_waitcnt vmcnt(24)
	v_fmac_f64_e32 v[198:199], v[190:191], v[138:139]
	v_add_f64 v[2:3], v[2:3], v[4:5]
	v_mul_f64 v[4:5], v[174:175], v[120:121]
	v_add_f64 v[200:201], v[196:197], v[198:199]
	ds_read_b128 v[196:199], v1 offset:1536
	v_fma_f64 v[4:5], v[172:173], v[122:123], -v[4:5]
	v_add_f64 v[2:3], v[2:3], v[4:5]
	v_mul_f64 v[4:5], v[178:179], v[114:115]
	v_fma_f64 v[4:5], v[176:177], v[116:117], -v[4:5]
	s_waitcnt lgkmcnt(1)
	v_mul_f64 v[202:203], v[192:193], v[132:133]
	v_add_f64 v[2:3], v[2:3], v[4:5]
	v_mul_f64 v[4:5], v[182:183], v[128:129]
	v_fmac_f64_e32 v[202:203], v[194:195], v[134:135]
	v_fma_f64 v[4:5], v[180:181], v[130:131], -v[4:5]
	v_add_f64 v[204:205], v[200:201], v[202:203]
	ds_read_b128 v[200:203], v1 offset:1552
	s_waitcnt vmcnt(18) lgkmcnt(1)
	v_mul_f64 v[206:207], v[196:197], v[118:119]
	v_add_f64 v[2:3], v[2:3], v[4:5]
	v_mul_f64 v[4:5], v[186:187], v[124:125]
	s_waitcnt vmcnt(16)
	v_fmac_f64_e32 v[206:207], v[198:199], v[212:213]
	v_fma_f64 v[4:5], v[184:185], v[126:127], -v[4:5]
	v_add_f64 v[208:209], v[204:205], v[206:207]
	ds_read_b128 v[204:207], v1 offset:1568
	v_add_f64 v[2:3], v[2:3], v[4:5]
	v_mul_f64 v[4:5], v[190:191], v[136:137]
	v_fma_f64 v[4:5], v[188:189], v[138:139], -v[4:5]
	v_add_f64 v[2:3], v[2:3], v[4:5]
	v_mul_f64 v[4:5], v[194:195], v[132:133]
	s_waitcnt lgkmcnt(1)
	v_mul_f64 v[210:211], v[200:201], v[140:141]
	v_fma_f64 v[4:5], v[192:193], v[134:135], -v[4:5]
	v_fmac_f64_e32 v[210:211], v[202:203], v[142:143]
	v_add_f64 v[2:3], v[2:3], v[4:5]
	v_mul_f64 v[4:5], v[198:199], v[118:119]
	v_add_f64 v[220:221], v[208:209], v[210:211]
	ds_read_b128 v[208:211], v1 offset:1584
	s_waitcnt vmcnt(10) lgkmcnt(1)
	v_mul_f64 v[222:223], v[204:205], v[218:219]
	v_fma_f64 v[4:5], v[196:197], v[212:213], -v[4:5]
	s_waitcnt vmcnt(8)
	v_fmac_f64_e32 v[222:223], v[206:207], v[228:229]
	v_add_f64 v[2:3], v[2:3], v[4:5]
	v_mul_f64 v[4:5], v[202:203], v[140:141]
	v_add_f64 v[238:239], v[220:221], v[222:223]
	ds_read_b128 v[220:223], v1 offset:1600
	ds_read_b128 v[224:227], v1 offset:1616
	v_fma_f64 v[4:5], v[200:201], v[142:143], -v[4:5]
	v_add_f64 v[2:3], v[2:3], v[4:5]
	v_mul_f64 v[4:5], v[206:207], v[218:219]
	v_fma_f64 v[4:5], v[204:205], v[228:229], -v[4:5]
	v_add_f64 v[2:3], v[2:3], v[4:5]
	s_waitcnt lgkmcnt(2)
	v_mul_f64 v[4:5], v[210:211], v[214:215]
	v_mul_f64 v[240:241], v[208:209], v[214:215]
	v_fma_f64 v[4:5], v[208:209], v[216:217], -v[4:5]
	v_fmac_f64_e32 v[240:241], v[210:211], v[216:217]
	v_add_f64 v[2:3], v[2:3], v[4:5]
	s_waitcnt vmcnt(2) lgkmcnt(1)
	v_mul_f64 v[4:5], v[222:223], v[234:235]
	v_add_f64 v[238:239], v[238:239], v[240:241]
	v_mul_f64 v[240:241], v[220:221], v[234:235]
	s_waitcnt vmcnt(0)
	v_fma_f64 v[4:5], v[220:221], v[236:237], -v[4:5]
	v_fmac_f64_e32 v[240:241], v[222:223], v[236:237]
	v_add_f64 v[2:3], v[2:3], v[4:5]
	s_waitcnt lgkmcnt(0)
	v_mul_f64 v[4:5], v[226:227], v[230:231]
	v_add_f64 v[238:239], v[238:239], v[240:241]
	v_mul_f64 v[240:241], v[224:225], v[230:231]
	v_fma_f64 v[4:5], v[224:225], v[232:233], -v[4:5]
	v_fmac_f64_e32 v[240:241], v[226:227], v[232:233]
	v_add_f64 v[2:3], v[2:3], v[4:5]
	v_add_f64 v[238:239], v[238:239], v[240:241]
	v_add_f64 v[2:3], v[62:63], -v[2:3]
	v_add_f64 v[4:5], v[60:61], -v[238:239]
	buffer_store_dword v3, off, s[0:3], 0 offset:356
	buffer_store_dword v2, off, s[0:3], 0 offset:352
	;; [unrolled: 1-line block ×4, first 2 shown]
	s_and_saveexec_b64 s[4:5], vcc
	s_cbranch_execz .LBB50_279
; %bb.278:
	v_accvgpr_read_b32 v0, a132
	buffer_load_dword v2, v0, s[0:3], 0 offen
	buffer_load_dword v3, v0, s[0:3], 0 offen offset:4
	buffer_load_dword v4, v0, s[0:3], 0 offen offset:8
	;; [unrolled: 1-line block ×3, first 2 shown]
	v_accvgpr_read_b32 v0, a153
	buffer_store_dword v1, off, s[0:3], 0 offset:336
	buffer_store_dword v1, off, s[0:3], 0 offset:340
	buffer_store_dword v1, off, s[0:3], 0 offset:344
	buffer_store_dword v1, off, s[0:3], 0 offset:348
	s_waitcnt vmcnt(4)
	ds_write_b128 v0, v[2:5]
.LBB50_279:
	s_or_b64 exec, exec, s[4:5]
	s_waitcnt lgkmcnt(0)
	; wave barrier
	s_waitcnt lgkmcnt(0)
	buffer_load_dword v48, off, s[0:3], 0 offset:352
	buffer_load_dword v49, off, s[0:3], 0 offset:356
	buffer_load_dword v50, off, s[0:3], 0 offset:360
	buffer_load_dword v51, off, s[0:3], 0 offset:364
	buffer_load_dword v42, off, s[0:3], 0 offset:368
	buffer_load_dword v43, off, s[0:3], 0 offset:372
	buffer_load_dword v44, off, s[0:3], 0 offset:376
	buffer_load_dword v45, off, s[0:3], 0 offset:380
	buffer_load_dword v46, off, s[0:3], 0 offset:392
	buffer_load_dword v47, off, s[0:3], 0 offset:396
	buffer_load_dword v53, off, s[0:3], 0 offset:428
	buffer_load_dword v52, off, s[0:3], 0 offset:424
	buffer_load_dword v55, off, s[0:3], 0 offset:420
	buffer_load_dword v54, off, s[0:3], 0 offset:416
	buffer_load_dword v57, off, s[0:3], 0 offset:412
	buffer_load_dword v56, off, s[0:3], 0 offset:408
	buffer_load_dword v63, off, s[0:3], 0 offset:444
	buffer_load_dword v62, off, s[0:3], 0 offset:440
	buffer_load_dword v65, off, s[0:3], 0 offset:492
	buffer_load_dword v64, off, s[0:3], 0 offset:488
	buffer_load_dword v67, off, s[0:3], 0 offset:484
	buffer_load_dword v69, off, s[0:3], 0 offset:476
	buffer_load_dword v68, off, s[0:3], 0 offset:472
	buffer_load_dword v71, off, s[0:3], 0 offset:460
	buffer_load_dword v70, off, s[0:3], 0 offset:456
	buffer_load_dword v73, off, s[0:3], 0 offset:452
	buffer_load_dword v72, off, s[0:3], 0 offset:448
	buffer_load_dword v80, off, s[0:3], 0 offset:384
	buffer_load_dword v81, off, s[0:3], 0 offset:388
	buffer_load_dword v79, off, s[0:3], 0 offset:404
	buffer_load_dword v78, off, s[0:3], 0 offset:400
	buffer_load_dword v77, off, s[0:3], 0 offset:436
	buffer_load_dword v76, off, s[0:3], 0 offset:432
	buffer_load_dword v75, off, s[0:3], 0 offset:468
	buffer_load_dword v74, off, s[0:3], 0 offset:464
	buffer_load_dword v66, off, s[0:3], 0 offset:480
	buffer_load_dword v60, off, s[0:3], 0 offset:336
	buffer_load_dword v61, off, s[0:3], 0 offset:340
	buffer_load_dword v58, off, s[0:3], 0 offset:344
	buffer_load_dword v59, off, s[0:3], 0 offset:348
	ds_read_b128 v[38:41], v1 offset:1152
	ds_read_b128 v[34:37], v1 offset:1168
	;; [unrolled: 1-line block ×10, first 2 shown]
	buffer_load_dword v83, off, s[0:3], 0 offset:524
	buffer_load_dword v82, off, s[0:3], 0 offset:520
	;; [unrolled: 1-line block ×8, first 2 shown]
	v_cmp_lt_u32_e32 vcc, 19, v254
	s_waitcnt vmcnt(44) lgkmcnt(9)
	v_mul_f64 v[90:91], v[38:39], v[50:51]
	v_fmac_f64_e32 v[90:91], v[40:41], v[48:49]
	v_add_f64 v[90:91], v[90:91], 0
	v_mul_f64 v[40:41], v[40:41], v[50:51]
	s_waitcnt vmcnt(40) lgkmcnt(8)
	v_mul_f64 v[92:93], v[34:35], v[44:45]
	v_fmac_f64_e32 v[92:93], v[36:37], v[42:43]
	s_waitcnt vmcnt(38) lgkmcnt(7)
	v_mul_f64 v[94:95], v[30:31], v[46:47]
	v_add_f64 v[90:91], v[90:91], v[92:93]
	s_waitcnt vmcnt(36) lgkmcnt(5)
	v_mul_f64 v[98:99], v[22:23], v[52:53]
	v_mul_f64 v[36:37], v[36:37], v[44:45]
	s_waitcnt vmcnt(34)
	v_fmac_f64_e32 v[98:99], v[24:25], v[54:55]
	v_fma_f64 v[34:35], v[34:35], v[42:43], -v[36:37]
	s_waitcnt vmcnt(32)
	v_mul_f64 v[96:97], v[26:27], v[56:57]
	v_mul_f64 v[24:25], v[24:25], v[52:53]
	s_waitcnt vmcnt(30) lgkmcnt(4)
	v_mul_f64 v[100:101], v[18:19], v[62:63]
	v_fma_f64 v[22:23], v[22:23], v[54:55], -v[24:25]
	s_waitcnt vmcnt(28) lgkmcnt(1)
	v_mul_f64 v[124:125], v[2:3], v[64:65]
	s_waitcnt vmcnt(25)
	v_mul_f64 v[104:105], v[6:7], v[68:69]
	s_waitcnt vmcnt(23)
	;; [unrolled: 2-line block ×3, first 2 shown]
	v_fmac_f64_e32 v[102:103], v[12:13], v[72:73]
	v_mul_f64 v[12:13], v[12:13], v[70:71]
	s_waitcnt vmcnt(19)
	v_fmac_f64_e32 v[94:95], v[32:33], v[80:81]
	v_add_f64 v[90:91], v[90:91], v[94:95]
	s_waitcnt vmcnt(17)
	v_fmac_f64_e32 v[96:97], v[28:29], v[78:79]
	v_add_f64 v[90:91], v[90:91], v[96:97]
	;; [unrolled: 3-line block ×3, first 2 shown]
	v_add_f64 v[90:91], v[90:91], v[100:101]
	s_waitcnt vmcnt(13)
	v_fmac_f64_e32 v[104:105], v[8:9], v[74:75]
	v_add_f64 v[90:91], v[90:91], v[102:103]
	v_add_f64 v[126:127], v[90:91], v[104:105]
	buffer_load_dword v91, off, s[0:3], 0 offset:556
	buffer_load_dword v90, off, s[0:3], 0 offset:552
	buffer_load_dword v93, off, s[0:3], 0 offset:548
	buffer_load_dword v92, off, s[0:3], 0 offset:544
	buffer_load_dword v95, off, s[0:3], 0 offset:540
	buffer_load_dword v94, off, s[0:3], 0 offset:536
	buffer_load_dword v97, off, s[0:3], 0 offset:532
	buffer_load_dword v96, off, s[0:3], 0 offset:528
	buffer_load_dword v99, off, s[0:3], 0 offset:588
	buffer_load_dword v98, off, s[0:3], 0 offset:584
	buffer_load_dword v101, off, s[0:3], 0 offset:580
	buffer_load_dword v100, off, s[0:3], 0 offset:576
	buffer_load_dword v103, off, s[0:3], 0 offset:572
	buffer_load_dword v102, off, s[0:3], 0 offset:568
	buffer_load_dword v105, off, s[0:3], 0 offset:564
	buffer_load_dword v104, off, s[0:3], 0 offset:560
	buffer_load_dword v107, off, s[0:3], 0 offset:620
	buffer_load_dword v106, off, s[0:3], 0 offset:616
	buffer_load_dword v109, off, s[0:3], 0 offset:612
	buffer_load_dword v108, off, s[0:3], 0 offset:608
	buffer_load_dword v111, off, s[0:3], 0 offset:604
	buffer_load_dword v110, off, s[0:3], 0 offset:600
	buffer_load_dword v113, off, s[0:3], 0 offset:596
	buffer_load_dword v112, off, s[0:3], 0 offset:592
	buffer_load_dword v115, off, s[0:3], 0 offset:652
	buffer_load_dword v114, off, s[0:3], 0 offset:648
	buffer_load_dword v117, off, s[0:3], 0 offset:644
	buffer_load_dword v116, off, s[0:3], 0 offset:640
	buffer_load_dword v121, off, s[0:3], 0 offset:636
	buffer_load_dword v120, off, s[0:3], 0 offset:632
	buffer_load_dword v123, off, s[0:3], 0 offset:628
	buffer_load_dword v122, off, s[0:3], 0 offset:624
	buffer_load_dword v129, off, s[0:3], 0 offset:684
	buffer_load_dword v128, off, s[0:3], 0 offset:680
	buffer_load_dword v131, off, s[0:3], 0 offset:676
	buffer_load_dword v130, off, s[0:3], 0 offset:672
	buffer_load_dword v133, off, s[0:3], 0 offset:668
	buffer_load_dword v132, off, s[0:3], 0 offset:664
	buffer_load_dword v135, off, s[0:3], 0 offset:660
	buffer_load_dword v134, off, s[0:3], 0 offset:656
	buffer_load_dword v137, off, s[0:3], 0 offset:716
	buffer_load_dword v136, off, s[0:3], 0 offset:712
	buffer_load_dword v139, off, s[0:3], 0 offset:708
	buffer_load_dword v138, off, s[0:3], 0 offset:704
	buffer_load_dword v141, off, s[0:3], 0 offset:700
	buffer_load_dword v140, off, s[0:3], 0 offset:696
	buffer_load_dword v143, off, s[0:3], 0 offset:692
	buffer_load_dword v142, off, s[0:3], 0 offset:688
	buffer_load_dword v145, off, s[0:3], 0 offset:748
	buffer_load_dword v144, off, s[0:3], 0 offset:744
	buffer_load_dword v147, off, s[0:3], 0 offset:740
	buffer_load_dword v146, off, s[0:3], 0 offset:736
	buffer_load_dword v149, off, s[0:3], 0 offset:732
	buffer_load_dword v148, off, s[0:3], 0 offset:728
	buffer_load_dword v151, off, s[0:3], 0 offset:724
	buffer_load_dword v150, off, s[0:3], 0 offset:720
	buffer_load_dword v119, off, s[0:3], 0 offset:780
	buffer_load_dword v118, off, s[0:3], 0 offset:776
	buffer_load_dword v213, off, s[0:3], 0 offset:772
	buffer_load_dword v212, off, s[0:3], 0 offset:768
	buffer_load_dword v215, off, s[0:3], 0 offset:764
	buffer_load_dword v214, off, s[0:3], 0 offset:760
	buffer_load_dword v217, off, s[0:3], 0 offset:756
	buffer_load_dword v216, off, s[0:3], 0 offset:752
	buffer_load_dword v219, off, s[0:3], 0 offset:812
	buffer_load_dword v218, off, s[0:3], 0 offset:808
	buffer_load_dword v229, off, s[0:3], 0 offset:804
	buffer_load_dword v228, off, s[0:3], 0 offset:800
	buffer_load_dword v231, off, s[0:3], 0 offset:796
	buffer_load_dword v230, off, s[0:3], 0 offset:792
	buffer_load_dword v233, off, s[0:3], 0 offset:788
	buffer_load_dword v232, off, s[0:3], 0 offset:784
	s_waitcnt vmcnt(62)
	v_fmac_f64_e32 v[124:125], v[4:5], v[66:67]
	v_add_f64 v[152:153], v[126:127], v[124:125]
	ds_read_b128 v[124:127], v1 offset:1312
	s_waitcnt lgkmcnt(1)
	v_mul_f64 v[154:155], v[14:15], v[86:87]
	v_fmac_f64_e32 v[154:155], v[16:17], v[88:89]
	buffer_load_dword v235, off, s[0:3], 0 offset:828
	buffer_load_dword v234, off, s[0:3], 0 offset:824
	;; [unrolled: 1-line block ×4, first 2 shown]
	v_add_f64 v[156:157], v[152:153], v[154:155]
	s_waitcnt lgkmcnt(0)
	v_mul_f64 v[158:159], v[124:125], v[82:83]
	ds_read_b128 v[152:155], v1 offset:1328
	v_fmac_f64_e32 v[158:159], v[126:127], v[84:85]
	v_add_f64 v[160:161], v[156:157], v[158:159]
	ds_read_b128 v[156:159], v1 offset:1344
	v_mul_f64 v[32:33], v[32:33], v[46:47]
	s_waitcnt lgkmcnt(1)
	v_mul_f64 v[162:163], v[152:153], v[94:95]
	v_fma_f64 v[30:31], v[30:31], v[80:81], -v[32:33]
	v_fmac_f64_e32 v[162:163], v[154:155], v[96:97]
	s_waitcnt lgkmcnt(0)
	v_mul_f64 v[166:167], v[156:157], v[90:91]
	v_add_f64 v[164:165], v[160:161], v[162:163]
	ds_read_b128 v[160:163], v1 offset:1360
	v_fmac_f64_e32 v[166:167], v[158:159], v[92:93]
	v_add_f64 v[168:169], v[164:165], v[166:167]
	ds_read_b128 v[164:167], v1 offset:1376
	v_mul_f64 v[28:29], v[28:29], v[56:57]
	s_waitcnt vmcnt(62) lgkmcnt(1)
	v_mul_f64 v[170:171], v[160:161], v[102:103]
	s_waitcnt vmcnt(60)
	v_fmac_f64_e32 v[170:171], v[162:163], v[104:105]
	v_add_f64 v[172:173], v[168:169], v[170:171]
	s_waitcnt lgkmcnt(0)
	v_mul_f64 v[174:175], v[164:165], v[98:99]
	ds_read_b128 v[168:171], v1 offset:1392
	v_fmac_f64_e32 v[174:175], v[166:167], v[100:101]
	v_add_f64 v[176:177], v[172:173], v[174:175]
	ds_read_b128 v[172:175], v1 offset:1408
	v_fma_f64 v[26:27], v[26:27], v[78:79], -v[28:29]
	s_waitcnt vmcnt(54) lgkmcnt(1)
	v_mul_f64 v[178:179], v[168:169], v[110:111]
	s_waitcnt vmcnt(52)
	v_fmac_f64_e32 v[178:179], v[170:171], v[112:113]
	v_add_f64 v[180:181], v[176:177], v[178:179]
	s_waitcnt lgkmcnt(0)
	v_mul_f64 v[182:183], v[172:173], v[106:107]
	ds_read_b128 v[176:179], v1 offset:1424
	v_fmac_f64_e32 v[182:183], v[174:175], v[108:109]
	v_add_f64 v[184:185], v[180:181], v[182:183]
	ds_read_b128 v[180:183], v1 offset:1440
	v_mul_f64 v[20:21], v[20:21], v[62:63]
	s_waitcnt vmcnt(46) lgkmcnt(1)
	v_mul_f64 v[186:187], v[176:177], v[120:121]
	s_waitcnt vmcnt(44)
	v_fmac_f64_e32 v[186:187], v[178:179], v[122:123]
	v_add_f64 v[188:189], v[184:185], v[186:187]
	s_waitcnt lgkmcnt(0)
	v_mul_f64 v[190:191], v[180:181], v[114:115]
	ds_read_b128 v[184:187], v1 offset:1456
	v_fmac_f64_e32 v[190:191], v[182:183], v[116:117]
	v_add_f64 v[192:193], v[188:189], v[190:191]
	ds_read_b128 v[188:191], v1 offset:1472
	v_fma_f64 v[18:19], v[18:19], v[76:77], -v[20:21]
	s_waitcnt vmcnt(38) lgkmcnt(1)
	v_mul_f64 v[194:195], v[184:185], v[132:133]
	s_waitcnt vmcnt(36)
	v_fmac_f64_e32 v[194:195], v[186:187], v[134:135]
	v_add_f64 v[196:197], v[192:193], v[194:195]
	s_waitcnt lgkmcnt(0)
	v_mul_f64 v[198:199], v[188:189], v[128:129]
	ds_read_b128 v[192:195], v1 offset:1488
	v_fmac_f64_e32 v[198:199], v[190:191], v[130:131]
	v_add_f64 v[200:201], v[196:197], v[198:199]
	ds_read_b128 v[196:199], v1 offset:1504
	v_fma_f64 v[10:11], v[10:11], v[72:73], -v[12:13]
	s_waitcnt vmcnt(30) lgkmcnt(1)
	v_mul_f64 v[202:203], v[192:193], v[140:141]
	s_waitcnt vmcnt(28)
	v_fmac_f64_e32 v[202:203], v[194:195], v[142:143]
	v_add_f64 v[204:205], v[200:201], v[202:203]
	s_waitcnt lgkmcnt(0)
	v_mul_f64 v[206:207], v[196:197], v[136:137]
	ds_read_b128 v[200:203], v1 offset:1520
	v_fmac_f64_e32 v[206:207], v[198:199], v[138:139]
	v_add_f64 v[208:209], v[204:205], v[206:207]
	ds_read_b128 v[204:207], v1 offset:1536
	v_mul_f64 v[8:9], v[8:9], v[68:69]
	s_waitcnt vmcnt(22) lgkmcnt(1)
	v_mul_f64 v[210:211], v[200:201], v[148:149]
	s_waitcnt vmcnt(20)
	v_fmac_f64_e32 v[210:211], v[202:203], v[150:151]
	v_add_f64 v[220:221], v[208:209], v[210:211]
	s_waitcnt lgkmcnt(0)
	v_mul_f64 v[222:223], v[204:205], v[144:145]
	ds_read_b128 v[208:211], v1 offset:1552
	v_fmac_f64_e32 v[222:223], v[206:207], v[146:147]
	v_add_f64 v[224:225], v[220:221], v[222:223]
	ds_read_b128 v[220:223], v1 offset:1568
	v_fma_f64 v[6:7], v[6:7], v[74:75], -v[8:9]
	s_waitcnt vmcnt(14) lgkmcnt(1)
	v_mul_f64 v[226:227], v[208:209], v[214:215]
	s_waitcnt vmcnt(12)
	v_fmac_f64_e32 v[226:227], v[210:211], v[216:217]
	v_add_f64 v[238:239], v[224:225], v[226:227]
	s_waitcnt lgkmcnt(0)
	v_mul_f64 v[240:241], v[220:221], v[118:119]
	v_fmac_f64_e32 v[240:241], v[222:223], v[212:213]
	v_add_f64 v[238:239], v[238:239], v[240:241]
	v_fma_f64 v[240:241], v[38:39], v[48:49], -v[40:41]
	v_add_f64 v[240:241], v[240:241], 0
	v_add_f64 v[34:35], v[240:241], v[34:35]
	;; [unrolled: 1-line block ×7, first 2 shown]
	v_mul_f64 v[4:5], v[4:5], v[64:65]
	v_add_f64 v[6:7], v[10:11], v[6:7]
	v_fma_f64 v[2:3], v[2:3], v[66:67], -v[4:5]
	v_mul_f64 v[4:5], v[16:17], v[86:87]
	v_add_f64 v[2:3], v[6:7], v[2:3]
	v_fma_f64 v[4:5], v[14:15], v[88:89], -v[4:5]
	v_add_f64 v[2:3], v[2:3], v[4:5]
	v_mul_f64 v[4:5], v[126:127], v[82:83]
	v_fma_f64 v[4:5], v[124:125], v[84:85], -v[4:5]
	v_add_f64 v[2:3], v[2:3], v[4:5]
	v_mul_f64 v[4:5], v[154:155], v[94:95]
	;; [unrolled: 3-line block ×15, first 2 shown]
	ds_read_b128 v[224:227], v1 offset:1584
	ds_read_b128 v[38:41], v1 offset:1600
	v_fma_f64 v[4:5], v[204:205], v[146:147], -v[4:5]
	v_add_f64 v[2:3], v[2:3], v[4:5]
	v_mul_f64 v[4:5], v[210:211], v[214:215]
	v_fma_f64 v[4:5], v[208:209], v[216:217], -v[4:5]
	v_add_f64 v[2:3], v[2:3], v[4:5]
	v_mul_f64 v[4:5], v[222:223], v[118:119]
	ds_read_b128 v[48:51], v1 offset:1616
	v_fma_f64 v[4:5], v[220:221], v[212:213], -v[4:5]
	v_add_f64 v[2:3], v[2:3], v[4:5]
	s_waitcnt vmcnt(6) lgkmcnt(2)
	v_mul_f64 v[4:5], v[226:227], v[230:231]
	v_mul_f64 v[242:243], v[224:225], v[230:231]
	s_waitcnt vmcnt(4)
	v_fma_f64 v[4:5], v[224:225], v[232:233], -v[4:5]
	v_fmac_f64_e32 v[242:243], v[226:227], v[232:233]
	v_add_f64 v[2:3], v[2:3], v[4:5]
	s_waitcnt lgkmcnt(1)
	v_mul_f64 v[4:5], v[40:41], v[218:219]
	v_add_f64 v[238:239], v[238:239], v[242:243]
	v_mul_f64 v[242:243], v[38:39], v[218:219]
	v_fma_f64 v[4:5], v[38:39], v[228:229], -v[4:5]
	v_fmac_f64_e32 v[242:243], v[40:41], v[228:229]
	v_add_f64 v[2:3], v[2:3], v[4:5]
	s_waitcnt vmcnt(2) lgkmcnt(0)
	v_mul_f64 v[4:5], v[50:51], v[234:235]
	v_add_f64 v[238:239], v[238:239], v[242:243]
	v_mul_f64 v[242:243], v[48:49], v[234:235]
	s_waitcnt vmcnt(0)
	v_fma_f64 v[4:5], v[48:49], v[236:237], -v[4:5]
	v_fmac_f64_e32 v[242:243], v[50:51], v[236:237]
	v_add_f64 v[2:3], v[2:3], v[4:5]
	v_add_f64 v[238:239], v[238:239], v[242:243]
	v_add_f64 v[2:3], v[60:61], -v[2:3]
	v_add_f64 v[4:5], v[58:59], -v[238:239]
	buffer_store_dword v3, off, s[0:3], 0 offset:340
	buffer_store_dword v2, off, s[0:3], 0 offset:336
	;; [unrolled: 1-line block ×4, first 2 shown]
	s_and_saveexec_b64 s[4:5], vcc
	s_cbranch_execz .LBB50_281
; %bb.280:
	v_accvgpr_read_b32 v0, a133
	buffer_load_dword v2, v0, s[0:3], 0 offen
	buffer_load_dword v3, v0, s[0:3], 0 offen offset:4
	buffer_load_dword v4, v0, s[0:3], 0 offen offset:8
	;; [unrolled: 1-line block ×3, first 2 shown]
	v_mov_b32_e32 v0, 0
	v_accvgpr_read_b32 v1, a153
	buffer_store_dword v0, off, s[0:3], 0 offset:320
	buffer_store_dword v0, off, s[0:3], 0 offset:324
	;; [unrolled: 1-line block ×4, first 2 shown]
	s_waitcnt vmcnt(4)
	ds_write_b128 v1, v[2:5]
.LBB50_281:
	s_or_b64 exec, exec, s[4:5]
	s_waitcnt lgkmcnt(0)
	; wave barrier
	s_waitcnt lgkmcnt(0)
	buffer_load_dword v106, off, s[0:3], 0 offset:336
	buffer_load_dword v107, off, s[0:3], 0 offset:340
	;; [unrolled: 1-line block ×49, first 2 shown]
	v_mov_b32_e32 v1, 0
	ds_read_b128 v[110:113], v1 offset:1136
	ds_read_b128 v[250:253], v1 offset:1152
	;; [unrolled: 1-line block ×10, first 2 shown]
	buffer_load_dword v160, off, s[0:3], 0 offset:528
	buffer_load_dword v175, off, s[0:3], 0 offset:524
	;; [unrolled: 1-line block ×69, first 2 shown]
	v_accvgpr_write_b32 a152, v254
	v_cmp_lt_u32_e32 vcc, 18, v254
	s_waitcnt vmcnt(62) lgkmcnt(9)
	v_mul_f64 v[34:35], v[110:111], v[108:109]
	v_fmac_f64_e32 v[34:35], v[112:113], v[106:107]
	v_add_f64 v[34:35], v[34:35], 0
	v_mul_f64 v[108:109], v[112:113], v[108:109]
	s_waitcnt lgkmcnt(8)
	v_mul_f64 v[36:37], v[250:251], v[116:117]
	v_fmac_f64_e32 v[36:37], v[252:253], v[114:115]
	s_waitcnt lgkmcnt(7)
	v_mul_f64 v[38:39], v[30:31], v[120:121]
	v_add_f64 v[34:35], v[34:35], v[36:37]
	s_waitcnt lgkmcnt(5)
	v_mul_f64 v[42:43], v[22:23], v[122:123]
	v_mul_f64 v[116:117], v[252:253], v[116:117]
	v_fmac_f64_e32 v[42:43], v[24:25], v[124:125]
	v_fma_f64 v[248:249], v[110:111], v[106:107], -v[108:109]
	v_mul_f64 v[40:41], v[26:27], v[126:127]
	v_fma_f64 v[250:251], v[250:251], v[114:115], -v[116:117]
	s_waitcnt lgkmcnt(3)
	v_mul_f64 v[46:47], v[14:15], v[128:129]
	v_mul_f64 v[24:25], v[24:25], v[122:123]
	v_fmac_f64_e32 v[46:47], v[16:17], v[130:131]
	v_fma_f64 v[22:23], v[22:23], v[124:125], -v[24:25]
	v_mul_f64 v[44:45], v[18:19], v[132:133]
	v_mul_f64 v[16:17], v[16:17], v[128:129]
	s_waitcnt lgkmcnt(1)
	v_mul_f64 v[50:51], v[6:7], v[134:135]
	v_fma_f64 v[14:15], v[14:15], v[130:131], -v[16:17]
	v_fmac_f64_e32 v[50:51], v[8:9], v[136:137]
	v_mul_f64 v[8:9], v[8:9], v[134:135]
	v_mul_f64 v[48:49], v[10:11], v[142:143]
	v_fma_f64 v[6:7], v[6:7], v[136:137], -v[8:9]
	s_waitcnt lgkmcnt(0)
	v_mul_f64 v[52:53], v[2:3], v[138:139]
	v_fmac_f64_e32 v[38:39], v[32:33], v[154:155]
	v_add_f64 v[34:35], v[34:35], v[38:39]
	v_fmac_f64_e32 v[40:41], v[28:29], v[152:153]
	v_add_f64 v[34:35], v[34:35], v[40:41]
	v_fmac_f64_e32 v[44:45], v[20:21], v[150:151]
	v_add_f64 v[34:35], v[34:35], v[42:43]
	v_add_f64 v[34:35], v[34:35], v[44:45]
	v_fmac_f64_e32 v[48:49], v[12:13], v[148:149]
	v_add_f64 v[34:35], v[34:35], v[46:47]
	v_add_f64 v[34:35], v[34:35], v[48:49]
	v_fmac_f64_e32 v[52:53], v[4:5], v[146:147]
	v_add_f64 v[34:35], v[34:35], v[50:51]
	v_add_f64 v[42:43], v[34:35], v[52:53]
	ds_read_b128 v[38:41], v1 offset:1296
	ds_read_b128 v[34:37], v1 offset:1312
	buffer_load_dword v231, off, s[0:3], 0 offset:828
	buffer_load_dword v230, off, s[0:3], 0 offset:824
	;; [unrolled: 1-line block ×8, first 2 shown]
	ds_read_b128 v[110:113], v1 offset:1584
	ds_read_b128 v[106:109], v1 offset:1600
	s_waitcnt lgkmcnt(3)
	v_mul_f64 v[44:45], v[38:39], v[144:145]
	v_fmac_f64_e32 v[44:45], v[40:41], v[156:157]
	v_add_f64 v[46:47], v[42:43], v[44:45]
	ds_read_b128 v[42:45], v1 offset:1328
	s_waitcnt lgkmcnt(3)
	v_mul_f64 v[48:49], v[34:35], v[174:175]
	v_fmac_f64_e32 v[48:49], v[36:37], v[178:179]
	v_add_f64 v[50:51], v[46:47], v[48:49]
	ds_read_b128 v[46:49], v1 offset:1344
	s_waitcnt lgkmcnt(1)
	v_mul_f64 v[52:53], v[42:43], v[158:159]
	v_fmac_f64_e32 v[52:53], v[44:45], v[160:161]
	v_add_f64 v[54:55], v[50:51], v[52:53]
	ds_read_b128 v[50:53], v1 offset:1360
	s_waitcnt vmcnt(62) lgkmcnt(1)
	v_mul_f64 v[56:57], v[46:47], v[182:183]
	v_fmac_f64_e32 v[56:57], v[48:49], v[186:187]
	v_add_f64 v[58:59], v[54:55], v[56:57]
	ds_read_b128 v[54:57], v1 offset:1376
	s_waitcnt lgkmcnt(1)
	v_mul_f64 v[60:61], v[50:51], v[162:163]
	v_fmac_f64_e32 v[60:61], v[52:53], v[164:165]
	v_add_f64 v[62:63], v[58:59], v[60:61]
	ds_read_b128 v[58:61], v1 offset:1392
	s_waitcnt vmcnt(58) lgkmcnt(1)
	v_mul_f64 v[64:65], v[54:55], v[190:191]
	s_waitcnt vmcnt(56)
	v_fmac_f64_e32 v[64:65], v[56:57], v[194:195]
	v_add_f64 v[66:67], v[62:63], v[64:65]
	ds_read_b128 v[62:65], v1 offset:1408
	s_waitcnt lgkmcnt(1)
	v_mul_f64 v[68:69], v[58:59], v[166:167]
	v_fmac_f64_e32 v[68:69], v[60:61], v[168:169]
	v_add_f64 v[70:71], v[66:67], v[68:69]
	ds_read_b128 v[66:69], v1 offset:1424
	s_waitcnt vmcnt(50) lgkmcnt(1)
	v_mul_f64 v[72:73], v[62:63], v[198:199]
	s_waitcnt vmcnt(48)
	;; [unrolled: 11-line block ×5, first 2 shown]
	v_fmac_f64_e32 v[96:97], v[88:89], v[228:229]
	v_add_f64 v[98:99], v[94:95], v[96:97]
	ds_read_b128 v[94:97], v1 offset:1536
	s_waitcnt lgkmcnt(1)
	v_mul_f64 v[100:101], v[90:91], v[192:193]
	v_fmac_f64_e32 v[100:101], v[92:93], v[196:197]
	v_add_f64 v[118:119], v[98:99], v[100:101]
	ds_read_b128 v[98:101], v1 offset:1552
	ds_read_b128 v[102:105], v1 offset:1568
	;; [unrolled: 1-line block ×3, first 2 shown]
	buffer_load_dword v252, off, s[0:3], 0 offset:328
	buffer_load_dword v253, off, s[0:3], 0 offset:332
	s_waitcnt vmcnt(20) lgkmcnt(3)
	v_mul_f64 v[212:213], v[94:95], v[232:233]
	s_waitcnt vmcnt(18)
	v_fmac_f64_e32 v[212:213], v[96:97], v[236:237]
	v_add_f64 v[118:119], v[118:119], v[212:213]
	s_waitcnt lgkmcnt(2)
	v_mul_f64 v[212:213], v[98:99], v[200:201]
	v_fmac_f64_e32 v[212:213], v[100:101], v[204:205]
	v_add_f64 v[118:119], v[118:119], v[212:213]
	s_waitcnt vmcnt(12) lgkmcnt(1)
	v_mul_f64 v[212:213], v[102:103], v[238:239]
	s_waitcnt vmcnt(10)
	v_fmac_f64_e32 v[212:213], v[104:105], v[240:241]
	v_add_f64 v[118:119], v[118:119], v[212:213]
	v_mul_f64 v[212:213], v[110:111], v[208:209]
	v_fmac_f64_e32 v[212:213], v[112:113], v[220:221]
	v_add_f64 v[118:119], v[118:119], v[212:213]
	s_waitcnt vmcnt(4)
	v_mul_f64 v[212:213], v[106:107], v[242:243]
	v_mul_f64 v[32:33], v[32:33], v[120:121]
	s_waitcnt vmcnt(2)
	v_fmac_f64_e32 v[212:213], v[108:109], v[244:245]
	v_add_f64 v[118:119], v[118:119], v[212:213]
	s_waitcnt lgkmcnt(0)
	v_mul_f64 v[212:213], v[114:115], v[230:231]
	v_fmac_f64_e32 v[212:213], v[116:117], v[234:235]
	v_add_f64 v[246:247], v[118:119], v[212:213]
	v_add_f64 v[118:119], v[248:249], 0
	;; [unrolled: 1-line block ×3, first 2 shown]
	v_fma_f64 v[30:31], v[30:31], v[154:155], -v[32:33]
	v_mul_f64 v[28:29], v[28:29], v[126:127]
	v_add_f64 v[30:31], v[118:119], v[30:31]
	v_fma_f64 v[26:27], v[26:27], v[152:153], -v[28:29]
	v_add_f64 v[26:27], v[30:31], v[26:27]
	v_mul_f64 v[20:21], v[20:21], v[132:133]
	v_add_f64 v[22:23], v[26:27], v[22:23]
	v_fma_f64 v[18:19], v[18:19], v[150:151], -v[20:21]
	v_add_f64 v[18:19], v[22:23], v[18:19]
	;; [unrolled: 4-line block ×3, first 2 shown]
	v_mul_f64 v[4:5], v[4:5], v[138:139]
	v_add_f64 v[6:7], v[10:11], v[6:7]
	v_fma_f64 v[2:3], v[2:3], v[146:147], -v[4:5]
	v_mul_f64 v[4:5], v[40:41], v[144:145]
	v_add_f64 v[2:3], v[6:7], v[2:3]
	v_fma_f64 v[4:5], v[38:39], v[156:157], -v[4:5]
	v_add_f64 v[2:3], v[2:3], v[4:5]
	v_mul_f64 v[4:5], v[36:37], v[174:175]
	v_fma_f64 v[4:5], v[34:35], v[178:179], -v[4:5]
	v_add_f64 v[2:3], v[2:3], v[4:5]
	v_mul_f64 v[4:5], v[44:45], v[158:159]
	;; [unrolled: 3-line block ×20, first 2 shown]
	v_fma_f64 v[4:5], v[114:115], v[234:235], -v[4:5]
	v_add_f64 v[2:3], v[2:3], v[4:5]
	v_add_f64 v[2:3], v[140:141], -v[2:3]
	s_waitcnt vmcnt(0)
	v_add_f64 v[4:5], v[252:253], -v[246:247]
	buffer_store_dword v3, off, s[0:3], 0 offset:324
	buffer_store_dword v2, off, s[0:3], 0 offset:320
	;; [unrolled: 1-line block ×4, first 2 shown]
	s_and_saveexec_b64 s[4:5], vcc
	s_cbranch_execz .LBB50_283
; %bb.282:
	v_accvgpr_read_b32 v0, a134
	buffer_load_dword v2, v0, s[0:3], 0 offen
	buffer_load_dword v3, v0, s[0:3], 0 offen offset:4
	buffer_load_dword v4, v0, s[0:3], 0 offen offset:8
	;; [unrolled: 1-line block ×3, first 2 shown]
	v_accvgpr_read_b32 v0, a153
	buffer_store_dword v1, off, s[0:3], 0 offset:304
	buffer_store_dword v1, off, s[0:3], 0 offset:308
	;; [unrolled: 1-line block ×4, first 2 shown]
	s_waitcnt vmcnt(4)
	ds_write_b128 v0, v[2:5]
.LBB50_283:
	s_or_b64 exec, exec, s[4:5]
	s_waitcnt lgkmcnt(0)
	; wave barrier
	s_waitcnt lgkmcnt(0)
	buffer_load_dword v112, off, s[0:3], 0 offset:320
	buffer_load_dword v113, off, s[0:3], 0 offset:324
	;; [unrolled: 1-line block ×36, first 2 shown]
	ds_read_b128 v[102:105], v1 offset:1120
	ds_read_b128 v[106:109], v1 offset:1136
	;; [unrolled: 1-line block ×9, first 2 shown]
	buffer_load_dword v145, off, s[0:3], 0 offset:492
	buffer_load_dword v144, off, s[0:3], 0 offset:488
	;; [unrolled: 1-line block ×78, first 2 shown]
	v_accvgpr_read_b32 v218, a152
	v_cmp_lt_u32_e32 vcc, 17, v218
	s_waitcnt vmcnt(62) lgkmcnt(8)
	v_mul_f64 v[26:27], v[102:103], v[246:247]
	v_fmac_f64_e32 v[26:27], v[104:105], v[112:113]
	v_add_f64 v[26:27], v[26:27], 0
	v_mul_f64 v[104:105], v[104:105], v[246:247]
	s_waitcnt lgkmcnt(7)
	v_mul_f64 v[28:29], v[106:107], v[248:249]
	v_fmac_f64_e32 v[28:29], v[108:109], v[110:111]
	s_waitcnt lgkmcnt(6)
	v_mul_f64 v[30:31], v[114:115], v[244:245]
	v_add_f64 v[26:27], v[26:27], v[28:29]
	s_waitcnt lgkmcnt(4)
	v_mul_f64 v[34:35], v[18:19], v[120:121]
	v_fma_f64 v[246:247], v[102:103], v[112:113], -v[104:105]
	v_fmac_f64_e32 v[34:35], v[20:21], v[122:123]
	v_mul_f64 v[108:109], v[108:109], v[248:249]
	v_mul_f64 v[32:33], v[22:23], v[124:125]
	v_fma_f64 v[248:249], v[106:107], v[110:111], -v[108:109]
	s_waitcnt lgkmcnt(2)
	v_mul_f64 v[38:39], v[10:11], v[126:127]
	v_mul_f64 v[20:21], v[20:21], v[120:121]
	v_fmac_f64_e32 v[38:39], v[12:13], v[128:129]
	v_fma_f64 v[18:19], v[18:19], v[122:123], -v[20:21]
	v_mul_f64 v[36:37], v[14:15], v[132:133]
	v_mul_f64 v[12:13], v[12:13], v[126:127]
	s_waitcnt lgkmcnt(1)
	v_mul_f64 v[40:41], v[6:7], v[130:131]
	v_fma_f64 v[10:11], v[10:11], v[128:129], -v[12:13]
	v_fmac_f64_e32 v[30:31], v[116:117], v[250:251]
	v_add_f64 v[26:27], v[26:27], v[30:31]
	v_fmac_f64_e32 v[32:33], v[24:25], v[140:141]
	v_add_f64 v[26:27], v[26:27], v[32:33]
	;; [unrolled: 2-line block ×3, first 2 shown]
	v_add_f64 v[26:27], v[26:27], v[36:37]
	v_fmac_f64_e32 v[40:41], v[8:9], v[136:137]
	v_add_f64 v[30:31], v[26:27], v[38:39]
	v_add_f64 v[30:31], v[30:31], v[40:41]
	s_waitcnt lgkmcnt(0)
	v_mul_f64 v[32:33], v[2:3], v[134:135]
	v_fmac_f64_e32 v[32:33], v[4:5], v[142:143]
	ds_read_b128 v[26:29], v1 offset:1264
	v_add_f64 v[34:35], v[30:31], v[32:33]
	ds_read_b128 v[30:33], v1 offset:1280
	buffer_load_dword v231, off, s[0:3], 0 offset:756
	buffer_load_dword v230, off, s[0:3], 0 offset:752
	v_mul_f64 v[116:117], v[116:117], v[244:245]
	s_waitcnt lgkmcnt(1)
	v_mul_f64 v[36:37], v[26:27], v[148:149]
	v_fmac_f64_e32 v[36:37], v[28:29], v[150:151]
	v_add_f64 v[38:39], v[34:35], v[36:37]
	ds_read_b128 v[34:37], v1 offset:1296
	s_waitcnt lgkmcnt(1)
	v_mul_f64 v[40:41], v[30:31], v[144:145]
	v_fmac_f64_e32 v[40:41], v[32:33], v[146:147]
	v_add_f64 v[42:43], v[38:39], v[40:41]
	ds_read_b128 v[38:41], v1 offset:1312
	;; [unrolled: 5-line block ×4, first 2 shown]
	buffer_load_dword v233, off, s[0:3], 0 offset:812
	buffer_load_dword v235, off, s[0:3], 0 offset:796
	buffer_load_dword v234, off, s[0:3], 0 offset:792
	buffer_load_dword v241, off, s[0:3], 0 offset:788
	buffer_load_dword v240, off, s[0:3], 0 offset:784
	buffer_load_dword v232, off, s[0:3], 0 offset:808
	buffer_load_dword v239, off, s[0:3], 0 offset:804
	buffer_load_dword v238, off, s[0:3], 0 offset:800
	buffer_load_dword v237, off, s[0:3], 0 offset:828
	buffer_load_dword v236, off, s[0:3], 0 offset:824
	buffer_load_dword v243, off, s[0:3], 0 offset:820
	buffer_load_dword v242, off, s[0:3], 0 offset:816
	s_waitcnt vmcnt(62) lgkmcnt(1)
	v_mul_f64 v[52:53], v[42:43], v[176:177]
	v_fmac_f64_e32 v[52:53], v[44:45], v[180:181]
	v_add_f64 v[54:55], v[50:51], v[52:53]
	ds_read_b128 v[50:53], v1 offset:1360
	s_waitcnt lgkmcnt(1)
	v_mul_f64 v[56:57], v[46:47], v[156:157]
	v_fmac_f64_e32 v[56:57], v[48:49], v[158:159]
	v_add_f64 v[58:59], v[54:55], v[56:57]
	ds_read_b128 v[54:57], v1 offset:1376
	s_waitcnt lgkmcnt(1)
	v_mul_f64 v[60:61], v[50:51], v[184:185]
	s_waitcnt vmcnt(60)
	v_fmac_f64_e32 v[60:61], v[52:53], v[188:189]
	v_add_f64 v[62:63], v[58:59], v[60:61]
	ds_read_b128 v[58:61], v1 offset:1392
	s_waitcnt lgkmcnt(1)
	v_mul_f64 v[64:65], v[54:55], v[164:165]
	v_fmac_f64_e32 v[64:65], v[56:57], v[166:167]
	v_add_f64 v[66:67], v[62:63], v[64:65]
	ds_read_b128 v[62:65], v1 offset:1408
	s_waitcnt vmcnt(54) lgkmcnt(1)
	v_mul_f64 v[68:69], v[58:59], v[192:193]
	s_waitcnt vmcnt(52)
	v_fmac_f64_e32 v[68:69], v[60:61], v[196:197]
	v_add_f64 v[70:71], v[66:67], v[68:69]
	ds_read_b128 v[66:69], v1 offset:1424
	s_waitcnt lgkmcnt(1)
	v_mul_f64 v[72:73], v[62:63], v[168:169]
	v_fmac_f64_e32 v[72:73], v[64:65], v[170:171]
	v_add_f64 v[74:75], v[70:71], v[72:73]
	ds_read_b128 v[70:73], v1 offset:1440
	s_waitcnt vmcnt(46) lgkmcnt(1)
	;; [unrolled: 11-line block ×4, first 2 shown]
	v_mul_f64 v[92:93], v[82:83], v[220:221]
	s_waitcnt vmcnt(28)
	v_fmac_f64_e32 v[92:93], v[84:85], v[222:223]
	v_add_f64 v[98:99], v[90:91], v[92:93]
	ds_read_b128 v[90:93], v1 offset:1520
	ds_read_b128 v[94:97], v1 offset:1536
	s_waitcnt lgkmcnt(2)
	v_mul_f64 v[100:101], v[86:87], v[186:187]
	v_fmac_f64_e32 v[100:101], v[88:89], v[190:191]
	v_add_f64 v[98:99], v[98:99], v[100:101]
	s_waitcnt vmcnt(22) lgkmcnt(1)
	v_mul_f64 v[100:101], v[90:91], v[224:225]
	s_waitcnt vmcnt(20)
	v_fmac_f64_e32 v[100:101], v[92:93], v[226:227]
	v_add_f64 v[98:99], v[98:99], v[100:101]
	s_waitcnt lgkmcnt(0)
	v_mul_f64 v[100:101], v[94:95], v[194:195]
	v_fmac_f64_e32 v[100:101], v[96:97], v[198:199]
	v_add_f64 v[118:119], v[98:99], v[100:101]
	ds_read_b128 v[98:101], v1 offset:1552
	ds_read_b128 v[102:105], v1 offset:1568
	;; [unrolled: 1-line block ×3, first 2 shown]
	v_fma_f64 v[250:251], v[114:115], v[250:251], -v[116:117]
	ds_read_b128 v[114:117], v1 offset:1616
	s_waitcnt vmcnt(14) lgkmcnt(3)
	v_mul_f64 v[112:113], v[98:99], v[228:229]
	s_waitcnt lgkmcnt(2)
	v_mul_f64 v[110:111], v[102:103], v[202:203]
	s_waitcnt vmcnt(12)
	v_fmac_f64_e32 v[112:113], v[100:101], v[230:231]
	v_add_f64 v[112:113], v[118:119], v[112:113]
	v_fmac_f64_e32 v[110:111], v[104:105], v[206:207]
	v_add_f64 v[118:119], v[112:113], v[110:111]
	ds_read_b128 v[110:113], v1 offset:1600
	buffer_load_dword v254, off, s[0:3], 0 offset:304
	buffer_load_dword v255, off, s[0:3], 0 offset:308
	;; [unrolled: 1-line block ×4, first 2 shown]
	v_mul_f64 v[24:25], v[24:25], v[124:125]
	v_fma_f64 v[22:23], v[22:23], v[140:141], -v[24:25]
	v_mul_f64 v[16:17], v[16:17], v[132:133]
	s_waitcnt vmcnt(13) lgkmcnt(2)
	v_mul_f64 v[212:213], v[106:107], v[234:235]
	v_fma_f64 v[14:15], v[14:15], v[138:139], -v[16:17]
	s_waitcnt vmcnt(11)
	v_fmac_f64_e32 v[212:213], v[108:109], v[240:241]
	v_add_f64 v[118:119], v[118:119], v[212:213]
	s_waitcnt vmcnt(10) lgkmcnt(0)
	v_mul_f64 v[212:213], v[110:111], v[232:233]
	s_waitcnt vmcnt(8)
	v_fmac_f64_e32 v[212:213], v[112:113], v[238:239]
	v_add_f64 v[118:119], v[118:119], v[212:213]
	s_waitcnt vmcnt(6)
	v_mul_f64 v[212:213], v[114:115], v[236:237]
	v_mul_f64 v[8:9], v[8:9], v[130:131]
	s_waitcnt vmcnt(4)
	v_fmac_f64_e32 v[212:213], v[116:117], v[242:243]
	v_add_f64 v[244:245], v[118:119], v[212:213]
	v_add_f64 v[118:119], v[246:247], 0
	;; [unrolled: 1-line block ×8, first 2 shown]
	v_fma_f64 v[6:7], v[6:7], v[136:137], -v[8:9]
	v_mul_f64 v[4:5], v[4:5], v[134:135]
	v_add_f64 v[6:7], v[10:11], v[6:7]
	v_fma_f64 v[2:3], v[2:3], v[142:143], -v[4:5]
	v_mul_f64 v[4:5], v[28:29], v[148:149]
	v_add_f64 v[2:3], v[6:7], v[2:3]
	v_fma_f64 v[4:5], v[26:27], v[150:151], -v[4:5]
	v_add_f64 v[2:3], v[2:3], v[4:5]
	v_mul_f64 v[4:5], v[32:33], v[144:145]
	v_fma_f64 v[4:5], v[30:31], v[146:147], -v[4:5]
	v_add_f64 v[2:3], v[2:3], v[4:5]
	v_mul_f64 v[4:5], v[36:37], v[160:161]
	v_fma_f64 v[4:5], v[34:35], v[162:163], -v[4:5]
	v_add_f64 v[2:3], v[2:3], v[4:5]
	v_mul_f64 v[4:5], v[40:41], v[152:153]
	v_fma_f64 v[4:5], v[38:39], v[154:155], -v[4:5]
	v_add_f64 v[2:3], v[2:3], v[4:5]
	v_mul_f64 v[4:5], v[44:45], v[176:177]
	v_fma_f64 v[4:5], v[42:43], v[180:181], -v[4:5]
	v_add_f64 v[2:3], v[2:3], v[4:5]
	v_mul_f64 v[4:5], v[48:49], v[156:157]
	v_fma_f64 v[4:5], v[46:47], v[158:159], -v[4:5]
	v_add_f64 v[2:3], v[2:3], v[4:5]
	v_mul_f64 v[4:5], v[52:53], v[184:185]
	v_fma_f64 v[4:5], v[50:51], v[188:189], -v[4:5]
	v_add_f64 v[2:3], v[2:3], v[4:5]
	v_mul_f64 v[4:5], v[56:57], v[164:165]
	v_fma_f64 v[4:5], v[54:55], v[166:167], -v[4:5]
	v_add_f64 v[2:3], v[2:3], v[4:5]
	v_mul_f64 v[4:5], v[60:61], v[192:193]
	v_fma_f64 v[4:5], v[58:59], v[196:197], -v[4:5]
	v_add_f64 v[2:3], v[2:3], v[4:5]
	v_mul_f64 v[4:5], v[64:65], v[168:169]
	v_fma_f64 v[4:5], v[62:63], v[170:171], -v[4:5]
	v_add_f64 v[2:3], v[2:3], v[4:5]
	v_mul_f64 v[4:5], v[68:69], v[200:201]
	v_fma_f64 v[4:5], v[66:67], v[204:205], -v[4:5]
	v_add_f64 v[2:3], v[2:3], v[4:5]
	v_mul_f64 v[4:5], v[72:73], v[172:173]
	v_fma_f64 v[4:5], v[70:71], v[174:175], -v[4:5]
	v_add_f64 v[2:3], v[2:3], v[4:5]
	v_mul_f64 v[4:5], v[76:77], v[208:209]
	v_fma_f64 v[4:5], v[74:75], v[210:211], -v[4:5]
	v_add_f64 v[2:3], v[2:3], v[4:5]
	v_mul_f64 v[4:5], v[80:81], v[178:179]
	v_fma_f64 v[4:5], v[78:79], v[182:183], -v[4:5]
	v_add_f64 v[2:3], v[2:3], v[4:5]
	v_mul_f64 v[4:5], v[84:85], v[220:221]
	v_fma_f64 v[4:5], v[82:83], v[222:223], -v[4:5]
	v_add_f64 v[2:3], v[2:3], v[4:5]
	v_mul_f64 v[4:5], v[88:89], v[186:187]
	v_fma_f64 v[4:5], v[86:87], v[190:191], -v[4:5]
	v_add_f64 v[2:3], v[2:3], v[4:5]
	v_mul_f64 v[4:5], v[92:93], v[224:225]
	v_fma_f64 v[4:5], v[90:91], v[226:227], -v[4:5]
	v_add_f64 v[2:3], v[2:3], v[4:5]
	v_mul_f64 v[4:5], v[96:97], v[194:195]
	v_fma_f64 v[4:5], v[94:95], v[198:199], -v[4:5]
	v_add_f64 v[2:3], v[2:3], v[4:5]
	v_mul_f64 v[4:5], v[100:101], v[228:229]
	v_fma_f64 v[4:5], v[98:99], v[230:231], -v[4:5]
	v_add_f64 v[2:3], v[2:3], v[4:5]
	v_mul_f64 v[4:5], v[104:105], v[202:203]
	v_fma_f64 v[4:5], v[102:103], v[206:207], -v[4:5]
	v_add_f64 v[2:3], v[2:3], v[4:5]
	v_mul_f64 v[4:5], v[108:109], v[234:235]
	v_fma_f64 v[4:5], v[106:107], v[240:241], -v[4:5]
	v_add_f64 v[2:3], v[2:3], v[4:5]
	v_mul_f64 v[4:5], v[112:113], v[232:233]
	v_fma_f64 v[4:5], v[110:111], v[238:239], -v[4:5]
	v_add_f64 v[2:3], v[2:3], v[4:5]
	v_mul_f64 v[4:5], v[116:117], v[236:237]
	v_fma_f64 v[4:5], v[114:115], v[242:243], -v[4:5]
	v_add_f64 v[2:3], v[2:3], v[4:5]
	s_waitcnt vmcnt(2)
	v_add_f64 v[2:3], v[254:255], -v[2:3]
	s_waitcnt vmcnt(0)
	v_add_f64 v[4:5], v[252:253], -v[244:245]
	buffer_store_dword v3, off, s[0:3], 0 offset:308
	buffer_store_dword v2, off, s[0:3], 0 offset:304
	;; [unrolled: 1-line block ×4, first 2 shown]
	s_and_saveexec_b64 s[4:5], vcc
	s_cbranch_execz .LBB50_285
; %bb.284:
	v_accvgpr_read_b32 v0, a135
	buffer_load_dword v2, v0, s[0:3], 0 offen
	buffer_load_dword v3, v0, s[0:3], 0 offen offset:4
	buffer_load_dword v4, v0, s[0:3], 0 offen offset:8
	;; [unrolled: 1-line block ×3, first 2 shown]
	v_mov_b32_e32 v0, 0
	v_accvgpr_read_b32 v1, a153
	buffer_store_dword v0, off, s[0:3], 0 offset:288
	buffer_store_dword v0, off, s[0:3], 0 offset:292
	;; [unrolled: 1-line block ×4, first 2 shown]
	s_waitcnt vmcnt(4)
	ds_write_b128 v1, v[2:5]
.LBB50_285:
	s_or_b64 exec, exec, s[4:5]
	s_waitcnt lgkmcnt(0)
	; wave barrier
	s_waitcnt lgkmcnt(0)
	buffer_load_dword v94, off, s[0:3], 0 offset:304
	buffer_load_dword v95, off, s[0:3], 0 offset:308
	;; [unrolled: 1-line block ×52, first 2 shown]
	v_mov_b32_e32 v1, 0
	ds_read_b128 v[102:105], v1 offset:1104
	ds_read_b128 v[114:117], v1 offset:1120
	;; [unrolled: 1-line block ×10, first 2 shown]
	v_cmp_lt_u32_e32 vcc, 16, v218
	s_waitcnt vmcnt(48) lgkmcnt(9)
	v_mul_f64 v[26:27], v[102:103], v[96:97]
	v_fmac_f64_e32 v[26:27], v[104:105], v[94:95]
	v_add_f64 v[26:27], v[26:27], 0
	v_mul_f64 v[96:97], v[104:105], v[96:97]
	s_waitcnt vmcnt(44) lgkmcnt(8)
	v_mul_f64 v[28:29], v[114:115], v[100:101]
	v_fmac_f64_e32 v[28:29], v[116:117], v[98:99]
	s_waitcnt vmcnt(42) lgkmcnt(7)
	v_mul_f64 v[30:31], v[244:245], v[106:107]
	v_add_f64 v[26:27], v[26:27], v[28:29]
	s_waitcnt vmcnt(40) lgkmcnt(5)
	v_mul_f64 v[34:35], v[22:23], v[122:123]
	v_fma_f64 v[212:213], v[102:103], v[94:95], -v[96:97]
	s_waitcnt vmcnt(38)
	v_fmac_f64_e32 v[34:35], v[24:25], v[126:127]
	v_mul_f64 v[100:101], v[116:117], v[100:101]
	s_waitcnt vmcnt(36)
	v_mul_f64 v[32:33], v[250:251], v[110:111]
	v_fma_f64 v[214:215], v[114:115], v[98:99], -v[100:101]
	s_waitcnt vmcnt(34) lgkmcnt(3)
	v_mul_f64 v[38:39], v[14:15], v[120:121]
	v_mul_f64 v[106:107], v[246:247], v[106:107]
	s_waitcnt vmcnt(32)
	v_fmac_f64_e32 v[38:39], v[16:17], v[124:125]
	v_mul_f64 v[110:111], v[252:253], v[110:111]
	s_waitcnt vmcnt(30)
	v_mul_f64 v[36:37], v[18:19], v[132:133]
	v_mul_f64 v[24:25], v[24:25], v[122:123]
	v_fma_f64 v[22:23], v[22:23], v[126:127], -v[24:25]
	s_waitcnt vmcnt(27) lgkmcnt(2)
	v_mul_f64 v[40:41], v[10:11], v[130:131]
	s_waitcnt vmcnt(26) lgkmcnt(1)
	v_mul_f64 v[42:43], v[6:7], v[128:129]
	v_mul_f64 v[16:17], v[16:17], v[120:121]
	s_waitcnt vmcnt(24)
	v_fmac_f64_e32 v[30:31], v[246:247], v[108:109]
	v_add_f64 v[26:27], v[26:27], v[30:31]
	s_waitcnt vmcnt(22)
	v_fmac_f64_e32 v[32:33], v[252:253], v[112:113]
	v_add_f64 v[26:27], v[26:27], v[32:33]
	s_waitcnt vmcnt(20)
	v_fmac_f64_e32 v[36:37], v[20:21], v[136:137]
	v_add_f64 v[26:27], v[26:27], v[34:35]
	v_add_f64 v[26:27], v[26:27], v[36:37]
	s_waitcnt vmcnt(18)
	v_fmac_f64_e32 v[40:41], v[12:13], v[134:135]
	v_add_f64 v[26:27], v[26:27], v[38:39]
	v_add_f64 v[26:27], v[26:27], v[40:41]
	s_waitcnt vmcnt(16)
	v_fmac_f64_e32 v[42:43], v[8:9], v[140:141]
	v_add_f64 v[34:35], v[26:27], v[42:43]
	ds_read_b128 v[26:29], v1 offset:1264
	ds_read_b128 v[30:33], v1 offset:1280
	buffer_load_dword v157, off, s[0:3], 0 offset:540
	buffer_load_dword v156, off, s[0:3], 0 offset:536
	buffer_load_dword v159, off, s[0:3], 0 offset:532
	buffer_load_dword v158, off, s[0:3], 0 offset:528
	buffer_load_dword v173, off, s[0:3], 0 offset:524
	buffer_load_dword v172, off, s[0:3], 0 offset:520
	buffer_load_dword v177, off, s[0:3], 0 offset:516
	buffer_load_dword v176, off, s[0:3], 0 offset:512
	buffer_load_dword v161, off, s[0:3], 0 offset:572
	buffer_load_dword v160, off, s[0:3], 0 offset:568
	buffer_load_dword v163, off, s[0:3], 0 offset:564
	buffer_load_dword v162, off, s[0:3], 0 offset:560
	buffer_load_dword v181, off, s[0:3], 0 offset:556
	buffer_load_dword v180, off, s[0:3], 0 offset:552
	buffer_load_dword v185, off, s[0:3], 0 offset:548
	buffer_load_dword v184, off, s[0:3], 0 offset:544
	buffer_load_dword v165, off, s[0:3], 0 offset:604
	buffer_load_dword v164, off, s[0:3], 0 offset:600
	buffer_load_dword v167, off, s[0:3], 0 offset:596
	buffer_load_dword v166, off, s[0:3], 0 offset:592
	buffer_load_dword v189, off, s[0:3], 0 offset:588
	buffer_load_dword v188, off, s[0:3], 0 offset:584
	buffer_load_dword v193, off, s[0:3], 0 offset:580
	buffer_load_dword v192, off, s[0:3], 0 offset:576
	buffer_load_dword v169, off, s[0:3], 0 offset:636
	buffer_load_dword v168, off, s[0:3], 0 offset:632
	buffer_load_dword v171, off, s[0:3], 0 offset:628
	buffer_load_dword v170, off, s[0:3], 0 offset:624
	buffer_load_dword v197, off, s[0:3], 0 offset:620
	buffer_load_dword v196, off, s[0:3], 0 offset:616
	buffer_load_dword v199, off, s[0:3], 0 offset:612
	buffer_load_dword v198, off, s[0:3], 0 offset:608
	buffer_load_dword v175, off, s[0:3], 0 offset:668
	buffer_load_dword v174, off, s[0:3], 0 offset:664
	buffer_load_dword v179, off, s[0:3], 0 offset:660
	buffer_load_dword v178, off, s[0:3], 0 offset:656
	buffer_load_dword v203, off, s[0:3], 0 offset:652
	buffer_load_dword v202, off, s[0:3], 0 offset:648
	buffer_load_dword v207, off, s[0:3], 0 offset:644
	buffer_load_dword v206, off, s[0:3], 0 offset:640
	buffer_load_dword v183, off, s[0:3], 0 offset:700
	buffer_load_dword v182, off, s[0:3], 0 offset:696
	buffer_load_dword v187, off, s[0:3], 0 offset:692
	buffer_load_dword v186, off, s[0:3], 0 offset:688
	buffer_load_dword v211, off, s[0:3], 0 offset:684
	buffer_load_dword v210, off, s[0:3], 0 offset:680
	buffer_load_dword v225, off, s[0:3], 0 offset:676
	buffer_load_dword v224, off, s[0:3], 0 offset:672
	buffer_load_dword v191, off, s[0:3], 0 offset:732
	buffer_load_dword v190, off, s[0:3], 0 offset:728
	buffer_load_dword v195, off, s[0:3], 0 offset:724
	buffer_load_dword v223, off, s[0:3], 0 offset:716
	buffer_load_dword v222, off, s[0:3], 0 offset:712
	buffer_load_dword v227, off, s[0:3], 0 offset:708
	buffer_load_dword v226, off, s[0:3], 0 offset:704
	buffer_load_dword v194, off, s[0:3], 0 offset:720
	s_waitcnt vmcnt(62) lgkmcnt(2)
	v_mul_f64 v[36:37], v[2:3], v[144:145]
	v_fmac_f64_e32 v[36:37], v[4:5], v[146:147]
	v_add_f64 v[34:35], v[34:35], v[36:37]
	s_waitcnt lgkmcnt(1)
	v_mul_f64 v[36:37], v[26:27], v[138:139]
	v_fmac_f64_e32 v[36:37], v[28:29], v[142:143]
	v_add_f64 v[34:35], v[34:35], v[36:37]
	s_waitcnt lgkmcnt(0)
	v_mul_f64 v[36:37], v[30:31], v[148:149]
	s_waitcnt vmcnt(60)
	v_fmac_f64_e32 v[36:37], v[32:33], v[152:153]
	v_add_f64 v[42:43], v[34:35], v[36:37]
	ds_read_b128 v[34:37], v1 offset:1296
	buffer_load_dword v201, off, s[0:3], 0 offset:764
	buffer_load_dword v200, off, s[0:3], 0 offset:760
	buffer_load_dword v205, off, s[0:3], 0 offset:756
	buffer_load_dword v204, off, s[0:3], 0 offset:752
	buffer_load_dword v229, off, s[0:3], 0 offset:748
	buffer_load_dword v228, off, s[0:3], 0 offset:744
	buffer_load_dword v233, off, s[0:3], 0 offset:740
	buffer_load_dword v232, off, s[0:3], 0 offset:736
	buffer_load_dword v209, off, s[0:3], 0 offset:796
	buffer_load_dword v208, off, s[0:3], 0 offset:792
	buffer_load_dword v221, off, s[0:3], 0 offset:788
	buffer_load_dword v220, off, s[0:3], 0 offset:784
	buffer_load_dword v237, off, s[0:3], 0 offset:780
	buffer_load_dword v236, off, s[0:3], 0 offset:776
	buffer_load_dword v239, off, s[0:3], 0 offset:772
	buffer_load_dword v238, off, s[0:3], 0 offset:768
	ds_read_b128 v[38:41], v1 offset:1312
	buffer_load_dword v231, off, s[0:3], 0 offset:828
	buffer_load_dword v230, off, s[0:3], 0 offset:824
	;; [unrolled: 1-line block ×8, first 2 shown]
	ds_read_b128 v[98:101], v1 offset:1552
	s_waitcnt vmcnt(62) lgkmcnt(2)
	v_mul_f64 v[44:45], v[34:35], v[150:151]
	v_fmac_f64_e32 v[44:45], v[36:37], v[154:155]
	v_add_f64 v[46:47], v[42:43], v[44:45]
	ds_read_b128 v[42:45], v1 offset:1328
	v_fma_f64 v[248:249], v[244:245], v[108:109], -v[106:107]
	ds_read_b128 v[106:109], v1 offset:1584
	v_fma_f64 v[246:247], v[250:251], v[112:113], -v[110:111]
	v_mul_f64 v[20:21], v[20:21], v[132:133]
	v_fma_f64 v[18:19], v[18:19], v[136:137], -v[20:21]
	v_fma_f64 v[14:15], v[14:15], v[124:125], -v[16:17]
	v_mul_f64 v[12:13], v[12:13], v[130:131]
	v_fma_f64 v[10:11], v[10:11], v[134:135], -v[12:13]
	v_mul_f64 v[8:9], v[8:9], v[128:129]
	;; [unrolled: 2-line block ×3, first 2 shown]
	s_waitcnt lgkmcnt(3)
	v_mul_f64 v[48:49], v[38:39], v[172:173]
	v_fma_f64 v[2:3], v[2:3], v[146:147], -v[4:5]
	v_fmac_f64_e32 v[48:49], v[40:41], v[176:177]
	v_add_f64 v[50:51], v[46:47], v[48:49]
	ds_read_b128 v[46:49], v1 offset:1344
	s_waitcnt lgkmcnt(2)
	v_mul_f64 v[52:53], v[42:43], v[156:157]
	v_fmac_f64_e32 v[52:53], v[44:45], v[158:159]
	v_add_f64 v[54:55], v[50:51], v[52:53]
	ds_read_b128 v[50:53], v1 offset:1360
	s_waitcnt lgkmcnt(1)
	v_mul_f64 v[56:57], v[46:47], v[180:181]
	;; [unrolled: 5-line block ×3, first 2 shown]
	v_fmac_f64_e32 v[60:61], v[52:53], v[162:163]
	v_add_f64 v[62:63], v[58:59], v[60:61]
	ds_read_b128 v[58:61], v1 offset:1392
	s_waitcnt vmcnt(58) lgkmcnt(1)
	v_mul_f64 v[64:65], v[54:55], v[188:189]
	s_waitcnt vmcnt(56)
	v_fmac_f64_e32 v[64:65], v[56:57], v[192:193]
	v_add_f64 v[66:67], v[62:63], v[64:65]
	ds_read_b128 v[62:65], v1 offset:1408
	s_waitcnt lgkmcnt(1)
	v_mul_f64 v[68:69], v[58:59], v[164:165]
	v_fmac_f64_e32 v[68:69], v[60:61], v[166:167]
	v_add_f64 v[70:71], v[66:67], v[68:69]
	ds_read_b128 v[66:69], v1 offset:1424
	s_waitcnt vmcnt(50) lgkmcnt(1)
	v_mul_f64 v[72:73], v[62:63], v[196:197]
	s_waitcnt vmcnt(48)
	v_fmac_f64_e32 v[72:73], v[64:65], v[198:199]
	v_add_f64 v[74:75], v[70:71], v[72:73]
	ds_read_b128 v[70:73], v1 offset:1440
	s_waitcnt lgkmcnt(1)
	v_mul_f64 v[76:77], v[66:67], v[168:169]
	;; [unrolled: 11-line block ×3, first 2 shown]
	v_fmac_f64_e32 v[84:85], v[76:77], v[178:179]
	v_add_f64 v[90:91], v[82:83], v[84:85]
	ds_read_b128 v[82:85], v1 offset:1488
	ds_read_b128 v[86:89], v1 offset:1504
	s_waitcnt vmcnt(34) lgkmcnt(2)
	v_mul_f64 v[92:93], v[78:79], v[210:211]
	s_waitcnt vmcnt(32)
	v_fmac_f64_e32 v[92:93], v[80:81], v[224:225]
	v_add_f64 v[90:91], v[90:91], v[92:93]
	s_waitcnt lgkmcnt(1)
	v_mul_f64 v[92:93], v[82:83], v[182:183]
	v_fmac_f64_e32 v[92:93], v[84:85], v[186:187]
	v_add_f64 v[90:91], v[90:91], v[92:93]
	s_waitcnt vmcnt(27) lgkmcnt(0)
	v_mul_f64 v[92:93], v[86:87], v[222:223]
	s_waitcnt vmcnt(25)
	v_fmac_f64_e32 v[92:93], v[88:89], v[226:227]
	v_add_f64 v[118:119], v[90:91], v[92:93]
	ds_read_b128 v[90:93], v1 offset:1520
	ds_read_b128 v[94:97], v1 offset:1536
	;; [unrolled: 1-line block ×3, first 2 shown]
	v_mul_f64 v[4:5], v[28:29], v[138:139]
	v_fma_f64 v[4:5], v[26:27], v[142:143], -v[4:5]
	s_waitcnt lgkmcnt(2)
	v_mul_f64 v[102:103], v[90:91], v[190:191]
	s_waitcnt vmcnt(24)
	v_fmac_f64_e32 v[102:103], v[92:93], v[194:195]
	s_waitcnt vmcnt(18) lgkmcnt(1)
	v_mul_f64 v[104:105], v[94:95], v[228:229]
	v_add_f64 v[102:103], v[118:119], v[102:103]
	s_waitcnt vmcnt(16)
	v_fmac_f64_e32 v[104:105], v[96:97], v[232:233]
	v_add_f64 v[102:103], v[102:103], v[104:105]
	v_mul_f64 v[104:105], v[98:99], v[200:201]
	v_fmac_f64_e32 v[104:105], v[100:101], v[204:205]
	v_add_f64 v[114:115], v[102:103], v[104:105]
	ds_read_b128 v[102:105], v1 offset:1568
	s_waitcnt vmcnt(10) lgkmcnt(0)
	v_mul_f64 v[116:117], v[102:103], v[236:237]
	s_waitcnt vmcnt(8)
	v_fmac_f64_e32 v[116:117], v[104:105], v[238:239]
	v_add_f64 v[114:115], v[114:115], v[116:117]
	v_mul_f64 v[116:117], v[106:107], v[208:209]
	v_fmac_f64_e32 v[116:117], v[108:109], v[220:221]
	v_add_f64 v[114:115], v[114:115], v[116:117]
	s_waitcnt vmcnt(2)
	v_mul_f64 v[116:117], v[110:111], v[240:241]
	s_waitcnt vmcnt(0)
	v_fmac_f64_e32 v[116:117], v[112:113], v[242:243]
	v_add_f64 v[118:119], v[114:115], v[116:117]
	ds_read_b128 v[114:117], v1 offset:1616
	buffer_load_dword v252, off, s[0:3], 0 offset:288
	buffer_load_dword v253, off, s[0:3], 0 offset:292
	s_waitcnt lgkmcnt(0)
	v_mul_f64 v[216:217], v[114:115], v[230:231]
	v_fmac_f64_e32 v[216:217], v[116:117], v[234:235]
	v_add_f64 v[244:245], v[118:119], v[216:217]
	v_add_f64 v[118:119], v[212:213], 0
	;; [unrolled: 1-line block ×4, first 2 shown]
	buffer_load_dword v248, off, s[0:3], 0 offset:296
	buffer_load_dword v249, off, s[0:3], 0 offset:300
	v_add_f64 v[118:119], v[118:119], v[246:247]
	v_add_f64 v[22:23], v[118:119], v[22:23]
	;; [unrolled: 1-line block ×8, first 2 shown]
	v_mul_f64 v[4:5], v[32:33], v[148:149]
	v_fma_f64 v[4:5], v[30:31], v[152:153], -v[4:5]
	v_add_f64 v[2:3], v[2:3], v[4:5]
	v_mul_f64 v[4:5], v[36:37], v[150:151]
	v_fma_f64 v[4:5], v[34:35], v[154:155], -v[4:5]
	v_add_f64 v[2:3], v[2:3], v[4:5]
	v_mul_f64 v[4:5], v[40:41], v[172:173]
	v_fma_f64 v[4:5], v[38:39], v[176:177], -v[4:5]
	v_add_f64 v[2:3], v[2:3], v[4:5]
	v_mul_f64 v[4:5], v[44:45], v[156:157]
	v_fma_f64 v[4:5], v[42:43], v[158:159], -v[4:5]
	v_add_f64 v[2:3], v[2:3], v[4:5]
	v_mul_f64 v[4:5], v[48:49], v[180:181]
	v_fma_f64 v[4:5], v[46:47], v[184:185], -v[4:5]
	v_add_f64 v[2:3], v[2:3], v[4:5]
	v_mul_f64 v[4:5], v[52:53], v[160:161]
	v_fma_f64 v[4:5], v[50:51], v[162:163], -v[4:5]
	v_add_f64 v[2:3], v[2:3], v[4:5]
	v_mul_f64 v[4:5], v[56:57], v[188:189]
	v_fma_f64 v[4:5], v[54:55], v[192:193], -v[4:5]
	v_add_f64 v[2:3], v[2:3], v[4:5]
	v_mul_f64 v[4:5], v[60:61], v[164:165]
	v_fma_f64 v[4:5], v[58:59], v[166:167], -v[4:5]
	v_add_f64 v[2:3], v[2:3], v[4:5]
	v_mul_f64 v[4:5], v[64:65], v[196:197]
	v_fma_f64 v[4:5], v[62:63], v[198:199], -v[4:5]
	v_add_f64 v[2:3], v[2:3], v[4:5]
	v_mul_f64 v[4:5], v[68:69], v[168:169]
	v_fma_f64 v[4:5], v[66:67], v[170:171], -v[4:5]
	v_add_f64 v[2:3], v[2:3], v[4:5]
	v_mul_f64 v[4:5], v[72:73], v[202:203]
	v_fma_f64 v[4:5], v[70:71], v[206:207], -v[4:5]
	v_add_f64 v[2:3], v[2:3], v[4:5]
	v_mul_f64 v[4:5], v[76:77], v[174:175]
	v_fma_f64 v[4:5], v[74:75], v[178:179], -v[4:5]
	v_add_f64 v[2:3], v[2:3], v[4:5]
	v_mul_f64 v[4:5], v[80:81], v[210:211]
	v_fma_f64 v[4:5], v[78:79], v[224:225], -v[4:5]
	v_add_f64 v[2:3], v[2:3], v[4:5]
	v_mul_f64 v[4:5], v[84:85], v[182:183]
	v_fma_f64 v[4:5], v[82:83], v[186:187], -v[4:5]
	v_add_f64 v[2:3], v[2:3], v[4:5]
	v_mul_f64 v[4:5], v[88:89], v[222:223]
	v_fma_f64 v[4:5], v[86:87], v[226:227], -v[4:5]
	v_add_f64 v[2:3], v[2:3], v[4:5]
	v_mul_f64 v[4:5], v[92:93], v[190:191]
	v_fma_f64 v[4:5], v[90:91], v[194:195], -v[4:5]
	v_add_f64 v[2:3], v[2:3], v[4:5]
	v_mul_f64 v[4:5], v[96:97], v[228:229]
	v_fma_f64 v[4:5], v[94:95], v[232:233], -v[4:5]
	v_add_f64 v[2:3], v[2:3], v[4:5]
	v_mul_f64 v[4:5], v[100:101], v[200:201]
	v_fma_f64 v[4:5], v[98:99], v[204:205], -v[4:5]
	v_add_f64 v[2:3], v[2:3], v[4:5]
	v_mul_f64 v[4:5], v[104:105], v[236:237]
	v_fma_f64 v[4:5], v[102:103], v[238:239], -v[4:5]
	v_add_f64 v[2:3], v[2:3], v[4:5]
	v_mul_f64 v[4:5], v[108:109], v[208:209]
	v_fma_f64 v[4:5], v[106:107], v[220:221], -v[4:5]
	v_add_f64 v[2:3], v[2:3], v[4:5]
	v_mul_f64 v[4:5], v[112:113], v[240:241]
	v_fma_f64 v[4:5], v[110:111], v[242:243], -v[4:5]
	v_add_f64 v[2:3], v[2:3], v[4:5]
	v_mul_f64 v[4:5], v[116:117], v[230:231]
	v_fma_f64 v[4:5], v[114:115], v[234:235], -v[4:5]
	v_add_f64 v[2:3], v[2:3], v[4:5]
	s_waitcnt vmcnt(2)
	v_add_f64 v[2:3], v[252:253], -v[2:3]
	s_waitcnt vmcnt(0)
	v_add_f64 v[4:5], v[248:249], -v[244:245]
	buffer_store_dword v3, off, s[0:3], 0 offset:292
	buffer_store_dword v2, off, s[0:3], 0 offset:288
	;; [unrolled: 1-line block ×4, first 2 shown]
	s_and_saveexec_b64 s[4:5], vcc
	s_cbranch_execz .LBB50_287
; %bb.286:
	v_accvgpr_read_b32 v0, a136
	buffer_load_dword v2, v0, s[0:3], 0 offen
	buffer_load_dword v3, v0, s[0:3], 0 offen offset:4
	buffer_load_dword v4, v0, s[0:3], 0 offen offset:8
	;; [unrolled: 1-line block ×3, first 2 shown]
	v_accvgpr_read_b32 v0, a153
	buffer_store_dword v1, off, s[0:3], 0 offset:272
	buffer_store_dword v1, off, s[0:3], 0 offset:276
	;; [unrolled: 1-line block ×4, first 2 shown]
	s_waitcnt vmcnt(4)
	ds_write_b128 v0, v[2:5]
.LBB50_287:
	s_or_b64 exec, exec, s[4:5]
	s_waitcnt lgkmcnt(0)
	; wave barrier
	s_waitcnt lgkmcnt(0)
	buffer_load_dword v86, off, s[0:3], 0 offset:288
	buffer_load_dword v87, off, s[0:3], 0 offset:292
	buffer_load_dword v88, off, s[0:3], 0 offset:296
	buffer_load_dword v89, off, s[0:3], 0 offset:300
	buffer_load_dword v90, off, s[0:3], 0 offset:304
	buffer_load_dword v91, off, s[0:3], 0 offset:308
	buffer_load_dword v92, off, s[0:3], 0 offset:312
	buffer_load_dword v93, off, s[0:3], 0 offset:316
	buffer_load_dword v98, off, s[0:3], 0 offset:328
	buffer_load_dword v99, off, s[0:3], 0 offset:332
	buffer_load_dword v111, off, s[0:3], 0 offset:364
	buffer_load_dword v110, off, s[0:3], 0 offset:360
	buffer_load_dword v113, off, s[0:3], 0 offset:356
	buffer_load_dword v112, off, s[0:3], 0 offset:352
	buffer_load_dword v103, off, s[0:3], 0 offset:348
	buffer_load_dword v102, off, s[0:3], 0 offset:344
	buffer_load_dword v121, off, s[0:3], 0 offset:396
	buffer_load_dword v120, off, s[0:3], 0 offset:392
	buffer_load_dword v123, off, s[0:3], 0 offset:388
	buffer_load_dword v122, off, s[0:3], 0 offset:384
	buffer_load_dword v125, off, s[0:3], 0 offset:380
	buffer_load_dword v124, off, s[0:3], 0 offset:376
	buffer_load_dword v127, off, s[0:3], 0 offset:428
	buffer_load_dword v126, off, s[0:3], 0 offset:424
	buffer_load_dword v128, off, s[0:3], 0 offset:416
	buffer_load_dword v133, off, s[0:3], 0 offset:412
	buffer_load_dword v132, off, s[0:3], 0 offset:408
	buffer_load_dword v131, off, s[0:3], 0 offset:444
	buffer_load_dword v130, off, s[0:3], 0 offset:440
	buffer_load_dword v100, off, s[0:3], 0 offset:320
	buffer_load_dword v101, off, s[0:3], 0 offset:324
	buffer_load_dword v105, off, s[0:3], 0 offset:340
	buffer_load_dword v104, off, s[0:3], 0 offset:336
	buffer_load_dword v137, off, s[0:3], 0 offset:372
	buffer_load_dword v136, off, s[0:3], 0 offset:368
	buffer_load_dword v135, off, s[0:3], 0 offset:404
	buffer_load_dword v134, off, s[0:3], 0 offset:400
	buffer_load_dword v129, off, s[0:3], 0 offset:420
	buffer_load_dword v138, off, s[0:3], 0 offset:456
	buffer_load_dword v140, off, s[0:3], 0 offset:448
	buffer_load_dword v141, off, s[0:3], 0 offset:452
	buffer_load_dword v139, off, s[0:3], 0 offset:460
	ds_read_b128 v[94:97], v1 offset:1088
	ds_read_b128 v[106:109], v1 offset:1104
	;; [unrolled: 1-line block ×10, first 2 shown]
	buffer_load_dword v147, off, s[0:3], 0 offset:436
	buffer_load_dword v146, off, s[0:3], 0 offset:432
	ds_read_b128 v[6:9], v1 offset:1248
	buffer_load_dword v143, off, s[0:3], 0 offset:492
	buffer_load_dword v142, off, s[0:3], 0 offset:488
	;; [unrolled: 1-line block ×80, first 2 shown]
	s_waitcnt vmcnt(62) lgkmcnt(10)
	v_mul_f64 v[26:27], v[94:95], v[88:89]
	v_fmac_f64_e32 v[26:27], v[96:97], v[86:87]
	v_add_f64 v[26:27], v[26:27], 0
	v_mul_f64 v[88:89], v[96:97], v[88:89]
	s_waitcnt lgkmcnt(9)
	v_mul_f64 v[28:29], v[106:107], v[92:93]
	v_fmac_f64_e32 v[28:29], v[108:109], v[90:91]
	s_waitcnt lgkmcnt(8)
	v_mul_f64 v[30:31], v[114:115], v[98:99]
	v_add_f64 v[26:27], v[26:27], v[28:29]
	s_waitcnt lgkmcnt(6)
	v_mul_f64 v[34:35], v[248:249], v[110:111]
	v_fma_f64 v[212:213], v[94:95], v[86:87], -v[88:89]
	v_fmac_f64_e32 v[34:35], v[250:251], v[112:113]
	v_mul_f64 v[92:93], v[108:109], v[92:93]
	v_mul_f64 v[32:33], v[244:245], v[102:103]
	v_mul_f64 v[98:99], v[116:117], v[98:99]
	s_waitcnt lgkmcnt(4)
	v_mul_f64 v[38:39], v[18:19], v[120:121]
	v_mul_f64 v[102:103], v[246:247], v[102:103]
	v_fmac_f64_e32 v[38:39], v[20:21], v[122:123]
	v_mul_f64 v[110:111], v[250:251], v[110:111]
	v_mul_f64 v[36:37], v[22:23], v[124:125]
	v_fma_f64 v[248:249], v[248:249], v[112:113], -v[110:111]
	s_waitcnt lgkmcnt(2)
	v_mul_f64 v[42:43], v[10:11], v[126:127]
	v_add_f64 v[212:213], v[212:213], 0
	v_mul_f64 v[20:21], v[20:21], v[120:121]
	v_mul_f64 v[40:41], v[14:15], v[132:133]
	v_fma_f64 v[18:19], v[18:19], v[122:123], -v[20:21]
	s_waitcnt lgkmcnt(1)
	v_mul_f64 v[44:45], v[2:3], v[130:131]
	v_fmac_f64_e32 v[30:31], v[116:117], v[100:101]
	v_add_f64 v[26:27], v[26:27], v[30:31]
	v_fmac_f64_e32 v[32:33], v[246:247], v[104:105]
	v_add_f64 v[26:27], v[26:27], v[32:33]
	;; [unrolled: 2-line block ×3, first 2 shown]
	v_add_f64 v[26:27], v[26:27], v[36:37]
	v_fmac_f64_e32 v[40:41], v[16:17], v[134:135]
	v_add_f64 v[26:27], v[26:27], v[38:39]
	v_fmac_f64_e32 v[42:43], v[12:13], v[128:129]
	v_add_f64 v[26:27], v[26:27], v[40:41]
	v_add_f64 v[26:27], v[26:27], v[42:43]
	s_waitcnt lgkmcnt(0)
	v_mul_f64 v[32:33], v[6:7], v[138:139]
	v_fmac_f64_e32 v[44:45], v[4:5], v[146:147]
	v_add_f64 v[30:31], v[26:27], v[44:45]
	ds_read_b128 v[26:29], v1 offset:1264
	v_fmac_f64_e32 v[32:33], v[8:9], v[140:141]
	v_add_f64 v[34:35], v[30:31], v[32:33]
	ds_read_b128 v[30:33], v1 offset:1280
	v_fma_f64 v[214:215], v[114:115], v[100:101], -v[98:99]
	s_waitcnt lgkmcnt(1)
	v_mul_f64 v[36:37], v[26:27], v[148:149]
	v_fmac_f64_e32 v[36:37], v[28:29], v[164:165]
	v_add_f64 v[38:39], v[34:35], v[36:37]
	ds_read_b128 v[34:37], v1 offset:1296
	s_waitcnt lgkmcnt(1)
	v_mul_f64 v[40:41], v[30:31], v[142:143]
	v_fmac_f64_e32 v[40:41], v[32:33], v[144:145]
	v_add_f64 v[42:43], v[38:39], v[40:41]
	ds_read_b128 v[38:41], v1 offset:1312
	;; [unrolled: 5-line block ×4, first 2 shown]
	s_waitcnt vmcnt(58) lgkmcnt(1)
	v_mul_f64 v[52:53], v[42:43], v[176:177]
	s_waitcnt vmcnt(56)
	v_fmac_f64_e32 v[52:53], v[44:45], v[180:181]
	v_add_f64 v[54:55], v[50:51], v[52:53]
	ds_read_b128 v[50:53], v1 offset:1360
	buffer_load_dword v232, off, s[0:3], 0 offset:808
	buffer_load_dword v237, off, s[0:3], 0 offset:796
	;; [unrolled: 1-line block ×8, first 2 shown]
	s_waitcnt lgkmcnt(1)
	v_mul_f64 v[56:57], v[46:47], v[154:155]
	v_fmac_f64_e32 v[56:57], v[48:49], v[156:157]
	v_add_f64 v[58:59], v[54:55], v[56:57]
	ds_read_b128 v[54:57], v1 offset:1376
	s_waitcnt vmcnt(58) lgkmcnt(1)
	v_mul_f64 v[60:61], v[50:51], v[184:185]
	s_waitcnt vmcnt(56)
	v_fmac_f64_e32 v[60:61], v[52:53], v[188:189]
	buffer_load_dword v241, off, s[0:3], 0 offset:828
	buffer_load_dword v240, off, s[0:3], 0 offset:824
	;; [unrolled: 1-line block ×4, first 2 shown]
	v_add_f64 v[62:63], v[58:59], v[60:61]
	ds_read_b128 v[58:61], v1 offset:1392
	s_waitcnt lgkmcnt(1)
	v_mul_f64 v[64:65], v[54:55], v[158:159]
	v_fmac_f64_e32 v[64:65], v[56:57], v[160:161]
	v_add_f64 v[66:67], v[62:63], v[64:65]
	ds_read_b128 v[62:65], v1 offset:1408
	s_waitcnt vmcnt(54) lgkmcnt(1)
	v_mul_f64 v[68:69], v[58:59], v[192:193]
	s_waitcnt vmcnt(52)
	v_fmac_f64_e32 v[68:69], v[60:61], v[196:197]
	v_add_f64 v[70:71], v[66:67], v[68:69]
	ds_read_b128 v[66:69], v1 offset:1424
	s_waitcnt lgkmcnt(1)
	v_mul_f64 v[72:73], v[62:63], v[162:163]
	v_fmac_f64_e32 v[72:73], v[64:65], v[166:167]
	v_add_f64 v[74:75], v[70:71], v[72:73]
	ds_read_b128 v[70:73], v1 offset:1440
	s_waitcnt vmcnt(46) lgkmcnt(1)
	v_mul_f64 v[76:77], v[66:67], v[200:201]
	s_waitcnt vmcnt(44)
	v_fmac_f64_e32 v[76:77], v[68:69], v[204:205]
	v_add_f64 v[82:83], v[74:75], v[76:77]
	ds_read_b128 v[74:77], v1 offset:1456
	ds_read_b128 v[78:81], v1 offset:1472
	s_waitcnt lgkmcnt(2)
	v_mul_f64 v[84:85], v[70:71], v[170:171]
	v_fmac_f64_e32 v[84:85], v[72:73], v[174:175]
	v_add_f64 v[82:83], v[82:83], v[84:85]
	s_waitcnt vmcnt(38) lgkmcnt(1)
	v_mul_f64 v[84:85], v[74:75], v[208:209]
	s_waitcnt vmcnt(36)
	v_fmac_f64_e32 v[84:85], v[76:77], v[210:211]
	v_add_f64 v[82:83], v[82:83], v[84:85]
	s_waitcnt lgkmcnt(0)
	v_mul_f64 v[84:85], v[78:79], v[178:179]
	v_fmac_f64_e32 v[84:85], v[80:81], v[182:183]
	v_add_f64 v[118:119], v[82:83], v[84:85]
	ds_read_b128 v[82:85], v1 offset:1488
	ds_read_b128 v[86:89], v1 offset:1504
	;; [unrolled: 1-line block ×3, first 2 shown]
	v_fma_f64 v[246:247], v[244:245], v[104:105], -v[102:103]
	ds_read_b128 v[102:105], v1 offset:1584
	ds_read_b128 v[110:113], v1 offset:1600
	s_waitcnt vmcnt(30) lgkmcnt(4)
	v_mul_f64 v[94:95], v[82:83], v[220:221]
	s_waitcnt vmcnt(28)
	v_fmac_f64_e32 v[94:95], v[84:85], v[222:223]
	v_add_f64 v[94:95], v[118:119], v[94:95]
	v_fma_f64 v[118:119], v[106:107], v[90:91], -v[92:93]
	ds_read_b128 v[90:93], v1 offset:1520
	s_waitcnt lgkmcnt(4)
	v_mul_f64 v[96:97], v[86:87], v[186:187]
	v_fmac_f64_e32 v[96:97], v[88:89], v[190:191]
	v_add_f64 v[106:107], v[94:95], v[96:97]
	ds_read_b128 v[94:97], v1 offset:1536
	s_waitcnt vmcnt(22) lgkmcnt(1)
	v_mul_f64 v[108:109], v[90:91], v[224:225]
	s_waitcnt vmcnt(20)
	v_fmac_f64_e32 v[108:109], v[92:93], v[226:227]
	v_add_f64 v[106:107], v[106:107], v[108:109]
	v_add_f64 v[118:119], v[212:213], v[118:119]
	s_waitcnt lgkmcnt(0)
	v_mul_f64 v[108:109], v[94:95], v[194:195]
	v_fmac_f64_e32 v[108:109], v[96:97], v[198:199]
	v_add_f64 v[114:115], v[106:107], v[108:109]
	ds_read_b128 v[106:109], v1 offset:1568
	s_waitcnt vmcnt(14)
	v_mul_f64 v[116:117], v[98:99], v[228:229]
	s_waitcnt vmcnt(12)
	v_fmac_f64_e32 v[116:117], v[100:101], v[230:231]
	v_add_f64 v[114:115], v[114:115], v[116:117]
	v_add_f64 v[250:251], v[118:119], v[214:215]
	s_waitcnt lgkmcnt(0)
	v_mul_f64 v[116:117], v[106:107], v[202:203]
	v_fmac_f64_e32 v[116:117], v[108:109], v[206:207]
	v_add_f64 v[114:115], v[114:115], v[116:117]
	v_add_f64 v[118:119], v[250:251], v[246:247]
	v_mul_f64 v[24:25], v[24:25], v[124:125]
	v_add_f64 v[118:119], v[118:119], v[248:249]
	v_fma_f64 v[22:23], v[22:23], v[136:137], -v[24:25]
	v_add_f64 v[22:23], v[118:119], v[22:23]
	v_mul_f64 v[16:17], v[16:17], v[132:133]
	v_add_f64 v[18:19], v[22:23], v[18:19]
	v_fma_f64 v[14:15], v[14:15], v[134:135], -v[16:17]
	v_mul_f64 v[12:13], v[12:13], v[126:127]
	s_waitcnt vmcnt(9)
	v_mul_f64 v[116:117], v[102:103], v[236:237]
	v_add_f64 v[14:15], v[18:19], v[14:15]
	s_waitcnt vmcnt(7)
	v_fmac_f64_e32 v[116:117], v[104:105], v[238:239]
	v_add_f64 v[114:115], v[114:115], v[116:117]
	s_waitcnt vmcnt(5)
	v_mul_f64 v[116:117], v[110:111], v[232:233]
	s_waitcnt vmcnt(4)
	v_fmac_f64_e32 v[116:117], v[112:113], v[234:235]
	v_add_f64 v[216:217], v[114:115], v[116:117]
	ds_read_b128 v[114:117], v1 offset:1616
	buffer_load_dword v254, off, s[0:3], 0 offset:272
	buffer_load_dword v255, off, s[0:3], 0 offset:276
	;; [unrolled: 1-line block ×4, first 2 shown]
	v_fma_f64 v[10:11], v[10:11], v[128:129], -v[12:13]
	v_mul_f64 v[4:5], v[4:5], v[130:131]
	v_add_f64 v[10:11], v[14:15], v[10:11]
	v_fma_f64 v[2:3], v[2:3], v[146:147], -v[4:5]
	v_mul_f64 v[4:5], v[8:9], v[138:139]
	v_add_f64 v[2:3], v[10:11], v[2:3]
	v_fma_f64 v[4:5], v[6:7], v[140:141], -v[4:5]
	v_add_f64 v[2:3], v[2:3], v[4:5]
	v_mul_f64 v[4:5], v[28:29], v[148:149]
	v_fma_f64 v[4:5], v[26:27], v[164:165], -v[4:5]
	v_add_f64 v[2:3], v[2:3], v[4:5]
	v_mul_f64 v[4:5], v[32:33], v[142:143]
	;; [unrolled: 3-line block ×22, first 2 shown]
	v_fma_f64 v[4:5], v[110:111], v[234:235], -v[4:5]
	v_add_f64 v[2:3], v[2:3], v[4:5]
	s_waitcnt vmcnt(6) lgkmcnt(0)
	v_mul_f64 v[4:5], v[116:117], v[240:241]
	s_waitcnt vmcnt(4)
	v_fma_f64 v[4:5], v[114:115], v[242:243], -v[4:5]
	v_mul_f64 v[218:219], v[114:115], v[240:241]
	v_add_f64 v[2:3], v[2:3], v[4:5]
	v_fmac_f64_e32 v[218:219], v[116:117], v[242:243]
	s_waitcnt vmcnt(2)
	v_add_f64 v[2:3], v[254:255], -v[2:3]
	v_accvgpr_read_b32 v254, a152
	v_add_f64 v[244:245], v[216:217], v[218:219]
	v_cmp_lt_u32_e32 vcc, 15, v254
	s_waitcnt vmcnt(0)
	v_add_f64 v[4:5], v[252:253], -v[244:245]
	buffer_store_dword v3, off, s[0:3], 0 offset:276
	buffer_store_dword v2, off, s[0:3], 0 offset:272
	;; [unrolled: 1-line block ×4, first 2 shown]
	s_and_saveexec_b64 s[4:5], vcc
	s_cbranch_execz .LBB50_289
; %bb.288:
	v_accvgpr_read_b32 v0, a137
	buffer_load_dword v2, v0, s[0:3], 0 offen
	buffer_load_dword v3, v0, s[0:3], 0 offen offset:4
	buffer_load_dword v4, v0, s[0:3], 0 offen offset:8
	;; [unrolled: 1-line block ×3, first 2 shown]
	v_mov_b32_e32 v0, 0
	v_accvgpr_read_b32 v1, a153
	buffer_store_dword v0, off, s[0:3], 0 offset:256
	buffer_store_dword v0, off, s[0:3], 0 offset:260
	buffer_store_dword v0, off, s[0:3], 0 offset:264
	buffer_store_dword v0, off, s[0:3], 0 offset:268
	s_waitcnt vmcnt(4)
	ds_write_b128 v1, v[2:5]
.LBB50_289:
	s_or_b64 exec, exec, s[4:5]
	s_waitcnt lgkmcnt(0)
	; wave barrier
	s_waitcnt lgkmcnt(0)
	buffer_load_dword v82, off, s[0:3], 0 offset:272
	buffer_load_dword v83, off, s[0:3], 0 offset:276
	buffer_load_dword v84, off, s[0:3], 0 offset:280
	buffer_load_dword v85, off, s[0:3], 0 offset:284
	buffer_load_dword v86, off, s[0:3], 0 offset:288
	buffer_load_dword v87, off, s[0:3], 0 offset:292
	buffer_load_dword v88, off, s[0:3], 0 offset:296
	buffer_load_dword v89, off, s[0:3], 0 offset:300
	buffer_load_dword v94, off, s[0:3], 0 offset:312
	buffer_load_dword v95, off, s[0:3], 0 offset:316
	buffer_load_dword v103, off, s[0:3], 0 offset:348
	buffer_load_dword v102, off, s[0:3], 0 offset:344
	buffer_load_dword v105, off, s[0:3], 0 offset:340
	buffer_load_dword v104, off, s[0:3], 0 offset:336
	buffer_load_dword v99, off, s[0:3], 0 offset:332
	buffer_load_dword v98, off, s[0:3], 0 offset:328
	buffer_load_dword v121, off, s[0:3], 0 offset:380
	buffer_load_dword v120, off, s[0:3], 0 offset:376
	buffer_load_dword v123, off, s[0:3], 0 offset:372
	buffer_load_dword v122, off, s[0:3], 0 offset:368
	buffer_load_dword v111, off, s[0:3], 0 offset:364
	buffer_load_dword v110, off, s[0:3], 0 offset:360
	buffer_load_dword v125, off, s[0:3], 0 offset:396
	buffer_load_dword v124, off, s[0:3], 0 offset:392
	buffer_load_dword v96, off, s[0:3], 0 offset:304
	buffer_load_dword v97, off, s[0:3], 0 offset:308
	buffer_load_dword v101, off, s[0:3], 0 offset:324
	buffer_load_dword v100, off, s[0:3], 0 offset:320
	buffer_load_dword v113, off, s[0:3], 0 offset:356
	buffer_load_dword v112, off, s[0:3], 0 offset:352
	buffer_load_dword v129, off, s[0:3], 0 offset:388
	buffer_load_dword v128, off, s[0:3], 0 offset:384
	buffer_load_dword v126, off, s[0:3], 0 offset:408
	buffer_load_dword v130, off, s[0:3], 0 offset:400
	buffer_load_dword v131, off, s[0:3], 0 offset:404
	buffer_load_dword v127, off, s[0:3], 0 offset:412
	buffer_load_dword v133, off, s[0:3], 0 offset:444
	buffer_load_dword v132, off, s[0:3], 0 offset:440
	buffer_load_dword v135, off, s[0:3], 0 offset:436
	buffer_load_dword v134, off, s[0:3], 0 offset:432
	buffer_load_dword v137, off, s[0:3], 0 offset:428
	buffer_load_dword v136, off, s[0:3], 0 offset:424
	buffer_load_dword v139, off, s[0:3], 0 offset:420
	buffer_load_dword v138, off, s[0:3], 0 offset:416
	buffer_load_dword v141, off, s[0:3], 0 offset:476
	buffer_load_dword v140, off, s[0:3], 0 offset:472
	buffer_load_dword v143, off, s[0:3], 0 offset:468
	buffer_load_dword v142, off, s[0:3], 0 offset:464
	buffer_load_dword v147, off, s[0:3], 0 offset:460
	buffer_load_dword v146, off, s[0:3], 0 offset:456
	buffer_load_dword v149, off, s[0:3], 0 offset:452
	buffer_load_dword v148, off, s[0:3], 0 offset:448
	buffer_load_dword v145, off, s[0:3], 0 offset:508
	buffer_load_dword v144, off, s[0:3], 0 offset:504
	v_mov_b32_e32 v1, 0
	ds_read_b128 v[90:93], v1 offset:1072
	ds_read_b128 v[106:109], v1 offset:1088
	;; [unrolled: 1-line block ×9, first 2 shown]
	buffer_load_dword v151, off, s[0:3], 0 offset:500
	buffer_load_dword v150, off, s[0:3], 0 offset:496
	;; [unrolled: 1-line block ×62, first 2 shown]
	v_cmp_lt_u32_e32 vcc, 14, v254
	s_waitcnt vmcnt(62) lgkmcnt(8)
	v_mul_f64 v[14:15], v[90:91], v[84:85]
	v_fmac_f64_e32 v[14:15], v[92:93], v[82:83]
	v_add_f64 v[14:15], v[14:15], 0
	v_mul_f64 v[84:85], v[92:93], v[84:85]
	s_waitcnt lgkmcnt(7)
	v_mul_f64 v[16:17], v[106:107], v[88:89]
	v_fmac_f64_e32 v[16:17], v[108:109], v[86:87]
	s_waitcnt lgkmcnt(6)
	v_mul_f64 v[18:19], v[114:115], v[94:95]
	v_add_f64 v[14:15], v[14:15], v[16:17]
	s_waitcnt lgkmcnt(4)
	v_mul_f64 v[22:23], v[246:247], v[102:103]
	v_fma_f64 v[212:213], v[90:91], v[82:83], -v[84:85]
	v_fmac_f64_e32 v[22:23], v[248:249], v[104:105]
	v_mul_f64 v[88:89], v[108:109], v[88:89]
	v_mul_f64 v[20:21], v[242:243], v[98:99]
	v_fma_f64 v[214:215], v[106:107], v[86:87], -v[88:89]
	s_waitcnt lgkmcnt(2)
	v_mul_f64 v[26:27], v[10:11], v[120:121]
	v_mul_f64 v[94:95], v[116:117], v[94:95]
	v_fmac_f64_e32 v[26:27], v[12:13], v[122:123]
	v_mul_f64 v[98:99], v[244:245], v[98:99]
	v_mul_f64 v[24:25], v[250:251], v[110:111]
	;; [unrolled: 1-line block ×3, first 2 shown]
	s_waitcnt lgkmcnt(1)
	v_mul_f64 v[28:29], v[6:7], v[124:125]
	v_mul_f64 v[110:111], v[252:253], v[110:111]
	v_fmac_f64_e32 v[18:19], v[116:117], v[96:97]
	v_add_f64 v[14:15], v[14:15], v[18:19]
	v_fmac_f64_e32 v[20:21], v[244:245], v[100:101]
	v_add_f64 v[14:15], v[14:15], v[20:21]
	;; [unrolled: 2-line block ×3, first 2 shown]
	v_add_f64 v[14:15], v[14:15], v[24:25]
	v_fmac_f64_e32 v[28:29], v[8:9], v[128:129]
	v_add_f64 v[14:15], v[14:15], v[26:27]
	v_add_f64 v[18:19], v[14:15], v[28:29]
	ds_read_b128 v[14:17], v1 offset:1216
	s_waitcnt lgkmcnt(1)
	v_mul_f64 v[20:21], v[2:3], v[126:127]
	v_fmac_f64_e32 v[20:21], v[4:5], v[130:131]
	v_add_f64 v[22:23], v[18:19], v[20:21]
	ds_read_b128 v[18:21], v1 offset:1232
	s_waitcnt lgkmcnt(1)
	v_mul_f64 v[24:25], v[14:15], v[136:137]
	v_fmac_f64_e32 v[24:25], v[16:17], v[138:139]
	v_add_f64 v[26:27], v[22:23], v[24:25]
	ds_read_b128 v[22:25], v1 offset:1248
	s_waitcnt lgkmcnt(1)
	v_mul_f64 v[28:29], v[18:19], v[132:133]
	v_fmac_f64_e32 v[28:29], v[20:21], v[134:135]
	v_add_f64 v[30:31], v[26:27], v[28:29]
	ds_read_b128 v[26:29], v1 offset:1264
	s_waitcnt lgkmcnt(1)
	v_mul_f64 v[32:33], v[22:23], v[146:147]
	v_fmac_f64_e32 v[32:33], v[24:25], v[148:149]
	v_add_f64 v[34:35], v[30:31], v[32:33]
	ds_read_b128 v[30:33], v1 offset:1280
	s_waitcnt lgkmcnt(1)
	v_mul_f64 v[36:37], v[26:27], v[140:141]
	v_fmac_f64_e32 v[36:37], v[28:29], v[142:143]
	v_add_f64 v[38:39], v[34:35], v[36:37]
	ds_read_b128 v[34:37], v1 offset:1296
	s_waitcnt vmcnt(58) lgkmcnt(1)
	v_mul_f64 v[40:41], v[30:31], v[164:165]
	s_waitcnt vmcnt(56)
	v_fmac_f64_e32 v[40:41], v[32:33], v[168:169]
	v_add_f64 v[42:43], v[38:39], v[40:41]
	ds_read_b128 v[38:41], v1 offset:1312
	s_waitcnt lgkmcnt(1)
	v_mul_f64 v[44:45], v[34:35], v[144:145]
	v_fmac_f64_e32 v[44:45], v[36:37], v[150:151]
	v_add_f64 v[46:47], v[42:43], v[44:45]
	ds_read_b128 v[42:45], v1 offset:1328
	s_waitcnt vmcnt(50) lgkmcnt(1)
	v_mul_f64 v[48:49], v[38:39], v[172:173]
	s_waitcnt vmcnt(48)
	v_fmac_f64_e32 v[48:49], v[40:41], v[176:177]
	v_add_f64 v[50:51], v[46:47], v[48:49]
	ds_read_b128 v[46:49], v1 offset:1344
	buffer_load_dword v221, off, s[0:3], 0 offset:748
	buffer_load_dword v220, off, s[0:3], 0 offset:744
	;; [unrolled: 1-line block ×8, first 2 shown]
	s_waitcnt lgkmcnt(1)
	v_mul_f64 v[52:53], v[42:43], v[152:153]
	v_fmac_f64_e32 v[52:53], v[44:45], v[154:155]
	v_add_f64 v[54:55], v[50:51], v[52:53]
	ds_read_b128 v[50:53], v1 offset:1360
	s_waitcnt vmcnt(50) lgkmcnt(1)
	v_mul_f64 v[56:57], v[46:47], v[180:181]
	s_waitcnt vmcnt(48)
	v_fmac_f64_e32 v[56:57], v[48:49], v[184:185]
	buffer_load_dword v225, off, s[0:3], 0 offset:796
	buffer_load_dword v231, off, s[0:3], 0 offset:780
	;; [unrolled: 1-line block ×12, first 2 shown]
	v_add_f64 v[58:59], v[54:55], v[56:57]
	ds_read_b128 v[54:57], v1 offset:1376
	s_waitcnt lgkmcnt(1)
	v_mul_f64 v[60:61], v[50:51], v[156:157]
	v_fmac_f64_e32 v[60:61], v[52:53], v[158:159]
	v_add_f64 v[62:63], v[58:59], v[60:61]
	ds_read_b128 v[58:61], v1 offset:1392
	s_waitcnt vmcnt(54) lgkmcnt(1)
	v_mul_f64 v[64:65], v[54:55], v[188:189]
	s_waitcnt vmcnt(52)
	v_fmac_f64_e32 v[64:65], v[56:57], v[192:193]
	v_add_f64 v[66:67], v[62:63], v[64:65]
	ds_read_b128 v[62:65], v1 offset:1408
	s_waitcnt lgkmcnt(1)
	v_mul_f64 v[68:69], v[58:59], v[160:161]
	v_fmac_f64_e32 v[68:69], v[60:61], v[162:163]
	v_add_f64 v[70:71], v[66:67], v[68:69]
	ds_read_b128 v[66:69], v1 offset:1424
	s_waitcnt vmcnt(46) lgkmcnt(1)
	v_mul_f64 v[72:73], v[62:63], v[196:197]
	s_waitcnt vmcnt(44)
	v_fmac_f64_e32 v[72:73], v[64:65], v[198:199]
	v_add_f64 v[78:79], v[70:71], v[72:73]
	ds_read_b128 v[70:73], v1 offset:1440
	ds_read_b128 v[74:77], v1 offset:1456
	s_waitcnt lgkmcnt(2)
	v_mul_f64 v[80:81], v[66:67], v[166:167]
	v_fmac_f64_e32 v[80:81], v[68:69], v[170:171]
	v_add_f64 v[78:79], v[78:79], v[80:81]
	s_waitcnt vmcnt(38) lgkmcnt(1)
	v_mul_f64 v[80:81], v[70:71], v[200:201]
	s_waitcnt vmcnt(36)
	v_fmac_f64_e32 v[80:81], v[72:73], v[202:203]
	v_add_f64 v[78:79], v[78:79], v[80:81]
	s_waitcnt lgkmcnt(0)
	v_mul_f64 v[80:81], v[74:75], v[174:175]
	v_fmac_f64_e32 v[80:81], v[76:77], v[178:179]
	v_add_f64 v[118:119], v[78:79], v[80:81]
	ds_read_b128 v[78:81], v1 offset:1472
	ds_read_b128 v[82:85], v1 offset:1488
	ds_read_b128 v[86:89], v1 offset:1504
	v_fma_f64 v[216:217], v[242:243], v[100:101], -v[98:99]
	ds_read_b128 v[98:101], v1 offset:1552
	s_waitcnt vmcnt(30) lgkmcnt(3)
	v_mul_f64 v[90:91], v[78:79], v[204:205]
	s_waitcnt vmcnt(28)
	v_fmac_f64_e32 v[90:91], v[80:81], v[206:207]
	s_waitcnt lgkmcnt(2)
	v_mul_f64 v[92:93], v[82:83], v[182:183]
	v_add_f64 v[90:91], v[118:119], v[90:91]
	v_fmac_f64_e32 v[92:93], v[84:85], v[186:187]
	v_add_f64 v[90:91], v[90:91], v[92:93]
	v_fma_f64 v[118:119], v[114:115], v[96:97], -v[94:95]
	ds_read_b128 v[94:97], v1 offset:1536
	s_waitcnt vmcnt(22) lgkmcnt(2)
	v_mul_f64 v[92:93], v[86:87], v[208:209]
	s_waitcnt vmcnt(20)
	v_fmac_f64_e32 v[92:93], v[88:89], v[210:211]
	v_add_f64 v[106:107], v[90:91], v[92:93]
	ds_read_b128 v[90:93], v1 offset:1520
	buffer_load_dword v240, off, s[0:3], 0 offset:824
	v_fma_f64 v[218:219], v[246:247], v[104:105], -v[102:103]
	ds_read_b128 v[102:105], v1 offset:1568
	v_fma_f64 v[250:251], v[250:251], v[112:113], -v[110:111]
	s_waitcnt lgkmcnt(1)
	v_mul_f64 v[108:109], v[90:91], v[190:191]
	v_fmac_f64_e32 v[108:109], v[92:93], v[194:195]
	v_add_f64 v[106:107], v[106:107], v[108:109]
	ds_read_b128 v[110:113], v1 offset:1600
	v_add_f64 v[212:213], v[212:213], 0
	v_add_f64 v[212:213], v[212:213], v[214:215]
	;; [unrolled: 1-line block ×5, first 2 shown]
	v_mul_f64 v[12:13], v[12:13], v[120:121]
	v_add_f64 v[118:119], v[252:253], v[250:251]
	v_fma_f64 v[10:11], v[10:11], v[122:123], -v[12:13]
	v_mul_f64 v[8:9], v[8:9], v[124:125]
	v_add_f64 v[10:11], v[118:119], v[10:11]
	v_fma_f64 v[6:7], v[6:7], v[128:129], -v[8:9]
	v_mul_f64 v[4:5], v[4:5], v[126:127]
	v_add_f64 v[6:7], v[10:11], v[6:7]
	v_fma_f64 v[2:3], v[2:3], v[130:131], -v[4:5]
	v_mul_f64 v[4:5], v[16:17], v[136:137]
	v_add_f64 v[2:3], v[6:7], v[2:3]
	s_waitcnt vmcnt(19)
	v_mul_f64 v[108:109], v[94:95], v[220:221]
	v_fma_f64 v[4:5], v[14:15], v[138:139], -v[4:5]
	s_waitcnt vmcnt(17)
	v_fmac_f64_e32 v[108:109], v[96:97], v[222:223]
	v_add_f64 v[106:107], v[106:107], v[108:109]
	s_waitcnt vmcnt(15)
	v_mul_f64 v[108:109], v[98:99], v[226:227]
	s_waitcnt vmcnt(13)
	v_fmac_f64_e32 v[108:109], v[100:101], v[228:229]
	v_add_f64 v[114:115], v[106:107], v[108:109]
	ds_read_b128 v[106:109], v1 offset:1584
	buffer_load_dword v244, off, s[0:3], 0 offset:816
	buffer_load_dword v241, off, s[0:3], 0 offset:828
	;; [unrolled: 1-line block ×3, first 2 shown]
	s_waitcnt vmcnt(13) lgkmcnt(2)
	v_mul_f64 v[116:117], v[102:103], v[230:231]
	s_waitcnt vmcnt(11)
	v_fmac_f64_e32 v[116:117], v[104:105], v[236:237]
	v_add_f64 v[114:115], v[114:115], v[116:117]
	s_waitcnt vmcnt(10) lgkmcnt(0)
	v_mul_f64 v[116:117], v[106:107], v[224:225]
	s_waitcnt vmcnt(8)
	v_fmac_f64_e32 v[116:117], v[108:109], v[234:235]
	v_add_f64 v[114:115], v[114:115], v[116:117]
	s_waitcnt vmcnt(6)
	v_mul_f64 v[116:117], v[110:111], v[232:233]
	s_waitcnt vmcnt(4)
	v_fmac_f64_e32 v[116:117], v[112:113], v[238:239]
	v_add_f64 v[242:243], v[114:115], v[116:117]
	ds_read_b128 v[114:117], v1 offset:1616
	buffer_load_dword v248, off, s[0:3], 0 offset:256
	buffer_load_dword v249, off, s[0:3], 0 offset:260
	v_add_f64 v[2:3], v[2:3], v[4:5]
	v_mul_f64 v[4:5], v[20:21], v[132:133]
	v_fma_f64 v[4:5], v[18:19], v[134:135], -v[4:5]
	v_add_f64 v[2:3], v[2:3], v[4:5]
	v_mul_f64 v[4:5], v[24:25], v[146:147]
	v_fma_f64 v[4:5], v[22:23], v[148:149], -v[4:5]
	;; [unrolled: 3-line block ×22, first 2 shown]
	v_add_f64 v[2:3], v[2:3], v[4:5]
	s_waitcnt vmcnt(3) lgkmcnt(0)
	v_mul_f64 v[246:247], v[114:115], v[240:241]
	s_waitcnt vmcnt(2)
	v_fmac_f64_e32 v[246:247], v[116:117], v[244:245]
	v_add_f64 v[242:243], v[242:243], v[246:247]
	buffer_load_dword v246, off, s[0:3], 0 offset:264
	buffer_load_dword v247, off, s[0:3], 0 offset:268
	v_mul_f64 v[4:5], v[108:109], v[224:225]
	v_fma_f64 v[4:5], v[106:107], v[234:235], -v[4:5]
	v_add_f64 v[2:3], v[2:3], v[4:5]
	v_mul_f64 v[4:5], v[112:113], v[232:233]
	v_fma_f64 v[4:5], v[110:111], v[238:239], -v[4:5]
	v_add_f64 v[2:3], v[2:3], v[4:5]
	;; [unrolled: 3-line block ×3, first 2 shown]
	s_waitcnt vmcnt(2)
	v_add_f64 v[2:3], v[248:249], -v[2:3]
	s_waitcnt vmcnt(0)
	v_add_f64 v[4:5], v[246:247], -v[242:243]
	buffer_store_dword v3, off, s[0:3], 0 offset:260
	buffer_store_dword v2, off, s[0:3], 0 offset:256
	;; [unrolled: 1-line block ×4, first 2 shown]
	s_and_saveexec_b64 s[4:5], vcc
	s_cbranch_execz .LBB50_291
; %bb.290:
	v_accvgpr_read_b32 v0, a138
	buffer_load_dword v2, v0, s[0:3], 0 offen
	buffer_load_dword v3, v0, s[0:3], 0 offen offset:4
	buffer_load_dword v4, v0, s[0:3], 0 offen offset:8
	;; [unrolled: 1-line block ×3, first 2 shown]
	v_accvgpr_read_b32 v0, a153
	buffer_store_dword v1, off, s[0:3], 0 offset:240
	buffer_store_dword v1, off, s[0:3], 0 offset:244
	;; [unrolled: 1-line block ×4, first 2 shown]
	s_waitcnt vmcnt(4)
	ds_write_b128 v0, v[2:5]
.LBB50_291:
	s_or_b64 exec, exec, s[4:5]
	s_waitcnt lgkmcnt(0)
	; wave barrier
	s_waitcnt lgkmcnt(0)
	buffer_load_dword v84, off, s[0:3], 0 offset:256
	buffer_load_dword v85, off, s[0:3], 0 offset:260
	buffer_load_dword v106, off, s[0:3], 0 offset:264
	buffer_load_dword v107, off, s[0:3], 0 offset:268
	buffer_load_dword v82, off, s[0:3], 0 offset:272
	buffer_load_dword v83, off, s[0:3], 0 offset:276
	buffer_load_dword v96, off, s[0:3], 0 offset:280
	buffer_load_dword v97, off, s[0:3], 0 offset:284
	buffer_load_dword v94, off, s[0:3], 0 offset:296
	buffer_load_dword v95, off, s[0:3], 0 offset:300
	buffer_load_dword v109, off, s[0:3], 0 offset:332
	buffer_load_dword v108, off, s[0:3], 0 offset:328
	buffer_load_dword v115, off, s[0:3], 0 offset:324
	buffer_load_dword v114, off, s[0:3], 0 offset:320
	buffer_load_dword v117, off, s[0:3], 0 offset:316
	buffer_load_dword v116, off, s[0:3], 0 offset:312
	buffer_load_dword v241, off, s[0:3], 0 offset:364
	buffer_load_dword v240, off, s[0:3], 0 offset:360
	buffer_load_dword v242, off, s[0:3], 0 offset:352
	buffer_load_dword v245, off, s[0:3], 0 offset:348
	buffer_load_dword v244, off, s[0:3], 0 offset:344
	buffer_load_dword v121, off, s[0:3], 0 offset:380
	buffer_load_dword v120, off, s[0:3], 0 offset:376
	buffer_load_dword v250, off, s[0:3], 0 offset:288
	buffer_load_dword v251, off, s[0:3], 0 offset:292
	buffer_load_dword v249, off, s[0:3], 0 offset:308
	buffer_load_dword v248, off, s[0:3], 0 offset:304
	buffer_load_dword v247, off, s[0:3], 0 offset:340
	buffer_load_dword v246, off, s[0:3], 0 offset:336
	buffer_load_dword v243, off, s[0:3], 0 offset:356
	buffer_load_dword v122, off, s[0:3], 0 offset:392
	buffer_load_dword v124, off, s[0:3], 0 offset:384
	buffer_load_dword v125, off, s[0:3], 0 offset:388
	buffer_load_dword v123, off, s[0:3], 0 offset:396
	ds_read_b128 v[74:77], v1 offset:1056
	ds_read_b128 v[78:81], v1 offset:1072
	;; [unrolled: 1-line block ×8, first 2 shown]
	buffer_load_dword v127, off, s[0:3], 0 offset:372
	buffer_load_dword v126, off, s[0:3], 0 offset:368
	ds_read_b128 v[6:9], v1 offset:1184
	buffer_load_dword v129, off, s[0:3], 0 offset:428
	buffer_load_dword v128, off, s[0:3], 0 offset:424
	;; [unrolled: 1-line block ×80, first 2 shown]
	s_waitcnt vmcnt(62) lgkmcnt(8)
	v_mul_f64 v[10:11], v[74:75], v[106:107]
	v_fmac_f64_e32 v[10:11], v[76:77], v[84:85]
	v_add_f64 v[10:11], v[10:11], 0
	v_mul_f64 v[76:77], v[76:77], v[106:107]
	s_waitcnt lgkmcnt(7)
	v_mul_f64 v[12:13], v[78:79], v[96:97]
	v_fmac_f64_e32 v[12:13], v[80:81], v[82:83]
	s_waitcnt lgkmcnt(6)
	v_mul_f64 v[14:15], v[86:87], v[94:95]
	v_add_f64 v[10:11], v[10:11], v[12:13]
	s_waitcnt lgkmcnt(4)
	v_mul_f64 v[18:19], v[98:99], v[108:109]
	v_fma_f64 v[212:213], v[74:75], v[84:85], -v[76:77]
	v_fmac_f64_e32 v[18:19], v[100:101], v[114:115]
	v_mul_f64 v[80:81], v[80:81], v[96:97]
	v_mul_f64 v[16:17], v[90:91], v[116:117]
	v_fma_f64 v[214:215], v[78:79], v[82:83], -v[80:81]
	s_waitcnt lgkmcnt(2)
	v_mul_f64 v[22:23], v[110:111], v[240:241]
	v_mul_f64 v[100:101], v[100:101], v[108:109]
	v_fma_f64 v[218:219], v[98:99], v[114:115], -v[100:101]
	v_mul_f64 v[20:21], v[102:103], v[244:245]
	v_add_f64 v[212:213], v[212:213], 0
	s_waitcnt lgkmcnt(1)
	v_mul_f64 v[24:25], v[2:3], v[120:121]
	v_add_f64 v[212:213], v[212:213], v[214:215]
	v_fmac_f64_e32 v[14:15], v[88:89], v[250:251]
	v_add_f64 v[10:11], v[10:11], v[14:15]
	v_fmac_f64_e32 v[16:17], v[92:93], v[248:249]
	;; [unrolled: 2-line block ×4, first 2 shown]
	v_add_f64 v[10:11], v[10:11], v[20:21]
	v_add_f64 v[10:11], v[10:11], v[22:23]
	s_waitcnt lgkmcnt(0)
	v_mul_f64 v[16:17], v[6:7], v[122:123]
	v_fmac_f64_e32 v[16:17], v[8:9], v[124:125]
	v_fmac_f64_e32 v[24:25], v[4:5], v[126:127]
	v_add_f64 v[14:15], v[10:11], v[24:25]
	ds_read_b128 v[10:13], v1 offset:1200
	v_add_f64 v[18:19], v[14:15], v[16:17]
	ds_read_b128 v[14:17], v1 offset:1216
	v_mul_f64 v[88:89], v[88:89], v[94:95]
	v_mul_f64 v[92:93], v[92:93], v[116:117]
	s_waitcnt lgkmcnt(1)
	v_mul_f64 v[20:21], v[10:11], v[132:133]
	v_fmac_f64_e32 v[20:21], v[12:13], v[134:135]
	s_waitcnt lgkmcnt(0)
	v_mul_f64 v[24:25], v[14:15], v[128:129]
	v_add_f64 v[22:23], v[18:19], v[20:21]
	ds_read_b128 v[18:21], v1 offset:1232
	v_fmac_f64_e32 v[24:25], v[16:17], v[130:131]
	v_add_f64 v[26:27], v[22:23], v[24:25]
	ds_read_b128 v[22:25], v1 offset:1248
	v_fma_f64 v[216:217], v[90:91], v[248:249], -v[92:93]
	s_waitcnt lgkmcnt(1)
	v_mul_f64 v[28:29], v[18:19], v[144:145]
	v_fmac_f64_e32 v[28:29], v[20:21], v[146:147]
	v_add_f64 v[30:31], v[26:27], v[28:29]
	s_waitcnt lgkmcnt(0)
	v_mul_f64 v[32:33], v[22:23], v[136:137]
	ds_read_b128 v[26:29], v1 offset:1264
	v_fmac_f64_e32 v[32:33], v[24:25], v[138:139]
	v_add_f64 v[34:35], v[30:31], v[32:33]
	ds_read_b128 v[30:33], v1 offset:1280
	v_mul_f64 v[104:105], v[104:105], v[244:245]
	s_waitcnt vmcnt(58) lgkmcnt(1)
	v_mul_f64 v[36:37], v[26:27], v[160:161]
	s_waitcnt vmcnt(56)
	v_fmac_f64_e32 v[36:37], v[28:29], v[164:165]
	v_add_f64 v[38:39], v[34:35], v[36:37]
	s_waitcnt lgkmcnt(0)
	v_mul_f64 v[40:41], v[30:31], v[140:141]
	ds_read_b128 v[34:37], v1 offset:1296
	v_fmac_f64_e32 v[40:41], v[32:33], v[142:143]
	v_add_f64 v[42:43], v[38:39], v[40:41]
	ds_read_b128 v[38:41], v1 offset:1312
	v_mul_f64 v[112:113], v[112:113], v[240:241]
	s_waitcnt vmcnt(50) lgkmcnt(1)
	v_mul_f64 v[44:45], v[34:35], v[168:169]
	s_waitcnt vmcnt(48)
	v_fmac_f64_e32 v[44:45], v[36:37], v[172:173]
	v_add_f64 v[46:47], v[42:43], v[44:45]
	s_waitcnt lgkmcnt(0)
	v_mul_f64 v[48:49], v[38:39], v[148:149]
	v_fmac_f64_e32 v[48:49], v[40:41], v[150:151]
	ds_read_b128 v[42:45], v1 offset:1328
	v_add_f64 v[50:51], v[46:47], v[48:49]
	ds_read_b128 v[46:49], v1 offset:1344
	buffer_load_dword v209, off, s[0:3], 0 offset:748
	buffer_load_dword v211, off, s[0:3], 0 offset:732
	;; [unrolled: 1-line block ×12, first 2 shown]
	v_fma_f64 v[252:253], v[110:111], v[242:243], -v[112:113]
	s_waitcnt vmcnt(54) lgkmcnt(1)
	v_mul_f64 v[52:53], v[42:43], v[176:177]
	s_waitcnt vmcnt(52)
	v_fmac_f64_e32 v[52:53], v[44:45], v[180:181]
	v_add_f64 v[54:55], v[50:51], v[52:53]
	ds_read_b128 v[50:53], v1 offset:1360
	s_waitcnt lgkmcnt(1)
	v_mul_f64 v[56:57], v[46:47], v[152:153]
	v_fmac_f64_e32 v[56:57], v[48:49], v[154:155]
	buffer_load_dword v231, off, s[0:3], 0 offset:780
	buffer_load_dword v230, off, s[0:3], 0 offset:776
	;; [unrolled: 1-line block ×12, first 2 shown]
	v_add_f64 v[58:59], v[54:55], v[56:57]
	ds_read_b128 v[54:57], v1 offset:1376
	s_waitcnt vmcnt(58) lgkmcnt(1)
	v_mul_f64 v[60:61], v[50:51], v[184:185]
	s_waitcnt vmcnt(56)
	v_fmac_f64_e32 v[60:61], v[52:53], v[188:189]
	v_add_f64 v[62:63], v[58:59], v[60:61]
	ds_read_b128 v[58:61], v1 offset:1392
	s_waitcnt lgkmcnt(1)
	v_mul_f64 v[64:65], v[54:55], v[156:157]
	v_fmac_f64_e32 v[64:65], v[56:57], v[158:159]
	v_add_f64 v[70:71], v[62:63], v[64:65]
	ds_read_b128 v[62:65], v1 offset:1408
	ds_read_b128 v[66:69], v1 offset:1424
	s_waitcnt vmcnt(50) lgkmcnt(2)
	v_mul_f64 v[72:73], v[58:59], v[192:193]
	s_waitcnt vmcnt(48)
	v_fmac_f64_e32 v[72:73], v[60:61], v[194:195]
	v_add_f64 v[70:71], v[70:71], v[72:73]
	s_waitcnt lgkmcnt(1)
	v_mul_f64 v[72:73], v[62:63], v[162:163]
	v_fmac_f64_e32 v[72:73], v[64:65], v[166:167]
	v_add_f64 v[70:71], v[70:71], v[72:73]
	s_waitcnt vmcnt(42) lgkmcnt(0)
	v_mul_f64 v[72:73], v[66:67], v[196:197]
	s_waitcnt vmcnt(40)
	v_fmac_f64_e32 v[72:73], v[68:69], v[198:199]
	v_add_f64 v[118:119], v[70:71], v[72:73]
	ds_read_b128 v[70:73], v1 offset:1440
	ds_read_b128 v[74:77], v1 offset:1456
	;; [unrolled: 1-line block ×5, first 2 shown]
	s_waitcnt lgkmcnt(4)
	v_mul_f64 v[84:85], v[70:71], v[170:171]
	v_fmac_f64_e32 v[84:85], v[72:73], v[174:175]
	v_add_f64 v[82:83], v[118:119], v[84:85]
	s_waitcnt vmcnt(34) lgkmcnt(3)
	v_mul_f64 v[84:85], v[74:75], v[200:201]
	s_waitcnt vmcnt(32)
	v_fmac_f64_e32 v[84:85], v[76:77], v[202:203]
	v_add_f64 v[82:83], v[82:83], v[84:85]
	v_fma_f64 v[118:119], v[86:87], v[250:251], -v[88:89]
	ds_read_b128 v[86:89], v1 offset:1504
	s_waitcnt lgkmcnt(3)
	v_mul_f64 v[84:85], v[78:79], v[178:179]
	v_fmac_f64_e32 v[84:85], v[80:81], v[182:183]
	v_add_f64 v[96:97], v[82:83], v[84:85]
	ds_read_b128 v[82:85], v1 offset:1488
	v_fma_f64 v[250:251], v[102:103], v[246:247], -v[104:105]
	ds_read_b128 v[110:113], v1 offset:1600
	v_add_f64 v[118:119], v[212:213], v[118:119]
	v_add_f64 v[118:119], v[118:119], v[216:217]
	s_waitcnt vmcnt(26) lgkmcnt(1)
	v_mul_f64 v[94:95], v[82:83], v[204:205]
	s_waitcnt vmcnt(24)
	v_fmac_f64_e32 v[94:95], v[84:85], v[206:207]
	v_add_f64 v[94:95], v[96:97], v[94:95]
	v_mul_f64 v[96:97], v[86:87], v[186:187]
	v_fmac_f64_e32 v[96:97], v[88:89], v[190:191]
	v_add_f64 v[106:107], v[94:95], v[96:97]
	ds_read_b128 v[94:97], v1 offset:1536
	v_add_f64 v[254:255], v[118:119], v[218:219]
	v_add_f64 v[118:119], v[254:255], v[250:251]
	v_mul_f64 v[4:5], v[4:5], v[120:121]
	v_add_f64 v[118:119], v[118:119], v[252:253]
	ds_read_b128 v[102:105], v1 offset:1584
	v_fma_f64 v[2:3], v[2:3], v[126:127], -v[4:5]
	v_mul_f64 v[4:5], v[8:9], v[122:123]
	v_add_f64 v[2:3], v[118:119], v[2:3]
	v_fma_f64 v[4:5], v[6:7], v[124:125], -v[4:5]
	v_add_f64 v[2:3], v[2:3], v[4:5]
	v_mul_f64 v[4:5], v[12:13], v[132:133]
	v_fma_f64 v[4:5], v[10:11], v[134:135], -v[4:5]
	v_add_f64 v[2:3], v[2:3], v[4:5]
	v_mul_f64 v[4:5], v[16:17], v[128:129]
	s_waitcnt vmcnt(21)
	v_mul_f64 v[108:109], v[90:91], v[210:211]
	v_fma_f64 v[4:5], v[14:15], v[130:131], -v[4:5]
	s_waitcnt vmcnt(19)
	v_fmac_f64_e32 v[108:109], v[92:93], v[224:225]
	v_add_f64 v[106:107], v[106:107], v[108:109]
	s_waitcnt vmcnt(18) lgkmcnt(1)
	v_mul_f64 v[108:109], v[94:95], v[208:209]
	s_waitcnt vmcnt(16)
	v_fmac_f64_e32 v[108:109], v[96:97], v[222:223]
	v_add_f64 v[114:115], v[106:107], v[108:109]
	ds_read_b128 v[106:109], v1 offset:1568
	buffer_load_dword v243, off, s[0:3], 0 offset:828
	buffer_load_dword v242, off, s[0:3], 0 offset:824
	;; [unrolled: 1-line block ×4, first 2 shown]
	s_waitcnt vmcnt(18)
	v_mul_f64 v[116:117], v[98:99], v[220:221]
	s_waitcnt vmcnt(16)
	v_fmac_f64_e32 v[116:117], v[100:101], v[226:227]
	v_add_f64 v[114:115], v[114:115], v[116:117]
	s_waitcnt vmcnt(14) lgkmcnt(0)
	v_mul_f64 v[116:117], v[106:107], v[230:231]
	s_waitcnt vmcnt(12)
	v_fmac_f64_e32 v[116:117], v[108:109], v[232:233]
	v_add_f64 v[114:115], v[114:115], v[116:117]
	s_waitcnt vmcnt(9)
	v_mul_f64 v[116:117], v[102:103], v[236:237]
	s_waitcnt vmcnt(7)
	v_fmac_f64_e32 v[116:117], v[104:105], v[238:239]
	v_add_f64 v[114:115], v[114:115], v[116:117]
	s_waitcnt vmcnt(5)
	v_mul_f64 v[116:117], v[110:111], v[228:229]
	s_waitcnt vmcnt(4)
	v_fmac_f64_e32 v[116:117], v[112:113], v[234:235]
	v_add_f64 v[240:241], v[114:115], v[116:117]
	ds_read_b128 v[114:117], v1 offset:1616
	v_add_f64 v[2:3], v[2:3], v[4:5]
	v_mul_f64 v[4:5], v[20:21], v[144:145]
	v_fma_f64 v[4:5], v[18:19], v[146:147], -v[4:5]
	v_add_f64 v[2:3], v[2:3], v[4:5]
	v_mul_f64 v[4:5], v[24:25], v[136:137]
	v_fma_f64 v[4:5], v[22:23], v[138:139], -v[4:5]
	;; [unrolled: 3-line block ×21, first 2 shown]
	v_add_f64 v[2:3], v[2:3], v[4:5]
	s_waitcnt vmcnt(2) lgkmcnt(0)
	v_mul_f64 v[246:247], v[114:115], v[242:243]
	v_mul_f64 v[4:5], v[108:109], v[230:231]
	s_waitcnt vmcnt(0)
	v_fmac_f64_e32 v[246:247], v[116:117], v[244:245]
	v_add_f64 v[240:241], v[240:241], v[246:247]
	buffer_load_dword v248, off, s[0:3], 0 offset:240
	buffer_load_dword v249, off, s[0:3], 0 offset:244
	;; [unrolled: 1-line block ×4, first 2 shown]
	v_fma_f64 v[4:5], v[106:107], v[232:233], -v[4:5]
	v_add_f64 v[2:3], v[2:3], v[4:5]
	v_mul_f64 v[4:5], v[104:105], v[236:237]
	v_fma_f64 v[4:5], v[102:103], v[238:239], -v[4:5]
	v_add_f64 v[2:3], v[2:3], v[4:5]
	v_mul_f64 v[4:5], v[112:113], v[228:229]
	;; [unrolled: 3-line block ×3, first 2 shown]
	v_fma_f64 v[4:5], v[114:115], v[244:245], -v[4:5]
	v_add_f64 v[2:3], v[2:3], v[4:5]
	v_accvgpr_read_b32 v254, a152
	v_cmp_lt_u32_e32 vcc, 13, v254
	s_waitcnt vmcnt(2)
	v_add_f64 v[2:3], v[248:249], -v[2:3]
	s_waitcnt vmcnt(0)
	v_add_f64 v[4:5], v[246:247], -v[240:241]
	buffer_store_dword v3, off, s[0:3], 0 offset:244
	buffer_store_dword v2, off, s[0:3], 0 offset:240
	;; [unrolled: 1-line block ×4, first 2 shown]
	s_and_saveexec_b64 s[4:5], vcc
	s_cbranch_execz .LBB50_293
; %bb.292:
	v_accvgpr_read_b32 v0, a139
	buffer_load_dword v2, v0, s[0:3], 0 offen
	buffer_load_dword v3, v0, s[0:3], 0 offen offset:4
	buffer_load_dword v4, v0, s[0:3], 0 offen offset:8
	;; [unrolled: 1-line block ×3, first 2 shown]
	v_mov_b32_e32 v0, 0
	v_accvgpr_read_b32 v1, a153
	buffer_store_dword v0, off, s[0:3], 0 offset:224
	buffer_store_dword v0, off, s[0:3], 0 offset:228
	;; [unrolled: 1-line block ×4, first 2 shown]
	s_waitcnt vmcnt(4)
	ds_write_b128 v1, v[2:5]
.LBB50_293:
	s_or_b64 exec, exec, s[4:5]
	s_waitcnt lgkmcnt(0)
	; wave barrier
	s_waitcnt lgkmcnt(0)
	buffer_load_dword v66, off, s[0:3], 0 offset:240
	buffer_load_dword v67, off, s[0:3], 0 offset:244
	;; [unrolled: 1-line block ×55, first 2 shown]
	v_mov_b32_e32 v1, 0
	ds_read_b128 v[74:77], v1 offset:1040
	ds_read_b128 v[86:89], v1 offset:1056
	;; [unrolled: 1-line block ×9, first 2 shown]
	buffer_load_dword v138, off, s[0:3], 0 offset:464
	buffer_load_dword v157, off, s[0:3], 0 offset:460
	;; [unrolled: 1-line block ×61, first 2 shown]
	v_cmp_lt_u32_e32 vcc, 12, v254
	s_waitcnt vmcnt(62) lgkmcnt(8)
	v_mul_f64 v[6:7], v[74:75], v[68:69]
	v_fmac_f64_e32 v[6:7], v[76:77], v[66:67]
	v_add_f64 v[6:7], v[6:7], 0
	v_mul_f64 v[68:69], v[76:77], v[68:69]
	s_waitcnt lgkmcnt(7)
	v_mul_f64 v[8:9], v[86:87], v[72:73]
	v_fmac_f64_e32 v[8:9], v[88:89], v[70:71]
	s_waitcnt lgkmcnt(6)
	v_mul_f64 v[10:11], v[98:99], v[78:79]
	v_add_f64 v[6:7], v[6:7], v[8:9]
	s_waitcnt lgkmcnt(4)
	v_mul_f64 v[14:15], v[114:115], v[90:91]
	v_fma_f64 v[212:213], v[74:75], v[66:67], -v[68:69]
	v_fmac_f64_e32 v[14:15], v[116:117], v[92:93]
	v_mul_f64 v[72:73], v[88:89], v[72:73]
	v_mul_f64 v[12:13], v[110:111], v[82:83]
	;; [unrolled: 1-line block ×3, first 2 shown]
	s_waitcnt lgkmcnt(2)
	v_mul_f64 v[18:19], v[244:245], v[102:103]
	v_mul_f64 v[82:83], v[112:113], v[82:83]
	;; [unrolled: 1-line block ×4, first 2 shown]
	v_fma_f64 v[218:219], v[114:115], v[92:93], -v[90:91]
	s_waitcnt lgkmcnt(1)
	v_mul_f64 v[20:21], v[248:249], v[106:107]
	v_fmac_f64_e32 v[20:21], v[250:251], v[108:109]
	v_fmac_f64_e32 v[10:11], v[100:101], v[80:81]
	v_add_f64 v[6:7], v[6:7], v[10:11]
	v_fmac_f64_e32 v[12:13], v[112:113], v[84:85]
	v_add_f64 v[6:7], v[6:7], v[12:13]
	v_fmac_f64_e32 v[16:17], v[242:243], v[96:97]
	v_add_f64 v[6:7], v[6:7], v[14:15]
	v_fmac_f64_e32 v[18:19], v[246:247], v[104:105]
	v_add_f64 v[6:7], v[6:7], v[16:17]
	v_add_f64 v[6:7], v[6:7], v[18:19]
	v_add_f64 v[10:11], v[6:7], v[20:21]
	ds_read_b128 v[6:9], v1 offset:1184
	s_waitcnt lgkmcnt(1)
	v_mul_f64 v[12:13], v[2:3], v[120:121]
	v_fmac_f64_e32 v[12:13], v[4:5], v[122:123]
	v_add_f64 v[14:15], v[10:11], v[12:13]
	ds_read_b128 v[10:13], v1 offset:1200
	s_waitcnt lgkmcnt(1)
	v_mul_f64 v[16:17], v[6:7], v[128:129]
	v_fmac_f64_e32 v[16:17], v[8:9], v[130:131]
	;; [unrolled: 5-line block ×5, first 2 shown]
	v_add_f64 v[30:31], v[26:27], v[28:29]
	ds_read_b128 v[26:29], v1 offset:1264
	s_waitcnt vmcnt(58) lgkmcnt(1)
	v_mul_f64 v[32:33], v[22:23], v[156:157]
	s_waitcnt vmcnt(56)
	v_fmac_f64_e32 v[32:33], v[24:25], v[160:161]
	v_add_f64 v[34:35], v[30:31], v[32:33]
	ds_read_b128 v[30:33], v1 offset:1280
	s_waitcnt lgkmcnt(1)
	v_mul_f64 v[36:37], v[26:27], v[136:137]
	v_fmac_f64_e32 v[36:37], v[28:29], v[138:139]
	v_add_f64 v[38:39], v[34:35], v[36:37]
	ds_read_b128 v[34:37], v1 offset:1296
	s_waitcnt vmcnt(50) lgkmcnt(1)
	v_mul_f64 v[40:41], v[30:31], v[164:165]
	s_waitcnt vmcnt(48)
	v_fmac_f64_e32 v[40:41], v[32:33], v[168:169]
	v_add_f64 v[42:43], v[38:39], v[40:41]
	ds_read_b128 v[38:41], v1 offset:1312
	s_waitcnt lgkmcnt(1)
	v_mul_f64 v[44:45], v[34:35], v[144:145]
	v_fmac_f64_e32 v[44:45], v[36:37], v[146:147]
	v_add_f64 v[46:47], v[42:43], v[44:45]
	ds_read_b128 v[42:45], v1 offset:1328
	s_waitcnt vmcnt(42) lgkmcnt(1)
	v_mul_f64 v[48:49], v[38:39], v[172:173]
	s_waitcnt vmcnt(40)
	v_fmac_f64_e32 v[48:49], v[40:41], v[176:177]
	v_add_f64 v[50:51], v[46:47], v[48:49]
	ds_read_b128 v[46:49], v1 offset:1344
	buffer_load_dword v205, off, s[0:3], 0 offset:716
	buffer_load_dword v204, off, s[0:3], 0 offset:712
	;; [unrolled: 1-line block ×4, first 2 shown]
	s_waitcnt lgkmcnt(1)
	v_mul_f64 v[52:53], v[42:43], v[148:149]
	v_fmac_f64_e32 v[52:53], v[44:45], v[150:151]
	v_add_f64 v[54:55], v[50:51], v[52:53]
	ds_read_b128 v[50:53], v1 offset:1360
	buffer_load_dword v209, off, s[0:3], 0 offset:732
	buffer_load_dword v208, off, s[0:3], 0 offset:728
	;; [unrolled: 1-line block ×8, first 2 shown]
	s_waitcnt vmcnt(46) lgkmcnt(1)
	v_mul_f64 v[56:57], v[46:47], v[180:181]
	s_waitcnt vmcnt(44)
	v_fmac_f64_e32 v[56:57], v[48:49], v[184:185]
	v_add_f64 v[58:59], v[54:55], v[56:57]
	ds_read_b128 v[54:57], v1 offset:1376
	buffer_load_dword v227, off, s[0:3], 0 offset:764
	buffer_load_dword v226, off, s[0:3], 0 offset:760
	;; [unrolled: 1-line block ×12, first 2 shown]
	s_waitcnt lgkmcnt(1)
	v_mul_f64 v[60:61], v[50:51], v[152:153]
	v_fmac_f64_e32 v[60:61], v[52:53], v[154:155]
	v_add_f64 v[62:63], v[58:59], v[60:61]
	ds_read_b128 v[58:61], v1 offset:1392
	s_waitcnt vmcnt(50) lgkmcnt(1)
	v_mul_f64 v[64:65], v[54:55], v[188:189]
	s_waitcnt vmcnt(48)
	v_fmac_f64_e32 v[64:65], v[56:57], v[190:191]
	v_add_f64 v[62:63], v[62:63], v[64:65]
	buffer_load_dword v237, off, s[0:3], 0 offset:812
	buffer_load_dword v236, off, s[0:3], 0 offset:808
	;; [unrolled: 1-line block ×4, first 2 shown]
	s_waitcnt lgkmcnt(0)
	v_mul_f64 v[64:65], v[58:59], v[158:159]
	v_fmac_f64_e32 v[64:65], v[60:61], v[162:163]
	v_add_f64 v[118:119], v[62:63], v[64:65]
	ds_read_b128 v[62:65], v1 offset:1408
	ds_read_b128 v[66:69], v1 offset:1424
	v_fma_f64 v[214:215], v[98:99], v[80:81], -v[78:79]
	ds_read_b128 v[78:81], v1 offset:1472
	v_fma_f64 v[216:217], v[110:111], v[84:85], -v[82:83]
	ds_read_b128 v[82:85], v1 offset:1488
	s_waitcnt vmcnt(46) lgkmcnt(3)
	v_mul_f64 v[74:75], v[62:63], v[192:193]
	s_waitcnt vmcnt(44)
	v_fmac_f64_e32 v[74:75], v[64:65], v[194:195]
	v_add_f64 v[74:75], v[118:119], v[74:75]
	v_fma_f64 v[118:119], v[86:87], v[70:71], -v[72:73]
	ds_read_b128 v[70:73], v1 offset:1440
	s_waitcnt lgkmcnt(3)
	v_mul_f64 v[76:77], v[66:67], v[166:167]
	v_fmac_f64_e32 v[76:77], v[68:69], v[170:171]
	v_add_f64 v[86:87], v[74:75], v[76:77]
	ds_read_b128 v[74:77], v1 offset:1456
	s_waitcnt vmcnt(38) lgkmcnt(1)
	v_mul_f64 v[88:89], v[70:71], v[196:197]
	s_waitcnt vmcnt(36)
	v_fmac_f64_e32 v[88:89], v[72:73], v[198:199]
	v_add_f64 v[86:87], v[86:87], v[88:89]
	ds_read_b128 v[90:93], v1 offset:1520
	s_waitcnt lgkmcnt(1)
	v_mul_f64 v[88:89], v[74:75], v[174:175]
	v_fmac_f64_e32 v[88:89], v[76:77], v[178:179]
	v_add_f64 v[86:87], v[86:87], v[88:89]
	s_waitcnt vmcnt(30)
	v_mul_f64 v[88:89], v[78:79], v[200:201]
	s_waitcnt vmcnt(28)
	v_fmac_f64_e32 v[88:89], v[80:81], v[202:203]
	v_add_f64 v[86:87], v[86:87], v[88:89]
	v_mul_f64 v[88:89], v[82:83], v[182:183]
	v_fmac_f64_e32 v[88:89], v[84:85], v[186:187]
	v_add_f64 v[98:99], v[86:87], v[88:89]
	ds_read_b128 v[86:89], v1 offset:1504
	v_mul_f64 v[94:95], v[242:243], v[94:95]
	v_fma_f64 v[252:253], v[240:241], v[96:97], -v[94:95]
	ds_read_b128 v[94:97], v1 offset:1536
	v_mul_f64 v[102:103], v[246:247], v[102:103]
	v_fma_f64 v[246:247], v[244:245], v[104:105], -v[102:103]
	ds_read_b128 v[102:105], v1 offset:1568
	v_mul_f64 v[106:107], v[250:251], v[106:107]
	v_fma_f64 v[250:251], v[248:249], v[108:109], -v[106:107]
	v_add_f64 v[212:213], v[212:213], 0
	v_add_f64 v[118:119], v[212:213], v[118:119]
	;; [unrolled: 1-line block ×7, first 2 shown]
	v_mul_f64 v[4:5], v[4:5], v[120:121]
	v_add_f64 v[118:119], v[252:253], v[250:251]
	v_fma_f64 v[2:3], v[2:3], v[122:123], -v[4:5]
	v_mul_f64 v[4:5], v[8:9], v[128:129]
	v_add_f64 v[2:3], v[118:119], v[2:3]
	v_fma_f64 v[4:5], v[6:7], v[130:131], -v[4:5]
	v_add_f64 v[2:3], v[2:3], v[4:5]
	ds_read_b128 v[106:109], v1 offset:1584
	v_mul_f64 v[4:5], v[12:13], v[124:125]
	v_fma_f64 v[4:5], v[10:11], v[126:127], -v[4:5]
	v_add_f64 v[2:3], v[2:3], v[4:5]
	s_waitcnt vmcnt(26) lgkmcnt(3)
	v_mul_f64 v[100:101], v[86:87], v[204:205]
	v_mul_f64 v[4:5], v[16:17], v[140:141]
	s_waitcnt vmcnt(24)
	v_fmac_f64_e32 v[100:101], v[88:89], v[206:207]
	v_add_f64 v[98:99], v[98:99], v[100:101]
	s_waitcnt vmcnt(22)
	v_mul_f64 v[100:101], v[90:91], v[208:209]
	s_waitcnt vmcnt(20)
	v_fmac_f64_e32 v[100:101], v[92:93], v[220:221]
	v_add_f64 v[98:99], v[98:99], v[100:101]
	s_waitcnt vmcnt(18) lgkmcnt(2)
	v_mul_f64 v[100:101], v[94:95], v[210:211]
	s_waitcnt vmcnt(16)
	v_fmac_f64_e32 v[100:101], v[96:97], v[222:223]
	v_add_f64 v[110:111], v[98:99], v[100:101]
	ds_read_b128 v[98:101], v1 offset:1552
	v_fma_f64 v[4:5], v[14:15], v[142:143], -v[4:5]
	v_add_f64 v[2:3], v[2:3], v[4:5]
	v_mul_f64 v[4:5], v[20:21], v[132:133]
	v_fma_f64 v[4:5], v[18:19], v[134:135], -v[4:5]
	s_waitcnt vmcnt(14) lgkmcnt(0)
	v_mul_f64 v[112:113], v[98:99], v[226:227]
	s_waitcnt vmcnt(12)
	v_fmac_f64_e32 v[112:113], v[100:101], v[228:229]
	v_add_f64 v[110:111], v[110:111], v[112:113]
	s_waitcnt vmcnt(9)
	v_mul_f64 v[112:113], v[102:103], v[232:233]
	s_waitcnt vmcnt(7)
	v_fmac_f64_e32 v[112:113], v[104:105], v[234:235]
	v_add_f64 v[110:111], v[110:111], v[112:113]
	s_waitcnt vmcnt(5)
	v_mul_f64 v[112:113], v[106:107], v[224:225]
	s_waitcnt vmcnt(4)
	v_fmac_f64_e32 v[112:113], v[108:109], v[230:231]
	v_add_f64 v[114:115], v[110:111], v[112:113]
	ds_read_b128 v[110:113], v1 offset:1600
	buffer_load_dword v242, off, s[0:3], 0 offset:824
	buffer_load_dword v243, off, s[0:3], 0 offset:828
	;; [unrolled: 1-line block ×4, first 2 shown]
	v_add_f64 v[2:3], v[2:3], v[4:5]
	v_mul_f64 v[4:5], v[24:25], v[156:157]
	v_fma_f64 v[4:5], v[22:23], v[160:161], -v[4:5]
	s_waitcnt vmcnt(6) lgkmcnt(0)
	v_mul_f64 v[116:117], v[110:111], v[236:237]
	s_waitcnt vmcnt(4)
	v_fmac_f64_e32 v[116:117], v[112:113], v[238:239]
	v_add_f64 v[240:241], v[114:115], v[116:117]
	ds_read_b128 v[114:117], v1 offset:1616
	v_add_f64 v[2:3], v[2:3], v[4:5]
	v_mul_f64 v[4:5], v[28:29], v[136:137]
	v_fma_f64 v[4:5], v[26:27], v[138:139], -v[4:5]
	v_add_f64 v[2:3], v[2:3], v[4:5]
	v_mul_f64 v[4:5], v[32:33], v[164:165]
	v_fma_f64 v[4:5], v[30:31], v[168:169], -v[4:5]
	;; [unrolled: 3-line block ×22, first 2 shown]
	v_add_f64 v[2:3], v[2:3], v[4:5]
	s_waitcnt vmcnt(2) lgkmcnt(0)
	v_mul_f64 v[248:249], v[114:115], v[242:243]
	v_mul_f64 v[4:5], v[116:117], v[242:243]
	s_waitcnt vmcnt(0)
	v_fmac_f64_e32 v[248:249], v[116:117], v[244:245]
	v_add_f64 v[240:241], v[240:241], v[248:249]
	buffer_load_dword v248, off, s[0:3], 0 offset:224
	buffer_load_dword v249, off, s[0:3], 0 offset:228
	buffer_load_dword v246, off, s[0:3], 0 offset:232
	buffer_load_dword v247, off, s[0:3], 0 offset:236
	v_fma_f64 v[4:5], v[114:115], v[244:245], -v[4:5]
	v_add_f64 v[2:3], v[2:3], v[4:5]
	s_waitcnt vmcnt(2)
	v_add_f64 v[2:3], v[248:249], -v[2:3]
	s_waitcnt vmcnt(0)
	v_add_f64 v[4:5], v[246:247], -v[240:241]
	buffer_store_dword v3, off, s[0:3], 0 offset:228
	buffer_store_dword v2, off, s[0:3], 0 offset:224
	;; [unrolled: 1-line block ×4, first 2 shown]
	s_and_saveexec_b64 s[4:5], vcc
	s_cbranch_execz .LBB50_295
; %bb.294:
	v_accvgpr_read_b32 v0, a140
	buffer_load_dword v2, v0, s[0:3], 0 offen
	buffer_load_dword v3, v0, s[0:3], 0 offen offset:4
	buffer_load_dword v4, v0, s[0:3], 0 offen offset:8
	;; [unrolled: 1-line block ×3, first 2 shown]
	v_accvgpr_read_b32 v0, a153
	buffer_store_dword v1, off, s[0:3], 0 offset:208
	buffer_store_dword v1, off, s[0:3], 0 offset:212
	;; [unrolled: 1-line block ×4, first 2 shown]
	s_waitcnt vmcnt(4)
	ds_write_b128 v0, v[2:5]
.LBB50_295:
	s_or_b64 exec, exec, s[4:5]
	s_waitcnt lgkmcnt(0)
	; wave barrier
	s_waitcnt lgkmcnt(0)
	buffer_load_dword v66, off, s[0:3], 0 offset:224
	buffer_load_dword v67, off, s[0:3], 0 offset:228
	;; [unrolled: 1-line block ×42, first 2 shown]
	ds_read_b128 v[78:81], v1 offset:1024
	ds_read_b128 v[90:93], v1 offset:1040
	;; [unrolled: 1-line block ×10, first 2 shown]
	buffer_load_dword v131, off, s[0:3], 0 offset:372
	buffer_load_dword v130, off, s[0:3], 0 offset:368
	ds_read_b128 v[6:9], v1 offset:1184
	buffer_load_dword v127, off, s[0:3], 0 offset:428
	buffer_load_dword v126, off, s[0:3], 0 offset:424
	;; [unrolled: 1-line block ×80, first 2 shown]
	s_waitcnt vmcnt(62) lgkmcnt(10)
	v_mul_f64 v[10:11], v[78:79], v[68:69]
	v_fmac_f64_e32 v[10:11], v[80:81], v[66:67]
	v_add_f64 v[10:11], v[10:11], 0
	v_mul_f64 v[68:69], v[80:81], v[68:69]
	s_waitcnt lgkmcnt(9)
	v_mul_f64 v[12:13], v[90:91], v[64:65]
	v_fmac_f64_e32 v[12:13], v[92:93], v[62:63]
	s_waitcnt lgkmcnt(8)
	v_mul_f64 v[14:15], v[102:103], v[70:71]
	v_add_f64 v[10:11], v[10:11], v[12:13]
	s_waitcnt lgkmcnt(6)
	v_mul_f64 v[18:19], v[114:115], v[82:83]
	v_mul_f64 v[64:65], v[92:93], v[64:65]
	v_fmac_f64_e32 v[18:19], v[116:117], v[84:85]
	v_fma_f64 v[214:215], v[90:91], v[62:63], -v[64:65]
	v_mul_f64 v[16:17], v[110:111], v[74:75]
	v_fma_f64 v[212:213], v[78:79], v[66:67], -v[68:69]
	s_waitcnt lgkmcnt(4)
	v_mul_f64 v[22:23], v[244:245], v[94:95]
	v_mul_f64 v[70:71], v[104:105], v[70:71]
	v_fmac_f64_e32 v[22:23], v[246:247], v[96:97]
	v_mul_f64 v[74:75], v[112:113], v[74:75]
	v_mul_f64 v[20:21], v[240:241], v[86:87]
	;; [unrolled: 1-line block ×3, first 2 shown]
	s_waitcnt lgkmcnt(2)
	v_mul_f64 v[26:27], v[252:253], v[106:107]
	v_fma_f64 v[218:219], v[114:115], v[84:85], -v[82:83]
	v_mul_f64 v[86:87], v[242:243], v[86:87]
	v_mul_f64 v[24:25], v[248:249], v[98:99]
	;; [unrolled: 1-line block ×3, first 2 shown]
	s_waitcnt lgkmcnt(1)
	v_mul_f64 v[28:29], v[120:121], v[4:5]
	v_fma_f64 v[246:247], v[244:245], v[96:97], -v[94:95]
	v_fmac_f64_e32 v[14:15], v[104:105], v[72:73]
	v_add_f64 v[10:11], v[10:11], v[14:15]
	v_fmac_f64_e32 v[16:17], v[112:113], v[76:77]
	v_add_f64 v[10:11], v[10:11], v[16:17]
	;; [unrolled: 2-line block ×3, first 2 shown]
	v_add_f64 v[10:11], v[10:11], v[20:21]
	v_fmac_f64_e32 v[24:25], v[250:251], v[100:101]
	v_add_f64 v[10:11], v[10:11], v[22:23]
	v_fmac_f64_e32 v[26:27], v[254:255], v[108:109]
	v_add_f64 v[10:11], v[10:11], v[24:25]
	v_add_f64 v[10:11], v[10:11], v[26:27]
	s_waitcnt lgkmcnt(0)
	v_mul_f64 v[16:17], v[6:7], v[2:3]
	v_fmac_f64_e32 v[28:29], v[122:123], v[130:131]
	v_add_f64 v[14:15], v[10:11], v[28:29]
	ds_read_b128 v[10:13], v1 offset:1200
	v_fmac_f64_e32 v[16:17], v[8:9], v[124:125]
	v_add_f64 v[18:19], v[14:15], v[16:17]
	ds_read_b128 v[14:17], v1 offset:1216
	v_fma_f64 v[216:217], v[110:111], v[76:77], -v[74:75]
	s_waitcnt lgkmcnt(1)
	v_mul_f64 v[20:21], v[10:11], v[132:133]
	v_fmac_f64_e32 v[20:21], v[12:13], v[148:149]
	v_add_f64 v[22:23], v[18:19], v[20:21]
	ds_read_b128 v[18:21], v1 offset:1232
	s_waitcnt lgkmcnt(1)
	v_mul_f64 v[24:25], v[14:15], v[126:127]
	v_fmac_f64_e32 v[24:25], v[16:17], v[128:129]
	v_add_f64 v[26:27], v[22:23], v[24:25]
	ds_read_b128 v[22:25], v1 offset:1248
	;; [unrolled: 5-line block ×4, first 2 shown]
	s_waitcnt vmcnt(58) lgkmcnt(1)
	v_mul_f64 v[36:37], v[26:27], v[160:161]
	s_waitcnt vmcnt(56)
	v_fmac_f64_e32 v[36:37], v[28:29], v[164:165]
	v_add_f64 v[38:39], v[34:35], v[36:37]
	ds_read_b128 v[34:37], v1 offset:1296
	s_waitcnt lgkmcnt(1)
	v_mul_f64 v[40:41], v[30:31], v[138:139]
	v_fmac_f64_e32 v[40:41], v[32:33], v[140:141]
	v_add_f64 v[42:43], v[38:39], v[40:41]
	ds_read_b128 v[38:41], v1 offset:1312
	s_waitcnt vmcnt(50) lgkmcnt(1)
	v_mul_f64 v[44:45], v[34:35], v[168:169]
	s_waitcnt vmcnt(48)
	v_fmac_f64_e32 v[44:45], v[36:37], v[172:173]
	v_add_f64 v[46:47], v[42:43], v[44:45]
	ds_read_b128 v[42:45], v1 offset:1328
	s_waitcnt lgkmcnt(1)
	v_mul_f64 v[48:49], v[38:39], v[142:143]
	v_fmac_f64_e32 v[48:49], v[40:41], v[144:145]
	v_add_f64 v[50:51], v[46:47], v[48:49]
	ds_read_b128 v[46:49], v1 offset:1344
	s_waitcnt vmcnt(42) lgkmcnt(1)
	v_mul_f64 v[52:53], v[42:43], v[176:177]
	s_waitcnt vmcnt(40)
	v_fmac_f64_e32 v[52:53], v[44:45], v[180:181]
	v_add_f64 v[54:55], v[50:51], v[52:53]
	ds_read_b128 v[50:53], v1 offset:1360
	s_waitcnt lgkmcnt(1)
	v_mul_f64 v[56:57], v[46:47], v[146:147]
	buffer_load_dword v209, off, s[0:3], 0 offset:732
	buffer_load_dword v208, off, s[0:3], 0 offset:728
	;; [unrolled: 1-line block ×4, first 2 shown]
	v_fmac_f64_e32 v[56:57], v[48:49], v[150:151]
	v_add_f64 v[58:59], v[54:55], v[56:57]
	ds_read_b128 v[54:57], v1 offset:1376
	buffer_load_dword v222, off, s[0:3], 0 offset:744
	buffer_load_dword v224, off, s[0:3], 0 offset:736
	;; [unrolled: 1-line block ×16, first 2 shown]
	s_waitcnt vmcnt(54) lgkmcnt(1)
	v_mul_f64 v[60:61], v[50:51], v[184:185]
	s_waitcnt vmcnt(52)
	v_fmac_f64_e32 v[60:61], v[52:53], v[188:189]
	v_add_f64 v[118:119], v[58:59], v[60:61]
	ds_read_b128 v[58:61], v1 offset:1392
	buffer_load_dword v236, off, s[0:3], 0 offset:808
	buffer_load_dword v238, off, s[0:3], 0 offset:800
	;; [unrolled: 1-line block ×4, first 2 shown]
	ds_read_b128 v[62:65], v1 offset:1408
	s_waitcnt lgkmcnt(2)
	v_mul_f64 v[66:67], v[54:55], v[154:155]
	v_fmac_f64_e32 v[66:67], v[56:57], v[158:159]
	s_waitcnt vmcnt(50) lgkmcnt(1)
	v_mul_f64 v[68:69], v[58:59], v[192:193]
	v_add_f64 v[66:67], v[118:119], v[66:67]
	s_waitcnt vmcnt(48)
	v_fmac_f64_e32 v[68:69], v[60:61], v[194:195]
	v_add_f64 v[66:67], v[66:67], v[68:69]
	v_fma_f64 v[118:119], v[102:103], v[72:73], -v[70:71]
	ds_read_b128 v[70:73], v1 offset:1440
	s_waitcnt lgkmcnt(1)
	v_mul_f64 v[68:69], v[62:63], v[162:163]
	v_fmac_f64_e32 v[68:69], v[64:65], v[166:167]
	v_add_f64 v[78:79], v[66:67], v[68:69]
	ds_read_b128 v[66:69], v1 offset:1424
	ds_read_b128 v[74:77], v1 offset:1456
	;; [unrolled: 1-line block ×3, first 2 shown]
	v_accvgpr_write_b32 a155, v3
	v_accvgpr_write_b32 a154, v2
	s_waitcnt vmcnt(42) lgkmcnt(2)
	v_mul_f64 v[80:81], v[66:67], v[196:197]
	s_waitcnt vmcnt(40)
	v_fmac_f64_e32 v[80:81], v[68:69], v[198:199]
	v_add_f64 v[78:79], v[78:79], v[80:81]
	v_mul_f64 v[80:81], v[70:71], v[170:171]
	v_fmac_f64_e32 v[80:81], v[72:73], v[174:175]
	v_add_f64 v[90:91], v[78:79], v[80:81]
	ds_read_b128 v[78:81], v1 offset:1472
	s_waitcnt vmcnt(34) lgkmcnt(2)
	v_mul_f64 v[92:93], v[74:75], v[200:201]
	s_waitcnt vmcnt(32)
	v_fmac_f64_e32 v[92:93], v[76:77], v[202:203]
	v_fma_f64 v[2:3], v[240:241], v[88:89], -v[86:87]
	ds_read_b128 v[86:89], v1 offset:1504
	ds_read_b128 v[94:97], v1 offset:1536
	v_add_f64 v[90:91], v[90:91], v[92:93]
	s_waitcnt lgkmcnt(2)
	v_mul_f64 v[92:93], v[78:79], v[178:179]
	v_fmac_f64_e32 v[92:93], v[80:81], v[182:183]
	v_add_f64 v[90:91], v[90:91], v[92:93]
	s_waitcnt vmcnt(26)
	v_mul_f64 v[92:93], v[82:83], v[204:205]
	s_waitcnt vmcnt(24)
	v_fmac_f64_e32 v[92:93], v[84:85], v[206:207]
	v_add_f64 v[90:91], v[90:91], v[92:93]
	s_waitcnt lgkmcnt(1)
	v_mul_f64 v[92:93], v[86:87], v[186:187]
	v_fmac_f64_e32 v[92:93], v[88:89], v[190:191]
	v_add_f64 v[102:103], v[90:91], v[92:93]
	ds_read_b128 v[90:93], v1 offset:1520
	v_mul_f64 v[98:99], v[250:251], v[98:99]
	v_fma_f64 v[250:251], v[248:249], v[100:101], -v[98:99]
	ds_read_b128 v[98:101], v1 offset:1552
	v_mul_f64 v[106:107], v[254:255], v[106:107]
	v_fma_f64 v[252:253], v[252:253], v[108:109], -v[106:107]
	v_add_f64 v[212:213], v[212:213], 0
	v_add_f64 v[212:213], v[212:213], v[214:215]
	;; [unrolled: 1-line block ×8, first 2 shown]
	v_mul_f64 v[4:5], v[122:123], v[4:5]
	v_add_f64 v[2:3], v[2:3], v[252:253]
	v_fma_f64 v[4:5], v[120:121], v[130:131], -v[4:5]
	v_add_f64 v[2:3], v[2:3], v[4:5]
	ds_read_b128 v[106:109], v1 offset:1584
	s_waitcnt vmcnt(13) lgkmcnt(1)
	v_mul_f64 v[112:113], v[98:99], v[226:227]
	v_mul_f64 v[104:105], v[90:91], v[208:209]
	s_waitcnt vmcnt(11)
	v_fmac_f64_e32 v[112:113], v[100:101], v[232:233]
	v_fmac_f64_e32 v[104:105], v[92:93], v[210:211]
	v_add_f64 v[102:103], v[102:103], v[104:105]
	v_mul_f64 v[104:105], v[94:95], v[222:223]
	v_fmac_f64_e32 v[104:105], v[96:97], v[224:225]
	v_add_f64 v[110:111], v[102:103], v[104:105]
	ds_read_b128 v[102:105], v1 offset:1568
	v_add_f64 v[110:111], v[110:111], v[112:113]
	s_waitcnt vmcnt(10) lgkmcnt(0)
	v_mul_f64 v[112:113], v[102:103], v[220:221]
	s_waitcnt vmcnt(8)
	v_fmac_f64_e32 v[112:113], v[104:105], v[230:231]
	v_add_f64 v[110:111], v[110:111], v[112:113]
	s_waitcnt vmcnt(6)
	v_mul_f64 v[112:113], v[106:107], v[228:229]
	s_waitcnt vmcnt(4)
	v_fmac_f64_e32 v[112:113], v[108:109], v[234:235]
	v_add_f64 v[114:115], v[110:111], v[112:113]
	ds_read_b128 v[110:113], v1 offset:1600
	buffer_load_dword v243, off, s[0:3], 0 offset:828
	buffer_load_dword v242, off, s[0:3], 0 offset:824
	buffer_load_dword v245, off, s[0:3], 0 offset:820
	buffer_load_dword v244, off, s[0:3], 0 offset:816
	s_waitcnt vmcnt(5) lgkmcnt(0)
	v_mul_f64 v[116:117], v[110:111], v[236:237]
	s_waitcnt vmcnt(4)
	v_fmac_f64_e32 v[116:117], v[112:113], v[238:239]
	v_add_f64 v[240:241], v[114:115], v[116:117]
	ds_read_b128 v[114:117], v1 offset:1616
	v_accvgpr_read_b32 v0, a154
	v_accvgpr_read_b32 v1, a155
	v_mul_f64 v[4:5], v[8:9], v[0:1]
	v_fma_f64 v[4:5], v[6:7], v[124:125], -v[4:5]
	v_add_f64 v[2:3], v[2:3], v[4:5]
	v_mul_f64 v[4:5], v[12:13], v[132:133]
	v_fma_f64 v[4:5], v[10:11], v[148:149], -v[4:5]
	v_add_f64 v[2:3], v[2:3], v[4:5]
	v_mul_f64 v[4:5], v[16:17], v[126:127]
	v_fma_f64 v[4:5], v[14:15], v[128:129], -v[4:5]
	v_add_f64 v[2:3], v[2:3], v[4:5]
	v_mul_f64 v[4:5], v[20:21], v[152:153]
	v_fma_f64 v[4:5], v[18:19], v[156:157], -v[4:5]
	v_add_f64 v[2:3], v[2:3], v[4:5]
	v_mul_f64 v[4:5], v[24:25], v[134:135]
	v_fma_f64 v[4:5], v[22:23], v[136:137], -v[4:5]
	v_add_f64 v[2:3], v[2:3], v[4:5]
	v_mul_f64 v[4:5], v[28:29], v[160:161]
	v_fma_f64 v[4:5], v[26:27], v[164:165], -v[4:5]
	v_add_f64 v[2:3], v[2:3], v[4:5]
	v_mul_f64 v[4:5], v[32:33], v[138:139]
	v_fma_f64 v[4:5], v[30:31], v[140:141], -v[4:5]
	v_add_f64 v[2:3], v[2:3], v[4:5]
	v_mul_f64 v[4:5], v[36:37], v[168:169]
	v_fma_f64 v[4:5], v[34:35], v[172:173], -v[4:5]
	v_add_f64 v[2:3], v[2:3], v[4:5]
	v_mul_f64 v[4:5], v[40:41], v[142:143]
	v_fma_f64 v[4:5], v[38:39], v[144:145], -v[4:5]
	v_add_f64 v[2:3], v[2:3], v[4:5]
	v_mul_f64 v[4:5], v[44:45], v[176:177]
	v_fma_f64 v[4:5], v[42:43], v[180:181], -v[4:5]
	v_add_f64 v[2:3], v[2:3], v[4:5]
	v_mul_f64 v[4:5], v[48:49], v[146:147]
	v_fma_f64 v[4:5], v[46:47], v[150:151], -v[4:5]
	v_add_f64 v[2:3], v[2:3], v[4:5]
	v_mul_f64 v[4:5], v[52:53], v[184:185]
	v_fma_f64 v[4:5], v[50:51], v[188:189], -v[4:5]
	v_add_f64 v[2:3], v[2:3], v[4:5]
	v_mul_f64 v[4:5], v[56:57], v[154:155]
	v_fma_f64 v[4:5], v[54:55], v[158:159], -v[4:5]
	v_add_f64 v[2:3], v[2:3], v[4:5]
	v_mul_f64 v[4:5], v[60:61], v[192:193]
	v_fma_f64 v[4:5], v[58:59], v[194:195], -v[4:5]
	v_add_f64 v[2:3], v[2:3], v[4:5]
	v_mul_f64 v[4:5], v[64:65], v[162:163]
	v_fma_f64 v[4:5], v[62:63], v[166:167], -v[4:5]
	v_add_f64 v[2:3], v[2:3], v[4:5]
	v_mul_f64 v[4:5], v[68:69], v[196:197]
	v_fma_f64 v[4:5], v[66:67], v[198:199], -v[4:5]
	v_add_f64 v[2:3], v[2:3], v[4:5]
	v_mul_f64 v[4:5], v[72:73], v[170:171]
	v_fma_f64 v[4:5], v[70:71], v[174:175], -v[4:5]
	v_add_f64 v[2:3], v[2:3], v[4:5]
	v_mul_f64 v[4:5], v[76:77], v[200:201]
	v_fma_f64 v[4:5], v[74:75], v[202:203], -v[4:5]
	v_add_f64 v[2:3], v[2:3], v[4:5]
	v_mul_f64 v[4:5], v[80:81], v[178:179]
	v_fma_f64 v[4:5], v[78:79], v[182:183], -v[4:5]
	v_add_f64 v[2:3], v[2:3], v[4:5]
	v_mul_f64 v[4:5], v[84:85], v[204:205]
	v_fma_f64 v[4:5], v[82:83], v[206:207], -v[4:5]
	v_add_f64 v[2:3], v[2:3], v[4:5]
	v_mul_f64 v[4:5], v[88:89], v[186:187]
	v_fma_f64 v[4:5], v[86:87], v[190:191], -v[4:5]
	v_add_f64 v[2:3], v[2:3], v[4:5]
	v_mul_f64 v[4:5], v[92:93], v[208:209]
	v_fma_f64 v[4:5], v[90:91], v[210:211], -v[4:5]
	v_add_f64 v[2:3], v[2:3], v[4:5]
	v_mul_f64 v[4:5], v[96:97], v[222:223]
	v_fma_f64 v[4:5], v[94:95], v[224:225], -v[4:5]
	s_waitcnt vmcnt(2) lgkmcnt(0)
	v_mul_f64 v[248:249], v[114:115], v[242:243]
	v_add_f64 v[2:3], v[2:3], v[4:5]
	s_waitcnt vmcnt(0)
	v_fmac_f64_e32 v[248:249], v[116:117], v[244:245]
	v_add_f64 v[240:241], v[240:241], v[248:249]
	buffer_load_dword v248, off, s[0:3], 0 offset:208
	buffer_load_dword v249, off, s[0:3], 0 offset:212
	;; [unrolled: 1-line block ×4, first 2 shown]
	v_mul_f64 v[4:5], v[100:101], v[226:227]
	v_fma_f64 v[4:5], v[98:99], v[232:233], -v[4:5]
	v_add_f64 v[2:3], v[2:3], v[4:5]
	v_mul_f64 v[4:5], v[104:105], v[220:221]
	v_fma_f64 v[4:5], v[102:103], v[230:231], -v[4:5]
	v_add_f64 v[2:3], v[2:3], v[4:5]
	;; [unrolled: 3-line block ×5, first 2 shown]
	v_accvgpr_read_b32 v0, a152
	v_cmp_lt_u32_e32 vcc, 11, v0
	s_waitcnt vmcnt(2)
	v_add_f64 v[2:3], v[248:249], -v[2:3]
	s_waitcnt vmcnt(0)
	v_add_f64 v[4:5], v[246:247], -v[240:241]
	buffer_store_dword v3, off, s[0:3], 0 offset:212
	buffer_store_dword v2, off, s[0:3], 0 offset:208
	;; [unrolled: 1-line block ×4, first 2 shown]
	s_and_saveexec_b64 s[4:5], vcc
	s_cbranch_execz .LBB50_297
; %bb.296:
	v_accvgpr_read_b32 v0, a141
	buffer_load_dword v2, v0, s[0:3], 0 offen
	buffer_load_dword v3, v0, s[0:3], 0 offen offset:4
	buffer_load_dword v4, v0, s[0:3], 0 offen offset:8
	;; [unrolled: 1-line block ×3, first 2 shown]
	v_mov_b32_e32 v0, 0
	v_accvgpr_read_b32 v1, a153
	buffer_store_dword v0, off, s[0:3], 0 offset:192
	buffer_store_dword v0, off, s[0:3], 0 offset:196
	;; [unrolled: 1-line block ×4, first 2 shown]
	s_waitcnt vmcnt(4)
	ds_write_b128 v1, v[2:5]
.LBB50_297:
	s_or_b64 exec, exec, s[4:5]
	s_waitcnt lgkmcnt(0)
	; wave barrier
	s_waitcnt lgkmcnt(0)
	buffer_load_dword v54, off, s[0:3], 0 offset:208
	buffer_load_dword v55, off, s[0:3], 0 offset:212
	;; [unrolled: 1-line block ×49, first 2 shown]
	s_waitcnt vmcnt(8)
	v_pk_mov_b32 v[2:3], v[0:1], v[0:1] op_sel:[0,1]
	v_mov_b32_e32 v1, 0
	ds_read_b128 v[62:65], v1 offset:1008
	ds_read_b128 v[74:77], v1 offset:1024
	;; [unrolled: 1-line block ×11, first 2 shown]
	s_waitcnt lgkmcnt(10)
	v_mul_f64 v[6:7], v[62:63], v[56:57]
	s_waitcnt lgkmcnt(9)
	v_mul_f64 v[8:9], v[74:75], v[60:61]
	v_fmac_f64_e32 v[6:7], v[64:65], v[54:55]
	s_waitcnt lgkmcnt(8)
	v_mul_f64 v[10:11], v[86:87], v[66:67]
	v_fmac_f64_e32 v[8:9], v[76:77], v[58:59]
	v_add_f64 v[6:7], v[6:7], 0
	s_waitcnt lgkmcnt(7)
	v_mul_f64 v[12:13], v[98:99], v[70:71]
	v_fmac_f64_e32 v[10:11], v[88:89], v[68:69]
	v_add_f64 v[6:7], v[6:7], v[8:9]
	;; [unrolled: 4-line block ×4, first 2 shown]
	buffer_load_dword v128, off, s[0:3], 0 offset:392
	buffer_load_dword v145, off, s[0:3], 0 offset:388
	;; [unrolled: 1-line block ×75, first 2 shown]
	s_waitcnt lgkmcnt(4)
	v_mul_f64 v[18:19], v[236:237], v[90:91]
	v_fmac_f64_e32 v[16:17], v[116:117], v[84:85]
	v_add_f64 v[6:7], v[6:7], v[14:15]
	s_waitcnt lgkmcnt(3)
	v_mul_f64 v[20:21], v[240:241], v[94:95]
	v_fmac_f64_e32 v[18:19], v[238:239], v[92:93]
	v_add_f64 v[6:7], v[6:7], v[16:17]
	;; [unrolled: 4-line block ×4, first 2 shown]
	v_add_f64 v[6:7], v[6:7], v[22:23]
	s_waitcnt vmcnt(62)
	v_fmac_f64_e32 v[24:25], v[250:251], v[108:109]
	v_add_f64 v[10:11], v[6:7], v[24:25]
	ds_read_b128 v[6:9], v1 offset:1184
	s_waitcnt lgkmcnt(1)
	v_mul_f64 v[12:13], v[120:121], v[4:5]
	v_fmac_f64_e32 v[12:13], v[122:123], v[2:3]
	v_add_f64 v[14:15], v[10:11], v[12:13]
	ds_read_b128 v[10:13], v1 offset:1200
	s_waitcnt lgkmcnt(1)
	v_mul_f64 v[16:17], v[6:7], v[128:129]
	;; [unrolled: 5-line block ×5, first 2 shown]
	v_fmac_f64_e32 v[28:29], v[20:21], v[132:133]
	v_add_f64 v[30:31], v[26:27], v[28:29]
	ds_read_b128 v[26:29], v1 offset:1264
	s_waitcnt vmcnt(58) lgkmcnt(1)
	v_mul_f64 v[32:33], v[22:23], v[156:157]
	s_waitcnt vmcnt(56)
	v_fmac_f64_e32 v[32:33], v[24:25], v[160:161]
	v_add_f64 v[34:35], v[30:31], v[32:33]
	ds_read_b128 v[30:33], v1 offset:1280
	s_waitcnt lgkmcnt(1)
	v_mul_f64 v[36:37], v[26:27], v[134:135]
	v_fmac_f64_e32 v[36:37], v[28:29], v[136:137]
	v_add_f64 v[38:39], v[34:35], v[36:37]
	ds_read_b128 v[34:37], v1 offset:1296
	s_waitcnt vmcnt(50) lgkmcnt(1)
	v_mul_f64 v[40:41], v[30:31], v[164:165]
	s_waitcnt vmcnt(48)
	v_fmac_f64_e32 v[40:41], v[32:33], v[168:169]
	v_add_f64 v[42:43], v[38:39], v[40:41]
	ds_read_b128 v[38:41], v1 offset:1312
	s_waitcnt lgkmcnt(1)
	v_mul_f64 v[44:45], v[34:35], v[138:139]
	;; [unrolled: 11-line block ×3, first 2 shown]
	buffer_load_dword v205, off, s[0:3], 0 offset:716
	buffer_load_dword v204, off, s[0:3], 0 offset:712
	;; [unrolled: 1-line block ×4, first 2 shown]
	v_fmac_f64_e32 v[52:53], v[44:45], v[146:147]
	v_add_f64 v[118:119], v[50:51], v[52:53]
	ds_read_b128 v[50:53], v1 offset:1360
	buffer_load_dword v208, off, s[0:3], 0 offset:728
	buffer_load_dword v210, off, s[0:3], 0 offset:720
	;; [unrolled: 1-line block ×20, first 2 shown]
	s_waitcnt vmcnt(58) lgkmcnt(1)
	v_mul_f64 v[212:213], v[46:47], v[180:181]
	s_waitcnt vmcnt(56)
	v_fmac_f64_e32 v[212:213], v[48:49], v[184:185]
	v_mul_f64 v[56:57], v[64:65], v[56:57]
	v_add_f64 v[118:119], v[118:119], v[212:213]
	v_fma_f64 v[212:213], v[62:63], v[54:55], -v[56:57]
	ds_read_b128 v[54:57], v1 offset:1376
	v_mul_f64 v[60:61], v[76:77], v[60:61]
	v_fma_f64 v[214:215], v[74:75], v[58:59], -v[60:61]
	ds_read_b128 v[58:61], v1 offset:1392
	s_waitcnt lgkmcnt(2)
	v_mul_f64 v[62:63], v[50:51], v[150:151]
	v_fmac_f64_e32 v[62:63], v[52:53], v[154:155]
	s_waitcnt vmcnt(50) lgkmcnt(1)
	v_mul_f64 v[64:65], v[54:55], v[188:189]
	v_add_f64 v[62:63], v[118:119], v[62:63]
	s_waitcnt vmcnt(48)
	v_fmac_f64_e32 v[64:65], v[56:57], v[190:191]
	v_add_f64 v[62:63], v[62:63], v[64:65]
	s_waitcnt lgkmcnt(0)
	v_mul_f64 v[64:65], v[58:59], v[158:159]
	v_fmac_f64_e32 v[64:65], v[60:61], v[162:163]
	v_add_f64 v[74:75], v[62:63], v[64:65]
	ds_read_b128 v[62:65], v1 offset:1408
	v_mul_f64 v[66:67], v[88:89], v[66:67]
	v_fma_f64 v[118:119], v[86:87], v[68:69], -v[66:67]
	ds_read_b128 v[66:69], v1 offset:1424
	v_mul_f64 v[70:71], v[100:101], v[70:71]
	s_waitcnt vmcnt(42) lgkmcnt(1)
	v_mul_f64 v[76:77], v[62:63], v[192:193]
	s_waitcnt vmcnt(40)
	v_fmac_f64_e32 v[76:77], v[64:65], v[194:195]
	v_add_f64 v[74:75], v[74:75], v[76:77]
	v_fma_f64 v[216:217], v[98:99], v[72:73], -v[70:71]
	ds_read_b128 v[70:73], v1 offset:1440
	s_waitcnt lgkmcnt(1)
	v_mul_f64 v[76:77], v[66:67], v[166:167]
	v_fmac_f64_e32 v[76:77], v[68:69], v[170:171]
	v_add_f64 v[86:87], v[74:75], v[76:77]
	ds_read_b128 v[74:77], v1 offset:1456
	v_mul_f64 v[78:79], v[112:113], v[78:79]
	v_fma_f64 v[218:219], v[110:111], v[80:81], -v[78:79]
	ds_read_b128 v[78:81], v1 offset:1472
	s_waitcnt vmcnt(34) lgkmcnt(2)
	v_mul_f64 v[88:89], v[70:71], v[196:197]
	v_mul_f64 v[82:83], v[116:117], v[82:83]
	s_waitcnt vmcnt(32)
	v_fmac_f64_e32 v[88:89], v[72:73], v[198:199]
	v_fma_f64 v[252:253], v[114:115], v[84:85], -v[82:83]
	ds_read_b128 v[82:85], v1 offset:1488
	v_add_f64 v[86:87], v[86:87], v[88:89]
	s_waitcnt lgkmcnt(2)
	v_mul_f64 v[88:89], v[74:75], v[174:175]
	v_fmac_f64_e32 v[88:89], v[76:77], v[178:179]
	v_add_f64 v[86:87], v[86:87], v[88:89]
	s_waitcnt vmcnt(26) lgkmcnt(1)
	v_mul_f64 v[88:89], v[78:79], v[200:201]
	s_waitcnt vmcnt(24)
	v_fmac_f64_e32 v[88:89], v[80:81], v[202:203]
	v_add_f64 v[86:87], v[86:87], v[88:89]
	s_waitcnt lgkmcnt(0)
	v_mul_f64 v[88:89], v[82:83], v[182:183]
	v_fmac_f64_e32 v[88:89], v[84:85], v[186:187]
	v_add_f64 v[98:99], v[86:87], v[88:89]
	ds_read_b128 v[86:89], v1 offset:1504
	v_mul_f64 v[90:91], v[238:239], v[90:91]
	v_fma_f64 v[254:255], v[236:237], v[92:93], -v[90:91]
	ds_read_b128 v[90:93], v1 offset:1520
	v_accvgpr_write_b32 a155, v3
	v_mul_f64 v[94:95], v[242:243], v[94:95]
	v_accvgpr_write_b32 a154, v2
	v_fma_f64 v[2:3], v[240:241], v[96:97], -v[94:95]
	ds_read_b128 v[94:97], v1 offset:1536
	v_mul_f64 v[102:103], v[246:247], v[102:103]
	v_fma_f64 v[246:247], v[244:245], v[104:105], -v[102:103]
	ds_read_b128 v[102:105], v1 offset:1568
	v_mul_f64 v[106:107], v[250:251], v[106:107]
	v_fma_f64 v[250:251], v[248:249], v[108:109], -v[106:107]
	ds_read_b128 v[106:109], v1 offset:1584
	v_add_f64 v[212:213], v[212:213], 0
	v_add_f64 v[212:213], v[212:213], v[214:215]
	;; [unrolled: 1-line block ×6, first 2 shown]
	s_waitcnt vmcnt(22) lgkmcnt(4)
	v_mul_f64 v[100:101], v[86:87], v[204:205]
	v_add_f64 v[118:119], v[118:119], v[254:255]
	s_waitcnt vmcnt(20)
	v_fmac_f64_e32 v[100:101], v[88:89], v[206:207]
	v_add_f64 v[98:99], v[98:99], v[100:101]
	v_add_f64 v[2:3], v[118:119], v[2:3]
	s_waitcnt vmcnt(17) lgkmcnt(3)
	v_mul_f64 v[100:101], v[90:91], v[208:209]
	s_waitcnt vmcnt(16)
	v_fmac_f64_e32 v[100:101], v[92:93], v[210:211]
	v_add_f64 v[110:111], v[98:99], v[100:101]
	ds_read_b128 v[98:101], v1 offset:1552
	s_waitcnt vmcnt(14) lgkmcnt(3)
	v_mul_f64 v[112:113], v[94:95], v[222:223]
	s_waitcnt vmcnt(12)
	v_fmac_f64_e32 v[112:113], v[96:97], v[226:227]
	buffer_load_dword v237, off, s[0:3], 0 offset:812
	buffer_load_dword v236, off, s[0:3], 0 offset:808
	;; [unrolled: 1-line block ×4, first 2 shown]
	v_add_f64 v[110:111], v[110:111], v[112:113]
	s_waitcnt vmcnt(14) lgkmcnt(0)
	v_mul_f64 v[112:113], v[98:99], v[224:225]
	s_waitcnt vmcnt(12)
	v_fmac_f64_e32 v[112:113], v[100:101], v[228:229]
	v_add_f64 v[110:111], v[110:111], v[112:113]
	s_waitcnt vmcnt(9)
	v_mul_f64 v[112:113], v[102:103], v[232:233]
	s_waitcnt vmcnt(7)
	v_fmac_f64_e32 v[112:113], v[104:105], v[234:235]
	v_add_f64 v[110:111], v[110:111], v[112:113]
	s_waitcnt vmcnt(5)
	v_mul_f64 v[112:113], v[106:107], v[220:221]
	s_waitcnt vmcnt(4)
	v_fmac_f64_e32 v[112:113], v[108:109], v[230:231]
	v_add_f64 v[114:115], v[110:111], v[112:113]
	ds_read_b128 v[110:113], v1 offset:1600
	buffer_load_dword v242, off, s[0:3], 0 offset:824
	buffer_load_dword v243, off, s[0:3], 0 offset:828
	;; [unrolled: 1-line block ×4, first 2 shown]
	v_add_f64 v[252:253], v[2:3], v[246:247]
	v_accvgpr_read_b32 v118, a154
	v_mul_f64 v[4:5], v[122:123], v[4:5]
	v_accvgpr_read_b32 v119, a155
	v_add_f64 v[2:3], v[252:253], v[250:251]
	v_fma_f64 v[4:5], v[120:121], v[118:119], -v[4:5]
	v_add_f64 v[2:3], v[2:3], v[4:5]
	v_mul_f64 v[4:5], v[8:9], v[128:129]
	v_fma_f64 v[4:5], v[6:7], v[144:145], -v[4:5]
	v_add_f64 v[2:3], v[2:3], v[4:5]
	v_mul_f64 v[4:5], v[12:13], v[124:125]
	;; [unrolled: 3-line block ×20, first 2 shown]
	s_waitcnt vmcnt(6) lgkmcnt(0)
	v_mul_f64 v[116:117], v[110:111], v[236:237]
	v_fma_f64 v[4:5], v[82:83], v[186:187], -v[4:5]
	s_waitcnt vmcnt(4)
	v_fmac_f64_e32 v[116:117], v[112:113], v[238:239]
	v_add_f64 v[240:241], v[114:115], v[116:117]
	ds_read_b128 v[114:117], v1 offset:1616
	v_add_f64 v[2:3], v[2:3], v[4:5]
	v_mul_f64 v[4:5], v[88:89], v[204:205]
	v_fma_f64 v[4:5], v[86:87], v[206:207], -v[4:5]
	v_add_f64 v[2:3], v[2:3], v[4:5]
	v_mul_f64 v[4:5], v[92:93], v[208:209]
	v_fma_f64 v[4:5], v[90:91], v[210:211], -v[4:5]
	v_add_f64 v[2:3], v[2:3], v[4:5]
	s_waitcnt vmcnt(2) lgkmcnt(0)
	v_mul_f64 v[248:249], v[114:115], v[242:243]
	v_mul_f64 v[4:5], v[96:97], v[222:223]
	s_waitcnt vmcnt(0)
	v_fmac_f64_e32 v[248:249], v[116:117], v[244:245]
	v_add_f64 v[240:241], v[240:241], v[248:249]
	buffer_load_dword v248, off, s[0:3], 0 offset:192
	buffer_load_dword v249, off, s[0:3], 0 offset:196
	;; [unrolled: 1-line block ×4, first 2 shown]
	v_fma_f64 v[4:5], v[94:95], v[226:227], -v[4:5]
	v_add_f64 v[2:3], v[2:3], v[4:5]
	v_mul_f64 v[4:5], v[100:101], v[224:225]
	v_fma_f64 v[4:5], v[98:99], v[228:229], -v[4:5]
	v_add_f64 v[2:3], v[2:3], v[4:5]
	v_mul_f64 v[4:5], v[104:105], v[232:233]
	;; [unrolled: 3-line block ×5, first 2 shown]
	v_fma_f64 v[4:5], v[114:115], v[244:245], -v[4:5]
	v_add_f64 v[2:3], v[2:3], v[4:5]
	v_accvgpr_read_b32 v0, a152
	v_cmp_lt_u32_e32 vcc, 10, v0
	s_waitcnt vmcnt(2)
	v_add_f64 v[2:3], v[248:249], -v[2:3]
	s_waitcnt vmcnt(0)
	v_add_f64 v[4:5], v[246:247], -v[240:241]
	buffer_store_dword v3, off, s[0:3], 0 offset:196
	buffer_store_dword v2, off, s[0:3], 0 offset:192
	;; [unrolled: 1-line block ×4, first 2 shown]
	s_and_saveexec_b64 s[4:5], vcc
	s_cbranch_execz .LBB50_299
; %bb.298:
	v_accvgpr_read_b32 v0, a142
	buffer_load_dword v2, v0, s[0:3], 0 offen
	buffer_load_dword v3, v0, s[0:3], 0 offen offset:4
	buffer_load_dword v4, v0, s[0:3], 0 offen offset:8
	;; [unrolled: 1-line block ×3, first 2 shown]
	v_accvgpr_read_b32 v0, a153
	buffer_store_dword v1, off, s[0:3], 0 offset:176
	buffer_store_dword v1, off, s[0:3], 0 offset:180
	;; [unrolled: 1-line block ×4, first 2 shown]
	s_waitcnt vmcnt(4)
	ds_write_b128 v0, v[2:5]
.LBB50_299:
	s_or_b64 exec, exec, s[4:5]
	s_waitcnt lgkmcnt(0)
	; wave barrier
	s_waitcnt lgkmcnt(0)
	buffer_load_dword v56, off, s[0:3], 0 offset:192
	buffer_load_dword v57, off, s[0:3], 0 offset:196
	;; [unrolled: 1-line block ×42, first 2 shown]
	ds_read_b128 v[78:81], v1 offset:992
	ds_read_b128 v[90:93], v1 offset:1008
	ds_read_b128 v[114:117], v1 offset:1024
	ds_read_b128 v[236:239], v1 offset:1040
	ds_read_b128 v[240:243], v1 offset:1056
	ds_read_b128 v[244:247], v1 offset:1072
	ds_read_b128 v[248:251], v1 offset:1088
	ds_read_b128 v[252:255], v1 offset:1104
	ds_read_b128 v[212:215], v1 offset:1120
	ds_read_b128 v[98:101], v1 offset:1136
	buffer_load_dword v105, off, s[0:3], 0 offset:340
	buffer_load_dword v104, off, s[0:3], 0 offset:336
	ds_read_b128 v[106:109], v1 offset:1152
	buffer_load_dword v3, off, s[0:3], 0 offset:396
	buffer_load_dword v2, off, s[0:3], 0 offset:392
	s_waitcnt vmcnt(38) lgkmcnt(9)
	v_mul_f64 v[4:5], v[90:91], v[62:63]
	v_fmac_f64_e32 v[4:5], v[92:93], v[54:55]
	s_waitcnt vmcnt(36) lgkmcnt(8)
	v_mul_f64 v[6:7], v[114:115], v[58:59]
	v_mul_f64 v[58:59], v[116:117], v[58:59]
	s_waitcnt vmcnt(34) lgkmcnt(6)
	v_mul_f64 v[10:11], v[240:241], v[70:71]
	v_mul_f64 v[70:71], v[242:243], v[70:71]
	s_waitcnt vmcnt(32)
	v_fmac_f64_e32 v[10:11], v[242:243], v[72:73]
	v_fma_f64 v[240:241], v[240:241], v[72:73], -v[70:71]
	s_waitcnt vmcnt(30)
	v_mul_f64 v[8:9], v[236:237], v[64:65]
	s_waitcnt vmcnt(28) lgkmcnt(4)
	v_mul_f64 v[14:15], v[248:249], v[82:83]
	v_mul_f64 v[82:83], v[250:251], v[82:83]
	s_waitcnt vmcnt(26)
	v_fmac_f64_e32 v[14:15], v[250:251], v[84:85]
	v_fma_f64 v[248:249], v[248:249], v[84:85], -v[82:83]
	s_waitcnt vmcnt(24)
	v_mul_f64 v[12:13], v[244:245], v[74:75]
	v_mul_f64 v[74:75], v[246:247], v[74:75]
	s_waitcnt vmcnt(22) lgkmcnt(2)
	v_mul_f64 v[18:19], v[212:213], v[94:95]
	v_mul_f64 v[94:95], v[214:215], v[94:95]
	s_waitcnt vmcnt(19)
	v_mul_f64 v[16:17], v[252:253], v[86:87]
	v_mul_f64 v[86:87], v[254:255], v[86:87]
	s_waitcnt vmcnt(17) lgkmcnt(1)
	v_mul_f64 v[20:21], v[98:99], v[102:103]
	s_waitcnt vmcnt(15)
	v_fmac_f64_e32 v[6:7], v[116:117], v[68:69]
	s_waitcnt vmcnt(13)
	v_fmac_f64_e32 v[8:9], v[238:239], v[66:67]
	s_waitcnt vmcnt(11)
	v_fmac_f64_e32 v[12:13], v[246:247], v[76:77]
	v_fma_f64 v[246:247], v[244:245], v[76:77], -v[74:75]
	s_waitcnt vmcnt(9)
	v_fmac_f64_e32 v[16:17], v[254:255], v[88:89]
	s_waitcnt vmcnt(8)
	v_fmac_f64_e32 v[18:19], v[214:215], v[96:97]
	v_fma_f64 v[254:255], v[252:253], v[88:89], -v[86:87]
	v_fma_f64 v[212:213], v[212:213], v[96:97], -v[94:95]
	s_waitcnt vmcnt(2)
	v_fmac_f64_e32 v[20:21], v[100:101], v[104:105]
	v_mul_f64 v[100:101], v[100:101], v[102:103]
	s_waitcnt vmcnt(0)
	v_pk_mov_b32 v[22:23], v[2:3], v[2:3] op_sel:[0,1]
	buffer_load_dword v3, off, s[0:3], 0 offset:388
	buffer_load_dword v2, off, s[0:3], 0 offset:384
	;; [unrolled: 1-line block ×78, first 2 shown]
	ds_read_b128 v[120:123], v1 offset:1168
	v_accvgpr_write_b32 a155, v23
	v_accvgpr_write_b32 a154, v22
	v_fma_f64 v[250:251], v[98:99], v[104:105], -v[100:101]
	s_waitcnt vmcnt(62)
	v_pk_mov_b32 v[24:25], v[2:3], v[2:3] op_sel:[0,1]
	v_mul_f64 v[2:3], v[78:79], v[60:61]
	v_fmac_f64_e32 v[2:3], v[80:81], v[56:57]
	v_add_f64 v[2:3], v[2:3], 0
	v_add_f64 v[2:3], v[2:3], v[4:5]
	;; [unrolled: 1-line block ×9, first 2 shown]
	s_waitcnt lgkmcnt(1)
	v_mul_f64 v[8:9], v[106:107], v[110:111]
	v_add_f64 v[6:7], v[2:3], v[20:21]
	v_fmac_f64_e32 v[8:9], v[108:109], v[112:113]
	v_add_f64 v[10:11], v[6:7], v[8:9]
	ds_read_b128 v[6:9], v1 offset:1184
	s_waitcnt lgkmcnt(1)
	v_mul_f64 v[12:13], v[120:121], v[124:125]
	v_fmac_f64_e32 v[12:13], v[122:123], v[140:141]
	v_add_f64 v[14:15], v[10:11], v[12:13]
	ds_read_b128 v[10:13], v1 offset:1200
	s_waitcnt lgkmcnt(1)
	v_mul_f64 v[16:17], v[6:7], v[22:23]
	;; [unrolled: 5-line block ×3, first 2 shown]
	v_fmac_f64_e32 v[20:21], v[12:13], v[148:149]
	v_add_f64 v[22:23], v[18:19], v[20:21]
	ds_read_b128 v[18:21], v1 offset:1232
	v_accvgpr_write_b32 a157, v25
	v_accvgpr_write_b32 a156, v24
	s_waitcnt lgkmcnt(1)
	v_mul_f64 v[24:25], v[14:15], v[126:127]
	v_fmac_f64_e32 v[24:25], v[16:17], v[128:129]
	v_add_f64 v[26:27], v[22:23], v[24:25]
	ds_read_b128 v[22:25], v1 offset:1248
	s_waitcnt vmcnt(58) lgkmcnt(1)
	v_mul_f64 v[28:29], v[18:19], v[152:153]
	s_waitcnt vmcnt(56)
	v_fmac_f64_e32 v[28:29], v[20:21], v[156:157]
	v_add_f64 v[30:31], v[26:27], v[28:29]
	ds_read_b128 v[26:29], v1 offset:1264
	s_waitcnt lgkmcnt(1)
	v_mul_f64 v[32:33], v[22:23], v[130:131]
	v_fmac_f64_e32 v[32:33], v[24:25], v[132:133]
	v_add_f64 v[34:35], v[30:31], v[32:33]
	ds_read_b128 v[30:33], v1 offset:1280
	s_waitcnt vmcnt(50) lgkmcnt(1)
	v_mul_f64 v[36:37], v[26:27], v[160:161]
	s_waitcnt vmcnt(48)
	v_fmac_f64_e32 v[36:37], v[28:29], v[164:165]
	v_add_f64 v[38:39], v[34:35], v[36:37]
	ds_read_b128 v[34:37], v1 offset:1296
	;; [unrolled: 11-line block ×4, first 2 shown]
	buffer_load_dword v200, off, s[0:3], 0 offset:712
	buffer_load_dword v205, off, s[0:3], 0 offset:700
	;; [unrolled: 1-line block ×8, first 2 shown]
	s_waitcnt lgkmcnt(1)
	v_mul_f64 v[208:209], v[46:47], v[146:147]
	v_fmac_f64_e32 v[208:209], v[48:49], v[150:151]
	v_add_f64 v[118:119], v[118:119], v[208:209]
	buffer_load_dword v209, off, s[0:3], 0 offset:732
	buffer_load_dword v208, off, s[0:3], 0 offset:728
	;; [unrolled: 1-line block ×20, first 2 shown]
	v_mul_f64 v[60:61], v[80:81], v[60:61]
	s_waitcnt vmcnt(54) lgkmcnt(0)
	v_mul_f64 v[216:217], v[50:51], v[184:185]
	v_fma_f64 v[218:219], v[78:79], v[56:57], -v[60:61]
	v_mul_f64 v[56:57], v[92:93], v[62:63]
	v_fma_f64 v[2:3], v[90:91], v[54:55], -v[56:57]
	s_waitcnt vmcnt(52)
	v_fmac_f64_e32 v[216:217], v[52:53], v[186:187]
	ds_read_b128 v[54:57], v1 offset:1376
	v_add_f64 v[4:5], v[118:119], v[216:217]
	v_fma_f64 v[118:119], v[114:115], v[68:69], -v[58:59]
	ds_read_b128 v[58:61], v1 offset:1392
	v_mul_f64 v[62:63], v[238:239], v[64:65]
	v_fma_f64 v[216:217], v[236:237], v[66:67], -v[62:63]
	ds_read_b128 v[62:65], v1 offset:1408
	ds_read_b128 v[70:73], v1 offset:1440
	s_waitcnt lgkmcnt(3)
	v_mul_f64 v[68:69], v[54:55], v[154:155]
	v_fmac_f64_e32 v[68:69], v[56:57], v[158:159]
	s_waitcnt vmcnt(46) lgkmcnt(2)
	v_mul_f64 v[66:67], v[58:59], v[188:189]
	v_add_f64 v[4:5], v[4:5], v[68:69]
	s_waitcnt vmcnt(44)
	v_fmac_f64_e32 v[66:67], v[60:61], v[190:191]
	v_add_f64 v[4:5], v[4:5], v[66:67]
	s_waitcnt lgkmcnt(1)
	v_mul_f64 v[66:67], v[62:63], v[162:163]
	v_fmac_f64_e32 v[66:67], v[64:65], v[166:167]
	v_add_f64 v[4:5], v[4:5], v[66:67]
	ds_read_b128 v[66:69], v1 offset:1424
	ds_read_b128 v[74:77], v1 offset:1456
	ds_read_b128 v[82:85], v1 offset:1488
	ds_read_b128 v[86:89], v1 offset:1504
	ds_read_b128 v[94:97], v1 offset:1536
	s_waitcnt vmcnt(38) lgkmcnt(4)
	v_mul_f64 v[78:79], v[66:67], v[192:193]
	s_waitcnt vmcnt(36)
	v_fmac_f64_e32 v[78:79], v[68:69], v[194:195]
	v_add_f64 v[4:5], v[4:5], v[78:79]
	v_mul_f64 v[78:79], v[70:71], v[170:171]
	v_fmac_f64_e32 v[78:79], v[72:73], v[174:175]
	v_add_f64 v[4:5], v[4:5], v[78:79]
	s_waitcnt vmcnt(30) lgkmcnt(3)
	v_mul_f64 v[78:79], v[74:75], v[196:197]
	s_waitcnt vmcnt(28)
	v_fmac_f64_e32 v[78:79], v[76:77], v[198:199]
	v_add_f64 v[4:5], v[4:5], v[78:79]
	ds_read_b128 v[78:81], v1 offset:1472
	v_mul_f64 v[108:109], v[108:109], v[110:111]
	v_fma_f64 v[252:253], v[106:107], v[112:113], -v[108:109]
	ds_read_b128 v[98:101], v1 offset:1552
	ds_read_b128 v[106:109], v1 offset:1584
	s_waitcnt lgkmcnt(2)
	v_mul_f64 v[90:91], v[78:79], v[178:179]
	v_fmac_f64_e32 v[90:91], v[80:81], v[182:183]
	v_add_f64 v[4:5], v[4:5], v[90:91]
	s_waitcnt vmcnt(25)
	v_mul_f64 v[90:91], v[82:83], v[204:205]
	s_waitcnt vmcnt(23)
	v_fmac_f64_e32 v[90:91], v[84:85], v[206:207]
	v_add_f64 v[4:5], v[4:5], v[90:91]
	s_waitcnt vmcnt(21)
	v_mul_f64 v[90:91], v[86:87], v[200:201]
	s_waitcnt vmcnt(20)
	v_fmac_f64_e32 v[90:91], v[88:89], v[202:203]
	v_add_f64 v[4:5], v[4:5], v[90:91]
	ds_read_b128 v[90:93], v1 offset:1520
	s_waitcnt vmcnt(14)
	v_mul_f64 v[102:103], v[94:95], v[222:223]
	s_waitcnt vmcnt(9) lgkmcnt(2)
	v_mul_f64 v[110:111], v[98:99], v[228:229]
	v_fmac_f64_e32 v[102:103], v[96:97], v[224:225]
	s_waitcnt vmcnt(7)
	v_fmac_f64_e32 v[110:111], v[100:101], v[232:233]
	s_waitcnt lgkmcnt(0)
	v_mul_f64 v[114:115], v[90:91], v[208:209]
	v_fmac_f64_e32 v[114:115], v[92:93], v[210:211]
	v_add_f64 v[4:5], v[4:5], v[114:115]
	v_add_f64 v[4:5], v[4:5], v[102:103]
	ds_read_b128 v[102:105], v1 offset:1568
	buffer_load_dword v236, off, s[0:3], 0 offset:808
	buffer_load_dword v237, off, s[0:3], 0 offset:812
	;; [unrolled: 1-line block ×4, first 2 shown]
	v_add_f64 v[4:5], v[4:5], v[110:111]
	s_waitcnt vmcnt(9) lgkmcnt(0)
	v_mul_f64 v[110:111], v[102:103], v[220:221]
	s_waitcnt vmcnt(8)
	v_fmac_f64_e32 v[110:111], v[104:105], v[226:227]
	v_add_f64 v[4:5], v[4:5], v[110:111]
	s_waitcnt vmcnt(6)
	v_mul_f64 v[110:111], v[106:107], v[230:231]
	s_waitcnt vmcnt(4)
	v_fmac_f64_e32 v[110:111], v[108:109], v[234:235]
	v_add_f64 v[4:5], v[4:5], v[110:111]
	ds_read_b128 v[110:113], v1 offset:1600
	buffer_load_dword v243, off, s[0:3], 0 offset:828
	buffer_load_dword v242, off, s[0:3], 0 offset:824
	;; [unrolled: 1-line block ×4, first 2 shown]
	s_waitcnt vmcnt(6) lgkmcnt(0)
	v_mul_f64 v[114:115], v[110:111], v[236:237]
	s_waitcnt vmcnt(4)
	v_fmac_f64_e32 v[114:115], v[112:113], v[238:239]
	v_add_f64 v[4:5], v[4:5], v[114:115]
	ds_read_b128 v[114:117], v1 offset:1616
	v_accvgpr_read_b32 v0, a154
	v_accvgpr_read_b32 v1, a155
	v_mul_f64 v[8:9], v[8:9], v[0:1]
	v_accvgpr_read_b32 v0, a156
	v_accvgpr_read_b32 v1, a157
	v_fma_f64 v[6:7], v[6:7], v[0:1], -v[8:9]
	s_waitcnt vmcnt(2) lgkmcnt(0)
	v_mul_f64 v[214:215], v[114:115], v[242:243]
	v_accvgpr_read_b32 v0, a152
	s_waitcnt vmcnt(0)
	v_fmac_f64_e32 v[214:215], v[116:117], v[244:245]
	v_add_f64 v[4:5], v[4:5], v[214:215]
	v_add_f64 v[214:215], v[218:219], 0
	;; [unrolled: 1-line block ×8, first 2 shown]
	buffer_load_dword v248, off, s[0:3], 0 offset:176
	buffer_load_dword v249, off, s[0:3], 0 offset:180
	;; [unrolled: 1-line block ×4, first 2 shown]
	v_add_f64 v[2:3], v[2:3], v[254:255]
	v_add_f64 v[254:255], v[2:3], v[212:213]
	v_add_f64 v[2:3], v[254:255], v[250:251]
	v_mul_f64 v[118:119], v[122:123], v[124:125]
	v_add_f64 v[2:3], v[2:3], v[252:253]
	v_fma_f64 v[118:119], v[120:121], v[140:141], -v[118:119]
	v_add_f64 v[2:3], v[2:3], v[118:119]
	v_add_f64 v[2:3], v[2:3], v[6:7]
	v_mul_f64 v[6:7], v[12:13], v[144:145]
	v_fma_f64 v[6:7], v[10:11], v[148:149], -v[6:7]
	v_add_f64 v[2:3], v[2:3], v[6:7]
	v_mul_f64 v[6:7], v[16:17], v[126:127]
	v_fma_f64 v[6:7], v[14:15], v[128:129], -v[6:7]
	;; [unrolled: 3-line block ×27, first 2 shown]
	v_add_f64 v[2:3], v[2:3], v[6:7]
	s_waitcnt vmcnt(2)
	v_add_f64 v[2:3], v[248:249], -v[2:3]
	v_cmp_lt_u32_e32 vcc, 9, v0
	s_waitcnt vmcnt(0)
	v_add_f64 v[4:5], v[246:247], -v[4:5]
	buffer_store_dword v3, off, s[0:3], 0 offset:180
	buffer_store_dword v2, off, s[0:3], 0 offset:176
	;; [unrolled: 1-line block ×4, first 2 shown]
	s_and_saveexec_b64 s[4:5], vcc
	s_cbranch_execz .LBB50_301
; %bb.300:
	v_accvgpr_read_b32 v0, a143
	buffer_load_dword v2, v0, s[0:3], 0 offen
	buffer_load_dword v3, v0, s[0:3], 0 offen offset:4
	buffer_load_dword v4, v0, s[0:3], 0 offen offset:8
	;; [unrolled: 1-line block ×3, first 2 shown]
	v_mov_b32_e32 v0, 0
	v_accvgpr_read_b32 v1, a153
	buffer_store_dword v0, off, s[0:3], 0 offset:160
	buffer_store_dword v0, off, s[0:3], 0 offset:164
	;; [unrolled: 1-line block ×4, first 2 shown]
	s_waitcnt vmcnt(4)
	ds_write_b128 v1, v[2:5]
.LBB50_301:
	s_or_b64 exec, exec, s[4:5]
	s_waitcnt lgkmcnt(0)
	; wave barrier
	s_waitcnt lgkmcnt(0)
	buffer_load_dword v54, off, s[0:3], 0 offset:176
	buffer_load_dword v55, off, s[0:3], 0 offset:180
	;; [unrolled: 1-line block ×46, first 2 shown]
	v_mov_b32_e32 v1, 0
	v_accvgpr_read_b32 v0, a152
	v_cmp_lt_u32_e32 vcc, 8, v0
	s_waitcnt vmcnt(0)
	v_pk_mov_b32 v[22:23], v[2:3], v[2:3] op_sel:[0,1]
	buffer_load_dword v3, off, s[0:3], 0 offset:372
	buffer_load_dword v2, off, s[0:3], 0 offset:368
	;; [unrolled: 1-line block ×3, first 2 shown]
	ds_read_b128 v[94:97], v1 offset:976
	ds_read_b128 v[108:111], v1 offset:992
	;; [unrolled: 1-line block ×11, first 2 shown]
	s_waitcnt lgkmcnt(9)
	v_mul_f64 v[4:5], v[108:109], v[62:63]
	v_fmac_f64_e32 v[4:5], v[110:111], v[58:59]
	s_waitcnt lgkmcnt(8)
	v_mul_f64 v[6:7], v[112:113], v[60:61]
	s_waitcnt lgkmcnt(7)
	v_mul_f64 v[8:9], v[212:213], v[68:69]
	v_fmac_f64_e32 v[6:7], v[114:115], v[84:85]
	s_waitcnt lgkmcnt(6)
	v_mul_f64 v[10:11], v[236:237], v[64:65]
	v_fmac_f64_e32 v[8:9], v[214:215], v[82:83]
	;; [unrolled: 3-line block ×7, first 2 shown]
	v_fmac_f64_e32 v[20:21], v[218:219], v[92:93]
	v_accvgpr_write_b32 a155, v23
	v_accvgpr_write_b32 a154, v22
	v_mul_f64 v[62:63], v[110:111], v[62:63]
	v_mul_f64 v[74:75], v[246:247], v[74:75]
	v_fma_f64 v[246:247], v[244:245], v[76:77], -v[74:75]
	v_mul_f64 v[78:79], v[250:251], v[78:79]
	v_fma_f64 v[248:249], v[248:249], v[80:81], -v[78:79]
	;; [unrolled: 2-line block ×4, first 2 shown]
	s_waitcnt vmcnt(1)
	v_pk_mov_b32 v[24:25], v[2:3], v[2:3] op_sel:[0,1]
	v_mul_f64 v[2:3], v[94:95], v[56:57]
	v_fmac_f64_e32 v[2:3], v[96:97], v[54:55]
	v_add_f64 v[2:3], v[2:3], 0
	v_add_f64 v[2:3], v[2:3], v[4:5]
	buffer_load_dword v106, off, s[0:3], 0 offset:360
	buffer_load_dword v233, off, s[0:3], 0 offset:356
	;; [unrolled: 1-line block ×75, first 2 shown]
	v_add_f64 v[2:3], v[2:3], v[6:7]
	v_add_f64 v[2:3], v[2:3], v[8:9]
	;; [unrolled: 1-line block ×3, first 2 shown]
	ds_read_b128 v[116:119], v1 offset:1152
	ds_read_b128 v[120:123], v1 offset:1168
	v_add_f64 v[2:3], v[2:3], v[12:13]
	v_add_f64 v[2:3], v[2:3], v[14:15]
	;; [unrolled: 1-line block ×5, first 2 shown]
	s_waitcnt lgkmcnt(0)
	v_mul_f64 v[12:13], v[120:121], v[22:23]
	ds_read_b128 v[196:199], v1 offset:1184
	v_fmac_f64_e32 v[12:13], v[122:123], v[24:25]
	v_accvgpr_write_b32 a157, v25
	v_accvgpr_write_b32 a156, v24
	v_mul_f64 v[56:57], v[96:97], v[56:57]
	s_waitcnt vmcnt(62)
	v_mul_f64 v[8:9], v[116:117], v[106:107]
	v_fmac_f64_e32 v[8:9], v[118:119], v[232:233]
	v_pk_mov_b32 v[26:27], v[4:5], v[4:5] op_sel:[0,1]
	v_mul_f64 v[4:5], v[98:99], v[102:103]
	v_fmac_f64_e32 v[4:5], v[100:101], v[104:105]
	v_add_f64 v[6:7], v[2:3], v[4:5]
	v_add_f64 v[10:11], v[6:7], v[8:9]
	;; [unrolled: 1-line block ×3, first 2 shown]
	ds_read_b128 v[10:13], v1 offset:1200
	s_waitcnt lgkmcnt(1)
	v_mul_f64 v[16:17], v[196:197], v[140:141]
	v_fmac_f64_e32 v[16:17], v[198:199], v[144:145]
	v_add_f64 v[18:19], v[14:15], v[16:17]
	ds_read_b128 v[14:17], v1 offset:1216
	s_waitcnt lgkmcnt(1)
	v_mul_f64 v[20:21], v[10:11], v[26:27]
	v_fmac_f64_e32 v[20:21], v[12:13], v[126:127]
	v_add_f64 v[22:23], v[18:19], v[20:21]
	ds_read_b128 v[18:21], v1 offset:1232
	s_waitcnt vmcnt(58) lgkmcnt(1)
	v_mul_f64 v[24:25], v[14:15], v[148:149]
	v_accvgpr_write_b32 a159, v27
	s_waitcnt vmcnt(56)
	v_fmac_f64_e32 v[24:25], v[16:17], v[152:153]
	v_accvgpr_write_b32 a158, v26
	s_waitcnt lgkmcnt(0)
	v_mul_f64 v[28:29], v[18:19], v[128:129]
	v_add_f64 v[26:27], v[22:23], v[24:25]
	ds_read_b128 v[22:25], v1 offset:1248
	v_fmac_f64_e32 v[28:29], v[20:21], v[130:131]
	v_add_f64 v[30:31], v[26:27], v[28:29]
	ds_read_b128 v[26:29], v1 offset:1264
	v_fma_f64 v[6:7], v[94:95], v[54:55], -v[56:57]
	s_waitcnt vmcnt(50) lgkmcnt(1)
	v_mul_f64 v[32:33], v[22:23], v[156:157]
	s_waitcnt vmcnt(48)
	v_fmac_f64_e32 v[32:33], v[24:25], v[160:161]
	v_add_f64 v[34:35], v[30:31], v[32:33]
	s_waitcnt lgkmcnt(0)
	v_mul_f64 v[36:37], v[26:27], v[132:133]
	ds_read_b128 v[30:33], v1 offset:1280
	v_fmac_f64_e32 v[36:37], v[28:29], v[134:135]
	v_add_f64 v[38:39], v[34:35], v[36:37]
	ds_read_b128 v[34:37], v1 offset:1296
	v_fma_f64 v[94:95], v[108:109], v[58:59], -v[62:63]
	s_waitcnt vmcnt(42) lgkmcnt(1)
	v_mul_f64 v[40:41], v[30:31], v[164:165]
	s_waitcnt vmcnt(40)
	v_fmac_f64_e32 v[40:41], v[32:33], v[168:169]
	v_add_f64 v[42:43], v[38:39], v[40:41]
	s_waitcnt lgkmcnt(0)
	v_mul_f64 v[44:45], v[34:35], v[136:137]
	ds_read_b128 v[38:41], v1 offset:1312
	v_fmac_f64_e32 v[44:45], v[36:37], v[138:139]
	v_add_f64 v[46:47], v[42:43], v[44:45]
	ds_read_b128 v[42:45], v1 offset:1328
	v_mul_f64 v[58:59], v[114:115], v[60:61]
	s_waitcnt vmcnt(34) lgkmcnt(1)
	v_mul_f64 v[48:49], v[38:39], v[172:173]
	s_waitcnt vmcnt(32)
	v_fmac_f64_e32 v[48:49], v[40:41], v[176:177]
	v_add_f64 v[50:51], v[46:47], v[48:49]
	s_waitcnt lgkmcnt(0)
	v_mul_f64 v[52:53], v[42:43], v[142:143]
	v_fmac_f64_e32 v[52:53], v[44:45], v[146:147]
	ds_read_b128 v[46:49], v1 offset:1344
	v_add_f64 v[200:201], v[50:51], v[52:53]
	ds_read_b128 v[50:53], v1 offset:1360
	buffer_load_dword v9, off, s[0:3], 0 offset:684
	buffer_load_dword v8, off, s[0:3], 0 offset:680
	;; [unrolled: 1-line block ×4, first 2 shown]
	v_fma_f64 v[96:97], v[112:113], v[84:85], -v[58:59]
	s_waitcnt vmcnt(30) lgkmcnt(1)
	v_mul_f64 v[202:203], v[46:47], v[180:181]
	s_waitcnt vmcnt(28)
	v_fmac_f64_e32 v[202:203], v[48:49], v[182:183]
	v_add_f64 v[234:235], v[200:201], v[202:203]
	buffer_load_dword v202, off, s[0:3], 0 offset:696
	buffer_load_dword v204, off, s[0:3], 0 offset:688
	;; [unrolled: 1-line block ×12, first 2 shown]
	ds_read_b128 v[54:57], v1 offset:1376
	buffer_load_dword v221, off, s[0:3], 0 offset:748
	buffer_load_dword v220, off, s[0:3], 0 offset:744
	;; [unrolled: 1-line block ×12, first 2 shown]
	s_waitcnt lgkmcnt(1)
	v_mul_f64 v[4:5], v[50:51], v[150:151]
	v_fmac_f64_e32 v[4:5], v[52:53], v[154:155]
	v_mul_f64 v[58:59], v[214:215], v[68:69]
	v_add_f64 v[4:5], v[234:235], v[4:5]
	v_fma_f64 v[2:3], v[212:213], v[82:83], -v[58:59]
	buffer_load_dword v212, off, s[0:3], 0 offset:792
	buffer_load_dword v234, off, s[0:3], 0 offset:784
	;; [unrolled: 1-line block ×4, first 2 shown]
	s_waitcnt vmcnt(50) lgkmcnt(0)
	v_mul_f64 v[58:59], v[54:55], v[184:185]
	s_waitcnt vmcnt(48)
	v_fmac_f64_e32 v[58:59], v[56:57], v[186:187]
	v_add_f64 v[4:5], v[4:5], v[58:59]
	ds_read_b128 v[58:61], v1 offset:1392
	v_mul_f64 v[62:63], v[238:239], v[64:65]
	v_fma_f64 v[236:237], v[236:237], v[66:67], -v[62:63]
	ds_read_b128 v[62:65], v1 offset:1408
	v_mul_f64 v[66:67], v[242:243], v[70:71]
	v_fma_f64 v[240:241], v[240:241], v[72:73], -v[66:67]
	ds_read_b128 v[66:69], v1 offset:1424
	ds_read_b128 v[74:77], v1 offset:1456
	s_waitcnt lgkmcnt(3)
	v_mul_f64 v[82:83], v[58:59], v[158:159]
	v_fmac_f64_e32 v[82:83], v[60:61], v[162:163]
	s_waitcnt vmcnt(42) lgkmcnt(2)
	v_mul_f64 v[70:71], v[62:63], v[188:189]
	v_add_f64 v[4:5], v[4:5], v[82:83]
	s_waitcnt vmcnt(40)
	v_fmac_f64_e32 v[70:71], v[64:65], v[190:191]
	v_add_f64 v[4:5], v[4:5], v[70:71]
	s_waitcnt lgkmcnt(1)
	v_mul_f64 v[70:71], v[66:67], v[166:167]
	v_fmac_f64_e32 v[70:71], v[68:69], v[170:171]
	v_add_f64 v[4:5], v[4:5], v[70:71]
	ds_read_b128 v[70:73], v1 offset:1440
	ds_read_b128 v[78:81], v1 offset:1472
	;; [unrolled: 1-line block ×4, first 2 shown]
	v_mul_f64 v[100:101], v[100:101], v[102:103]
	s_waitcnt vmcnt(34) lgkmcnt(3)
	v_mul_f64 v[82:83], v[70:71], v[192:193]
	s_waitcnt vmcnt(32)
	v_fmac_f64_e32 v[82:83], v[72:73], v[194:195]
	v_add_f64 v[4:5], v[4:5], v[82:83]
	v_mul_f64 v[82:83], v[74:75], v[174:175]
	v_fmac_f64_e32 v[82:83], v[76:77], v[178:179]
	v_add_f64 v[4:5], v[4:5], v[82:83]
	v_fma_f64 v[254:255], v[98:99], v[104:105], -v[100:101]
	ds_read_b128 v[98:101], v1 offset:1552
	v_mul_f64 v[102:103], v[118:119], v[106:107]
	v_fma_f64 v[250:251], v[116:117], v[232:233], -v[102:103]
	ds_read_b128 v[102:105], v1 offset:1568
	v_add_f64 v[6:7], v[6:7], 0
	v_add_f64 v[6:7], v[6:7], v[94:95]
	;; [unrolled: 1-line block ×9, first 2 shown]
	v_accvgpr_read_b32 v6, a154
	ds_read_b128 v[86:89], v1 offset:1504
	v_add_f64 v[2:3], v[2:3], v[218:219]
	v_accvgpr_read_b32 v7, a155
	v_accvgpr_read_b32 v94, a156
	v_add_f64 v[252:253], v[2:3], v[254:255]
	v_mul_f64 v[6:7], v[122:123], v[6:7]
	v_accvgpr_read_b32 v95, a157
	v_add_f64 v[2:3], v[252:253], v[250:251]
	v_fma_f64 v[6:7], v[120:121], v[94:95], -v[6:7]
	v_add_f64 v[2:3], v[2:3], v[6:7]
	v_mul_f64 v[6:7], v[198:199], v[140:141]
	v_fma_f64 v[6:7], v[196:197], v[144:145], -v[6:7]
	v_add_f64 v[2:3], v[2:3], v[6:7]
	v_accvgpr_read_b32 v6, a158
	v_accvgpr_read_b32 v7, a159
	v_mul_f64 v[6:7], v[12:13], v[6:7]
	s_waitcnt vmcnt(30) lgkmcnt(5)
	v_mul_f64 v[82:83], v[78:79], v[8:9]
	v_fma_f64 v[6:7], v[10:11], v[126:127], -v[6:7]
	s_waitcnt vmcnt(28)
	v_fmac_f64_e32 v[82:83], v[80:81], v[124:125]
	v_add_f64 v[4:5], v[4:5], v[82:83]
	ds_read_b128 v[82:85], v1 offset:1488
	v_add_f64 v[2:3], v[2:3], v[6:7]
	s_waitcnt vmcnt(9) lgkmcnt(3)
	v_mul_f64 v[106:107], v[98:99], v[224:225]
	s_waitcnt vmcnt(8)
	v_fmac_f64_e32 v[106:107], v[100:101], v[226:227]
	v_mul_f64 v[6:7], v[16:17], v[148:149]
	s_waitcnt lgkmcnt(0)
	v_mul_f64 v[108:109], v[82:83], v[202:203]
	v_fmac_f64_e32 v[108:109], v[84:85], v[204:205]
	v_add_f64 v[4:5], v[4:5], v[108:109]
	v_mul_f64 v[108:109], v[86:87], v[206:207]
	v_fmac_f64_e32 v[108:109], v[88:89], v[210:211]
	v_add_f64 v[4:5], v[4:5], v[108:109]
	;; [unrolled: 3-line block ×4, first 2 shown]
	v_add_f64 v[4:5], v[4:5], v[106:107]
	s_waitcnt vmcnt(6)
	v_mul_f64 v[106:107], v[102:103], v[228:229]
	s_waitcnt vmcnt(4)
	v_fmac_f64_e32 v[106:107], v[104:105], v[230:231]
	v_add_f64 v[4:5], v[4:5], v[106:107]
	ds_read_b128 v[106:109], v1 offset:1584
	v_fma_f64 v[6:7], v[14:15], v[152:153], -v[6:7]
	v_add_f64 v[2:3], v[2:3], v[6:7]
	v_mul_f64 v[6:7], v[20:21], v[128:129]
	v_fma_f64 v[6:7], v[18:19], v[130:131], -v[6:7]
	s_waitcnt vmcnt(1) lgkmcnt(0)
	v_mul_f64 v[110:111], v[106:107], v[212:213]
	s_waitcnt vmcnt(0)
	v_fmac_f64_e32 v[110:111], v[108:109], v[234:235]
	v_add_f64 v[114:115], v[4:5], v[110:111]
	buffer_load_dword v5, off, s[0:3], 0 offset:812
	buffer_load_dword v4, off, s[0:3], 0 offset:808
	;; [unrolled: 1-line block ×4, first 2 shown]
	ds_read_b128 v[110:113], v1 offset:1600
	buffer_load_dword v242, off, s[0:3], 0 offset:824
	buffer_load_dword v243, off, s[0:3], 0 offset:828
	;; [unrolled: 1-line block ×4, first 2 shown]
	v_add_f64 v[2:3], v[2:3], v[6:7]
	v_mul_f64 v[6:7], v[24:25], v[156:157]
	v_fma_f64 v[6:7], v[22:23], v[160:161], -v[6:7]
	v_add_f64 v[2:3], v[2:3], v[6:7]
	v_mul_f64 v[6:7], v[28:29], v[132:133]
	v_fma_f64 v[6:7], v[26:27], v[134:135], -v[6:7]
	;; [unrolled: 3-line block ×22, first 2 shown]
	v_add_f64 v[2:3], v[2:3], v[6:7]
	s_waitcnt vmcnt(6) lgkmcnt(0)
	v_mul_f64 v[116:117], v[110:111], v[4:5]
	v_mul_f64 v[4:5], v[112:113], v[4:5]
	s_waitcnt vmcnt(4)
	v_fmac_f64_e32 v[116:117], v[112:113], v[238:239]
	v_add_f64 v[118:119], v[114:115], v[116:117]
	ds_read_b128 v[114:117], v1 offset:1616
	buffer_load_dword v248, off, s[0:3], 0 offset:160
	buffer_load_dword v249, off, s[0:3], 0 offset:164
	;; [unrolled: 1-line block ×4, first 2 shown]
	v_fma_f64 v[4:5], v[110:111], v[238:239], -v[4:5]
	v_add_f64 v[2:3], v[2:3], v[4:5]
	s_waitcnt vmcnt(6) lgkmcnt(0)
	v_mul_f64 v[4:5], v[116:117], v[242:243]
	v_mul_f64 v[232:233], v[114:115], v[242:243]
	s_waitcnt vmcnt(4)
	v_fma_f64 v[4:5], v[114:115], v[244:245], -v[4:5]
	v_fmac_f64_e32 v[232:233], v[116:117], v[244:245]
	v_add_f64 v[2:3], v[2:3], v[4:5]
	v_add_f64 v[118:119], v[118:119], v[232:233]
	s_waitcnt vmcnt(2)
	v_add_f64 v[2:3], v[248:249], -v[2:3]
	s_waitcnt vmcnt(0)
	v_add_f64 v[4:5], v[246:247], -v[118:119]
	buffer_store_dword v3, off, s[0:3], 0 offset:164
	buffer_store_dword v2, off, s[0:3], 0 offset:160
	;; [unrolled: 1-line block ×4, first 2 shown]
	s_and_saveexec_b64 s[4:5], vcc
	s_cbranch_execz .LBB50_303
; %bb.302:
	v_accvgpr_read_b32 v0, a144
	buffer_load_dword v2, v0, s[0:3], 0 offen
	buffer_load_dword v3, v0, s[0:3], 0 offen offset:4
	buffer_load_dword v4, v0, s[0:3], 0 offen offset:8
	;; [unrolled: 1-line block ×3, first 2 shown]
	v_accvgpr_read_b32 v0, a153
	buffer_store_dword v1, off, s[0:3], 0 offset:144
	buffer_store_dword v1, off, s[0:3], 0 offset:148
	;; [unrolled: 1-line block ×4, first 2 shown]
	s_waitcnt vmcnt(4)
	ds_write_b128 v0, v[2:5]
.LBB50_303:
	s_or_b64 exec, exec, s[4:5]
	s_waitcnt lgkmcnt(0)
	; wave barrier
	s_waitcnt lgkmcnt(0)
	buffer_load_dword v58, off, s[0:3], 0 offset:160
	buffer_load_dword v59, off, s[0:3], 0 offset:164
	;; [unrolled: 1-line block ×42, first 2 shown]
	ds_read_b128 v[110:113], v1 offset:960
	ds_read_b128 v[114:117], v1 offset:976
	;; [unrolled: 1-line block ×10, first 2 shown]
	buffer_load_dword v221, off, s[0:3], 0 offset:308
	buffer_load_dword v220, off, s[0:3], 0 offset:304
	ds_read_b128 v[90:93], v1 offset:1120
	buffer_load_dword v105, off, s[0:3], 0 offset:364
	buffer_load_dword v104, off, s[0:3], 0 offset:360
	;; [unrolled: 1-line block ×6, first 2 shown]
	s_waitcnt vmcnt(46) lgkmcnt(10)
	v_mul_f64 v[2:3], v[110:111], v[60:61]
	v_fmac_f64_e32 v[2:3], v[112:113], v[58:59]
	v_add_f64 v[2:3], v[2:3], 0
	v_mul_f64 v[60:61], v[112:113], v[60:61]
	s_waitcnt vmcnt(42) lgkmcnt(9)
	v_mul_f64 v[4:5], v[114:115], v[62:63]
	v_fmac_f64_e32 v[4:5], v[116:117], v[56:57]
	v_add_f64 v[2:3], v[2:3], v[4:5]
	buffer_load_dword v223, off, s[0:3], 0 offset:340
	buffer_load_dword v222, off, s[0:3], 0 offset:336
	;; [unrolled: 1-line block ×4, first 2 shown]
	s_waitcnt vmcnt(44) lgkmcnt(8)
	v_mul_f64 v[6:7], v[212:213], v[54:55]
	s_waitcnt vmcnt(42) lgkmcnt(6)
	v_mul_f64 v[10:11], v[232:233], v[64:65]
	s_waitcnt vmcnt(40)
	v_fmac_f64_e32 v[10:11], v[234:235], v[66:67]
	v_mul_f64 v[54:55], v[214:215], v[54:55]
	s_waitcnt vmcnt(38)
	v_mul_f64 v[8:9], v[216:217], v[68:69]
	s_waitcnt vmcnt(36) lgkmcnt(4)
	v_mul_f64 v[14:15], v[240:241], v[70:71]
	s_waitcnt vmcnt(34)
	v_fmac_f64_e32 v[14:15], v[242:243], v[72:73]
	s_waitcnt vmcnt(32)
	v_mul_f64 v[12:13], v[236:237], v[74:75]
	s_waitcnt vmcnt(30) lgkmcnt(2)
	v_mul_f64 v[18:19], v[248:249], v[78:79]
	v_mul_f64 v[78:79], v[250:251], v[78:79]
	s_waitcnt vmcnt(27)
	v_mul_f64 v[16:17], v[244:245], v[76:77]
	s_waitcnt vmcnt(25) lgkmcnt(1)
	v_mul_f64 v[20:21], v[82:83], v[86:87]
	s_waitcnt vmcnt(23)
	v_fmac_f64_e32 v[6:7], v[214:215], v[100:101]
	v_add_f64 v[2:3], v[2:3], v[6:7]
	s_waitcnt vmcnt(21)
	v_fmac_f64_e32 v[8:9], v[218:219], v[98:99]
	v_add_f64 v[2:3], v[2:3], v[8:9]
	;; [unrolled: 3-line block ×3, first 2 shown]
	v_add_f64 v[2:3], v[2:3], v[12:13]
	s_waitcnt vmcnt(17)
	v_fmac_f64_e32 v[16:17], v[246:247], v[88:89]
	v_add_f64 v[2:3], v[2:3], v[14:15]
	s_waitcnt vmcnt(16)
	v_fmac_f64_e32 v[18:19], v[250:251], v[80:81]
	v_add_f64 v[2:3], v[2:3], v[16:17]
	v_add_f64 v[2:3], v[2:3], v[18:19]
	v_fma_f64 v[212:213], v[212:213], v[100:101], -v[54:55]
	s_waitcnt vmcnt(10)
	v_fmac_f64_e32 v[20:21], v[84:85], v[220:221]
	v_add_f64 v[2:3], v[2:3], v[20:21]
	v_mul_f64 v[54:55], v[218:219], v[68:69]
	v_fma_f64 v[54:55], v[216:217], v[98:99], -v[54:55]
	v_fma_f64 v[248:249], v[248:249], v[80:81], -v[78:79]
	v_mul_f64 v[84:85], v[84:85], v[86:87]
	v_fma_f64 v[220:221], v[82:83], v[220:221], -v[84:85]
	s_waitcnt vmcnt(0)
	v_pk_mov_b32 v[18:19], v[4:5], v[4:5] op_sel:[0,1]
	buffer_load_dword v5, off, s[0:3], 0 offset:388
	buffer_load_dword v4, off, s[0:3], 0 offset:384
	v_accvgpr_write_b32 a155, v19
	v_accvgpr_write_b32 a154, v18
	s_waitcnt vmcnt(0)
	v_pk_mov_b32 v[22:23], v[4:5], v[4:5] op_sel:[0,1]
	buffer_load_dword v137, off, s[0:3], 0 offset:380
	buffer_load_dword v136, off, s[0:3], 0 offset:376
	;; [unrolled: 1-line block ×6, first 2 shown]
	v_accvgpr_write_b32 a157, v23
	v_accvgpr_write_b32 a156, v22
	s_waitcnt vmcnt(0)
	v_pk_mov_b32 v[26:27], v[4:5], v[4:5] op_sel:[0,1]
	buffer_load_dword v5, off, s[0:3], 0 offset:420
	buffer_load_dword v4, off, s[0:3], 0 offset:416
	v_accvgpr_write_b32 a159, v27
	v_accvgpr_write_b32 a158, v26
	s_waitcnt vmcnt(0)
	v_pk_mov_b32 v[28:29], v[4:5], v[4:5] op_sel:[0,1]
	buffer_load_dword v145, off, s[0:3], 0 offset:412
	buffer_load_dword v144, off, s[0:3], 0 offset:408
	;; [unrolled: 1-line block ×6, first 2 shown]
	v_accvgpr_write_b32 a161, v29
	v_accvgpr_write_b32 a160, v28
	s_waitcnt vmcnt(0)
	v_pk_mov_b32 v[34:35], v[4:5], v[4:5] op_sel:[0,1]
	buffer_load_dword v5, off, s[0:3], 0 offset:452
	buffer_load_dword v4, off, s[0:3], 0 offset:448
	;; [unrolled: 1-line block ×54, first 2 shown]
	ds_read_b128 v[252:255], v1 offset:1136
	ds_read_b128 v[118:121], v1 offset:1152
	;; [unrolled: 1-line block ×5, first 2 shown]
	v_accvgpr_write_b32 a163, v35
	s_waitcnt lgkmcnt(3)
	v_mul_f64 v[8:9], v[118:119], v[104:105]
	v_fmac_f64_e32 v[8:9], v[120:121], v[106:107]
	s_waitcnt lgkmcnt(2)
	v_mul_f64 v[12:13], v[126:127], v[136:137]
	v_fmac_f64_e32 v[12:13], v[128:129], v[140:141]
	;; [unrolled: 3-line block ×3, first 2 shown]
	v_accvgpr_write_b32 a162, v34
	s_waitcnt vmcnt(52)
	v_pk_mov_b32 v[36:37], v[4:5], v[4:5] op_sel:[0,1]
	v_mul_f64 v[4:5], v[90:91], v[96:97]
	v_fmac_f64_e32 v[4:5], v[92:93], v[102:103]
	v_add_f64 v[2:3], v[2:3], v[4:5]
	v_mul_f64 v[4:5], v[252:253], v[108:109]
	v_fmac_f64_e32 v[4:5], v[254:255], v[222:223]
	v_add_f64 v[6:7], v[2:3], v[4:5]
	v_add_f64 v[10:11], v[6:7], v[8:9]
	;; [unrolled: 1-line block ×4, first 2 shown]
	ds_read_b128 v[14:17], v1 offset:1216
	s_waitcnt lgkmcnt(1)
	v_mul_f64 v[20:21], v[122:123], v[144:145]
	v_fmac_f64_e32 v[20:21], v[124:125], v[148:149]
	v_add_f64 v[22:23], v[18:19], v[20:21]
	ds_read_b128 v[18:21], v1 offset:1232
	s_waitcnt lgkmcnt(1)
	v_mul_f64 v[24:25], v[14:15], v[26:27]
	v_fmac_f64_e32 v[24:25], v[16:17], v[28:29]
	v_add_f64 v[26:27], v[22:23], v[24:25]
	ds_read_b128 v[22:25], v1 offset:1248
	s_waitcnt vmcnt(50) lgkmcnt(1)
	v_mul_f64 v[28:29], v[18:19], v[152:153]
	s_waitcnt vmcnt(48)
	v_fmac_f64_e32 v[28:29], v[20:21], v[156:157]
	v_add_f64 v[30:31], v[26:27], v[28:29]
	ds_read_b128 v[26:29], v1 offset:1264
	s_waitcnt lgkmcnt(1)
	v_mul_f64 v[32:33], v[22:23], v[34:35]
	v_fmac_f64_e32 v[32:33], v[24:25], v[36:37]
	v_accvgpr_write_b32 a165, v37
	v_accvgpr_write_b32 a164, v36
	v_add_f64 v[34:35], v[30:31], v[32:33]
	ds_read_b128 v[30:33], v1 offset:1280
	s_waitcnt vmcnt(42) lgkmcnt(1)
	v_mul_f64 v[36:37], v[26:27], v[160:161]
	s_waitcnt vmcnt(40)
	v_fmac_f64_e32 v[36:37], v[28:29], v[164:165]
	v_add_f64 v[38:39], v[34:35], v[36:37]
	ds_read_b128 v[34:37], v1 offset:1296
	s_waitcnt lgkmcnt(1)
	v_mul_f64 v[40:41], v[30:31], v[132:133]
	v_fmac_f64_e32 v[40:41], v[32:33], v[134:135]
	v_add_f64 v[42:43], v[38:39], v[40:41]
	ds_read_b128 v[38:41], v1 offset:1312
	s_waitcnt vmcnt(34) lgkmcnt(1)
	v_mul_f64 v[44:45], v[34:35], v[168:169]
	s_waitcnt vmcnt(32)
	v_fmac_f64_e32 v[44:45], v[36:37], v[172:173]
	v_add_f64 v[46:47], v[42:43], v[44:45]
	ds_read_b128 v[42:45], v1 offset:1328
	s_waitcnt lgkmcnt(1)
	v_mul_f64 v[48:49], v[38:39], v[138:139]
	v_fmac_f64_e32 v[48:49], v[40:41], v[142:143]
	v_add_f64 v[50:51], v[46:47], v[48:49]
	ds_read_b128 v[46:49], v1 offset:1344
	s_waitcnt vmcnt(26) lgkmcnt(1)
	v_mul_f64 v[52:53], v[42:43], v[176:177]
	s_waitcnt vmcnt(24)
	v_fmac_f64_e32 v[52:53], v[44:45], v[178:179]
	v_add_f64 v[2:3], v[50:51], v[52:53]
	ds_read_b128 v[50:53], v1 offset:1360
	buffer_load_dword v13, off, s[0:3], 0 offset:668
	buffer_load_dword v12, off, s[0:3], 0 offset:664
	;; [unrolled: 1-line block ×32, first 2 shown]
	s_waitcnt lgkmcnt(1)
	v_mul_f64 v[4:5], v[46:47], v[146:147]
	v_fma_f64 v[6:7], v[110:111], v[58:59], -v[60:61]
	v_mul_f64 v[58:59], v[116:117], v[62:63]
	v_fmac_f64_e32 v[4:5], v[48:49], v[150:151]
	v_fma_f64 v[224:225], v[114:115], v[56:57], -v[58:59]
	v_add_f64 v[56:57], v[2:3], v[4:5]
	v_mul_f64 v[2:3], v[234:235], v[64:65]
	v_fma_f64 v[2:3], v[232:233], v[66:67], -v[2:3]
	buffer_load_dword v233, off, s[0:3], 0 offset:796
	buffer_load_dword v232, off, s[0:3], 0 offset:792
	buffer_load_dword v235, off, s[0:3], 0 offset:788
	buffer_load_dword v234, off, s[0:3], 0 offset:784
	ds_read_b128 v[8:11], v1 offset:1376
	ds_read_b128 v[58:61], v1 offset:1392
	s_waitcnt vmcnt(54) lgkmcnt(2)
	v_mul_f64 v[4:5], v[50:51], v[180:181]
	s_waitcnt vmcnt(52)
	v_fmac_f64_e32 v[4:5], v[52:53], v[182:183]
	v_add_f64 v[4:5], v[56:57], v[4:5]
	s_waitcnt lgkmcnt(1)
	v_mul_f64 v[62:63], v[8:9], v[154:155]
	v_fmac_f64_e32 v[62:63], v[10:11], v[158:159]
	v_add_f64 v[4:5], v[4:5], v[62:63]
	ds_read_b128 v[62:65], v1 offset:1408
	v_mul_f64 v[66:67], v[242:243], v[70:71]
	s_waitcnt vmcnt(46) lgkmcnt(1)
	v_mul_f64 v[70:71], v[58:59], v[184:185]
	v_fma_f64 v[240:241], v[240:241], v[72:73], -v[66:67]
	ds_read_b128 v[66:69], v1 offset:1424
	s_waitcnt vmcnt(44)
	v_fmac_f64_e32 v[70:71], v[60:61], v[186:187]
	v_add_f64 v[4:5], v[4:5], v[70:71]
	v_mul_f64 v[70:71], v[246:247], v[76:77]
	v_fma_f64 v[246:247], v[244:245], v[88:89], -v[70:71]
	ds_read_b128 v[70:73], v1 offset:1440
	ds_read_b128 v[78:81], v1 offset:1472
	v_mul_f64 v[56:57], v[238:239], v[74:75]
	s_waitcnt lgkmcnt(3)
	v_mul_f64 v[74:75], v[62:63], v[162:163]
	v_fmac_f64_e32 v[74:75], v[64:65], v[166:167]
	v_add_f64 v[4:5], v[4:5], v[74:75]
	s_waitcnt vmcnt(38) lgkmcnt(2)
	v_mul_f64 v[74:75], v[66:67], v[188:189]
	s_waitcnt vmcnt(36)
	v_fmac_f64_e32 v[74:75], v[68:69], v[190:191]
	v_add_f64 v[4:5], v[4:5], v[74:75]
	s_waitcnt lgkmcnt(1)
	v_mul_f64 v[74:75], v[70:71], v[170:171]
	v_fmac_f64_e32 v[74:75], v[72:73], v[174:175]
	v_add_f64 v[4:5], v[4:5], v[74:75]
	ds_read_b128 v[74:77], v1 offset:1456
	ds_read_b128 v[82:85], v1 offset:1488
	v_mul_f64 v[92:93], v[92:93], v[96:97]
	v_fma_f64 v[250:251], v[90:91], v[102:103], -v[92:93]
	v_fma_f64 v[56:57], v[236:237], v[94:95], -v[56:57]
	ds_read_b128 v[98:101], v1 offset:1536
	v_mul_f64 v[96:97], v[254:255], v[108:109]
	v_fma_f64 v[222:223], v[252:253], v[222:223], -v[96:97]
	v_mul_f64 v[102:103], v[120:121], v[104:105]
	v_fma_f64 v[252:253], v[118:119], v[106:107], -v[102:103]
	ds_read_b128 v[102:105], v1 offset:1568
	v_add_f64 v[6:7], v[6:7], 0
	v_add_f64 v[6:7], v[6:7], v[224:225]
	;; [unrolled: 1-line block ×8, first 2 shown]
	ds_read_b128 v[90:93], v1 offset:1520
	v_add_f64 v[2:3], v[2:3], v[248:249]
	v_add_f64 v[2:3], v[2:3], v[220:221]
	;; [unrolled: 1-line block ×4, first 2 shown]
	v_mul_f64 v[6:7], v[128:129], v[136:137]
	v_add_f64 v[2:3], v[2:3], v[252:253]
	v_fma_f64 v[6:7], v[126:127], v[140:141], -v[6:7]
	v_add_f64 v[2:3], v[2:3], v[6:7]
	s_waitcnt vmcnt(25) lgkmcnt(3)
	v_mul_f64 v[94:95], v[82:83], v[202:203]
	s_waitcnt vmcnt(23)
	v_fmac_f64_e32 v[94:95], v[84:85], v[208:209]
	v_mul_f64 v[88:89], v[74:75], v[12:13]
	v_fmac_f64_e32 v[88:89], v[76:77], v[130:131]
	v_mul_f64 v[86:87], v[78:79], v[198:199]
	v_add_f64 v[4:5], v[4:5], v[88:89]
	v_fmac_f64_e32 v[86:87], v[80:81], v[200:201]
	v_add_f64 v[4:5], v[4:5], v[86:87]
	ds_read_b128 v[86:89], v1 offset:1504
	v_add_f64 v[4:5], v[4:5], v[94:95]
	s_waitcnt vmcnt(22) lgkmcnt(0)
	v_mul_f64 v[94:95], v[86:87], v[196:197]
	s_waitcnt vmcnt(20)
	v_fmac_f64_e32 v[94:95], v[88:89], v[206:207]
	v_add_f64 v[4:5], v[4:5], v[94:95]
	s_waitcnt vmcnt(18)
	v_mul_f64 v[94:95], v[90:91], v[204:205]
	s_waitcnt vmcnt(16)
	v_fmac_f64_e32 v[94:95], v[92:93], v[210:211]
	v_add_f64 v[4:5], v[4:5], v[94:95]
	ds_read_b128 v[94:97], v1 offset:1552
	s_waitcnt vmcnt(13)
	v_mul_f64 v[106:107], v[98:99], v[214:215]
	s_waitcnt vmcnt(12)
	v_fmac_f64_e32 v[106:107], v[100:101], v[216:217]
	v_add_f64 v[4:5], v[4:5], v[106:107]
	s_waitcnt vmcnt(9) lgkmcnt(0)
	v_mul_f64 v[106:107], v[94:95], v[228:229]
	s_waitcnt vmcnt(7)
	v_fmac_f64_e32 v[106:107], v[96:97], v[230:231]
	v_add_f64 v[4:5], v[4:5], v[106:107]
	s_waitcnt vmcnt(5)
	v_mul_f64 v[106:107], v[102:103], v[218:219]
	s_waitcnt vmcnt(4)
	v_fmac_f64_e32 v[106:107], v[104:105], v[226:227]
	v_add_f64 v[4:5], v[4:5], v[106:107]
	ds_read_b128 v[106:109], v1 offset:1584
	buffer_load_dword v236, off, s[0:3], 0 offset:808
	buffer_load_dword v237, off, s[0:3], 0 offset:812
	;; [unrolled: 1-line block ×4, first 2 shown]
	s_waitcnt vmcnt(6) lgkmcnt(0)
	v_mul_f64 v[110:111], v[106:107], v[232:233]
	s_waitcnt vmcnt(4)
	v_fmac_f64_e32 v[110:111], v[108:109], v[234:235]
	v_add_f64 v[4:5], v[4:5], v[110:111]
	ds_read_b128 v[110:113], v1 offset:1600
	buffer_load_dword v243, off, s[0:3], 0 offset:828
	buffer_load_dword v242, off, s[0:3], 0 offset:824
	;; [unrolled: 1-line block ×4, first 2 shown]
	s_waitcnt vmcnt(6) lgkmcnt(0)
	v_mul_f64 v[114:115], v[110:111], v[236:237]
	s_waitcnt vmcnt(4)
	v_fmac_f64_e32 v[114:115], v[112:113], v[238:239]
	v_add_f64 v[4:5], v[4:5], v[114:115]
	ds_read_b128 v[114:117], v1 offset:1616
	buffer_load_dword v248, off, s[0:3], 0 offset:144
	buffer_load_dword v249, off, s[0:3], 0 offset:148
	;; [unrolled: 1-line block ×4, first 2 shown]
	v_accvgpr_read_b32 v0, a154
	v_accvgpr_read_b32 v1, a155
	v_mul_f64 v[6:7], v[194:195], v[0:1]
	v_accvgpr_read_b32 v0, a156
	v_accvgpr_read_b32 v1, a157
	v_fma_f64 v[6:7], v[192:193], v[0:1], -v[6:7]
	v_add_f64 v[2:3], v[2:3], v[6:7]
	v_mul_f64 v[6:7], v[124:125], v[144:145]
	v_accvgpr_read_b32 v0, a158
	v_fma_f64 v[6:7], v[122:123], v[148:149], -v[6:7]
	v_accvgpr_read_b32 v1, a159
	v_add_f64 v[2:3], v[2:3], v[6:7]
	v_mul_f64 v[6:7], v[16:17], v[0:1]
	v_accvgpr_read_b32 v0, a160
	v_accvgpr_read_b32 v1, a161
	v_fma_f64 v[6:7], v[14:15], v[0:1], -v[6:7]
	v_add_f64 v[2:3], v[2:3], v[6:7]
	v_mul_f64 v[6:7], v[20:21], v[152:153]
	v_accvgpr_read_b32 v0, a162
	v_fma_f64 v[6:7], v[18:19], v[156:157], -v[6:7]
	v_accvgpr_read_b32 v1, a163
	v_add_f64 v[2:3], v[2:3], v[6:7]
	v_mul_f64 v[6:7], v[24:25], v[0:1]
	v_accvgpr_read_b32 v0, a164
	v_accvgpr_read_b32 v1, a165
	v_fma_f64 v[6:7], v[22:23], v[0:1], -v[6:7]
	v_add_f64 v[2:3], v[2:3], v[6:7]
	v_mul_f64 v[6:7], v[28:29], v[160:161]
	v_fma_f64 v[6:7], v[26:27], v[164:165], -v[6:7]
	v_add_f64 v[2:3], v[2:3], v[6:7]
	v_mul_f64 v[6:7], v[32:33], v[132:133]
	;; [unrolled: 3-line block ×22, first 2 shown]
	v_fma_f64 v[6:7], v[110:111], v[238:239], -v[6:7]
	v_add_f64 v[2:3], v[2:3], v[6:7]
	s_waitcnt vmcnt(6) lgkmcnt(0)
	v_mul_f64 v[6:7], v[116:117], v[242:243]
	v_mul_f64 v[118:119], v[114:115], v[242:243]
	s_waitcnt vmcnt(4)
	v_fma_f64 v[6:7], v[114:115], v[244:245], -v[6:7]
	v_fmac_f64_e32 v[118:119], v[116:117], v[244:245]
	v_add_f64 v[2:3], v[2:3], v[6:7]
	v_accvgpr_read_b32 v0, a152
	v_add_f64 v[4:5], v[4:5], v[118:119]
	s_waitcnt vmcnt(2)
	v_add_f64 v[2:3], v[248:249], -v[2:3]
	v_cmp_lt_u32_e32 vcc, 7, v0
	s_waitcnt vmcnt(0)
	v_add_f64 v[4:5], v[246:247], -v[4:5]
	buffer_store_dword v3, off, s[0:3], 0 offset:148
	buffer_store_dword v2, off, s[0:3], 0 offset:144
	;; [unrolled: 1-line block ×4, first 2 shown]
	s_and_saveexec_b64 s[4:5], vcc
	s_cbranch_execz .LBB50_305
; %bb.304:
	v_accvgpr_read_b32 v0, a145
	buffer_load_dword v2, v0, s[0:3], 0 offen
	buffer_load_dword v3, v0, s[0:3], 0 offen offset:4
	buffer_load_dword v4, v0, s[0:3], 0 offen offset:8
	;; [unrolled: 1-line block ×3, first 2 shown]
	v_mov_b32_e32 v0, 0
	v_accvgpr_read_b32 v1, a153
	buffer_store_dword v0, off, s[0:3], 0 offset:128
	buffer_store_dword v0, off, s[0:3], 0 offset:132
	;; [unrolled: 1-line block ×4, first 2 shown]
	s_waitcnt vmcnt(4)
	ds_write_b128 v1, v[2:5]
.LBB50_305:
	s_or_b64 exec, exec, s[4:5]
	s_waitcnt lgkmcnt(0)
	; wave barrier
	s_waitcnt lgkmcnt(0)
	buffer_load_dword v50, off, s[0:3], 0 offset:144
	buffer_load_dword v51, off, s[0:3], 0 offset:148
	;; [unrolled: 1-line block ×54, first 2 shown]
	v_mov_b32_e32 v1, 0
	ds_read_b128 v[102:105], v1 offset:944
	ds_read_b128 v[106:109], v1 offset:960
	;; [unrolled: 1-line block ×9, first 2 shown]
	v_accvgpr_read_b32 v0, a152
	v_cmp_lt_u32_e32 vcc, 6, v0
	s_waitcnt vmcnt(46) lgkmcnt(7)
	v_mul_f64 v[4:5], v[106:107], v[58:59]
	v_fmac_f64_e32 v[4:5], v[108:109], v[52:53]
	s_waitcnt vmcnt(44) lgkmcnt(6)
	v_mul_f64 v[6:7], v[110:111], v[204:205]
	s_waitcnt vmcnt(42) lgkmcnt(4)
	v_mul_f64 v[10:11], v[208:209], v[62:63]
	s_waitcnt vmcnt(40)
	v_fmac_f64_e32 v[10:11], v[210:211], v[60:61]
	s_waitcnt vmcnt(38)
	v_mul_f64 v[8:9], v[114:115], v[64:65]
	s_waitcnt vmcnt(36) lgkmcnt(2)
	v_mul_f64 v[14:15], v[216:217], v[66:67]
	s_waitcnt vmcnt(34)
	v_fmac_f64_e32 v[14:15], v[218:219], v[70:71]
	s_waitcnt vmcnt(32)
	;; [unrolled: 6-line block ×3, first 2 shown]
	v_fmac_f64_e32 v[8:9], v[116:117], v[80:81]
	s_waitcnt vmcnt(24)
	v_fmac_f64_e32 v[12:13], v[214:215], v[78:79]
	s_waitcnt vmcnt(22)
	;; [unrolled: 2-line block ×3, first 2 shown]
	v_pk_mov_b32 v[18:19], v[2:3], v[2:3] op_sel:[0,1]
	v_mul_f64 v[2:3], v[102:103], v[56:57]
	v_fmac_f64_e32 v[2:3], v[104:105], v[50:51]
	v_add_f64 v[2:3], v[2:3], 0
	v_add_f64 v[2:3], v[2:3], v[4:5]
	buffer_load_dword v5, off, s[0:3], 0 offset:372
	buffer_load_dword v4, off, s[0:3], 0 offset:368
	v_add_f64 v[2:3], v[2:3], v[6:7]
	v_add_f64 v[2:3], v[2:3], v[8:9]
	v_add_f64 v[2:3], v[2:3], v[10:11]
	v_add_f64 v[2:3], v[2:3], v[12:13]
	v_add_f64 v[2:3], v[2:3], v[14:15]
	v_add_f64 v[2:3], v[2:3], v[16:17]
	v_accvgpr_write_b32 a155, v19
	v_accvgpr_write_b32 a154, v18
	s_waitcnt vmcnt(0)
	v_pk_mov_b32 v[14:15], v[4:5], v[4:5] op_sel:[0,1]
	buffer_load_dword v55, off, s[0:3], 0 offset:364
	buffer_load_dword v54, off, s[0:3], 0 offset:360
	;; [unrolled: 1-line block ×6, first 2 shown]
	v_accvgpr_write_b32 a157, v15
	v_accvgpr_write_b32 a156, v14
	s_waitcnt vmcnt(0)
	v_pk_mov_b32 v[22:23], v[4:5], v[4:5] op_sel:[0,1]
	buffer_load_dword v5, off, s[0:3], 0 offset:404
	buffer_load_dword v4, off, s[0:3], 0 offset:400
	v_accvgpr_write_b32 a159, v23
	v_accvgpr_write_b32 a158, v22
	s_waitcnt vmcnt(0)
	v_pk_mov_b32 v[24:25], v[4:5], v[4:5] op_sel:[0,1]
	buffer_load_dword v141, off, s[0:3], 0 offset:396
	buffer_load_dword v140, off, s[0:3], 0 offset:392
	;; [unrolled: 1-line block ×52, first 2 shown]
	ds_read_b128 v[240:243], v1 offset:1088
	ds_read_b128 v[244:247], v1 offset:1104
	;; [unrolled: 1-line block ×7, first 2 shown]
	v_accvgpr_write_b32 a161, v25
	v_accvgpr_write_b32 a160, v24
	s_waitcnt lgkmcnt(2)
	v_mul_f64 v[8:9], v[118:119], v[54:55]
	v_fmac_f64_e32 v[8:9], v[120:121], v[200:201]
	s_waitcnt lgkmcnt(1)
	v_mul_f64 v[12:13], v[126:127], v[18:19]
	v_fmac_f64_e32 v[12:13], v[128:129], v[14:15]
	v_mul_f64 v[54:55], v[120:121], v[54:55]
	s_waitcnt vmcnt(46)
	v_pk_mov_b32 v[30:31], v[4:5], v[4:5] op_sel:[0,1]
	v_mul_f64 v[4:5], v[236:237], v[74:75]
	v_fmac_f64_e32 v[4:5], v[238:239], v[84:85]
	v_add_f64 v[2:3], v[2:3], v[4:5]
	v_mul_f64 v[4:5], v[240:241], v[90:91]
	v_fmac_f64_e32 v[4:5], v[242:243], v[92:93]
	v_add_f64 v[2:3], v[2:3], v[4:5]
	v_mul_f64 v[4:5], v[244:245], v[86:87]
	v_fmac_f64_e32 v[4:5], v[246:247], v[88:89]
	v_add_f64 v[2:3], v[2:3], v[4:5]
	v_mul_f64 v[4:5], v[248:249], v[98:99]
	v_fmac_f64_e32 v[4:5], v[250:251], v[100:101]
	v_add_f64 v[2:3], v[2:3], v[4:5]
	v_mul_f64 v[4:5], v[252:253], v[94:95]
	v_fmac_f64_e32 v[4:5], v[254:255], v[96:97]
	v_add_f64 v[6:7], v[2:3], v[4:5]
	v_add_f64 v[10:11], v[6:7], v[8:9]
	v_add_f64 v[14:15], v[10:11], v[12:13]
	ds_read_b128 v[10:13], v1 offset:1200
	s_waitcnt lgkmcnt(1)
	v_mul_f64 v[16:17], v[122:123], v[140:141]
	v_fmac_f64_e32 v[16:17], v[124:125], v[144:145]
	v_add_f64 v[18:19], v[14:15], v[16:17]
	ds_read_b128 v[14:17], v1 offset:1216
	s_waitcnt lgkmcnt(1)
	v_mul_f64 v[20:21], v[10:11], v[22:23]
	v_fmac_f64_e32 v[20:21], v[12:13], v[24:25]
	v_add_f64 v[22:23], v[18:19], v[20:21]
	ds_read_b128 v[18:21], v1 offset:1232
	s_waitcnt vmcnt(42) lgkmcnt(1)
	v_mul_f64 v[24:25], v[14:15], v[148:149]
	s_waitcnt vmcnt(40)
	v_fmac_f64_e32 v[24:25], v[16:17], v[152:153]
	v_add_f64 v[26:27], v[22:23], v[24:25]
	ds_read_b128 v[22:25], v1 offset:1248
	s_waitcnt lgkmcnt(1)
	v_mul_f64 v[28:29], v[18:19], v[30:31]
	v_accvgpr_write_b32 a163, v31
	v_fmac_f64_e32 v[28:29], v[20:21], v[130:131]
	v_accvgpr_write_b32 a162, v30
	v_add_f64 v[30:31], v[26:27], v[28:29]
	ds_read_b128 v[26:29], v1 offset:1264
	s_waitcnt vmcnt(34) lgkmcnt(1)
	v_mul_f64 v[32:33], v[22:23], v[156:157]
	s_waitcnt vmcnt(32)
	v_fmac_f64_e32 v[32:33], v[24:25], v[160:161]
	v_add_f64 v[34:35], v[30:31], v[32:33]
	ds_read_b128 v[30:33], v1 offset:1280
	s_waitcnt lgkmcnt(1)
	v_mul_f64 v[36:37], v[26:27], v[132:133]
	v_fmac_f64_e32 v[36:37], v[28:29], v[134:135]
	v_add_f64 v[38:39], v[34:35], v[36:37]
	ds_read_b128 v[34:37], v1 offset:1296
	s_waitcnt vmcnt(26) lgkmcnt(1)
	v_mul_f64 v[40:41], v[30:31], v[164:165]
	s_waitcnt vmcnt(24)
	v_fmac_f64_e32 v[40:41], v[32:33], v[166:167]
	v_add_f64 v[42:43], v[38:39], v[40:41]
	ds_read_b128 v[38:41], v1 offset:1312
	s_waitcnt lgkmcnt(1)
	v_mul_f64 v[44:45], v[34:35], v[136:137]
	v_fmac_f64_e32 v[44:45], v[36:37], v[138:139]
	v_add_f64 v[46:47], v[42:43], v[44:45]
	ds_read_b128 v[42:45], v1 offset:1328
	buffer_load_dword v181, off, s[0:3], 0 offset:636
	buffer_load_dword v183, off, s[0:3], 0 offset:620
	;; [unrolled: 1-line block ×8, first 2 shown]
	s_waitcnt vmcnt(26) lgkmcnt(1)
	v_mul_f64 v[48:49], v[38:39], v[168:169]
	s_waitcnt vmcnt(24)
	v_fmac_f64_e32 v[48:49], v[40:41], v[170:171]
	v_add_f64 v[192:193], v[46:47], v[48:49]
	ds_read_b128 v[46:49], v1 offset:1344
	buffer_load_dword v189, off, s[0:3], 0 offset:652
	buffer_load_dword v188, off, s[0:3], 0 offset:648
	;; [unrolled: 1-line block ×4, first 2 shown]
	s_waitcnt lgkmcnt(1)
	v_mul_f64 v[194:195], v[42:43], v[142:143]
	v_fmac_f64_e32 v[194:195], v[44:45], v[146:147]
	v_add_f64 v[2:3], v[192:193], v[194:195]
	buffer_load_dword v193, off, s[0:3], 0 offset:668
	buffer_load_dword v192, off, s[0:3], 0 offset:664
	buffer_load_dword v197, off, s[0:3], 0 offset:660
	buffer_load_dword v196, off, s[0:3], 0 offset:656
	buffer_load_dword v195, off, s[0:3], 0 offset:684
	buffer_load_dword v194, off, s[0:3], 0 offset:680
	buffer_load_dword v199, off, s[0:3], 0 offset:676
	buffer_load_dword v198, off, s[0:3], 0 offset:672
	v_mul_f64 v[4:5], v[104:105], v[56:57]
	buffer_load_dword v56, off, s[0:3], 0 offset:696
	buffer_load_dword v202, off, s[0:3], 0 offset:688
	;; [unrolled: 1-line block ×4, first 2 shown]
	v_fma_f64 v[6:7], v[102:103], v[50:51], -v[4:5]
	v_mul_f64 v[50:51], v[108:109], v[58:59]
	v_fma_f64 v[102:103], v[106:107], v[52:53], -v[50:51]
	v_mul_f64 v[50:51], v[112:113], v[204:205]
	v_fma_f64 v[104:105], v[110:111], v[82:83], -v[50:51]
	buffer_load_dword v205, off, s[0:3], 0 offset:716
	buffer_load_dword v204, off, s[0:3], 0 offset:712
	;; [unrolled: 1-line block ×4, first 2 shown]
	v_mul_f64 v[50:51], v[116:117], v[64:65]
	v_fma_f64 v[64:65], v[114:115], v[80:81], -v[50:51]
	v_mul_f64 v[50:51], v[210:211], v[62:63]
	buffer_load_dword v211, off, s[0:3], 0 offset:732
	buffer_load_dword v210, off, s[0:3], 0 offset:728
	;; [unrolled: 1-line block ×4, first 2 shown]
	v_fma_f64 v[62:63], v[208:209], v[60:61], -v[50:51]
	buffer_load_dword v209, off, s[0:3], 0 offset:764
	buffer_load_dword v223, off, s[0:3], 0 offset:748
	;; [unrolled: 1-line block ×12, first 2 shown]
	ds_read_b128 v[50:53], v1 offset:1360
	v_mul_f64 v[60:61], v[214:215], v[76:77]
	v_fma_f64 v[4:5], v[212:213], v[78:79], -v[60:61]
	ds_read_b128 v[212:215], v1 offset:1376
	s_waitcnt vmcnt(54) lgkmcnt(2)
	v_mul_f64 v[58:59], v[46:47], v[172:173]
	s_waitcnt vmcnt(52)
	v_fmac_f64_e32 v[58:59], v[48:49], v[174:175]
	s_waitcnt lgkmcnt(1)
	v_mul_f64 v[8:9], v[50:51], v[150:151]
	v_add_f64 v[2:3], v[2:3], v[58:59]
	v_fmac_f64_e32 v[8:9], v[52:53], v[154:155]
	v_add_f64 v[2:3], v[2:3], v[8:9]
	s_waitcnt vmcnt(46) lgkmcnt(0)
	v_mul_f64 v[8:9], v[212:213], v[176:177]
	s_waitcnt vmcnt(44)
	v_fmac_f64_e32 v[8:9], v[214:215], v[178:179]
	ds_read_b128 v[58:61], v1 offset:1392
	v_add_f64 v[2:3], v[2:3], v[8:9]
	v_mul_f64 v[8:9], v[218:219], v[66:67]
	v_fma_f64 v[8:9], v[216:217], v[70:71], -v[8:9]
	ds_read_b128 v[216:219], v1 offset:1408
	v_mul_f64 v[66:67], v[234:235], v[68:69]
	v_fma_f64 v[232:233], v[232:233], v[72:73], -v[66:67]
	ds_read_b128 v[66:69], v1 offset:1424
	s_waitcnt lgkmcnt(2)
	v_mul_f64 v[70:71], v[58:59], v[158:159]
	v_fmac_f64_e32 v[70:71], v[60:61], v[162:163]
	v_add_f64 v[2:3], v[2:3], v[70:71]
	v_mul_f64 v[74:75], v[238:239], v[74:75]
	v_fma_f64 v[234:235], v[236:237], v[84:85], -v[74:75]
	ds_read_b128 v[74:77], v1 offset:1456
	v_mul_f64 v[78:79], v[242:243], v[90:91]
	v_fma_f64 v[240:241], v[240:241], v[92:93], -v[78:79]
	v_mul_f64 v[86:87], v[246:247], v[86:87]
	v_fma_f64 v[246:247], v[244:245], v[88:89], -v[86:87]
	;; [unrolled: 2-line block ×3, first 2 shown]
	v_add_f64 v[6:7], v[6:7], 0
	v_add_f64 v[6:7], v[6:7], v[102:103]
	;; [unrolled: 1-line block ×3, first 2 shown]
	ds_read_b128 v[78:81], v1 offset:1472
	v_add_f64 v[6:7], v[6:7], v[64:65]
	v_add_f64 v[6:7], v[6:7], v[62:63]
	;; [unrolled: 1-line block ×8, first 2 shown]
	v_accvgpr_read_b32 v6, a154
	v_accvgpr_read_b32 v7, a155
	ds_read_b128 v[86:89], v1 offset:1504
	v_accvgpr_read_b32 v8, a156
	v_mul_f64 v[6:7], v[128:129], v[6:7]
	v_accvgpr_read_b32 v9, a157
	s_waitcnt vmcnt(41) lgkmcnt(4)
	v_mul_f64 v[70:71], v[216:217], v[182:183]
	v_fma_f64 v[6:7], v[126:127], v[8:9], -v[6:7]
	s_waitcnt vmcnt(39)
	v_fmac_f64_e32 v[70:71], v[218:219], v[186:187]
	v_add_f64 v[2:3], v[2:3], v[70:71]
	s_waitcnt vmcnt(38) lgkmcnt(3)
	v_mul_f64 v[70:71], v[66:67], v[180:181]
	s_waitcnt vmcnt(36)
	v_fmac_f64_e32 v[70:71], v[68:69], v[184:185]
	v_add_f64 v[2:3], v[2:3], v[70:71]
	ds_read_b128 v[70:73], v1 offset:1440
	ds_read_b128 v[94:97], v1 offset:1536
	v_accvgpr_read_b32 v8, a160
	v_accvgpr_read_b32 v9, a161
	s_waitcnt vmcnt(34) lgkmcnt(1)
	v_mul_f64 v[82:83], v[70:71], v[188:189]
	s_waitcnt vmcnt(32)
	v_fmac_f64_e32 v[82:83], v[72:73], v[190:191]
	v_add_f64 v[2:3], v[2:3], v[82:83]
	s_waitcnt vmcnt(30)
	v_mul_f64 v[82:83], v[74:75], v[192:193]
	s_waitcnt vmcnt(28)
	v_fmac_f64_e32 v[82:83], v[76:77], v[196:197]
	v_add_f64 v[2:3], v[2:3], v[82:83]
	s_waitcnt vmcnt(26)
	v_mul_f64 v[82:83], v[78:79], v[194:195]
	s_waitcnt vmcnt(24)
	v_fmac_f64_e32 v[82:83], v[80:81], v[198:199]
	v_add_f64 v[2:3], v[2:3], v[82:83]
	ds_read_b128 v[82:85], v1 offset:1488
	s_waitcnt vmcnt(21) lgkmcnt(0)
	v_mul_f64 v[90:91], v[82:83], v[56:57]
	s_waitcnt vmcnt(20)
	v_fmac_f64_e32 v[90:91], v[84:85], v[202:203]
	v_add_f64 v[106:107], v[2:3], v[90:91]
	v_mul_f64 v[90:91], v[250:251], v[98:99]
	v_fma_f64 v[248:249], v[248:249], v[100:101], -v[90:91]
	ds_read_b128 v[90:93], v1 offset:1520
	s_waitcnt vmcnt(18)
	v_mul_f64 v[98:99], v[86:87], v[204:205]
	s_waitcnt vmcnt(16)
	v_fmac_f64_e32 v[98:99], v[88:89], v[206:207]
	v_add_f64 v[98:99], v[106:107], v[98:99]
	v_fma_f64 v[250:251], v[118:119], v[200:201], -v[54:55]
	s_waitcnt vmcnt(14) lgkmcnt(0)
	v_mul_f64 v[100:101], v[90:91], v[210:211]
	s_waitcnt vmcnt(12)
	v_fmac_f64_e32 v[100:101], v[92:93], v[220:221]
	v_add_f64 v[106:107], v[98:99], v[100:101]
	ds_read_b128 v[98:101], v1 offset:1552
	ds_read_b128 v[118:121], v1 offset:1568
	s_waitcnt vmcnt(9)
	v_mul_f64 v[54:55], v[94:95], v[222:223]
	s_waitcnt vmcnt(7)
	v_fmac_f64_e32 v[54:55], v[96:97], v[228:229]
	v_add_f64 v[54:55], v[106:107], v[54:55]
	s_waitcnt vmcnt(6) lgkmcnt(1)
	v_mul_f64 v[106:107], v[98:99], v[208:209]
	s_waitcnt vmcnt(4)
	v_fmac_f64_e32 v[106:107], v[100:101], v[226:227]
	v_add_f64 v[54:55], v[54:55], v[106:107]
	s_waitcnt vmcnt(2) lgkmcnt(0)
	v_mul_f64 v[106:107], v[118:119], v[224:225]
	buffer_load_dword v2, off, s[0:3], 0 offset:792
	s_waitcnt vmcnt(1)
	v_fmac_f64_e32 v[106:107], v[120:121], v[230:231]
	v_add_f64 v[110:111], v[54:55], v[106:107]
	buffer_load_dword v54, off, s[0:3], 0 offset:784
	buffer_load_dword v3, off, s[0:3], 0 offset:796
	;; [unrolled: 1-line block ×3, first 2 shown]
	ds_read_b128 v[106:109], v1 offset:1584
	buffer_load_dword v237, off, s[0:3], 0 offset:812
	buffer_load_dword v236, off, s[0:3], 0 offset:808
	;; [unrolled: 1-line block ×4, first 2 shown]
	v_add_f64 v[4:5], v[4:5], v[248:249]
	v_add_f64 v[252:253], v[4:5], v[252:253]
	;; [unrolled: 1-line block ×4, first 2 shown]
	v_mul_f64 v[6:7], v[124:125], v[140:141]
	v_fma_f64 v[6:7], v[122:123], v[144:145], -v[6:7]
	v_add_f64 v[4:5], v[4:5], v[6:7]
	v_accvgpr_read_b32 v6, a158
	v_accvgpr_read_b32 v7, a159
	v_mul_f64 v[6:7], v[12:13], v[6:7]
	v_fma_f64 v[6:7], v[10:11], v[8:9], -v[6:7]
	v_add_f64 v[4:5], v[4:5], v[6:7]
	v_mul_f64 v[6:7], v[16:17], v[148:149]
	v_fma_f64 v[6:7], v[14:15], v[152:153], -v[6:7]
	v_add_f64 v[4:5], v[4:5], v[6:7]
	v_accvgpr_read_b32 v6, a162
	v_accvgpr_read_b32 v7, a163
	v_mul_f64 v[6:7], v[20:21], v[6:7]
	v_fma_f64 v[6:7], v[18:19], v[130:131], -v[6:7]
	v_add_f64 v[4:5], v[4:5], v[6:7]
	v_mul_f64 v[6:7], v[24:25], v[156:157]
	v_fma_f64 v[6:7], v[22:23], v[160:161], -v[6:7]
	v_add_f64 v[4:5], v[4:5], v[6:7]
	;; [unrolled: 3-line block ×19, first 2 shown]
	v_mul_f64 v[6:7], v[96:97], v[222:223]
	v_fma_f64 v[6:7], v[94:95], v[228:229], -v[6:7]
	s_waitcnt vmcnt(5) lgkmcnt(0)
	v_mul_f64 v[112:113], v[106:107], v[2:3]
	s_waitcnt vmcnt(4)
	v_fmac_f64_e32 v[112:113], v[108:109], v[54:55]
	v_add_f64 v[114:115], v[110:111], v[112:113]
	ds_read_b128 v[110:113], v1 offset:1600
	buffer_load_dword v242, off, s[0:3], 0 offset:824
	buffer_load_dword v243, off, s[0:3], 0 offset:828
	;; [unrolled: 1-line block ×4, first 2 shown]
	v_add_f64 v[4:5], v[4:5], v[6:7]
	v_mul_f64 v[6:7], v[100:101], v[208:209]
	v_fma_f64 v[6:7], v[98:99], v[226:227], -v[6:7]
	s_waitcnt vmcnt(6) lgkmcnt(0)
	v_mul_f64 v[116:117], v[110:111], v[236:237]
	s_waitcnt vmcnt(4)
	v_fmac_f64_e32 v[116:117], v[112:113], v[238:239]
	v_add_f64 v[200:201], v[114:115], v[116:117]
	ds_read_b128 v[114:117], v1 offset:1616
	buffer_load_dword v248, off, s[0:3], 0 offset:128
	buffer_load_dword v249, off, s[0:3], 0 offset:132
	;; [unrolled: 1-line block ×4, first 2 shown]
	v_add_f64 v[4:5], v[4:5], v[6:7]
	v_mul_f64 v[6:7], v[120:121], v[224:225]
	v_fma_f64 v[6:7], v[118:119], v[230:231], -v[6:7]
	v_mul_f64 v[2:3], v[108:109], v[2:3]
	v_add_f64 v[4:5], v[4:5], v[6:7]
	v_fma_f64 v[2:3], v[106:107], v[54:55], -v[2:3]
	v_add_f64 v[2:3], v[4:5], v[2:3]
	v_mul_f64 v[4:5], v[112:113], v[236:237]
	v_fma_f64 v[4:5], v[110:111], v[238:239], -v[4:5]
	v_add_f64 v[2:3], v[2:3], v[4:5]
	s_waitcnt vmcnt(6) lgkmcnt(0)
	v_mul_f64 v[4:5], v[116:117], v[242:243]
	v_mul_f64 v[254:255], v[114:115], v[242:243]
	s_waitcnt vmcnt(4)
	v_fma_f64 v[4:5], v[114:115], v[244:245], -v[4:5]
	v_fmac_f64_e32 v[254:255], v[116:117], v[244:245]
	v_add_f64 v[2:3], v[2:3], v[4:5]
	v_add_f64 v[200:201], v[200:201], v[254:255]
	s_waitcnt vmcnt(2)
	v_add_f64 v[2:3], v[248:249], -v[2:3]
	s_waitcnt vmcnt(0)
	v_add_f64 v[4:5], v[246:247], -v[200:201]
	buffer_store_dword v3, off, s[0:3], 0 offset:132
	buffer_store_dword v2, off, s[0:3], 0 offset:128
	;; [unrolled: 1-line block ×4, first 2 shown]
	s_and_saveexec_b64 s[4:5], vcc
	s_cbranch_execz .LBB50_307
; %bb.306:
	v_accvgpr_read_b32 v0, a146
	buffer_load_dword v2, v0, s[0:3], 0 offen
	buffer_load_dword v3, v0, s[0:3], 0 offen offset:4
	buffer_load_dword v4, v0, s[0:3], 0 offen offset:8
	;; [unrolled: 1-line block ×3, first 2 shown]
	v_accvgpr_read_b32 v0, a153
	buffer_store_dword v1, off, s[0:3], 0 offset:112
	buffer_store_dword v1, off, s[0:3], 0 offset:116
	;; [unrolled: 1-line block ×4, first 2 shown]
	s_waitcnt vmcnt(4)
	ds_write_b128 v0, v[2:5]
.LBB50_307:
	s_or_b64 exec, exec, s[4:5]
	s_waitcnt lgkmcnt(0)
	; wave barrier
	s_waitcnt lgkmcnt(0)
	buffer_load_dword v186, off, s[0:3], 0 offset:128
	buffer_load_dword v187, off, s[0:3], 0 offset:132
	;; [unrolled: 1-line block ×36, first 2 shown]
	ds_read_b128 v[82:85], v1 offset:928
	ds_read_b128 v[78:81], v1 offset:944
	;; [unrolled: 1-line block ×9, first 2 shown]
	buffer_load_dword v235, off, s[0:3], 0 offset:300
	buffer_load_dword v234, off, s[0:3], 0 offset:296
	;; [unrolled: 1-line block ×19, first 2 shown]
	s_waitcnt vmcnt(51) lgkmcnt(8)
	v_mul_f64 v[2:3], v[82:83], v[194:195]
	v_fmac_f64_e32 v[2:3], v[84:85], v[186:187]
	v_add_f64 v[2:3], v[2:3], 0
	s_waitcnt vmcnt(47) lgkmcnt(7)
	v_mul_f64 v[4:5], v[78:79], v[198:199]
	v_fmac_f64_e32 v[4:5], v[80:81], v[196:197]
	v_add_f64 v[2:3], v[2:3], v[4:5]
	buffer_load_dword v244, off, s[0:3], 0 offset:352
	buffer_load_dword v99, off, s[0:3], 0 offset:348
	;; [unrolled: 1-line block ×7, first 2 shown]
	s_waitcnt vmcnt(52) lgkmcnt(6)
	v_mul_f64 v[6:7], v[74:75], v[202:203]
	s_waitcnt vmcnt(50) lgkmcnt(4)
	v_mul_f64 v[10:11], v[62:63], v[220:221]
	s_waitcnt vmcnt(48)
	v_fmac_f64_e32 v[10:11], v[64:65], v[222:223]
	v_mul_f64 v[80:81], v[80:81], v[198:199]
	s_waitcnt vmcnt(46)
	v_mul_f64 v[8:9], v[70:71], v[204:205]
	v_fma_f64 v[78:79], v[78:79], v[196:197], -v[80:81]
	s_waitcnt vmcnt(44) lgkmcnt(2)
	v_mul_f64 v[14:15], v[54:55], v[104:105]
	v_mul_f64 v[64:65], v[64:65], v[220:221]
	s_waitcnt vmcnt(42)
	v_fmac_f64_e32 v[14:15], v[56:57], v[108:109]
	v_fma_f64 v[220:221], v[62:63], v[222:223], -v[64:65]
	s_waitcnt vmcnt(40)
	v_mul_f64 v[12:13], v[50:51], v[112:113]
	s_waitcnt vmcnt(38) lgkmcnt(1)
	v_mul_f64 v[16:17], v[58:59], v[106:107]
	s_waitcnt vmcnt(36)
	v_fmac_f64_e32 v[6:7], v[76:77], v[200:201]
	v_add_f64 v[2:3], v[2:3], v[6:7]
	s_waitcnt vmcnt(34)
	v_fmac_f64_e32 v[8:9], v[72:73], v[116:117]
	v_add_f64 v[2:3], v[2:3], v[8:9]
	;; [unrolled: 3-line block ×3, first 2 shown]
	v_add_f64 v[2:3], v[2:3], v[12:13]
	s_waitcnt vmcnt(30)
	v_fmac_f64_e32 v[16:17], v[60:61], v[110:111]
	v_add_f64 v[2:3], v[2:3], v[14:15]
	v_add_f64 v[2:3], v[2:3], v[16:17]
	v_mul_f64 v[76:77], v[76:77], v[202:203]
	v_fma_f64 v[80:81], v[74:75], v[200:201], -v[76:77]
	v_mul_f64 v[72:73], v[72:73], v[204:205]
	v_mul_f64 v[52:53], v[52:53], v[112:113]
	;; [unrolled: 1-line block ×3, first 2 shown]
	v_fma_f64 v[116:117], v[70:71], v[116:117], -v[72:73]
	s_waitcnt vmcnt(0)
	v_pk_mov_b32 v[18:19], v[4:5], v[4:5] op_sel:[0,1]
	buffer_load_dword v5, off, s[0:3], 0 offset:388
	buffer_load_dword v4, off, s[0:3], 0 offset:384
	v_accvgpr_write_b32 a155, v19
	v_accvgpr_write_b32 a154, v18
	s_waitcnt vmcnt(0)
	v_pk_mov_b32 v[20:21], v[4:5], v[4:5] op_sel:[0,1]
	buffer_load_dword v137, off, s[0:3], 0 offset:380
	buffer_load_dword v136, off, s[0:3], 0 offset:376
	;; [unrolled: 1-line block ×6, first 2 shown]
	v_accvgpr_write_b32 a157, v21
	v_accvgpr_write_b32 a156, v20
	s_waitcnt vmcnt(0)
	v_pk_mov_b32 v[26:27], v[4:5], v[4:5] op_sel:[0,1]
	buffer_load_dword v5, off, s[0:3], 0 offset:420
	buffer_load_dword v4, off, s[0:3], 0 offset:416
	v_accvgpr_write_b32 a159, v27
	v_accvgpr_write_b32 a158, v26
	s_waitcnt vmcnt(0)
	v_pk_mov_b32 v[28:29], v[4:5], v[4:5] op_sel:[0,1]
	buffer_load_dword v145, off, s[0:3], 0 offset:412
	buffer_load_dword v144, off, s[0:3], 0 offset:408
	;; [unrolled: 1-line block ×6, first 2 shown]
	v_accvgpr_write_b32 a161, v29
	v_accvgpr_write_b32 a160, v28
	s_waitcnt vmcnt(0)
	v_pk_mov_b32 v[34:35], v[4:5], v[4:5] op_sel:[0,1]
	buffer_load_dword v255, off, s[0:3], 0 offset:452
	buffer_load_dword v254, off, s[0:3], 0 offset:448
	buffer_load_dword v153, off, s[0:3], 0 offset:444
	buffer_load_dword v152, off, s[0:3], 0 offset:440
	buffer_load_dword v157, off, s[0:3], 0 offset:436
	buffer_load_dword v156, off, s[0:3], 0 offset:432
	buffer_load_dword v5, off, s[0:3], 0 offset:492
	buffer_load_dword v4, off, s[0:3], 0 offset:488
	buffer_load_dword v135, off, s[0:3], 0 offset:484
	buffer_load_dword v134, off, s[0:3], 0 offset:480
	buffer_load_dword v161, off, s[0:3], 0 offset:476
	buffer_load_dword v160, off, s[0:3], 0 offset:472
	buffer_load_dword v163, off, s[0:3], 0 offset:468
	buffer_load_dword v162, off, s[0:3], 0 offset:464
	buffer_load_dword v139, off, s[0:3], 0 offset:524
	buffer_load_dword v138, off, s[0:3], 0 offset:520
	buffer_load_dword v143, off, s[0:3], 0 offset:516
	buffer_load_dword v142, off, s[0:3], 0 offset:512
	buffer_load_dword v165, off, s[0:3], 0 offset:508
	buffer_load_dword v164, off, s[0:3], 0 offset:504
	buffer_load_dword v167, off, s[0:3], 0 offset:500
	buffer_load_dword v166, off, s[0:3], 0 offset:496
	buffer_load_dword v147, off, s[0:3], 0 offset:556
	buffer_load_dword v146, off, s[0:3], 0 offset:552
	buffer_load_dword v151, off, s[0:3], 0 offset:548
	buffer_load_dword v150, off, s[0:3], 0 offset:544
	buffer_load_dword v169, off, s[0:3], 0 offset:540
	buffer_load_dword v168, off, s[0:3], 0 offset:536
	buffer_load_dword v171, off, s[0:3], 0 offset:532
	buffer_load_dword v170, off, s[0:3], 0 offset:528
	buffer_load_dword v155, off, s[0:3], 0 offset:588
	buffer_load_dword v154, off, s[0:3], 0 offset:584
	buffer_load_dword v159, off, s[0:3], 0 offset:580
	buffer_load_dword v158, off, s[0:3], 0 offset:576
	buffer_load_dword v173, off, s[0:3], 0 offset:572
	buffer_load_dword v172, off, s[0:3], 0 offset:568
	buffer_load_dword v175, off, s[0:3], 0 offset:564
	buffer_load_dword v174, off, s[0:3], 0 offset:560
	ds_read_b128 v[212:215], v1 offset:1072
	ds_read_b128 v[216:219], v1 offset:1088
	;; [unrolled: 1-line block ×9, first 2 shown]
	v_accvgpr_write_b32 a163, v35
	s_waitcnt lgkmcnt(3)
	v_mul_f64 v[8:9], v[94:95], v[242:243]
	v_fmac_f64_e32 v[8:9], v[96:97], v[244:245]
	s_waitcnt lgkmcnt(2)
	v_mul_f64 v[12:13], v[130:131], v[136:137]
	v_fmac_f64_e32 v[12:13], v[132:133], v[140:141]
	;; [unrolled: 3-line block ×3, first 2 shown]
	v_accvgpr_write_b32 a162, v34
	v_mul_f64 v[70:71], v[214:215], v[238:239]
	v_mul_f64 v[96:97], v[96:97], v[242:243]
	s_waitcnt vmcnt(30)
	v_pk_mov_b32 v[42:43], v[4:5], v[4:5] op_sel:[0,1]
	v_mul_f64 v[4:5], v[66:67], v[102:103]
	v_fmac_f64_e32 v[4:5], v[68:69], v[232:233]
	v_add_f64 v[2:3], v[2:3], v[4:5]
	v_mul_f64 v[4:5], v[212:213], v[238:239]
	v_fmac_f64_e32 v[4:5], v[214:215], v[240:241]
	v_add_f64 v[2:3], v[2:3], v[4:5]
	;; [unrolled: 3-line block ×6, first 2 shown]
	v_add_f64 v[10:11], v[6:7], v[8:9]
	v_add_f64 v[14:15], v[10:11], v[12:13]
	;; [unrolled: 1-line block ×3, first 2 shown]
	ds_read_b128 v[14:17], v1 offset:1216
	s_waitcnt lgkmcnt(1)
	v_mul_f64 v[20:21], v[122:123], v[144:145]
	v_fmac_f64_e32 v[20:21], v[124:125], v[148:149]
	v_add_f64 v[22:23], v[18:19], v[20:21]
	ds_read_b128 v[18:21], v1 offset:1232
	s_waitcnt lgkmcnt(1)
	v_mul_f64 v[24:25], v[14:15], v[26:27]
	v_fmac_f64_e32 v[24:25], v[16:17], v[28:29]
	v_add_f64 v[26:27], v[22:23], v[24:25]
	;; [unrolled: 5-line block ×4, first 2 shown]
	ds_read_b128 v[30:33], v1 offset:1280
	s_waitcnt vmcnt(26) lgkmcnt(1)
	v_mul_f64 v[36:37], v[26:27], v[160:161]
	s_waitcnt vmcnt(24)
	v_fmac_f64_e32 v[36:37], v[28:29], v[162:163]
	v_add_f64 v[38:39], v[34:35], v[36:37]
	ds_read_b128 v[34:37], v1 offset:1296
	s_waitcnt lgkmcnt(1)
	v_mul_f64 v[40:41], v[30:31], v[42:43]
	v_accvgpr_write_b32 a165, v43
	v_fmac_f64_e32 v[40:41], v[32:33], v[134:135]
	v_accvgpr_write_b32 a164, v42
	v_add_f64 v[42:43], v[38:39], v[40:41]
	ds_read_b128 v[38:41], v1 offset:1312
	s_waitcnt vmcnt(18) lgkmcnt(1)
	v_mul_f64 v[44:45], v[34:35], v[164:165]
	s_waitcnt vmcnt(16)
	v_fmac_f64_e32 v[44:45], v[36:37], v[166:167]
	v_add_f64 v[46:47], v[42:43], v[44:45]
	ds_read_b128 v[42:45], v1 offset:1328
	buffer_load_dword v177, off, s[0:3], 0 offset:604
	buffer_load_dword v176, off, s[0:3], 0 offset:600
	;; [unrolled: 1-line block ×4, first 2 shown]
	s_waitcnt lgkmcnt(1)
	v_mul_f64 v[48:49], v[38:39], v[138:139]
	v_fmac_f64_e32 v[48:49], v[40:41], v[142:143]
	v_add_f64 v[180:181], v[46:47], v[48:49]
	ds_read_b128 v[46:49], v1 offset:1344
	buffer_load_dword v183, off, s[0:3], 0 offset:620
	buffer_load_dword v182, off, s[0:3], 0 offset:616
	;; [unrolled: 1-line block ×4, first 2 shown]
	s_waitcnt vmcnt(18) lgkmcnt(1)
	v_mul_f64 v[188:189], v[42:43], v[168:169]
	s_waitcnt vmcnt(16)
	v_fmac_f64_e32 v[188:189], v[44:45], v[170:171]
	v_add_f64 v[2:3], v[180:181], v[188:189]
	buffer_load_dword v181, off, s[0:3], 0 offset:652
	buffer_load_dword v189, off, s[0:3], 0 offset:636
	;; [unrolled: 1-line block ×8, first 2 shown]
	v_mul_f64 v[4:5], v[84:85], v[194:195]
	v_fma_f64 v[10:11], v[82:83], v[186:187], -v[4:5]
	buffer_load_dword v186, off, s[0:3], 0 offset:680
	buffer_load_dword v195, off, s[0:3], 0 offset:668
	;; [unrolled: 1-line block ×20, first 2 shown]
	s_waitcnt lgkmcnt(0)
	v_mul_f64 v[8:9], v[46:47], v[146:147]
	v_fmac_f64_e32 v[8:9], v[48:49], v[150:151]
	v_fma_f64 v[6:7], v[50:51], v[114:115], -v[52:53]
	buffer_load_dword v223, off, s[0:3], 0 offset:748
	buffer_load_dword v222, off, s[0:3], 0 offset:744
	;; [unrolled: 1-line block ×12, first 2 shown]
	v_add_f64 v[2:3], v[2:3], v[8:9]
	ds_read_b128 v[50:53], v1 offset:1360
	v_mul_f64 v[8:9], v[56:57], v[104:105]
	v_fma_f64 v[8:9], v[54:55], v[108:109], -v[8:9]
	ds_read_b128 v[54:57], v1 offset:1376
	v_fma_f64 v[4:5], v[58:59], v[110:111], -v[60:61]
	ds_read_b128 v[58:61], v1 offset:1392
	s_waitcnt vmcnt(50) lgkmcnt(2)
	v_mul_f64 v[62:63], v[50:51], v[172:173]
	s_waitcnt vmcnt(48)
	v_fmac_f64_e32 v[62:63], v[52:53], v[174:175]
	s_waitcnt lgkmcnt(1)
	v_mul_f64 v[12:13], v[54:55], v[154:155]
	v_add_f64 v[2:3], v[2:3], v[62:63]
	ds_read_b128 v[62:65], v1 offset:1408
	v_fmac_f64_e32 v[12:13], v[56:57], v[158:159]
	v_add_f64 v[2:3], v[2:3], v[12:13]
	v_fma_f64 v[240:241], v[212:213], v[240:241], -v[70:71]
	v_mul_f64 v[82:83], v[218:219], v[234:235]
	v_mul_f64 v[88:89], v[88:89], v[246:247]
	v_fma_f64 v[246:247], v[86:87], v[248:249], -v[88:89]
	ds_read_b128 v[86:89], v1 offset:1520
	v_mul_f64 v[92:93], v[92:93], v[98:99]
	v_add_f64 v[10:11], v[10:11], 0
	v_add_f64 v[10:11], v[10:11], v[78:79]
	;; [unrolled: 1-line block ×8, first 2 shown]
	v_mul_f64 v[6:7], v[132:133], v[136:137]
	v_fma_f64 v[6:7], v[130:131], v[140:141], -v[6:7]
	ds_read_b128 v[70:73], v1 offset:1440
	ds_read_b128 v[212:215], v1 offset:1504
	s_waitcnt vmcnt(46) lgkmcnt(4)
	v_mul_f64 v[12:13], v[58:59], v[176:177]
	s_waitcnt vmcnt(44)
	v_fmac_f64_e32 v[12:13], v[60:61], v[178:179]
	v_add_f64 v[2:3], v[2:3], v[12:13]
	v_mul_f64 v[12:13], v[68:69], v[102:103]
	v_fma_f64 v[12:13], v[66:67], v[232:233], -v[12:13]
	ds_read_b128 v[66:69], v1 offset:1424
	s_waitcnt vmcnt(42) lgkmcnt(4)
	v_mul_f64 v[74:75], v[62:63], v[182:183]
	s_waitcnt vmcnt(40)
	v_fmac_f64_e32 v[74:75], v[64:65], v[184:185]
	v_add_f64 v[2:3], v[2:3], v[74:75]
	v_fma_f64 v[232:233], v[216:217], v[236:237], -v[82:83]
	s_waitcnt vmcnt(37) lgkmcnt(0)
	v_mul_f64 v[74:75], v[66:67], v[188:189]
	s_waitcnt vmcnt(35)
	v_fmac_f64_e32 v[74:75], v[68:69], v[192:193]
	v_add_f64 v[2:3], v[2:3], v[74:75]
	s_waitcnt vmcnt(34)
	v_mul_f64 v[74:75], v[70:71], v[180:181]
	s_waitcnt vmcnt(32)
	v_fmac_f64_e32 v[74:75], v[72:73], v[190:191]
	v_add_f64 v[2:3], v[2:3], v[74:75]
	ds_read_b128 v[74:77], v1 offset:1456
	ds_read_b128 v[216:219], v1 offset:1472
	v_add_f64 v[4:5], v[4:5], v[12:13]
	v_add_f64 v[4:5], v[4:5], v[240:241]
	;; [unrolled: 1-line block ×3, first 2 shown]
	s_waitcnt vmcnt(29) lgkmcnt(1)
	v_mul_f64 v[82:83], v[74:75], v[194:195]
	s_waitcnt vmcnt(27)
	v_fmac_f64_e32 v[82:83], v[76:77], v[198:199]
	v_add_f64 v[2:3], v[2:3], v[82:83]
	v_mul_f64 v[82:83], v[120:121], v[250:251]
	v_fma_f64 v[118:119], v[118:119], v[252:253], -v[82:83]
	ds_read_b128 v[82:85], v1 offset:1488
	s_waitcnt vmcnt(25) lgkmcnt(1)
	v_mul_f64 v[102:103], v[216:217], v[186:187]
	s_waitcnt vmcnt(24)
	v_fmac_f64_e32 v[102:103], v[218:219], v[196:197]
	v_add_f64 v[2:3], v[2:3], v[102:103]
	v_fma_f64 v[250:251], v[90:91], v[100:101], -v[92:93]
	s_waitcnt vmcnt(21) lgkmcnt(0)
	v_mul_f64 v[102:103], v[82:83], v[202:203]
	s_waitcnt vmcnt(19)
	v_fmac_f64_e32 v[102:103], v[84:85], v[208:209]
	v_add_f64 v[2:3], v[2:3], v[102:103]
	s_waitcnt vmcnt(18)
	v_mul_f64 v[102:103], v[212:213], v[200:201]
	s_waitcnt vmcnt(16)
	v_fmac_f64_e32 v[102:103], v[214:215], v[206:207]
	v_add_f64 v[2:3], v[2:3], v[102:103]
	ds_read_b128 v[98:101], v1 offset:1536
	s_waitcnt vmcnt(14)
	v_mul_f64 v[102:103], v[86:87], v[204:205]
	s_waitcnt vmcnt(12)
	v_fmac_f64_e32 v[102:103], v[88:89], v[210:211]
	v_add_f64 v[2:3], v[2:3], v[102:103]
	ds_read_b128 v[90:93], v1 offset:1552
	ds_read_b128 v[102:105], v1 offset:1568
	buffer_load_dword v121, off, s[0:3], 0 offset:796
	buffer_load_dword v120, off, s[0:3], 0 offset:792
	;; [unrolled: 1-line block ×4, first 2 shown]
	ds_read_b128 v[106:109], v1 offset:1584
	buffer_load_dword v236, off, s[0:3], 0 offset:808
	buffer_load_dword v237, off, s[0:3], 0 offset:812
	;; [unrolled: 1-line block ×4, first 2 shown]
	v_fma_f64 v[252:253], v[94:95], v[244:245], -v[96:97]
	ds_read_b128 v[110:113], v1 offset:1600
	buffer_load_dword v243, off, s[0:3], 0 offset:828
	buffer_load_dword v242, off, s[0:3], 0 offset:824
	;; [unrolled: 1-line block ×4, first 2 shown]
	s_waitcnt vmcnt(22) lgkmcnt(4)
	v_mul_f64 v[94:95], v[98:99], v[222:223]
	s_waitcnt vmcnt(20)
	v_fmac_f64_e32 v[94:95], v[100:101], v[224:225]
	v_add_f64 v[2:3], v[2:3], v[94:95]
	s_waitcnt vmcnt(17) lgkmcnt(3)
	v_mul_f64 v[94:95], v[90:91], v[228:229]
	s_waitcnt vmcnt(15)
	v_fmac_f64_e32 v[94:95], v[92:93], v[230:231]
	v_add_f64 v[2:3], v[2:3], v[94:95]
	;; [unrolled: 5-line block ×3, first 2 shown]
	v_add_f64 v[4:5], v[4:5], v[118:119]
	v_add_f64 v[118:119], v[4:5], v[246:247]
	v_add_f64 v[4:5], v[118:119], v[250:251]
	v_add_f64 v[4:5], v[4:5], v[252:253]
	v_add_f64 v[4:5], v[4:5], v[6:7]
	s_waitcnt vmcnt(10) lgkmcnt(1)
	v_mul_f64 v[94:95], v[106:107], v[120:121]
	s_waitcnt vmcnt(8)
	v_fmac_f64_e32 v[94:95], v[108:109], v[234:235]
	v_add_f64 v[2:3], v[2:3], v[94:95]
	s_waitcnt vmcnt(6) lgkmcnt(0)
	v_mul_f64 v[94:95], v[110:111], v[236:237]
	s_waitcnt vmcnt(4)
	v_fmac_f64_e32 v[94:95], v[112:113], v[238:239]
	v_add_f64 v[2:3], v[2:3], v[94:95]
	ds_read_b128 v[94:97], v1 offset:1616
	v_accvgpr_read_b32 v0, a154
	v_accvgpr_read_b32 v1, a155
	v_mul_f64 v[6:7], v[128:129], v[0:1]
	v_accvgpr_read_b32 v0, a156
	s_waitcnt vmcnt(2) lgkmcnt(0)
	v_mul_f64 v[248:249], v[94:95], v[242:243]
	s_waitcnt vmcnt(0)
	v_fmac_f64_e32 v[248:249], v[96:97], v[244:245]
	v_add_f64 v[2:3], v[2:3], v[248:249]
	buffer_load_dword v248, off, s[0:3], 0 offset:112
	buffer_load_dword v249, off, s[0:3], 0 offset:116
	;; [unrolled: 1-line block ×4, first 2 shown]
	v_accvgpr_read_b32 v1, a157
	v_fma_f64 v[6:7], v[126:127], v[0:1], -v[6:7]
	v_add_f64 v[4:5], v[4:5], v[6:7]
	v_mul_f64 v[6:7], v[124:125], v[144:145]
	v_accvgpr_read_b32 v0, a158
	v_fma_f64 v[6:7], v[122:123], v[148:149], -v[6:7]
	v_accvgpr_read_b32 v1, a159
	v_add_f64 v[4:5], v[4:5], v[6:7]
	v_mul_f64 v[6:7], v[16:17], v[0:1]
	v_accvgpr_read_b32 v0, a160
	v_accvgpr_read_b32 v1, a161
	v_fma_f64 v[6:7], v[14:15], v[0:1], -v[6:7]
	v_add_f64 v[4:5], v[4:5], v[6:7]
	v_mul_f64 v[6:7], v[20:21], v[152:153]
	v_accvgpr_read_b32 v0, a162
	v_fma_f64 v[6:7], v[18:19], v[156:157], -v[6:7]
	v_accvgpr_read_b32 v1, a163
	v_add_f64 v[4:5], v[4:5], v[6:7]
	v_mul_f64 v[6:7], v[24:25], v[0:1]
	v_fma_f64 v[6:7], v[22:23], v[254:255], -v[6:7]
	v_add_f64 v[4:5], v[4:5], v[6:7]
	v_mul_f64 v[6:7], v[28:29], v[160:161]
	v_accvgpr_read_b32 v0, a164
	v_fma_f64 v[6:7], v[26:27], v[162:163], -v[6:7]
	v_accvgpr_read_b32 v1, a165
	v_add_f64 v[4:5], v[4:5], v[6:7]
	v_mul_f64 v[6:7], v[32:33], v[0:1]
	v_fma_f64 v[6:7], v[30:31], v[134:135], -v[6:7]
	v_add_f64 v[4:5], v[4:5], v[6:7]
	v_mul_f64 v[6:7], v[36:37], v[164:165]
	v_fma_f64 v[6:7], v[34:35], v[166:167], -v[6:7]
	v_add_f64 v[4:5], v[4:5], v[6:7]
	v_mul_f64 v[6:7], v[40:41], v[138:139]
	v_fma_f64 v[6:7], v[38:39], v[142:143], -v[6:7]
	v_add_f64 v[4:5], v[4:5], v[6:7]
	v_mul_f64 v[6:7], v[44:45], v[168:169]
	v_fma_f64 v[6:7], v[42:43], v[170:171], -v[6:7]
	v_add_f64 v[4:5], v[4:5], v[6:7]
	v_mul_f64 v[6:7], v[48:49], v[146:147]
	v_fma_f64 v[6:7], v[46:47], v[150:151], -v[6:7]
	v_add_f64 v[4:5], v[4:5], v[6:7]
	v_mul_f64 v[6:7], v[52:53], v[172:173]
	v_fma_f64 v[6:7], v[50:51], v[174:175], -v[6:7]
	v_add_f64 v[4:5], v[4:5], v[6:7]
	v_mul_f64 v[6:7], v[56:57], v[154:155]
	v_fma_f64 v[6:7], v[54:55], v[158:159], -v[6:7]
	v_add_f64 v[4:5], v[4:5], v[6:7]
	v_mul_f64 v[6:7], v[60:61], v[176:177]
	v_fma_f64 v[6:7], v[58:59], v[178:179], -v[6:7]
	v_add_f64 v[4:5], v[4:5], v[6:7]
	v_mul_f64 v[6:7], v[64:65], v[182:183]
	v_fma_f64 v[6:7], v[62:63], v[184:185], -v[6:7]
	v_add_f64 v[4:5], v[4:5], v[6:7]
	v_mul_f64 v[6:7], v[68:69], v[188:189]
	v_fma_f64 v[6:7], v[66:67], v[192:193], -v[6:7]
	v_add_f64 v[4:5], v[4:5], v[6:7]
	v_mul_f64 v[6:7], v[72:73], v[180:181]
	v_fma_f64 v[6:7], v[70:71], v[190:191], -v[6:7]
	v_add_f64 v[4:5], v[4:5], v[6:7]
	v_mul_f64 v[6:7], v[76:77], v[194:195]
	v_fma_f64 v[6:7], v[74:75], v[198:199], -v[6:7]
	v_add_f64 v[4:5], v[4:5], v[6:7]
	v_mul_f64 v[6:7], v[218:219], v[186:187]
	v_fma_f64 v[6:7], v[216:217], v[196:197], -v[6:7]
	v_add_f64 v[4:5], v[4:5], v[6:7]
	v_mul_f64 v[6:7], v[84:85], v[202:203]
	v_fma_f64 v[6:7], v[82:83], v[208:209], -v[6:7]
	v_add_f64 v[4:5], v[4:5], v[6:7]
	v_mul_f64 v[6:7], v[214:215], v[200:201]
	v_fma_f64 v[6:7], v[212:213], v[206:207], -v[6:7]
	v_add_f64 v[4:5], v[4:5], v[6:7]
	v_mul_f64 v[6:7], v[88:89], v[204:205]
	v_fma_f64 v[6:7], v[86:87], v[210:211], -v[6:7]
	v_add_f64 v[4:5], v[4:5], v[6:7]
	v_mul_f64 v[6:7], v[100:101], v[222:223]
	v_fma_f64 v[6:7], v[98:99], v[224:225], -v[6:7]
	v_add_f64 v[4:5], v[4:5], v[6:7]
	v_mul_f64 v[6:7], v[92:93], v[228:229]
	v_fma_f64 v[6:7], v[90:91], v[230:231], -v[6:7]
	v_add_f64 v[4:5], v[4:5], v[6:7]
	v_mul_f64 v[6:7], v[104:105], v[114:115]
	v_fma_f64 v[6:7], v[102:103], v[226:227], -v[6:7]
	v_add_f64 v[4:5], v[4:5], v[6:7]
	v_mul_f64 v[6:7], v[108:109], v[120:121]
	v_fma_f64 v[6:7], v[106:107], v[234:235], -v[6:7]
	v_add_f64 v[4:5], v[4:5], v[6:7]
	v_mul_f64 v[6:7], v[112:113], v[236:237]
	v_fma_f64 v[6:7], v[110:111], v[238:239], -v[6:7]
	v_add_f64 v[4:5], v[4:5], v[6:7]
	v_mul_f64 v[6:7], v[96:97], v[242:243]
	v_fma_f64 v[6:7], v[94:95], v[244:245], -v[6:7]
	v_add_f64 v[4:5], v[4:5], v[6:7]
	v_accvgpr_read_b32 v0, a152
	s_waitcnt vmcnt(2)
	v_add_f64 v[4:5], v[248:249], -v[4:5]
	v_cmp_lt_u32_e32 vcc, 5, v0
	s_waitcnt vmcnt(0)
	v_add_f64 v[2:3], v[246:247], -v[2:3]
	buffer_store_dword v5, off, s[0:3], 0 offset:116
	buffer_store_dword v4, off, s[0:3], 0 offset:112
	;; [unrolled: 1-line block ×4, first 2 shown]
	s_and_saveexec_b64 s[4:5], vcc
	s_cbranch_execz .LBB50_309
; %bb.308:
	v_accvgpr_read_b32 v0, a147
	buffer_load_dword v2, v0, s[0:3], 0 offen
	buffer_load_dword v3, v0, s[0:3], 0 offen offset:4
	buffer_load_dword v4, v0, s[0:3], 0 offen offset:8
	;; [unrolled: 1-line block ×3, first 2 shown]
	v_mov_b32_e32 v0, 0
	v_accvgpr_read_b32 v1, a153
	buffer_store_dword v0, off, s[0:3], 0 offset:96
	buffer_store_dword v0, off, s[0:3], 0 offset:100
	;; [unrolled: 1-line block ×4, first 2 shown]
	s_waitcnt vmcnt(4)
	ds_write_b128 v1, v[2:5]
.LBB50_309:
	s_or_b64 exec, exec, s[4:5]
	s_waitcnt lgkmcnt(0)
	; wave barrier
	s_waitcnt lgkmcnt(0)
	buffer_load_dword v56, off, s[0:3], 0 offset:112
	buffer_load_dword v57, off, s[0:3], 0 offset:116
	;; [unrolled: 1-line block ×36, first 2 shown]
	v_mov_b32_e32 v1, 0
	buffer_load_dword v87, off, s[0:3], 0 offset:284
	buffer_load_dword v86, off, s[0:3], 0 offset:280
	;; [unrolled: 1-line block ×18, first 2 shown]
	ds_read_b128 v[110:113], v1 offset:912
	ds_read_b128 v[114:117], v1 offset:928
	;; [unrolled: 1-line block ×9, first 2 shown]
	v_accvgpr_read_b32 v0, a152
	v_cmp_lt_u32_e32 vcc, 4, v0
	s_waitcnt vmcnt(50) lgkmcnt(8)
	v_mul_f64 v[2:3], v[110:111], v[58:59]
	v_fmac_f64_e32 v[2:3], v[112:113], v[56:57]
	v_add_f64 v[2:3], v[2:3], 0
	s_waitcnt vmcnt(46) lgkmcnt(7)
	v_mul_f64 v[4:5], v[114:115], v[54:55]
	v_fmac_f64_e32 v[4:5], v[116:117], v[52:53]
	v_add_f64 v[2:3], v[2:3], v[4:5]
	buffer_load_dword v105, off, s[0:3], 0 offset:340
	buffer_load_dword v104, off, s[0:3], 0 offset:336
	;; [unrolled: 1-line block ×8, first 2 shown]
	s_waitcnt vmcnt(52) lgkmcnt(6)
	v_mul_f64 v[6:7], v[196:197], v[50:51]
	s_waitcnt vmcnt(50) lgkmcnt(4)
	v_mul_f64 v[10:11], v[204:205], v[60:61]
	s_waitcnt vmcnt(48)
	v_fmac_f64_e32 v[10:11], v[206:207], v[62:63]
	s_waitcnt vmcnt(46)
	v_mul_f64 v[8:9], v[200:201], v[64:65]
	s_waitcnt vmcnt(44) lgkmcnt(2)
	v_mul_f64 v[14:15], v[212:213], v[74:75]
	s_waitcnt vmcnt(42)
	v_fmac_f64_e32 v[14:15], v[214:215], v[72:73]
	s_waitcnt vmcnt(40)
	v_mul_f64 v[12:13], v[208:209], v[76:77]
	s_waitcnt vmcnt(38) lgkmcnt(1)
	v_mul_f64 v[16:17], v[216:217], v[68:69]
	s_waitcnt vmcnt(36)
	v_fmac_f64_e32 v[6:7], v[198:199], v[82:83]
	v_add_f64 v[2:3], v[2:3], v[6:7]
	s_waitcnt vmcnt(34)
	v_fmac_f64_e32 v[8:9], v[202:203], v[80:81]
	v_add_f64 v[2:3], v[2:3], v[8:9]
	;; [unrolled: 3-line block ×3, first 2 shown]
	v_add_f64 v[2:3], v[2:3], v[12:13]
	v_add_f64 v[2:3], v[2:3], v[14:15]
	s_waitcnt vmcnt(30)
	v_fmac_f64_e32 v[16:17], v[218:219], v[70:71]
	v_add_f64 v[2:3], v[2:3], v[16:17]
	s_waitcnt vmcnt(0)
	v_pk_mov_b32 v[8:9], v[4:5], v[4:5] op_sel:[0,1]
	buffer_load_dword v5, off, s[0:3], 0 offset:372
	buffer_load_dword v4, off, s[0:3], 0 offset:368
	v_accvgpr_write_b32 a155, v9
	v_accvgpr_write_b32 a154, v8
	s_waitcnt vmcnt(0)
	v_pk_mov_b32 v[14:15], v[4:5], v[4:5] op_sel:[0,1]
	buffer_load_dword v107, off, s[0:3], 0 offset:364
	buffer_load_dword v106, off, s[0:3], 0 offset:360
	;; [unrolled: 1-line block ×6, first 2 shown]
	v_accvgpr_write_b32 a157, v15
	v_accvgpr_write_b32 a156, v14
	s_waitcnt vmcnt(0)
	v_pk_mov_b32 v[20:21], v[4:5], v[4:5] op_sel:[0,1]
	buffer_load_dword v5, off, s[0:3], 0 offset:404
	buffer_load_dword v4, off, s[0:3], 0 offset:400
	v_accvgpr_write_b32 a159, v21
	v_accvgpr_write_b32 a158, v20
	s_waitcnt vmcnt(0)
	v_pk_mov_b32 v[22:23], v[4:5], v[4:5] op_sel:[0,1]
	buffer_load_dword v141, off, s[0:3], 0 offset:396
	buffer_load_dword v140, off, s[0:3], 0 offset:392
	;; [unrolled: 1-line block ×44, first 2 shown]
	ds_read_b128 v[236:239], v1 offset:1056
	ds_read_b128 v[240:243], v1 offset:1072
	;; [unrolled: 1-line block ×10, first 2 shown]
	v_accvgpr_write_b32 a161, v23
	v_accvgpr_write_b32 a160, v22
	s_waitcnt lgkmcnt(2)
	v_mul_f64 v[10:11], v[122:123], v[8:9]
	v_fmac_f64_e32 v[10:11], v[124:125], v[14:15]
	s_waitcnt lgkmcnt(0)
	v_mul_f64 v[18:19], v[130:131], v[20:21]
	v_fmac_f64_e32 v[18:19], v[132:133], v[22:23]
	s_waitcnt vmcnt(42)
	v_mul_f64 v[14:15], v[126:127], v[140:141]
	s_waitcnt vmcnt(40)
	v_fmac_f64_e32 v[14:15], v[128:129], v[144:145]
	s_waitcnt vmcnt(38)
	v_accvgpr_write_b32 a163, v5
	v_accvgpr_write_b32 a162, v4
	s_waitcnt vmcnt(30)
	v_pk_mov_b32 v[36:37], v[6:7], v[6:7] op_sel:[0,1]
	v_mul_f64 v[6:7], v[232:233], v[66:67]
	v_fmac_f64_e32 v[6:7], v[234:235], v[84:85]
	v_add_f64 v[2:3], v[2:3], v[6:7]
	v_mul_f64 v[6:7], v[236:237], v[90:91]
	v_fmac_f64_e32 v[6:7], v[238:239], v[92:93]
	v_add_f64 v[2:3], v[2:3], v[6:7]
	v_mul_f64 v[6:7], v[240:241], v[86:87]
	v_fmac_f64_e32 v[6:7], v[242:243], v[88:89]
	v_add_f64 v[2:3], v[2:3], v[6:7]
	v_mul_f64 v[6:7], v[244:245], v[100:101]
	v_fmac_f64_e32 v[6:7], v[246:247], v[102:103]
	v_add_f64 v[2:3], v[2:3], v[6:7]
	v_mul_f64 v[6:7], v[248:249], v[96:97]
	v_fmac_f64_e32 v[6:7], v[250:251], v[98:99]
	v_add_f64 v[2:3], v[2:3], v[6:7]
	v_mul_f64 v[6:7], v[252:253], v[224:225]
	v_fmac_f64_e32 v[6:7], v[254:255], v[230:231]
	v_add_f64 v[2:3], v[2:3], v[6:7]
	v_mul_f64 v[6:7], v[118:119], v[94:95]
	v_fmac_f64_e32 v[6:7], v[120:121], v[104:105]
	v_add_f64 v[2:3], v[2:3], v[6:7]
	v_mul_f64 v[6:7], v[220:221], v[106:107]
	v_fmac_f64_e32 v[6:7], v[222:223], v[108:109]
	v_add_f64 v[2:3], v[2:3], v[6:7]
	v_add_f64 v[2:3], v[2:3], v[10:11]
	v_add_f64 v[2:3], v[2:3], v[14:15]
	ds_read_b128 v[14:17], v1 offset:1216
	v_add_f64 v[2:3], v[2:3], v[18:19]
	ds_read_b128 v[18:21], v1 offset:1232
	v_accvgpr_write_b32 a165, v37
	v_accvgpr_write_b32 a164, v36
	s_waitcnt lgkmcnt(1)
	v_mul_f64 v[22:23], v[14:15], v[148:149]
	v_fmac_f64_e32 v[22:23], v[16:17], v[152:153]
	v_add_f64 v[2:3], v[2:3], v[22:23]
	ds_read_b128 v[22:25], v1 offset:1248
	s_waitcnt lgkmcnt(1)
	v_mul_f64 v[26:27], v[18:19], v[4:5]
	v_fmac_f64_e32 v[26:27], v[20:21], v[12:13]
	v_add_f64 v[2:3], v[2:3], v[26:27]
	ds_read_b128 v[26:29], v1 offset:1264
	s_waitcnt vmcnt(26) lgkmcnt(1)
	v_mul_f64 v[30:31], v[22:23], v[156:157]
	s_waitcnt vmcnt(24)
	v_fmac_f64_e32 v[30:31], v[24:25], v[158:159]
	v_add_f64 v[2:3], v[2:3], v[30:31]
	ds_read_b128 v[30:33], v1 offset:1280
	s_waitcnt lgkmcnt(1)
	v_mul_f64 v[34:35], v[26:27], v[36:37]
	v_fmac_f64_e32 v[34:35], v[28:29], v[134:135]
	v_add_f64 v[2:3], v[2:3], v[34:35]
	ds_read_b128 v[34:37], v1 offset:1296
	s_waitcnt vmcnt(18) lgkmcnt(1)
	v_mul_f64 v[38:39], v[30:31], v[160:161]
	s_waitcnt vmcnt(16)
	v_fmac_f64_e32 v[38:39], v[32:33], v[162:163]
	v_add_f64 v[2:3], v[2:3], v[38:39]
	ds_read_b128 v[38:41], v1 offset:1312
	s_waitcnt lgkmcnt(1)
	v_mul_f64 v[42:43], v[34:35], v[136:137]
	v_fmac_f64_e32 v[42:43], v[36:37], v[138:139]
	v_add_f64 v[2:3], v[2:3], v[42:43]
	ds_read_b128 v[42:45], v1 offset:1328
	s_waitcnt vmcnt(10) lgkmcnt(1)
	v_mul_f64 v[46:47], v[38:39], v[164:165]
	s_waitcnt vmcnt(8)
	v_fmac_f64_e32 v[46:47], v[40:41], v[166:167]
	v_add_f64 v[2:3], v[2:3], v[46:47]
	ds_read_b128 v[46:49], v1 offset:1344
	buffer_load_dword v173, off, s[0:3], 0 offset:588
	buffer_load_dword v172, off, s[0:3], 0 offset:584
	;; [unrolled: 1-line block ×4, first 2 shown]
	s_waitcnt lgkmcnt(1)
	v_mul_f64 v[174:175], v[42:43], v[142:143]
	v_fmac_f64_e32 v[174:175], v[44:45], v[146:147]
	v_add_f64 v[2:3], v[2:3], v[174:175]
	buffer_load_dword v179, off, s[0:3], 0 offset:604
	buffer_load_dword v178, off, s[0:3], 0 offset:600
	;; [unrolled: 1-line block ×20, first 2 shown]
	v_mul_f64 v[4:5], v[112:113], v[58:59]
	v_mul_f64 v[6:7], v[116:117], v[54:55]
	v_fma_f64 v[8:9], v[110:111], v[56:57], -v[4:5]
	v_fma_f64 v[110:111], v[114:115], v[52:53], -v[6:7]
	v_mul_f64 v[6:7], v[198:199], v[50:51]
	v_fma_f64 v[112:113], v[196:197], v[82:83], -v[6:7]
	buffer_load_dword v197, off, s[0:3], 0 offset:684
	buffer_load_dword v196, off, s[0:3], 0 offset:680
	;; [unrolled: 1-line block ×4, first 2 shown]
	v_mul_f64 v[6:7], v[202:203], v[64:65]
	v_fma_f64 v[114:115], v[200:201], v[80:81], -v[6:7]
	v_mul_f64 v[6:7], v[206:207], v[60:61]
	v_fma_f64 v[116:117], v[204:205], v[62:63], -v[6:7]
	buffer_load_dword v201, off, s[0:3], 0 offset:700
	buffer_load_dword v200, off, s[0:3], 0 offset:696
	;; [unrolled: 1-line block ×8, first 2 shown]
	ds_read_b128 v[50:53], v1 offset:1360
	v_mul_f64 v[54:55], v[214:215], v[74:75]
	buffer_load_dword v215, off, s[0:3], 0 offset:732
	buffer_load_dword v214, off, s[0:3], 0 offset:728
	;; [unrolled: 1-line block ×4, first 2 shown]
	v_mul_f64 v[6:7], v[210:211], v[76:77]
	v_fma_f64 v[6:7], v[208:209], v[78:79], -v[6:7]
	v_fma_f64 v[4:5], v[212:213], v[72:73], -v[54:55]
	buffer_load_dword v208, off, s[0:3], 0 offset:760
	buffer_load_dword v227, off, s[0:3], 0 offset:748
	;; [unrolled: 1-line block ×8, first 2 shown]
	v_mul_f64 v[56:57], v[218:219], v[68:69]
	v_fma_f64 v[218:219], v[216:217], v[70:71], -v[56:57]
	buffer_load_dword v211, off, s[0:3], 0 offset:780
	buffer_load_dword v210, off, s[0:3], 0 offset:776
	;; [unrolled: 1-line block ×4, first 2 shown]
	s_waitcnt vmcnt(54) lgkmcnt(1)
	v_mul_f64 v[54:55], v[46:47], v[168:169]
	s_waitcnt vmcnt(52)
	v_fmac_f64_e32 v[54:55], v[48:49], v[170:171]
	v_add_f64 v[2:3], v[2:3], v[54:55]
	s_waitcnt lgkmcnt(0)
	v_mul_f64 v[54:55], v[50:51], v[150:151]
	v_fmac_f64_e32 v[54:55], v[52:53], v[154:155]
	v_add_f64 v[2:3], v[2:3], v[54:55]
	ds_read_b128 v[54:57], v1 offset:1376
	v_mul_f64 v[58:59], v[234:235], v[66:67]
	v_fma_f64 v[232:233], v[232:233], v[84:85], -v[58:59]
	ds_read_b128 v[58:61], v1 offset:1392
	v_mul_f64 v[70:71], v[242:243], v[86:87]
	v_fma_f64 v[240:241], v[240:241], v[88:89], -v[70:71]
	;; [unrolled: 3-line block ×3, first 2 shown]
	v_mul_f64 v[86:87], v[254:255], v[224:225]
	v_fma_f64 v[252:253], v[252:253], v[230:231], -v[86:87]
	ds_read_b128 v[86:89], v1 offset:1504
	v_mul_f64 v[94:95], v[120:121], v[94:95]
	v_fma_f64 v[254:255], v[118:119], v[104:105], -v[94:95]
	ds_read_b128 v[94:97], v1 offset:1536
	v_mul_f64 v[98:99], v[222:223], v[106:107]
	v_fma_f64 v[98:99], v[220:221], v[108:109], -v[98:99]
	v_accvgpr_write_b32 a167, v99
	v_accvgpr_write_b32 a166, v98
	v_add_f64 v[8:9], v[8:9], 0
	v_add_f64 v[8:9], v[8:9], v[110:111]
	;; [unrolled: 1-line block ×9, first 2 shown]
	v_accvgpr_read_b32 v6, a154
	v_accvgpr_read_b32 v7, a155
	;; [unrolled: 1-line block ×3, first 2 shown]
	v_mul_f64 v[6:7], v[124:125], v[6:7]
	v_accvgpr_read_b32 v9, a157
	v_fma_f64 v[6:7], v[122:123], v[8:9], -v[6:7]
	v_accvgpr_read_b32 v8, a160
	v_accvgpr_read_b32 v9, a161
	ds_read_b128 v[82:85], v1 offset:1488
	s_waitcnt vmcnt(50) lgkmcnt(5)
	v_mul_f64 v[62:63], v[54:55], v[172:173]
	s_waitcnt vmcnt(48)
	v_fmac_f64_e32 v[62:63], v[56:57], v[176:177]
	v_add_f64 v[2:3], v[2:3], v[62:63]
	v_mul_f64 v[62:63], v[238:239], v[90:91]
	v_fma_f64 v[234:235], v[236:237], v[92:93], -v[62:63]
	ds_read_b128 v[62:65], v1 offset:1408
	s_waitcnt vmcnt(46) lgkmcnt(5)
	v_mul_f64 v[66:67], v[58:59], v[178:179]
	s_waitcnt vmcnt(44)
	v_fmac_f64_e32 v[66:67], v[60:61], v[180:181]
	v_add_f64 v[2:3], v[2:3], v[66:67]
	ds_read_b128 v[66:69], v1 offset:1424
	s_waitcnt vmcnt(41) lgkmcnt(1)
	v_mul_f64 v[74:75], v[62:63], v[184:185]
	s_waitcnt vmcnt(39)
	v_fmac_f64_e32 v[74:75], v[64:65], v[188:189]
	v_add_f64 v[2:3], v[2:3], v[74:75]
	v_mul_f64 v[74:75], v[246:247], v[100:101]
	v_fma_f64 v[246:247], v[244:245], v[102:103], -v[74:75]
	ds_read_b128 v[74:77], v1 offset:1456
	s_waitcnt vmcnt(38) lgkmcnt(1)
	v_mul_f64 v[78:79], v[66:67], v[174:175]
	s_waitcnt vmcnt(36)
	v_fmac_f64_e32 v[78:79], v[68:69], v[186:187]
	v_add_f64 v[2:3], v[2:3], v[78:79]
	s_waitcnt vmcnt(33)
	v_mul_f64 v[78:79], v[70:71], v[192:193]
	s_waitcnt vmcnt(31)
	v_fmac_f64_e32 v[78:79], v[72:73], v[194:195]
	v_add_f64 v[2:3], v[2:3], v[78:79]
	s_waitcnt vmcnt(29) lgkmcnt(0)
	v_mul_f64 v[78:79], v[74:75], v[182:183]
	s_waitcnt vmcnt(28)
	v_fmac_f64_e32 v[78:79], v[76:77], v[190:191]
	v_add_f64 v[2:3], v[2:3], v[78:79]
	ds_read_b128 v[78:81], v1 offset:1472
	ds_read_b128 v[98:101], v1 offset:1552
	v_add_f64 v[4:5], v[4:5], v[234:235]
	v_add_f64 v[4:5], v[4:5], v[240:241]
	;; [unrolled: 1-line block ×3, first 2 shown]
	s_waitcnt vmcnt(26) lgkmcnt(1)
	v_mul_f64 v[90:91], v[78:79], v[196:197]
	s_waitcnt vmcnt(24)
	v_fmac_f64_e32 v[90:91], v[80:81], v[198:199]
	v_add_f64 v[2:3], v[2:3], v[90:91]
	s_waitcnt vmcnt(22)
	v_mul_f64 v[90:91], v[82:83], v[200:201]
	s_waitcnt vmcnt(20)
	v_fmac_f64_e32 v[90:91], v[84:85], v[204:205]
	v_add_f64 v[2:3], v[2:3], v[90:91]
	s_waitcnt vmcnt(18)
	v_mul_f64 v[90:91], v[86:87], v[202:203]
	s_waitcnt vmcnt(16)
	v_fmac_f64_e32 v[90:91], v[88:89], v[206:207]
	v_add_f64 v[2:3], v[2:3], v[90:91]
	ds_read_b128 v[90:93], v1 offset:1520
	v_add_f64 v[4:5], v[4:5], v[248:249]
	v_add_f64 v[4:5], v[4:5], v[252:253]
	;; [unrolled: 1-line block ×3, first 2 shown]
	v_accvgpr_read_b32 v4, a166
	s_waitcnt vmcnt(14) lgkmcnt(0)
	v_mul_f64 v[102:103], v[90:91], v[214:215]
	s_waitcnt vmcnt(12)
	v_fmac_f64_e32 v[102:103], v[92:93], v[10:11]
	v_add_f64 v[2:3], v[2:3], v[102:103]
	s_waitcnt vmcnt(9)
	v_mul_f64 v[102:103], v[94:95], v[226:227]
	s_waitcnt vmcnt(7)
	v_fmac_f64_e32 v[102:103], v[96:97], v[228:229]
	v_add_f64 v[2:3], v[2:3], v[102:103]
	s_waitcnt vmcnt(5)
	v_mul_f64 v[102:103], v[98:99], v[208:209]
	s_waitcnt vmcnt(4)
	v_fmac_f64_e32 v[102:103], v[100:101], v[212:213]
	v_add_f64 v[2:3], v[2:3], v[102:103]
	ds_read_b128 v[102:105], v1 offset:1568
	v_accvgpr_read_b32 v5, a167
	v_add_f64 v[4:5], v[252:253], v[4:5]
	v_add_f64 v[4:5], v[4:5], v[6:7]
	v_mul_f64 v[6:7], v[128:129], v[140:141]
	s_waitcnt vmcnt(2) lgkmcnt(0)
	v_mul_f64 v[106:107], v[102:103], v[210:211]
	s_waitcnt vmcnt(0)
	v_fmac_f64_e32 v[106:107], v[104:105], v[216:217]
	v_add_f64 v[118:119], v[2:3], v[106:107]
	buffer_load_dword v2, off, s[0:3], 0 offset:792
	buffer_load_dword v3, off, s[0:3], 0 offset:796
	;; [unrolled: 1-line block ×4, first 2 shown]
	ds_read_b128 v[106:109], v1 offset:1584
	buffer_load_dword v237, off, s[0:3], 0 offset:812
	buffer_load_dword v236, off, s[0:3], 0 offset:808
	;; [unrolled: 1-line block ×4, first 2 shown]
	v_fma_f64 v[6:7], v[126:127], v[144:145], -v[6:7]
	v_add_f64 v[4:5], v[4:5], v[6:7]
	v_accvgpr_read_b32 v6, a158
	v_accvgpr_read_b32 v7, a159
	v_mul_f64 v[6:7], v[132:133], v[6:7]
	v_fma_f64 v[6:7], v[130:131], v[8:9], -v[6:7]
	v_add_f64 v[4:5], v[4:5], v[6:7]
	v_mul_f64 v[6:7], v[16:17], v[148:149]
	v_fma_f64 v[6:7], v[14:15], v[152:153], -v[6:7]
	v_add_f64 v[4:5], v[4:5], v[6:7]
	v_accvgpr_read_b32 v6, a162
	v_accvgpr_read_b32 v7, a163
	v_mul_f64 v[6:7], v[20:21], v[6:7]
	v_fma_f64 v[6:7], v[18:19], v[12:13], -v[6:7]
	v_add_f64 v[4:5], v[4:5], v[6:7]
	v_mul_f64 v[6:7], v[24:25], v[156:157]
	;; [unrolled: 8-line block ×3, first 2 shown]
	v_fma_f64 v[6:7], v[30:31], v[162:163], -v[6:7]
	v_add_f64 v[4:5], v[4:5], v[6:7]
	v_mul_f64 v[6:7], v[36:37], v[136:137]
	v_fma_f64 v[6:7], v[34:35], v[138:139], -v[6:7]
	v_add_f64 v[4:5], v[4:5], v[6:7]
	v_mul_f64 v[6:7], v[40:41], v[164:165]
	;; [unrolled: 3-line block ×17, first 2 shown]
	s_waitcnt vmcnt(6) lgkmcnt(0)
	v_mul_f64 v[120:121], v[106:107], v[2:3]
	v_fma_f64 v[6:7], v[98:99], v[212:213], -v[6:7]
	s_waitcnt vmcnt(4)
	v_fmac_f64_e32 v[120:121], v[108:109], v[224:225]
	v_add_f64 v[220:221], v[118:119], v[120:121]
	ds_read_b128 v[118:121], v1 offset:1600
	buffer_load_dword v242, off, s[0:3], 0 offset:824
	buffer_load_dword v243, off, s[0:3], 0 offset:828
	;; [unrolled: 1-line block ×4, first 2 shown]
	v_add_f64 v[4:5], v[4:5], v[6:7]
	v_mul_f64 v[6:7], v[104:105], v[210:211]
	v_fma_f64 v[6:7], v[102:103], v[216:217], -v[6:7]
	s_waitcnt vmcnt(6) lgkmcnt(0)
	v_mul_f64 v[222:223], v[118:119], v[236:237]
	s_waitcnt vmcnt(4)
	v_fmac_f64_e32 v[222:223], v[120:121], v[238:239]
	v_add_f64 v[230:231], v[220:221], v[222:223]
	ds_read_b128 v[220:223], v1 offset:1616
	buffer_load_dword v248, off, s[0:3], 0 offset:96
	buffer_load_dword v249, off, s[0:3], 0 offset:100
	;; [unrolled: 1-line block ×4, first 2 shown]
	v_mul_f64 v[2:3], v[108:109], v[2:3]
	v_add_f64 v[4:5], v[4:5], v[6:7]
	v_fma_f64 v[2:3], v[106:107], v[224:225], -v[2:3]
	v_add_f64 v[2:3], v[4:5], v[2:3]
	v_mul_f64 v[4:5], v[120:121], v[236:237]
	v_fma_f64 v[4:5], v[118:119], v[238:239], -v[4:5]
	v_add_f64 v[2:3], v[2:3], v[4:5]
	s_waitcnt vmcnt(6) lgkmcnt(0)
	v_mul_f64 v[4:5], v[222:223], v[242:243]
	v_mul_f64 v[250:251], v[220:221], v[242:243]
	s_waitcnt vmcnt(4)
	v_fma_f64 v[4:5], v[220:221], v[244:245], -v[4:5]
	v_fmac_f64_e32 v[250:251], v[222:223], v[244:245]
	v_add_f64 v[2:3], v[2:3], v[4:5]
	v_add_f64 v[230:231], v[230:231], v[250:251]
	s_waitcnt vmcnt(2)
	v_add_f64 v[2:3], v[248:249], -v[2:3]
	s_waitcnt vmcnt(0)
	v_add_f64 v[4:5], v[246:247], -v[230:231]
	buffer_store_dword v3, off, s[0:3], 0 offset:100
	buffer_store_dword v2, off, s[0:3], 0 offset:96
	;; [unrolled: 1-line block ×4, first 2 shown]
	s_and_saveexec_b64 s[4:5], vcc
	s_cbranch_execz .LBB50_311
; %bb.310:
	v_accvgpr_read_b32 v0, a148
	buffer_load_dword v2, v0, s[0:3], 0 offen
	buffer_load_dword v3, v0, s[0:3], 0 offen offset:4
	buffer_load_dword v4, v0, s[0:3], 0 offen offset:8
	;; [unrolled: 1-line block ×3, first 2 shown]
	v_accvgpr_read_b32 v0, a153
	buffer_store_dword v1, off, s[0:3], 0 offset:80
	buffer_store_dword v1, off, s[0:3], 0 offset:84
	;; [unrolled: 1-line block ×4, first 2 shown]
	s_waitcnt vmcnt(4)
	ds_write_b128 v0, v[2:5]
.LBB50_311:
	s_or_b64 exec, exec, s[4:5]
	s_waitcnt lgkmcnt(0)
	; wave barrier
	s_waitcnt lgkmcnt(0)
	buffer_load_dword v60, off, s[0:3], 0 offset:96
	buffer_load_dword v61, off, s[0:3], 0 offset:100
	buffer_load_dword v176, off, s[0:3], 0 offset:104
	buffer_load_dword v177, off, s[0:3], 0 offset:108
	buffer_load_dword v50, off, s[0:3], 0 offset:112
	buffer_load_dword v51, off, s[0:3], 0 offset:116
	buffer_load_dword v58, off, s[0:3], 0 offset:120
	buffer_load_dword v59, off, s[0:3], 0 offset:124
	buffer_load_dword v52, off, s[0:3], 0 offset:136
	buffer_load_dword v53, off, s[0:3], 0 offset:140
	buffer_load_dword v69, off, s[0:3], 0 offset:172
	buffer_load_dword v68, off, s[0:3], 0 offset:168
	buffer_load_dword v71, off, s[0:3], 0 offset:164
	buffer_load_dword v70, off, s[0:3], 0 offset:160
	buffer_load_dword v73, off, s[0:3], 0 offset:156
	buffer_load_dword v72, off, s[0:3], 0 offset:152
	buffer_load_dword v75, off, s[0:3], 0 offset:204
	buffer_load_dword v74, off, s[0:3], 0 offset:200
	buffer_load_dword v77, off, s[0:3], 0 offset:196
	buffer_load_dword v76, off, s[0:3], 0 offset:192
	buffer_load_dword v79, off, s[0:3], 0 offset:188
	buffer_load_dword v78, off, s[0:3], 0 offset:184
	buffer_load_dword v83, off, s[0:3], 0 offset:236
	buffer_load_dword v82, off, s[0:3], 0 offset:232
	buffer_load_dword v84, off, s[0:3], 0 offset:224
	buffer_load_dword v87, off, s[0:3], 0 offset:220
	buffer_load_dword v86, off, s[0:3], 0 offset:216
	buffer_load_dword v81, off, s[0:3], 0 offset:252
	buffer_load_dword v80, off, s[0:3], 0 offset:248
	buffer_load_dword v96, off, s[0:3], 0 offset:128
	buffer_load_dword v97, off, s[0:3], 0 offset:132
	buffer_load_dword v93, off, s[0:3], 0 offset:148
	buffer_load_dword v92, off, s[0:3], 0 offset:144
	buffer_load_dword v91, off, s[0:3], 0 offset:180
	buffer_load_dword v90, off, s[0:3], 0 offset:176
	buffer_load_dword v89, off, s[0:3], 0 offset:212
	buffer_load_dword v88, off, s[0:3], 0 offset:208
	buffer_load_dword v85, off, s[0:3], 0 offset:228
	buffer_load_dword v94, off, s[0:3], 0 offset:264
	buffer_load_dword v98, off, s[0:3], 0 offset:256
	buffer_load_dword v99, off, s[0:3], 0 offset:260
	buffer_load_dword v95, off, s[0:3], 0 offset:268
	ds_read_b128 v[114:117], v1 offset:896
	ds_read_b128 v[182:185], v1 offset:912
	;; [unrolled: 1-line block ×10, first 2 shown]
	buffer_load_dword v221, off, s[0:3], 0 offset:244
	buffer_load_dword v220, off, s[0:3], 0 offset:240
	ds_read_b128 v[62:65], v1 offset:1056
	buffer_load_dword v101, off, s[0:3], 0 offset:300
	buffer_load_dword v100, off, s[0:3], 0 offset:296
	;; [unrolled: 1-line block ×6, first 2 shown]
	s_waitcnt vmcnt(46) lgkmcnt(10)
	v_mul_f64 v[2:3], v[114:115], v[176:177]
	v_fmac_f64_e32 v[2:3], v[116:117], v[60:61]
	v_add_f64 v[2:3], v[2:3], 0
	s_waitcnt vmcnt(42) lgkmcnt(9)
	v_mul_f64 v[4:5], v[182:183], v[58:59]
	v_fmac_f64_e32 v[4:5], v[184:185], v[50:51]
	v_add_f64 v[2:3], v[2:3], v[4:5]
	buffer_load_dword v223, off, s[0:3], 0 offset:276
	buffer_load_dword v222, off, s[0:3], 0 offset:272
	;; [unrolled: 1-line block ×20, first 2 shown]
	s_waitcnt vmcnt(60) lgkmcnt(8)
	v_mul_f64 v[6:7], v[186:187], v[52:53]
	s_waitcnt vmcnt(58) lgkmcnt(6)
	v_mul_f64 v[10:11], v[200:201], v[68:69]
	s_waitcnt vmcnt(56)
	v_fmac_f64_e32 v[10:11], v[202:203], v[70:71]
	v_mul_f64 v[58:59], v[184:185], v[58:59]
	s_waitcnt vmcnt(54)
	v_mul_f64 v[8:9], v[194:195], v[72:73]
	s_waitcnt vmcnt(52) lgkmcnt(4)
	v_mul_f64 v[14:15], v[208:209], v[74:75]
	s_waitcnt vmcnt(50)
	v_fmac_f64_e32 v[14:15], v[210:211], v[76:77]
	s_waitcnt vmcnt(48)
	v_mul_f64 v[12:13], v[204:205], v[78:79]
	s_waitcnt vmcnt(46) lgkmcnt(2)
	v_mul_f64 v[18:19], v[216:217], v[82:83]
	s_waitcnt vmcnt(43)
	v_mul_f64 v[16:17], v[212:213], v[86:87]
	s_waitcnt vmcnt(41) lgkmcnt(1)
	v_mul_f64 v[20:21], v[54:55], v[80:81]
	s_waitcnt vmcnt(39)
	v_fmac_f64_e32 v[6:7], v[188:189], v[96:97]
	v_add_f64 v[2:3], v[2:3], v[6:7]
	s_waitcnt vmcnt(37)
	v_fmac_f64_e32 v[8:9], v[196:197], v[92:93]
	v_add_f64 v[2:3], v[2:3], v[8:9]
	;; [unrolled: 3-line block ×3, first 2 shown]
	v_add_f64 v[2:3], v[2:3], v[12:13]
	s_waitcnt vmcnt(33)
	v_fmac_f64_e32 v[16:17], v[214:215], v[88:89]
	v_add_f64 v[2:3], v[2:3], v[14:15]
	s_waitcnt vmcnt(32)
	v_fmac_f64_e32 v[18:19], v[218:219], v[84:85]
	v_add_f64 v[2:3], v[2:3], v[16:17]
	v_add_f64 v[2:3], v[2:3], v[18:19]
	s_waitcnt vmcnt(26)
	v_fmac_f64_e32 v[20:21], v[56:57], v[220:221]
	v_add_f64 v[2:3], v[2:3], v[20:21]
	v_mul_f64 v[56:57], v[56:57], v[80:81]
	s_waitcnt vmcnt(0)
	v_pk_mov_b32 v[18:19], v[4:5], v[4:5] op_sel:[0,1]
	buffer_load_dword v5, off, s[0:3], 0 offset:388
	buffer_load_dword v4, off, s[0:3], 0 offset:384
	v_accvgpr_write_b32 a159, v19
	v_accvgpr_write_b32 a158, v18
	s_waitcnt vmcnt(0)
	v_pk_mov_b32 v[22:23], v[4:5], v[4:5] op_sel:[0,1]
	buffer_load_dword v5, off, s[0:3], 0 offset:380
	buffer_load_dword v4, off, s[0:3], 0 offset:376
	v_accvgpr_write_b32 a161, v23
	v_accvgpr_write_b32 a160, v22
	;; [unrolled: 6-line block ×5, first 2 shown]
	s_waitcnt vmcnt(0)
	v_pk_mov_b32 v[28:29], v[4:5], v[4:5] op_sel:[0,1]
	buffer_load_dword v145, off, s[0:3], 0 offset:412
	buffer_load_dword v144, off, s[0:3], 0 offset:408
	buffer_load_dword v149, off, s[0:3], 0 offset:404
	buffer_load_dword v148, off, s[0:3], 0 offset:400
	buffer_load_dword v5, off, s[0:3], 0 offset:460
	buffer_load_dword v4, off, s[0:3], 0 offset:456
	v_accvgpr_write_b32 a165, v29
	v_accvgpr_write_b32 a164, v28
	s_waitcnt vmcnt(0)
	v_pk_mov_b32 v[34:35], v[4:5], v[4:5] op_sel:[0,1]
	buffer_load_dword v5, off, s[0:3], 0 offset:452
	buffer_load_dword v4, off, s[0:3], 0 offset:448
	v_accvgpr_write_b32 a167, v35
	v_accvgpr_write_b32 a166, v34
	s_waitcnt vmcnt(0)
	v_pk_mov_b32 v[36:37], v[4:5], v[4:5] op_sel:[0,1]
	buffer_load_dword v153, off, s[0:3], 0 offset:444
	buffer_load_dword v152, off, s[0:3], 0 offset:440
	;; [unrolled: 1-line block ×6, first 2 shown]
	v_accvgpr_write_b32 a169, v37
	v_accvgpr_write_b32 a168, v36
	s_waitcnt vmcnt(0)
	v_pk_mov_b32 v[42:43], v[4:5], v[4:5] op_sel:[0,1]
	buffer_load_dword v5, off, s[0:3], 0 offset:484
	buffer_load_dword v4, off, s[0:3], 0 offset:480
	;; [unrolled: 1-line block ×30, first 2 shown]
	ds_read_b128 v[234:237], v1 offset:1072
	ds_read_b128 v[238:241], v1 offset:1088
	;; [unrolled: 1-line block ×10, first 2 shown]
	s_waitcnt lgkmcnt(4)
	v_mul_f64 v[8:9], v[118:119], v[106:107]
	v_fmac_f64_e32 v[8:9], v[120:121], v[108:109]
	s_waitcnt lgkmcnt(3)
	v_mul_f64 v[12:13], v[138:139], v[14:15]
	v_fmac_f64_e32 v[12:13], v[140:141], v[16:17]
	s_waitcnt lgkmcnt(2)
	v_mul_f64 v[16:17], v[134:135], v[18:19]
	v_fmac_f64_e32 v[16:17], v[136:137], v[22:23]
	s_waitcnt lgkmcnt(1)
	v_mul_f64 v[20:21], v[130:131], v[144:145]
	v_fmac_f64_e32 v[20:21], v[132:133], v[148:149]
	ds_read_b128 v[122:125], v1 offset:1232
	s_waitcnt lgkmcnt(1)
	v_mul_f64 v[24:25], v[126:127], v[26:27]
	v_fmac_f64_e32 v[24:25], v[128:129], v[28:29]
	v_accvgpr_write_b32 a171, v43
	v_accvgpr_write_b32 a170, v42
	s_waitcnt vmcnt(28)
	v_pk_mov_b32 v[44:45], v[4:5], v[4:5] op_sel:[0,1]
	v_mul_f64 v[4:5], v[62:63], v[94:95]
	v_fmac_f64_e32 v[4:5], v[64:65], v[98:99]
	v_add_f64 v[2:3], v[2:3], v[4:5]
	v_mul_f64 v[4:5], v[234:235], v[104:105]
	v_fmac_f64_e32 v[4:5], v[236:237], v[222:223]
	v_add_f64 v[2:3], v[2:3], v[4:5]
	;; [unrolled: 3-line block ×6, first 2 shown]
	v_add_f64 v[10:11], v[6:7], v[8:9]
	v_add_f64 v[14:15], v[10:11], v[12:13]
	;; [unrolled: 1-line block ×5, first 2 shown]
	ds_read_b128 v[22:25], v1 offset:1248
	s_waitcnt lgkmcnt(1)
	v_mul_f64 v[28:29], v[122:123], v[152:153]
	v_fmac_f64_e32 v[28:29], v[124:125], v[156:157]
	v_add_f64 v[30:31], v[26:27], v[28:29]
	ds_read_b128 v[26:29], v1 offset:1264
	s_waitcnt lgkmcnt(1)
	v_mul_f64 v[32:33], v[22:23], v[34:35]
	v_fmac_f64_e32 v[32:33], v[24:25], v[36:37]
	v_add_f64 v[34:35], v[30:31], v[32:33]
	ds_read_b128 v[30:33], v1 offset:1280
	s_waitcnt vmcnt(26) lgkmcnt(1)
	v_mul_f64 v[36:37], v[26:27], v[160:161]
	s_waitcnt vmcnt(24)
	v_fmac_f64_e32 v[36:37], v[28:29], v[162:163]
	v_add_f64 v[38:39], v[34:35], v[36:37]
	ds_read_b128 v[34:37], v1 offset:1296
	s_waitcnt lgkmcnt(1)
	v_mul_f64 v[40:41], v[30:31], v[42:43]
	v_fmac_f64_e32 v[40:41], v[32:33], v[44:45]
	v_add_f64 v[46:47], v[38:39], v[40:41]
	ds_read_b128 v[38:41], v1 offset:1312
	v_accvgpr_write_b32 a173, v45
	v_accvgpr_write_b32 a172, v44
	ds_read_b128 v[42:45], v1 offset:1328
	s_waitcnt vmcnt(18) lgkmcnt(2)
	v_mul_f64 v[48:49], v[34:35], v[164:165]
	s_waitcnt vmcnt(16)
	v_fmac_f64_e32 v[48:49], v[36:37], v[166:167]
	v_add_f64 v[46:47], v[46:47], v[48:49]
	s_waitcnt lgkmcnt(1)
	v_mul_f64 v[48:49], v[38:39], v[254:255]
	v_fmac_f64_e32 v[48:49], v[40:41], v[142:143]
	v_add_f64 v[46:47], v[46:47], v[48:49]
	s_waitcnt vmcnt(10) lgkmcnt(0)
	v_mul_f64 v[48:49], v[42:43], v[168:169]
	s_waitcnt vmcnt(8)
	v_fmac_f64_e32 v[48:49], v[44:45], v[170:171]
	v_add_f64 v[2:3], v[46:47], v[48:49]
	ds_read_b128 v[46:49], v1 offset:1344
	v_mul_f64 v[4:5], v[116:117], v[176:177]
	buffer_load_dword v177, off, s[0:3], 0 offset:604
	buffer_load_dword v176, off, s[0:3], 0 offset:600
	;; [unrolled: 1-line block ×5, first 2 shown]
	v_fma_f64 v[18:19], v[114:115], v[60:61], -v[4:5]
	v_fma_f64 v[114:115], v[182:183], v[50:51], -v[58:59]
	buffer_load_dword v182, off, s[0:3], 0 offset:608
	buffer_load_dword v179, off, s[0:3], 0 offset:620
	;; [unrolled: 1-line block ×3, first 2 shown]
	v_mul_f64 v[50:51], v[188:189], v[52:53]
	v_fma_f64 v[116:117], v[186:187], v[96:97], -v[50:51]
	buffer_load_dword v187, off, s[0:3], 0 offset:636
	buffer_load_dword v186, off, s[0:3], 0 offset:632
	;; [unrolled: 1-line block ×8, first 2 shown]
	v_mul_f64 v[50:51], v[196:197], v[72:73]
	v_fma_f64 v[14:15], v[194:195], v[92:93], -v[50:51]
	buffer_load_dword v184, off, s[0:3], 0 offset:680
	buffer_load_dword v197, off, s[0:3], 0 offset:668
	;; [unrolled: 1-line block ×8, first 2 shown]
	v_mul_f64 v[8:9], v[202:203], v[68:69]
	v_fma_f64 v[10:11], v[200:201], v[70:71], -v[8:9]
	buffer_load_dword v201, off, s[0:3], 0 offset:700
	buffer_load_dword v200, off, s[0:3], 0 offset:696
	;; [unrolled: 1-line block ×4, first 2 shown]
	v_mul_f64 v[12:13], v[210:211], v[74:75]
	v_mul_f64 v[50:51], v[206:207], v[78:79]
	v_fma_f64 v[12:13], v[208:209], v[76:77], -v[12:13]
	buffer_load_dword v206, off, s[0:3], 0 offset:712
	buffer_load_dword v208, off, s[0:3], 0 offset:704
	;; [unrolled: 1-line block ×4, first 2 shown]
	v_fma_f64 v[8:9], v[204:205], v[90:91], -v[50:51]
	v_mul_f64 v[50:51], v[214:215], v[86:87]
	v_fma_f64 v[210:211], v[212:213], v[88:89], -v[50:51]
	buffer_load_dword v205, off, s[0:3], 0 offset:748
	buffer_load_dword v213, off, s[0:3], 0 offset:732
	;; [unrolled: 1-line block ×12, first 2 shown]
	ds_read_b128 v[50:53], v1 offset:1360
	v_mul_f64 v[58:59], v[218:219], v[82:83]
	v_fma_f64 v[6:7], v[216:217], v[84:85], -v[58:59]
	buffer_load_dword v216, off, s[0:3], 0 offset:776
	buffer_load_dword v218, off, s[0:3], 0 offset:768
	;; [unrolled: 1-line block ×4, first 2 shown]
	v_fma_f64 v[4:5], v[54:55], v[220:221], -v[56:57]
	ds_read_b128 v[54:57], v1 offset:1376
	ds_read_b128 v[58:61], v1 offset:1392
	s_waitcnt lgkmcnt(3)
	v_mul_f64 v[16:17], v[46:47], v[146:147]
	v_fmac_f64_e32 v[16:17], v[48:49], v[150:151]
	v_add_f64 v[2:3], v[2:3], v[16:17]
	s_waitcnt vmcnt(50) lgkmcnt(2)
	v_mul_f64 v[16:17], v[50:51], v[172:173]
	s_waitcnt vmcnt(48)
	v_fmac_f64_e32 v[16:17], v[52:53], v[174:175]
	v_add_f64 v[2:3], v[2:3], v[16:17]
	s_waitcnt lgkmcnt(1)
	v_mul_f64 v[16:17], v[54:55], v[154:155]
	v_fmac_f64_e32 v[16:17], v[56:57], v[158:159]
	v_add_f64 v[2:3], v[2:3], v[16:17]
	v_mul_f64 v[16:17], v[64:65], v[94:95]
	v_fma_f64 v[16:17], v[62:63], v[98:99], -v[16:17]
	ds_read_b128 v[62:65], v1 offset:1408
	v_mul_f64 v[74:75], v[240:241], v[100:101]
	v_fma_f64 v[240:241], v[238:239], v[102:103], -v[74:75]
	v_mul_f64 v[86:87], v[248:249], v[110:111]
	v_fma_f64 v[246:247], v[246:247], v[112:113], -v[86:87]
	;; [unrolled: 2-line block ×3, first 2 shown]
	v_add_f64 v[18:19], v[18:19], 0
	v_add_f64 v[18:19], v[18:19], v[114:115]
	;; [unrolled: 1-line block ×10, first 2 shown]
	ds_read_b128 v[74:77], v1 offset:1456
	v_add_f64 v[4:5], v[4:5], v[16:17]
	ds_read_b128 v[86:89], v1 offset:1504
	ds_read_b128 v[94:97], v1 offset:1536
	;; [unrolled: 1-line block ×3, first 2 shown]
	s_waitcnt vmcnt(46) lgkmcnt(5)
	v_mul_f64 v[20:21], v[58:59], v[176:177]
	s_waitcnt vmcnt(44)
	v_fmac_f64_e32 v[20:21], v[60:61], v[180:181]
	v_add_f64 v[2:3], v[2:3], v[20:21]
	v_mul_f64 v[20:21], v[236:237], v[104:105]
	v_fma_f64 v[20:21], v[234:235], v[222:223], -v[20:21]
	ds_read_b128 v[220:223], v1 offset:1424
	s_waitcnt vmcnt(41) lgkmcnt(5)
	v_mul_f64 v[70:71], v[62:63], v[178:179]
	s_waitcnt vmcnt(40)
	v_fmac_f64_e32 v[70:71], v[64:65], v[182:183]
	v_add_f64 v[2:3], v[2:3], v[70:71]
	ds_read_b128 v[70:73], v1 offset:1440
	s_waitcnt vmcnt(38) lgkmcnt(1)
	v_mul_f64 v[78:79], v[220:221], v[186:187]
	s_waitcnt vmcnt(36)
	v_fmac_f64_e32 v[78:79], v[222:223], v[190:191]
	v_add_f64 v[2:3], v[2:3], v[78:79]
	v_mul_f64 v[78:79], v[244:245], v[230:231]
	v_fma_f64 v[234:235], v[242:243], v[232:233], -v[78:79]
	ds_read_b128 v[78:81], v1 offset:1472
	s_waitcnt vmcnt(34) lgkmcnt(1)
	v_mul_f64 v[82:83], v[70:71], v[188:189]
	s_waitcnt vmcnt(32)
	v_fmac_f64_e32 v[82:83], v[72:73], v[192:193]
	v_add_f64 v[2:3], v[2:3], v[82:83]
	s_waitcnt vmcnt(29)
	v_mul_f64 v[82:83], v[74:75], v[196:197]
	s_waitcnt vmcnt(27)
	v_fmac_f64_e32 v[82:83], v[76:77], v[198:199]
	v_add_f64 v[2:3], v[2:3], v[82:83]
	s_waitcnt vmcnt(25) lgkmcnt(0)
	v_mul_f64 v[82:83], v[78:79], v[184:185]
	s_waitcnt vmcnt(24)
	v_fmac_f64_e32 v[82:83], v[80:81], v[194:195]
	v_add_f64 v[2:3], v[2:3], v[82:83]
	ds_read_b128 v[82:85], v1 offset:1488
	s_waitcnt vmcnt(17)
	v_mul_f64 v[66:67], v[86:87], v[206:207]
	s_waitcnt vmcnt(16)
	v_fmac_f64_e32 v[66:67], v[88:89], v[208:209]
	ds_read_b128 v[102:105], v1 offset:1568
	v_add_f64 v[4:5], v[4:5], v[20:21]
	s_waitcnt lgkmcnt(1)
	v_mul_f64 v[90:91], v[82:83], v[200:201]
	v_fmac_f64_e32 v[90:91], v[84:85], v[202:203]
	v_add_f64 v[2:3], v[2:3], v[90:91]
	ds_read_b128 v[90:93], v1 offset:1520
	v_add_f64 v[2:3], v[2:3], v[66:67]
	v_mul_f64 v[66:67], v[120:121], v[106:107]
	buffer_load_dword v121, off, s[0:3], 0 offset:796
	buffer_load_dword v120, off, s[0:3], 0 offset:792
	;; [unrolled: 1-line block ×4, first 2 shown]
	v_fma_f64 v[252:253], v[118:119], v[108:109], -v[66:67]
	s_waitcnt vmcnt(17) lgkmcnt(0)
	v_mul_f64 v[66:67], v[90:91], v[212:213]
	s_waitcnt vmcnt(15)
	v_fmac_f64_e32 v[66:67], v[92:93], v[226:227]
	v_add_f64 v[2:3], v[2:3], v[66:67]
	s_waitcnt vmcnt(14)
	v_mul_f64 v[66:67], v[94:95], v[204:205]
	s_waitcnt vmcnt(12)
	v_fmac_f64_e32 v[66:67], v[96:97], v[68:69]
	ds_read_b128 v[106:109], v1 offset:1584
	v_add_f64 v[2:3], v[2:3], v[66:67]
	s_waitcnt vmcnt(10)
	v_mul_f64 v[66:67], v[98:99], v[214:215]
	s_waitcnt vmcnt(8)
	v_fmac_f64_e32 v[66:67], v[100:101], v[228:229]
	v_add_f64 v[2:3], v[2:3], v[66:67]
	s_waitcnt vmcnt(5)
	v_mul_f64 v[66:67], v[102:103], v[216:217]
	s_waitcnt vmcnt(4)
	v_fmac_f64_e32 v[66:67], v[104:105], v[218:219]
	v_add_f64 v[2:3], v[2:3], v[66:67]
	v_add_f64 v[4:5], v[4:5], v[240:241]
	;; [unrolled: 1-line block ×3, first 2 shown]
	s_waitcnt vmcnt(2) lgkmcnt(0)
	v_mul_f64 v[66:67], v[106:107], v[120:121]
	s_waitcnt vmcnt(0)
	v_fmac_f64_e32 v[66:67], v[108:109], v[236:237]
	v_add_f64 v[66:67], v[2:3], v[66:67]
	buffer_load_dword v238, off, s[0:3], 0 offset:808
	buffer_load_dword v239, off, s[0:3], 0 offset:812
	;; [unrolled: 1-line block ×4, first 2 shown]
	ds_read_b128 v[110:113], v1 offset:1600
	buffer_load_dword v243, off, s[0:3], 0 offset:828
	buffer_load_dword v242, off, s[0:3], 0 offset:824
	;; [unrolled: 1-line block ×4, first 2 shown]
	ds_read_b128 v[230:233], v1 offset:1616
	v_accvgpr_read_b32 v0, a154
	v_accvgpr_read_b32 v1, a155
	v_mul_f64 v[6:7], v[140:141], v[0:1]
	v_accvgpr_read_b32 v0, a156
	v_accvgpr_read_b32 v1, a157
	v_fma_f64 v[6:7], v[138:139], v[0:1], -v[6:7]
	v_accvgpr_read_b32 v0, a158
	v_accvgpr_read_b32 v1, a159
	s_waitcnt vmcnt(6) lgkmcnt(1)
	v_mul_f64 v[118:119], v[110:111], v[238:239]
	s_waitcnt vmcnt(4)
	v_fmac_f64_e32 v[118:119], v[112:113], v[2:3]
	v_add_f64 v[66:67], v[66:67], v[118:119]
	s_waitcnt vmcnt(2) lgkmcnt(0)
	v_mul_f64 v[118:119], v[230:231], v[242:243]
	s_waitcnt vmcnt(0)
	v_fmac_f64_e32 v[118:119], v[232:233], v[244:245]
	v_add_f64 v[66:67], v[66:67], v[118:119]
	v_add_f64 v[118:119], v[4:5], v[246:247]
	buffer_load_dword v248, off, s[0:3], 0 offset:80
	buffer_load_dword v249, off, s[0:3], 0 offset:84
	;; [unrolled: 1-line block ×4, first 2 shown]
	v_add_f64 v[4:5], v[118:119], v[250:251]
	v_add_f64 v[4:5], v[4:5], v[252:253]
	;; [unrolled: 1-line block ×3, first 2 shown]
	v_mul_f64 v[6:7], v[136:137], v[0:1]
	v_accvgpr_read_b32 v0, a160
	v_accvgpr_read_b32 v1, a161
	v_fma_f64 v[6:7], v[134:135], v[0:1], -v[6:7]
	v_add_f64 v[4:5], v[4:5], v[6:7]
	v_mul_f64 v[6:7], v[132:133], v[144:145]
	v_accvgpr_read_b32 v0, a162
	v_fma_f64 v[6:7], v[130:131], v[148:149], -v[6:7]
	v_accvgpr_read_b32 v1, a163
	v_add_f64 v[4:5], v[4:5], v[6:7]
	v_mul_f64 v[6:7], v[128:129], v[0:1]
	v_accvgpr_read_b32 v0, a164
	v_accvgpr_read_b32 v1, a165
	v_fma_f64 v[6:7], v[126:127], v[0:1], -v[6:7]
	v_add_f64 v[4:5], v[4:5], v[6:7]
	v_mul_f64 v[6:7], v[124:125], v[152:153]
	v_accvgpr_read_b32 v0, a166
	v_fma_f64 v[6:7], v[122:123], v[156:157], -v[6:7]
	v_accvgpr_read_b32 v1, a167
	v_add_f64 v[4:5], v[4:5], v[6:7]
	;; [unrolled: 10-line block ×3, first 2 shown]
	v_mul_f64 v[6:7], v[32:33], v[0:1]
	v_accvgpr_read_b32 v0, a172
	v_accvgpr_read_b32 v1, a173
	v_fma_f64 v[6:7], v[30:31], v[0:1], -v[6:7]
	v_add_f64 v[4:5], v[4:5], v[6:7]
	v_mul_f64 v[6:7], v[36:37], v[164:165]
	v_fma_f64 v[6:7], v[34:35], v[166:167], -v[6:7]
	v_add_f64 v[4:5], v[4:5], v[6:7]
	v_mul_f64 v[6:7], v[40:41], v[254:255]
	;; [unrolled: 3-line block ×21, first 2 shown]
	v_fma_f64 v[4:5], v[230:231], v[244:245], -v[4:5]
	v_add_f64 v[2:3], v[2:3], v[4:5]
	v_accvgpr_read_b32 v0, a152
	s_waitcnt vmcnt(2)
	v_add_f64 v[2:3], v[248:249], -v[2:3]
	v_cmp_lt_u32_e32 vcc, 3, v0
	s_waitcnt vmcnt(0)
	v_add_f64 v[4:5], v[246:247], -v[66:67]
	buffer_store_dword v3, off, s[0:3], 0 offset:84
	buffer_store_dword v2, off, s[0:3], 0 offset:80
	;; [unrolled: 1-line block ×4, first 2 shown]
	s_and_saveexec_b64 s[4:5], vcc
	s_cbranch_execz .LBB50_313
; %bb.312:
	v_accvgpr_read_b32 v0, a149
	buffer_load_dword v2, v0, s[0:3], 0 offen
	buffer_load_dword v3, v0, s[0:3], 0 offen offset:4
	buffer_load_dword v4, v0, s[0:3], 0 offen offset:8
	;; [unrolled: 1-line block ×3, first 2 shown]
	v_mov_b32_e32 v0, 0
	v_accvgpr_read_b32 v1, a153
	buffer_store_dword v0, off, s[0:3], 0 offset:64
	buffer_store_dword v0, off, s[0:3], 0 offset:68
	;; [unrolled: 1-line block ×4, first 2 shown]
	s_waitcnt vmcnt(4)
	ds_write_b128 v1, v[2:5]
.LBB50_313:
	s_or_b64 exec, exec, s[4:5]
	s_waitcnt lgkmcnt(0)
	; wave barrier
	s_waitcnt lgkmcnt(0)
	buffer_load_dword v48, off, s[0:3], 0 offset:80
	buffer_load_dword v49, off, s[0:3], 0 offset:84
	;; [unrolled: 1-line block ×42, first 2 shown]
	v_mov_b32_e32 v1, 0
	buffer_load_dword v99, off, s[0:3], 0 offset:228
	buffer_load_dword v98, off, s[0:3], 0 offset:224
	;; [unrolled: 1-line block ×7, first 2 shown]
	ds_read_b128 v[112:115], v1 offset:880
	ds_read_b128 v[116:119], v1 offset:896
	;; [unrolled: 1-line block ×11, first 2 shown]
	v_accvgpr_read_b32 v0, a152
	v_cmp_lt_u32_e32 vcc, 2, v0
	s_waitcnt vmcnt(45) lgkmcnt(10)
	v_mul_f64 v[2:3], v[112:113], v[52:53]
	v_fmac_f64_e32 v[2:3], v[114:115], v[48:49]
	v_add_f64 v[2:3], v[2:3], 0
	s_waitcnt vmcnt(41) lgkmcnt(9)
	v_mul_f64 v[4:5], v[116:117], v[54:55]
	v_fmac_f64_e32 v[4:5], v[118:119], v[176:177]
	v_add_f64 v[2:3], v[2:3], v[4:5]
	buffer_load_dword v96, off, s[0:3], 0 offset:264
	buffer_load_dword v51, off, s[0:3], 0 offset:260
	;; [unrolled: 1-line block ×21, first 2 shown]
	s_waitcnt vmcnt(60) lgkmcnt(8)
	v_mul_f64 v[6:7], v[180:181], v[46:47]
	s_waitcnt vmcnt(58) lgkmcnt(6)
	v_mul_f64 v[10:11], v[190:191], v[188:189]
	s_waitcnt vmcnt(56)
	v_fmac_f64_e32 v[10:11], v[192:193], v[56:57]
	v_mul_f64 v[46:47], v[182:183], v[46:47]
	s_waitcnt vmcnt(54)
	v_mul_f64 v[8:9], v[184:185], v[64:65]
	s_waitcnt vmcnt(52) lgkmcnt(4)
	v_mul_f64 v[14:15], v[200:201], v[66:67]
	s_waitcnt vmcnt(50)
	v_fmac_f64_e32 v[14:15], v[202:203], v[68:69]
	s_waitcnt vmcnt(48)
	v_mul_f64 v[12:13], v[196:197], v[70:71]
	s_waitcnt vmcnt(46) lgkmcnt(2)
	v_mul_f64 v[18:19], v[208:209], v[76:77]
	s_waitcnt vmcnt(43)
	v_mul_f64 v[16:17], v[204:205], v[78:79]
	s_waitcnt vmcnt(41) lgkmcnt(1)
	v_mul_f64 v[20:21], v[212:213], v[72:73]
	s_waitcnt vmcnt(39)
	v_fmac_f64_e32 v[6:7], v[182:183], v[90:91]
	v_add_f64 v[2:3], v[2:3], v[6:7]
	s_waitcnt vmcnt(37)
	v_fmac_f64_e32 v[8:9], v[186:187], v[220:221]
	v_add_f64 v[2:3], v[2:3], v[8:9]
	s_waitcnt vmcnt(35)
	v_fmac_f64_e32 v[12:13], v[198:199], v[82:83]
	v_add_f64 v[2:3], v[2:3], v[10:11]
	v_add_f64 v[2:3], v[2:3], v[12:13]
	s_waitcnt vmcnt(33)
	v_fmac_f64_e32 v[16:17], v[206:207], v[80:81]
	v_add_f64 v[2:3], v[2:3], v[14:15]
	v_add_f64 v[2:3], v[2:3], v[16:17]
	s_waitcnt vmcnt(32)
	v_fmac_f64_e32 v[18:19], v[210:211], v[74:75]
	v_add_f64 v[2:3], v[2:3], v[18:19]
	s_waitcnt vmcnt(26)
	v_fmac_f64_e32 v[20:21], v[214:215], v[98:99]
	s_waitcnt lgkmcnt(0)
	v_mul_f64 v[6:7], v[58:59], v[84:85]
	v_add_f64 v[2:3], v[2:3], v[20:21]
	v_fmac_f64_e32 v[6:7], v[60:61], v[86:87]
	v_add_f64 v[2:3], v[2:3], v[6:7]
	v_mul_f64 v[60:61], v[60:61], v[84:85]
	s_waitcnt vmcnt(0)
	v_pk_mov_b32 v[8:9], v[4:5], v[4:5] op_sel:[0,1]
	buffer_load_dword v5, off, s[0:3], 0 offset:372
	buffer_load_dword v4, off, s[0:3], 0 offset:368
	v_accvgpr_write_b32 a155, v9
	v_accvgpr_write_b32 a154, v8
	s_waitcnt vmcnt(0)
	v_pk_mov_b32 v[12:13], v[4:5], v[4:5] op_sel:[0,1]
	buffer_load_dword v105, off, s[0:3], 0 offset:364
	buffer_load_dword v104, off, s[0:3], 0 offset:360
	buffer_load_dword v107, off, s[0:3], 0 offset:356
	buffer_load_dword v106, off, s[0:3], 0 offset:352
	buffer_load_dword v5, off, s[0:3], 0 offset:412
	buffer_load_dword v4, off, s[0:3], 0 offset:408
	v_accvgpr_write_b32 a157, v13
	v_accvgpr_write_b32 a156, v12
	s_waitcnt vmcnt(0)
	v_pk_mov_b32 v[16:17], v[4:5], v[4:5] op_sel:[0,1]
	buffer_load_dword v5, off, s[0:3], 0 offset:404
	buffer_load_dword v4, off, s[0:3], 0 offset:400
	v_accvgpr_write_b32 a159, v17
	v_accvgpr_write_b32 a158, v16
	s_waitcnt vmcnt(0)
	v_pk_mov_b32 v[22:23], v[4:5], v[4:5] op_sel:[0,1]
	buffer_load_dword v141, off, s[0:3], 0 offset:396
	buffer_load_dword v140, off, s[0:3], 0 offset:392
	buffer_load_dword v145, off, s[0:3], 0 offset:388
	buffer_load_dword v144, off, s[0:3], 0 offset:384
	buffer_load_dword v5, off, s[0:3], 0 offset:444
	buffer_load_dword v4, off, s[0:3], 0 offset:440
	v_accvgpr_write_b32 a161, v23
	v_accvgpr_write_b32 a160, v22
	;; [unrolled: 16-line block ×3, first 2 shown]
	s_waitcnt vmcnt(0)
	v_pk_mov_b32 v[36:37], v[4:5], v[4:5] op_sel:[0,1]
	buffer_load_dword v5, off, s[0:3], 0 offset:468
	buffer_load_dword v4, off, s[0:3], 0 offset:464
	;; [unrolled: 1-line block ×30, first 2 shown]
	ds_read_b128 v[216:219], v1 offset:1056
	ds_read_b128 v[236:239], v1 offset:1072
	;; [unrolled: 1-line block ×6, first 2 shown]
	s_waitcnt lgkmcnt(5)
	v_mul_f64 v[6:7], v[216:217], v[96:97]
	v_fmac_f64_e32 v[6:7], v[218:219], v[50:51]
	v_add_f64 v[2:3], v[2:3], v[6:7]
	s_waitcnt lgkmcnt(4)
	v_mul_f64 v[6:7], v[236:237], v[92:93]
	v_fmac_f64_e32 v[6:7], v[238:239], v[94:95]
	v_add_f64 v[2:3], v[2:3], v[6:7]
	;; [unrolled: 4-line block ×3, first 2 shown]
	s_waitcnt lgkmcnt(2)
	v_mul_f64 v[6:7], v[244:245], v[108:109]
	v_fmac_f64_e32 v[6:7], v[246:247], v[110:111]
	ds_read_b128 v[172:175], v1 offset:1152
	ds_read_b128 v[120:123], v1 offset:1168
	v_add_f64 v[2:3], v[2:3], v[6:7]
	s_waitcnt lgkmcnt(3)
	v_mul_f64 v[6:7], v[248:249], v[194:195]
	v_fmac_f64_e32 v[6:7], v[250:251], v[88:89]
	ds_read_b128 v[124:127], v1 offset:1184
	ds_read_b128 v[128:131], v1 offset:1200
	v_add_f64 v[2:3], v[2:3], v[6:7]
	s_waitcnt lgkmcnt(4)
	v_mul_f64 v[6:7], v[252:253], v[100:101]
	v_fmac_f64_e32 v[6:7], v[254:255], v[102:103]
	v_add_f64 v[2:3], v[2:3], v[6:7]
	s_waitcnt lgkmcnt(3)
	v_mul_f64 v[6:7], v[172:173], v[104:105]
	v_fmac_f64_e32 v[6:7], v[174:175], v[106:107]
	s_waitcnt lgkmcnt(2)
	v_mul_f64 v[10:11], v[120:121], v[8:9]
	v_add_f64 v[2:3], v[2:3], v[6:7]
	v_fmac_f64_e32 v[10:11], v[122:123], v[12:13]
	s_waitcnt lgkmcnt(1)
	v_mul_f64 v[14:15], v[124:125], v[140:141]
	v_add_f64 v[2:3], v[2:3], v[10:11]
	;; [unrolled: 4-line block ×3, first 2 shown]
	ds_read_b128 v[132:135], v1 offset:1216
	v_fmac_f64_e32 v[18:19], v[130:131], v[22:23]
	v_add_f64 v[2:3], v[2:3], v[18:19]
	ds_read_b128 v[18:21], v1 offset:1232
	v_accvgpr_write_b32 a167, v37
	s_waitcnt lgkmcnt(1)
	v_mul_f64 v[22:23], v[132:133], v[148:149]
	v_fmac_f64_e32 v[22:23], v[134:135], v[152:153]
	v_add_f64 v[2:3], v[2:3], v[22:23]
	s_waitcnt lgkmcnt(0)
	v_mul_f64 v[26:27], v[18:19], v[28:29]
	ds_read_b128 v[22:25], v1 offset:1248
	v_fmac_f64_e32 v[26:27], v[20:21], v[30:31]
	v_add_f64 v[2:3], v[2:3], v[26:27]
	ds_read_b128 v[26:29], v1 offset:1264
	v_accvgpr_write_b32 a166, v36
	s_waitcnt vmcnt(28)
	v_accvgpr_write_b32 a169, v5
	s_waitcnt vmcnt(26) lgkmcnt(1)
	v_mul_f64 v[30:31], v[22:23], v[156:157]
	v_mul_f64 v[6:7], v[118:119], v[54:55]
	s_waitcnt vmcnt(24)
	v_fmac_f64_e32 v[30:31], v[24:25], v[158:159]
	s_waitcnt lgkmcnt(0)
	v_mul_f64 v[34:35], v[26:27], v[36:37]
	v_add_f64 v[2:3], v[2:3], v[30:31]
	ds_read_b128 v[30:33], v1 offset:1280
	v_fmac_f64_e32 v[34:35], v[28:29], v[4:5]
	v_add_f64 v[2:3], v[2:3], v[34:35]
	ds_read_b128 v[34:37], v1 offset:1296
	v_accvgpr_write_b32 a168, v4
	s_waitcnt vmcnt(18) lgkmcnt(1)
	v_mul_f64 v[38:39], v[30:31], v[160:161]
	s_waitcnt vmcnt(16)
	v_fmac_f64_e32 v[38:39], v[32:33], v[162:163]
	v_add_f64 v[2:3], v[2:3], v[38:39]
	s_waitcnt lgkmcnt(0)
	v_mul_f64 v[42:43], v[34:35], v[136:137]
	v_fmac_f64_e32 v[42:43], v[36:37], v[138:139]
	ds_read_b128 v[38:41], v1 offset:1312
	v_add_f64 v[2:3], v[2:3], v[42:43]
	ds_read_b128 v[42:45], v1 offset:1328
	v_mul_f64 v[4:5], v[114:115], v[52:53]
	v_fma_f64 v[114:115], v[116:117], v[176:177], -v[6:7]
	buffer_load_dword v119, off, s[0:3], 0 offset:588
	buffer_load_dword v118, off, s[0:3], 0 offset:584
	;; [unrolled: 1-line block ×8, first 2 shown]
	v_fma_f64 v[116:117], v[180:181], v[90:91], -v[46:47]
	v_mul_f64 v[46:47], v[186:187], v[64:65]
	v_fma_f64 v[12:13], v[184:185], v[220:221], -v[46:47]
	buffer_load_dword v181, off, s[0:3], 0 offset:636
	buffer_load_dword v185, off, s[0:3], 0 offset:620
	buffer_load_dword v184, off, s[0:3], 0 offset:616
	buffer_load_dword v187, off, s[0:3], 0 offset:612
	buffer_load_dword v186, off, s[0:3], 0 offset:608
	buffer_load_dword v180, off, s[0:3], 0 offset:632
	v_mul_f64 v[46:47], v[192:193], v[188:189]
	buffer_load_dword v189, off, s[0:3], 0 offset:628
	buffer_load_dword v188, off, s[0:3], 0 offset:624
	v_fma_f64 v[10:11], v[190:191], v[56:57], -v[46:47]
	buffer_load_dword v182, off, s[0:3], 0 offset:664
	buffer_load_dword v193, off, s[0:3], 0 offset:652
	;; [unrolled: 1-line block ×8, first 2 shown]
	v_mul_f64 v[54:55], v[198:199], v[70:71]
	v_fma_f64 v[14:15], v[112:113], v[48:49], -v[4:5]
	ds_read_b128 v[46:49], v1 offset:1344
	v_fma_f64 v[8:9], v[196:197], v[82:83], -v[54:55]
	buffer_load_dword v197, off, s[0:3], 0 offset:684
	buffer_load_dword v196, off, s[0:3], 0 offset:680
	;; [unrolled: 1-line block ×4, first 2 shown]
	v_mul_f64 v[54:55], v[202:203], v[66:67]
	v_fma_f64 v[6:7], v[200:201], v[68:69], -v[54:55]
	buffer_load_dword v200, off, s[0:3], 0 offset:696
	buffer_load_dword v202, off, s[0:3], 0 offset:688
	;; [unrolled: 1-line block ×20, first 2 shown]
	v_mul_f64 v[54:55], v[206:207], v[78:79]
	v_mul_f64 v[56:57], v[214:215], v[72:73]
	s_waitcnt vmcnt(58) lgkmcnt(2)
	v_mul_f64 v[112:113], v[38:39], v[164:165]
	v_fma_f64 v[204:205], v[204:205], v[80:81], -v[54:55]
	v_mul_f64 v[54:55], v[210:211], v[76:77]
	v_fma_f64 v[206:207], v[212:213], v[98:99], -v[56:57]
	ds_read_b128 v[212:215], v1 offset:1360
	s_waitcnt vmcnt(56)
	v_fmac_f64_e32 v[112:113], v[40:41], v[166:167]
	v_fma_f64 v[210:211], v[208:209], v[74:75], -v[54:55]
	s_waitcnt lgkmcnt(2)
	v_mul_f64 v[54:55], v[42:43], v[142:143]
	v_add_f64 v[2:3], v[2:3], v[112:113]
	v_fmac_f64_e32 v[54:55], v[44:45], v[146:147]
	v_add_f64 v[2:3], v[2:3], v[54:55]
	s_waitcnt vmcnt(50) lgkmcnt(1)
	v_mul_f64 v[54:55], v[46:47], v[168:169]
	s_waitcnt vmcnt(48)
	v_fmac_f64_e32 v[54:55], v[48:49], v[170:171]
	v_add_f64 v[2:3], v[2:3], v[54:55]
	v_fma_f64 v[208:209], v[58:59], v[86:87], -v[60:61]
	ds_read_b128 v[58:61], v1 offset:1392
	s_waitcnt lgkmcnt(1)
	v_mul_f64 v[54:55], v[212:213], v[150:151]
	v_fmac_f64_e32 v[54:55], v[214:215], v[154:155]
	v_add_f64 v[2:3], v[2:3], v[54:55]
	ds_read_b128 v[54:57], v1 offset:1376
	v_mul_f64 v[70:71], v[238:239], v[92:93]
	v_fma_f64 v[236:237], v[236:237], v[94:95], -v[70:71]
	ds_read_b128 v[70:73], v1 offset:1440
	ds_read_b128 v[82:85], v1 offset:1488
	ds_read_b128 v[90:93], v1 offset:1520
	v_mul_f64 v[98:99], v[174:175], v[104:105]
	v_fma_f64 v[98:99], v[172:173], v[106:107], -v[98:99]
	v_accvgpr_write_b32 a171, v99
	v_accvgpr_write_b32 a170, v98
	v_add_f64 v[14:15], v[14:15], 0
	v_add_f64 v[14:15], v[14:15], v[114:115]
	v_add_f64 v[14:15], v[14:15], v[116:117]
	v_add_f64 v[12:13], v[14:15], v[12:13]
	v_add_f64 v[10:11], v[12:13], v[10:11]
	v_add_f64 v[8:9], v[10:11], v[8:9]
	v_add_f64 v[6:7], v[8:9], v[6:7]
	v_add_f64 v[6:7], v[6:7], v[204:205]
	v_add_f64 v[6:7], v[6:7], v[210:211]
	v_add_f64 v[6:7], v[6:7], v[206:207]
	v_add_f64 v[6:7], v[6:7], v[208:209]
	v_accvgpr_read_b32 v8, a154
	v_accvgpr_read_b32 v9, a155
	;; [unrolled: 1-line block ×3, first 2 shown]
	v_mul_f64 v[8:9], v[122:123], v[8:9]
	v_accvgpr_read_b32 v11, a157
	v_fma_f64 v[8:9], v[120:121], v[10:11], -v[8:9]
	v_accvgpr_read_b32 v10, a160
	v_accvgpr_read_b32 v11, a161
	s_waitcnt vmcnt(46) lgkmcnt(3)
	v_mul_f64 v[66:67], v[54:55], v[118:119]
	s_waitcnt vmcnt(44)
	v_fmac_f64_e32 v[66:67], v[56:57], v[52:53]
	v_add_f64 v[2:3], v[2:3], v[66:67]
	v_mul_f64 v[66:67], v[218:219], v[96:97]
	ds_read_b128 v[94:97], v1 offset:1536
	v_fma_f64 v[50:51], v[216:217], v[50:51], -v[66:67]
	ds_read_b128 v[216:219], v1 offset:1408
	s_waitcnt vmcnt(41)
	v_mul_f64 v[66:67], v[58:59], v[16:17]
	s_waitcnt vmcnt(40)
	v_fmac_f64_e32 v[66:67], v[60:61], v[176:177]
	v_add_f64 v[2:3], v[2:3], v[66:67]
	ds_read_b128 v[66:69], v1 offset:1424
	s_waitcnt vmcnt(37) lgkmcnt(1)
	v_mul_f64 v[74:75], v[216:217], v[184:185]
	s_waitcnt vmcnt(35)
	v_fmac_f64_e32 v[74:75], v[218:219], v[186:187]
	v_add_f64 v[2:3], v[2:3], v[74:75]
	v_mul_f64 v[74:75], v[242:243], v[178:179]
	v_fma_f64 v[242:243], v[240:241], v[62:63], -v[74:75]
	ds_read_b128 v[74:77], v1 offset:1456
	s_waitcnt vmcnt(34) lgkmcnt(1)
	v_mul_f64 v[78:79], v[66:67], v[180:181]
	s_waitcnt vmcnt(32)
	v_fmac_f64_e32 v[78:79], v[68:69], v[188:189]
	v_add_f64 v[2:3], v[2:3], v[78:79]
	ds_read_b128 v[78:81], v1 offset:1472
	s_waitcnt vmcnt(29)
	v_mul_f64 v[62:63], v[70:71], v[192:193]
	s_waitcnt vmcnt(27)
	v_fmac_f64_e32 v[62:63], v[72:73], v[64:65]
	v_add_f64 v[2:3], v[2:3], v[62:63]
	s_waitcnt vmcnt(25) lgkmcnt(1)
	v_mul_f64 v[62:63], v[74:75], v[182:183]
	s_waitcnt vmcnt(24)
	v_fmac_f64_e32 v[62:63], v[76:77], v[190:191]
	v_add_f64 v[2:3], v[2:3], v[62:63]
	v_mul_f64 v[62:63], v[246:247], v[108:109]
	v_fma_f64 v[4:5], v[244:245], v[110:111], -v[62:63]
	s_waitcnt vmcnt(22) lgkmcnt(0)
	v_mul_f64 v[62:63], v[78:79], v[196:197]
	s_waitcnt vmcnt(20)
	v_fmac_f64_e32 v[62:63], v[80:81], v[198:199]
	v_add_f64 v[2:3], v[2:3], v[62:63]
	v_mul_f64 v[62:63], v[250:251], v[194:195]
	v_fma_f64 v[248:249], v[248:249], v[88:89], -v[62:63]
	ds_read_b128 v[86:89], v1 offset:1504
	s_waitcnt vmcnt(17)
	v_mul_f64 v[62:63], v[82:83], v[200:201]
	s_waitcnt vmcnt(16)
	v_fmac_f64_e32 v[62:63], v[84:85], v[202:203]
	v_add_f64 v[2:3], v[2:3], v[62:63]
	v_mul_f64 v[62:63], v[254:255], v[100:101]
	v_fma_f64 v[250:251], v[252:253], v[102:103], -v[62:63]
	s_waitcnt vmcnt(14) lgkmcnt(0)
	v_mul_f64 v[62:63], v[86:87], v[222:223]
	s_waitcnt vmcnt(12)
	v_fmac_f64_e32 v[62:63], v[88:89], v[226:227]
	ds_read_b128 v[98:101], v1 offset:1552
	v_add_f64 v[2:3], v[2:3], v[62:63]
	s_waitcnt vmcnt(10)
	v_mul_f64 v[62:63], v[90:91], v[224:225]
	s_waitcnt vmcnt(8)
	v_fmac_f64_e32 v[62:63], v[92:93], v[228:229]
	v_add_f64 v[2:3], v[2:3], v[62:63]
	s_waitcnt vmcnt(5)
	v_mul_f64 v[62:63], v[94:95], v[232:233]
	s_waitcnt vmcnt(3)
	v_fmac_f64_e32 v[62:63], v[96:97], v[234:235]
	v_add_f64 v[2:3], v[2:3], v[62:63]
	s_waitcnt vmcnt(1) lgkmcnt(0)
	v_mul_f64 v[62:63], v[98:99], v[220:221]
	s_waitcnt vmcnt(0)
	v_fmac_f64_e32 v[62:63], v[100:101], v[230:231]
	v_add_f64 v[62:63], v[2:3], v[62:63]
	buffer_load_dword v3, off, s[0:3], 0 offset:780
	buffer_load_dword v2, off, s[0:3], 0 offset:776
	;; [unrolled: 1-line block ×4, first 2 shown]
	ds_read_b128 v[102:105], v1 offset:1568
	v_add_f64 v[6:7], v[6:7], v[50:51]
	v_add_f64 v[6:7], v[6:7], v[236:237]
	;; [unrolled: 1-line block ×6, first 2 shown]
	v_accvgpr_read_b32 v6, a170
	v_accvgpr_read_b32 v7, a171
	v_add_f64 v[6:7], v[210:211], v[6:7]
	v_add_f64 v[6:7], v[6:7], v[8:9]
	v_mul_f64 v[8:9], v[126:127], v[140:141]
	v_fma_f64 v[8:9], v[124:125], v[144:145], -v[8:9]
	v_add_f64 v[6:7], v[6:7], v[8:9]
	v_accvgpr_read_b32 v8, a158
	v_accvgpr_read_b32 v9, a159
	v_mul_f64 v[8:9], v[130:131], v[8:9]
	v_fma_f64 v[8:9], v[128:129], v[10:11], -v[8:9]
	v_add_f64 v[6:7], v[6:7], v[8:9]
	v_mul_f64 v[8:9], v[134:135], v[148:149]
	v_fma_f64 v[8:9], v[132:133], v[152:153], -v[8:9]
	v_add_f64 v[6:7], v[6:7], v[8:9]
	v_accvgpr_read_b32 v8, a162
	v_accvgpr_read_b32 v9, a163
	;; [unrolled: 1-line block ×3, first 2 shown]
	v_mul_f64 v[8:9], v[20:21], v[8:9]
	v_accvgpr_read_b32 v11, a165
	v_fma_f64 v[8:9], v[18:19], v[10:11], -v[8:9]
	v_add_f64 v[6:7], v[6:7], v[8:9]
	v_mul_f64 v[8:9], v[24:25], v[156:157]
	v_fma_f64 v[8:9], v[22:23], v[158:159], -v[8:9]
	v_add_f64 v[6:7], v[6:7], v[8:9]
	v_accvgpr_read_b32 v8, a166
	v_accvgpr_read_b32 v9, a167
	;; [unrolled: 1-line block ×3, first 2 shown]
	v_mul_f64 v[8:9], v[28:29], v[8:9]
	v_accvgpr_read_b32 v11, a169
	v_fma_f64 v[8:9], v[26:27], v[10:11], -v[8:9]
	v_add_f64 v[6:7], v[6:7], v[8:9]
	v_mul_f64 v[8:9], v[32:33], v[160:161]
	v_fma_f64 v[8:9], v[30:31], v[162:163], -v[8:9]
	v_add_f64 v[6:7], v[6:7], v[8:9]
	v_mul_f64 v[8:9], v[36:37], v[136:137]
	v_fma_f64 v[8:9], v[34:35], v[138:139], -v[8:9]
	v_add_f64 v[6:7], v[6:7], v[8:9]
	v_mul_f64 v[8:9], v[40:41], v[164:165]
	v_fma_f64 v[8:9], v[38:39], v[166:167], -v[8:9]
	v_add_f64 v[6:7], v[6:7], v[8:9]
	v_mul_f64 v[8:9], v[44:45], v[142:143]
	v_fma_f64 v[8:9], v[42:43], v[146:147], -v[8:9]
	v_add_f64 v[6:7], v[6:7], v[8:9]
	v_mul_f64 v[8:9], v[48:49], v[168:169]
	v_fma_f64 v[8:9], v[46:47], v[170:171], -v[8:9]
	v_add_f64 v[6:7], v[6:7], v[8:9]
	v_mul_f64 v[8:9], v[214:215], v[150:151]
	v_fma_f64 v[8:9], v[212:213], v[154:155], -v[8:9]
	v_add_f64 v[6:7], v[6:7], v[8:9]
	v_mul_f64 v[8:9], v[56:57], v[118:119]
	v_fma_f64 v[8:9], v[54:55], v[52:53], -v[8:9]
	v_add_f64 v[6:7], v[6:7], v[8:9]
	v_mul_f64 v[8:9], v[60:61], v[16:17]
	v_fma_f64 v[8:9], v[58:59], v[176:177], -v[8:9]
	v_add_f64 v[6:7], v[6:7], v[8:9]
	v_mul_f64 v[8:9], v[218:219], v[184:185]
	v_fma_f64 v[8:9], v[216:217], v[186:187], -v[8:9]
	v_add_f64 v[6:7], v[6:7], v[8:9]
	v_mul_f64 v[8:9], v[68:69], v[180:181]
	v_fma_f64 v[8:9], v[66:67], v[188:189], -v[8:9]
	v_add_f64 v[6:7], v[6:7], v[8:9]
	v_mul_f64 v[8:9], v[72:73], v[192:193]
	v_fma_f64 v[8:9], v[70:71], v[64:65], -v[8:9]
	v_add_f64 v[6:7], v[6:7], v[8:9]
	v_mul_f64 v[8:9], v[76:77], v[182:183]
	v_fma_f64 v[8:9], v[74:75], v[190:191], -v[8:9]
	v_add_f64 v[6:7], v[6:7], v[8:9]
	v_mul_f64 v[8:9], v[80:81], v[196:197]
	v_fma_f64 v[8:9], v[78:79], v[198:199], -v[8:9]
	s_waitcnt vmcnt(2) lgkmcnt(0)
	v_mul_f64 v[106:107], v[102:103], v[2:3]
	v_add_f64 v[6:7], v[6:7], v[8:9]
	s_waitcnt vmcnt(0)
	v_fmac_f64_e32 v[106:107], v[104:105], v[178:179]
	v_add_f64 v[110:111], v[62:63], v[106:107]
	buffer_load_dword v194, off, s[0:3], 0 offset:792
	buffer_load_dword v195, off, s[0:3], 0 offset:796
	;; [unrolled: 1-line block ×4, first 2 shown]
	ds_read_b128 v[106:109], v1 offset:1584
	buffer_load_dword v239, off, s[0:3], 0 offset:812
	buffer_load_dword v238, off, s[0:3], 0 offset:808
	;; [unrolled: 1-line block ×4, first 2 shown]
	v_mul_f64 v[8:9], v[84:85], v[200:201]
	v_fma_f64 v[8:9], v[82:83], v[202:203], -v[8:9]
	v_add_f64 v[6:7], v[6:7], v[8:9]
	v_mul_f64 v[8:9], v[88:89], v[222:223]
	v_fma_f64 v[8:9], v[86:87], v[226:227], -v[8:9]
	v_add_f64 v[6:7], v[6:7], v[8:9]
	;; [unrolled: 3-line block ×4, first 2 shown]
	v_mul_f64 v[8:9], v[100:101], v[220:221]
	v_fma_f64 v[8:9], v[98:99], v[230:231], -v[8:9]
	v_mul_f64 v[2:3], v[104:105], v[2:3]
	v_add_f64 v[6:7], v[6:7], v[8:9]
	v_fma_f64 v[2:3], v[102:103], v[178:179], -v[2:3]
	v_add_f64 v[2:3], v[6:7], v[2:3]
	s_waitcnt vmcnt(6) lgkmcnt(0)
	v_mul_f64 v[112:113], v[106:107], v[194:195]
	v_mul_f64 v[6:7], v[108:109], v[194:195]
	s_waitcnt vmcnt(4)
	v_fmac_f64_e32 v[112:113], v[108:109], v[62:63]
	v_add_f64 v[172:173], v[110:111], v[112:113]
	ds_read_b128 v[110:113], v1 offset:1600
	buffer_load_dword v244, off, s[0:3], 0 offset:824
	buffer_load_dword v245, off, s[0:3], 0 offset:828
	;; [unrolled: 1-line block ×4, first 2 shown]
	v_fma_f64 v[6:7], v[106:107], v[62:63], -v[6:7]
	v_add_f64 v[2:3], v[2:3], v[6:7]
	s_waitcnt vmcnt(6) lgkmcnt(0)
	v_mul_f64 v[174:175], v[110:111], v[238:239]
	s_waitcnt vmcnt(4)
	v_fmac_f64_e32 v[174:175], v[112:113], v[240:241]
	v_add_f64 v[254:255], v[172:173], v[174:175]
	ds_read_b128 v[172:175], v1 offset:1616
	buffer_load_dword v4, off, s[0:3], 0 offset:64
	buffer_load_dword v5, off, s[0:3], 0 offset:68
	;; [unrolled: 1-line block ×4, first 2 shown]
	v_mul_f64 v[6:7], v[112:113], v[238:239]
	v_fma_f64 v[6:7], v[110:111], v[240:241], -v[6:7]
	v_add_f64 v[2:3], v[2:3], v[6:7]
	s_waitcnt vmcnt(6) lgkmcnt(0)
	v_mul_f64 v[6:7], v[174:175], v[244:245]
	v_mul_f64 v[252:253], v[172:173], v[244:245]
	s_waitcnt vmcnt(4)
	v_fma_f64 v[6:7], v[172:173], v[246:247], -v[6:7]
	v_fmac_f64_e32 v[252:253], v[174:175], v[246:247]
	v_add_f64 v[2:3], v[2:3], v[6:7]
	v_add_f64 v[254:255], v[254:255], v[252:253]
	s_waitcnt vmcnt(2)
	v_add_f64 v[2:3], v[4:5], -v[2:3]
	s_waitcnt vmcnt(0)
	v_add_f64 v[4:5], v[248:249], -v[254:255]
	buffer_store_dword v3, off, s[0:3], 0 offset:68
	buffer_store_dword v2, off, s[0:3], 0 offset:64
	;; [unrolled: 1-line block ×4, first 2 shown]
	s_and_saveexec_b64 s[4:5], vcc
	s_cbranch_execz .LBB50_315
; %bb.314:
	v_accvgpr_read_b32 v0, a150
	buffer_load_dword v2, v0, s[0:3], 0 offen
	buffer_load_dword v3, v0, s[0:3], 0 offen offset:4
	buffer_load_dword v4, v0, s[0:3], 0 offen offset:8
	;; [unrolled: 1-line block ×3, first 2 shown]
	v_accvgpr_read_b32 v0, a153
	buffer_store_dword v1, off, s[0:3], 0 offset:48
	buffer_store_dword v1, off, s[0:3], 0 offset:52
	;; [unrolled: 1-line block ×4, first 2 shown]
	s_waitcnt vmcnt(4)
	ds_write_b128 v0, v[2:5]
.LBB50_315:
	s_or_b64 exec, exec, s[4:5]
	s_waitcnt lgkmcnt(0)
	; wave barrier
	s_waitcnt lgkmcnt(0)
	buffer_load_dword v42, off, s[0:3], 0 offset:64
	buffer_load_dword v43, off, s[0:3], 0 offset:68
	;; [unrolled: 1-line block ×42, first 2 shown]
	ds_read_b128 v[110:113], v1 offset:864
	ds_read_b128 v[114:117], v1 offset:880
	;; [unrolled: 1-line block ×10, first 2 shown]
	buffer_load_dword v221, off, s[0:3], 0 offset:212
	buffer_load_dword v220, off, s[0:3], 0 offset:208
	ds_read_b128 v[50:53], v1 offset:1024
	buffer_load_dword v89, off, s[0:3], 0 offset:268
	buffer_load_dword v88, off, s[0:3], 0 offset:264
	;; [unrolled: 1-line block ×8, first 2 shown]
	s_waitcnt vmcnt(48) lgkmcnt(10)
	v_mul_f64 v[2:3], v[110:111], v[48:49]
	v_fmac_f64_e32 v[2:3], v[112:113], v[42:43]
	v_add_f64 v[2:3], v[2:3], 0
	s_waitcnt vmcnt(44) lgkmcnt(9)
	v_mul_f64 v[4:5], v[114:115], v[170:171]
	v_fmac_f64_e32 v[4:5], v[116:117], v[44:45]
	v_add_f64 v[2:3], v[2:3], v[4:5]
	buffer_load_dword v107, off, s[0:3], 0 offset:300
	buffer_load_dword v106, off, s[0:3], 0 offset:296
	;; [unrolled: 1-line block ×26, first 2 shown]
	s_waitcnt vmcnt(62) lgkmcnt(8)
	v_mul_f64 v[6:7], v[176:177], v[46:47]
	s_waitcnt lgkmcnt(6)
	v_mul_f64 v[10:11], v[188:189], v[58:59]
	v_fmac_f64_e32 v[10:11], v[190:191], v[222:223]
	v_mul_f64 v[46:47], v[178:179], v[46:47]
	v_mul_f64 v[8:9], v[180:181], v[60:61]
	s_waitcnt vmcnt(60) lgkmcnt(4)
	v_mul_f64 v[14:15], v[196:197], v[224:225]
	s_waitcnt vmcnt(58)
	v_fmac_f64_e32 v[14:15], v[198:199], v[64:65]
	s_waitcnt vmcnt(56)
	v_mul_f64 v[12:13], v[192:193], v[228:229]
	s_waitcnt vmcnt(54) lgkmcnt(2)
	v_mul_f64 v[18:19], v[204:205], v[68:69]
	s_waitcnt vmcnt(51)
	v_mul_f64 v[16:17], v[200:201], v[74:75]
	s_waitcnt vmcnt(49) lgkmcnt(1)
	v_mul_f64 v[20:21], v[208:209], v[72:73]
	s_waitcnt vmcnt(47)
	v_fmac_f64_e32 v[6:7], v[178:179], v[82:83]
	v_add_f64 v[2:3], v[2:3], v[6:7]
	s_waitcnt vmcnt(45)
	v_fmac_f64_e32 v[8:9], v[182:183], v[80:81]
	v_add_f64 v[2:3], v[2:3], v[8:9]
	;; [unrolled: 3-line block ×3, first 2 shown]
	v_add_f64 v[2:3], v[2:3], v[12:13]
	s_waitcnt vmcnt(41)
	v_fmac_f64_e32 v[16:17], v[202:203], v[76:77]
	v_add_f64 v[2:3], v[2:3], v[14:15]
	s_waitcnt vmcnt(40)
	v_fmac_f64_e32 v[18:19], v[206:207], v[70:71]
	v_add_f64 v[2:3], v[2:3], v[16:17]
	v_add_f64 v[2:3], v[2:3], v[18:19]
	s_waitcnt vmcnt(34)
	v_fmac_f64_e32 v[20:21], v[210:211], v[220:221]
	v_add_f64 v[2:3], v[2:3], v[20:21]
	s_waitcnt vmcnt(0)
	v_pk_mov_b32 v[18:19], v[4:5], v[4:5] op_sel:[0,1]
	buffer_load_dword v5, off, s[0:3], 0 offset:388
	buffer_load_dword v7, off, s[0:3], 0 offset:380
	;; [unrolled: 1-line block ×3, first 2 shown]
	v_accvgpr_write_b32 a159, v19
	v_accvgpr_write_b32 a158, v18
	s_waitcnt vmcnt(0)
	v_pk_mov_b32 v[14:15], v[6:7], v[6:7] op_sel:[0,1]
	buffer_load_dword v7, off, s[0:3], 0 offset:372
	buffer_load_dword v6, off, s[0:3], 0 offset:368
	;; [unrolled: 1-line block ×3, first 2 shown]
	v_accvgpr_write_b32 a155, v15
	v_accvgpr_write_b32 a154, v14
	s_waitcnt vmcnt(1)
	v_pk_mov_b32 v[16:17], v[6:7], v[6:7] op_sel:[0,1]
	s_waitcnt vmcnt(0)
	v_pk_mov_b32 v[22:23], v[4:5], v[4:5] op_sel:[0,1]
	buffer_load_dword v5, off, s[0:3], 0 offset:428
	buffer_load_dword v4, off, s[0:3], 0 offset:424
	v_accvgpr_write_b32 a157, v17
	v_accvgpr_write_b32 a156, v16
	;; [unrolled: 1-line block ×4, first 2 shown]
	s_waitcnt vmcnt(0)
	v_pk_mov_b32 v[26:27], v[4:5], v[4:5] op_sel:[0,1]
	buffer_load_dword v5, off, s[0:3], 0 offset:420
	buffer_load_dword v143, off, s[0:3], 0 offset:412
	;; [unrolled: 1-line block ×6, first 2 shown]
	v_accvgpr_write_b32 a163, v27
	v_accvgpr_write_b32 a162, v26
	s_waitcnt vmcnt(0)
	v_pk_mov_b32 v[28:29], v[4:5], v[4:5] op_sel:[0,1]
	buffer_load_dword v5, off, s[0:3], 0 offset:460
	buffer_load_dword v4, off, s[0:3], 0 offset:456
	v_accvgpr_write_b32 a165, v29
	v_accvgpr_write_b32 a164, v28
	s_waitcnt vmcnt(0)
	v_pk_mov_b32 v[34:35], v[4:5], v[4:5] op_sel:[0,1]
	buffer_load_dword v5, off, s[0:3], 0 offset:452
	buffer_load_dword v151, off, s[0:3], 0 offset:444
	;; [unrolled: 1-line block ×6, first 2 shown]
	v_accvgpr_write_b32 a167, v35
	v_accvgpr_write_b32 a166, v34
	s_waitcnt vmcnt(0)
	v_pk_mov_b32 v[36:37], v[4:5], v[4:5] op_sel:[0,1]
	buffer_load_dword v5, off, s[0:3], 0 offset:492
	buffer_load_dword v4, off, s[0:3], 0 offset:488
	v_accvgpr_write_b32 a169, v37
	v_accvgpr_write_b32 a168, v36
	s_waitcnt vmcnt(0)
	v_pk_mov_b32 v[38:39], v[4:5], v[4:5] op_sel:[0,1]
	buffer_load_dword v5, off, s[0:3], 0 offset:484
	buffer_load_dword v155, off, s[0:3], 0 offset:476
	;; [unrolled: 1-line block ×6, first 2 shown]
	v_accvgpr_write_b32 a171, v39
	v_accvgpr_write_b32 a170, v38
	s_waitcnt vmcnt(0)
	v_pk_mov_b32 v[40:41], v[4:5], v[4:5] op_sel:[0,1]
	buffer_load_dword v5, off, s[0:3], 0 offset:524
	buffer_load_dword v4, off, s[0:3], 0 offset:520
	;; [unrolled: 1-line block ×14, first 2 shown]
	ds_read_b128 v[212:215], v1 offset:1040
	ds_read_b128 v[216:219], v1 offset:1056
	;; [unrolled: 1-line block ×12, first 2 shown]
	s_waitcnt lgkmcnt(4)
	v_mul_f64 v[8:9], v[118:119], v[98:99]
	v_fmac_f64_e32 v[8:9], v[120:121], v[100:101]
	s_waitcnt lgkmcnt(3)
	v_mul_f64 v[12:13], v[138:139], v[14:15]
	v_fmac_f64_e32 v[12:13], v[140:141], v[16:17]
	;; [unrolled: 3-line block ×3, first 2 shown]
	s_waitcnt lgkmcnt(1)
	v_mul_f64 v[20:21], v[130:131], v[142:143]
	ds_read_b128 v[122:125], v1 offset:1232
	v_fmac_f64_e32 v[20:21], v[132:133], v[146:147]
	s_waitcnt lgkmcnt(1)
	v_mul_f64 v[24:25], v[126:127], v[26:27]
	v_fmac_f64_e32 v[24:25], v[128:129], v[28:29]
	v_accvgpr_write_b32 a173, v41
	v_accvgpr_write_b32 a172, v40
	s_waitcnt vmcnt(12)
	v_pk_mov_b32 v[172:173], v[4:5], v[4:5] op_sel:[0,1]
	v_mul_f64 v[4:5], v[50:51], v[84:85]
	v_fmac_f64_e32 v[4:5], v[52:53], v[86:87]
	v_add_f64 v[2:3], v[2:3], v[4:5]
	v_mul_f64 v[4:5], v[212:213], v[96:97]
	v_fmac_f64_e32 v[4:5], v[214:215], v[54:55]
	v_add_f64 v[2:3], v[2:3], v[4:5]
	;; [unrolled: 3-line block ×8, first 2 shown]
	v_add_f64 v[10:11], v[6:7], v[8:9]
	v_add_f64 v[14:15], v[10:11], v[12:13]
	;; [unrolled: 1-line block ×5, first 2 shown]
	ds_read_b128 v[22:25], v1 offset:1248
	s_waitcnt lgkmcnt(1)
	v_mul_f64 v[28:29], v[122:123], v[150:151]
	v_fmac_f64_e32 v[28:29], v[124:125], v[152:153]
	v_add_f64 v[30:31], v[26:27], v[28:29]
	ds_read_b128 v[26:29], v1 offset:1264
	s_waitcnt lgkmcnt(1)
	v_mul_f64 v[32:33], v[22:23], v[34:35]
	v_fmac_f64_e32 v[32:33], v[24:25], v[36:37]
	v_add_f64 v[34:35], v[30:31], v[32:33]
	;; [unrolled: 5-line block ×3, first 2 shown]
	ds_read_b128 v[34:37], v1 offset:1296
	s_waitcnt lgkmcnt(1)
	v_mul_f64 v[168:169], v[30:31], v[38:39]
	v_fmac_f64_e32 v[168:169], v[32:33], v[40:41]
	ds_read_b128 v[38:41], v1 offset:1312
	v_add_f64 v[166:167], v[166:167], v[168:169]
	s_waitcnt vmcnt(9) lgkmcnt(1)
	v_mul_f64 v[168:169], v[34:35], v[158:159]
	s_waitcnt vmcnt(7)
	v_fmac_f64_e32 v[168:169], v[36:37], v[162:163]
	v_add_f64 v[166:167], v[166:167], v[168:169]
	s_waitcnt lgkmcnt(0)
	v_mul_f64 v[168:169], v[38:39], v[172:173]
	s_waitcnt vmcnt(6)
	v_fmac_f64_e32 v[168:169], v[40:41], v[144:145]
	v_add_f64 v[2:3], v[166:167], v[168:169]
	buffer_load_dword v169, off, s[0:3], 0 offset:548
	buffer_load_dword v168, off, s[0:3], 0 offset:544
	v_accvgpr_write_b32 a175, v173
	v_mul_f64 v[4:5], v[112:113], v[48:49]
	buffer_load_dword v166, off, s[0:3], 0 offset:584
	v_accvgpr_write_b32 a174, v172
	v_fma_f64 v[18:19], v[110:111], v[42:43], -v[4:5]
	v_mul_f64 v[42:43], v[116:117], v[170:171]
	buffer_load_dword v173, off, s[0:3], 0 offset:572
	buffer_load_dword v172, off, s[0:3], 0 offset:568
	buffer_load_dword v175, off, s[0:3], 0 offset:564
	buffer_load_dword v174, off, s[0:3], 0 offset:560
	buffer_load_dword v170, off, s[0:3], 0 offset:576
	buffer_load_dword v167, off, s[0:3], 0 offset:588
	buffer_load_dword v171, off, s[0:3], 0 offset:580
	v_fma_f64 v[230:231], v[114:115], v[44:45], -v[42:43]
	ds_read_b128 v[42:45], v1 offset:1328
	v_fma_f64 v[110:111], v[176:177], v[82:83], -v[46:47]
	v_mul_f64 v[46:47], v[182:183], v[60:61]
	buffer_load_dword v177, off, s[0:3], 0 offset:604
	buffer_load_dword v176, off, s[0:3], 0 offset:600
	;; [unrolled: 1-line block ×4, first 2 shown]
	v_fma_f64 v[112:113], v[180:181], v[80:81], -v[46:47]
	buffer_load_dword v181, off, s[0:3], 0 offset:620
	buffer_load_dword v180, off, s[0:3], 0 offset:616
	;; [unrolled: 1-line block ×8, first 2 shown]
	v_mul_f64 v[46:47], v[190:191], v[58:59]
	v_fma_f64 v[14:15], v[188:189], v[222:223], -v[46:47]
	buffer_load_dword v188, off, s[0:3], 0 offset:648
	v_mul_f64 v[8:9], v[194:195], v[228:229]
	v_fma_f64 v[10:11], v[192:193], v[78:79], -v[8:9]
	buffer_load_dword v192, off, s[0:3], 0 offset:640
	buffer_load_dword v189, off, s[0:3], 0 offset:652
	;; [unrolled: 1-line block ×3, first 2 shown]
	v_mul_f64 v[46:47], v[198:199], v[224:225]
	v_fma_f64 v[8:9], v[196:197], v[64:65], -v[46:47]
	buffer_load_dword v190, off, s[0:3], 0 offset:680
	buffer_load_dword v197, off, s[0:3], 0 offset:668
	;; [unrolled: 1-line block ×8, first 2 shown]
	v_mul_f64 v[46:47], v[202:203], v[74:75]
	v_fma_f64 v[6:7], v[200:201], v[76:77], -v[46:47]
	buffer_load_dword v201, off, s[0:3], 0 offset:700
	buffer_load_dword v200, off, s[0:3], 0 offset:696
	;; [unrolled: 1-line block ×8, first 2 shown]
	v_mul_f64 v[46:47], v[210:211], v[72:73]
	v_mul_f64 v[16:17], v[206:207], v[68:69]
	v_fma_f64 v[210:211], v[208:209], v[220:221], -v[46:47]
	buffer_load_dword v220, off, s[0:3], 0 offset:744
	buffer_load_dword v229, off, s[0:3], 0 offset:732
	;; [unrolled: 1-line block ×12, first 2 shown]
	s_waitcnt vmcnt(56) lgkmcnt(0)
	v_mul_f64 v[12:13], v[42:43], v[160:161]
	s_waitcnt vmcnt(54)
	v_fmac_f64_e32 v[12:13], v[44:45], v[164:165]
	v_add_f64 v[2:3], v[2:3], v[12:13]
	ds_read_b128 v[46:49], v1 offset:1344
	v_mul_f64 v[12:13], v[52:53], v[84:85]
	v_fma_f64 v[12:13], v[50:51], v[86:87], -v[12:13]
	ds_read_b128 v[50:53], v1 offset:1360
	v_mul_f64 v[60:61], v[214:215], v[96:97]
	v_fma_f64 v[16:17], v[204:205], v[70:71], -v[16:17]
	v_fma_f64 v[204:205], v[212:213], v[54:55], -v[60:61]
	ds_read_b128 v[212:215], v1 offset:1376
	s_waitcnt lgkmcnt(2)
	v_mul_f64 v[58:59], v[46:47], v[148:149]
	v_mul_f64 v[74:75], v[242:243], v[106:107]
	v_fma_f64 v[242:243], v[240:241], v[108:109], -v[74:75]
	v_mul_f64 v[78:79], v[246:247], v[226:227]
	v_fma_f64 v[4:5], v[244:245], v[66:67], -v[78:79]
	ds_read_b128 v[78:81], v1 offset:1472
	v_add_f64 v[18:19], v[18:19], 0
	v_add_f64 v[18:19], v[18:19], v[230:231]
	;; [unrolled: 1-line block ×12, first 2 shown]
	ds_read_b128 v[74:77], v1 offset:1456
	s_waitcnt vmcnt(52)
	v_fmac_f64_e32 v[58:59], v[48:49], v[168:169]
	v_add_f64 v[2:3], v[2:3], v[58:59]
	s_waitcnt vmcnt(49) lgkmcnt(3)
	v_mul_f64 v[54:55], v[50:51], v[172:173]
	ds_read_b128 v[58:61], v1 offset:1392
	s_waitcnt vmcnt(47)
	v_fmac_f64_e32 v[54:55], v[52:53], v[174:175]
	v_add_f64 v[2:3], v[2:3], v[54:55]
	s_waitcnt vmcnt(45) lgkmcnt(3)
	v_mul_f64 v[54:55], v[212:213], v[166:167]
	s_waitcnt vmcnt(44)
	v_fmac_f64_e32 v[54:55], v[214:215], v[170:171]
	v_add_f64 v[2:3], v[2:3], v[54:55]
	v_mul_f64 v[54:55], v[218:219], v[88:89]
	v_fma_f64 v[206:207], v[216:217], v[90:91], -v[54:55]
	ds_read_b128 v[216:219], v1 offset:1408
	v_mul_f64 v[54:55], v[238:239], v[56:57]
	v_fma_f64 v[62:63], v[236:237], v[62:63], -v[54:55]
	ds_read_b128 v[54:57], v1 offset:1424
	s_waitcnt vmcnt(42) lgkmcnt(2)
	v_mul_f64 v[70:71], v[58:59], v[176:177]
	s_waitcnt vmcnt(40)
	v_fmac_f64_e32 v[70:71], v[60:61], v[178:179]
	v_add_f64 v[2:3], v[2:3], v[70:71]
	s_waitcnt vmcnt(38) lgkmcnt(1)
	v_mul_f64 v[70:71], v[216:217], v[180:181]
	s_waitcnt vmcnt(36)
	v_fmac_f64_e32 v[70:71], v[218:219], v[184:185]
	v_add_f64 v[2:3], v[2:3], v[70:71]
	;; [unrolled: 5-line block ×3, first 2 shown]
	ds_read_b128 v[70:73], v1 offset:1440
	s_waitcnt vmcnt(25)
	v_mul_f64 v[20:21], v[74:75], v[196:197]
	ds_read_b128 v[86:89], v1 offset:1504
	s_waitcnt vmcnt(23)
	v_fmac_f64_e32 v[20:21], v[76:77], v[198:199]
	v_mul_f64 v[90:91], v[254:255], v[102:103]
	s_waitcnt lgkmcnt(1)
	v_mul_f64 v[82:83], v[70:71], v[188:189]
	v_fmac_f64_e32 v[82:83], v[72:73], v[192:193]
	v_add_f64 v[2:3], v[2:3], v[82:83]
	ds_read_b128 v[82:85], v1 offset:1488
	v_add_f64 v[2:3], v[2:3], v[20:21]
	s_waitcnt vmcnt(21)
	v_mul_f64 v[20:21], v[78:79], v[190:191]
	s_waitcnt vmcnt(20)
	v_fmac_f64_e32 v[20:21], v[80:81], v[194:195]
	v_add_f64 v[2:3], v[2:3], v[20:21]
	s_waitcnt vmcnt(18) lgkmcnt(0)
	v_mul_f64 v[66:67], v[82:83], v[200:201]
	v_mul_f64 v[20:21], v[250:251], v[92:93]
	s_waitcnt vmcnt(16)
	v_fmac_f64_e32 v[66:67], v[84:85], v[202:203]
	v_fma_f64 v[252:253], v[252:253], v[104:105], -v[90:91]
	ds_read_b128 v[90:93], v1 offset:1520
	v_add_f64 v[2:3], v[2:3], v[66:67]
	s_waitcnt vmcnt(14)
	v_mul_f64 v[66:67], v[86:87], v[222:223]
	v_fma_f64 v[20:21], v[248:249], v[94:95], -v[20:21]
	s_waitcnt vmcnt(12)
	v_fmac_f64_e32 v[66:67], v[88:89], v[224:225]
	ds_read_b128 v[94:97], v1 offset:1536
	v_add_f64 v[2:3], v[2:3], v[66:67]
	v_mul_f64 v[66:67], v[120:121], v[98:99]
	v_fma_f64 v[254:255], v[118:119], v[100:101], -v[66:67]
	ds_read_b128 v[98:101], v1 offset:1552
	s_waitcnt vmcnt(9) lgkmcnt(2)
	v_mul_f64 v[66:67], v[90:91], v[228:229]
	s_waitcnt vmcnt(7)
	v_fmac_f64_e32 v[66:67], v[92:93], v[232:233]
	v_add_f64 v[2:3], v[2:3], v[66:67]
	s_waitcnt vmcnt(5) lgkmcnt(1)
	v_mul_f64 v[66:67], v[94:95], v[220:221]
	s_waitcnt vmcnt(4)
	v_fmac_f64_e32 v[66:67], v[96:97], v[64:65]
	v_add_f64 v[2:3], v[2:3], v[66:67]
	;; [unrolled: 5-line block ×3, first 2 shown]
	buffer_load_dword v2, off, s[0:3], 0 offset:776
	buffer_load_dword v3, off, s[0:3], 0 offset:780
	;; [unrolled: 1-line block ×4, first 2 shown]
	ds_read_b128 v[102:105], v1 offset:1568
	buffer_load_dword v237, off, s[0:3], 0 offset:796
	buffer_load_dword v236, off, s[0:3], 0 offset:792
	;; [unrolled: 1-line block ×4, first 2 shown]
	v_add_f64 v[6:7], v[6:7], v[206:207]
	v_add_f64 v[6:7], v[6:7], v[62:63]
	;; [unrolled: 1-line block ×7, first 2 shown]
	s_waitcnt vmcnt(6) lgkmcnt(0)
	v_mul_f64 v[108:109], v[102:103], v[2:3]
	v_mul_f64 v[2:3], v[104:105], v[2:3]
	s_waitcnt vmcnt(4)
	v_fmac_f64_e32 v[108:109], v[104:105], v[66:67]
	v_add_f64 v[114:115], v[106:107], v[108:109]
	ds_read_b128 v[106:109], v1 offset:1584
	buffer_load_dword v238, off, s[0:3], 0 offset:808
	buffer_load_dword v239, off, s[0:3], 0 offset:812
	;; [unrolled: 1-line block ×4, first 2 shown]
	ds_read_b128 v[118:121], v1 offset:1600
	buffer_load_dword v245, off, s[0:3], 0 offset:828
	buffer_load_dword v244, off, s[0:3], 0 offset:824
	;; [unrolled: 1-line block ×4, first 2 shown]
	v_fma_f64 v[2:3], v[102:103], v[66:67], -v[2:3]
	s_waitcnt vmcnt(10) lgkmcnt(1)
	v_mul_f64 v[116:117], v[106:107], v[236:237]
	s_waitcnt vmcnt(8)
	v_fmac_f64_e32 v[116:117], v[108:109], v[208:209]
	v_add_f64 v[114:115], v[114:115], v[116:117]
	s_waitcnt vmcnt(6) lgkmcnt(0)
	v_mul_f64 v[116:117], v[118:119], v[238:239]
	s_waitcnt vmcnt(4)
	v_fmac_f64_e32 v[116:117], v[120:121], v[240:241]
	v_add_f64 v[226:227], v[114:115], v[116:117]
	ds_read_b128 v[114:117], v1 offset:1616
	v_accvgpr_read_b32 v0, a154
	v_accvgpr_read_b32 v1, a155
	v_mul_f64 v[6:7], v[140:141], v[0:1]
	v_accvgpr_read_b32 v0, a156
	s_waitcnt vmcnt(2) lgkmcnt(0)
	v_mul_f64 v[248:249], v[114:115], v[244:245]
	s_waitcnt vmcnt(0)
	v_fmac_f64_e32 v[248:249], v[116:117], v[246:247]
	v_add_f64 v[226:227], v[226:227], v[248:249]
	buffer_load_dword v250, off, s[0:3], 0 offset:48
	buffer_load_dword v251, off, s[0:3], 0 offset:52
	;; [unrolled: 1-line block ×4, first 2 shown]
	v_accvgpr_read_b32 v1, a157
	v_fma_f64 v[6:7], v[138:139], v[0:1], -v[6:7]
	v_accvgpr_read_b32 v0, a158
	v_accvgpr_read_b32 v1, a159
	v_add_f64 v[4:5], v[4:5], v[6:7]
	v_mul_f64 v[6:7], v[136:137], v[0:1]
	v_accvgpr_read_b32 v0, a160
	v_accvgpr_read_b32 v1, a161
	v_fma_f64 v[6:7], v[134:135], v[0:1], -v[6:7]
	v_add_f64 v[4:5], v[4:5], v[6:7]
	v_mul_f64 v[6:7], v[132:133], v[142:143]
	v_accvgpr_read_b32 v0, a162
	v_fma_f64 v[6:7], v[130:131], v[146:147], -v[6:7]
	v_accvgpr_read_b32 v1, a163
	v_add_f64 v[4:5], v[4:5], v[6:7]
	v_mul_f64 v[6:7], v[128:129], v[0:1]
	v_accvgpr_read_b32 v0, a164
	v_accvgpr_read_b32 v1, a165
	v_fma_f64 v[6:7], v[126:127], v[0:1], -v[6:7]
	v_add_f64 v[4:5], v[4:5], v[6:7]
	v_mul_f64 v[6:7], v[124:125], v[150:151]
	v_accvgpr_read_b32 v0, a166
	v_fma_f64 v[6:7], v[122:123], v[152:153], -v[6:7]
	;; [unrolled: 10-line block ×4, first 2 shown]
	v_accvgpr_read_b32 v1, a175
	v_add_f64 v[4:5], v[4:5], v[6:7]
	v_mul_f64 v[6:7], v[40:41], v[0:1]
	v_fma_f64 v[6:7], v[38:39], v[144:145], -v[6:7]
	v_add_f64 v[4:5], v[4:5], v[6:7]
	v_mul_f64 v[6:7], v[44:45], v[160:161]
	v_fma_f64 v[6:7], v[42:43], v[164:165], -v[6:7]
	;; [unrolled: 3-line block ×16, first 2 shown]
	v_add_f64 v[4:5], v[4:5], v[6:7]
	v_add_f64 v[2:3], v[4:5], v[2:3]
	v_mul_f64 v[4:5], v[108:109], v[236:237]
	v_fma_f64 v[4:5], v[106:107], v[208:209], -v[4:5]
	v_add_f64 v[2:3], v[2:3], v[4:5]
	v_mul_f64 v[4:5], v[120:121], v[238:239]
	v_fma_f64 v[4:5], v[118:119], v[240:241], -v[4:5]
	;; [unrolled: 3-line block ×3, first 2 shown]
	v_add_f64 v[2:3], v[2:3], v[4:5]
	v_accvgpr_read_b32 v0, a152
	s_waitcnt vmcnt(2)
	v_add_f64 v[2:3], v[250:251], -v[2:3]
	v_cmp_lt_u32_e32 vcc, 1, v0
	s_waitcnt vmcnt(0)
	v_add_f64 v[4:5], v[248:249], -v[226:227]
	buffer_store_dword v3, off, s[0:3], 0 offset:52
	buffer_store_dword v2, off, s[0:3], 0 offset:48
	;; [unrolled: 1-line block ×4, first 2 shown]
	s_and_saveexec_b64 s[4:5], vcc
	s_cbranch_execz .LBB50_317
; %bb.316:
	v_accvgpr_read_b32 v0, a151
	buffer_load_dword v2, v0, s[0:3], 0 offen
	buffer_load_dword v3, v0, s[0:3], 0 offen offset:4
	buffer_load_dword v4, v0, s[0:3], 0 offen offset:8
	buffer_load_dword v5, v0, s[0:3], 0 offen offset:12
	v_mov_b32_e32 v0, 0
	v_accvgpr_read_b32 v1, a153
	buffer_store_dword v0, off, s[0:3], 0 offset:32
	buffer_store_dword v0, off, s[0:3], 0 offset:36
	;; [unrolled: 1-line block ×4, first 2 shown]
	s_waitcnt vmcnt(4)
	ds_write_b128 v1, v[2:5]
.LBB50_317:
	s_or_b64 exec, exec, s[4:5]
	v_mov_b32_e32 v210, 0
	s_waitcnt lgkmcnt(0)
	; wave barrier
	s_waitcnt lgkmcnt(0)
	buffer_load_dword v38, off, s[0:3], 0 offset:48
	buffer_load_dword v39, off, s[0:3], 0 offset:52
	;; [unrolled: 1-line block ×49, first 2 shown]
	ds_read_b128 v[108:111], v210 offset:848
	ds_read_b128 v[112:115], v210 offset:864
	ds_read_b128 v[116:119], v210 offset:880
	ds_read_b128 v[136:139], v210 offset:896
	ds_read_b128 v[146:149], v210 offset:912
	ds_read_b128 v[150:153], v210 offset:928
	ds_read_b128 v[156:159], v210 offset:944
	ds_read_b128 v[160:163], v210 offset:960
	ds_read_b128 v[164:167], v210 offset:976
	ds_read_b128 v[168:171], v210 offset:992
	ds_read_b128 v[172:175], v210 offset:1008
	buffer_load_dword v84, off, s[0:3], 0 offset:232
	buffer_load_dword v209, off, s[0:3], 0 offset:228
	;; [unrolled: 1-line block ×29, first 2 shown]
	s_waitcnt vmcnt(62) lgkmcnt(10)
	v_mul_f64 v[2:3], v[108:109], v[40:41]
	v_fmac_f64_e32 v[2:3], v[110:111], v[38:39]
	v_add_f64 v[2:3], v[2:3], 0
	v_mul_f64 v[40:41], v[110:111], v[40:41]
	s_waitcnt lgkmcnt(9)
	v_mul_f64 v[4:5], v[112:113], v[46:47]
	v_fmac_f64_e32 v[4:5], v[114:115], v[44:45]
	s_waitcnt lgkmcnt(8)
	v_mul_f64 v[6:7], v[116:117], v[42:43]
	v_add_f64 v[2:3], v[2:3], v[4:5]
	s_waitcnt lgkmcnt(6)
	v_mul_f64 v[10:11], v[146:147], v[48:49]
	v_fma_f64 v[108:109], v[108:109], v[38:39], -v[40:41]
	v_fmac_f64_e32 v[10:11], v[148:149], v[50:51]
	v_mul_f64 v[42:43], v[118:119], v[42:43]
	v_mul_f64 v[8:9], v[136:137], v[52:53]
	;; [unrolled: 1-line block ×3, first 2 shown]
	s_waitcnt vmcnt(60) lgkmcnt(4)
	v_mul_f64 v[14:15], v[156:157], v[56:57]
	v_fma_f64 v[112:113], v[112:113], v[44:45], -v[46:47]
	s_waitcnt vmcnt(58)
	v_fmac_f64_e32 v[14:15], v[158:159], v[54:55]
	v_add_f64 v[108:109], v[108:109], 0
	s_waitcnt vmcnt(56)
	v_mul_f64 v[12:13], v[150:151], v[154:155]
	v_mul_f64 v[46:47], v[152:153], v[154:155]
	s_waitcnt vmcnt(54) lgkmcnt(2)
	v_mul_f64 v[18:19], v[164:165], v[64:65]
	v_add_f64 v[108:109], v[108:109], v[112:113]
	s_waitcnt vmcnt(51)
	v_mul_f64 v[16:17], v[160:161], v[66:67]
	s_waitcnt vmcnt(49) lgkmcnt(1)
	v_mul_f64 v[20:21], v[168:169], v[60:61]
	s_waitcnt vmcnt(47)
	v_fmac_f64_e32 v[6:7], v[118:119], v[74:75]
	v_add_f64 v[2:3], v[2:3], v[6:7]
	s_waitcnt vmcnt(45)
	v_fmac_f64_e32 v[8:9], v[138:139], v[142:143]
	v_add_f64 v[2:3], v[2:3], v[8:9]
	;; [unrolled: 3-line block ×3, first 2 shown]
	v_add_f64 v[2:3], v[2:3], v[12:13]
	v_add_f64 v[2:3], v[2:3], v[14:15]
	s_waitcnt vmcnt(41)
	v_fmac_f64_e32 v[16:17], v[162:163], v[68:69]
	v_add_f64 v[2:3], v[2:3], v[16:17]
	s_waitcnt vmcnt(40)
	v_fmac_f64_e32 v[18:19], v[166:167], v[62:63]
	;; [unrolled: 3-line block ×3, first 2 shown]
	s_waitcnt lgkmcnt(0)
	v_mul_f64 v[4:5], v[172:173], v[76:77]
	s_waitcnt vmcnt(0)
	v_pk_mov_b32 v[14:15], v[0:1], v[0:1] op_sel:[0,1]
	buffer_load_dword v1, off, s[0:3], 0 offset:372
	buffer_load_dword v0, off, s[0:3], 0 offset:368
	v_add_f64 v[2:3], v[2:3], v[20:21]
	v_fmac_f64_e32 v[4:5], v[174:175], v[82:83]
	v_add_f64 v[2:3], v[2:3], v[4:5]
	v_accvgpr_write_b32 a155, v15
	v_accvgpr_write_b32 a154, v14
	s_waitcnt vmcnt(0)
	v_pk_mov_b32 v[16:17], v[0:1], v[0:1] op_sel:[0,1]
	buffer_load_dword v95, off, s[0:3], 0 offset:364
	buffer_load_dword v94, off, s[0:3], 0 offset:360
	buffer_load_dword v97, off, s[0:3], 0 offset:356
	buffer_load_dword v96, off, s[0:3], 0 offset:352
	buffer_load_dword v1, off, s[0:3], 0 offset:412
	buffer_load_dword v0, off, s[0:3], 0 offset:408
	v_accvgpr_write_b32 a157, v17
	v_accvgpr_write_b32 a156, v16
	s_waitcnt vmcnt(0)
	v_pk_mov_b32 v[22:23], v[0:1], v[0:1] op_sel:[0,1]
	buffer_load_dword v1, off, s[0:3], 0 offset:404
	buffer_load_dword v0, off, s[0:3], 0 offset:400
	v_accvgpr_write_b32 a159, v23
	v_accvgpr_write_b32 a158, v22
	s_waitcnt vmcnt(0)
	v_pk_mov_b32 v[24:25], v[0:1], v[0:1] op_sel:[0,1]
	buffer_load_dword v239, off, s[0:3], 0 offset:396
	buffer_load_dword v238, off, s[0:3], 0 offset:392
	buffer_load_dword v243, off, s[0:3], 0 offset:388
	buffer_load_dword v242, off, s[0:3], 0 offset:384
	buffer_load_dword v1, off, s[0:3], 0 offset:444
	buffer_load_dword v0, off, s[0:3], 0 offset:440
	v_accvgpr_write_b32 a161, v25
	v_accvgpr_write_b32 a160, v24
	s_waitcnt vmcnt(0)
	v_pk_mov_b32 v[30:31], v[0:1], v[0:1] op_sel:[0,1]
	buffer_load_dword v1, off, s[0:3], 0 offset:436
	buffer_load_dword v0, off, s[0:3], 0 offset:432
	;; [unrolled: 16-line block ×4, first 2 shown]
	buffer_load_dword v255, off, s[0:3], 0 offset:492
	buffer_load_dword v254, off, s[0:3], 0 offset:488
	;; [unrolled: 1-line block ×12, first 2 shown]
	ds_read_b128 v[180:183], v210 offset:1024
	ds_read_b128 v[184:187], v210 offset:1040
	;; [unrolled: 1-line block ×6, first 2 shown]
	s_waitcnt lgkmcnt(5)
	v_mul_f64 v[4:5], v[180:181], v[84:85]
	v_fmac_f64_e32 v[4:5], v[182:183], v[208:209]
	v_add_f64 v[2:3], v[2:3], v[4:5]
	s_waitcnt lgkmcnt(4)
	v_mul_f64 v[4:5], v[184:185], v[78:79]
	v_fmac_f64_e32 v[4:5], v[186:187], v[80:81]
	v_add_f64 v[2:3], v[2:3], v[4:5]
	s_waitcnt lgkmcnt(3)
	v_mul_f64 v[4:5], v[188:189], v[140:141]
	v_fmac_f64_e32 v[4:5], v[190:191], v[58:59]
	v_add_f64 v[2:3], v[2:3], v[4:5]
	s_waitcnt lgkmcnt(2)
	v_mul_f64 v[4:5], v[192:193], v[104:105]
	v_fmac_f64_e32 v[4:5], v[194:195], v[106:107]
	ds_read_b128 v[204:207], v210 offset:1120
	ds_read_b128 v[212:215], v210 offset:1136
	v_add_f64 v[2:3], v[2:3], v[4:5]
	s_waitcnt lgkmcnt(3)
	v_mul_f64 v[4:5], v[196:197], v[70:71]
	v_fmac_f64_e32 v[4:5], v[198:199], v[72:73]
	v_add_f64 v[2:3], v[2:3], v[4:5]
	s_waitcnt lgkmcnt(2)
	v_mul_f64 v[4:5], v[200:201], v[86:87]
	ds_read_b128 v[216:219], v210 offset:1152
	ds_read_b128 v[228:231], v210 offset:1168
	v_fmac_f64_e32 v[4:5], v[202:203], v[88:89]
	v_add_f64 v[2:3], v[2:3], v[4:5]
	s_waitcnt lgkmcnt(3)
	v_mul_f64 v[4:5], v[204:205], v[100:101]
	ds_read_b128 v[224:227], v210 offset:1184
	ds_read_b128 v[220:223], v210 offset:1200
	;; [unrolled: 6-line block ×3, first 2 shown]
	v_fmac_f64_e32 v[4:5], v[214:215], v[92:93]
	s_waitcnt lgkmcnt(5)
	v_mul_f64 v[8:9], v[216:217], v[94:95]
	v_add_f64 v[6:7], v[2:3], v[4:5]
	v_fmac_f64_e32 v[8:9], v[218:219], v[96:97]
	s_waitcnt lgkmcnt(4)
	v_mul_f64 v[12:13], v[228:229], v[14:15]
	v_add_f64 v[10:11], v[6:7], v[8:9]
	v_fmac_f64_e32 v[12:13], v[230:231], v[16:17]
	s_waitcnt lgkmcnt(3)
	v_mul_f64 v[16:17], v[224:225], v[238:239]
	v_add_f64 v[14:15], v[10:11], v[12:13]
	v_fmac_f64_e32 v[16:17], v[226:227], v[242:243]
	s_waitcnt lgkmcnt(2)
	v_mul_f64 v[20:21], v[220:221], v[22:23]
	v_add_f64 v[18:19], v[14:15], v[16:17]
	v_fmac_f64_e32 v[20:21], v[222:223], v[24:25]
	s_waitcnt lgkmcnt(1)
	v_mul_f64 v[24:25], v[124:125], v[246:247]
	v_add_f64 v[22:23], v[18:19], v[20:21]
	v_fmac_f64_e32 v[24:25], v[126:127], v[248:249]
	v_add_f64 v[26:27], v[22:23], v[24:25]
	ds_read_b128 v[22:25], v210 offset:1248
	s_waitcnt lgkmcnt(1)
	v_mul_f64 v[28:29], v[120:121], v[30:31]
	v_fmac_f64_e32 v[28:29], v[122:123], v[32:33]
	v_add_f64 v[30:31], v[26:27], v[28:29]
	ds_read_b128 v[26:29], v210 offset:1264
	s_waitcnt lgkmcnt(1)
	v_mul_f64 v[32:33], v[22:23], v[250:251]
	;; [unrolled: 5-line block ×3, first 2 shown]
	v_fmac_f64_e32 v[36:37], v[28:29], v[130:131]
	v_add_f64 v[128:129], v[34:35], v[36:37]
	ds_read_b128 v[34:37], v210 offset:1296
	ds_read_b128 v[38:41], v210 offset:1312
	v_accvgpr_write_b32 a171, v133
	v_accvgpr_write_b32 a170, v132
	s_waitcnt vmcnt(10) lgkmcnt(2)
	v_mul_f64 v[110:111], v[30:31], v[254:255]
	v_fma_f64 v[18:19], v[116:117], v[74:75], -v[42:43]
	s_waitcnt vmcnt(8)
	v_fmac_f64_e32 v[110:111], v[32:33], v[234:235]
	v_add_f64 v[110:111], v[128:129], v[110:111]
	s_waitcnt lgkmcnt(1)
	v_mul_f64 v[128:129], v[34:35], v[132:133]
	v_fmac_f64_e32 v[128:129], v[36:37], v[0:1]
	v_add_f64 v[110:111], v[110:111], v[128:129]
	buffer_load_dword v129, off, s[0:3], 0 offset:556
	buffer_load_dword v128, off, s[0:3], 0 offset:552
	;; [unrolled: 1-line block ×4, first 2 shown]
	s_waitcnt vmcnt(6) lgkmcnt(0)
	v_mul_f64 v[132:133], v[38:39], v[236:237]
	v_mul_f64 v[42:43], v[138:139], v[52:53]
	s_waitcnt vmcnt(4)
	v_fmac_f64_e32 v[132:133], v[40:41], v[232:233]
	v_add_f64 v[110:111], v[110:111], v[132:133]
	buffer_load_dword v132, off, s[0:3], 0 offset:568
	buffer_load_dword v134, off, s[0:3], 0 offset:560
	;; [unrolled: 1-line block ×4, first 2 shown]
	v_fma_f64 v[14:15], v[136:137], v[142:143], -v[42:43]
	buffer_load_dword v137, off, s[0:3], 0 offset:604
	buffer_load_dword v139, off, s[0:3], 0 offset:588
	;; [unrolled: 1-line block ×8, first 2 shown]
	v_mul_f64 v[4:5], v[148:149], v[48:49]
	ds_read_b128 v[42:45], v210 offset:1328
	v_fma_f64 v[10:11], v[146:147], v[50:51], -v[4:5]
	buffer_load_dword v118, off, s[0:3], 0 offset:632
	buffer_load_dword v147, off, s[0:3], 0 offset:620
	;; [unrolled: 1-line block ×5, first 2 shown]
	v_fma_f64 v[6:7], v[150:151], v[176:177], -v[46:47]
	buffer_load_dword v150, off, s[0:3], 0 offset:624
	buffer_load_dword v119, off, s[0:3], 0 offset:636
	;; [unrolled: 1-line block ×7, first 2 shown]
	v_mul_f64 v[46:47], v[162:163], v[66:67]
	v_mul_f64 v[8:9], v[158:159], v[56:57]
	v_fma_f64 v[4:5], v[160:161], v[68:69], -v[46:47]
	buffer_load_dword v158, off, s[0:3], 0 offset:664
	buffer_load_dword v160, off, s[0:3], 0 offset:656
	;; [unrolled: 1-line block ×4, first 2 shown]
	v_mul_f64 v[12:13], v[166:167], v[64:65]
	v_fma_f64 v[8:9], v[156:157], v[54:55], -v[8:9]
	v_fma_f64 v[12:13], v[164:165], v[62:63], -v[12:13]
	buffer_load_dword v157, off, s[0:3], 0 offset:700
	buffer_load_dword v163, off, s[0:3], 0 offset:684
	;; [unrolled: 1-line block ×8, first 2 shown]
	v_mul_f64 v[52:53], v[170:171], v[60:61]
	ds_read_b128 v[46:49], v210 offset:1344
	v_fma_f64 v[2:3], v[168:169], v[98:99], -v[52:53]
	buffer_load_dword v169, off, s[0:3], 0 offset:716
	buffer_load_dword v168, off, s[0:3], 0 offset:712
	;; [unrolled: 1-line block ×4, first 2 shown]
	v_mul_f64 v[16:17], v[174:175], v[76:77]
	v_fma_f64 v[16:17], v[172:173], v[82:83], -v[16:17]
	buffer_load_dword v172, off, s[0:3], 0 offset:728
	buffer_load_dword v174, off, s[0:3], 0 offset:720
	;; [unrolled: 1-line block ×8, first 2 shown]
	s_waitcnt lgkmcnt(1)
	v_mul_f64 v[50:51], v[42:43], v[240:241]
	v_fmac_f64_e32 v[50:51], v[44:45], v[244:245]
	v_mul_f64 v[52:53], v[182:183], v[84:85]
	v_add_f64 v[50:51], v[110:111], v[50:51]
	v_fma_f64 v[110:111], v[180:181], v[208:209], -v[52:53]
	buffer_load_dword v180, off, s[0:3], 0 offset:760
	buffer_load_dword v182, off, s[0:3], 0 offset:752
	;; [unrolled: 1-line block ×4, first 2 shown]
	v_mul_f64 v[54:55], v[186:187], v[78:79]
	v_fma_f64 v[208:209], v[184:185], v[80:81], -v[54:55]
	v_mul_f64 v[60:61], v[190:191], v[140:141]
	v_fma_f64 v[140:141], v[188:189], v[58:59], -v[60:61]
	ds_read_b128 v[58:61], v210 offset:1392
	v_mul_f64 v[66:67], v[194:195], v[104:105]
	v_fma_f64 v[106:107], v[192:193], v[106:107], -v[66:67]
	ds_read_b128 v[66:69], v210 offset:1424
	v_accvgpr_write_b32 a173, v1
	v_mul_f64 v[70:71], v[198:199], v[70:71]
	v_accvgpr_write_b32 a172, v0
	v_fma_f64 v[0:1], v[196:197], v[72:73], -v[70:71]
	v_mul_f64 v[78:79], v[202:203], v[86:87]
	v_fma_f64 v[202:203], v[200:201], v[88:89], -v[78:79]
	v_mul_f64 v[82:83], v[206:207], v[100:101]
	v_fma_f64 v[204:205], v[204:205], v[102:103], -v[82:83]
	ds_read_b128 v[82:85], v210 offset:1488
	v_mul_f64 v[90:91], v[214:215], v[90:91]
	v_fma_f64 v[196:197], v[212:213], v[92:93], -v[90:91]
	ds_read_b128 v[90:93], v210 offset:1520
	v_mul_f64 v[94:95], v[218:219], v[94:95]
	v_fma_f64 v[94:95], v[216:217], v[96:97], -v[94:95]
	v_accvgpr_write_b32 a175, v95
	v_accvgpr_write_b32 a174, v94
	v_add_f64 v[18:19], v[108:109], v[18:19]
	v_add_f64 v[14:15], v[18:19], v[14:15]
	;; [unrolled: 1-line block ×5, first 2 shown]
	ds_read_b128 v[54:57], v210 offset:1376
	v_add_f64 v[4:5], v[6:7], v[4:5]
	v_add_f64 v[4:5], v[4:5], v[12:13]
	;; [unrolled: 1-line block ×10, first 2 shown]
	ds_read_b128 v[70:73], v210 offset:1440
	v_add_f64 v[0:1], v[0:1], v[204:205]
	s_waitcnt vmcnt(54) lgkmcnt(6)
	v_mul_f64 v[52:53], v[46:47], v[128:129]
	v_accvgpr_read_b32 v2, a154
	s_waitcnt vmcnt(52)
	v_fmac_f64_e32 v[52:53], v[48:49], v[130:131]
	v_add_f64 v[62:63], v[50:51], v[52:53]
	ds_read_b128 v[50:53], v210 offset:1360
	v_add_f64 v[208:209], v[0:1], v[196:197]
	v_accvgpr_read_b32 v0, a174
	v_accvgpr_read_b32 v3, a155
	;; [unrolled: 1-line block ×3, first 2 shown]
	s_waitcnt vmcnt(49) lgkmcnt(0)
	v_mul_f64 v[64:65], v[50:51], v[132:133]
	s_waitcnt vmcnt(48)
	v_fmac_f64_e32 v[64:65], v[52:53], v[134:135]
	v_add_f64 v[62:63], v[62:63], v[64:65]
	s_waitcnt vmcnt(45)
	v_mul_f64 v[64:65], v[54:55], v[138:139]
	s_waitcnt vmcnt(43)
	v_fmac_f64_e32 v[64:65], v[56:57], v[144:145]
	v_add_f64 v[62:63], v[62:63], v[64:65]
	s_waitcnt vmcnt(42)
	v_mul_f64 v[64:65], v[58:59], v[136:137]
	s_waitcnt vmcnt(40)
	v_fmac_f64_e32 v[64:65], v[60:61], v[142:143]
	v_add_f64 v[74:75], v[62:63], v[64:65]
	ds_read_b128 v[62:65], v210 offset:1408
	ds_read_b128 v[78:81], v210 offset:1472
	;; [unrolled: 1-line block ×3, first 2 shown]
	v_accvgpr_read_b32 v1, a175
	v_mul_f64 v[2:3], v[230:231], v[2:3]
	s_waitcnt vmcnt(37) lgkmcnt(2)
	v_mul_f64 v[76:77], v[62:63], v[146:147]
	s_waitcnt vmcnt(35)
	v_fmac_f64_e32 v[76:77], v[64:65], v[148:149]
	v_add_f64 v[20:21], v[74:75], v[76:77]
	s_waitcnt vmcnt(33)
	v_mul_f64 v[74:75], v[66:67], v[118:119]
	s_waitcnt vmcnt(32)
	v_fmac_f64_e32 v[74:75], v[68:69], v[150:151]
	v_add_f64 v[20:21], v[20:21], v[74:75]
	s_waitcnt vmcnt(30)
	v_mul_f64 v[74:75], v[70:71], v[152:153]
	s_waitcnt vmcnt(28)
	v_fmac_f64_e32 v[74:75], v[72:73], v[154:155]
	v_add_f64 v[20:21], v[20:21], v[74:75]
	ds_read_b128 v[74:77], v210 offset:1456
	v_accvgpr_read_b32 v5, a157
	v_add_f64 v[0:1], v[208:209], v[0:1]
	v_fma_f64 v[2:3], v[228:229], v[4:5], -v[2:3]
	v_add_f64 v[0:1], v[0:1], v[2:3]
	s_waitcnt vmcnt(25) lgkmcnt(0)
	v_mul_f64 v[86:87], v[74:75], v[158:159]
	s_waitcnt vmcnt(24)
	v_fmac_f64_e32 v[86:87], v[76:77], v[160:161]
	v_add_f64 v[20:21], v[20:21], v[86:87]
	s_waitcnt vmcnt(21)
	v_mul_f64 v[86:87], v[78:79], v[162:163]
	s_waitcnt vmcnt(19)
	v_fmac_f64_e32 v[86:87], v[80:81], v[166:167]
	v_add_f64 v[20:21], v[20:21], v[86:87]
	s_waitcnt vmcnt(18)
	v_mul_f64 v[86:87], v[82:83], v[156:157]
	s_waitcnt vmcnt(16)
	v_fmac_f64_e32 v[86:87], v[84:85], v[164:165]
	v_add_f64 v[20:21], v[20:21], v[86:87]
	ds_read_b128 v[86:89], v210 offset:1504
	v_mul_f64 v[2:3], v[226:227], v[238:239]
	v_fma_f64 v[2:3], v[224:225], v[242:243], -v[2:3]
	v_add_f64 v[0:1], v[0:1], v[2:3]
	v_accvgpr_read_b32 v2, a158
	s_waitcnt vmcnt(14) lgkmcnt(0)
	v_mul_f64 v[98:99], v[86:87], v[168:169]
	s_waitcnt vmcnt(12)
	v_fmac_f64_e32 v[98:99], v[88:89], v[170:171]
	v_add_f64 v[20:21], v[20:21], v[98:99]
	s_waitcnt vmcnt(9)
	v_mul_f64 v[98:99], v[90:91], v[172:173]
	s_waitcnt vmcnt(8)
	v_fmac_f64_e32 v[98:99], v[92:93], v[174:175]
	v_add_f64 v[20:21], v[20:21], v[98:99]
	s_waitcnt vmcnt(6)
	v_mul_f64 v[98:99], v[94:95], v[176:177]
	s_waitcnt vmcnt(4)
	v_fmac_f64_e32 v[98:99], v[96:97], v[178:179]
	v_add_f64 v[20:21], v[20:21], v[98:99]
	ds_read_b128 v[98:101], v210 offset:1552
	buffer_load_dword v185, off, s[0:3], 0 offset:780
	buffer_load_dword v184, off, s[0:3], 0 offset:776
	buffer_load_dword v187, off, s[0:3], 0 offset:772
	buffer_load_dword v186, off, s[0:3], 0 offset:768
	v_accvgpr_read_b32 v3, a159
	v_accvgpr_read_b32 v4, a160
	v_mul_f64 v[2:3], v[222:223], v[2:3]
	s_waitcnt vmcnt(5) lgkmcnt(0)
	v_mul_f64 v[102:103], v[98:99], v[180:181]
	s_waitcnt vmcnt(4)
	v_fmac_f64_e32 v[102:103], v[100:101], v[182:183]
	v_add_f64 v[20:21], v[20:21], v[102:103]
	ds_read_b128 v[102:105], v210 offset:1568
	buffer_load_dword v188, off, s[0:3], 0 offset:792
	buffer_load_dword v189, off, s[0:3], 0 offset:796
	buffer_load_dword v190, off, s[0:3], 0 offset:784
	buffer_load_dword v191, off, s[0:3], 0 offset:788
	ds_read_b128 v[212:215], v210 offset:1584
	buffer_load_dword v193, off, s[0:3], 0 offset:812
	buffer_load_dword v192, off, s[0:3], 0 offset:808
	buffer_load_dword v195, off, s[0:3], 0 offset:804
	buffer_load_dword v194, off, s[0:3], 0 offset:800
	;; [unrolled: 5-line block ×3, first 2 shown]
	v_accvgpr_read_b32 v5, a161
	v_fma_f64 v[2:3], v[220:221], v[4:5], -v[2:3]
	v_add_f64 v[0:1], v[0:1], v[2:3]
	v_mul_f64 v[2:3], v[126:127], v[246:247]
	v_fma_f64 v[2:3], v[124:125], v[248:249], -v[2:3]
	v_add_f64 v[0:1], v[0:1], v[2:3]
	v_accvgpr_read_b32 v2, a162
	v_accvgpr_read_b32 v3, a163
	v_accvgpr_read_b32 v4, a164
	v_mul_f64 v[2:3], v[122:123], v[2:3]
	v_accvgpr_read_b32 v5, a165
	v_fma_f64 v[2:3], v[120:121], v[4:5], -v[2:3]
	v_add_f64 v[0:1], v[0:1], v[2:3]
	v_mul_f64 v[2:3], v[24:25], v[250:251]
	v_fma_f64 v[2:3], v[22:23], v[252:253], -v[2:3]
	v_add_f64 v[0:1], v[0:1], v[2:3]
	v_accvgpr_read_b32 v2, a166
	v_accvgpr_read_b32 v3, a167
	v_accvgpr_read_b32 v4, a168
	v_mul_f64 v[2:3], v[28:29], v[2:3]
	;; [unrolled: 10-line block ×3, first 2 shown]
	v_accvgpr_read_b32 v5, a173
	v_fma_f64 v[2:3], v[34:35], v[4:5], -v[2:3]
	v_add_f64 v[0:1], v[0:1], v[2:3]
	v_mul_f64 v[2:3], v[40:41], v[236:237]
	v_fma_f64 v[2:3], v[38:39], v[232:233], -v[2:3]
	v_add_f64 v[0:1], v[0:1], v[2:3]
	v_mul_f64 v[2:3], v[44:45], v[240:241]
	;; [unrolled: 3-line block ×11, first 2 shown]
	v_fma_f64 v[2:3], v[78:79], v[166:167], -v[2:3]
	s_waitcnt vmcnt(14) lgkmcnt(2)
	v_mul_f64 v[114:115], v[102:103], v[184:185]
	v_add_f64 v[0:1], v[0:1], v[2:3]
	s_waitcnt vmcnt(12)
	v_fmac_f64_e32 v[114:115], v[104:105], v[186:187]
	v_add_f64 v[20:21], v[20:21], v[114:115]
	v_mul_f64 v[2:3], v[84:85], v[156:157]
	v_fma_f64 v[2:3], v[82:83], v[164:165], -v[2:3]
	v_add_f64 v[0:1], v[0:1], v[2:3]
	v_mul_f64 v[2:3], v[88:89], v[168:169]
	s_waitcnt vmcnt(10) lgkmcnt(1)
	v_mul_f64 v[114:115], v[212:213], v[188:189]
	v_fma_f64 v[2:3], v[86:87], v[170:171], -v[2:3]
	s_waitcnt vmcnt(8)
	v_fmac_f64_e32 v[114:115], v[214:215], v[190:191]
	v_add_f64 v[20:21], v[20:21], v[114:115]
	s_waitcnt vmcnt(6) lgkmcnt(0)
	v_mul_f64 v[114:115], v[216:217], v[192:193]
	s_waitcnt vmcnt(4)
	v_fmac_f64_e32 v[114:115], v[218:219], v[194:195]
	v_add_f64 v[20:21], v[20:21], v[114:115]
	ds_read_b128 v[114:117], v210 offset:1616
	buffer_load_dword v204, off, s[0:3], 0 offset:32
	buffer_load_dword v205, off, s[0:3], 0 offset:36
	;; [unrolled: 1-line block ×4, first 2 shown]
	v_add_f64 v[0:1], v[0:1], v[2:3]
	v_mul_f64 v[2:3], v[92:93], v[172:173]
	v_fma_f64 v[2:3], v[90:91], v[174:175], -v[2:3]
	v_add_f64 v[0:1], v[0:1], v[2:3]
	v_mul_f64 v[2:3], v[96:97], v[176:177]
	v_fma_f64 v[2:3], v[94:95], v[178:179], -v[2:3]
	;; [unrolled: 3-line block ×6, first 2 shown]
	v_add_f64 v[0:1], v[0:1], v[2:3]
	s_waitcnt vmcnt(6) lgkmcnt(0)
	v_mul_f64 v[2:3], v[116:117], v[198:199]
	v_mul_f64 v[206:207], v[114:115], v[198:199]
	s_waitcnt vmcnt(4)
	v_fma_f64 v[2:3], v[114:115], v[200:201], -v[2:3]
	v_fmac_f64_e32 v[206:207], v[116:117], v[200:201]
	v_add_f64 v[0:1], v[0:1], v[2:3]
	v_add_f64 v[20:21], v[20:21], v[206:207]
	s_waitcnt vmcnt(2)
	v_add_f64 v[0:1], v[204:205], -v[0:1]
	s_waitcnt vmcnt(0)
	v_add_f64 v[2:3], v[202:203], -v[20:21]
	buffer_store_dword v1, off, s[0:3], 0 offset:36
	buffer_store_dword v0, off, s[0:3], 0 offset:32
	;; [unrolled: 1-line block ×4, first 2 shown]
	v_accvgpr_read_b32 v0, a152
	v_cmp_ne_u32_e32 vcc, 0, v0
	s_and_saveexec_b64 s[4:5], vcc
	s_cbranch_execz .LBB50_319
; %bb.318:
	buffer_load_dword v0, off, s[0:3], 0 offset:16
	buffer_load_dword v1, off, s[0:3], 0 offset:20
	;; [unrolled: 1-line block ×4, first 2 shown]
	v_accvgpr_read_b32 v4, a153
	buffer_store_dword v210, off, s[0:3], 0 offset:16
	buffer_store_dword v210, off, s[0:3], 0 offset:20
	buffer_store_dword v210, off, s[0:3], 0 offset:24
	buffer_store_dword v210, off, s[0:3], 0 offset:28
	s_waitcnt vmcnt(4)
	ds_write_b128 v4, v[0:3]
.LBB50_319:
	s_or_b64 exec, exec, s[4:5]
	s_waitcnt lgkmcnt(0)
	; wave barrier
	s_waitcnt lgkmcnt(0)
	buffer_load_dword v28, off, s[0:3], 0 offset:32
	buffer_load_dword v29, off, s[0:3], 0 offset:36
	;; [unrolled: 1-line block ×42, first 2 shown]
	ds_read_b128 v[32:35], v210 offset:832
	ds_read_b128 v[106:109], v210 offset:848
	;; [unrolled: 1-line block ×10, first 2 shown]
	buffer_load_dword v115, off, s[0:3], 0 offset:180
	buffer_load_dword v114, off, s[0:3], 0 offset:176
	ds_read_b128 v[44:47], v210 offset:992
	buffer_load_dword v79, off, s[0:3], 0 offset:236
	buffer_load_dword v78, off, s[0:3], 0 offset:232
	;; [unrolled: 1-line block ×6, first 2 shown]
	s_and_b64 vcc, exec, s[20:21]
	s_waitcnt vmcnt(46) lgkmcnt(10)
	v_mul_f64 v[0:1], v[32:33], v[30:31]
	v_fmac_f64_e32 v[0:1], v[34:35], v[28:29]
	v_add_f64 v[0:1], v[0:1], 0
	v_mul_f64 v[30:31], v[34:35], v[30:31]
	s_waitcnt vmcnt(42) lgkmcnt(9)
	v_mul_f64 v[2:3], v[106:107], v[38:39]
	v_fmac_f64_e32 v[2:3], v[108:109], v[36:37]
	s_waitcnt vmcnt(40) lgkmcnt(8)
	v_mul_f64 v[4:5], v[110:111], v[40:41]
	v_add_f64 v[0:1], v[0:1], v[2:3]
	s_waitcnt vmcnt(38) lgkmcnt(6)
	v_mul_f64 v[8:9], v[136:137], v[48:49]
	v_mul_f64 v[38:39], v[108:109], v[38:39]
	s_waitcnt vmcnt(36)
	v_fmac_f64_e32 v[8:9], v[138:139], v[50:51]
	v_fma_f64 v[152:153], v[106:107], v[36:37], -v[38:39]
	s_waitcnt vmcnt(34)
	v_mul_f64 v[6:7], v[130:131], v[52:53]
	v_mul_f64 v[40:41], v[112:113], v[40:41]
	s_waitcnt vmcnt(32) lgkmcnt(4)
	v_mul_f64 v[12:13], v[146:147], v[54:55]
	v_mul_f64 v[52:53], v[132:133], v[52:53]
	s_waitcnt vmcnt(30)
	v_fmac_f64_e32 v[12:13], v[148:149], v[150:151]
	v_mul_f64 v[48:49], v[138:139], v[48:49]
	s_waitcnt vmcnt(28)
	v_mul_f64 v[10:11], v[142:143], v[58:59]
	s_waitcnt vmcnt(26) lgkmcnt(2)
	v_mul_f64 v[16:17], v[158:159], v[62:63]
	s_waitcnt vmcnt(23)
	v_mul_f64 v[14:15], v[154:155], v[66:67]
	s_waitcnt vmcnt(21) lgkmcnt(1)
	v_mul_f64 v[18:19], v[162:163], v[60:61]
	s_waitcnt vmcnt(19)
	v_fmac_f64_e32 v[4:5], v[112:113], v[42:43]
	v_add_f64 v[0:1], v[0:1], v[4:5]
	s_waitcnt vmcnt(17)
	v_fmac_f64_e32 v[6:7], v[132:133], v[72:73]
	v_add_f64 v[0:1], v[0:1], v[6:7]
	;; [unrolled: 3-line block ×3, first 2 shown]
	v_add_f64 v[0:1], v[0:1], v[10:11]
	s_waitcnt vmcnt(13)
	v_fmac_f64_e32 v[14:15], v[156:157], v[68:69]
	v_add_f64 v[0:1], v[0:1], v[12:13]
	s_waitcnt vmcnt(12)
	v_fmac_f64_e32 v[16:17], v[160:161], v[64:65]
	v_add_f64 v[0:1], v[0:1], v[14:15]
	v_add_f64 v[4:5], v[0:1], v[16:17]
	buffer_load_dword v119, off, s[0:3], 0 offset:212
	buffer_load_dword v118, off, s[0:3], 0 offset:208
	;; [unrolled: 1-line block ×36, first 2 shown]
	s_waitcnt vmcnt(42)
	v_fmac_f64_e32 v[18:19], v[164:165], v[114:115]
	s_waitcnt lgkmcnt(0)
	v_mul_f64 v[6:7], v[44:45], v[74:75]
	v_add_f64 v[4:5], v[4:5], v[18:19]
	v_fmac_f64_e32 v[6:7], v[46:47], v[76:77]
	v_add_f64 v[4:5], v[4:5], v[6:7]
	v_fma_f64 v[110:111], v[110:111], v[42:43], -v[40:41]
	v_mul_f64 v[46:47], v[46:47], v[74:75]
	s_waitcnt vmcnt(0)
	v_pk_mov_b32 v[16:17], v[2:3], v[2:3] op_sel:[0,1]
	buffer_load_dword v3, off, s[0:3], 0 offset:388
	buffer_load_dword v2, off, s[0:3], 0 offset:384
	v_accvgpr_write_b32 a157, v17
	v_accvgpr_write_b32 a156, v16
	s_waitcnt vmcnt(0)
	v_pk_mov_b32 v[20:21], v[2:3], v[2:3] op_sel:[0,1]
	buffer_load_dword v3, off, s[0:3], 0 offset:380
	buffer_load_dword v2, off, s[0:3], 0 offset:376
	v_accvgpr_write_b32 a159, v21
	v_accvgpr_write_b32 a158, v20
	s_waitcnt vmcnt(0)
	v_pk_mov_b32 v[12:13], v[2:3], v[2:3] op_sel:[0,1]
	buffer_load_dword v3, off, s[0:3], 0 offset:372
	buffer_load_dword v2, off, s[0:3], 0 offset:368
	v_accvgpr_write_b32 a153, v13
	v_accvgpr_write_b32 a152, v12
	s_waitcnt vmcnt(0)
	v_pk_mov_b32 v[14:15], v[2:3], v[2:3] op_sel:[0,1]
	buffer_load_dword v3, off, s[0:3], 0 offset:428
	buffer_load_dword v2, off, s[0:3], 0 offset:424
	v_accvgpr_write_b32 a155, v15
	v_accvgpr_write_b32 a154, v14
	s_waitcnt vmcnt(0)
	v_pk_mov_b32 v[24:25], v[2:3], v[2:3] op_sel:[0,1]
	buffer_load_dword v3, off, s[0:3], 0 offset:420
	buffer_load_dword v2, off, s[0:3], 0 offset:416
	v_accvgpr_write_b32 a161, v25
	v_accvgpr_write_b32 a160, v24
	s_waitcnt vmcnt(0)
	v_pk_mov_b32 v[26:27], v[2:3], v[2:3] op_sel:[0,1]
	buffer_load_dword v243, off, s[0:3], 0 offset:412
	buffer_load_dword v242, off, s[0:3], 0 offset:408
	;; [unrolled: 1-line block ×6, first 2 shown]
	v_accvgpr_write_b32 a163, v27
	v_accvgpr_write_b32 a162, v26
	s_waitcnt vmcnt(0)
	v_pk_mov_b32 v[124:125], v[2:3], v[2:3] op_sel:[0,1]
	buffer_load_dword v3, off, s[0:3], 0 offset:452
	buffer_load_dword v2, off, s[0:3], 0 offset:448
	v_accvgpr_write_b32 a165, v125
	v_accvgpr_write_b32 a164, v124
	s_waitcnt vmcnt(0)
	v_pk_mov_b32 v[134:135], v[2:3], v[2:3] op_sel:[0,1]
	buffer_load_dword v247, off, s[0:3], 0 offset:444
	buffer_load_dword v246, off, s[0:3], 0 offset:440
	buffer_load_dword v249, off, s[0:3], 0 offset:436
	buffer_load_dword v248, off, s[0:3], 0 offset:432
	buffer_load_dword v3, off, s[0:3], 0 offset:492
	buffer_load_dword v2, off, s[0:3], 0 offset:488
	v_accvgpr_write_b32 a167, v135
	v_accvgpr_write_b32 a166, v134
	s_waitcnt vmcnt(0)
	v_pk_mov_b32 v[140:141], v[2:3], v[2:3] op_sel:[0,1]
	buffer_load_dword v3, off, s[0:3], 0 offset:484
	buffer_load_dword v2, off, s[0:3], 0 offset:480
	v_accvgpr_write_b32 a169, v141
	v_accvgpr_write_b32 a168, v140
	s_waitcnt vmcnt(0)
	v_pk_mov_b32 v[170:171], v[2:3], v[2:3] op_sel:[0,1]
	buffer_load_dword v251, off, s[0:3], 0 offset:476
	buffer_load_dword v250, off, s[0:3], 0 offset:472
	;; [unrolled: 1-line block ×6, first 2 shown]
	v_accvgpr_write_b32 a170, v170
	v_accvgpr_write_b32 a171, v171
	s_waitcnt vmcnt(0)
	v_pk_mov_b32 v[174:175], v[2:3], v[2:3] op_sel:[0,1]
	buffer_load_dword v3, off, s[0:3], 0 offset:516
	buffer_load_dword v2, off, s[0:3], 0 offset:512
	;; [unrolled: 1-line block ×6, first 2 shown]
	ds_read_b128 v[166:169], v210 offset:1008
	ds_read_b128 v[178:181], v210 offset:1024
	ds_read_b128 v[182:185], v210 offset:1040
	ds_read_b128 v[186:189], v210 offset:1056
	ds_read_b128 v[190:193], v210 offset:1072
	ds_read_b128 v[194:197], v210 offset:1088
	s_waitcnt lgkmcnt(5)
	v_mul_f64 v[6:7], v[166:167], v[102:103]
	v_fmac_f64_e32 v[6:7], v[168:169], v[118:119]
	v_add_f64 v[4:5], v[4:5], v[6:7]
	s_waitcnt lgkmcnt(4)
	v_mul_f64 v[6:7], v[178:179], v[78:79]
	v_fmac_f64_e32 v[6:7], v[180:181], v[80:81]
	v_add_f64 v[4:5], v[4:5], v[6:7]
	;; [unrolled: 4-line block ×3, first 2 shown]
	s_waitcnt lgkmcnt(2)
	v_mul_f64 v[6:7], v[186:187], v[104:105]
	v_fmac_f64_e32 v[6:7], v[188:189], v[216:217]
	ds_read_b128 v[198:201], v210 offset:1104
	ds_read_b128 v[202:205], v210 offset:1120
	v_add_f64 v[4:5], v[4:5], v[6:7]
	s_waitcnt lgkmcnt(3)
	v_mul_f64 v[6:7], v[190:191], v[0:1]
	v_fmac_f64_e32 v[6:7], v[192:193], v[56:57]
	v_add_f64 v[4:5], v[4:5], v[6:7]
	s_waitcnt lgkmcnt(2)
	v_mul_f64 v[6:7], v[194:195], v[86:87]
	v_fmac_f64_e32 v[6:7], v[196:197], v[98:99]
	ds_read_b128 v[206:209], v210 offset:1136
	ds_read_b128 v[212:215], v210 offset:1152
	v_add_f64 v[4:5], v[4:5], v[6:7]
	s_waitcnt lgkmcnt(3)
	v_mul_f64 v[6:7], v[198:199], v[96:97]
	v_fmac_f64_e32 v[6:7], v[200:201], v[100:101]
	v_add_f64 v[4:5], v[4:5], v[6:7]
	s_waitcnt lgkmcnt(2)
	v_mul_f64 v[6:7], v[202:203], v[82:83]
	ds_read_b128 v[236:239], v210 offset:1168
	ds_read_b128 v[232:235], v210 offset:1184
	v_fmac_f64_e32 v[6:7], v[204:205], v[84:85]
	v_add_f64 v[4:5], v[4:5], v[6:7]
	s_waitcnt lgkmcnt(3)
	v_mul_f64 v[6:7], v[206:207], v[88:89]
	ds_read_b128 v[228:231], v210 offset:1200
	v_fmac_f64_e32 v[6:7], v[208:209], v[90:91]
	buffer_load_dword v117, off, s[0:3], 0 offset:540
	buffer_load_dword v116, off, s[0:3], 0 offset:536
	ds_read_b128 v[224:227], v210 offset:1216
	ds_read_b128 v[220:223], v210 offset:1232
	v_add_f64 v[4:5], v[4:5], v[6:7]
	s_waitcnt lgkmcnt(5)
	v_mul_f64 v[6:7], v[212:213], v[92:93]
	v_fmac_f64_e32 v[6:7], v[214:215], v[94:95]
	s_waitcnt lgkmcnt(4)
	v_mul_f64 v[10:11], v[236:237], v[12:13]
	v_add_f64 v[8:9], v[4:5], v[6:7]
	v_fmac_f64_e32 v[10:11], v[238:239], v[14:15]
	s_waitcnt lgkmcnt(3)
	v_mul_f64 v[14:15], v[232:233], v[16:17]
	v_add_f64 v[12:13], v[8:9], v[10:11]
	;; [unrolled: 4-line block ×3, first 2 shown]
	v_fmac_f64_e32 v[18:19], v[230:231], v[244:245]
	s_waitcnt lgkmcnt(1)
	v_mul_f64 v[22:23], v[224:225], v[24:25]
	ds_read_b128 v[120:123], v210 offset:1248
	v_add_f64 v[20:21], v[16:17], v[18:19]
	v_fmac_f64_e32 v[22:23], v[226:227], v[26:27]
	s_waitcnt lgkmcnt(1)
	v_mul_f64 v[26:27], v[220:221], v[246:247]
	v_add_f64 v[24:25], v[20:21], v[22:23]
	v_fmac_f64_e32 v[26:27], v[222:223], v[248:249]
	v_add_f64 v[126:127], v[24:25], v[26:27]
	ds_read_b128 v[24:27], v210 offset:1264
	s_waitcnt lgkmcnt(1)
	v_mul_f64 v[128:129], v[120:121], v[124:125]
	buffer_load_dword v125, off, s[0:3], 0 offset:532
	buffer_load_dword v124, off, s[0:3], 0 offset:528
	v_fma_f64 v[20:21], v[32:33], v[28:29], -v[30:31]
	ds_read_b128 v[28:31], v210 offset:1280
	v_fmac_f64_e32 v[128:129], v[122:123], v[134:135]
	s_waitcnt lgkmcnt(1)
	v_mul_f64 v[32:33], v[24:25], v[250:251]
	v_add_f64 v[126:127], v[126:127], v[128:129]
	v_fmac_f64_e32 v[32:33], v[26:27], v[252:253]
	v_add_f64 v[126:127], v[126:127], v[32:33]
	ds_read_b128 v[32:35], v210 offset:1296
	s_waitcnt lgkmcnt(1)
	v_mul_f64 v[106:107], v[28:29], v[140:141]
	v_fmac_f64_e32 v[106:107], v[30:31], v[170:171]
	ds_read_b128 v[36:39], v210 offset:1312
	v_add_f64 v[106:107], v[126:127], v[106:107]
	buffer_load_dword v126, off, s[0:3], 0 offset:552
	buffer_load_dword v128, off, s[0:3], 0 offset:544
	;; [unrolled: 1-line block ×4, first 2 shown]
	s_waitcnt vmcnt(10) lgkmcnt(1)
	v_mul_f64 v[108:109], v[32:33], v[254:255]
	s_waitcnt vmcnt(8)
	v_fmac_f64_e32 v[108:109], v[34:35], v[240:241]
	v_add_f64 v[106:107], v[106:107], v[108:109]
	s_waitcnt lgkmcnt(0)
	v_mul_f64 v[108:109], v[36:37], v[174:175]
	v_fmac_f64_e32 v[108:109], v[38:39], v[2:3]
	v_add_f64 v[106:107], v[106:107], v[108:109]
	ds_read_b128 v[40:43], v210 offset:1328
	v_fma_f64 v[108:109], v[130:131], v[72:73], -v[52:53]
	buffer_load_dword v131, off, s[0:3], 0 offset:572
	buffer_load_dword v130, off, s[0:3], 0 offset:568
	;; [unrolled: 1-line block ×6, first 2 shown]
	v_fma_f64 v[16:17], v[136:137], v[50:51], -v[48:49]
	buffer_load_dword v139, off, s[0:3], 0 offset:580
	buffer_load_dword v138, off, s[0:3], 0 offset:576
	;; [unrolled: 1-line block ×6, first 2 shown]
	v_mul_f64 v[48:49], v[144:145], v[58:59]
	v_fma_f64 v[12:13], v[142:143], v[70:71], -v[48:49]
	buffer_load_dword v142, off, s[0:3], 0 offset:616
	buffer_load_dword v144, off, s[0:3], 0 offset:608
	;; [unrolled: 1-line block ×4, first 2 shown]
	v_mul_f64 v[48:49], v[148:149], v[54:55]
	v_fma_f64 v[8:9], v[146:147], v[150:151], -v[48:49]
	buffer_load_dword v146, off, s[0:3], 0 offset:648
	buffer_load_dword v151, off, s[0:3], 0 offset:636
	;; [unrolled: 1-line block ×8, first 2 shown]
	v_mul_f64 v[10:11], v[156:157], v[66:67]
	v_fma_f64 v[10:11], v[154:155], v[68:69], -v[10:11]
	buffer_load_dword v155, off, s[0:3], 0 offset:668
	buffer_load_dword v154, off, s[0:3], 0 offset:664
	;; [unrolled: 1-line block ×4, first 2 shown]
	v_mul_f64 v[50:51], v[160:161], v[62:63]
	v_mul_f64 v[14:15], v[164:165], v[60:61]
	v_fma_f64 v[6:7], v[158:159], v[64:65], -v[50:51]
	v_fma_f64 v[14:15], v[162:163], v[114:115], -v[14:15]
	buffer_load_dword v159, off, s[0:3], 0 offset:684
	buffer_load_dword v158, off, s[0:3], 0 offset:680
	;; [unrolled: 1-line block ×8, first 2 shown]
	v_mul_f64 v[18:19], v[168:169], v[102:103]
	buffer_load_dword v168, off, s[0:3], 0 offset:712
	buffer_load_dword v170, off, s[0:3], 0 offset:704
	;; [unrolled: 1-line block ×4, first 2 shown]
	v_accvgpr_write_b32 a172, v174
	v_accvgpr_write_b32 a173, v175
	v_fma_f64 v[18:19], v[166:167], v[118:119], -v[18:19]
	buffer_load_dword v166, off, s[0:3], 0 offset:744
	buffer_load_dword v175, off, s[0:3], 0 offset:732
	;; [unrolled: 1-line block ×8, first 2 shown]
	v_accvgpr_write_b32 a175, v3
	v_mul_f64 v[50:51], v[180:181], v[78:79]
	v_accvgpr_write_b32 a174, v2
	v_fma_f64 v[4:5], v[44:45], v[76:77], -v[46:47]
	ds_read_b128 v[44:47], v210 offset:1344
	v_fma_f64 v[2:3], v[178:179], v[80:81], -v[50:51]
	buffer_load_dword v179, off, s[0:3], 0 offset:764
	buffer_load_dword v178, off, s[0:3], 0 offset:760
	;; [unrolled: 1-line block ×4, first 2 shown]
	v_mul_f64 v[52:53], v[184:185], v[218:219]
	v_fma_f64 v[172:173], v[182:183], v[172:173], -v[52:53]
	ds_read_b128 v[52:55], v210 offset:1376
	s_waitcnt vmcnt(58) lgkmcnt(2)
	v_mul_f64 v[48:49], v[40:41], v[116:117]
	v_mul_f64 v[62:63], v[188:189], v[104:105]
	v_fma_f64 v[182:183], v[186:187], v[216:217], -v[62:63]
	ds_read_b128 v[216:219], v210 offset:1392
	ds_read_b128 v[64:67], v210 offset:1424
	v_mul_f64 v[68:69], v[196:197], v[86:87]
	v_mul_f64 v[0:1], v[192:193], v[0:1]
	v_fma_f64 v[194:195], v[194:195], v[98:99], -v[68:69]
	v_fma_f64 v[56:57], v[190:191], v[56:57], -v[0:1]
	ds_read_b128 v[72:75], v210 offset:1456
	ds_read_b128 v[76:79], v210 offset:1472
	v_mul_f64 v[80:81], v[204:205], v[82:83]
	v_fma_f64 v[202:203], v[202:203], v[84:85], -v[80:81]
	ds_read_b128 v[80:83], v210 offset:1488
	ds_read_b128 v[84:87], v210 offset:1504
	v_mul_f64 v[92:93], v[214:215], v[92:93]
	v_add_f64 v[20:21], v[20:21], 0
	v_add_f64 v[20:21], v[20:21], v[152:153]
	;; [unrolled: 1-line block ×9, first 2 shown]
	s_waitcnt vmcnt(56)
	v_fmac_f64_e32 v[48:49], v[42:43], v[124:125]
	v_add_f64 v[48:49], v[106:107], v[48:49]
	v_add_f64 v[6:7], v[6:7], v[14:15]
	;; [unrolled: 1-line block ×4, first 2 shown]
	ds_read_b128 v[68:71], v210 offset:1440
	v_add_f64 v[2:3], v[4:5], v[2:3]
	v_add_f64 v[2:3], v[2:3], v[172:173]
	;; [unrolled: 1-line block ×5, first 2 shown]
	v_accvgpr_read_b32 v6, a152
	s_waitcnt vmcnt(53) lgkmcnt(8)
	v_mul_f64 v[22:23], v[44:45], v[126:127]
	s_waitcnt vmcnt(52)
	v_fmac_f64_e32 v[22:23], v[46:47], v[128:129]
	v_add_f64 v[22:23], v[48:49], v[22:23]
	ds_read_b128 v[48:51], v210 offset:1360
	v_accvgpr_read_b32 v7, a153
	v_accvgpr_read_b32 v8, a154
	v_mul_f64 v[6:7], v[238:239], v[6:7]
	v_accvgpr_read_b32 v9, a155
	s_waitcnt vmcnt(50) lgkmcnt(0)
	v_mul_f64 v[60:61], v[48:49], v[130:131]
	s_waitcnt vmcnt(48)
	v_fmac_f64_e32 v[60:61], v[50:51], v[134:135]
	v_add_f64 v[22:23], v[22:23], v[60:61]
	s_waitcnt vmcnt(46)
	v_mul_f64 v[60:61], v[52:53], v[132:133]
	s_waitcnt vmcnt(44)
	v_fmac_f64_e32 v[60:61], v[54:55], v[138:139]
	v_add_f64 v[22:23], v[22:23], v[60:61]
	s_waitcnt vmcnt(42)
	v_mul_f64 v[60:61], v[216:217], v[136:137]
	s_waitcnt vmcnt(40)
	v_fmac_f64_e32 v[60:61], v[218:219], v[140:141]
	v_add_f64 v[22:23], v[22:23], v[60:61]
	ds_read_b128 v[60:63], v210 offset:1408
	v_fma_f64 v[6:7], v[236:237], v[8:9], -v[6:7]
	v_accvgpr_read_b32 v8, a158
	v_accvgpr_read_b32 v9, a159
	s_waitcnt vmcnt(37) lgkmcnt(0)
	v_mul_f64 v[0:1], v[60:61], v[142:143]
	s_waitcnt vmcnt(36)
	v_fmac_f64_e32 v[0:1], v[62:63], v[144:145]
	v_add_f64 v[0:1], v[22:23], v[0:1]
	s_waitcnt vmcnt(33)
	v_mul_f64 v[22:23], v[64:65], v[150:151]
	s_waitcnt vmcnt(31)
	v_fmac_f64_e32 v[22:23], v[66:67], v[58:59]
	v_add_f64 v[0:1], v[0:1], v[22:23]
	s_waitcnt vmcnt(29)
	v_mul_f64 v[22:23], v[68:69], v[146:147]
	s_waitcnt vmcnt(28)
	v_fmac_f64_e32 v[22:23], v[70:71], v[148:149]
	v_add_f64 v[0:1], v[0:1], v[22:23]
	v_mul_f64 v[22:23], v[200:201], v[96:97]
	v_fma_f64 v[200:201], v[198:199], v[100:101], -v[22:23]
	s_waitcnt vmcnt(26)
	v_mul_f64 v[22:23], v[72:73], v[154:155]
	s_waitcnt vmcnt(24)
	v_fmac_f64_e32 v[22:23], v[74:75], v[156:157]
	v_add_f64 v[0:1], v[0:1], v[22:23]
	s_waitcnt vmcnt(22)
	v_mul_f64 v[22:23], v[76:77], v[158:159]
	s_waitcnt vmcnt(20)
	v_fmac_f64_e32 v[22:23], v[78:79], v[162:163]
	v_add_f64 v[0:1], v[0:1], v[22:23]
	;; [unrolled: 5-line block ×3, first 2 shown]
	v_mul_f64 v[22:23], v[208:209], v[88:89]
	v_fma_f64 v[204:205], v[206:207], v[90:91], -v[22:23]
	ds_read_b128 v[88:91], v210 offset:1520
	v_fma_f64 v[206:207], v[212:213], v[94:95], -v[92:93]
	ds_read_b128 v[92:95], v210 offset:1536
	s_waitcnt vmcnt(13)
	v_mul_f64 v[22:23], v[84:85], v[168:169]
	s_waitcnt vmcnt(12)
	v_fmac_f64_e32 v[22:23], v[86:87], v[170:171]
	ds_read_b128 v[96:99], v210 offset:1552
	v_add_f64 v[0:1], v[0:1], v[22:23]
	s_waitcnt vmcnt(9) lgkmcnt(2)
	v_mul_f64 v[22:23], v[88:89], v[174:175]
	s_waitcnt vmcnt(7)
	v_fmac_f64_e32 v[22:23], v[90:91], v[176:177]
	v_add_f64 v[0:1], v[0:1], v[22:23]
	s_waitcnt vmcnt(5) lgkmcnt(1)
	v_mul_f64 v[22:23], v[92:93], v[166:167]
	s_waitcnt vmcnt(4)
	v_fmac_f64_e32 v[22:23], v[94:95], v[118:119]
	;; [unrolled: 5-line block ×3, first 2 shown]
	v_add_f64 v[22:23], v[0:1], v[22:23]
	buffer_load_dword v0, off, s[0:3], 0 offset:776
	buffer_load_dword v1, off, s[0:3], 0 offset:780
	;; [unrolled: 1-line block ×4, first 2 shown]
	ds_read_b128 v[100:103], v210 offset:1568
	buffer_load_dword v187, off, s[0:3], 0 offset:796
	buffer_load_dword v186, off, s[0:3], 0 offset:792
	;; [unrolled: 1-line block ×4, first 2 shown]
	v_add_f64 v[4:5], v[2:3], v[200:201]
	s_waitcnt vmcnt(6) lgkmcnt(0)
	v_mul_f64 v[104:105], v[100:101], v[0:1]
	v_mul_f64 v[0:1], v[102:103], v[0:1]
	s_waitcnt vmcnt(4)
	v_fmac_f64_e32 v[104:105], v[102:103], v[184:185]
	v_add_f64 v[22:23], v[22:23], v[104:105]
	ds_read_b128 v[104:107], v210 offset:1584
	buffer_load_dword v190, off, s[0:3], 0 offset:808
	buffer_load_dword v191, off, s[0:3], 0 offset:812
	;; [unrolled: 1-line block ×4, first 2 shown]
	ds_read_b128 v[212:215], v210 offset:1600
	buffer_load_dword v197, off, s[0:3], 0 offset:828
	buffer_load_dword v196, off, s[0:3], 0 offset:824
	buffer_load_dword v199, off, s[0:3], 0 offset:820
	buffer_load_dword v198, off, s[0:3], 0 offset:816
	v_fma_f64 v[0:1], v[100:101], v[184:185], -v[0:1]
	s_waitcnt vmcnt(10) lgkmcnt(1)
	v_mul_f64 v[112:113], v[104:105], v[186:187]
	s_waitcnt vmcnt(8)
	v_fmac_f64_e32 v[112:113], v[106:107], v[188:189]
	v_add_f64 v[22:23], v[22:23], v[112:113]
	s_waitcnt vmcnt(6) lgkmcnt(0)
	v_mul_f64 v[112:113], v[212:213], v[190:191]
	s_waitcnt vmcnt(4)
	v_fmac_f64_e32 v[112:113], v[214:215], v[192:193]
	v_add_f64 v[22:23], v[22:23], v[112:113]
	ds_read_b128 v[112:115], v210 offset:1616
	buffer_load_dword v2, off, s[0:3], 0 offset:16
	buffer_load_dword v3, off, s[0:3], 0 offset:20
	;; [unrolled: 1-line block ×4, first 2 shown]
	s_waitcnt vmcnt(6) lgkmcnt(0)
	v_mul_f64 v[208:209], v[112:113], v[196:197]
	s_waitcnt vmcnt(4)
	v_fmac_f64_e32 v[208:209], v[114:115], v[198:199]
	v_add_f64 v[22:23], v[22:23], v[208:209]
	v_add_f64 v[208:209], v[4:5], v[202:203]
	;; [unrolled: 1-line block ×5, first 2 shown]
	v_accvgpr_read_b32 v6, a156
	v_accvgpr_read_b32 v7, a157
	v_mul_f64 v[6:7], v[234:235], v[6:7]
	v_fma_f64 v[6:7], v[232:233], v[8:9], -v[6:7]
	v_add_f64 v[4:5], v[4:5], v[6:7]
	v_mul_f64 v[6:7], v[230:231], v[242:243]
	v_fma_f64 v[6:7], v[228:229], v[244:245], -v[6:7]
	v_add_f64 v[4:5], v[4:5], v[6:7]
	v_accvgpr_read_b32 v6, a160
	v_accvgpr_read_b32 v7, a161
	v_accvgpr_read_b32 v8, a162
	v_mul_f64 v[6:7], v[226:227], v[6:7]
	v_accvgpr_read_b32 v9, a163
	v_fma_f64 v[6:7], v[224:225], v[8:9], -v[6:7]
	v_add_f64 v[4:5], v[4:5], v[6:7]
	v_mul_f64 v[6:7], v[222:223], v[246:247]
	v_fma_f64 v[6:7], v[220:221], v[248:249], -v[6:7]
	v_add_f64 v[4:5], v[4:5], v[6:7]
	v_accvgpr_read_b32 v6, a164
	v_accvgpr_read_b32 v7, a165
	v_accvgpr_read_b32 v8, a166
	v_mul_f64 v[6:7], v[122:123], v[6:7]
	v_accvgpr_read_b32 v9, a167
	;; [unrolled: 10-line block ×4, first 2 shown]
	v_fma_f64 v[6:7], v[36:37], v[8:9], -v[6:7]
	v_add_f64 v[4:5], v[4:5], v[6:7]
	v_mul_f64 v[6:7], v[42:43], v[116:117]
	v_fma_f64 v[6:7], v[40:41], v[124:125], -v[6:7]
	v_add_f64 v[4:5], v[4:5], v[6:7]
	v_mul_f64 v[6:7], v[46:47], v[126:127]
	;; [unrolled: 3-line block ×15, first 2 shown]
	v_fma_f64 v[6:7], v[96:97], v[180:181], -v[6:7]
	v_add_f64 v[4:5], v[4:5], v[6:7]
	v_add_f64 v[0:1], v[4:5], v[0:1]
	v_mul_f64 v[4:5], v[106:107], v[186:187]
	v_fma_f64 v[4:5], v[104:105], v[188:189], -v[4:5]
	v_add_f64 v[0:1], v[0:1], v[4:5]
	v_mul_f64 v[4:5], v[214:215], v[190:191]
	v_fma_f64 v[4:5], v[212:213], v[192:193], -v[4:5]
	;; [unrolled: 3-line block ×3, first 2 shown]
	v_add_f64 v[0:1], v[0:1], v[4:5]
	s_waitcnt vmcnt(2)
	v_add_f64 v[0:1], v[2:3], -v[0:1]
	s_waitcnt vmcnt(0)
	v_add_f64 v[2:3], v[200:201], -v[22:23]
	buffer_store_dword v1, off, s[0:3], 0 offset:20
	buffer_store_dword v0, off, s[0:3], 0 offset:16
	;; [unrolled: 1-line block ×4, first 2 shown]
	s_cbranch_vccz .LBB50_421
; %bb.320:
	v_pk_mov_b32 v[0:1], s[10:11], s[10:11] op_sel:[0,1]
	flat_load_dword v0, v[0:1] offset:196
	s_waitcnt vmcnt(0) lgkmcnt(0)
	v_add_u32_e32 v0, -1, v0
	v_cmp_ne_u32_e32 vcc, 49, v0
	s_and_saveexec_b64 s[4:5], vcc
	s_cbranch_execz .LBB50_322
; %bb.321:
	v_mov_b32_e32 v1, 16
	v_accvgpr_read_b32 v9, a103
	v_lshl_add_u32 v0, v0, 4, v1
	buffer_load_dword v1, v9, s[0:3], 0 offen offset:4
	buffer_load_dword v2, v9, s[0:3], 0 offen offset:8
	buffer_load_dword v3, v9, s[0:3], 0 offen offset:12
	buffer_load_dword v4, v0, s[0:3], 0 offen
	buffer_load_dword v5, v0, s[0:3], 0 offen offset:4
	buffer_load_dword v6, v0, s[0:3], 0 offen offset:8
	buffer_load_dword v7, v0, s[0:3], 0 offen offset:12
	buffer_load_dword v8, v9, s[0:3], 0 offen
	s_waitcnt vmcnt(4)
	buffer_store_dword v4, v9, s[0:3], 0 offen
	s_waitcnt vmcnt(4)
	buffer_store_dword v5, v9, s[0:3], 0 offen offset:4
	s_waitcnt vmcnt(4)
	buffer_store_dword v6, v9, s[0:3], 0 offen offset:8
	s_waitcnt vmcnt(4)
	buffer_store_dword v7, v9, s[0:3], 0 offen offset:12
	buffer_store_dword v3, v0, s[0:3], 0 offen offset:12
	buffer_store_dword v2, v0, s[0:3], 0 offen offset:8
	buffer_store_dword v1, v0, s[0:3], 0 offen offset:4
	s_waitcnt vmcnt(7)
	buffer_store_dword v8, v0, s[0:3], 0 offen
.LBB50_322:
	s_or_b64 exec, exec, s[4:5]
	v_pk_mov_b32 v[0:1], s[10:11], s[10:11] op_sel:[0,1]
	flat_load_dword v0, v[0:1] offset:192
	s_waitcnt vmcnt(0) lgkmcnt(0)
	v_add_u32_e32 v0, -1, v0
	v_cmp_ne_u32_e32 vcc, 48, v0
	s_and_saveexec_b64 s[4:5], vcc
	s_cbranch_execz .LBB50_324
; %bb.323:
	v_mov_b32_e32 v1, 16
	v_accvgpr_read_b32 v9, a104
	v_lshl_add_u32 v0, v0, 4, v1
	buffer_load_dword v1, v9, s[0:3], 0 offen offset:4
	buffer_load_dword v2, v9, s[0:3], 0 offen offset:8
	buffer_load_dword v3, v9, s[0:3], 0 offen offset:12
	buffer_load_dword v4, v0, s[0:3], 0 offen
	buffer_load_dword v5, v0, s[0:3], 0 offen offset:4
	buffer_load_dword v6, v0, s[0:3], 0 offen offset:8
	buffer_load_dword v7, v0, s[0:3], 0 offen offset:12
	buffer_load_dword v8, v9, s[0:3], 0 offen
	s_waitcnt vmcnt(4)
	buffer_store_dword v4, v9, s[0:3], 0 offen
	s_waitcnt vmcnt(4)
	buffer_store_dword v5, v9, s[0:3], 0 offen offset:4
	s_waitcnt vmcnt(4)
	buffer_store_dword v6, v9, s[0:3], 0 offen offset:8
	s_waitcnt vmcnt(4)
	buffer_store_dword v7, v9, s[0:3], 0 offen offset:12
	buffer_store_dword v3, v0, s[0:3], 0 offen offset:12
	buffer_store_dword v2, v0, s[0:3], 0 offen offset:8
	buffer_store_dword v1, v0, s[0:3], 0 offen offset:4
	s_waitcnt vmcnt(7)
	buffer_store_dword v8, v0, s[0:3], 0 offen
.LBB50_324:
	s_or_b64 exec, exec, s[4:5]
	v_pk_mov_b32 v[0:1], s[10:11], s[10:11] op_sel:[0,1]
	flat_load_dword v0, v[0:1] offset:188
	s_waitcnt vmcnt(0) lgkmcnt(0)
	v_add_u32_e32 v0, -1, v0
	v_cmp_ne_u32_e32 vcc, 47, v0
	s_and_saveexec_b64 s[4:5], vcc
	s_cbranch_execz .LBB50_326
; %bb.325:
	v_mov_b32_e32 v1, 16
	v_accvgpr_read_b32 v9, a105
	v_lshl_add_u32 v0, v0, 4, v1
	buffer_load_dword v1, v9, s[0:3], 0 offen offset:4
	buffer_load_dword v2, v9, s[0:3], 0 offen offset:8
	buffer_load_dword v3, v9, s[0:3], 0 offen offset:12
	buffer_load_dword v4, v0, s[0:3], 0 offen
	buffer_load_dword v5, v0, s[0:3], 0 offen offset:4
	buffer_load_dword v6, v0, s[0:3], 0 offen offset:8
	buffer_load_dword v7, v0, s[0:3], 0 offen offset:12
	buffer_load_dword v8, v9, s[0:3], 0 offen
	s_waitcnt vmcnt(4)
	buffer_store_dword v4, v9, s[0:3], 0 offen
	s_waitcnt vmcnt(4)
	buffer_store_dword v5, v9, s[0:3], 0 offen offset:4
	s_waitcnt vmcnt(4)
	buffer_store_dword v6, v9, s[0:3], 0 offen offset:8
	s_waitcnt vmcnt(4)
	buffer_store_dword v7, v9, s[0:3], 0 offen offset:12
	buffer_store_dword v3, v0, s[0:3], 0 offen offset:12
	buffer_store_dword v2, v0, s[0:3], 0 offen offset:8
	buffer_store_dword v1, v0, s[0:3], 0 offen offset:4
	s_waitcnt vmcnt(7)
	buffer_store_dword v8, v0, s[0:3], 0 offen
.LBB50_326:
	s_or_b64 exec, exec, s[4:5]
	v_pk_mov_b32 v[0:1], s[10:11], s[10:11] op_sel:[0,1]
	flat_load_dword v0, v[0:1] offset:184
	s_waitcnt vmcnt(0) lgkmcnt(0)
	v_add_u32_e32 v0, -1, v0
	v_cmp_ne_u32_e32 vcc, 46, v0
	s_and_saveexec_b64 s[4:5], vcc
	s_cbranch_execz .LBB50_328
; %bb.327:
	v_mov_b32_e32 v1, 16
	v_accvgpr_read_b32 v9, a106
	v_lshl_add_u32 v0, v0, 4, v1
	buffer_load_dword v1, v9, s[0:3], 0 offen offset:4
	buffer_load_dword v2, v9, s[0:3], 0 offen offset:8
	buffer_load_dword v3, v9, s[0:3], 0 offen offset:12
	buffer_load_dword v4, v0, s[0:3], 0 offen
	buffer_load_dword v5, v0, s[0:3], 0 offen offset:4
	buffer_load_dword v6, v0, s[0:3], 0 offen offset:8
	buffer_load_dword v7, v0, s[0:3], 0 offen offset:12
	buffer_load_dword v8, v9, s[0:3], 0 offen
	s_waitcnt vmcnt(4)
	buffer_store_dword v4, v9, s[0:3], 0 offen
	s_waitcnt vmcnt(4)
	buffer_store_dword v5, v9, s[0:3], 0 offen offset:4
	s_waitcnt vmcnt(4)
	buffer_store_dword v6, v9, s[0:3], 0 offen offset:8
	s_waitcnt vmcnt(4)
	buffer_store_dword v7, v9, s[0:3], 0 offen offset:12
	buffer_store_dword v3, v0, s[0:3], 0 offen offset:12
	buffer_store_dword v2, v0, s[0:3], 0 offen offset:8
	buffer_store_dword v1, v0, s[0:3], 0 offen offset:4
	s_waitcnt vmcnt(7)
	buffer_store_dword v8, v0, s[0:3], 0 offen
.LBB50_328:
	s_or_b64 exec, exec, s[4:5]
	v_pk_mov_b32 v[0:1], s[10:11], s[10:11] op_sel:[0,1]
	flat_load_dword v0, v[0:1] offset:180
	s_waitcnt vmcnt(0) lgkmcnt(0)
	v_add_u32_e32 v0, -1, v0
	v_cmp_ne_u32_e32 vcc, 45, v0
	s_and_saveexec_b64 s[4:5], vcc
	s_cbranch_execz .LBB50_330
; %bb.329:
	v_mov_b32_e32 v1, 16
	v_accvgpr_read_b32 v9, a107
	v_lshl_add_u32 v0, v0, 4, v1
	buffer_load_dword v1, v9, s[0:3], 0 offen offset:4
	buffer_load_dword v2, v9, s[0:3], 0 offen offset:8
	buffer_load_dword v3, v9, s[0:3], 0 offen offset:12
	buffer_load_dword v4, v0, s[0:3], 0 offen
	buffer_load_dword v5, v0, s[0:3], 0 offen offset:4
	buffer_load_dword v6, v0, s[0:3], 0 offen offset:8
	buffer_load_dword v7, v0, s[0:3], 0 offen offset:12
	buffer_load_dword v8, v9, s[0:3], 0 offen
	s_waitcnt vmcnt(4)
	buffer_store_dword v4, v9, s[0:3], 0 offen
	s_waitcnt vmcnt(4)
	buffer_store_dword v5, v9, s[0:3], 0 offen offset:4
	s_waitcnt vmcnt(4)
	buffer_store_dword v6, v9, s[0:3], 0 offen offset:8
	s_waitcnt vmcnt(4)
	buffer_store_dword v7, v9, s[0:3], 0 offen offset:12
	buffer_store_dword v3, v0, s[0:3], 0 offen offset:12
	buffer_store_dword v2, v0, s[0:3], 0 offen offset:8
	buffer_store_dword v1, v0, s[0:3], 0 offen offset:4
	s_waitcnt vmcnt(7)
	buffer_store_dword v8, v0, s[0:3], 0 offen
.LBB50_330:
	s_or_b64 exec, exec, s[4:5]
	v_pk_mov_b32 v[0:1], s[10:11], s[10:11] op_sel:[0,1]
	flat_load_dword v0, v[0:1] offset:176
	s_waitcnt vmcnt(0) lgkmcnt(0)
	v_add_u32_e32 v0, -1, v0
	v_cmp_ne_u32_e32 vcc, 44, v0
	s_and_saveexec_b64 s[4:5], vcc
	s_cbranch_execz .LBB50_332
; %bb.331:
	v_mov_b32_e32 v1, 16
	v_accvgpr_read_b32 v9, a108
	v_lshl_add_u32 v0, v0, 4, v1
	buffer_load_dword v1, v9, s[0:3], 0 offen offset:4
	buffer_load_dword v2, v9, s[0:3], 0 offen offset:8
	buffer_load_dword v3, v9, s[0:3], 0 offen offset:12
	buffer_load_dword v4, v0, s[0:3], 0 offen
	buffer_load_dword v5, v0, s[0:3], 0 offen offset:4
	buffer_load_dword v6, v0, s[0:3], 0 offen offset:8
	buffer_load_dword v7, v0, s[0:3], 0 offen offset:12
	buffer_load_dword v8, v9, s[0:3], 0 offen
	s_waitcnt vmcnt(4)
	buffer_store_dword v4, v9, s[0:3], 0 offen
	s_waitcnt vmcnt(4)
	buffer_store_dword v5, v9, s[0:3], 0 offen offset:4
	s_waitcnt vmcnt(4)
	buffer_store_dword v6, v9, s[0:3], 0 offen offset:8
	s_waitcnt vmcnt(4)
	buffer_store_dword v7, v9, s[0:3], 0 offen offset:12
	buffer_store_dword v3, v0, s[0:3], 0 offen offset:12
	buffer_store_dword v2, v0, s[0:3], 0 offen offset:8
	buffer_store_dword v1, v0, s[0:3], 0 offen offset:4
	s_waitcnt vmcnt(7)
	buffer_store_dword v8, v0, s[0:3], 0 offen
.LBB50_332:
	s_or_b64 exec, exec, s[4:5]
	v_pk_mov_b32 v[0:1], s[10:11], s[10:11] op_sel:[0,1]
	flat_load_dword v0, v[0:1] offset:172
	s_waitcnt vmcnt(0) lgkmcnt(0)
	v_add_u32_e32 v0, -1, v0
	v_cmp_ne_u32_e32 vcc, 43, v0
	s_and_saveexec_b64 s[4:5], vcc
	s_cbranch_execz .LBB50_334
; %bb.333:
	v_mov_b32_e32 v1, 16
	v_accvgpr_read_b32 v9, a109
	v_lshl_add_u32 v0, v0, 4, v1
	buffer_load_dword v1, v9, s[0:3], 0 offen offset:4
	buffer_load_dword v2, v9, s[0:3], 0 offen offset:8
	buffer_load_dword v3, v9, s[0:3], 0 offen offset:12
	buffer_load_dword v4, v0, s[0:3], 0 offen
	buffer_load_dword v5, v0, s[0:3], 0 offen offset:4
	buffer_load_dword v6, v0, s[0:3], 0 offen offset:8
	buffer_load_dword v7, v0, s[0:3], 0 offen offset:12
	buffer_load_dword v8, v9, s[0:3], 0 offen
	s_waitcnt vmcnt(4)
	buffer_store_dword v4, v9, s[0:3], 0 offen
	s_waitcnt vmcnt(4)
	buffer_store_dword v5, v9, s[0:3], 0 offen offset:4
	s_waitcnt vmcnt(4)
	buffer_store_dword v6, v9, s[0:3], 0 offen offset:8
	s_waitcnt vmcnt(4)
	buffer_store_dword v7, v9, s[0:3], 0 offen offset:12
	buffer_store_dword v3, v0, s[0:3], 0 offen offset:12
	buffer_store_dword v2, v0, s[0:3], 0 offen offset:8
	buffer_store_dword v1, v0, s[0:3], 0 offen offset:4
	s_waitcnt vmcnt(7)
	buffer_store_dword v8, v0, s[0:3], 0 offen
.LBB50_334:
	s_or_b64 exec, exec, s[4:5]
	v_pk_mov_b32 v[0:1], s[10:11], s[10:11] op_sel:[0,1]
	flat_load_dword v0, v[0:1] offset:168
	s_waitcnt vmcnt(0) lgkmcnt(0)
	v_add_u32_e32 v0, -1, v0
	v_cmp_ne_u32_e32 vcc, 42, v0
	s_and_saveexec_b64 s[4:5], vcc
	s_cbranch_execz .LBB50_336
; %bb.335:
	v_mov_b32_e32 v1, 16
	v_accvgpr_read_b32 v9, a110
	v_lshl_add_u32 v0, v0, 4, v1
	buffer_load_dword v1, v9, s[0:3], 0 offen offset:4
	buffer_load_dword v2, v9, s[0:3], 0 offen offset:8
	buffer_load_dword v3, v9, s[0:3], 0 offen offset:12
	buffer_load_dword v4, v0, s[0:3], 0 offen
	buffer_load_dword v5, v0, s[0:3], 0 offen offset:4
	buffer_load_dword v6, v0, s[0:3], 0 offen offset:8
	buffer_load_dword v7, v0, s[0:3], 0 offen offset:12
	buffer_load_dword v8, v9, s[0:3], 0 offen
	s_waitcnt vmcnt(4)
	buffer_store_dword v4, v9, s[0:3], 0 offen
	s_waitcnt vmcnt(4)
	buffer_store_dword v5, v9, s[0:3], 0 offen offset:4
	s_waitcnt vmcnt(4)
	buffer_store_dword v6, v9, s[0:3], 0 offen offset:8
	s_waitcnt vmcnt(4)
	buffer_store_dword v7, v9, s[0:3], 0 offen offset:12
	buffer_store_dword v3, v0, s[0:3], 0 offen offset:12
	buffer_store_dword v2, v0, s[0:3], 0 offen offset:8
	buffer_store_dword v1, v0, s[0:3], 0 offen offset:4
	s_waitcnt vmcnt(7)
	buffer_store_dword v8, v0, s[0:3], 0 offen
.LBB50_336:
	s_or_b64 exec, exec, s[4:5]
	v_pk_mov_b32 v[0:1], s[10:11], s[10:11] op_sel:[0,1]
	flat_load_dword v0, v[0:1] offset:164
	s_waitcnt vmcnt(0) lgkmcnt(0)
	v_add_u32_e32 v0, -1, v0
	v_cmp_ne_u32_e32 vcc, 41, v0
	s_and_saveexec_b64 s[4:5], vcc
	s_cbranch_execz .LBB50_338
; %bb.337:
	v_mov_b32_e32 v1, 16
	v_accvgpr_read_b32 v9, a111
	v_lshl_add_u32 v0, v0, 4, v1
	buffer_load_dword v1, v9, s[0:3], 0 offen offset:4
	buffer_load_dword v2, v9, s[0:3], 0 offen offset:8
	buffer_load_dword v3, v9, s[0:3], 0 offen offset:12
	buffer_load_dword v4, v0, s[0:3], 0 offen
	buffer_load_dword v5, v0, s[0:3], 0 offen offset:4
	buffer_load_dword v6, v0, s[0:3], 0 offen offset:8
	buffer_load_dword v7, v0, s[0:3], 0 offen offset:12
	buffer_load_dword v8, v9, s[0:3], 0 offen
	s_waitcnt vmcnt(4)
	buffer_store_dword v4, v9, s[0:3], 0 offen
	s_waitcnt vmcnt(4)
	buffer_store_dword v5, v9, s[0:3], 0 offen offset:4
	s_waitcnt vmcnt(4)
	buffer_store_dword v6, v9, s[0:3], 0 offen offset:8
	s_waitcnt vmcnt(4)
	buffer_store_dword v7, v9, s[0:3], 0 offen offset:12
	buffer_store_dword v3, v0, s[0:3], 0 offen offset:12
	buffer_store_dword v2, v0, s[0:3], 0 offen offset:8
	buffer_store_dword v1, v0, s[0:3], 0 offen offset:4
	s_waitcnt vmcnt(7)
	buffer_store_dword v8, v0, s[0:3], 0 offen
.LBB50_338:
	s_or_b64 exec, exec, s[4:5]
	v_pk_mov_b32 v[0:1], s[10:11], s[10:11] op_sel:[0,1]
	flat_load_dword v0, v[0:1] offset:160
	s_waitcnt vmcnt(0) lgkmcnt(0)
	v_add_u32_e32 v0, -1, v0
	v_cmp_ne_u32_e32 vcc, 40, v0
	s_and_saveexec_b64 s[4:5], vcc
	s_cbranch_execz .LBB50_340
; %bb.339:
	v_mov_b32_e32 v1, 16
	v_accvgpr_read_b32 v9, a112
	v_lshl_add_u32 v0, v0, 4, v1
	buffer_load_dword v1, v9, s[0:3], 0 offen offset:4
	buffer_load_dword v2, v9, s[0:3], 0 offen offset:8
	buffer_load_dword v3, v9, s[0:3], 0 offen offset:12
	buffer_load_dword v4, v0, s[0:3], 0 offen
	buffer_load_dword v5, v0, s[0:3], 0 offen offset:4
	buffer_load_dword v6, v0, s[0:3], 0 offen offset:8
	buffer_load_dword v7, v0, s[0:3], 0 offen offset:12
	buffer_load_dword v8, v9, s[0:3], 0 offen
	s_waitcnt vmcnt(4)
	buffer_store_dword v4, v9, s[0:3], 0 offen
	s_waitcnt vmcnt(4)
	buffer_store_dword v5, v9, s[0:3], 0 offen offset:4
	s_waitcnt vmcnt(4)
	buffer_store_dword v6, v9, s[0:3], 0 offen offset:8
	s_waitcnt vmcnt(4)
	buffer_store_dword v7, v9, s[0:3], 0 offen offset:12
	buffer_store_dword v3, v0, s[0:3], 0 offen offset:12
	buffer_store_dword v2, v0, s[0:3], 0 offen offset:8
	buffer_store_dword v1, v0, s[0:3], 0 offen offset:4
	s_waitcnt vmcnt(7)
	buffer_store_dword v8, v0, s[0:3], 0 offen
.LBB50_340:
	s_or_b64 exec, exec, s[4:5]
	v_pk_mov_b32 v[0:1], s[10:11], s[10:11] op_sel:[0,1]
	flat_load_dword v0, v[0:1] offset:156
	s_waitcnt vmcnt(0) lgkmcnt(0)
	v_add_u32_e32 v0, -1, v0
	v_cmp_ne_u32_e32 vcc, 39, v0
	s_and_saveexec_b64 s[4:5], vcc
	s_cbranch_execz .LBB50_342
; %bb.341:
	v_mov_b32_e32 v1, 16
	v_accvgpr_read_b32 v9, a113
	v_lshl_add_u32 v0, v0, 4, v1
	buffer_load_dword v1, v9, s[0:3], 0 offen offset:4
	buffer_load_dword v2, v9, s[0:3], 0 offen offset:8
	buffer_load_dword v3, v9, s[0:3], 0 offen offset:12
	buffer_load_dword v4, v0, s[0:3], 0 offen
	buffer_load_dword v5, v0, s[0:3], 0 offen offset:4
	buffer_load_dword v6, v0, s[0:3], 0 offen offset:8
	buffer_load_dword v7, v0, s[0:3], 0 offen offset:12
	buffer_load_dword v8, v9, s[0:3], 0 offen
	s_waitcnt vmcnt(4)
	buffer_store_dword v4, v9, s[0:3], 0 offen
	s_waitcnt vmcnt(4)
	buffer_store_dword v5, v9, s[0:3], 0 offen offset:4
	s_waitcnt vmcnt(4)
	buffer_store_dword v6, v9, s[0:3], 0 offen offset:8
	s_waitcnt vmcnt(4)
	buffer_store_dword v7, v9, s[0:3], 0 offen offset:12
	buffer_store_dword v3, v0, s[0:3], 0 offen offset:12
	buffer_store_dword v2, v0, s[0:3], 0 offen offset:8
	buffer_store_dword v1, v0, s[0:3], 0 offen offset:4
	s_waitcnt vmcnt(7)
	buffer_store_dword v8, v0, s[0:3], 0 offen
.LBB50_342:
	s_or_b64 exec, exec, s[4:5]
	v_pk_mov_b32 v[0:1], s[10:11], s[10:11] op_sel:[0,1]
	flat_load_dword v0, v[0:1] offset:152
	s_waitcnt vmcnt(0) lgkmcnt(0)
	v_add_u32_e32 v0, -1, v0
	v_cmp_ne_u32_e32 vcc, 38, v0
	s_and_saveexec_b64 s[4:5], vcc
	s_cbranch_execz .LBB50_344
; %bb.343:
	v_mov_b32_e32 v1, 16
	v_accvgpr_read_b32 v9, a114
	v_lshl_add_u32 v0, v0, 4, v1
	buffer_load_dword v1, v9, s[0:3], 0 offen offset:4
	buffer_load_dword v2, v9, s[0:3], 0 offen offset:8
	buffer_load_dword v3, v9, s[0:3], 0 offen offset:12
	buffer_load_dword v4, v0, s[0:3], 0 offen
	buffer_load_dword v5, v0, s[0:3], 0 offen offset:4
	buffer_load_dword v6, v0, s[0:3], 0 offen offset:8
	buffer_load_dword v7, v0, s[0:3], 0 offen offset:12
	buffer_load_dword v8, v9, s[0:3], 0 offen
	s_waitcnt vmcnt(4)
	buffer_store_dword v4, v9, s[0:3], 0 offen
	s_waitcnt vmcnt(4)
	buffer_store_dword v5, v9, s[0:3], 0 offen offset:4
	s_waitcnt vmcnt(4)
	buffer_store_dword v6, v9, s[0:3], 0 offen offset:8
	s_waitcnt vmcnt(4)
	buffer_store_dword v7, v9, s[0:3], 0 offen offset:12
	buffer_store_dword v3, v0, s[0:3], 0 offen offset:12
	buffer_store_dword v2, v0, s[0:3], 0 offen offset:8
	buffer_store_dword v1, v0, s[0:3], 0 offen offset:4
	s_waitcnt vmcnt(7)
	buffer_store_dword v8, v0, s[0:3], 0 offen
.LBB50_344:
	s_or_b64 exec, exec, s[4:5]
	v_pk_mov_b32 v[0:1], s[10:11], s[10:11] op_sel:[0,1]
	flat_load_dword v0, v[0:1] offset:148
	s_waitcnt vmcnt(0) lgkmcnt(0)
	v_add_u32_e32 v0, -1, v0
	v_cmp_ne_u32_e32 vcc, 37, v0
	s_and_saveexec_b64 s[4:5], vcc
	s_cbranch_execz .LBB50_346
; %bb.345:
	v_mov_b32_e32 v1, 16
	v_accvgpr_read_b32 v9, a115
	v_lshl_add_u32 v0, v0, 4, v1
	buffer_load_dword v1, v9, s[0:3], 0 offen offset:4
	buffer_load_dword v2, v9, s[0:3], 0 offen offset:8
	buffer_load_dword v3, v9, s[0:3], 0 offen offset:12
	buffer_load_dword v4, v0, s[0:3], 0 offen
	buffer_load_dword v5, v0, s[0:3], 0 offen offset:4
	buffer_load_dword v6, v0, s[0:3], 0 offen offset:8
	buffer_load_dword v7, v0, s[0:3], 0 offen offset:12
	buffer_load_dword v8, v9, s[0:3], 0 offen
	s_waitcnt vmcnt(4)
	buffer_store_dword v4, v9, s[0:3], 0 offen
	s_waitcnt vmcnt(4)
	buffer_store_dword v5, v9, s[0:3], 0 offen offset:4
	s_waitcnt vmcnt(4)
	buffer_store_dword v6, v9, s[0:3], 0 offen offset:8
	s_waitcnt vmcnt(4)
	buffer_store_dword v7, v9, s[0:3], 0 offen offset:12
	buffer_store_dword v3, v0, s[0:3], 0 offen offset:12
	buffer_store_dword v2, v0, s[0:3], 0 offen offset:8
	buffer_store_dword v1, v0, s[0:3], 0 offen offset:4
	s_waitcnt vmcnt(7)
	buffer_store_dword v8, v0, s[0:3], 0 offen
.LBB50_346:
	s_or_b64 exec, exec, s[4:5]
	v_pk_mov_b32 v[0:1], s[10:11], s[10:11] op_sel:[0,1]
	flat_load_dword v0, v[0:1] offset:144
	s_waitcnt vmcnt(0) lgkmcnt(0)
	v_add_u32_e32 v0, -1, v0
	v_cmp_ne_u32_e32 vcc, 36, v0
	s_and_saveexec_b64 s[4:5], vcc
	s_cbranch_execz .LBB50_348
; %bb.347:
	v_mov_b32_e32 v1, 16
	v_accvgpr_read_b32 v9, a116
	v_lshl_add_u32 v0, v0, 4, v1
	buffer_load_dword v1, v9, s[0:3], 0 offen offset:4
	buffer_load_dword v2, v9, s[0:3], 0 offen offset:8
	buffer_load_dword v3, v9, s[0:3], 0 offen offset:12
	buffer_load_dword v4, v0, s[0:3], 0 offen
	buffer_load_dword v5, v0, s[0:3], 0 offen offset:4
	buffer_load_dword v6, v0, s[0:3], 0 offen offset:8
	buffer_load_dword v7, v0, s[0:3], 0 offen offset:12
	buffer_load_dword v8, v9, s[0:3], 0 offen
	s_waitcnt vmcnt(4)
	buffer_store_dword v4, v9, s[0:3], 0 offen
	s_waitcnt vmcnt(4)
	buffer_store_dword v5, v9, s[0:3], 0 offen offset:4
	s_waitcnt vmcnt(4)
	buffer_store_dword v6, v9, s[0:3], 0 offen offset:8
	s_waitcnt vmcnt(4)
	buffer_store_dword v7, v9, s[0:3], 0 offen offset:12
	buffer_store_dword v3, v0, s[0:3], 0 offen offset:12
	buffer_store_dword v2, v0, s[0:3], 0 offen offset:8
	buffer_store_dword v1, v0, s[0:3], 0 offen offset:4
	s_waitcnt vmcnt(7)
	buffer_store_dword v8, v0, s[0:3], 0 offen
.LBB50_348:
	s_or_b64 exec, exec, s[4:5]
	v_pk_mov_b32 v[0:1], s[10:11], s[10:11] op_sel:[0,1]
	flat_load_dword v0, v[0:1] offset:140
	s_waitcnt vmcnt(0) lgkmcnt(0)
	v_add_u32_e32 v0, -1, v0
	v_cmp_ne_u32_e32 vcc, 35, v0
	s_and_saveexec_b64 s[4:5], vcc
	s_cbranch_execz .LBB50_350
; %bb.349:
	v_mov_b32_e32 v1, 16
	v_accvgpr_read_b32 v9, a117
	v_lshl_add_u32 v0, v0, 4, v1
	buffer_load_dword v1, v9, s[0:3], 0 offen offset:4
	buffer_load_dword v2, v9, s[0:3], 0 offen offset:8
	buffer_load_dword v3, v9, s[0:3], 0 offen offset:12
	buffer_load_dword v4, v0, s[0:3], 0 offen
	buffer_load_dword v5, v0, s[0:3], 0 offen offset:4
	buffer_load_dword v6, v0, s[0:3], 0 offen offset:8
	buffer_load_dword v7, v0, s[0:3], 0 offen offset:12
	buffer_load_dword v8, v9, s[0:3], 0 offen
	s_waitcnt vmcnt(4)
	buffer_store_dword v4, v9, s[0:3], 0 offen
	s_waitcnt vmcnt(4)
	buffer_store_dword v5, v9, s[0:3], 0 offen offset:4
	s_waitcnt vmcnt(4)
	buffer_store_dword v6, v9, s[0:3], 0 offen offset:8
	s_waitcnt vmcnt(4)
	buffer_store_dword v7, v9, s[0:3], 0 offen offset:12
	buffer_store_dword v3, v0, s[0:3], 0 offen offset:12
	buffer_store_dword v2, v0, s[0:3], 0 offen offset:8
	buffer_store_dword v1, v0, s[0:3], 0 offen offset:4
	s_waitcnt vmcnt(7)
	buffer_store_dword v8, v0, s[0:3], 0 offen
.LBB50_350:
	s_or_b64 exec, exec, s[4:5]
	v_pk_mov_b32 v[0:1], s[10:11], s[10:11] op_sel:[0,1]
	flat_load_dword v0, v[0:1] offset:136
	s_waitcnt vmcnt(0) lgkmcnt(0)
	v_add_u32_e32 v0, -1, v0
	v_cmp_ne_u32_e32 vcc, 34, v0
	s_and_saveexec_b64 s[4:5], vcc
	s_cbranch_execz .LBB50_352
; %bb.351:
	v_mov_b32_e32 v1, 16
	v_accvgpr_read_b32 v9, a118
	v_lshl_add_u32 v0, v0, 4, v1
	buffer_load_dword v1, v9, s[0:3], 0 offen offset:4
	buffer_load_dword v2, v9, s[0:3], 0 offen offset:8
	buffer_load_dword v3, v9, s[0:3], 0 offen offset:12
	buffer_load_dword v4, v0, s[0:3], 0 offen
	buffer_load_dword v5, v0, s[0:3], 0 offen offset:4
	buffer_load_dword v6, v0, s[0:3], 0 offen offset:8
	buffer_load_dword v7, v0, s[0:3], 0 offen offset:12
	buffer_load_dword v8, v9, s[0:3], 0 offen
	s_waitcnt vmcnt(4)
	buffer_store_dword v4, v9, s[0:3], 0 offen
	s_waitcnt vmcnt(4)
	buffer_store_dword v5, v9, s[0:3], 0 offen offset:4
	s_waitcnt vmcnt(4)
	buffer_store_dword v6, v9, s[0:3], 0 offen offset:8
	s_waitcnt vmcnt(4)
	buffer_store_dword v7, v9, s[0:3], 0 offen offset:12
	buffer_store_dword v3, v0, s[0:3], 0 offen offset:12
	buffer_store_dword v2, v0, s[0:3], 0 offen offset:8
	buffer_store_dword v1, v0, s[0:3], 0 offen offset:4
	s_waitcnt vmcnt(7)
	buffer_store_dword v8, v0, s[0:3], 0 offen
.LBB50_352:
	s_or_b64 exec, exec, s[4:5]
	v_pk_mov_b32 v[0:1], s[10:11], s[10:11] op_sel:[0,1]
	flat_load_dword v0, v[0:1] offset:132
	s_waitcnt vmcnt(0) lgkmcnt(0)
	v_add_u32_e32 v0, -1, v0
	v_cmp_ne_u32_e32 vcc, 33, v0
	s_and_saveexec_b64 s[4:5], vcc
	s_cbranch_execz .LBB50_354
; %bb.353:
	v_mov_b32_e32 v1, 16
	v_accvgpr_read_b32 v9, a119
	v_lshl_add_u32 v0, v0, 4, v1
	buffer_load_dword v1, v9, s[0:3], 0 offen offset:4
	buffer_load_dword v2, v9, s[0:3], 0 offen offset:8
	buffer_load_dword v3, v9, s[0:3], 0 offen offset:12
	buffer_load_dword v4, v0, s[0:3], 0 offen
	buffer_load_dword v5, v0, s[0:3], 0 offen offset:4
	buffer_load_dword v6, v0, s[0:3], 0 offen offset:8
	buffer_load_dword v7, v0, s[0:3], 0 offen offset:12
	buffer_load_dword v8, v9, s[0:3], 0 offen
	s_waitcnt vmcnt(4)
	buffer_store_dword v4, v9, s[0:3], 0 offen
	s_waitcnt vmcnt(4)
	buffer_store_dword v5, v9, s[0:3], 0 offen offset:4
	s_waitcnt vmcnt(4)
	buffer_store_dword v6, v9, s[0:3], 0 offen offset:8
	s_waitcnt vmcnt(4)
	buffer_store_dword v7, v9, s[0:3], 0 offen offset:12
	buffer_store_dword v3, v0, s[0:3], 0 offen offset:12
	buffer_store_dword v2, v0, s[0:3], 0 offen offset:8
	buffer_store_dword v1, v0, s[0:3], 0 offen offset:4
	s_waitcnt vmcnt(7)
	buffer_store_dword v8, v0, s[0:3], 0 offen
.LBB50_354:
	s_or_b64 exec, exec, s[4:5]
	v_pk_mov_b32 v[0:1], s[10:11], s[10:11] op_sel:[0,1]
	flat_load_dword v0, v[0:1] offset:128
	s_waitcnt vmcnt(0) lgkmcnt(0)
	v_add_u32_e32 v0, -1, v0
	v_cmp_ne_u32_e32 vcc, 32, v0
	s_and_saveexec_b64 s[4:5], vcc
	s_cbranch_execz .LBB50_356
; %bb.355:
	v_mov_b32_e32 v1, 16
	v_accvgpr_read_b32 v9, a120
	v_lshl_add_u32 v0, v0, 4, v1
	buffer_load_dword v1, v9, s[0:3], 0 offen offset:4
	buffer_load_dword v2, v9, s[0:3], 0 offen offset:8
	buffer_load_dword v3, v9, s[0:3], 0 offen offset:12
	buffer_load_dword v4, v0, s[0:3], 0 offen
	buffer_load_dword v5, v0, s[0:3], 0 offen offset:4
	buffer_load_dword v6, v0, s[0:3], 0 offen offset:8
	buffer_load_dword v7, v0, s[0:3], 0 offen offset:12
	buffer_load_dword v8, v9, s[0:3], 0 offen
	s_waitcnt vmcnt(4)
	buffer_store_dword v4, v9, s[0:3], 0 offen
	s_waitcnt vmcnt(4)
	buffer_store_dword v5, v9, s[0:3], 0 offen offset:4
	s_waitcnt vmcnt(4)
	buffer_store_dword v6, v9, s[0:3], 0 offen offset:8
	s_waitcnt vmcnt(4)
	buffer_store_dword v7, v9, s[0:3], 0 offen offset:12
	buffer_store_dword v3, v0, s[0:3], 0 offen offset:12
	buffer_store_dword v2, v0, s[0:3], 0 offen offset:8
	buffer_store_dword v1, v0, s[0:3], 0 offen offset:4
	s_waitcnt vmcnt(7)
	buffer_store_dword v8, v0, s[0:3], 0 offen
.LBB50_356:
	s_or_b64 exec, exec, s[4:5]
	v_pk_mov_b32 v[0:1], s[10:11], s[10:11] op_sel:[0,1]
	flat_load_dword v0, v[0:1] offset:124
	s_waitcnt vmcnt(0) lgkmcnt(0)
	v_add_u32_e32 v0, -1, v0
	v_cmp_ne_u32_e32 vcc, 31, v0
	s_and_saveexec_b64 s[4:5], vcc
	s_cbranch_execz .LBB50_358
; %bb.357:
	v_mov_b32_e32 v1, 16
	v_accvgpr_read_b32 v9, a121
	v_lshl_add_u32 v0, v0, 4, v1
	buffer_load_dword v1, v9, s[0:3], 0 offen offset:4
	buffer_load_dword v2, v9, s[0:3], 0 offen offset:8
	buffer_load_dword v3, v9, s[0:3], 0 offen offset:12
	buffer_load_dword v4, v0, s[0:3], 0 offen
	buffer_load_dword v5, v0, s[0:3], 0 offen offset:4
	buffer_load_dword v6, v0, s[0:3], 0 offen offset:8
	buffer_load_dword v7, v0, s[0:3], 0 offen offset:12
	buffer_load_dword v8, v9, s[0:3], 0 offen
	s_waitcnt vmcnt(4)
	buffer_store_dword v4, v9, s[0:3], 0 offen
	s_waitcnt vmcnt(4)
	buffer_store_dword v5, v9, s[0:3], 0 offen offset:4
	s_waitcnt vmcnt(4)
	buffer_store_dword v6, v9, s[0:3], 0 offen offset:8
	s_waitcnt vmcnt(4)
	buffer_store_dword v7, v9, s[0:3], 0 offen offset:12
	buffer_store_dword v3, v0, s[0:3], 0 offen offset:12
	buffer_store_dword v2, v0, s[0:3], 0 offen offset:8
	buffer_store_dword v1, v0, s[0:3], 0 offen offset:4
	s_waitcnt vmcnt(7)
	buffer_store_dword v8, v0, s[0:3], 0 offen
.LBB50_358:
	s_or_b64 exec, exec, s[4:5]
	v_pk_mov_b32 v[0:1], s[10:11], s[10:11] op_sel:[0,1]
	flat_load_dword v0, v[0:1] offset:120
	s_waitcnt vmcnt(0) lgkmcnt(0)
	v_add_u32_e32 v0, -1, v0
	v_cmp_ne_u32_e32 vcc, 30, v0
	s_and_saveexec_b64 s[4:5], vcc
	s_cbranch_execz .LBB50_360
; %bb.359:
	v_mov_b32_e32 v1, 16
	v_accvgpr_read_b32 v9, a122
	v_lshl_add_u32 v0, v0, 4, v1
	buffer_load_dword v1, v9, s[0:3], 0 offen offset:4
	buffer_load_dword v2, v9, s[0:3], 0 offen offset:8
	buffer_load_dword v3, v9, s[0:3], 0 offen offset:12
	buffer_load_dword v4, v0, s[0:3], 0 offen
	buffer_load_dword v5, v0, s[0:3], 0 offen offset:4
	buffer_load_dword v6, v0, s[0:3], 0 offen offset:8
	buffer_load_dword v7, v0, s[0:3], 0 offen offset:12
	buffer_load_dword v8, v9, s[0:3], 0 offen
	s_waitcnt vmcnt(4)
	buffer_store_dword v4, v9, s[0:3], 0 offen
	s_waitcnt vmcnt(4)
	buffer_store_dword v5, v9, s[0:3], 0 offen offset:4
	s_waitcnt vmcnt(4)
	buffer_store_dword v6, v9, s[0:3], 0 offen offset:8
	s_waitcnt vmcnt(4)
	buffer_store_dword v7, v9, s[0:3], 0 offen offset:12
	buffer_store_dword v3, v0, s[0:3], 0 offen offset:12
	buffer_store_dword v2, v0, s[0:3], 0 offen offset:8
	buffer_store_dword v1, v0, s[0:3], 0 offen offset:4
	s_waitcnt vmcnt(7)
	buffer_store_dword v8, v0, s[0:3], 0 offen
.LBB50_360:
	s_or_b64 exec, exec, s[4:5]
	v_pk_mov_b32 v[0:1], s[10:11], s[10:11] op_sel:[0,1]
	flat_load_dword v0, v[0:1] offset:116
	s_waitcnt vmcnt(0) lgkmcnt(0)
	v_add_u32_e32 v0, -1, v0
	v_cmp_ne_u32_e32 vcc, 29, v0
	s_and_saveexec_b64 s[4:5], vcc
	s_cbranch_execz .LBB50_362
; %bb.361:
	v_mov_b32_e32 v1, 16
	v_accvgpr_read_b32 v9, a123
	v_lshl_add_u32 v0, v0, 4, v1
	buffer_load_dword v1, v9, s[0:3], 0 offen offset:4
	buffer_load_dword v2, v9, s[0:3], 0 offen offset:8
	buffer_load_dword v3, v9, s[0:3], 0 offen offset:12
	buffer_load_dword v4, v0, s[0:3], 0 offen
	buffer_load_dword v5, v0, s[0:3], 0 offen offset:4
	buffer_load_dword v6, v0, s[0:3], 0 offen offset:8
	buffer_load_dword v7, v0, s[0:3], 0 offen offset:12
	buffer_load_dword v8, v9, s[0:3], 0 offen
	s_waitcnt vmcnt(4)
	buffer_store_dword v4, v9, s[0:3], 0 offen
	s_waitcnt vmcnt(4)
	buffer_store_dword v5, v9, s[0:3], 0 offen offset:4
	s_waitcnt vmcnt(4)
	buffer_store_dword v6, v9, s[0:3], 0 offen offset:8
	s_waitcnt vmcnt(4)
	buffer_store_dword v7, v9, s[0:3], 0 offen offset:12
	buffer_store_dword v3, v0, s[0:3], 0 offen offset:12
	buffer_store_dword v2, v0, s[0:3], 0 offen offset:8
	buffer_store_dword v1, v0, s[0:3], 0 offen offset:4
	s_waitcnt vmcnt(7)
	buffer_store_dword v8, v0, s[0:3], 0 offen
.LBB50_362:
	s_or_b64 exec, exec, s[4:5]
	v_pk_mov_b32 v[0:1], s[10:11], s[10:11] op_sel:[0,1]
	flat_load_dword v0, v[0:1] offset:112
	s_waitcnt vmcnt(0) lgkmcnt(0)
	v_add_u32_e32 v0, -1, v0
	v_cmp_ne_u32_e32 vcc, 28, v0
	s_and_saveexec_b64 s[4:5], vcc
	s_cbranch_execz .LBB50_364
; %bb.363:
	v_mov_b32_e32 v1, 16
	v_accvgpr_read_b32 v9, a124
	v_lshl_add_u32 v0, v0, 4, v1
	buffer_load_dword v1, v9, s[0:3], 0 offen offset:4
	buffer_load_dword v2, v9, s[0:3], 0 offen offset:8
	buffer_load_dword v3, v9, s[0:3], 0 offen offset:12
	buffer_load_dword v4, v0, s[0:3], 0 offen
	buffer_load_dword v5, v0, s[0:3], 0 offen offset:4
	buffer_load_dword v6, v0, s[0:3], 0 offen offset:8
	buffer_load_dword v7, v0, s[0:3], 0 offen offset:12
	buffer_load_dword v8, v9, s[0:3], 0 offen
	s_waitcnt vmcnt(4)
	buffer_store_dword v4, v9, s[0:3], 0 offen
	s_waitcnt vmcnt(4)
	buffer_store_dword v5, v9, s[0:3], 0 offen offset:4
	s_waitcnt vmcnt(4)
	buffer_store_dword v6, v9, s[0:3], 0 offen offset:8
	s_waitcnt vmcnt(4)
	buffer_store_dword v7, v9, s[0:3], 0 offen offset:12
	buffer_store_dword v3, v0, s[0:3], 0 offen offset:12
	buffer_store_dword v2, v0, s[0:3], 0 offen offset:8
	buffer_store_dword v1, v0, s[0:3], 0 offen offset:4
	s_waitcnt vmcnt(7)
	buffer_store_dword v8, v0, s[0:3], 0 offen
.LBB50_364:
	s_or_b64 exec, exec, s[4:5]
	v_pk_mov_b32 v[0:1], s[10:11], s[10:11] op_sel:[0,1]
	flat_load_dword v0, v[0:1] offset:108
	s_waitcnt vmcnt(0) lgkmcnt(0)
	v_add_u32_e32 v0, -1, v0
	v_cmp_ne_u32_e32 vcc, 27, v0
	s_and_saveexec_b64 s[4:5], vcc
	s_cbranch_execz .LBB50_366
; %bb.365:
	v_mov_b32_e32 v1, 16
	v_accvgpr_read_b32 v9, a125
	v_lshl_add_u32 v0, v0, 4, v1
	buffer_load_dword v1, v9, s[0:3], 0 offen offset:4
	buffer_load_dword v2, v9, s[0:3], 0 offen offset:8
	buffer_load_dword v3, v9, s[0:3], 0 offen offset:12
	buffer_load_dword v4, v0, s[0:3], 0 offen
	buffer_load_dword v5, v0, s[0:3], 0 offen offset:4
	buffer_load_dword v6, v0, s[0:3], 0 offen offset:8
	buffer_load_dword v7, v0, s[0:3], 0 offen offset:12
	buffer_load_dword v8, v9, s[0:3], 0 offen
	s_waitcnt vmcnt(4)
	buffer_store_dword v4, v9, s[0:3], 0 offen
	s_waitcnt vmcnt(4)
	buffer_store_dword v5, v9, s[0:3], 0 offen offset:4
	s_waitcnt vmcnt(4)
	buffer_store_dword v6, v9, s[0:3], 0 offen offset:8
	s_waitcnt vmcnt(4)
	buffer_store_dword v7, v9, s[0:3], 0 offen offset:12
	buffer_store_dword v3, v0, s[0:3], 0 offen offset:12
	buffer_store_dword v2, v0, s[0:3], 0 offen offset:8
	buffer_store_dword v1, v0, s[0:3], 0 offen offset:4
	s_waitcnt vmcnt(7)
	buffer_store_dword v8, v0, s[0:3], 0 offen
.LBB50_366:
	s_or_b64 exec, exec, s[4:5]
	v_pk_mov_b32 v[0:1], s[10:11], s[10:11] op_sel:[0,1]
	flat_load_dword v0, v[0:1] offset:104
	s_waitcnt vmcnt(0) lgkmcnt(0)
	v_add_u32_e32 v0, -1, v0
	v_cmp_ne_u32_e32 vcc, 26, v0
	s_and_saveexec_b64 s[4:5], vcc
	s_cbranch_execz .LBB50_368
; %bb.367:
	v_mov_b32_e32 v1, 16
	v_accvgpr_read_b32 v9, a126
	v_lshl_add_u32 v0, v0, 4, v1
	buffer_load_dword v1, v9, s[0:3], 0 offen offset:4
	buffer_load_dword v2, v9, s[0:3], 0 offen offset:8
	buffer_load_dword v3, v9, s[0:3], 0 offen offset:12
	buffer_load_dword v4, v0, s[0:3], 0 offen
	buffer_load_dword v5, v0, s[0:3], 0 offen offset:4
	buffer_load_dword v6, v0, s[0:3], 0 offen offset:8
	buffer_load_dword v7, v0, s[0:3], 0 offen offset:12
	buffer_load_dword v8, v9, s[0:3], 0 offen
	s_waitcnt vmcnt(4)
	buffer_store_dword v4, v9, s[0:3], 0 offen
	s_waitcnt vmcnt(4)
	buffer_store_dword v5, v9, s[0:3], 0 offen offset:4
	s_waitcnt vmcnt(4)
	buffer_store_dword v6, v9, s[0:3], 0 offen offset:8
	s_waitcnt vmcnt(4)
	buffer_store_dword v7, v9, s[0:3], 0 offen offset:12
	buffer_store_dword v3, v0, s[0:3], 0 offen offset:12
	buffer_store_dword v2, v0, s[0:3], 0 offen offset:8
	buffer_store_dword v1, v0, s[0:3], 0 offen offset:4
	s_waitcnt vmcnt(7)
	buffer_store_dword v8, v0, s[0:3], 0 offen
.LBB50_368:
	s_or_b64 exec, exec, s[4:5]
	v_pk_mov_b32 v[0:1], s[10:11], s[10:11] op_sel:[0,1]
	flat_load_dword v0, v[0:1] offset:100
	s_waitcnt vmcnt(0) lgkmcnt(0)
	v_add_u32_e32 v0, -1, v0
	v_cmp_ne_u32_e32 vcc, 25, v0
	s_and_saveexec_b64 s[4:5], vcc
	s_cbranch_execz .LBB50_370
; %bb.369:
	v_mov_b32_e32 v1, 16
	v_accvgpr_read_b32 v9, a127
	v_lshl_add_u32 v0, v0, 4, v1
	buffer_load_dword v1, v9, s[0:3], 0 offen offset:4
	buffer_load_dword v2, v9, s[0:3], 0 offen offset:8
	buffer_load_dword v3, v9, s[0:3], 0 offen offset:12
	buffer_load_dword v4, v0, s[0:3], 0 offen
	buffer_load_dword v5, v0, s[0:3], 0 offen offset:4
	buffer_load_dword v6, v0, s[0:3], 0 offen offset:8
	buffer_load_dword v7, v0, s[0:3], 0 offen offset:12
	buffer_load_dword v8, v9, s[0:3], 0 offen
	s_waitcnt vmcnt(4)
	buffer_store_dword v4, v9, s[0:3], 0 offen
	s_waitcnt vmcnt(4)
	buffer_store_dword v5, v9, s[0:3], 0 offen offset:4
	s_waitcnt vmcnt(4)
	buffer_store_dword v6, v9, s[0:3], 0 offen offset:8
	s_waitcnt vmcnt(4)
	buffer_store_dword v7, v9, s[0:3], 0 offen offset:12
	buffer_store_dword v3, v0, s[0:3], 0 offen offset:12
	buffer_store_dword v2, v0, s[0:3], 0 offen offset:8
	buffer_store_dword v1, v0, s[0:3], 0 offen offset:4
	s_waitcnt vmcnt(7)
	buffer_store_dword v8, v0, s[0:3], 0 offen
.LBB50_370:
	s_or_b64 exec, exec, s[4:5]
	v_pk_mov_b32 v[0:1], s[10:11], s[10:11] op_sel:[0,1]
	flat_load_dword v0, v[0:1] offset:96
	s_waitcnt vmcnt(0) lgkmcnt(0)
	v_add_u32_e32 v0, -1, v0
	v_cmp_ne_u32_e32 vcc, 24, v0
	s_and_saveexec_b64 s[4:5], vcc
	s_cbranch_execz .LBB50_372
; %bb.371:
	v_mov_b32_e32 v1, 16
	v_accvgpr_read_b32 v9, a128
	v_lshl_add_u32 v0, v0, 4, v1
	buffer_load_dword v1, v9, s[0:3], 0 offen offset:4
	buffer_load_dword v2, v9, s[0:3], 0 offen offset:8
	buffer_load_dword v3, v9, s[0:3], 0 offen offset:12
	buffer_load_dword v4, v0, s[0:3], 0 offen
	buffer_load_dword v5, v0, s[0:3], 0 offen offset:4
	buffer_load_dword v6, v0, s[0:3], 0 offen offset:8
	buffer_load_dword v7, v0, s[0:3], 0 offen offset:12
	buffer_load_dword v8, v9, s[0:3], 0 offen
	s_waitcnt vmcnt(4)
	buffer_store_dword v4, v9, s[0:3], 0 offen
	s_waitcnt vmcnt(4)
	buffer_store_dword v5, v9, s[0:3], 0 offen offset:4
	s_waitcnt vmcnt(4)
	buffer_store_dword v6, v9, s[0:3], 0 offen offset:8
	s_waitcnt vmcnt(4)
	buffer_store_dword v7, v9, s[0:3], 0 offen offset:12
	buffer_store_dword v3, v0, s[0:3], 0 offen offset:12
	buffer_store_dword v2, v0, s[0:3], 0 offen offset:8
	buffer_store_dword v1, v0, s[0:3], 0 offen offset:4
	s_waitcnt vmcnt(7)
	buffer_store_dword v8, v0, s[0:3], 0 offen
.LBB50_372:
	s_or_b64 exec, exec, s[4:5]
	v_pk_mov_b32 v[0:1], s[10:11], s[10:11] op_sel:[0,1]
	flat_load_dword v0, v[0:1] offset:92
	s_waitcnt vmcnt(0) lgkmcnt(0)
	v_add_u32_e32 v0, -1, v0
	v_cmp_ne_u32_e32 vcc, 23, v0
	s_and_saveexec_b64 s[4:5], vcc
	s_cbranch_execz .LBB50_374
; %bb.373:
	v_mov_b32_e32 v1, 16
	v_accvgpr_read_b32 v9, a129
	v_lshl_add_u32 v0, v0, 4, v1
	buffer_load_dword v1, v9, s[0:3], 0 offen offset:4
	buffer_load_dword v2, v9, s[0:3], 0 offen offset:8
	buffer_load_dword v3, v9, s[0:3], 0 offen offset:12
	buffer_load_dword v4, v0, s[0:3], 0 offen
	buffer_load_dword v5, v0, s[0:3], 0 offen offset:4
	buffer_load_dword v6, v0, s[0:3], 0 offen offset:8
	buffer_load_dword v7, v0, s[0:3], 0 offen offset:12
	buffer_load_dword v8, v9, s[0:3], 0 offen
	s_waitcnt vmcnt(4)
	buffer_store_dword v4, v9, s[0:3], 0 offen
	s_waitcnt vmcnt(4)
	buffer_store_dword v5, v9, s[0:3], 0 offen offset:4
	s_waitcnt vmcnt(4)
	buffer_store_dword v6, v9, s[0:3], 0 offen offset:8
	s_waitcnt vmcnt(4)
	buffer_store_dword v7, v9, s[0:3], 0 offen offset:12
	buffer_store_dword v3, v0, s[0:3], 0 offen offset:12
	buffer_store_dword v2, v0, s[0:3], 0 offen offset:8
	buffer_store_dword v1, v0, s[0:3], 0 offen offset:4
	s_waitcnt vmcnt(7)
	buffer_store_dword v8, v0, s[0:3], 0 offen
.LBB50_374:
	s_or_b64 exec, exec, s[4:5]
	v_pk_mov_b32 v[0:1], s[10:11], s[10:11] op_sel:[0,1]
	flat_load_dword v0, v[0:1] offset:88
	s_waitcnt vmcnt(0) lgkmcnt(0)
	v_add_u32_e32 v0, -1, v0
	v_cmp_ne_u32_e32 vcc, 22, v0
	s_and_saveexec_b64 s[4:5], vcc
	s_cbranch_execz .LBB50_376
; %bb.375:
	v_mov_b32_e32 v1, 16
	v_accvgpr_read_b32 v9, a130
	v_lshl_add_u32 v0, v0, 4, v1
	buffer_load_dword v1, v9, s[0:3], 0 offen offset:4
	buffer_load_dword v2, v9, s[0:3], 0 offen offset:8
	buffer_load_dword v3, v9, s[0:3], 0 offen offset:12
	buffer_load_dword v4, v0, s[0:3], 0 offen
	buffer_load_dword v5, v0, s[0:3], 0 offen offset:4
	buffer_load_dword v6, v0, s[0:3], 0 offen offset:8
	buffer_load_dword v7, v0, s[0:3], 0 offen offset:12
	buffer_load_dword v8, v9, s[0:3], 0 offen
	s_waitcnt vmcnt(4)
	buffer_store_dword v4, v9, s[0:3], 0 offen
	s_waitcnt vmcnt(4)
	buffer_store_dword v5, v9, s[0:3], 0 offen offset:4
	s_waitcnt vmcnt(4)
	buffer_store_dword v6, v9, s[0:3], 0 offen offset:8
	s_waitcnt vmcnt(4)
	buffer_store_dword v7, v9, s[0:3], 0 offen offset:12
	buffer_store_dword v3, v0, s[0:3], 0 offen offset:12
	buffer_store_dword v2, v0, s[0:3], 0 offen offset:8
	buffer_store_dword v1, v0, s[0:3], 0 offen offset:4
	s_waitcnt vmcnt(7)
	buffer_store_dword v8, v0, s[0:3], 0 offen
.LBB50_376:
	s_or_b64 exec, exec, s[4:5]
	v_pk_mov_b32 v[0:1], s[10:11], s[10:11] op_sel:[0,1]
	flat_load_dword v0, v[0:1] offset:84
	s_waitcnt vmcnt(0) lgkmcnt(0)
	v_add_u32_e32 v0, -1, v0
	v_cmp_ne_u32_e32 vcc, 21, v0
	s_and_saveexec_b64 s[4:5], vcc
	s_cbranch_execz .LBB50_378
; %bb.377:
	v_mov_b32_e32 v1, 16
	v_accvgpr_read_b32 v9, a131
	v_lshl_add_u32 v0, v0, 4, v1
	buffer_load_dword v1, v9, s[0:3], 0 offen offset:4
	buffer_load_dword v2, v9, s[0:3], 0 offen offset:8
	buffer_load_dword v3, v9, s[0:3], 0 offen offset:12
	buffer_load_dword v4, v0, s[0:3], 0 offen
	buffer_load_dword v5, v0, s[0:3], 0 offen offset:4
	buffer_load_dword v6, v0, s[0:3], 0 offen offset:8
	buffer_load_dword v7, v0, s[0:3], 0 offen offset:12
	buffer_load_dword v8, v9, s[0:3], 0 offen
	s_waitcnt vmcnt(4)
	buffer_store_dword v4, v9, s[0:3], 0 offen
	s_waitcnt vmcnt(4)
	buffer_store_dword v5, v9, s[0:3], 0 offen offset:4
	s_waitcnt vmcnt(4)
	buffer_store_dword v6, v9, s[0:3], 0 offen offset:8
	s_waitcnt vmcnt(4)
	buffer_store_dword v7, v9, s[0:3], 0 offen offset:12
	buffer_store_dword v3, v0, s[0:3], 0 offen offset:12
	buffer_store_dword v2, v0, s[0:3], 0 offen offset:8
	buffer_store_dword v1, v0, s[0:3], 0 offen offset:4
	s_waitcnt vmcnt(7)
	buffer_store_dword v8, v0, s[0:3], 0 offen
.LBB50_378:
	s_or_b64 exec, exec, s[4:5]
	v_pk_mov_b32 v[0:1], s[10:11], s[10:11] op_sel:[0,1]
	flat_load_dword v0, v[0:1] offset:80
	s_waitcnt vmcnt(0) lgkmcnt(0)
	v_add_u32_e32 v0, -1, v0
	v_cmp_ne_u32_e32 vcc, 20, v0
	s_and_saveexec_b64 s[4:5], vcc
	s_cbranch_execz .LBB50_380
; %bb.379:
	v_mov_b32_e32 v1, 16
	v_accvgpr_read_b32 v9, a132
	v_lshl_add_u32 v0, v0, 4, v1
	buffer_load_dword v1, v9, s[0:3], 0 offen offset:4
	buffer_load_dword v2, v9, s[0:3], 0 offen offset:8
	buffer_load_dword v3, v9, s[0:3], 0 offen offset:12
	buffer_load_dword v4, v0, s[0:3], 0 offen
	buffer_load_dword v5, v0, s[0:3], 0 offen offset:4
	buffer_load_dword v6, v0, s[0:3], 0 offen offset:8
	buffer_load_dword v7, v0, s[0:3], 0 offen offset:12
	buffer_load_dword v8, v9, s[0:3], 0 offen
	s_waitcnt vmcnt(4)
	buffer_store_dword v4, v9, s[0:3], 0 offen
	s_waitcnt vmcnt(4)
	buffer_store_dword v5, v9, s[0:3], 0 offen offset:4
	s_waitcnt vmcnt(4)
	buffer_store_dword v6, v9, s[0:3], 0 offen offset:8
	s_waitcnt vmcnt(4)
	buffer_store_dword v7, v9, s[0:3], 0 offen offset:12
	buffer_store_dword v3, v0, s[0:3], 0 offen offset:12
	buffer_store_dword v2, v0, s[0:3], 0 offen offset:8
	buffer_store_dword v1, v0, s[0:3], 0 offen offset:4
	s_waitcnt vmcnt(7)
	buffer_store_dword v8, v0, s[0:3], 0 offen
.LBB50_380:
	s_or_b64 exec, exec, s[4:5]
	v_pk_mov_b32 v[0:1], s[10:11], s[10:11] op_sel:[0,1]
	flat_load_dword v0, v[0:1] offset:76
	s_waitcnt vmcnt(0) lgkmcnt(0)
	v_add_u32_e32 v0, -1, v0
	v_cmp_ne_u32_e32 vcc, 19, v0
	s_and_saveexec_b64 s[4:5], vcc
	s_cbranch_execz .LBB50_382
; %bb.381:
	v_mov_b32_e32 v1, 16
	v_accvgpr_read_b32 v9, a133
	v_lshl_add_u32 v0, v0, 4, v1
	buffer_load_dword v1, v9, s[0:3], 0 offen offset:4
	buffer_load_dword v2, v9, s[0:3], 0 offen offset:8
	buffer_load_dword v3, v9, s[0:3], 0 offen offset:12
	buffer_load_dword v4, v0, s[0:3], 0 offen
	buffer_load_dword v5, v0, s[0:3], 0 offen offset:4
	buffer_load_dword v6, v0, s[0:3], 0 offen offset:8
	buffer_load_dword v7, v0, s[0:3], 0 offen offset:12
	buffer_load_dword v8, v9, s[0:3], 0 offen
	s_waitcnt vmcnt(4)
	buffer_store_dword v4, v9, s[0:3], 0 offen
	s_waitcnt vmcnt(4)
	buffer_store_dword v5, v9, s[0:3], 0 offen offset:4
	s_waitcnt vmcnt(4)
	buffer_store_dword v6, v9, s[0:3], 0 offen offset:8
	s_waitcnt vmcnt(4)
	buffer_store_dword v7, v9, s[0:3], 0 offen offset:12
	buffer_store_dword v3, v0, s[0:3], 0 offen offset:12
	buffer_store_dword v2, v0, s[0:3], 0 offen offset:8
	buffer_store_dword v1, v0, s[0:3], 0 offen offset:4
	s_waitcnt vmcnt(7)
	buffer_store_dword v8, v0, s[0:3], 0 offen
.LBB50_382:
	s_or_b64 exec, exec, s[4:5]
	v_pk_mov_b32 v[0:1], s[10:11], s[10:11] op_sel:[0,1]
	flat_load_dword v0, v[0:1] offset:72
	s_waitcnt vmcnt(0) lgkmcnt(0)
	v_add_u32_e32 v0, -1, v0
	v_cmp_ne_u32_e32 vcc, 18, v0
	s_and_saveexec_b64 s[4:5], vcc
	s_cbranch_execz .LBB50_384
; %bb.383:
	v_mov_b32_e32 v1, 16
	v_accvgpr_read_b32 v9, a134
	v_lshl_add_u32 v0, v0, 4, v1
	buffer_load_dword v1, v9, s[0:3], 0 offen offset:4
	buffer_load_dword v2, v9, s[0:3], 0 offen offset:8
	buffer_load_dword v3, v9, s[0:3], 0 offen offset:12
	buffer_load_dword v4, v0, s[0:3], 0 offen
	buffer_load_dword v5, v0, s[0:3], 0 offen offset:4
	buffer_load_dword v6, v0, s[0:3], 0 offen offset:8
	buffer_load_dword v7, v0, s[0:3], 0 offen offset:12
	buffer_load_dword v8, v9, s[0:3], 0 offen
	s_waitcnt vmcnt(4)
	buffer_store_dword v4, v9, s[0:3], 0 offen
	s_waitcnt vmcnt(4)
	buffer_store_dword v5, v9, s[0:3], 0 offen offset:4
	s_waitcnt vmcnt(4)
	buffer_store_dword v6, v9, s[0:3], 0 offen offset:8
	s_waitcnt vmcnt(4)
	buffer_store_dword v7, v9, s[0:3], 0 offen offset:12
	buffer_store_dword v3, v0, s[0:3], 0 offen offset:12
	buffer_store_dword v2, v0, s[0:3], 0 offen offset:8
	buffer_store_dword v1, v0, s[0:3], 0 offen offset:4
	s_waitcnt vmcnt(7)
	buffer_store_dword v8, v0, s[0:3], 0 offen
.LBB50_384:
	s_or_b64 exec, exec, s[4:5]
	v_pk_mov_b32 v[0:1], s[10:11], s[10:11] op_sel:[0,1]
	flat_load_dword v0, v[0:1] offset:68
	s_waitcnt vmcnt(0) lgkmcnt(0)
	v_add_u32_e32 v0, -1, v0
	v_cmp_ne_u32_e32 vcc, 17, v0
	s_and_saveexec_b64 s[4:5], vcc
	s_cbranch_execz .LBB50_386
; %bb.385:
	v_mov_b32_e32 v1, 16
	v_accvgpr_read_b32 v9, a135
	v_lshl_add_u32 v0, v0, 4, v1
	buffer_load_dword v1, v9, s[0:3], 0 offen offset:4
	buffer_load_dword v2, v9, s[0:3], 0 offen offset:8
	buffer_load_dword v3, v9, s[0:3], 0 offen offset:12
	buffer_load_dword v4, v0, s[0:3], 0 offen
	buffer_load_dword v5, v0, s[0:3], 0 offen offset:4
	buffer_load_dword v6, v0, s[0:3], 0 offen offset:8
	buffer_load_dword v7, v0, s[0:3], 0 offen offset:12
	buffer_load_dword v8, v9, s[0:3], 0 offen
	s_waitcnt vmcnt(4)
	buffer_store_dword v4, v9, s[0:3], 0 offen
	s_waitcnt vmcnt(4)
	buffer_store_dword v5, v9, s[0:3], 0 offen offset:4
	s_waitcnt vmcnt(4)
	buffer_store_dword v6, v9, s[0:3], 0 offen offset:8
	s_waitcnt vmcnt(4)
	buffer_store_dword v7, v9, s[0:3], 0 offen offset:12
	buffer_store_dword v3, v0, s[0:3], 0 offen offset:12
	buffer_store_dword v2, v0, s[0:3], 0 offen offset:8
	buffer_store_dword v1, v0, s[0:3], 0 offen offset:4
	s_waitcnt vmcnt(7)
	buffer_store_dword v8, v0, s[0:3], 0 offen
.LBB50_386:
	s_or_b64 exec, exec, s[4:5]
	v_pk_mov_b32 v[0:1], s[10:11], s[10:11] op_sel:[0,1]
	flat_load_dword v0, v[0:1] offset:64
	s_waitcnt vmcnt(0) lgkmcnt(0)
	v_add_u32_e32 v0, -1, v0
	v_cmp_ne_u32_e32 vcc, 16, v0
	s_and_saveexec_b64 s[4:5], vcc
	s_cbranch_execz .LBB50_388
; %bb.387:
	v_mov_b32_e32 v1, 16
	v_accvgpr_read_b32 v9, a136
	v_lshl_add_u32 v0, v0, 4, v1
	buffer_load_dword v1, v9, s[0:3], 0 offen offset:4
	buffer_load_dword v2, v9, s[0:3], 0 offen offset:8
	buffer_load_dword v3, v9, s[0:3], 0 offen offset:12
	buffer_load_dword v4, v0, s[0:3], 0 offen
	buffer_load_dword v5, v0, s[0:3], 0 offen offset:4
	buffer_load_dword v6, v0, s[0:3], 0 offen offset:8
	buffer_load_dword v7, v0, s[0:3], 0 offen offset:12
	buffer_load_dword v8, v9, s[0:3], 0 offen
	s_waitcnt vmcnt(4)
	buffer_store_dword v4, v9, s[0:3], 0 offen
	s_waitcnt vmcnt(4)
	buffer_store_dword v5, v9, s[0:3], 0 offen offset:4
	s_waitcnt vmcnt(4)
	buffer_store_dword v6, v9, s[0:3], 0 offen offset:8
	s_waitcnt vmcnt(4)
	buffer_store_dword v7, v9, s[0:3], 0 offen offset:12
	buffer_store_dword v3, v0, s[0:3], 0 offen offset:12
	buffer_store_dword v2, v0, s[0:3], 0 offen offset:8
	buffer_store_dword v1, v0, s[0:3], 0 offen offset:4
	s_waitcnt vmcnt(7)
	buffer_store_dword v8, v0, s[0:3], 0 offen
.LBB50_388:
	s_or_b64 exec, exec, s[4:5]
	v_pk_mov_b32 v[0:1], s[10:11], s[10:11] op_sel:[0,1]
	flat_load_dword v0, v[0:1] offset:60
	s_waitcnt vmcnt(0) lgkmcnt(0)
	v_add_u32_e32 v0, -1, v0
	v_cmp_ne_u32_e32 vcc, 15, v0
	s_and_saveexec_b64 s[4:5], vcc
	s_cbranch_execz .LBB50_390
; %bb.389:
	v_mov_b32_e32 v1, 16
	v_accvgpr_read_b32 v9, a137
	v_lshl_add_u32 v0, v0, 4, v1
	buffer_load_dword v1, v9, s[0:3], 0 offen offset:4
	buffer_load_dword v2, v9, s[0:3], 0 offen offset:8
	buffer_load_dword v3, v9, s[0:3], 0 offen offset:12
	buffer_load_dword v4, v0, s[0:3], 0 offen
	buffer_load_dword v5, v0, s[0:3], 0 offen offset:4
	buffer_load_dword v6, v0, s[0:3], 0 offen offset:8
	buffer_load_dword v7, v0, s[0:3], 0 offen offset:12
	buffer_load_dword v8, v9, s[0:3], 0 offen
	s_waitcnt vmcnt(4)
	buffer_store_dword v4, v9, s[0:3], 0 offen
	s_waitcnt vmcnt(4)
	buffer_store_dword v5, v9, s[0:3], 0 offen offset:4
	s_waitcnt vmcnt(4)
	buffer_store_dword v6, v9, s[0:3], 0 offen offset:8
	s_waitcnt vmcnt(4)
	buffer_store_dword v7, v9, s[0:3], 0 offen offset:12
	buffer_store_dword v3, v0, s[0:3], 0 offen offset:12
	buffer_store_dword v2, v0, s[0:3], 0 offen offset:8
	buffer_store_dword v1, v0, s[0:3], 0 offen offset:4
	s_waitcnt vmcnt(7)
	buffer_store_dword v8, v0, s[0:3], 0 offen
.LBB50_390:
	s_or_b64 exec, exec, s[4:5]
	v_pk_mov_b32 v[0:1], s[10:11], s[10:11] op_sel:[0,1]
	flat_load_dword v0, v[0:1] offset:56
	s_waitcnt vmcnt(0) lgkmcnt(0)
	v_add_u32_e32 v0, -1, v0
	v_cmp_ne_u32_e32 vcc, 14, v0
	s_and_saveexec_b64 s[4:5], vcc
	s_cbranch_execz .LBB50_392
; %bb.391:
	v_mov_b32_e32 v1, 16
	v_accvgpr_read_b32 v9, a138
	v_lshl_add_u32 v0, v0, 4, v1
	buffer_load_dword v1, v9, s[0:3], 0 offen offset:4
	buffer_load_dword v2, v9, s[0:3], 0 offen offset:8
	buffer_load_dword v3, v9, s[0:3], 0 offen offset:12
	buffer_load_dword v4, v0, s[0:3], 0 offen
	buffer_load_dword v5, v0, s[0:3], 0 offen offset:4
	buffer_load_dword v6, v0, s[0:3], 0 offen offset:8
	buffer_load_dword v7, v0, s[0:3], 0 offen offset:12
	buffer_load_dword v8, v9, s[0:3], 0 offen
	s_waitcnt vmcnt(4)
	buffer_store_dword v4, v9, s[0:3], 0 offen
	s_waitcnt vmcnt(4)
	buffer_store_dword v5, v9, s[0:3], 0 offen offset:4
	s_waitcnt vmcnt(4)
	buffer_store_dword v6, v9, s[0:3], 0 offen offset:8
	s_waitcnt vmcnt(4)
	buffer_store_dword v7, v9, s[0:3], 0 offen offset:12
	buffer_store_dword v3, v0, s[0:3], 0 offen offset:12
	buffer_store_dword v2, v0, s[0:3], 0 offen offset:8
	buffer_store_dword v1, v0, s[0:3], 0 offen offset:4
	s_waitcnt vmcnt(7)
	buffer_store_dword v8, v0, s[0:3], 0 offen
.LBB50_392:
	s_or_b64 exec, exec, s[4:5]
	v_pk_mov_b32 v[0:1], s[10:11], s[10:11] op_sel:[0,1]
	flat_load_dword v0, v[0:1] offset:52
	s_waitcnt vmcnt(0) lgkmcnt(0)
	v_add_u32_e32 v0, -1, v0
	v_cmp_ne_u32_e32 vcc, 13, v0
	s_and_saveexec_b64 s[4:5], vcc
	s_cbranch_execz .LBB50_394
; %bb.393:
	v_mov_b32_e32 v1, 16
	v_accvgpr_read_b32 v9, a139
	v_lshl_add_u32 v0, v0, 4, v1
	buffer_load_dword v1, v9, s[0:3], 0 offen offset:4
	buffer_load_dword v2, v9, s[0:3], 0 offen offset:8
	buffer_load_dword v3, v9, s[0:3], 0 offen offset:12
	buffer_load_dword v4, v0, s[0:3], 0 offen
	buffer_load_dword v5, v0, s[0:3], 0 offen offset:4
	buffer_load_dword v6, v0, s[0:3], 0 offen offset:8
	buffer_load_dword v7, v0, s[0:3], 0 offen offset:12
	buffer_load_dword v8, v9, s[0:3], 0 offen
	s_waitcnt vmcnt(4)
	buffer_store_dword v4, v9, s[0:3], 0 offen
	s_waitcnt vmcnt(4)
	buffer_store_dword v5, v9, s[0:3], 0 offen offset:4
	s_waitcnt vmcnt(4)
	buffer_store_dword v6, v9, s[0:3], 0 offen offset:8
	s_waitcnt vmcnt(4)
	buffer_store_dword v7, v9, s[0:3], 0 offen offset:12
	buffer_store_dword v3, v0, s[0:3], 0 offen offset:12
	buffer_store_dword v2, v0, s[0:3], 0 offen offset:8
	buffer_store_dword v1, v0, s[0:3], 0 offen offset:4
	s_waitcnt vmcnt(7)
	buffer_store_dword v8, v0, s[0:3], 0 offen
.LBB50_394:
	s_or_b64 exec, exec, s[4:5]
	v_pk_mov_b32 v[0:1], s[10:11], s[10:11] op_sel:[0,1]
	flat_load_dword v0, v[0:1] offset:48
	s_waitcnt vmcnt(0) lgkmcnt(0)
	v_add_u32_e32 v0, -1, v0
	v_cmp_ne_u32_e32 vcc, 12, v0
	s_and_saveexec_b64 s[4:5], vcc
	s_cbranch_execz .LBB50_396
; %bb.395:
	v_mov_b32_e32 v1, 16
	v_accvgpr_read_b32 v9, a140
	v_lshl_add_u32 v0, v0, 4, v1
	buffer_load_dword v1, v9, s[0:3], 0 offen offset:4
	buffer_load_dword v2, v9, s[0:3], 0 offen offset:8
	buffer_load_dword v3, v9, s[0:3], 0 offen offset:12
	buffer_load_dword v4, v0, s[0:3], 0 offen
	buffer_load_dword v5, v0, s[0:3], 0 offen offset:4
	buffer_load_dword v6, v0, s[0:3], 0 offen offset:8
	buffer_load_dword v7, v0, s[0:3], 0 offen offset:12
	buffer_load_dword v8, v9, s[0:3], 0 offen
	s_waitcnt vmcnt(4)
	buffer_store_dword v4, v9, s[0:3], 0 offen
	s_waitcnt vmcnt(4)
	buffer_store_dword v5, v9, s[0:3], 0 offen offset:4
	s_waitcnt vmcnt(4)
	buffer_store_dword v6, v9, s[0:3], 0 offen offset:8
	s_waitcnt vmcnt(4)
	buffer_store_dword v7, v9, s[0:3], 0 offen offset:12
	buffer_store_dword v3, v0, s[0:3], 0 offen offset:12
	buffer_store_dword v2, v0, s[0:3], 0 offen offset:8
	buffer_store_dword v1, v0, s[0:3], 0 offen offset:4
	s_waitcnt vmcnt(7)
	buffer_store_dword v8, v0, s[0:3], 0 offen
.LBB50_396:
	s_or_b64 exec, exec, s[4:5]
	v_pk_mov_b32 v[0:1], s[10:11], s[10:11] op_sel:[0,1]
	flat_load_dword v0, v[0:1] offset:44
	s_waitcnt vmcnt(0) lgkmcnt(0)
	v_add_u32_e32 v0, -1, v0
	v_cmp_ne_u32_e32 vcc, 11, v0
	s_and_saveexec_b64 s[4:5], vcc
	s_cbranch_execz .LBB50_398
; %bb.397:
	v_mov_b32_e32 v1, 16
	v_accvgpr_read_b32 v9, a141
	v_lshl_add_u32 v0, v0, 4, v1
	buffer_load_dword v1, v9, s[0:3], 0 offen offset:4
	buffer_load_dword v2, v9, s[0:3], 0 offen offset:8
	buffer_load_dword v3, v9, s[0:3], 0 offen offset:12
	buffer_load_dword v4, v0, s[0:3], 0 offen
	buffer_load_dword v5, v0, s[0:3], 0 offen offset:4
	buffer_load_dword v6, v0, s[0:3], 0 offen offset:8
	buffer_load_dword v7, v0, s[0:3], 0 offen offset:12
	buffer_load_dword v8, v9, s[0:3], 0 offen
	s_waitcnt vmcnt(4)
	buffer_store_dword v4, v9, s[0:3], 0 offen
	s_waitcnt vmcnt(4)
	buffer_store_dword v5, v9, s[0:3], 0 offen offset:4
	s_waitcnt vmcnt(4)
	buffer_store_dword v6, v9, s[0:3], 0 offen offset:8
	s_waitcnt vmcnt(4)
	buffer_store_dword v7, v9, s[0:3], 0 offen offset:12
	buffer_store_dword v3, v0, s[0:3], 0 offen offset:12
	buffer_store_dword v2, v0, s[0:3], 0 offen offset:8
	buffer_store_dword v1, v0, s[0:3], 0 offen offset:4
	s_waitcnt vmcnt(7)
	buffer_store_dword v8, v0, s[0:3], 0 offen
.LBB50_398:
	s_or_b64 exec, exec, s[4:5]
	v_pk_mov_b32 v[0:1], s[10:11], s[10:11] op_sel:[0,1]
	flat_load_dword v0, v[0:1] offset:40
	s_waitcnt vmcnt(0) lgkmcnt(0)
	v_add_u32_e32 v0, -1, v0
	v_cmp_ne_u32_e32 vcc, 10, v0
	s_and_saveexec_b64 s[4:5], vcc
	s_cbranch_execz .LBB50_400
; %bb.399:
	v_mov_b32_e32 v1, 16
	v_accvgpr_read_b32 v9, a142
	v_lshl_add_u32 v0, v0, 4, v1
	buffer_load_dword v1, v9, s[0:3], 0 offen offset:4
	buffer_load_dword v2, v9, s[0:3], 0 offen offset:8
	buffer_load_dword v3, v9, s[0:3], 0 offen offset:12
	buffer_load_dword v4, v0, s[0:3], 0 offen
	buffer_load_dword v5, v0, s[0:3], 0 offen offset:4
	buffer_load_dword v6, v0, s[0:3], 0 offen offset:8
	buffer_load_dword v7, v0, s[0:3], 0 offen offset:12
	buffer_load_dword v8, v9, s[0:3], 0 offen
	s_waitcnt vmcnt(4)
	buffer_store_dword v4, v9, s[0:3], 0 offen
	s_waitcnt vmcnt(4)
	buffer_store_dword v5, v9, s[0:3], 0 offen offset:4
	s_waitcnt vmcnt(4)
	buffer_store_dword v6, v9, s[0:3], 0 offen offset:8
	s_waitcnt vmcnt(4)
	buffer_store_dword v7, v9, s[0:3], 0 offen offset:12
	buffer_store_dword v3, v0, s[0:3], 0 offen offset:12
	buffer_store_dword v2, v0, s[0:3], 0 offen offset:8
	buffer_store_dword v1, v0, s[0:3], 0 offen offset:4
	s_waitcnt vmcnt(7)
	buffer_store_dword v8, v0, s[0:3], 0 offen
.LBB50_400:
	s_or_b64 exec, exec, s[4:5]
	v_pk_mov_b32 v[0:1], s[10:11], s[10:11] op_sel:[0,1]
	flat_load_dword v0, v[0:1] offset:36
	s_waitcnt vmcnt(0) lgkmcnt(0)
	v_add_u32_e32 v0, -1, v0
	v_cmp_ne_u32_e32 vcc, 9, v0
	s_and_saveexec_b64 s[4:5], vcc
	s_cbranch_execz .LBB50_402
; %bb.401:
	v_mov_b32_e32 v1, 16
	v_accvgpr_read_b32 v9, a143
	v_lshl_add_u32 v0, v0, 4, v1
	buffer_load_dword v1, v9, s[0:3], 0 offen offset:4
	buffer_load_dword v2, v9, s[0:3], 0 offen offset:8
	buffer_load_dword v3, v9, s[0:3], 0 offen offset:12
	buffer_load_dword v4, v0, s[0:3], 0 offen
	buffer_load_dword v5, v0, s[0:3], 0 offen offset:4
	buffer_load_dword v6, v0, s[0:3], 0 offen offset:8
	buffer_load_dword v7, v0, s[0:3], 0 offen offset:12
	buffer_load_dword v8, v9, s[0:3], 0 offen
	s_waitcnt vmcnt(4)
	buffer_store_dword v4, v9, s[0:3], 0 offen
	s_waitcnt vmcnt(4)
	buffer_store_dword v5, v9, s[0:3], 0 offen offset:4
	s_waitcnt vmcnt(4)
	buffer_store_dword v6, v9, s[0:3], 0 offen offset:8
	s_waitcnt vmcnt(4)
	buffer_store_dword v7, v9, s[0:3], 0 offen offset:12
	buffer_store_dword v3, v0, s[0:3], 0 offen offset:12
	buffer_store_dword v2, v0, s[0:3], 0 offen offset:8
	buffer_store_dword v1, v0, s[0:3], 0 offen offset:4
	s_waitcnt vmcnt(7)
	buffer_store_dword v8, v0, s[0:3], 0 offen
.LBB50_402:
	s_or_b64 exec, exec, s[4:5]
	v_pk_mov_b32 v[0:1], s[10:11], s[10:11] op_sel:[0,1]
	flat_load_dword v0, v[0:1] offset:32
	s_waitcnt vmcnt(0) lgkmcnt(0)
	v_add_u32_e32 v0, -1, v0
	v_cmp_ne_u32_e32 vcc, 8, v0
	s_and_saveexec_b64 s[4:5], vcc
	s_cbranch_execz .LBB50_404
; %bb.403:
	v_mov_b32_e32 v1, 16
	v_accvgpr_read_b32 v9, a144
	v_lshl_add_u32 v0, v0, 4, v1
	buffer_load_dword v1, v9, s[0:3], 0 offen offset:4
	buffer_load_dword v2, v9, s[0:3], 0 offen offset:8
	buffer_load_dword v3, v9, s[0:3], 0 offen offset:12
	buffer_load_dword v4, v0, s[0:3], 0 offen
	buffer_load_dword v5, v0, s[0:3], 0 offen offset:4
	buffer_load_dword v6, v0, s[0:3], 0 offen offset:8
	buffer_load_dword v7, v0, s[0:3], 0 offen offset:12
	buffer_load_dword v8, v9, s[0:3], 0 offen
	s_waitcnt vmcnt(4)
	buffer_store_dword v4, v9, s[0:3], 0 offen
	s_waitcnt vmcnt(4)
	buffer_store_dword v5, v9, s[0:3], 0 offen offset:4
	s_waitcnt vmcnt(4)
	buffer_store_dword v6, v9, s[0:3], 0 offen offset:8
	s_waitcnt vmcnt(4)
	buffer_store_dword v7, v9, s[0:3], 0 offen offset:12
	buffer_store_dword v3, v0, s[0:3], 0 offen offset:12
	buffer_store_dword v2, v0, s[0:3], 0 offen offset:8
	buffer_store_dword v1, v0, s[0:3], 0 offen offset:4
	s_waitcnt vmcnt(7)
	buffer_store_dword v8, v0, s[0:3], 0 offen
.LBB50_404:
	s_or_b64 exec, exec, s[4:5]
	v_pk_mov_b32 v[0:1], s[10:11], s[10:11] op_sel:[0,1]
	flat_load_dword v0, v[0:1] offset:28
	s_waitcnt vmcnt(0) lgkmcnt(0)
	v_add_u32_e32 v0, -1, v0
	v_cmp_ne_u32_e32 vcc, 7, v0
	s_and_saveexec_b64 s[4:5], vcc
	s_cbranch_execz .LBB50_406
; %bb.405:
	v_mov_b32_e32 v1, 16
	v_accvgpr_read_b32 v9, a145
	v_lshl_add_u32 v0, v0, 4, v1
	buffer_load_dword v1, v9, s[0:3], 0 offen offset:4
	buffer_load_dword v2, v9, s[0:3], 0 offen offset:8
	buffer_load_dword v3, v9, s[0:3], 0 offen offset:12
	buffer_load_dword v4, v0, s[0:3], 0 offen
	buffer_load_dword v5, v0, s[0:3], 0 offen offset:4
	buffer_load_dword v6, v0, s[0:3], 0 offen offset:8
	buffer_load_dword v7, v0, s[0:3], 0 offen offset:12
	buffer_load_dword v8, v9, s[0:3], 0 offen
	s_waitcnt vmcnt(4)
	buffer_store_dword v4, v9, s[0:3], 0 offen
	s_waitcnt vmcnt(4)
	buffer_store_dword v5, v9, s[0:3], 0 offen offset:4
	s_waitcnt vmcnt(4)
	buffer_store_dword v6, v9, s[0:3], 0 offen offset:8
	s_waitcnt vmcnt(4)
	buffer_store_dword v7, v9, s[0:3], 0 offen offset:12
	buffer_store_dword v3, v0, s[0:3], 0 offen offset:12
	buffer_store_dword v2, v0, s[0:3], 0 offen offset:8
	buffer_store_dword v1, v0, s[0:3], 0 offen offset:4
	s_waitcnt vmcnt(7)
	buffer_store_dword v8, v0, s[0:3], 0 offen
.LBB50_406:
	s_or_b64 exec, exec, s[4:5]
	v_pk_mov_b32 v[0:1], s[10:11], s[10:11] op_sel:[0,1]
	flat_load_dword v0, v[0:1] offset:24
	s_waitcnt vmcnt(0) lgkmcnt(0)
	v_add_u32_e32 v0, -1, v0
	v_cmp_ne_u32_e32 vcc, 6, v0
	s_and_saveexec_b64 s[4:5], vcc
	s_cbranch_execz .LBB50_408
; %bb.407:
	v_mov_b32_e32 v1, 16
	v_accvgpr_read_b32 v9, a146
	v_lshl_add_u32 v0, v0, 4, v1
	buffer_load_dword v1, v9, s[0:3], 0 offen offset:4
	buffer_load_dword v2, v9, s[0:3], 0 offen offset:8
	buffer_load_dword v3, v9, s[0:3], 0 offen offset:12
	buffer_load_dword v4, v0, s[0:3], 0 offen
	buffer_load_dword v5, v0, s[0:3], 0 offen offset:4
	buffer_load_dword v6, v0, s[0:3], 0 offen offset:8
	buffer_load_dword v7, v0, s[0:3], 0 offen offset:12
	buffer_load_dword v8, v9, s[0:3], 0 offen
	s_waitcnt vmcnt(4)
	buffer_store_dword v4, v9, s[0:3], 0 offen
	s_waitcnt vmcnt(4)
	buffer_store_dword v5, v9, s[0:3], 0 offen offset:4
	s_waitcnt vmcnt(4)
	buffer_store_dword v6, v9, s[0:3], 0 offen offset:8
	s_waitcnt vmcnt(4)
	buffer_store_dword v7, v9, s[0:3], 0 offen offset:12
	buffer_store_dword v3, v0, s[0:3], 0 offen offset:12
	buffer_store_dword v2, v0, s[0:3], 0 offen offset:8
	buffer_store_dword v1, v0, s[0:3], 0 offen offset:4
	s_waitcnt vmcnt(7)
	buffer_store_dword v8, v0, s[0:3], 0 offen
.LBB50_408:
	s_or_b64 exec, exec, s[4:5]
	v_pk_mov_b32 v[0:1], s[10:11], s[10:11] op_sel:[0,1]
	flat_load_dword v0, v[0:1] offset:20
	s_waitcnt vmcnt(0) lgkmcnt(0)
	v_add_u32_e32 v0, -1, v0
	v_cmp_ne_u32_e32 vcc, 5, v0
	s_and_saveexec_b64 s[4:5], vcc
	s_cbranch_execz .LBB50_410
; %bb.409:
	v_mov_b32_e32 v1, 16
	v_accvgpr_read_b32 v9, a147
	v_lshl_add_u32 v0, v0, 4, v1
	buffer_load_dword v1, v9, s[0:3], 0 offen offset:4
	buffer_load_dword v2, v9, s[0:3], 0 offen offset:8
	buffer_load_dword v3, v9, s[0:3], 0 offen offset:12
	buffer_load_dword v4, v0, s[0:3], 0 offen
	buffer_load_dword v5, v0, s[0:3], 0 offen offset:4
	buffer_load_dword v6, v0, s[0:3], 0 offen offset:8
	buffer_load_dword v7, v0, s[0:3], 0 offen offset:12
	buffer_load_dword v8, v9, s[0:3], 0 offen
	s_waitcnt vmcnt(4)
	buffer_store_dword v4, v9, s[0:3], 0 offen
	s_waitcnt vmcnt(4)
	buffer_store_dword v5, v9, s[0:3], 0 offen offset:4
	s_waitcnt vmcnt(4)
	buffer_store_dword v6, v9, s[0:3], 0 offen offset:8
	s_waitcnt vmcnt(4)
	buffer_store_dword v7, v9, s[0:3], 0 offen offset:12
	buffer_store_dword v3, v0, s[0:3], 0 offen offset:12
	buffer_store_dword v2, v0, s[0:3], 0 offen offset:8
	buffer_store_dword v1, v0, s[0:3], 0 offen offset:4
	s_waitcnt vmcnt(7)
	buffer_store_dword v8, v0, s[0:3], 0 offen
.LBB50_410:
	s_or_b64 exec, exec, s[4:5]
	v_pk_mov_b32 v[0:1], s[10:11], s[10:11] op_sel:[0,1]
	flat_load_dword v0, v[0:1] offset:16
	s_waitcnt vmcnt(0) lgkmcnt(0)
	v_add_u32_e32 v0, -1, v0
	v_cmp_ne_u32_e32 vcc, 4, v0
	s_and_saveexec_b64 s[4:5], vcc
	s_cbranch_execz .LBB50_412
; %bb.411:
	v_mov_b32_e32 v1, 16
	v_accvgpr_read_b32 v9, a148
	v_lshl_add_u32 v0, v0, 4, v1
	buffer_load_dword v1, v9, s[0:3], 0 offen offset:4
	buffer_load_dword v2, v9, s[0:3], 0 offen offset:8
	buffer_load_dword v3, v9, s[0:3], 0 offen offset:12
	buffer_load_dword v4, v0, s[0:3], 0 offen
	buffer_load_dword v5, v0, s[0:3], 0 offen offset:4
	buffer_load_dword v6, v0, s[0:3], 0 offen offset:8
	buffer_load_dword v7, v0, s[0:3], 0 offen offset:12
	buffer_load_dword v8, v9, s[0:3], 0 offen
	s_waitcnt vmcnt(4)
	buffer_store_dword v4, v9, s[0:3], 0 offen
	s_waitcnt vmcnt(4)
	buffer_store_dword v5, v9, s[0:3], 0 offen offset:4
	s_waitcnt vmcnt(4)
	buffer_store_dword v6, v9, s[0:3], 0 offen offset:8
	s_waitcnt vmcnt(4)
	buffer_store_dword v7, v9, s[0:3], 0 offen offset:12
	buffer_store_dword v3, v0, s[0:3], 0 offen offset:12
	buffer_store_dword v2, v0, s[0:3], 0 offen offset:8
	buffer_store_dword v1, v0, s[0:3], 0 offen offset:4
	s_waitcnt vmcnt(7)
	buffer_store_dword v8, v0, s[0:3], 0 offen
.LBB50_412:
	s_or_b64 exec, exec, s[4:5]
	v_pk_mov_b32 v[0:1], s[10:11], s[10:11] op_sel:[0,1]
	flat_load_dword v0, v[0:1] offset:12
	s_waitcnt vmcnt(0) lgkmcnt(0)
	v_add_u32_e32 v0, -1, v0
	v_cmp_ne_u32_e32 vcc, 3, v0
	s_and_saveexec_b64 s[4:5], vcc
	s_cbranch_execz .LBB50_414
; %bb.413:
	v_mov_b32_e32 v1, 16
	v_accvgpr_read_b32 v9, a149
	v_lshl_add_u32 v0, v0, 4, v1
	buffer_load_dword v1, v9, s[0:3], 0 offen offset:4
	buffer_load_dword v2, v9, s[0:3], 0 offen offset:8
	buffer_load_dword v3, v9, s[0:3], 0 offen offset:12
	buffer_load_dword v4, v0, s[0:3], 0 offen
	buffer_load_dword v5, v0, s[0:3], 0 offen offset:4
	buffer_load_dword v6, v0, s[0:3], 0 offen offset:8
	buffer_load_dword v7, v0, s[0:3], 0 offen offset:12
	buffer_load_dword v8, v9, s[0:3], 0 offen
	s_waitcnt vmcnt(4)
	buffer_store_dword v4, v9, s[0:3], 0 offen
	s_waitcnt vmcnt(4)
	buffer_store_dword v5, v9, s[0:3], 0 offen offset:4
	s_waitcnt vmcnt(4)
	buffer_store_dword v6, v9, s[0:3], 0 offen offset:8
	s_waitcnt vmcnt(4)
	buffer_store_dword v7, v9, s[0:3], 0 offen offset:12
	buffer_store_dword v3, v0, s[0:3], 0 offen offset:12
	buffer_store_dword v2, v0, s[0:3], 0 offen offset:8
	buffer_store_dword v1, v0, s[0:3], 0 offen offset:4
	s_waitcnt vmcnt(7)
	buffer_store_dword v8, v0, s[0:3], 0 offen
.LBB50_414:
	s_or_b64 exec, exec, s[4:5]
	v_pk_mov_b32 v[0:1], s[10:11], s[10:11] op_sel:[0,1]
	flat_load_dword v0, v[0:1] offset:8
	s_waitcnt vmcnt(0) lgkmcnt(0)
	v_add_u32_e32 v0, -1, v0
	v_cmp_ne_u32_e32 vcc, 2, v0
	s_and_saveexec_b64 s[4:5], vcc
	s_cbranch_execz .LBB50_416
; %bb.415:
	v_mov_b32_e32 v1, 16
	v_accvgpr_read_b32 v9, a150
	v_lshl_add_u32 v0, v0, 4, v1
	buffer_load_dword v1, v9, s[0:3], 0 offen offset:4
	buffer_load_dword v2, v9, s[0:3], 0 offen offset:8
	buffer_load_dword v3, v9, s[0:3], 0 offen offset:12
	buffer_load_dword v4, v0, s[0:3], 0 offen
	buffer_load_dword v5, v0, s[0:3], 0 offen offset:4
	buffer_load_dword v6, v0, s[0:3], 0 offen offset:8
	buffer_load_dword v7, v0, s[0:3], 0 offen offset:12
	buffer_load_dword v8, v9, s[0:3], 0 offen
	s_waitcnt vmcnt(4)
	buffer_store_dword v4, v9, s[0:3], 0 offen
	s_waitcnt vmcnt(4)
	buffer_store_dword v5, v9, s[0:3], 0 offen offset:4
	s_waitcnt vmcnt(4)
	buffer_store_dword v6, v9, s[0:3], 0 offen offset:8
	s_waitcnt vmcnt(4)
	buffer_store_dword v7, v9, s[0:3], 0 offen offset:12
	buffer_store_dword v3, v0, s[0:3], 0 offen offset:12
	buffer_store_dword v2, v0, s[0:3], 0 offen offset:8
	buffer_store_dword v1, v0, s[0:3], 0 offen offset:4
	s_waitcnt vmcnt(7)
	buffer_store_dword v8, v0, s[0:3], 0 offen
.LBB50_416:
	s_or_b64 exec, exec, s[4:5]
	v_pk_mov_b32 v[0:1], s[10:11], s[10:11] op_sel:[0,1]
	flat_load_dword v0, v[0:1] offset:4
	s_waitcnt vmcnt(0) lgkmcnt(0)
	v_add_u32_e32 v0, -1, v0
	v_cmp_ne_u32_e32 vcc, 1, v0
	s_and_saveexec_b64 s[4:5], vcc
	s_cbranch_execz .LBB50_418
; %bb.417:
	v_mov_b32_e32 v1, 16
	v_accvgpr_read_b32 v9, a151
	v_lshl_add_u32 v0, v0, 4, v1
	buffer_load_dword v1, v9, s[0:3], 0 offen offset:4
	buffer_load_dword v2, v9, s[0:3], 0 offen offset:8
	buffer_load_dword v3, v9, s[0:3], 0 offen offset:12
	buffer_load_dword v4, v0, s[0:3], 0 offen
	buffer_load_dword v5, v0, s[0:3], 0 offen offset:4
	buffer_load_dword v6, v0, s[0:3], 0 offen offset:8
	buffer_load_dword v7, v0, s[0:3], 0 offen offset:12
	buffer_load_dword v8, v9, s[0:3], 0 offen
	s_waitcnt vmcnt(4)
	buffer_store_dword v4, v9, s[0:3], 0 offen
	s_waitcnt vmcnt(4)
	buffer_store_dword v5, v9, s[0:3], 0 offen offset:4
	s_waitcnt vmcnt(4)
	buffer_store_dword v6, v9, s[0:3], 0 offen offset:8
	s_waitcnt vmcnt(4)
	buffer_store_dword v7, v9, s[0:3], 0 offen offset:12
	buffer_store_dword v3, v0, s[0:3], 0 offen offset:12
	buffer_store_dword v2, v0, s[0:3], 0 offen offset:8
	buffer_store_dword v1, v0, s[0:3], 0 offen offset:4
	s_waitcnt vmcnt(7)
	buffer_store_dword v8, v0, s[0:3], 0 offen
.LBB50_418:
	s_or_b64 exec, exec, s[4:5]
	v_pk_mov_b32 v[0:1], s[10:11], s[10:11] op_sel:[0,1]
	flat_load_dword v0, v[0:1]
	s_waitcnt vmcnt(0) lgkmcnt(0)
	v_add_u32_e32 v0, -1, v0
	v_cmp_ne_u32_e32 vcc, 0, v0
	s_and_saveexec_b64 s[4:5], vcc
	s_cbranch_execz .LBB50_420
; %bb.419:
	v_mov_b32_e32 v1, 16
	v_lshl_add_u32 v0, v0, 4, v1
	buffer_load_dword v1, v0, s[0:3], 0 offen
	buffer_load_dword v2, v0, s[0:3], 0 offen offset:4
	buffer_load_dword v3, v0, s[0:3], 0 offen offset:8
	;; [unrolled: 1-line block ×3, first 2 shown]
	buffer_load_dword v5, off, s[0:3], 0 offset:28
	buffer_load_dword v6, off, s[0:3], 0 offset:24
	buffer_load_dword v7, off, s[0:3], 0 offset:20
	buffer_load_dword v8, off, s[0:3], 0 offset:16
	s_waitcnt vmcnt(7)
	buffer_store_dword v1, off, s[0:3], 0 offset:16
	s_waitcnt vmcnt(7)
	buffer_store_dword v2, off, s[0:3], 0 offset:20
	;; [unrolled: 2-line block ×4, first 2 shown]
	s_waitcnt vmcnt(7)
	buffer_store_dword v5, v0, s[0:3], 0 offen offset:12
	s_waitcnt vmcnt(7)
	buffer_store_dword v6, v0, s[0:3], 0 offen offset:8
	;; [unrolled: 2-line block ×3, first 2 shown]
	s_waitcnt vmcnt(7)
	buffer_store_dword v8, v0, s[0:3], 0 offen
.LBB50_420:
	s_or_b64 exec, exec, s[4:5]
.LBB50_421:
	buffer_load_dword v0, off, s[0:3], 0 offset:16
	buffer_load_dword v1, off, s[0:3], 0 offset:20
	;; [unrolled: 1-line block ×4, first 2 shown]
	v_accvgpr_read_b32 v5, a1
	v_accvgpr_read_b32 v4, a0
	s_waitcnt vmcnt(0)
	global_store_dwordx4 v[4:5], v[0:3], off
	s_nop 0
	v_accvgpr_read_b32 v3, a151
	buffer_load_dword v0, v3, s[0:3], 0 offen
	buffer_load_dword v1, v3, s[0:3], 0 offen offset:4
	buffer_load_dword v2, v3, s[0:3], 0 offen offset:8
	s_nop 0
	buffer_load_dword v3, v3, s[0:3], 0 offen offset:12
	v_accvgpr_read_b32 v5, a3
	v_accvgpr_read_b32 v4, a2
	s_waitcnt vmcnt(0)
	global_store_dwordx4 v[4:5], v[0:3], off
	s_nop 0
	v_accvgpr_read_b32 v3, a150
	buffer_load_dword v0, v3, s[0:3], 0 offen
	buffer_load_dword v1, v3, s[0:3], 0 offen offset:4
	buffer_load_dword v2, v3, s[0:3], 0 offen offset:8
	s_nop 0
	buffer_load_dword v3, v3, s[0:3], 0 offen offset:12
	;; [unrolled: 11-line block ×9, first 2 shown]
	v_accvgpr_read_b32 v4, a18
	v_accvgpr_read_b32 v5, a19
	s_waitcnt vmcnt(0)
	global_store_dwordx4 v[4:5], v[0:3], off
	v_accvgpr_read_b32 v4, a142
	buffer_load_dword v0, v4, s[0:3], 0 offen
	buffer_load_dword v1, v4, s[0:3], 0 offen offset:4
	buffer_load_dword v2, v4, s[0:3], 0 offen offset:8
	buffer_load_dword v3, v4, s[0:3], 0 offen offset:12
	v_accvgpr_read_b32 v4, a20
	v_accvgpr_read_b32 v5, a21
	s_waitcnt vmcnt(0)
	global_store_dwordx4 v[4:5], v[0:3], off
	v_accvgpr_read_b32 v4, a141
	buffer_load_dword v0, v4, s[0:3], 0 offen
	buffer_load_dword v1, v4, s[0:3], 0 offen offset:4
	buffer_load_dword v2, v4, s[0:3], 0 offen offset:8
	buffer_load_dword v3, v4, s[0:3], 0 offen offset:12
	v_accvgpr_read_b32 v4, a22
	v_accvgpr_read_b32 v5, a23
	s_waitcnt vmcnt(0)
	global_store_dwordx4 v[4:5], v[0:3], off
	v_accvgpr_read_b32 v4, a140
	buffer_load_dword v0, v4, s[0:3], 0 offen
	buffer_load_dword v1, v4, s[0:3], 0 offen offset:4
	buffer_load_dword v2, v4, s[0:3], 0 offen offset:8
	buffer_load_dword v3, v4, s[0:3], 0 offen offset:12
	v_accvgpr_read_b32 v4, a24
	v_accvgpr_read_b32 v5, a25
	s_waitcnt vmcnt(0)
	global_store_dwordx4 v[4:5], v[0:3], off
	v_accvgpr_read_b32 v4, a139
	buffer_load_dword v0, v4, s[0:3], 0 offen
	buffer_load_dword v1, v4, s[0:3], 0 offen offset:4
	buffer_load_dword v2, v4, s[0:3], 0 offen offset:8
	buffer_load_dword v3, v4, s[0:3], 0 offen offset:12
	v_accvgpr_read_b32 v4, a26
	v_accvgpr_read_b32 v5, a27
	s_waitcnt vmcnt(0)
	global_store_dwordx4 v[4:5], v[0:3], off
	v_accvgpr_read_b32 v4, a138
	buffer_load_dword v0, v4, s[0:3], 0 offen
	buffer_load_dword v1, v4, s[0:3], 0 offen offset:4
	buffer_load_dword v2, v4, s[0:3], 0 offen offset:8
	buffer_load_dword v3, v4, s[0:3], 0 offen offset:12
	v_accvgpr_read_b32 v4, a28
	v_accvgpr_read_b32 v5, a29
	s_waitcnt vmcnt(0)
	global_store_dwordx4 v[4:5], v[0:3], off
	v_accvgpr_read_b32 v4, a137
	buffer_load_dword v0, v4, s[0:3], 0 offen
	buffer_load_dword v1, v4, s[0:3], 0 offen offset:4
	buffer_load_dword v2, v4, s[0:3], 0 offen offset:8
	buffer_load_dword v3, v4, s[0:3], 0 offen offset:12
	v_accvgpr_read_b32 v4, a30
	v_accvgpr_read_b32 v5, a31
	s_waitcnt vmcnt(0)
	global_store_dwordx4 v[4:5], v[0:3], off
	v_accvgpr_read_b32 v4, a136
	buffer_load_dword v0, v4, s[0:3], 0 offen
	buffer_load_dword v1, v4, s[0:3], 0 offen offset:4
	buffer_load_dword v2, v4, s[0:3], 0 offen offset:8
	buffer_load_dword v3, v4, s[0:3], 0 offen offset:12
	v_accvgpr_read_b32 v4, a32
	v_accvgpr_read_b32 v5, a33
	s_waitcnt vmcnt(0)
	global_store_dwordx4 v[4:5], v[0:3], off
	v_accvgpr_read_b32 v4, a135
	buffer_load_dword v0, v4, s[0:3], 0 offen
	buffer_load_dword v1, v4, s[0:3], 0 offen offset:4
	buffer_load_dword v2, v4, s[0:3], 0 offen offset:8
	buffer_load_dword v3, v4, s[0:3], 0 offen offset:12
	v_accvgpr_read_b32 v4, a34
	v_accvgpr_read_b32 v5, a35
	s_waitcnt vmcnt(0)
	global_store_dwordx4 v[4:5], v[0:3], off
	v_accvgpr_read_b32 v4, a134
	buffer_load_dword v0, v4, s[0:3], 0 offen
	buffer_load_dword v1, v4, s[0:3], 0 offen offset:4
	buffer_load_dword v2, v4, s[0:3], 0 offen offset:8
	buffer_load_dword v3, v4, s[0:3], 0 offen offset:12
	v_accvgpr_read_b32 v4, a36
	v_accvgpr_read_b32 v5, a37
	s_waitcnt vmcnt(0)
	global_store_dwordx4 v[4:5], v[0:3], off
	v_accvgpr_read_b32 v4, a133
	buffer_load_dword v0, v4, s[0:3], 0 offen
	buffer_load_dword v1, v4, s[0:3], 0 offen offset:4
	buffer_load_dword v2, v4, s[0:3], 0 offen offset:8
	buffer_load_dword v3, v4, s[0:3], 0 offen offset:12
	v_accvgpr_read_b32 v4, a38
	v_accvgpr_read_b32 v5, a39
	s_waitcnt vmcnt(0)
	global_store_dwordx4 v[4:5], v[0:3], off
	v_accvgpr_read_b32 v4, a132
	buffer_load_dword v0, v4, s[0:3], 0 offen
	buffer_load_dword v1, v4, s[0:3], 0 offen offset:4
	buffer_load_dword v2, v4, s[0:3], 0 offen offset:8
	buffer_load_dword v3, v4, s[0:3], 0 offen offset:12
	v_accvgpr_read_b32 v4, a40
	v_accvgpr_read_b32 v5, a41
	s_waitcnt vmcnt(0)
	global_store_dwordx4 v[4:5], v[0:3], off
	v_accvgpr_read_b32 v4, a131
	buffer_load_dword v0, v4, s[0:3], 0 offen
	buffer_load_dword v1, v4, s[0:3], 0 offen offset:4
	buffer_load_dword v2, v4, s[0:3], 0 offen offset:8
	buffer_load_dword v3, v4, s[0:3], 0 offen offset:12
	v_accvgpr_read_b32 v4, a42
	v_accvgpr_read_b32 v5, a43
	s_waitcnt vmcnt(0)
	global_store_dwordx4 v[4:5], v[0:3], off
	v_accvgpr_read_b32 v4, a130
	buffer_load_dword v0, v4, s[0:3], 0 offen
	buffer_load_dword v1, v4, s[0:3], 0 offen offset:4
	buffer_load_dword v2, v4, s[0:3], 0 offen offset:8
	buffer_load_dword v3, v4, s[0:3], 0 offen offset:12
	v_accvgpr_read_b32 v4, a44
	v_accvgpr_read_b32 v5, a45
	s_waitcnt vmcnt(0)
	global_store_dwordx4 v[4:5], v[0:3], off
	v_accvgpr_read_b32 v4, a129
	buffer_load_dword v0, v4, s[0:3], 0 offen
	buffer_load_dword v1, v4, s[0:3], 0 offen offset:4
	buffer_load_dword v2, v4, s[0:3], 0 offen offset:8
	buffer_load_dword v3, v4, s[0:3], 0 offen offset:12
	v_accvgpr_read_b32 v4, a46
	v_accvgpr_read_b32 v5, a47
	s_waitcnt vmcnt(0)
	global_store_dwordx4 v[4:5], v[0:3], off
	v_accvgpr_read_b32 v4, a128
	buffer_load_dword v0, v4, s[0:3], 0 offen
	buffer_load_dword v1, v4, s[0:3], 0 offen offset:4
	buffer_load_dword v2, v4, s[0:3], 0 offen offset:8
	buffer_load_dword v3, v4, s[0:3], 0 offen offset:12
	v_accvgpr_read_b32 v4, a48
	v_accvgpr_read_b32 v5, a49
	s_waitcnt vmcnt(0)
	global_store_dwordx4 v[4:5], v[0:3], off
	v_accvgpr_read_b32 v4, a127
	buffer_load_dword v0, v4, s[0:3], 0 offen
	buffer_load_dword v1, v4, s[0:3], 0 offen offset:4
	buffer_load_dword v2, v4, s[0:3], 0 offen offset:8
	buffer_load_dword v3, v4, s[0:3], 0 offen offset:12
	v_accvgpr_read_b32 v4, a50
	v_accvgpr_read_b32 v5, a51
	s_waitcnt vmcnt(0)
	global_store_dwordx4 v[4:5], v[0:3], off
	v_accvgpr_read_b32 v4, a126
	buffer_load_dword v0, v4, s[0:3], 0 offen
	buffer_load_dword v1, v4, s[0:3], 0 offen offset:4
	buffer_load_dword v2, v4, s[0:3], 0 offen offset:8
	buffer_load_dword v3, v4, s[0:3], 0 offen offset:12
	v_accvgpr_read_b32 v4, a52
	v_accvgpr_read_b32 v5, a53
	s_waitcnt vmcnt(0)
	global_store_dwordx4 v[4:5], v[0:3], off
	v_accvgpr_read_b32 v4, a125
	buffer_load_dword v0, v4, s[0:3], 0 offen
	buffer_load_dword v1, v4, s[0:3], 0 offen offset:4
	buffer_load_dword v2, v4, s[0:3], 0 offen offset:8
	buffer_load_dword v3, v4, s[0:3], 0 offen offset:12
	v_accvgpr_read_b32 v4, a54
	v_accvgpr_read_b32 v5, a55
	s_waitcnt vmcnt(0)
	global_store_dwordx4 v[4:5], v[0:3], off
	v_accvgpr_read_b32 v4, a124
	buffer_load_dword v0, v4, s[0:3], 0 offen
	buffer_load_dword v1, v4, s[0:3], 0 offen offset:4
	buffer_load_dword v2, v4, s[0:3], 0 offen offset:8
	buffer_load_dword v3, v4, s[0:3], 0 offen offset:12
	v_accvgpr_read_b32 v4, a56
	v_accvgpr_read_b32 v5, a57
	s_waitcnt vmcnt(0)
	global_store_dwordx4 v[4:5], v[0:3], off
	v_accvgpr_read_b32 v4, a123
	buffer_load_dword v0, v4, s[0:3], 0 offen
	buffer_load_dword v1, v4, s[0:3], 0 offen offset:4
	buffer_load_dword v2, v4, s[0:3], 0 offen offset:8
	buffer_load_dword v3, v4, s[0:3], 0 offen offset:12
	v_accvgpr_read_b32 v4, a58
	v_accvgpr_read_b32 v5, a59
	s_waitcnt vmcnt(0)
	global_store_dwordx4 v[4:5], v[0:3], off
	v_accvgpr_read_b32 v4, a122
	buffer_load_dword v0, v4, s[0:3], 0 offen
	buffer_load_dword v1, v4, s[0:3], 0 offen offset:4
	buffer_load_dword v2, v4, s[0:3], 0 offen offset:8
	buffer_load_dword v3, v4, s[0:3], 0 offen offset:12
	v_accvgpr_read_b32 v4, a60
	v_accvgpr_read_b32 v5, a61
	s_waitcnt vmcnt(0)
	global_store_dwordx4 v[4:5], v[0:3], off
	v_accvgpr_read_b32 v4, a121
	buffer_load_dword v0, v4, s[0:3], 0 offen
	buffer_load_dword v1, v4, s[0:3], 0 offen offset:4
	buffer_load_dword v2, v4, s[0:3], 0 offen offset:8
	buffer_load_dword v3, v4, s[0:3], 0 offen offset:12
	v_accvgpr_read_b32 v4, a64
	v_accvgpr_read_b32 v5, a65
	s_waitcnt vmcnt(0)
	global_store_dwordx4 v[4:5], v[0:3], off
	v_accvgpr_read_b32 v4, a120
	buffer_load_dword v0, v4, s[0:3], 0 offen
	buffer_load_dword v1, v4, s[0:3], 0 offen offset:4
	buffer_load_dword v2, v4, s[0:3], 0 offen offset:8
	buffer_load_dword v3, v4, s[0:3], 0 offen offset:12
	v_accvgpr_read_b32 v4, a66
	v_accvgpr_read_b32 v5, a67
	s_waitcnt vmcnt(0)
	global_store_dwordx4 v[4:5], v[0:3], off
	v_accvgpr_read_b32 v4, a119
	buffer_load_dword v0, v4, s[0:3], 0 offen
	buffer_load_dword v1, v4, s[0:3], 0 offen offset:4
	buffer_load_dword v2, v4, s[0:3], 0 offen offset:8
	buffer_load_dword v3, v4, s[0:3], 0 offen offset:12
	v_accvgpr_read_b32 v4, a68
	v_accvgpr_read_b32 v5, a69
	s_waitcnt vmcnt(0)
	global_store_dwordx4 v[4:5], v[0:3], off
	v_accvgpr_read_b32 v4, a118
	buffer_load_dword v0, v4, s[0:3], 0 offen
	buffer_load_dword v1, v4, s[0:3], 0 offen offset:4
	buffer_load_dword v2, v4, s[0:3], 0 offen offset:8
	buffer_load_dword v3, v4, s[0:3], 0 offen offset:12
	v_accvgpr_read_b32 v4, a70
	v_accvgpr_read_b32 v5, a71
	s_waitcnt vmcnt(0)
	global_store_dwordx4 v[4:5], v[0:3], off
	v_accvgpr_read_b32 v4, a117
	buffer_load_dword v0, v4, s[0:3], 0 offen
	buffer_load_dword v1, v4, s[0:3], 0 offen offset:4
	buffer_load_dword v2, v4, s[0:3], 0 offen offset:8
	buffer_load_dword v3, v4, s[0:3], 0 offen offset:12
	v_accvgpr_read_b32 v4, a72
	v_accvgpr_read_b32 v5, a73
	s_waitcnt vmcnt(0)
	global_store_dwordx4 v[4:5], v[0:3], off
	v_accvgpr_read_b32 v4, a116
	buffer_load_dword v0, v4, s[0:3], 0 offen
	buffer_load_dword v1, v4, s[0:3], 0 offen offset:4
	buffer_load_dword v2, v4, s[0:3], 0 offen offset:8
	buffer_load_dword v3, v4, s[0:3], 0 offen offset:12
	v_accvgpr_read_b32 v4, a74
	v_accvgpr_read_b32 v5, a75
	s_waitcnt vmcnt(0)
	global_store_dwordx4 v[4:5], v[0:3], off
	v_accvgpr_read_b32 v4, a115
	buffer_load_dword v0, v4, s[0:3], 0 offen
	buffer_load_dword v1, v4, s[0:3], 0 offen offset:4
	buffer_load_dword v2, v4, s[0:3], 0 offen offset:8
	buffer_load_dword v3, v4, s[0:3], 0 offen offset:12
	v_accvgpr_read_b32 v4, a76
	v_accvgpr_read_b32 v5, a77
	s_waitcnt vmcnt(0)
	global_store_dwordx4 v[4:5], v[0:3], off
	v_accvgpr_read_b32 v4, a114
	buffer_load_dword v0, v4, s[0:3], 0 offen
	buffer_load_dword v1, v4, s[0:3], 0 offen offset:4
	buffer_load_dword v2, v4, s[0:3], 0 offen offset:8
	buffer_load_dword v3, v4, s[0:3], 0 offen offset:12
	v_accvgpr_read_b32 v4, a78
	v_accvgpr_read_b32 v5, a79
	s_waitcnt vmcnt(0)
	global_store_dwordx4 v[4:5], v[0:3], off
	v_accvgpr_read_b32 v4, a113
	buffer_load_dword v0, v4, s[0:3], 0 offen
	buffer_load_dword v1, v4, s[0:3], 0 offen offset:4
	buffer_load_dword v2, v4, s[0:3], 0 offen offset:8
	buffer_load_dword v3, v4, s[0:3], 0 offen offset:12
	v_accvgpr_read_b32 v4, a80
	v_accvgpr_read_b32 v5, a81
	s_waitcnt vmcnt(0)
	global_store_dwordx4 v[4:5], v[0:3], off
	v_accvgpr_read_b32 v4, a112
	buffer_load_dword v0, v4, s[0:3], 0 offen
	buffer_load_dword v1, v4, s[0:3], 0 offen offset:4
	buffer_load_dword v2, v4, s[0:3], 0 offen offset:8
	buffer_load_dword v3, v4, s[0:3], 0 offen offset:12
	v_accvgpr_read_b32 v4, a82
	v_accvgpr_read_b32 v5, a83
	s_waitcnt vmcnt(0)
	global_store_dwordx4 v[4:5], v[0:3], off
	v_accvgpr_read_b32 v4, a111
	buffer_load_dword v0, v4, s[0:3], 0 offen
	buffer_load_dword v1, v4, s[0:3], 0 offen offset:4
	buffer_load_dword v2, v4, s[0:3], 0 offen offset:8
	buffer_load_dword v3, v4, s[0:3], 0 offen offset:12
	v_accvgpr_read_b32 v4, a84
	v_accvgpr_read_b32 v5, a85
	s_waitcnt vmcnt(0)
	global_store_dwordx4 v[4:5], v[0:3], off
	v_accvgpr_read_b32 v4, a110
	buffer_load_dword v0, v4, s[0:3], 0 offen
	buffer_load_dword v1, v4, s[0:3], 0 offen offset:4
	buffer_load_dword v2, v4, s[0:3], 0 offen offset:8
	buffer_load_dword v3, v4, s[0:3], 0 offen offset:12
	v_accvgpr_read_b32 v4, a86
	v_accvgpr_read_b32 v5, a87
	s_waitcnt vmcnt(0)
	global_store_dwordx4 v[4:5], v[0:3], off
	v_accvgpr_read_b32 v4, a109
	buffer_load_dword v0, v4, s[0:3], 0 offen
	buffer_load_dword v1, v4, s[0:3], 0 offen offset:4
	buffer_load_dword v2, v4, s[0:3], 0 offen offset:8
	buffer_load_dword v3, v4, s[0:3], 0 offen offset:12
	v_accvgpr_read_b32 v4, a88
	v_accvgpr_read_b32 v5, a89
	s_waitcnt vmcnt(0)
	global_store_dwordx4 v[4:5], v[0:3], off
	v_accvgpr_read_b32 v4, a108
	buffer_load_dword v0, v4, s[0:3], 0 offen
	buffer_load_dword v1, v4, s[0:3], 0 offen offset:4
	buffer_load_dword v2, v4, s[0:3], 0 offen offset:8
	buffer_load_dword v3, v4, s[0:3], 0 offen offset:12
	v_accvgpr_read_b32 v4, a90
	v_accvgpr_read_b32 v5, a91
	s_waitcnt vmcnt(0)
	global_store_dwordx4 v[4:5], v[0:3], off
	v_accvgpr_read_b32 v4, a107
	buffer_load_dword v0, v4, s[0:3], 0 offen
	buffer_load_dword v1, v4, s[0:3], 0 offen offset:4
	buffer_load_dword v2, v4, s[0:3], 0 offen offset:8
	buffer_load_dword v3, v4, s[0:3], 0 offen offset:12
	v_accvgpr_read_b32 v4, a92
	v_accvgpr_read_b32 v5, a93
	s_waitcnt vmcnt(0)
	global_store_dwordx4 v[4:5], v[0:3], off
	v_accvgpr_read_b32 v4, a106
	buffer_load_dword v0, v4, s[0:3], 0 offen
	buffer_load_dword v1, v4, s[0:3], 0 offen offset:4
	buffer_load_dword v2, v4, s[0:3], 0 offen offset:8
	buffer_load_dword v3, v4, s[0:3], 0 offen offset:12
	v_accvgpr_read_b32 v4, a94
	v_accvgpr_read_b32 v5, a95
	s_waitcnt vmcnt(0)
	global_store_dwordx4 v[4:5], v[0:3], off
	v_accvgpr_read_b32 v4, a105
	buffer_load_dword v0, v4, s[0:3], 0 offen
	buffer_load_dword v1, v4, s[0:3], 0 offen offset:4
	buffer_load_dword v2, v4, s[0:3], 0 offen offset:8
	buffer_load_dword v3, v4, s[0:3], 0 offen offset:12
	v_accvgpr_read_b32 v4, a96
	v_accvgpr_read_b32 v5, a97
	s_waitcnt vmcnt(0)
	global_store_dwordx4 v[4:5], v[0:3], off
	v_accvgpr_read_b32 v4, a104
	buffer_load_dword v0, v4, s[0:3], 0 offen
	buffer_load_dword v1, v4, s[0:3], 0 offen offset:4
	buffer_load_dword v2, v4, s[0:3], 0 offen offset:8
	buffer_load_dword v3, v4, s[0:3], 0 offen offset:12
	v_accvgpr_read_b32 v4, a98
	v_accvgpr_read_b32 v5, a99
	s_waitcnt vmcnt(0)
	global_store_dwordx4 v[4:5], v[0:3], off
	v_accvgpr_read_b32 v4, a103
	buffer_load_dword v0, v4, s[0:3], 0 offen
	buffer_load_dword v1, v4, s[0:3], 0 offen offset:4
	buffer_load_dword v2, v4, s[0:3], 0 offen offset:8
	buffer_load_dword v3, v4, s[0:3], 0 offen offset:12
	v_accvgpr_read_b32 v4, a100
	v_accvgpr_read_b32 v5, a101
	s_waitcnt vmcnt(0)
	global_store_dwordx4 v[4:5], v[0:3], off
	v_accvgpr_read_b32 v4, a102
	buffer_load_dword v0, v4, s[0:3], 0 offen
	buffer_load_dword v1, v4, s[0:3], 0 offen offset:4
	buffer_load_dword v2, v4, s[0:3], 0 offen offset:8
	buffer_load_dword v3, v4, s[0:3], 0 offen offset:12
	v_accvgpr_read_b32 v4, a62
	v_accvgpr_read_b32 v5, a63
	s_waitcnt vmcnt(0)
	global_store_dwordx4 v[4:5], v[0:3], off
	s_endpgm
	.section	.rodata,"a",@progbits
	.p2align	6, 0x0
	.amdhsa_kernel _ZN9rocsolver6v33100L18getri_kernel_smallILi51E19rocblas_complex_numIdEPS3_EEvT1_iilPiilS6_bb
		.amdhsa_group_segment_fixed_size 1640
		.amdhsa_private_segment_fixed_size 848
		.amdhsa_kernarg_size 60
		.amdhsa_user_sgpr_count 8
		.amdhsa_user_sgpr_private_segment_buffer 1
		.amdhsa_user_sgpr_dispatch_ptr 0
		.amdhsa_user_sgpr_queue_ptr 0
		.amdhsa_user_sgpr_kernarg_segment_ptr 1
		.amdhsa_user_sgpr_dispatch_id 0
		.amdhsa_user_sgpr_flat_scratch_init 1
		.amdhsa_user_sgpr_kernarg_preload_length 0
		.amdhsa_user_sgpr_kernarg_preload_offset 0
		.amdhsa_user_sgpr_private_segment_size 0
		.amdhsa_uses_dynamic_stack 0
		.amdhsa_system_sgpr_private_segment_wavefront_offset 1
		.amdhsa_system_sgpr_workgroup_id_x 1
		.amdhsa_system_sgpr_workgroup_id_y 0
		.amdhsa_system_sgpr_workgroup_id_z 0
		.amdhsa_system_sgpr_workgroup_info 0
		.amdhsa_system_vgpr_workitem_id 0
		.amdhsa_next_free_vgpr 432
		.amdhsa_next_free_sgpr 23
		.amdhsa_accum_offset 256
		.amdhsa_reserve_vcc 1
		.amdhsa_reserve_flat_scratch 1
		.amdhsa_float_round_mode_32 0
		.amdhsa_float_round_mode_16_64 0
		.amdhsa_float_denorm_mode_32 3
		.amdhsa_float_denorm_mode_16_64 3
		.amdhsa_dx10_clamp 1
		.amdhsa_ieee_mode 1
		.amdhsa_fp16_overflow 0
		.amdhsa_tg_split 0
		.amdhsa_exception_fp_ieee_invalid_op 0
		.amdhsa_exception_fp_denorm_src 0
		.amdhsa_exception_fp_ieee_div_zero 0
		.amdhsa_exception_fp_ieee_overflow 0
		.amdhsa_exception_fp_ieee_underflow 0
		.amdhsa_exception_fp_ieee_inexact 0
		.amdhsa_exception_int_div_zero 0
	.end_amdhsa_kernel
	.section	.text._ZN9rocsolver6v33100L18getri_kernel_smallILi51E19rocblas_complex_numIdEPS3_EEvT1_iilPiilS6_bb,"axG",@progbits,_ZN9rocsolver6v33100L18getri_kernel_smallILi51E19rocblas_complex_numIdEPS3_EEvT1_iilPiilS6_bb,comdat
.Lfunc_end50:
	.size	_ZN9rocsolver6v33100L18getri_kernel_smallILi51E19rocblas_complex_numIdEPS3_EEvT1_iilPiilS6_bb, .Lfunc_end50-_ZN9rocsolver6v33100L18getri_kernel_smallILi51E19rocblas_complex_numIdEPS3_EEvT1_iilPiilS6_bb
                                        ; -- End function
	.section	.AMDGPU.csdata,"",@progbits
; Kernel info:
; codeLenInByte = 164368
; NumSgprs: 29
; NumVgprs: 256
; NumAgprs: 176
; TotalNumVgprs: 432
; ScratchSize: 848
; MemoryBound: 0
; FloatMode: 240
; IeeeMode: 1
; LDSByteSize: 1640 bytes/workgroup (compile time only)
; SGPRBlocks: 3
; VGPRBlocks: 53
; NumSGPRsForWavesPerEU: 29
; NumVGPRsForWavesPerEU: 432
; AccumOffset: 256
; Occupancy: 1
; WaveLimiterHint : 1
; COMPUTE_PGM_RSRC2:SCRATCH_EN: 1
; COMPUTE_PGM_RSRC2:USER_SGPR: 8
; COMPUTE_PGM_RSRC2:TRAP_HANDLER: 0
; COMPUTE_PGM_RSRC2:TGID_X_EN: 1
; COMPUTE_PGM_RSRC2:TGID_Y_EN: 0
; COMPUTE_PGM_RSRC2:TGID_Z_EN: 0
; COMPUTE_PGM_RSRC2:TIDIG_COMP_CNT: 0
; COMPUTE_PGM_RSRC3_GFX90A:ACCUM_OFFSET: 63
; COMPUTE_PGM_RSRC3_GFX90A:TG_SPLIT: 0
	.section	.text._ZN9rocsolver6v33100L18getri_kernel_smallILi52E19rocblas_complex_numIdEPS3_EEvT1_iilPiilS6_bb,"axG",@progbits,_ZN9rocsolver6v33100L18getri_kernel_smallILi52E19rocblas_complex_numIdEPS3_EEvT1_iilPiilS6_bb,comdat
	.globl	_ZN9rocsolver6v33100L18getri_kernel_smallILi52E19rocblas_complex_numIdEPS3_EEvT1_iilPiilS6_bb ; -- Begin function _ZN9rocsolver6v33100L18getri_kernel_smallILi52E19rocblas_complex_numIdEPS3_EEvT1_iilPiilS6_bb
	.p2align	8
	.type	_ZN9rocsolver6v33100L18getri_kernel_smallILi52E19rocblas_complex_numIdEPS3_EEvT1_iilPiilS6_bb,@function
_ZN9rocsolver6v33100L18getri_kernel_smallILi52E19rocblas_complex_numIdEPS3_EEvT1_iilPiilS6_bb: ; @_ZN9rocsolver6v33100L18getri_kernel_smallILi52E19rocblas_complex_numIdEPS3_EEvT1_iilPiilS6_bb
; %bb.0:
	s_add_u32 flat_scratch_lo, s6, s9
	s_addc_u32 flat_scratch_hi, s7, 0
	s_add_u32 s0, s0, s9
	v_mov_b32_e32 v255, v0
	s_addc_u32 s1, s1, 0
	v_cmp_gt_u32_e32 vcc, 52, v255
	s_and_saveexec_b64 s[6:7], vcc
	s_cbranch_execz .LBB51_222
; %bb.1:
	s_load_dword s22, s[4:5], 0x38
	s_load_dwordx4 s[16:19], s[4:5], 0x10
	s_load_dwordx4 s[12:15], s[4:5], 0x28
                                        ; implicit-def: $sgpr10_sgpr11
	s_waitcnt lgkmcnt(0)
	s_bitcmp1_b32 s22, 8
	s_cselect_b64 s[20:21], -1, 0
	s_ashr_i32 s9, s8, 31
	s_bfe_u32 s6, s22, 0x10008
	s_cmp_eq_u32 s6, 0
	s_cbranch_scc1 .LBB51_3
; %bb.2:
	s_load_dword s6, s[4:5], 0x20
	s_mul_i32 s7, s8, s13
	s_mul_hi_u32 s10, s8, s12
	s_mul_i32 s11, s9, s12
	s_add_i32 s10, s10, s7
	s_add_i32 s11, s10, s11
	s_mul_i32 s10, s8, s12
	s_waitcnt lgkmcnt(0)
	s_ashr_i32 s7, s6, 31
	s_lshl_b64 s[10:11], s[10:11], 2
	s_add_u32 s10, s18, s10
	s_addc_u32 s11, s19, s11
	s_lshl_b64 s[6:7], s[6:7], 2
	s_add_u32 s10, s10, s6
	s_addc_u32 s11, s11, s7
.LBB51_3:
	s_load_dwordx4 s[4:7], s[4:5], 0x0
	s_mul_i32 s12, s8, s17
	s_mul_hi_u32 s13, s8, s16
	s_add_i32 s17, s13, s12
	v_lshlrev_b32_e32 v1, 4, v255
	s_waitcnt lgkmcnt(0)
	s_ashr_i32 s13, s6, 31
	s_mov_b32 s12, s6
	s_mul_i32 s6, s9, s16
	s_add_i32 s17, s17, s6
	s_mul_i32 s16, s8, s16
	s_lshl_b64 s[16:17], s[16:17], 4
	s_add_u32 s6, s4, s16
	s_addc_u32 s16, s5, s17
	s_lshl_b64 s[4:5], s[12:13], 4
	s_add_u32 s4, s6, s4
	s_addc_u32 s5, s16, s5
	s_add_i32 s6, s7, s7
	v_add_u32_e32 v4, s6, v255
	v_ashrrev_i32_e32 v5, 31, v4
	v_add_u32_e32 v2, s7, v4
	v_lshlrev_b64 v[4:5], 4, v[4:5]
	v_mov_b32_e32 v0, s5
	v_add_co_u32_e32 v4, vcc, s4, v4
	v_addc_co_u32_e32 v5, vcc, v0, v5, vcc
	global_load_dwordx4 v[72:75], v1, s[4:5]
	v_add_co_u32_e32 v42, vcc, s4, v1
	s_ashr_i32 s13, s7, 31
	s_mov_b32 s12, s7
	v_addc_co_u32_e32 v43, vcc, 0, v0, vcc
	s_lshl_b64 s[12:13], s[12:13], 4
	v_mov_b32_e32 v0, s13
	v_add_co_u32_e32 v40, vcc, s12, v42
	v_addc_co_u32_e32 v41, vcc, v43, v0, vcc
	global_load_dwordx4 v[76:79], v[40:41], off
	global_load_dwordx4 v[80:83], v[4:5], off
	v_ashrrev_i32_e32 v3, 31, v2
	v_add_u32_e32 v10, s7, v2
	v_accvgpr_write_b32 a61, v5
	v_lshlrev_b64 v[2:3], 4, v[2:3]
	v_accvgpr_write_b32 a60, v4
	v_mov_b32_e32 v0, s5
	v_add_co_u32_e32 v4, vcc, s4, v2
	v_addc_co_u32_e32 v5, vcc, v0, v3, vcc
	v_ashrrev_i32_e32 v11, 31, v10
	global_load_dwordx4 v[84:87], v[4:5], off
	v_lshlrev_b64 v[2:3], 4, v[10:11]
	v_add_co_u32_e32 v2, vcc, s4, v2
	v_add_u32_e32 v12, s7, v10
	v_addc_co_u32_e32 v3, vcc, v0, v3, vcc
	v_accvgpr_write_b32 a63, v3
	global_load_dwordx4 v[88:91], v[2:3], off
	v_ashrrev_i32_e32 v13, 31, v12
	v_accvgpr_write_b32 a75, v5
	v_accvgpr_write_b32 a62, v2
	v_lshlrev_b64 v[2:3], 4, v[12:13]
	v_accvgpr_write_b32 a74, v4
	v_add_co_u32_e32 v4, vcc, s4, v2
	v_add_u32_e32 v28, s7, v12
	v_addc_co_u32_e32 v5, vcc, v0, v3, vcc
	v_ashrrev_i32_e32 v29, 31, v28
	global_load_dwordx4 v[92:95], v[4:5], off
	v_lshlrev_b64 v[2:3], 4, v[28:29]
	v_add_co_u32_e32 v2, vcc, s4, v2
	v_add_u32_e32 v30, s7, v28
	v_addc_co_u32_e32 v3, vcc, v0, v3, vcc
	global_load_dwordx4 v[96:99], v[2:3], off
	v_accvgpr_write_b32 a53, v3
	v_ashrrev_i32_e32 v31, 31, v30
	v_accvgpr_write_b32 a65, v5
	v_accvgpr_write_b32 a52, v2
	v_lshlrev_b64 v[2:3], 4, v[30:31]
	v_accvgpr_write_b32 a64, v4
	v_add_co_u32_e32 v4, vcc, s4, v2
	v_add_u32_e32 v34, s7, v30
	v_addc_co_u32_e32 v5, vcc, v0, v3, vcc
	v_ashrrev_i32_e32 v35, 31, v34
	global_load_dwordx4 v[100:103], v[4:5], off
	v_lshlrev_b64 v[2:3], 4, v[34:35]
	v_add_co_u32_e32 v2, vcc, s4, v2
	v_add_u32_e32 v36, s7, v34
	v_addc_co_u32_e32 v3, vcc, v0, v3, vcc
	global_load_dwordx4 v[104:107], v[2:3], off
	v_accvgpr_write_b32 a41, v3
	v_ashrrev_i32_e32 v37, 31, v36
	v_accvgpr_write_b32 a55, v5
	v_accvgpr_write_b32 a40, v2
	v_lshlrev_b64 v[2:3], 4, v[36:37]
	v_add_u32_e32 v38, s7, v36
	v_accvgpr_write_b32 a54, v4
	v_add_co_u32_e32 v4, vcc, s4, v2
	v_add_u32_e32 v6, s7, v38
	v_addc_co_u32_e32 v5, vcc, v0, v3, vcc
	v_add_u32_e32 v8, s7, v6
	v_ashrrev_i32_e32 v39, 31, v38
	global_load_dwordx4 v[108:111], v[4:5], off
	v_add_u32_e32 v14, s7, v8
	v_lshlrev_b64 v[2:3], 4, v[38:39]
	v_add_u32_e32 v16, s7, v14
	v_add_co_u32_e32 v2, vcc, s4, v2
	v_add_u32_e32 v18, s7, v16
	v_addc_co_u32_e32 v3, vcc, v0, v3, vcc
	global_load_dwordx4 v[10:13], v[2:3], off
	v_add_u32_e32 v20, s7, v18
	v_add_u32_e32 v22, s7, v20
	;; [unrolled: 1-line block ×27, first 2 shown]
	v_accvgpr_write_b32 a93, v43
	v_add_u32_e32 v44, s7, v46
	v_accvgpr_write_b32 a92, v42
	v_accvgpr_write_b32 a89, v41
	v_add_u32_e32 v42, s7, v44
	v_accvgpr_write_b32 a88, v40
	v_add_u32_e32 v40, s7, v42
	v_add_u32_e32 v38, s7, v40
	;; [unrolled: 1-line block ×5, first 2 shown]
	v_accvgpr_write_b32 a35, v3
	v_add_u32_e32 v28, s7, v30
	v_accvgpr_write_b32 a34, v2
	v_add_u32_e32 v2, s7, v28
	v_ashrrev_i32_e32 v3, 31, v2
	v_lshlrev_b64 v[2:3], 4, v[2:3]
	v_add_co_u32_e32 v2, vcc, s4, v2
	v_ashrrev_i32_e32 v7, 31, v6
	v_accvgpr_write_b32 a43, v5
	v_addc_co_u32_e32 v3, vcc, v0, v3, vcc
	v_accvgpr_write_b32 a0, v2
	v_lshlrev_b64 v[6:7], 4, v[6:7]
	v_accvgpr_write_b32 a42, v4
	v_accvgpr_write_b32 a1, v3
	global_load_dwordx4 v[2:5], v[2:3], off
	s_waitcnt vmcnt(11)
	buffer_store_dword v75, off, s[0:3], 0 offset:28
	buffer_store_dword v74, off, s[0:3], 0 offset:24
	buffer_store_dword v73, off, s[0:3], 0 offset:20
	buffer_store_dword v72, off, s[0:3], 0 offset:16
	s_waitcnt vmcnt(14)
	buffer_store_dword v79, off, s[0:3], 0 offset:44
	buffer_store_dword v78, off, s[0:3], 0 offset:40
	buffer_store_dword v77, off, s[0:3], 0 offset:36
	buffer_store_dword v76, off, s[0:3], 0 offset:32
	;; [unrolled: 5-line block ×10, first 2 shown]
	s_waitcnt vmcnt(41)
	buffer_store_dword v10, off, s[0:3], 0 offset:176
	v_add_co_u32_e32 v72, vcc, s4, v6
	v_addc_co_u32_e32 v73, vcc, v0, v7, vcc
	v_accvgpr_write_b32 a103, v73
	v_ashrrev_i32_e32 v9, 31, v8
	v_accvgpr_write_b32 a102, v72
	global_load_dwordx4 v[72:75], v[72:73], off
	v_lshlrev_b64 v[6:7], 4, v[8:9]
	v_add_co_u32_e32 v6, vcc, s4, v6
	v_addc_co_u32_e32 v7, vcc, v0, v7, vcc
	global_load_dwordx4 v[76:79], v[6:7], off
	v_accvgpr_write_b32 a99, v7
	v_ashrrev_i32_e32 v15, 31, v14
	v_accvgpr_write_b32 a98, v6
	v_lshlrev_b64 v[6:7], 4, v[14:15]
	v_add_co_u32_e32 v8, vcc, s4, v6
	v_addc_co_u32_e32 v9, vcc, v0, v7, vcc
	v_ashrrev_i32_e32 v17, 31, v16
	v_lshlrev_b64 v[6:7], 4, v[16:17]
	global_load_dwordx4 v[14:17], v[8:9], off
	v_add_co_u32_e32 v6, vcc, s4, v6
	v_addc_co_u32_e32 v7, vcc, v0, v7, vcc
	global_load_dwordx4 v[80:83], v[6:7], off
	v_accvgpr_write_b32 a95, v7
	v_ashrrev_i32_e32 v19, 31, v18
	v_accvgpr_write_b32 a101, v9
	v_accvgpr_write_b32 a94, v6
	v_lshlrev_b64 v[6:7], 4, v[18:19]
	v_accvgpr_write_b32 a100, v8
	v_add_co_u32_e32 v8, vcc, s4, v6
	v_addc_co_u32_e32 v9, vcc, v0, v7, vcc
	v_ashrrev_i32_e32 v21, 31, v20
	v_lshlrev_b64 v[6:7], 4, v[20:21]
	global_load_dwordx4 v[18:21], v[8:9], off
	v_add_co_u32_e32 v6, vcc, s4, v6
	v_addc_co_u32_e32 v7, vcc, v0, v7, vcc
	global_load_dwordx4 v[84:87], v[6:7], off
	v_accvgpr_write_b32 a85, v7
	v_ashrrev_i32_e32 v23, 31, v22
	v_accvgpr_write_b32 a97, v9
	v_accvgpr_write_b32 a84, v6
	v_lshlrev_b64 v[6:7], 4, v[22:23]
	v_accvgpr_write_b32 a96, v8
	;; [unrolled: 14-line block ×3, first 2 shown]
	v_add_co_u32_e32 v8, vcc, s4, v6
	v_addc_co_u32_e32 v9, vcc, v0, v7, vcc
	v_ashrrev_i32_e32 v33, 31, v32
	global_load_dwordx4 v[92:95], v[8:9], off
	v_lshlrev_b64 v[6:7], 4, v[32:33]
	v_add_co_u32_e32 v6, vcc, s4, v6
	v_addc_co_u32_e32 v7, vcc, v0, v7, vcc
	global_load_dwordx4 v[96:99], v[6:7], off
	v_accvgpr_write_b32 a67, v7
	v_ashrrev_i32_e32 v113, 31, v112
	v_accvgpr_write_b32 a79, v9
	v_accvgpr_write_b32 a66, v6
	v_lshlrev_b64 v[6:7], 4, v[112:113]
	v_accvgpr_write_b32 a78, v8
	v_add_co_u32_e32 v8, vcc, s4, v6
	v_addc_co_u32_e32 v9, vcc, v0, v7, vcc
	v_ashrrev_i32_e32 v115, 31, v114
	global_load_dwordx4 v[100:103], v[8:9], off
	v_lshlrev_b64 v[6:7], 4, v[114:115]
	v_add_co_u32_e32 v6, vcc, s4, v6
	v_addc_co_u32_e32 v7, vcc, v0, v7, vcc
	global_load_dwordx4 v[104:107], v[6:7], off
	v_accvgpr_write_b32 a49, v7
	v_ashrrev_i32_e32 v117, 31, v116
	v_accvgpr_write_b32 a69, v9
	v_accvgpr_write_b32 a48, v6
	v_lshlrev_b64 v[6:7], 4, v[116:117]
	v_accvgpr_write_b32 a68, v8
	;; [unrolled: 14-line block ×4, first 2 shown]
	v_add_co_u32_e32 v8, vcc, s4, v6
	v_addc_co_u32_e32 v9, vcc, v0, v7, vcc
	v_ashrrev_i32_e32 v127, 31, v126
	v_lshlrev_b64 v[6:7], 4, v[126:127]
	global_load_dwordx4 v[124:127], v[8:9], off
	v_add_co_u32_e32 v6, vcc, s4, v6
	v_addc_co_u32_e32 v7, vcc, v0, v7, vcc
	global_load_dwordx4 v[128:131], v[6:7], off
	v_accvgpr_write_b32 a19, v7
	v_ashrrev_i32_e32 v133, 31, v132
	v_accvgpr_write_b32 a29, v9
	v_accvgpr_write_b32 a18, v6
	v_lshlrev_b64 v[6:7], 4, v[132:133]
	v_accvgpr_write_b32 a28, v8
	v_add_co_u32_e32 v8, vcc, s4, v6
	v_addc_co_u32_e32 v9, vcc, v0, v7, vcc
	v_ashrrev_i32_e32 v71, 31, v70
	v_lshlrev_b64 v[6:7], 4, v[70:71]
	global_load_dwordx4 v[132:135], v[8:9], off
	v_add_co_u32_e32 v6, vcc, s4, v6
	v_addc_co_u32_e32 v7, vcc, v0, v7, vcc
	v_accvgpr_write_b32 a21, v9
	v_accvgpr_write_b32 a13, v7
	;; [unrolled: 1-line block ×4, first 2 shown]
	global_load_dwordx4 v[6:9], v[6:7], off
	v_ashrrev_i32_e32 v69, 31, v68
	buffer_store_dword v11, off, s[0:3], 0 offset:180
	buffer_store_dword v12, off, s[0:3], 0 offset:184
	buffer_store_dword v13, off, s[0:3], 0 offset:188
	s_waitcnt vmcnt(22)
	buffer_store_dword v72, off, s[0:3], 0 offset:192
	buffer_store_dword v73, off, s[0:3], 0 offset:196
	buffer_store_dword v74, off, s[0:3], 0 offset:200
	buffer_store_dword v75, off, s[0:3], 0 offset:204
	s_waitcnt vmcnt(25)
	buffer_store_dword v79, off, s[0:3], 0 offset:220
	;; [unrolled: 5-line block ×15, first 2 shown]
	buffer_store_dword v118, off, s[0:3], 0 offset:424
	buffer_store_dword v117, off, s[0:3], 0 offset:420
	;; [unrolled: 1-line block ×11, first 2 shown]
	s_waitcnt vmcnt(62)
	buffer_store_dword v131, off, s[0:3], 0 offset:476
	buffer_store_dword v130, off, s[0:3], 0 offset:472
	;; [unrolled: 1-line block ×9, first 2 shown]
	v_lshlrev_b64 v[10:11], 4, v[68:69]
	v_add_co_u32_e32 v12, vcc, s4, v10
	v_ashrrev_i32_e32 v67, 31, v66
	v_addc_co_u32_e32 v13, vcc, v0, v11, vcc
	v_lshlrev_b64 v[10:11], 4, v[66:67]
	v_add_co_u32_e32 v14, vcc, s4, v10
	v_accvgpr_write_b32 a91, v13
	v_addc_co_u32_e32 v15, vcc, v0, v11, vcc
	v_accvgpr_write_b32 a90, v12
	global_load_dwordx4 v[10:13], v[12:13], off
	v_accvgpr_write_b32 a81, v15
	v_ashrrev_i32_e32 v65, 31, v64
	v_accvgpr_write_b32 a80, v14
	global_load_dwordx4 v[14:17], v[14:15], off
	v_lshlrev_b64 v[18:19], 4, v[64:65]
	v_add_co_u32_e32 v20, vcc, s4, v18
	v_ashrrev_i32_e32 v63, 31, v62
	v_addc_co_u32_e32 v21, vcc, v0, v19, vcc
	v_lshlrev_b64 v[18:19], 4, v[62:63]
	v_add_co_u32_e32 v22, vcc, s4, v18
	v_accvgpr_write_b32 a83, v21
	v_addc_co_u32_e32 v23, vcc, v0, v19, vcc
	v_accvgpr_write_b32 a82, v20
	global_load_dwordx4 v[18:21], v[20:21], off
	v_accvgpr_write_b32 a71, v23
	v_accvgpr_write_b32 a70, v22
	global_load_dwordx4 v[22:25], v[22:23], off
	v_ashrrev_i32_e32 v61, 31, v60
	v_lshlrev_b64 v[26:27], 4, v[60:61]
	v_add_co_u32_e32 v32, vcc, s4, v26
	v_addc_co_u32_e32 v33, vcc, v0, v27, vcc
	v_ashrrev_i32_e32 v59, 31, v58
	v_lshlrev_b64 v[26:27], 4, v[58:59]
	global_load_dwordx4 v[58:61], v[32:33], off
	v_add_co_u32_e32 v26, vcc, s4, v26
	v_addc_co_u32_e32 v27, vcc, v0, v27, vcc
	global_load_dwordx4 v[62:65], v[26:27], off
	v_accvgpr_write_b32 a57, v27
	v_ashrrev_i32_e32 v57, 31, v56
	v_accvgpr_write_b32 a73, v33
	v_accvgpr_write_b32 a56, v26
	v_lshlrev_b64 v[26:27], 4, v[56:57]
	v_accvgpr_write_b32 a72, v32
	v_add_co_u32_e32 v32, vcc, s4, v26
	v_addc_co_u32_e32 v33, vcc, v0, v27, vcc
	v_ashrrev_i32_e32 v55, 31, v54
	v_lshlrev_b64 v[26:27], 4, v[54:55]
	global_load_dwordx4 v[54:57], v[32:33], off
	v_add_co_u32_e32 v26, vcc, s4, v26
	v_addc_co_u32_e32 v27, vcc, v0, v27, vcc
	global_load_dwordx4 v[66:69], v[26:27], off
	v_accvgpr_write_b32 a45, v27
	v_ashrrev_i32_e32 v53, 31, v52
	v_accvgpr_write_b32 a59, v33
	v_accvgpr_write_b32 a44, v26
	v_lshlrev_b64 v[26:27], 4, v[52:53]
	v_accvgpr_write_b32 a58, v32
	;; [unrolled: 14-line block ×6, first 2 shown]
	v_add_co_u32_e32 v32, vcc, s4, v26
	v_addc_co_u32_e32 v33, vcc, v0, v27, vcc
	v_ashrrev_i32_e32 v35, 31, v34
	v_accvgpr_write_b32 a10, v32
	v_lshlrev_b64 v[26:27], 4, v[34:35]
	v_accvgpr_write_b32 a11, v33
	global_load_dwordx4 v[32:35], v[32:33], off
	v_add_co_u32_e32 v26, vcc, s4, v26
	v_addc_co_u32_e32 v27, vcc, v0, v27, vcc
	global_load_dwordx4 v[86:89], v[26:27], off
	v_accvgpr_write_b32 a4, v26
	v_ashrrev_i32_e32 v31, 31, v30
	v_accvgpr_write_b32 a5, v27
	v_lshlrev_b64 v[26:27], 4, v[30:31]
	v_add_co_u32_e32 v26, vcc, s4, v26
	v_addc_co_u32_e32 v27, vcc, v0, v27, vcc
	v_ashrrev_i32_e32 v29, 31, v28
	v_accvgpr_write_b32 a6, v26
	v_lshlrev_b64 v[30:31], 4, v[28:29]
	v_accvgpr_write_b32 a7, v27
	global_load_dwordx4 v[26:29], v[26:27], off
	v_add_co_u32_e32 v30, vcc, s4, v30
	v_addc_co_u32_e32 v31, vcc, v0, v31, vcc
	global_load_dwordx4 v[90:93], v[30:31], off
	v_mov_b32_e32 v0, 16
	buffer_store_dword v8, off, s[0:3], 0 offset:504
	buffer_store_dword v7, off, s[0:3], 0 offset:500
	buffer_store_dword v6, off, s[0:3], 0 offset:496
	s_waitcnt vmcnt(22)
	buffer_store_dword v13, off, s[0:3], 0 offset:524
	buffer_store_dword v12, off, s[0:3], 0 offset:520
	buffer_store_dword v11, off, s[0:3], 0 offset:516
	buffer_store_dword v10, off, s[0:3], 0 offset:512
	s_waitcnt vmcnt(25)
	buffer_store_dword v17, off, s[0:3], 0 offset:540
	;; [unrolled: 5-line block ×15, first 2 shown]
	buffer_store_dword v40, off, s[0:3], 0 offset:744
	buffer_store_dword v39, off, s[0:3], 0 offset:740
	;; [unrolled: 1-line block ×11, first 2 shown]
	s_waitcnt vmcnt(62)
	buffer_store_dword v89, off, s[0:3], 0 offset:796
	buffer_store_dword v88, off, s[0:3], 0 offset:792
	;; [unrolled: 1-line block ×16, first 2 shown]
	v_add_u32_e32 v2, 16, v0
	v_accvgpr_write_b32 a154, v2
	v_add_u32_e32 v2, 32, v0
	v_accvgpr_write_b32 a153, v2
	v_add_u32_e32 v2, 48, v0
	v_accvgpr_write_b32 a152, v2
	v_add_u32_e32 v2, 64, v0
	v_accvgpr_write_b32 a151, v2
	v_add_u32_e32 v2, 0x50, v0
	v_accvgpr_write_b32 a150, v2
	v_add_u32_e32 v2, 0x60, v0
	v_accvgpr_write_b32 a149, v2
	v_add_u32_e32 v2, 0x70, v0
	v_accvgpr_write_b32 a148, v2
	v_add_u32_e32 v2, 0x80, v0
	v_accvgpr_write_b32 a147, v2
	v_add_u32_e32 v2, 0x90, v0
	v_accvgpr_write_b32 a146, v2
	v_add_u32_e32 v2, 0xa0, v0
	v_accvgpr_write_b32 a145, v2
	v_add_u32_e32 v2, 0xb0, v0
	v_accvgpr_write_b32 a144, v2
	v_add_u32_e32 v2, 0xc0, v0
	v_accvgpr_write_b32 a143, v2
	v_add_u32_e32 v2, 0xd0, v0
	v_accvgpr_write_b32 a142, v2
	v_add_u32_e32 v2, 0xe0, v0
	v_accvgpr_write_b32 a141, v2
	v_add_u32_e32 v2, 0xf0, v0
	v_accvgpr_write_b32 a140, v2
	v_add_u32_e32 v2, 0x100, v0
	v_accvgpr_write_b32 a139, v2
	v_add_u32_e32 v2, 0x110, v0
	v_accvgpr_write_b32 a138, v2
	v_add_u32_e32 v2, 0x120, v0
	v_accvgpr_write_b32 a137, v2
	v_add_u32_e32 v2, 0x130, v0
	v_accvgpr_write_b32 a136, v2
	v_add_u32_e32 v2, 0x140, v0
	v_accvgpr_write_b32 a135, v2
	v_add_u32_e32 v2, 0x150, v0
	v_accvgpr_write_b32 a134, v2
	v_add_u32_e32 v2, 0x160, v0
	v_accvgpr_write_b32 a133, v2
	v_add_u32_e32 v2, 0x170, v0
	v_accvgpr_write_b32 a132, v2
	v_add_u32_e32 v2, 0x180, v0
	v_accvgpr_write_b32 a131, v2
	v_add_u32_e32 v2, 0x190, v0
	v_accvgpr_write_b32 a130, v2
	v_add_u32_e32 v2, 0x1a0, v0
	v_accvgpr_write_b32 a129, v2
	v_add_u32_e32 v2, 0x1b0, v0
	v_accvgpr_write_b32 a128, v2
	v_add_u32_e32 v2, 0x1c0, v0
	v_accvgpr_write_b32 a127, v2
	v_add_u32_e32 v2, 0x1d0, v0
	v_accvgpr_write_b32 a126, v2
	v_add_u32_e32 v2, 0x1e0, v0
	v_accvgpr_write_b32 a125, v2
	v_add_u32_e32 v2, 0x1f0, v0
	v_accvgpr_write_b32 a124, v2
	v_add_u32_e32 v2, 0x200, v0
	v_accvgpr_write_b32 a123, v2
	v_add_u32_e32 v2, 0x210, v0
	v_accvgpr_write_b32 a122, v2
	v_add_u32_e32 v2, 0x220, v0
	v_accvgpr_write_b32 a121, v2
	v_add_u32_e32 v2, 0x230, v0
	v_accvgpr_write_b32 a120, v2
	v_add_u32_e32 v2, 0x240, v0
	v_accvgpr_write_b32 a119, v2
	v_add_u32_e32 v2, 0x250, v0
	v_accvgpr_write_b32 a118, v2
	v_add_u32_e32 v2, 0x260, v0
	v_accvgpr_write_b32 a117, v2
	v_add_u32_e32 v2, 0x270, v0
	v_accvgpr_write_b32 a116, v2
	v_add_u32_e32 v2, 0x280, v0
	v_accvgpr_write_b32 a115, v2
	v_add_u32_e32 v2, 0x290, v0
	v_accvgpr_write_b32 a114, v2
	v_add_u32_e32 v2, 0x2a0, v0
	v_accvgpr_write_b32 a113, v2
	v_add_u32_e32 v2, 0x2b0, v0
	v_accvgpr_write_b32 a112, v2
	v_add_u32_e32 v2, 0x2c0, v0
	v_accvgpr_write_b32 a111, v2
	v_add_u32_e32 v2, 0x2d0, v0
	v_accvgpr_write_b32 a110, v2
	v_add_u32_e32 v2, 0x2e0, v0
	v_accvgpr_write_b32 a109, v2
	v_add_u32_e32 v2, 0x2f0, v0
	v_accvgpr_write_b32 a108, v2
	v_add_u32_e32 v2, 0x300, v0
	v_accvgpr_write_b32 a107, v2
	v_add_u32_e32 v2, 0x310, v0
	v_accvgpr_write_b32 a2, v30
	v_accvgpr_write_b32 a106, v2
	v_add_u32_e32 v2, 0x320, v0
	v_add_u32_e32 v0, 0x330, v0
	v_accvgpr_write_b32 a3, v31
	s_bitcmp0_b32 s22, 0
	v_accvgpr_write_b32 a105, v2
	v_accvgpr_write_b32 a104, v0
	s_mov_b64 s[6:7], -1
	s_cbranch_scc1 .LBB51_220
; %bb.4:
	v_cmp_eq_u32_e64 s[4:5], 0, v255
	s_and_saveexec_b64 s[6:7], s[4:5]
	s_cbranch_execz .LBB51_6
; %bb.5:
	v_mov_b32_e32 v0, 0
	ds_write_b32 v0, v0 offset:1664
.LBB51_6:
	s_or_b64 exec, exec, s[6:7]
	v_mov_b32_e32 v0, 16
	v_lshl_add_u32 v12, v255, 4, v0
	s_waitcnt lgkmcnt(0)
	; wave barrier
	s_waitcnt lgkmcnt(0)
	buffer_load_dword v2, v12, s[0:3], 0 offen
	buffer_load_dword v3, v12, s[0:3], 0 offen offset:4
	buffer_load_dword v4, v12, s[0:3], 0 offen offset:8
	;; [unrolled: 1-line block ×3, first 2 shown]
	s_waitcnt vmcnt(2)
	v_cmp_eq_f64_e32 vcc, 0, v[2:3]
	s_waitcnt vmcnt(0)
	v_cmp_eq_f64_e64 s[6:7], 0, v[4:5]
	s_and_b64 s[6:7], vcc, s[6:7]
	s_and_saveexec_b64 s[12:13], s[6:7]
	s_cbranch_execz .LBB51_10
; %bb.7:
	v_mov_b32_e32 v2, 0
	ds_read_b32 v0, v2 offset:1664
	v_add_u32_e32 v3, 1, v255
	s_waitcnt lgkmcnt(0)
	v_readfirstlane_b32 s6, v0
	s_cmp_eq_u32 s6, 0
	s_cselect_b64 s[16:17], -1, 0
	v_cmp_gt_i32_e32 vcc, s6, v3
	s_or_b64 s[16:17], s[16:17], vcc
	s_and_b64 exec, exec, s[16:17]
	s_cbranch_execz .LBB51_10
; %bb.8:
	s_mov_b64 s[16:17], 0
	v_mov_b32_e32 v4, s6
.LBB51_9:                               ; =>This Inner Loop Header: Depth=1
	ds_cmpst_rtn_b32 v4, v2, v4, v3 offset:1664
	s_waitcnt lgkmcnt(0)
	v_cmp_ne_u32_e32 vcc, 0, v4
	v_cmp_le_i32_e64 s[6:7], v4, v3
	s_and_b64 s[6:7], vcc, s[6:7]
	s_and_b64 s[6:7], exec, s[6:7]
	s_or_b64 s[16:17], s[6:7], s[16:17]
	s_andn2_b64 exec, exec, s[16:17]
	s_cbranch_execnz .LBB51_9
.LBB51_10:
	s_or_b64 exec, exec, s[12:13]
	v_mov_b32_e32 v3, 0
	s_waitcnt lgkmcnt(0)
	; wave barrier
	ds_read_b32 v2, v3 offset:1664
	s_and_saveexec_b64 s[6:7], s[4:5]
	s_cbranch_execz .LBB51_12
; %bb.11:
	s_lshl_b64 s[12:13], s[8:9], 2
	s_add_u32 s12, s14, s12
	s_addc_u32 s13, s15, s13
	s_waitcnt lgkmcnt(0)
	global_store_dword v3, v2, s[12:13]
.LBB51_12:
	s_or_b64 exec, exec, s[6:7]
	s_waitcnt lgkmcnt(0)
	v_cmp_ne_u32_e32 vcc, 0, v2
	s_mov_b64 s[6:7], 0
	s_cbranch_vccnz .LBB51_220
; %bb.13:
	buffer_load_dword v7, v12, s[0:3], 0 offen offset:4
	buffer_load_dword v6, v12, s[0:3], 0 offen
	buffer_load_dword v9, v12, s[0:3], 0 offen offset:12
	buffer_load_dword v8, v12, s[0:3], 0 offen offset:8
                                        ; implicit-def: $vgpr10_vgpr11
	s_waitcnt vmcnt(3)
	v_xor_b32_e32 v0, 0x80000000, v7
	s_waitcnt vmcnt(2)
	v_cmp_gt_f64_e32 vcc, 0, v[6:7]
	s_waitcnt vmcnt(1)
	v_xor_b32_e32 v4, 0x80000000, v9
	v_cndmask_b32_e32 v3, v7, v0, vcc
	s_waitcnt vmcnt(0)
	v_cmp_gt_f64_e32 vcc, 0, v[8:9]
	v_mov_b32_e32 v2, v6
	v_cndmask_b32_e32 v5, v9, v4, vcc
	v_mov_b32_e32 v4, v8
	v_cmp_ngt_f64_e32 vcc, v[2:3], v[4:5]
                                        ; implicit-def: $vgpr4_vgpr5
	s_and_saveexec_b64 s[6:7], vcc
	s_xor_b64 s[6:7], exec, s[6:7]
	s_cbranch_execz .LBB51_15
; %bb.14:
	v_div_scale_f64 v[2:3], s[12:13], v[8:9], v[8:9], v[6:7]
	v_rcp_f64_e32 v[4:5], v[2:3]
	v_div_scale_f64 v[10:11], vcc, v[6:7], v[8:9], v[6:7]
	v_fma_f64 v[14:15], -v[2:3], v[4:5], 1.0
	v_fmac_f64_e32 v[4:5], v[4:5], v[14:15]
	v_fma_f64 v[14:15], -v[2:3], v[4:5], 1.0
	v_fmac_f64_e32 v[4:5], v[4:5], v[14:15]
	v_mul_f64 v[14:15], v[10:11], v[4:5]
	v_fma_f64 v[2:3], -v[2:3], v[14:15], v[10:11]
	v_div_fmas_f64 v[2:3], v[2:3], v[4:5], v[14:15]
	v_div_fixup_f64 v[2:3], v[2:3], v[8:9], v[6:7]
	v_fmac_f64_e32 v[8:9], v[6:7], v[2:3]
	v_div_scale_f64 v[4:5], s[12:13], v[8:9], v[8:9], 1.0
	v_rcp_f64_e32 v[6:7], v[4:5]
	v_fma_f64 v[10:11], -v[4:5], v[6:7], 1.0
	v_fmac_f64_e32 v[6:7], v[6:7], v[10:11]
	v_fma_f64 v[10:11], -v[4:5], v[6:7], 1.0
	v_fmac_f64_e32 v[6:7], v[6:7], v[10:11]
	v_div_scale_f64 v[10:11], vcc, 1.0, v[8:9], 1.0
	v_mul_f64 v[14:15], v[10:11], v[6:7]
	v_fma_f64 v[4:5], -v[4:5], v[14:15], v[10:11]
	s_nop 1
	v_div_fmas_f64 v[4:5], v[4:5], v[6:7], v[14:15]
	v_div_fixup_f64 v[4:5], v[4:5], v[8:9], 1.0
	v_mul_f64 v[10:11], v[2:3], v[4:5]
	v_xor_b32_e32 v5, 0x80000000, v5
	v_xor_b32_e32 v3, 0x80000000, v11
	v_mov_b32_e32 v2, v10
                                        ; implicit-def: $vgpr6_vgpr7
                                        ; implicit-def: $vgpr8_vgpr9
.LBB51_15:
	s_andn2_saveexec_b64 s[6:7], s[6:7]
	s_cbranch_execz .LBB51_17
; %bb.16:
	v_div_scale_f64 v[2:3], s[12:13], v[6:7], v[6:7], v[8:9]
	v_rcp_f64_e32 v[4:5], v[2:3]
	v_div_scale_f64 v[10:11], vcc, v[8:9], v[6:7], v[8:9]
	v_fma_f64 v[14:15], -v[2:3], v[4:5], 1.0
	v_fmac_f64_e32 v[4:5], v[4:5], v[14:15]
	v_fma_f64 v[14:15], -v[2:3], v[4:5], 1.0
	v_fmac_f64_e32 v[4:5], v[4:5], v[14:15]
	v_mul_f64 v[14:15], v[10:11], v[4:5]
	v_fma_f64 v[2:3], -v[2:3], v[14:15], v[10:11]
	v_div_fmas_f64 v[2:3], v[2:3], v[4:5], v[14:15]
	v_div_fixup_f64 v[4:5], v[2:3], v[6:7], v[8:9]
	v_fmac_f64_e32 v[6:7], v[8:9], v[4:5]
	v_div_scale_f64 v[2:3], s[12:13], v[6:7], v[6:7], 1.0
	v_rcp_f64_e32 v[8:9], v[2:3]
	v_fma_f64 v[10:11], -v[2:3], v[8:9], 1.0
	v_fmac_f64_e32 v[8:9], v[8:9], v[10:11]
	v_fma_f64 v[10:11], -v[2:3], v[8:9], 1.0
	v_fmac_f64_e32 v[8:9], v[8:9], v[10:11]
	v_div_scale_f64 v[10:11], vcc, 1.0, v[6:7], 1.0
	v_mul_f64 v[14:15], v[10:11], v[8:9]
	v_fma_f64 v[2:3], -v[2:3], v[14:15], v[10:11]
	s_nop 1
	v_div_fmas_f64 v[2:3], v[2:3], v[8:9], v[14:15]
	v_div_fixup_f64 v[10:11], v[2:3], v[6:7], 1.0
	v_xor_b32_e32 v3, 0x80000000, v11
	v_mov_b32_e32 v2, v10
	v_mul_f64 v[4:5], v[4:5], -v[10:11]
.LBB51_17:
	s_or_b64 exec, exec, s[6:7]
	buffer_store_dword v11, v12, s[0:3], 0 offen offset:4
	buffer_store_dword v10, v12, s[0:3], 0 offen
	buffer_store_dword v5, v12, s[0:3], 0 offen offset:12
	buffer_store_dword v4, v12, s[0:3], 0 offen offset:8
	v_accvgpr_read_b32 v0, a154
	buffer_load_dword v11, v0, s[0:3], 0 offen offset:12
	buffer_load_dword v10, v0, s[0:3], 0 offen offset:8
	;; [unrolled: 1-line block ×3, first 2 shown]
	buffer_load_dword v8, v0, s[0:3], 0 offen
	v_xor_b32_e32 v5, 0x80000000, v5
	v_add_u32_e32 v6, 0x340, v1
	ds_write_b128 v1, v[2:5]
	s_waitcnt vmcnt(0)
	ds_write_b128 v1, v[8:11] offset:832
	s_waitcnt lgkmcnt(0)
	; wave barrier
	s_waitcnt lgkmcnt(0)
	s_and_saveexec_b64 s[6:7], s[4:5]
	s_cbranch_execz .LBB51_19
; %bb.18:
	buffer_load_dword v14, v12, s[0:3], 0 offen offset:8
	buffer_load_dword v15, v12, s[0:3], 0 offen offset:12
	buffer_load_dword v16, v12, s[0:3], 0 offen
	buffer_load_dword v17, v12, s[0:3], 0 offen offset:4
	ds_read_b128 v[2:5], v6
	v_mov_b32_e32 v0, 0
	ds_read_b128 v[8:11], v0 offset:16
	s_waitcnt vmcnt(2) lgkmcnt(1)
	v_mul_f64 v[18:19], v[4:5], v[14:15]
	v_mul_f64 v[14:15], v[2:3], v[14:15]
	s_waitcnt vmcnt(0)
	v_fmac_f64_e32 v[14:15], v[4:5], v[16:17]
	v_fma_f64 v[2:3], v[2:3], v[16:17], -v[18:19]
	v_add_f64 v[4:5], v[14:15], 0
	v_add_f64 v[2:3], v[2:3], 0
	s_waitcnt lgkmcnt(0)
	v_mul_f64 v[14:15], v[4:5], v[10:11]
	v_mul_f64 v[10:11], v[2:3], v[10:11]
	v_fma_f64 v[2:3], v[2:3], v[8:9], -v[14:15]
	v_fmac_f64_e32 v[10:11], v[4:5], v[8:9]
	buffer_store_dword v2, off, s[0:3], 0 offset:32
	buffer_store_dword v3, off, s[0:3], 0 offset:36
	;; [unrolled: 1-line block ×4, first 2 shown]
.LBB51_19:
	s_or_b64 exec, exec, s[6:7]
	v_accvgpr_read_b32 v0, a153
	s_waitcnt lgkmcnt(0)
	; wave barrier
	buffer_load_dword v2, v0, s[0:3], 0 offen
	buffer_load_dword v3, v0, s[0:3], 0 offen offset:4
	buffer_load_dword v4, v0, s[0:3], 0 offen offset:8
	;; [unrolled: 1-line block ×3, first 2 shown]
	v_cmp_gt_u32_e32 vcc, 2, v255
	s_waitcnt vmcnt(0)
	ds_write_b128 v6, v[2:5]
	s_waitcnt lgkmcnt(0)
	; wave barrier
	s_waitcnt lgkmcnt(0)
	s_and_saveexec_b64 s[6:7], vcc
	s_cbranch_execz .LBB51_23
; %bb.20:
	buffer_load_dword v8, v12, s[0:3], 0 offen offset:8
	buffer_load_dword v9, v12, s[0:3], 0 offen offset:12
	buffer_load_dword v10, v12, s[0:3], 0 offen
	buffer_load_dword v11, v12, s[0:3], 0 offen offset:4
	ds_read_b128 v[2:5], v6
	s_waitcnt vmcnt(2) lgkmcnt(0)
	v_mul_f64 v[12:13], v[4:5], v[8:9]
	v_mul_f64 v[8:9], v[2:3], v[8:9]
	s_waitcnt vmcnt(0)
	v_fma_f64 v[2:3], v[2:3], v[10:11], -v[12:13]
	v_fmac_f64_e32 v[8:9], v[4:5], v[10:11]
	v_add_f64 v[4:5], v[2:3], 0
	v_add_f64 v[2:3], v[8:9], 0
	s_and_saveexec_b64 s[12:13], s[4:5]
	s_cbranch_execz .LBB51_22
; %bb.21:
	buffer_load_dword v12, off, s[0:3], 0 offset:40
	buffer_load_dword v13, off, s[0:3], 0 offset:44
	;; [unrolled: 1-line block ×4, first 2 shown]
	v_mov_b32_e32 v0, 0
	ds_read_b128 v[8:11], v0 offset:848
	s_waitcnt vmcnt(2) lgkmcnt(0)
	v_mul_f64 v[16:17], v[8:9], v[12:13]
	v_mul_f64 v[12:13], v[10:11], v[12:13]
	s_waitcnt vmcnt(0)
	v_fmac_f64_e32 v[16:17], v[10:11], v[14:15]
	v_fma_f64 v[8:9], v[8:9], v[14:15], -v[12:13]
	v_add_f64 v[2:3], v[2:3], v[16:17]
	v_add_f64 v[4:5], v[4:5], v[8:9]
.LBB51_22:
	s_or_b64 exec, exec, s[12:13]
	v_mov_b32_e32 v0, 0
	ds_read_b128 v[8:11], v0 offset:32
	s_waitcnt lgkmcnt(0)
	v_mul_f64 v[12:13], v[2:3], v[10:11]
	v_mul_f64 v[10:11], v[4:5], v[10:11]
	v_fma_f64 v[4:5], v[4:5], v[8:9], -v[12:13]
	v_fmac_f64_e32 v[10:11], v[2:3], v[8:9]
	buffer_store_dword v5, off, s[0:3], 0 offset:52
	buffer_store_dword v4, off, s[0:3], 0 offset:48
	;; [unrolled: 1-line block ×4, first 2 shown]
.LBB51_23:
	s_or_b64 exec, exec, s[6:7]
	v_accvgpr_read_b32 v0, a152
	s_waitcnt lgkmcnt(0)
	; wave barrier
	buffer_load_dword v2, v0, s[0:3], 0 offen
	buffer_load_dword v3, v0, s[0:3], 0 offen offset:4
	buffer_load_dword v4, v0, s[0:3], 0 offen offset:8
	;; [unrolled: 1-line block ×3, first 2 shown]
	v_cmp_gt_u32_e32 vcc, 3, v255
	v_add_u32_e32 v7, -1, v255
	s_waitcnt vmcnt(0)
	ds_write_b128 v6, v[2:5]
	s_waitcnt lgkmcnt(0)
	; wave barrier
	s_waitcnt lgkmcnt(0)
	s_and_saveexec_b64 s[4:5], vcc
	s_cbranch_execz .LBB51_27
; %bb.24:
	v_pk_mov_b32 v[2:3], 0, 0
	v_add_u32_e32 v8, -1, v255
	v_add_u32_e32 v9, 0x340, v1
	v_add_u32_e32 v10, 16, v1
	s_mov_b64 s[6:7], 0
	v_pk_mov_b32 v[4:5], v[2:3], v[2:3] op_sel:[0,1]
.LBB51_25:                              ; =>This Inner Loop Header: Depth=1
	buffer_load_dword v16, v10, s[0:3], 0 offen offset:8
	buffer_load_dword v17, v10, s[0:3], 0 offen offset:12
	buffer_load_dword v18, v10, s[0:3], 0 offen
	buffer_load_dword v19, v10, s[0:3], 0 offen offset:4
	ds_read_b128 v[12:15], v9
	v_add_u32_e32 v8, 1, v8
	v_cmp_lt_u32_e32 vcc, 1, v8
	v_add_u32_e32 v9, 16, v9
	v_add_u32_e32 v10, 16, v10
	s_or_b64 s[6:7], vcc, s[6:7]
	s_waitcnt vmcnt(2) lgkmcnt(0)
	v_mul_f64 v[20:21], v[14:15], v[16:17]
	v_mul_f64 v[16:17], v[12:13], v[16:17]
	s_waitcnt vmcnt(0)
	v_fma_f64 v[12:13], v[12:13], v[18:19], -v[20:21]
	v_fmac_f64_e32 v[16:17], v[14:15], v[18:19]
	v_add_f64 v[4:5], v[4:5], v[12:13]
	v_add_f64 v[2:3], v[2:3], v[16:17]
	s_andn2_b64 exec, exec, s[6:7]
	s_cbranch_execnz .LBB51_25
; %bb.26:
	s_or_b64 exec, exec, s[6:7]
	v_mov_b32_e32 v0, 0
	ds_read_b128 v[8:11], v0 offset:48
	s_waitcnt lgkmcnt(0)
	v_mul_f64 v[12:13], v[2:3], v[10:11]
	v_mul_f64 v[10:11], v[4:5], v[10:11]
	v_fma_f64 v[4:5], v[4:5], v[8:9], -v[12:13]
	v_fmac_f64_e32 v[10:11], v[2:3], v[8:9]
	buffer_store_dword v5, off, s[0:3], 0 offset:68
	buffer_store_dword v4, off, s[0:3], 0 offset:64
	buffer_store_dword v11, off, s[0:3], 0 offset:76
	buffer_store_dword v10, off, s[0:3], 0 offset:72
.LBB51_27:
	s_or_b64 exec, exec, s[4:5]
	v_accvgpr_read_b32 v0, a151
	s_waitcnt lgkmcnt(0)
	; wave barrier
	buffer_load_dword v2, v0, s[0:3], 0 offen
	buffer_load_dword v3, v0, s[0:3], 0 offen offset:4
	buffer_load_dword v4, v0, s[0:3], 0 offen offset:8
	buffer_load_dword v5, v0, s[0:3], 0 offen offset:12
	v_cmp_gt_u32_e32 vcc, 4, v255
	s_waitcnt vmcnt(0)
	ds_write_b128 v6, v[2:5]
	s_waitcnt lgkmcnt(0)
	; wave barrier
	s_waitcnt lgkmcnt(0)
	s_and_saveexec_b64 s[4:5], vcc
	s_cbranch_execz .LBB51_31
; %bb.28:
	v_pk_mov_b32 v[2:3], 0, 0
	v_add_u32_e32 v8, -1, v255
	v_add_u32_e32 v9, 0x340, v1
	v_add_u32_e32 v10, 16, v1
	s_mov_b64 s[6:7], 0
	v_pk_mov_b32 v[4:5], v[2:3], v[2:3] op_sel:[0,1]
.LBB51_29:                              ; =>This Inner Loop Header: Depth=1
	buffer_load_dword v16, v10, s[0:3], 0 offen offset:8
	buffer_load_dword v17, v10, s[0:3], 0 offen offset:12
	buffer_load_dword v18, v10, s[0:3], 0 offen
	buffer_load_dword v19, v10, s[0:3], 0 offen offset:4
	ds_read_b128 v[12:15], v9
	v_add_u32_e32 v8, 1, v8
	v_cmp_lt_u32_e32 vcc, 2, v8
	v_add_u32_e32 v9, 16, v9
	v_add_u32_e32 v10, 16, v10
	s_or_b64 s[6:7], vcc, s[6:7]
	s_waitcnt vmcnt(2) lgkmcnt(0)
	v_mul_f64 v[20:21], v[14:15], v[16:17]
	v_mul_f64 v[16:17], v[12:13], v[16:17]
	s_waitcnt vmcnt(0)
	v_fma_f64 v[12:13], v[12:13], v[18:19], -v[20:21]
	v_fmac_f64_e32 v[16:17], v[14:15], v[18:19]
	v_add_f64 v[4:5], v[4:5], v[12:13]
	v_add_f64 v[2:3], v[2:3], v[16:17]
	s_andn2_b64 exec, exec, s[6:7]
	s_cbranch_execnz .LBB51_29
; %bb.30:
	s_or_b64 exec, exec, s[6:7]
	v_mov_b32_e32 v0, 0
	ds_read_b128 v[8:11], v0 offset:64
	s_waitcnt lgkmcnt(0)
	v_mul_f64 v[12:13], v[2:3], v[10:11]
	v_mul_f64 v[10:11], v[4:5], v[10:11]
	v_fma_f64 v[4:5], v[4:5], v[8:9], -v[12:13]
	v_fmac_f64_e32 v[10:11], v[2:3], v[8:9]
	buffer_store_dword v5, off, s[0:3], 0 offset:84
	buffer_store_dword v4, off, s[0:3], 0 offset:80
	buffer_store_dword v11, off, s[0:3], 0 offset:92
	buffer_store_dword v10, off, s[0:3], 0 offset:88
.LBB51_31:
	s_or_b64 exec, exec, s[4:5]
	v_accvgpr_read_b32 v0, a150
	s_waitcnt lgkmcnt(0)
	; wave barrier
	buffer_load_dword v2, v0, s[0:3], 0 offen
	buffer_load_dword v3, v0, s[0:3], 0 offen offset:4
	buffer_load_dword v4, v0, s[0:3], 0 offen offset:8
	buffer_load_dword v5, v0, s[0:3], 0 offen offset:12
	v_cmp_gt_u32_e32 vcc, 5, v255
	;; [unrolled: 58-line block ×19, first 2 shown]
	s_waitcnt vmcnt(0)
	ds_write_b128 v6, v[2:5]
	s_waitcnt lgkmcnt(0)
	; wave barrier
	s_waitcnt lgkmcnt(0)
	s_and_saveexec_b64 s[4:5], vcc
	s_cbranch_execz .LBB51_103
; %bb.100:
	v_pk_mov_b32 v[2:3], 0, 0
	v_add_u32_e32 v8, -1, v255
	v_add_u32_e32 v9, 0x340, v1
	v_add_u32_e32 v10, 16, v1
	s_mov_b64 s[6:7], 0
	v_pk_mov_b32 v[4:5], v[2:3], v[2:3] op_sel:[0,1]
.LBB51_101:                             ; =>This Inner Loop Header: Depth=1
	buffer_load_dword v16, v10, s[0:3], 0 offen offset:8
	buffer_load_dword v17, v10, s[0:3], 0 offen offset:12
	buffer_load_dword v18, v10, s[0:3], 0 offen
	buffer_load_dword v19, v10, s[0:3], 0 offen offset:4
	ds_read_b128 v[12:15], v9
	v_add_u32_e32 v8, 1, v8
	v_cmp_lt_u32_e32 vcc, 20, v8
	v_add_u32_e32 v9, 16, v9
	v_add_u32_e32 v10, 16, v10
	s_or_b64 s[6:7], vcc, s[6:7]
	s_waitcnt vmcnt(2) lgkmcnt(0)
	v_mul_f64 v[20:21], v[14:15], v[16:17]
	v_mul_f64 v[16:17], v[12:13], v[16:17]
	s_waitcnt vmcnt(0)
	v_fma_f64 v[12:13], v[12:13], v[18:19], -v[20:21]
	v_fmac_f64_e32 v[16:17], v[14:15], v[18:19]
	v_add_f64 v[4:5], v[4:5], v[12:13]
	v_add_f64 v[2:3], v[2:3], v[16:17]
	s_andn2_b64 exec, exec, s[6:7]
	s_cbranch_execnz .LBB51_101
; %bb.102:
	s_or_b64 exec, exec, s[6:7]
	v_mov_b32_e32 v0, 0
	ds_read_b128 v[8:11], v0 offset:352
	s_waitcnt lgkmcnt(0)
	v_mul_f64 v[12:13], v[2:3], v[10:11]
	v_mul_f64 v[10:11], v[4:5], v[10:11]
	v_fma_f64 v[4:5], v[4:5], v[8:9], -v[12:13]
	v_fmac_f64_e32 v[10:11], v[2:3], v[8:9]
	buffer_store_dword v5, off, s[0:3], 0 offset:372
	buffer_store_dword v4, off, s[0:3], 0 offset:368
	buffer_store_dword v11, off, s[0:3], 0 offset:380
	buffer_store_dword v10, off, s[0:3], 0 offset:376
.LBB51_103:
	s_or_b64 exec, exec, s[4:5]
	v_accvgpr_read_b32 v0, a132
	s_waitcnt lgkmcnt(0)
	; wave barrier
	buffer_load_dword v2, v0, s[0:3], 0 offen
	buffer_load_dword v3, v0, s[0:3], 0 offen offset:4
	buffer_load_dword v4, v0, s[0:3], 0 offen offset:8
	buffer_load_dword v5, v0, s[0:3], 0 offen offset:12
	v_cmp_gt_u32_e32 vcc, 23, v255
	s_waitcnt vmcnt(0)
	ds_write_b128 v6, v[2:5]
	s_waitcnt lgkmcnt(0)
	; wave barrier
	s_waitcnt lgkmcnt(0)
	s_and_saveexec_b64 s[4:5], vcc
	s_cbranch_execz .LBB51_107
; %bb.104:
	v_pk_mov_b32 v[2:3], 0, 0
	v_add_u32_e32 v8, -1, v255
	v_add_u32_e32 v9, 0x340, v1
	v_add_u32_e32 v10, 16, v1
	s_mov_b64 s[6:7], 0
	v_pk_mov_b32 v[4:5], v[2:3], v[2:3] op_sel:[0,1]
.LBB51_105:                             ; =>This Inner Loop Header: Depth=1
	buffer_load_dword v16, v10, s[0:3], 0 offen offset:8
	buffer_load_dword v17, v10, s[0:3], 0 offen offset:12
	buffer_load_dword v18, v10, s[0:3], 0 offen
	buffer_load_dword v19, v10, s[0:3], 0 offen offset:4
	ds_read_b128 v[12:15], v9
	v_add_u32_e32 v8, 1, v8
	v_cmp_lt_u32_e32 vcc, 21, v8
	v_add_u32_e32 v9, 16, v9
	v_add_u32_e32 v10, 16, v10
	s_or_b64 s[6:7], vcc, s[6:7]
	s_waitcnt vmcnt(2) lgkmcnt(0)
	v_mul_f64 v[20:21], v[14:15], v[16:17]
	v_mul_f64 v[16:17], v[12:13], v[16:17]
	s_waitcnt vmcnt(0)
	v_fma_f64 v[12:13], v[12:13], v[18:19], -v[20:21]
	v_fmac_f64_e32 v[16:17], v[14:15], v[18:19]
	v_add_f64 v[4:5], v[4:5], v[12:13]
	v_add_f64 v[2:3], v[2:3], v[16:17]
	s_andn2_b64 exec, exec, s[6:7]
	s_cbranch_execnz .LBB51_105
; %bb.106:
	s_or_b64 exec, exec, s[6:7]
	v_mov_b32_e32 v0, 0
	ds_read_b128 v[8:11], v0 offset:368
	s_waitcnt lgkmcnt(0)
	v_mul_f64 v[12:13], v[2:3], v[10:11]
	v_mul_f64 v[10:11], v[4:5], v[10:11]
	v_fma_f64 v[4:5], v[4:5], v[8:9], -v[12:13]
	v_fmac_f64_e32 v[10:11], v[2:3], v[8:9]
	buffer_store_dword v5, off, s[0:3], 0 offset:388
	buffer_store_dword v4, off, s[0:3], 0 offset:384
	buffer_store_dword v11, off, s[0:3], 0 offset:396
	buffer_store_dword v10, off, s[0:3], 0 offset:392
.LBB51_107:
	s_or_b64 exec, exec, s[4:5]
	v_accvgpr_read_b32 v0, a131
	s_waitcnt lgkmcnt(0)
	; wave barrier
	buffer_load_dword v2, v0, s[0:3], 0 offen
	buffer_load_dword v3, v0, s[0:3], 0 offen offset:4
	buffer_load_dword v4, v0, s[0:3], 0 offen offset:8
	buffer_load_dword v5, v0, s[0:3], 0 offen offset:12
	v_cmp_gt_u32_e32 vcc, 24, v255
	;; [unrolled: 58-line block ×28, first 2 shown]
	s_waitcnt vmcnt(0)
	ds_write_b128 v6, v[2:5]
	s_waitcnt lgkmcnt(0)
	; wave barrier
	s_waitcnt lgkmcnt(0)
	s_and_saveexec_b64 s[4:5], vcc
	s_cbranch_execz .LBB51_215
; %bb.212:
	v_pk_mov_b32 v[2:3], 0, 0
	v_add_u32_e32 v8, -1, v255
	v_add_u32_e32 v9, 0x340, v1
	v_add_u32_e32 v10, 16, v1
	s_mov_b64 s[6:7], 0
	v_pk_mov_b32 v[4:5], v[2:3], v[2:3] op_sel:[0,1]
.LBB51_213:                             ; =>This Inner Loop Header: Depth=1
	buffer_load_dword v16, v10, s[0:3], 0 offen offset:8
	buffer_load_dword v17, v10, s[0:3], 0 offen offset:12
	buffer_load_dword v18, v10, s[0:3], 0 offen
	buffer_load_dword v19, v10, s[0:3], 0 offen offset:4
	ds_read_b128 v[12:15], v9
	v_add_u32_e32 v8, 1, v8
	v_cmp_lt_u32_e32 vcc, 48, v8
	v_add_u32_e32 v9, 16, v9
	v_add_u32_e32 v10, 16, v10
	s_or_b64 s[6:7], vcc, s[6:7]
	s_waitcnt vmcnt(2) lgkmcnt(0)
	v_mul_f64 v[20:21], v[14:15], v[16:17]
	v_mul_f64 v[16:17], v[12:13], v[16:17]
	s_waitcnt vmcnt(0)
	v_fma_f64 v[12:13], v[12:13], v[18:19], -v[20:21]
	v_fmac_f64_e32 v[16:17], v[14:15], v[18:19]
	v_add_f64 v[4:5], v[4:5], v[12:13]
	v_add_f64 v[2:3], v[2:3], v[16:17]
	s_andn2_b64 exec, exec, s[6:7]
	s_cbranch_execnz .LBB51_213
; %bb.214:
	s_or_b64 exec, exec, s[6:7]
	v_mov_b32_e32 v0, 0
	ds_read_b128 v[8:11], v0 offset:800
	s_waitcnt lgkmcnt(0)
	v_mul_f64 v[12:13], v[2:3], v[10:11]
	v_mul_f64 v[10:11], v[4:5], v[10:11]
	v_fma_f64 v[4:5], v[4:5], v[8:9], -v[12:13]
	v_fmac_f64_e32 v[10:11], v[2:3], v[8:9]
	buffer_store_dword v5, off, s[0:3], 0 offset:820
	buffer_store_dword v4, off, s[0:3], 0 offset:816
	;; [unrolled: 1-line block ×4, first 2 shown]
.LBB51_215:
	s_or_b64 exec, exec, s[4:5]
	v_accvgpr_read_b32 v0, a104
	s_waitcnt lgkmcnt(0)
	; wave barrier
	buffer_load_dword v2, v0, s[0:3], 0 offen
	buffer_load_dword v3, v0, s[0:3], 0 offen offset:4
	buffer_load_dword v4, v0, s[0:3], 0 offen offset:8
	;; [unrolled: 1-line block ×3, first 2 shown]
	v_cmp_ne_u32_e32 vcc, 51, v255
	s_waitcnt vmcnt(0)
	ds_write_b128 v6, v[2:5]
	s_waitcnt lgkmcnt(0)
	; wave barrier
	s_waitcnt lgkmcnt(0)
	s_and_saveexec_b64 s[4:5], vcc
	s_cbranch_execz .LBB51_219
; %bb.216:
	v_pk_mov_b32 v[2:3], 0, 0
	v_add_u32_e32 v6, 0x340, v1
	v_add_u32_e32 v1, 16, v1
	s_mov_b64 s[6:7], 0
	v_pk_mov_b32 v[4:5], v[2:3], v[2:3] op_sel:[0,1]
.LBB51_217:                             ; =>This Inner Loop Header: Depth=1
	buffer_load_dword v12, v1, s[0:3], 0 offen offset:8
	buffer_load_dword v13, v1, s[0:3], 0 offen offset:12
	buffer_load_dword v14, v1, s[0:3], 0 offen
	buffer_load_dword v15, v1, s[0:3], 0 offen offset:4
	ds_read_b128 v[8:11], v6
	v_add_u32_e32 v7, 1, v7
	v_cmp_lt_u32_e32 vcc, 49, v7
	v_add_u32_e32 v6, 16, v6
	v_add_u32_e32 v1, 16, v1
	s_or_b64 s[6:7], vcc, s[6:7]
	s_waitcnt vmcnt(2) lgkmcnt(0)
	v_mul_f64 v[16:17], v[10:11], v[12:13]
	v_mul_f64 v[12:13], v[8:9], v[12:13]
	s_waitcnt vmcnt(0)
	v_fma_f64 v[8:9], v[8:9], v[14:15], -v[16:17]
	v_fmac_f64_e32 v[12:13], v[10:11], v[14:15]
	v_add_f64 v[4:5], v[4:5], v[8:9]
	v_add_f64 v[2:3], v[2:3], v[12:13]
	s_andn2_b64 exec, exec, s[6:7]
	s_cbranch_execnz .LBB51_217
; %bb.218:
	s_or_b64 exec, exec, s[6:7]
	v_mov_b32_e32 v0, 0
	ds_read_b128 v[6:9], v0 offset:816
	s_waitcnt lgkmcnt(0)
	v_mul_f64 v[0:1], v[2:3], v[8:9]
	v_mul_f64 v[8:9], v[4:5], v[8:9]
	v_fma_f64 v[0:1], v[4:5], v[6:7], -v[0:1]
	v_fmac_f64_e32 v[8:9], v[2:3], v[6:7]
	buffer_store_dword v1, off, s[0:3], 0 offset:836
	buffer_store_dword v0, off, s[0:3], 0 offset:832
	;; [unrolled: 1-line block ×4, first 2 shown]
.LBB51_219:
	s_or_b64 exec, exec, s[4:5]
	s_mov_b64 s[6:7], -1
	s_waitcnt lgkmcnt(0)
	; wave barrier
.LBB51_220:
	s_and_b64 vcc, exec, s[6:7]
	s_cbranch_vccz .LBB51_222
; %bb.221:
	s_lshl_b64 s[4:5], s[8:9], 2
	s_add_u32 s4, s14, s4
	s_addc_u32 s5, s15, s5
	v_mov_b32_e32 v0, 0
	global_load_dword v0, v0, s[4:5]
	s_waitcnt vmcnt(0)
	v_cmp_ne_u32_e32 vcc, 0, v0
	s_cbranch_vccz .LBB51_223
.LBB51_222:
	s_endpgm
.LBB51_223:
	v_mov_b32_e32 v0, 0x340
	v_lshl_add_u32 v0, v255, 4, v0
	v_accvgpr_write_b32 a156, v0
	v_cmp_eq_u32_e32 vcc, 51, v255
	s_and_saveexec_b64 s[4:5], vcc
	s_cbranch_execz .LBB51_225
; %bb.224:
	v_accvgpr_read_b32 v0, a105
	buffer_load_dword v2, v0, s[0:3], 0 offen
	buffer_load_dword v3, v0, s[0:3], 0 offen offset:4
	buffer_load_dword v4, v0, s[0:3], 0 offen offset:8
	;; [unrolled: 1-line block ×3, first 2 shown]
	v_mov_b32_e32 v0, 0
	v_accvgpr_read_b32 v1, a156
	buffer_store_dword v0, off, s[0:3], 0 offset:816
	buffer_store_dword v0, off, s[0:3], 0 offset:820
	;; [unrolled: 1-line block ×4, first 2 shown]
	s_waitcnt vmcnt(4)
	ds_write_b128 v1, v[2:5]
.LBB51_225:
	s_or_b64 exec, exec, s[4:5]
	s_waitcnt lgkmcnt(0)
	; wave barrier
	s_waitcnt lgkmcnt(0)
	buffer_load_dword v0, off, s[0:3], 0 offset:840
	buffer_load_dword v1, off, s[0:3], 0 offset:844
	;; [unrolled: 1-line block ×8, first 2 shown]
	v_mov_b32_e32 v2, 0
	ds_read_b128 v[4:7], v2 offset:1648
	v_cmp_lt_u32_e32 vcc, 49, v255
	s_waitcnt vmcnt(6) lgkmcnt(0)
	v_mul_f64 v[14:15], v[4:5], v[0:1]
	v_mul_f64 v[0:1], v[6:7], v[0:1]
	s_waitcnt vmcnt(4)
	v_fma_f64 v[0:1], v[4:5], v[8:9], -v[0:1]
	v_fmac_f64_e32 v[14:15], v[6:7], v[8:9]
	v_add_f64 v[0:1], v[0:1], 0
	v_add_f64 v[4:5], v[14:15], 0
	s_waitcnt vmcnt(2)
	v_add_f64 v[0:1], v[10:11], -v[0:1]
	s_waitcnt vmcnt(0)
	v_add_f64 v[4:5], v[12:13], -v[4:5]
	buffer_store_dword v0, off, s[0:3], 0 offset:816
	buffer_store_dword v1, off, s[0:3], 0 offset:820
	;; [unrolled: 1-line block ×4, first 2 shown]
	s_and_saveexec_b64 s[4:5], vcc
	s_cbranch_execz .LBB51_227
; %bb.226:
	v_accvgpr_read_b32 v0, a106
	buffer_load_dword v4, v0, s[0:3], 0 offen
	buffer_load_dword v5, v0, s[0:3], 0 offen offset:4
	buffer_load_dword v6, v0, s[0:3], 0 offen offset:8
	;; [unrolled: 1-line block ×3, first 2 shown]
	v_accvgpr_read_b32 v0, a156
	buffer_store_dword v2, off, s[0:3], 0 offset:800
	buffer_store_dword v2, off, s[0:3], 0 offset:804
	;; [unrolled: 1-line block ×4, first 2 shown]
	s_waitcnt vmcnt(4)
	ds_write_b128 v0, v[4:7]
.LBB51_227:
	s_or_b64 exec, exec, s[4:5]
	s_waitcnt lgkmcnt(0)
	; wave barrier
	s_waitcnt lgkmcnt(0)
	buffer_load_dword v0, off, s[0:3], 0 offset:824
	buffer_load_dword v1, off, s[0:3], 0 offset:828
	;; [unrolled: 1-line block ×12, first 2 shown]
	ds_read_b128 v[4:7], v2 offset:1632
	ds_read_b128 v[8:11], v2 offset:1648
	v_cmp_lt_u32_e32 vcc, 48, v255
	s_waitcnt vmcnt(10) lgkmcnt(1)
	v_mul_f64 v[2:3], v[4:5], v[0:1]
	v_mul_f64 v[0:1], v[6:7], v[0:1]
	s_waitcnt vmcnt(8) lgkmcnt(0)
	v_mul_f64 v[22:23], v[8:9], v[12:13]
	v_mul_f64 v[12:13], v[10:11], v[12:13]
	s_waitcnt vmcnt(6)
	v_fma_f64 v[0:1], v[4:5], v[14:15], -v[0:1]
	v_fmac_f64_e32 v[2:3], v[6:7], v[14:15]
	s_waitcnt vmcnt(4)
	v_fma_f64 v[4:5], v[8:9], v[16:17], -v[12:13]
	v_add_f64 v[0:1], v[0:1], 0
	v_fmac_f64_e32 v[22:23], v[10:11], v[16:17]
	v_add_f64 v[2:3], v[2:3], 0
	v_add_f64 v[0:1], v[0:1], v[4:5]
	;; [unrolled: 1-line block ×3, first 2 shown]
	s_waitcnt vmcnt(2)
	v_add_f64 v[0:1], v[18:19], -v[0:1]
	s_waitcnt vmcnt(0)
	v_add_f64 v[2:3], v[20:21], -v[2:3]
	buffer_store_dword v0, off, s[0:3], 0 offset:800
	buffer_store_dword v1, off, s[0:3], 0 offset:804
	buffer_store_dword v2, off, s[0:3], 0 offset:808
	buffer_store_dword v3, off, s[0:3], 0 offset:812
	s_and_saveexec_b64 s[4:5], vcc
	s_cbranch_execz .LBB51_229
; %bb.228:
	v_accvgpr_read_b32 v0, a107
	buffer_load_dword v2, v0, s[0:3], 0 offen
	buffer_load_dword v3, v0, s[0:3], 0 offen offset:4
	buffer_load_dword v4, v0, s[0:3], 0 offen offset:8
	;; [unrolled: 1-line block ×3, first 2 shown]
	v_mov_b32_e32 v0, 0
	v_accvgpr_read_b32 v1, a156
	buffer_store_dword v0, off, s[0:3], 0 offset:784
	buffer_store_dword v0, off, s[0:3], 0 offset:788
	;; [unrolled: 1-line block ×4, first 2 shown]
	s_waitcnt vmcnt(4)
	ds_write_b128 v1, v[2:5]
.LBB51_229:
	s_or_b64 exec, exec, s[4:5]
	s_waitcnt lgkmcnt(0)
	; wave barrier
	s_waitcnt lgkmcnt(0)
	buffer_load_dword v0, off, s[0:3], 0 offset:808
	buffer_load_dword v1, off, s[0:3], 0 offset:812
	;; [unrolled: 1-line block ×16, first 2 shown]
	v_mov_b32_e32 v2, 0
	ds_read_b128 v[4:7], v2 offset:1616
	ds_read_b128 v[8:11], v2 offset:1632
	;; [unrolled: 1-line block ×3, first 2 shown]
	v_cmp_lt_u32_e32 vcc, 47, v255
	s_waitcnt vmcnt(14) lgkmcnt(2)
	v_mul_f64 v[30:31], v[4:5], v[0:1]
	v_mul_f64 v[0:1], v[6:7], v[0:1]
	s_waitcnt vmcnt(12) lgkmcnt(1)
	v_mul_f64 v[32:33], v[8:9], v[16:17]
	v_mul_f64 v[16:17], v[10:11], v[16:17]
	;; [unrolled: 3-line block ×3, first 2 shown]
	s_waitcnt vmcnt(8)
	v_fma_f64 v[0:1], v[4:5], v[20:21], -v[0:1]
	v_fmac_f64_e32 v[30:31], v[6:7], v[20:21]
	s_waitcnt vmcnt(6)
	v_fma_f64 v[4:5], v[8:9], v[22:23], -v[16:17]
	v_add_f64 v[0:1], v[0:1], 0
	v_fmac_f64_e32 v[32:33], v[10:11], v[22:23]
	s_waitcnt vmcnt(4)
	v_fma_f64 v[6:7], v[12:13], v[24:25], -v[18:19]
	v_add_f64 v[8:9], v[30:31], 0
	v_add_f64 v[0:1], v[0:1], v[4:5]
	v_fmac_f64_e32 v[34:35], v[14:15], v[24:25]
	v_add_f64 v[8:9], v[8:9], v[32:33]
	v_add_f64 v[0:1], v[0:1], v[6:7]
	;; [unrolled: 1-line block ×3, first 2 shown]
	s_waitcnt vmcnt(2)
	v_add_f64 v[0:1], v[26:27], -v[0:1]
	s_waitcnt vmcnt(0)
	v_add_f64 v[4:5], v[28:29], -v[4:5]
	buffer_store_dword v0, off, s[0:3], 0 offset:784
	buffer_store_dword v1, off, s[0:3], 0 offset:788
	;; [unrolled: 1-line block ×4, first 2 shown]
	s_and_saveexec_b64 s[4:5], vcc
	s_cbranch_execz .LBB51_231
; %bb.230:
	v_accvgpr_read_b32 v0, a108
	buffer_load_dword v4, v0, s[0:3], 0 offen
	buffer_load_dword v5, v0, s[0:3], 0 offen offset:4
	buffer_load_dword v6, v0, s[0:3], 0 offen offset:8
	;; [unrolled: 1-line block ×3, first 2 shown]
	v_accvgpr_read_b32 v0, a156
	buffer_store_dword v2, off, s[0:3], 0 offset:768
	buffer_store_dword v2, off, s[0:3], 0 offset:772
	;; [unrolled: 1-line block ×4, first 2 shown]
	s_waitcnt vmcnt(4)
	ds_write_b128 v0, v[4:7]
.LBB51_231:
	s_or_b64 exec, exec, s[4:5]
	s_waitcnt lgkmcnt(0)
	; wave barrier
	s_waitcnt lgkmcnt(0)
	buffer_load_dword v0, off, s[0:3], 0 offset:792
	buffer_load_dword v1, off, s[0:3], 0 offset:796
	;; [unrolled: 1-line block ×20, first 2 shown]
	ds_read_b128 v[4:7], v2 offset:1600
	ds_read_b128 v[8:11], v2 offset:1616
	ds_read_b128 v[12:15], v2 offset:1632
	ds_read_b128 v[16:19], v2 offset:1648
	v_cmp_lt_u32_e32 vcc, 46, v255
	s_waitcnt vmcnt(18) lgkmcnt(3)
	v_mul_f64 v[2:3], v[4:5], v[0:1]
	v_mul_f64 v[0:1], v[6:7], v[0:1]
	s_waitcnt vmcnt(16) lgkmcnt(2)
	v_mul_f64 v[38:39], v[8:9], v[20:21]
	v_mul_f64 v[20:21], v[10:11], v[20:21]
	;; [unrolled: 3-line block ×4, first 2 shown]
	s_waitcnt vmcnt(10)
	v_fma_f64 v[0:1], v[4:5], v[26:27], -v[0:1]
	v_fmac_f64_e32 v[2:3], v[6:7], v[26:27]
	s_waitcnt vmcnt(8)
	v_fma_f64 v[4:5], v[8:9], v[28:29], -v[20:21]
	v_add_f64 v[0:1], v[0:1], 0
	v_fmac_f64_e32 v[38:39], v[10:11], v[28:29]
	s_waitcnt vmcnt(6)
	v_fma_f64 v[6:7], v[12:13], v[30:31], -v[22:23]
	v_add_f64 v[2:3], v[2:3], 0
	v_add_f64 v[0:1], v[0:1], v[4:5]
	v_fmac_f64_e32 v[40:41], v[14:15], v[30:31]
	s_waitcnt vmcnt(4)
	v_fma_f64 v[8:9], v[16:17], v[32:33], -v[24:25]
	v_add_f64 v[2:3], v[2:3], v[38:39]
	v_add_f64 v[0:1], v[0:1], v[6:7]
	v_fmac_f64_e32 v[42:43], v[18:19], v[32:33]
	v_add_f64 v[2:3], v[2:3], v[40:41]
	v_add_f64 v[0:1], v[0:1], v[8:9]
	;; [unrolled: 1-line block ×3, first 2 shown]
	s_waitcnt vmcnt(2)
	v_add_f64 v[0:1], v[34:35], -v[0:1]
	s_waitcnt vmcnt(0)
	v_add_f64 v[2:3], v[36:37], -v[2:3]
	buffer_store_dword v0, off, s[0:3], 0 offset:768
	buffer_store_dword v1, off, s[0:3], 0 offset:772
	;; [unrolled: 1-line block ×4, first 2 shown]
	s_and_saveexec_b64 s[4:5], vcc
	s_cbranch_execz .LBB51_233
; %bb.232:
	v_accvgpr_read_b32 v0, a109
	buffer_load_dword v2, v0, s[0:3], 0 offen
	buffer_load_dword v3, v0, s[0:3], 0 offen offset:4
	buffer_load_dword v4, v0, s[0:3], 0 offen offset:8
	;; [unrolled: 1-line block ×3, first 2 shown]
	v_mov_b32_e32 v0, 0
	v_accvgpr_read_b32 v1, a156
	buffer_store_dword v0, off, s[0:3], 0 offset:752
	buffer_store_dword v0, off, s[0:3], 0 offset:756
	;; [unrolled: 1-line block ×4, first 2 shown]
	s_waitcnt vmcnt(4)
	ds_write_b128 v1, v[2:5]
.LBB51_233:
	s_or_b64 exec, exec, s[4:5]
	s_waitcnt lgkmcnt(0)
	; wave barrier
	s_waitcnt lgkmcnt(0)
	buffer_load_dword v0, off, s[0:3], 0 offset:776
	buffer_load_dword v1, off, s[0:3], 0 offset:780
	;; [unrolled: 1-line block ×24, first 2 shown]
	v_mov_b32_e32 v2, 0
	ds_read_b128 v[4:7], v2 offset:1584
	ds_read_b128 v[8:11], v2 offset:1600
	;; [unrolled: 1-line block ×5, first 2 shown]
	v_cmp_lt_u32_e32 vcc, 45, v255
	s_waitcnt vmcnt(22) lgkmcnt(4)
	v_mul_f64 v[46:47], v[4:5], v[0:1]
	v_mul_f64 v[0:1], v[6:7], v[0:1]
	s_waitcnt vmcnt(20) lgkmcnt(3)
	v_mul_f64 v[48:49], v[8:9], v[24:25]
	v_mul_f64 v[24:25], v[10:11], v[24:25]
	s_waitcnt vmcnt(18) lgkmcnt(2)
	v_mul_f64 v[50:51], v[12:13], v[26:27]
	v_mul_f64 v[26:27], v[14:15], v[26:27]
	s_waitcnt vmcnt(14) lgkmcnt(1)
	v_mul_f64 v[52:53], v[16:17], v[32:33]
	v_mul_f64 v[32:33], v[18:19], v[32:33]
	s_waitcnt vmcnt(13) lgkmcnt(0)
	v_mul_f64 v[54:55], v[20:21], v[28:29]
	s_waitcnt vmcnt(11)
	v_fma_f64 v[0:1], v[4:5], v[34:35], -v[0:1]
	v_fmac_f64_e32 v[46:47], v[6:7], v[34:35]
	s_waitcnt vmcnt(9)
	v_fma_f64 v[4:5], v[8:9], v[36:37], -v[24:25]
	v_add_f64 v[0:1], v[0:1], 0
	v_fmac_f64_e32 v[48:49], v[10:11], v[36:37]
	s_waitcnt vmcnt(7)
	v_fma_f64 v[6:7], v[12:13], v[38:39], -v[26:27]
	v_add_f64 v[12:13], v[46:47], 0
	v_add_f64 v[0:1], v[0:1], v[4:5]
	v_mul_f64 v[28:29], v[22:23], v[28:29]
	v_fmac_f64_e32 v[50:51], v[14:15], v[38:39]
	s_waitcnt vmcnt(5)
	v_fma_f64 v[8:9], v[16:17], v[40:41], -v[32:33]
	v_add_f64 v[12:13], v[12:13], v[48:49]
	v_add_f64 v[0:1], v[0:1], v[6:7]
	v_fmac_f64_e32 v[52:53], v[18:19], v[40:41]
	s_waitcnt vmcnt(4)
	v_fma_f64 v[10:11], v[20:21], v[30:31], -v[28:29]
	v_add_f64 v[4:5], v[12:13], v[50:51]
	v_add_f64 v[0:1], v[0:1], v[8:9]
	v_fmac_f64_e32 v[54:55], v[22:23], v[30:31]
	v_add_f64 v[4:5], v[4:5], v[52:53]
	v_add_f64 v[0:1], v[0:1], v[10:11]
	;; [unrolled: 1-line block ×3, first 2 shown]
	s_waitcnt vmcnt(2)
	v_add_f64 v[0:1], v[42:43], -v[0:1]
	s_waitcnt vmcnt(0)
	v_add_f64 v[4:5], v[44:45], -v[4:5]
	buffer_store_dword v1, off, s[0:3], 0 offset:756
	buffer_store_dword v0, off, s[0:3], 0 offset:752
	;; [unrolled: 1-line block ×4, first 2 shown]
	s_and_saveexec_b64 s[4:5], vcc
	s_cbranch_execz .LBB51_235
; %bb.234:
	v_accvgpr_read_b32 v0, a110
	buffer_load_dword v4, v0, s[0:3], 0 offen
	buffer_load_dword v5, v0, s[0:3], 0 offen offset:4
	buffer_load_dword v6, v0, s[0:3], 0 offen offset:8
	;; [unrolled: 1-line block ×3, first 2 shown]
	v_accvgpr_read_b32 v0, a156
	buffer_store_dword v2, off, s[0:3], 0 offset:736
	buffer_store_dword v2, off, s[0:3], 0 offset:740
	;; [unrolled: 1-line block ×4, first 2 shown]
	s_waitcnt vmcnt(4)
	ds_write_b128 v0, v[4:7]
.LBB51_235:
	s_or_b64 exec, exec, s[4:5]
	s_waitcnt lgkmcnt(0)
	; wave barrier
	s_waitcnt lgkmcnt(0)
	buffer_load_dword v0, off, s[0:3], 0 offset:760
	buffer_load_dword v1, off, s[0:3], 0 offset:764
	;; [unrolled: 1-line block ×28, first 2 shown]
	ds_read_b128 v[4:7], v2 offset:1568
	ds_read_b128 v[8:11], v2 offset:1584
	;; [unrolled: 1-line block ×6, first 2 shown]
	v_cmp_lt_u32_e32 vcc, 44, v255
	s_waitcnt vmcnt(26) lgkmcnt(5)
	v_mul_f64 v[2:3], v[4:5], v[0:1]
	v_mul_f64 v[0:1], v[6:7], v[0:1]
	s_waitcnt vmcnt(24) lgkmcnt(4)
	v_mul_f64 v[54:55], v[8:9], v[28:29]
	v_mul_f64 v[28:29], v[10:11], v[28:29]
	;; [unrolled: 3-line block ×4, first 2 shown]
	s_waitcnt vmcnt(17)
	v_mul_f64 v[58:59], v[16:17], v[36:37]
	v_mul_f64 v[36:37], v[18:19], v[36:37]
	s_waitcnt vmcnt(15) lgkmcnt(0)
	v_mul_f64 v[62:63], v[24:25], v[38:39]
	v_mul_f64 v[38:39], v[26:27], v[38:39]
	s_waitcnt vmcnt(14)
	v_fmac_f64_e32 v[60:61], v[22:23], v[34:35]
	s_waitcnt vmcnt(12)
	v_fma_f64 v[0:1], v[4:5], v[40:41], -v[0:1]
	v_fmac_f64_e32 v[2:3], v[6:7], v[40:41]
	s_waitcnt vmcnt(10)
	v_fma_f64 v[4:5], v[8:9], v[42:43], -v[28:29]
	v_add_f64 v[0:1], v[0:1], 0
	v_fmac_f64_e32 v[54:55], v[10:11], v[42:43]
	s_waitcnt vmcnt(8)
	v_fma_f64 v[6:7], v[12:13], v[44:45], -v[30:31]
	v_add_f64 v[2:3], v[2:3], 0
	v_add_f64 v[0:1], v[0:1], v[4:5]
	v_fmac_f64_e32 v[56:57], v[14:15], v[44:45]
	s_waitcnt vmcnt(6)
	v_fma_f64 v[8:9], v[16:17], v[46:47], -v[36:37]
	v_add_f64 v[2:3], v[2:3], v[54:55]
	v_add_f64 v[0:1], v[0:1], v[6:7]
	v_fmac_f64_e32 v[58:59], v[18:19], v[46:47]
	v_fma_f64 v[10:11], v[20:21], v[34:35], -v[32:33]
	v_add_f64 v[2:3], v[2:3], v[56:57]
	v_add_f64 v[0:1], v[0:1], v[8:9]
	s_waitcnt vmcnt(4)
	v_fma_f64 v[12:13], v[24:25], v[48:49], -v[38:39]
	v_add_f64 v[2:3], v[2:3], v[58:59]
	v_add_f64 v[0:1], v[0:1], v[10:11]
	v_fmac_f64_e32 v[62:63], v[26:27], v[48:49]
	v_add_f64 v[2:3], v[2:3], v[60:61]
	v_add_f64 v[0:1], v[0:1], v[12:13]
	;; [unrolled: 1-line block ×3, first 2 shown]
	s_waitcnt vmcnt(2)
	v_add_f64 v[0:1], v[50:51], -v[0:1]
	s_waitcnt vmcnt(0)
	v_add_f64 v[2:3], v[52:53], -v[2:3]
	buffer_store_dword v1, off, s[0:3], 0 offset:740
	buffer_store_dword v0, off, s[0:3], 0 offset:736
	;; [unrolled: 1-line block ×4, first 2 shown]
	s_and_saveexec_b64 s[4:5], vcc
	s_cbranch_execz .LBB51_237
; %bb.236:
	v_accvgpr_read_b32 v0, a111
	buffer_load_dword v2, v0, s[0:3], 0 offen
	buffer_load_dword v3, v0, s[0:3], 0 offen offset:4
	buffer_load_dword v4, v0, s[0:3], 0 offen offset:8
	;; [unrolled: 1-line block ×3, first 2 shown]
	v_mov_b32_e32 v0, 0
	v_accvgpr_read_b32 v1, a156
	buffer_store_dword v0, off, s[0:3], 0 offset:720
	buffer_store_dword v0, off, s[0:3], 0 offset:724
	;; [unrolled: 1-line block ×4, first 2 shown]
	s_waitcnt vmcnt(4)
	ds_write_b128 v1, v[2:5]
.LBB51_237:
	s_or_b64 exec, exec, s[4:5]
	s_waitcnt lgkmcnt(0)
	; wave barrier
	s_waitcnt lgkmcnt(0)
	buffer_load_dword v0, off, s[0:3], 0 offset:744
	buffer_load_dword v1, off, s[0:3], 0 offset:748
	;; [unrolled: 1-line block ×32, first 2 shown]
	v_mov_b32_e32 v2, 0
	ds_read_b128 v[4:7], v2 offset:1552
	ds_read_b128 v[8:11], v2 offset:1568
	;; [unrolled: 1-line block ×7, first 2 shown]
	v_cmp_lt_u32_e32 vcc, 43, v255
	s_waitcnt vmcnt(30) lgkmcnt(6)
	v_mul_f64 v[62:63], v[4:5], v[0:1]
	v_mul_f64 v[0:1], v[6:7], v[0:1]
	s_waitcnt vmcnt(28) lgkmcnt(5)
	v_mul_f64 v[64:65], v[8:9], v[32:33]
	v_mul_f64 v[32:33], v[10:11], v[32:33]
	;; [unrolled: 3-line block ×4, first 2 shown]
	s_waitcnt vmcnt(21)
	v_mul_f64 v[68:69], v[16:17], v[40:41]
	v_mul_f64 v[40:41], v[18:19], v[40:41]
	s_waitcnt vmcnt(17) lgkmcnt(1)
	v_mul_f64 v[72:73], v[24:25], v[46:47]
	v_mul_f64 v[46:47], v[26:27], v[46:47]
	s_waitcnt vmcnt(16) lgkmcnt(0)
	v_mul_f64 v[74:75], v[28:29], v[42:43]
	v_mul_f64 v[42:43], v[30:31], v[42:43]
	s_waitcnt vmcnt(13)
	v_fma_f64 v[0:1], v[4:5], v[48:49], -v[0:1]
	v_fmac_f64_e32 v[62:63], v[6:7], v[48:49]
	s_waitcnt vmcnt(11)
	v_fma_f64 v[4:5], v[8:9], v[50:51], -v[32:33]
	v_add_f64 v[0:1], v[0:1], 0
	v_fmac_f64_e32 v[64:65], v[10:11], v[50:51]
	s_waitcnt vmcnt(9)
	v_fma_f64 v[6:7], v[12:13], v[52:53], -v[34:35]
	s_waitcnt vmcnt(7)
	v_fma_f64 v[8:9], v[16:17], v[54:55], -v[40:41]
	v_add_f64 v[16:17], v[62:63], 0
	v_add_f64 v[0:1], v[0:1], v[4:5]
	v_fmac_f64_e32 v[66:67], v[14:15], v[52:53]
	v_add_f64 v[16:17], v[16:17], v[64:65]
	v_add_f64 v[0:1], v[0:1], v[6:7]
	v_fmac_f64_e32 v[68:69], v[18:19], v[54:55]
	v_fma_f64 v[10:11], v[20:21], v[38:39], -v[36:37]
	v_add_f64 v[4:5], v[16:17], v[66:67]
	v_add_f64 v[0:1], v[0:1], v[8:9]
	v_fmac_f64_e32 v[70:71], v[22:23], v[38:39]
	s_waitcnt vmcnt(5)
	v_fma_f64 v[12:13], v[24:25], v[56:57], -v[46:47]
	v_add_f64 v[4:5], v[4:5], v[68:69]
	v_add_f64 v[0:1], v[0:1], v[10:11]
	v_fmac_f64_e32 v[72:73], v[26:27], v[56:57]
	s_waitcnt vmcnt(4)
	v_fma_f64 v[14:15], v[28:29], v[44:45], -v[42:43]
	v_add_f64 v[4:5], v[4:5], v[70:71]
	v_add_f64 v[0:1], v[0:1], v[12:13]
	v_fmac_f64_e32 v[74:75], v[30:31], v[44:45]
	v_add_f64 v[4:5], v[4:5], v[72:73]
	v_add_f64 v[0:1], v[0:1], v[14:15]
	v_add_f64 v[4:5], v[4:5], v[74:75]
	s_waitcnt vmcnt(2)
	v_add_f64 v[0:1], v[58:59], -v[0:1]
	s_waitcnt vmcnt(0)
	v_add_f64 v[4:5], v[60:61], -v[4:5]
	buffer_store_dword v1, off, s[0:3], 0 offset:724
	buffer_store_dword v0, off, s[0:3], 0 offset:720
	;; [unrolled: 1-line block ×4, first 2 shown]
	s_and_saveexec_b64 s[4:5], vcc
	s_cbranch_execz .LBB51_239
; %bb.238:
	v_accvgpr_read_b32 v0, a112
	buffer_load_dword v4, v0, s[0:3], 0 offen
	buffer_load_dword v5, v0, s[0:3], 0 offen offset:4
	buffer_load_dword v6, v0, s[0:3], 0 offen offset:8
	;; [unrolled: 1-line block ×3, first 2 shown]
	v_accvgpr_read_b32 v0, a156
	buffer_store_dword v2, off, s[0:3], 0 offset:704
	buffer_store_dword v2, off, s[0:3], 0 offset:708
	;; [unrolled: 1-line block ×4, first 2 shown]
	s_waitcnt vmcnt(4)
	ds_write_b128 v0, v[4:7]
.LBB51_239:
	s_or_b64 exec, exec, s[4:5]
	s_waitcnt lgkmcnt(0)
	; wave barrier
	s_waitcnt lgkmcnt(0)
	buffer_load_dword v0, off, s[0:3], 0 offset:728
	buffer_load_dword v1, off, s[0:3], 0 offset:732
	;; [unrolled: 1-line block ×36, first 2 shown]
	ds_read_b128 v[4:7], v2 offset:1536
	ds_read_b128 v[8:11], v2 offset:1552
	;; [unrolled: 1-line block ×8, first 2 shown]
	v_cmp_lt_u32_e32 vcc, 42, v255
	s_waitcnt vmcnt(34) lgkmcnt(7)
	v_mul_f64 v[2:3], v[4:5], v[0:1]
	v_mul_f64 v[0:1], v[6:7], v[0:1]
	s_waitcnt vmcnt(32) lgkmcnt(6)
	v_mul_f64 v[70:71], v[8:9], v[36:37]
	v_mul_f64 v[36:37], v[10:11], v[36:37]
	s_waitcnt vmcnt(30) lgkmcnt(5)
	v_mul_f64 v[72:73], v[12:13], v[38:39]
	v_mul_f64 v[38:39], v[14:15], v[38:39]
	s_waitcnt vmcnt(28) lgkmcnt(3)
	v_mul_f64 v[76:77], v[20:21], v[40:41]
	v_mul_f64 v[40:41], v[22:23], v[40:41]
	s_waitcnt vmcnt(25)
	v_mul_f64 v[74:75], v[16:17], v[44:45]
	v_mul_f64 v[44:45], v[18:19], v[44:45]
	s_waitcnt vmcnt(23) lgkmcnt(1)
	v_mul_f64 v[80:81], v[28:29], v[46:47]
	v_mul_f64 v[46:47], v[30:31], v[46:47]
	s_waitcnt vmcnt(20)
	v_mul_f64 v[78:79], v[24:25], v[50:51]
	v_mul_f64 v[50:51], v[26:27], v[50:51]
	s_waitcnt vmcnt(18) lgkmcnt(0)
	v_mul_f64 v[82:83], v[32:33], v[52:53]
	s_waitcnt vmcnt(17)
	v_fmac_f64_e32 v[76:77], v[22:23], v[42:43]
	s_waitcnt vmcnt(16)
	v_fmac_f64_e32 v[80:81], v[30:31], v[48:49]
	s_waitcnt vmcnt(14)
	v_fma_f64 v[0:1], v[4:5], v[54:55], -v[0:1]
	v_fmac_f64_e32 v[2:3], v[6:7], v[54:55]
	s_waitcnt vmcnt(12)
	v_fma_f64 v[4:5], v[8:9], v[56:57], -v[36:37]
	v_add_f64 v[0:1], v[0:1], 0
	v_fmac_f64_e32 v[70:71], v[10:11], v[56:57]
	s_waitcnt vmcnt(10)
	v_fma_f64 v[6:7], v[12:13], v[58:59], -v[38:39]
	v_add_f64 v[2:3], v[2:3], 0
	v_add_f64 v[0:1], v[0:1], v[4:5]
	v_fmac_f64_e32 v[72:73], v[14:15], v[58:59]
	s_waitcnt vmcnt(8)
	v_fma_f64 v[8:9], v[16:17], v[60:61], -v[44:45]
	v_add_f64 v[2:3], v[2:3], v[70:71]
	v_add_f64 v[0:1], v[0:1], v[6:7]
	v_fmac_f64_e32 v[74:75], v[18:19], v[60:61]
	v_fma_f64 v[10:11], v[20:21], v[42:43], -v[40:41]
	v_add_f64 v[2:3], v[2:3], v[72:73]
	v_add_f64 v[0:1], v[0:1], v[8:9]
	s_waitcnt vmcnt(6)
	v_fma_f64 v[12:13], v[24:25], v[62:63], -v[50:51]
	v_add_f64 v[2:3], v[2:3], v[74:75]
	v_add_f64 v[0:1], v[0:1], v[10:11]
	v_fmac_f64_e32 v[78:79], v[26:27], v[62:63]
	v_fma_f64 v[14:15], v[28:29], v[48:49], -v[46:47]
	v_add_f64 v[2:3], v[2:3], v[76:77]
	v_add_f64 v[0:1], v[0:1], v[12:13]
	v_mul_f64 v[4:5], v[34:35], v[52:53]
	v_add_f64 v[2:3], v[2:3], v[78:79]
	v_add_f64 v[0:1], v[0:1], v[14:15]
	s_waitcnt vmcnt(4)
	v_fma_f64 v[4:5], v[32:33], v[64:65], -v[4:5]
	v_fmac_f64_e32 v[82:83], v[34:35], v[64:65]
	v_add_f64 v[2:3], v[2:3], v[80:81]
	v_add_f64 v[0:1], v[0:1], v[4:5]
	;; [unrolled: 1-line block ×3, first 2 shown]
	s_waitcnt vmcnt(2)
	v_add_f64 v[0:1], v[66:67], -v[0:1]
	s_waitcnt vmcnt(0)
	v_add_f64 v[2:3], v[68:69], -v[2:3]
	buffer_store_dword v1, off, s[0:3], 0 offset:708
	buffer_store_dword v0, off, s[0:3], 0 offset:704
	;; [unrolled: 1-line block ×4, first 2 shown]
	s_and_saveexec_b64 s[4:5], vcc
	s_cbranch_execz .LBB51_241
; %bb.240:
	v_accvgpr_read_b32 v0, a113
	buffer_load_dword v2, v0, s[0:3], 0 offen
	buffer_load_dword v3, v0, s[0:3], 0 offen offset:4
	buffer_load_dword v4, v0, s[0:3], 0 offen offset:8
	;; [unrolled: 1-line block ×3, first 2 shown]
	v_mov_b32_e32 v0, 0
	v_accvgpr_read_b32 v1, a156
	buffer_store_dword v0, off, s[0:3], 0 offset:688
	buffer_store_dword v0, off, s[0:3], 0 offset:692
	buffer_store_dword v0, off, s[0:3], 0 offset:696
	buffer_store_dword v0, off, s[0:3], 0 offset:700
	s_waitcnt vmcnt(4)
	ds_write_b128 v1, v[2:5]
.LBB51_241:
	s_or_b64 exec, exec, s[4:5]
	s_waitcnt lgkmcnt(0)
	; wave barrier
	s_waitcnt lgkmcnt(0)
	buffer_load_dword v0, off, s[0:3], 0 offset:712
	buffer_load_dword v1, off, s[0:3], 0 offset:716
	;; [unrolled: 1-line block ×40, first 2 shown]
	v_mov_b32_e32 v38, 0
	ds_read_b128 v[2:5], v38 offset:1520
	ds_read_b128 v[6:9], v38 offset:1536
	;; [unrolled: 1-line block ×9, first 2 shown]
	v_cmp_lt_u32_e32 vcc, 41, v255
	s_waitcnt vmcnt(38) lgkmcnt(8)
	v_mul_f64 v[78:79], v[2:3], v[0:1]
	v_mul_f64 v[0:1], v[4:5], v[0:1]
	s_waitcnt vmcnt(36) lgkmcnt(7)
	v_mul_f64 v[80:81], v[6:7], v[40:41]
	v_mul_f64 v[40:41], v[8:9], v[40:41]
	;; [unrolled: 3-line block ×3, first 2 shown]
	s_waitcnt vmcnt(32) lgkmcnt(4)
	v_mul_f64 v[86:87], v[18:19], v[44:45]
	s_waitcnt vmcnt(30)
	v_fmac_f64_e32 v[86:87], v[20:21], v[46:47]
	s_waitcnt vmcnt(28)
	v_mul_f64 v[84:85], v[14:15], v[48:49]
	v_mul_f64 v[48:49], v[16:17], v[48:49]
	s_waitcnt vmcnt(26) lgkmcnt(2)
	v_mul_f64 v[90:91], v[26:27], v[50:51]
	s_waitcnt vmcnt(24)
	v_fmac_f64_e32 v[90:91], v[28:29], v[52:53]
	s_waitcnt vmcnt(22)
	v_mul_f64 v[88:89], v[22:23], v[54:55]
	s_waitcnt vmcnt(18) lgkmcnt(1)
	v_mul_f64 v[92:93], v[30:31], v[60:61]
	s_waitcnt vmcnt(17) lgkmcnt(0)
	v_mul_f64 v[94:95], v[34:35], v[56:57]
	s_waitcnt vmcnt(15)
	v_fma_f64 v[0:1], v[2:3], v[62:63], -v[0:1]
	v_add_f64 v[0:1], v[0:1], 0
	s_waitcnt vmcnt(13)
	v_fma_f64 v[2:3], v[6:7], v[64:65], -v[40:41]
	v_fmac_f64_e32 v[78:79], v[4:5], v[62:63]
	s_waitcnt vmcnt(11)
	v_fma_f64 v[4:5], v[10:11], v[66:67], -v[42:43]
	v_add_f64 v[0:1], v[0:1], v[2:3]
	s_waitcnt vmcnt(9)
	v_fma_f64 v[6:7], v[14:15], v[68:69], -v[48:49]
	v_add_f64 v[0:1], v[0:1], v[4:5]
	v_mul_f64 v[4:5], v[20:21], v[44:45]
	v_add_f64 v[0:1], v[0:1], v[6:7]
	v_fma_f64 v[4:5], v[18:19], v[46:47], -v[4:5]
	v_add_f64 v[0:1], v[0:1], v[4:5]
	v_mul_f64 v[4:5], v[24:25], v[54:55]
	v_fmac_f64_e32 v[80:81], v[8:9], v[64:65]
	v_add_f64 v[8:9], v[78:79], 0
	s_waitcnt vmcnt(7)
	v_fma_f64 v[4:5], v[22:23], v[70:71], -v[4:5]
	v_fmac_f64_e32 v[82:83], v[12:13], v[66:67]
	v_add_f64 v[8:9], v[8:9], v[80:81]
	v_add_f64 v[0:1], v[0:1], v[4:5]
	v_mul_f64 v[4:5], v[28:29], v[50:51]
	v_fmac_f64_e32 v[84:85], v[16:17], v[68:69]
	v_add_f64 v[2:3], v[8:9], v[82:83]
	v_fma_f64 v[4:5], v[26:27], v[52:53], -v[4:5]
	v_add_f64 v[2:3], v[2:3], v[84:85]
	v_add_f64 v[0:1], v[0:1], v[4:5]
	v_mul_f64 v[4:5], v[32:33], v[60:61]
	v_fmac_f64_e32 v[88:89], v[24:25], v[70:71]
	v_add_f64 v[2:3], v[2:3], v[86:87]
	s_waitcnt vmcnt(5)
	v_fma_f64 v[4:5], v[30:31], v[72:73], -v[4:5]
	v_add_f64 v[2:3], v[2:3], v[88:89]
	v_add_f64 v[0:1], v[0:1], v[4:5]
	v_mul_f64 v[4:5], v[36:37], v[56:57]
	v_fmac_f64_e32 v[92:93], v[32:33], v[72:73]
	v_add_f64 v[2:3], v[2:3], v[90:91]
	s_waitcnt vmcnt(4)
	v_fma_f64 v[4:5], v[34:35], v[58:59], -v[4:5]
	v_fmac_f64_e32 v[94:95], v[36:37], v[58:59]
	v_add_f64 v[2:3], v[2:3], v[92:93]
	v_add_f64 v[0:1], v[0:1], v[4:5]
	;; [unrolled: 1-line block ×3, first 2 shown]
	s_waitcnt vmcnt(2)
	v_add_f64 v[0:1], v[74:75], -v[0:1]
	s_waitcnt vmcnt(0)
	v_add_f64 v[2:3], v[76:77], -v[2:3]
	buffer_store_dword v1, off, s[0:3], 0 offset:692
	buffer_store_dword v0, off, s[0:3], 0 offset:688
	;; [unrolled: 1-line block ×4, first 2 shown]
	s_and_saveexec_b64 s[4:5], vcc
	s_cbranch_execz .LBB51_243
; %bb.242:
	v_accvgpr_read_b32 v0, a114
	buffer_load_dword v2, v0, s[0:3], 0 offen
	buffer_load_dword v3, v0, s[0:3], 0 offen offset:4
	buffer_load_dword v4, v0, s[0:3], 0 offen offset:8
	;; [unrolled: 1-line block ×3, first 2 shown]
	v_accvgpr_read_b32 v0, a156
	buffer_store_dword v38, off, s[0:3], 0 offset:672
	buffer_store_dword v38, off, s[0:3], 0 offset:676
	;; [unrolled: 1-line block ×4, first 2 shown]
	s_waitcnt vmcnt(4)
	ds_write_b128 v0, v[2:5]
.LBB51_243:
	s_or_b64 exec, exec, s[4:5]
	s_waitcnt lgkmcnt(0)
	; wave barrier
	s_waitcnt lgkmcnt(0)
	ds_read_b128 v[18:21], v38 offset:1504
	ds_read_b128 v[10:13], v38 offset:1520
	;; [unrolled: 1-line block ×4, first 2 shown]
	buffer_load_dword v44, off, s[0:3], 0 offset:672
	buffer_load_dword v45, off, s[0:3], 0 offset:676
	;; [unrolled: 1-line block ×20, first 2 shown]
	v_cmp_lt_u32_e32 vcc, 40, v255
	s_waitcnt vmcnt(12) lgkmcnt(3)
	v_mul_f64 v[0:1], v[18:19], v[62:63]
	v_fmac_f64_e32 v[0:1], v[20:21], v[58:59]
	v_add_f64 v[0:1], v[0:1], 0
	v_mul_f64 v[20:21], v[20:21], v[62:63]
	s_waitcnt vmcnt(8) lgkmcnt(2)
	v_mul_f64 v[14:15], v[10:11], v[60:61]
	v_fmac_f64_e32 v[14:15], v[12:13], v[56:57]
	v_add_f64 v[0:1], v[0:1], v[14:15]
	v_fma_f64 v[18:19], v[18:19], v[58:59], -v[20:21]
	s_waitcnt vmcnt(4) lgkmcnt(1)
	v_mul_f64 v[14:15], v[6:7], v[48:49]
	v_fmac_f64_e32 v[14:15], v[8:9], v[46:47]
	v_add_f64 v[0:1], v[0:1], v[14:15]
	s_waitcnt vmcnt(0) lgkmcnt(0)
	v_mul_f64 v[14:15], v[2:3], v[52:53]
	v_fmac_f64_e32 v[14:15], v[4:5], v[50:51]
	v_add_f64 v[0:1], v[0:1], v[14:15]
	ds_read_b128 v[14:17], v38 offset:1568
	buffer_load_dword v55, off, s[0:3], 0 offset:756
	buffer_load_dword v54, off, s[0:3], 0 offset:752
	;; [unrolled: 1-line block ×4, first 2 shown]
	v_mul_f64 v[12:13], v[12:13], v[60:61]
	v_add_f64 v[18:19], v[18:19], 0
	v_fma_f64 v[10:11], v[10:11], v[56:57], -v[12:13]
	v_mul_f64 v[8:9], v[8:9], v[48:49]
	v_add_f64 v[10:11], v[18:19], v[10:11]
	v_fma_f64 v[6:7], v[6:7], v[46:47], -v[8:9]
	;; [unrolled: 3-line block ×3, first 2 shown]
	v_add_f64 v[2:3], v[6:7], v[2:3]
	s_waitcnt vmcnt(0) lgkmcnt(0)
	v_mul_f64 v[22:23], v[14:15], v[64:65]
	v_fmac_f64_e32 v[22:23], v[16:17], v[54:55]
	v_add_f64 v[0:1], v[0:1], v[22:23]
	ds_read_b128 v[22:25], v38 offset:1584
	buffer_load_dword v67, off, s[0:3], 0 offset:772
	buffer_load_dword v66, off, s[0:3], 0 offset:768
	buffer_load_dword v69, off, s[0:3], 0 offset:780
	buffer_load_dword v68, off, s[0:3], 0 offset:776
	v_mul_f64 v[4:5], v[16:17], v[64:65]
	v_fma_f64 v[4:5], v[14:15], v[54:55], -v[4:5]
	v_add_f64 v[2:3], v[2:3], v[4:5]
	s_waitcnt vmcnt(0) lgkmcnt(0)
	v_mul_f64 v[26:27], v[22:23], v[68:69]
	v_fmac_f64_e32 v[26:27], v[24:25], v[66:67]
	v_add_f64 v[0:1], v[0:1], v[26:27]
	ds_read_b128 v[26:29], v38 offset:1600
	buffer_load_dword v71, off, s[0:3], 0 offset:788
	buffer_load_dword v70, off, s[0:3], 0 offset:784
	buffer_load_dword v73, off, s[0:3], 0 offset:796
	buffer_load_dword v72, off, s[0:3], 0 offset:792
	v_mul_f64 v[4:5], v[24:25], v[68:69]
	v_fma_f64 v[4:5], v[22:23], v[66:67], -v[4:5]
	v_add_f64 v[2:3], v[2:3], v[4:5]
	s_waitcnt vmcnt(0) lgkmcnt(0)
	v_mul_f64 v[30:31], v[26:27], v[72:73]
	v_fmac_f64_e32 v[30:31], v[28:29], v[70:71]
	v_add_f64 v[0:1], v[0:1], v[30:31]
	ds_read_b128 v[30:33], v38 offset:1616
	buffer_load_dword v75, off, s[0:3], 0 offset:804
	buffer_load_dword v74, off, s[0:3], 0 offset:800
	buffer_load_dword v77, off, s[0:3], 0 offset:812
	buffer_load_dword v76, off, s[0:3], 0 offset:808
	v_mul_f64 v[4:5], v[28:29], v[72:73]
	v_fma_f64 v[4:5], v[26:27], v[70:71], -v[4:5]
	v_add_f64 v[2:3], v[2:3], v[4:5]
	s_waitcnt vmcnt(0) lgkmcnt(0)
	v_mul_f64 v[34:35], v[30:31], v[76:77]
	v_fmac_f64_e32 v[34:35], v[32:33], v[74:75]
	v_add_f64 v[0:1], v[0:1], v[34:35]
	ds_read_b128 v[34:37], v38 offset:1632
	buffer_load_dword v79, off, s[0:3], 0 offset:820
	buffer_load_dword v78, off, s[0:3], 0 offset:816
	buffer_load_dword v81, off, s[0:3], 0 offset:828
	buffer_load_dword v80, off, s[0:3], 0 offset:824
	v_mul_f64 v[4:5], v[32:33], v[76:77]
	v_fma_f64 v[4:5], v[30:31], v[74:75], -v[4:5]
	v_add_f64 v[2:3], v[2:3], v[4:5]
	s_waitcnt vmcnt(0) lgkmcnt(0)
	v_mul_f64 v[40:41], v[34:35], v[80:81]
	v_fmac_f64_e32 v[40:41], v[36:37], v[78:79]
	v_add_f64 v[0:1], v[0:1], v[40:41]
	ds_read_b128 v[38:41], v38 offset:1648
	buffer_load_dword v83, off, s[0:3], 0 offset:836
	buffer_load_dword v82, off, s[0:3], 0 offset:832
	buffer_load_dword v85, off, s[0:3], 0 offset:844
	buffer_load_dword v84, off, s[0:3], 0 offset:840
	v_mul_f64 v[4:5], v[36:37], v[80:81]
	v_fma_f64 v[4:5], v[34:35], v[78:79], -v[4:5]
	v_add_f64 v[2:3], v[2:3], v[4:5]
	s_waitcnt vmcnt(0) lgkmcnt(0)
	v_mul_f64 v[4:5], v[40:41], v[84:85]
	v_mul_f64 v[86:87], v[38:39], v[84:85]
	v_fma_f64 v[4:5], v[38:39], v[82:83], -v[4:5]
	v_fmac_f64_e32 v[86:87], v[40:41], v[82:83]
	v_add_f64 v[2:3], v[2:3], v[4:5]
	v_add_f64 v[0:1], v[0:1], v[86:87]
	v_add_f64 v[2:3], v[44:45], -v[2:3]
	v_add_f64 v[0:1], v[42:43], -v[0:1]
	buffer_store_dword v3, off, s[0:3], 0 offset:676
	buffer_store_dword v2, off, s[0:3], 0 offset:672
	;; [unrolled: 1-line block ×4, first 2 shown]
	s_and_saveexec_b64 s[4:5], vcc
	s_cbranch_execz .LBB51_245
; %bb.244:
	v_accvgpr_read_b32 v0, a115
	buffer_load_dword v2, v0, s[0:3], 0 offen
	buffer_load_dword v3, v0, s[0:3], 0 offen offset:4
	buffer_load_dword v4, v0, s[0:3], 0 offen offset:8
	;; [unrolled: 1-line block ×3, first 2 shown]
	v_mov_b32_e32 v0, 0
	v_accvgpr_read_b32 v1, a156
	buffer_store_dword v0, off, s[0:3], 0 offset:656
	buffer_store_dword v0, off, s[0:3], 0 offset:660
	;; [unrolled: 1-line block ×4, first 2 shown]
	s_waitcnt vmcnt(4)
	ds_write_b128 v1, v[2:5]
.LBB51_245:
	s_or_b64 exec, exec, s[4:5]
	v_mov_b32_e32 v96, 0
	s_waitcnt lgkmcnt(0)
	; wave barrier
	s_waitcnt lgkmcnt(0)
	ds_read_b128 v[14:17], v96 offset:1488
	ds_read_b128 v[10:13], v96 offset:1504
	;; [unrolled: 1-line block ×4, first 2 shown]
	buffer_load_dword v48, off, s[0:3], 0 offset:656
	buffer_load_dword v49, off, s[0:3], 0 offset:660
	;; [unrolled: 1-line block ×20, first 2 shown]
	v_cmp_lt_u32_e32 vcc, 39, v255
	s_waitcnt vmcnt(12) lgkmcnt(3)
	v_mul_f64 v[0:1], v[14:15], v[56:57]
	v_fmac_f64_e32 v[0:1], v[16:17], v[50:51]
	v_add_f64 v[0:1], v[0:1], 0
	v_mul_f64 v[16:17], v[16:17], v[56:57]
	s_waitcnt vmcnt(8) lgkmcnt(2)
	v_mul_f64 v[18:19], v[10:11], v[58:59]
	v_fmac_f64_e32 v[18:19], v[12:13], v[52:53]
	v_add_f64 v[0:1], v[0:1], v[18:19]
	v_fma_f64 v[14:15], v[14:15], v[50:51], -v[16:17]
	s_waitcnt vmcnt(4) lgkmcnt(1)
	v_mul_f64 v[18:19], v[6:7], v[60:61]
	v_fmac_f64_e32 v[18:19], v[8:9], v[54:55]
	v_add_f64 v[0:1], v[0:1], v[18:19]
	s_waitcnt vmcnt(0) lgkmcnt(0)
	v_mul_f64 v[18:19], v[2:3], v[64:65]
	v_fmac_f64_e32 v[18:19], v[4:5], v[62:63]
	v_add_f64 v[0:1], v[0:1], v[18:19]
	ds_read_b128 v[18:21], v96 offset:1552
	buffer_load_dword v67, off, s[0:3], 0 offset:740
	buffer_load_dword v66, off, s[0:3], 0 offset:736
	;; [unrolled: 1-line block ×4, first 2 shown]
	v_mul_f64 v[12:13], v[12:13], v[58:59]
	v_add_f64 v[14:15], v[14:15], 0
	v_fma_f64 v[10:11], v[10:11], v[52:53], -v[12:13]
	v_mul_f64 v[8:9], v[8:9], v[60:61]
	v_add_f64 v[10:11], v[14:15], v[10:11]
	v_fma_f64 v[6:7], v[6:7], v[54:55], -v[8:9]
	;; [unrolled: 3-line block ×3, first 2 shown]
	v_add_f64 v[2:3], v[6:7], v[2:3]
	s_waitcnt vmcnt(0) lgkmcnt(0)
	v_mul_f64 v[22:23], v[18:19], v[68:69]
	v_fmac_f64_e32 v[22:23], v[20:21], v[66:67]
	v_add_f64 v[0:1], v[0:1], v[22:23]
	ds_read_b128 v[22:25], v96 offset:1568
	buffer_load_dword v71, off, s[0:3], 0 offset:756
	buffer_load_dword v70, off, s[0:3], 0 offset:752
	buffer_load_dword v73, off, s[0:3], 0 offset:764
	buffer_load_dword v72, off, s[0:3], 0 offset:760
	v_mul_f64 v[4:5], v[20:21], v[68:69]
	v_fma_f64 v[4:5], v[18:19], v[66:67], -v[4:5]
	v_add_f64 v[2:3], v[2:3], v[4:5]
	s_waitcnt vmcnt(0) lgkmcnt(0)
	v_mul_f64 v[26:27], v[22:23], v[72:73]
	v_fmac_f64_e32 v[26:27], v[24:25], v[70:71]
	v_add_f64 v[0:1], v[0:1], v[26:27]
	ds_read_b128 v[26:29], v96 offset:1584
	buffer_load_dword v75, off, s[0:3], 0 offset:772
	buffer_load_dword v74, off, s[0:3], 0 offset:768
	buffer_load_dword v77, off, s[0:3], 0 offset:780
	buffer_load_dword v76, off, s[0:3], 0 offset:776
	v_mul_f64 v[4:5], v[24:25], v[72:73]
	v_fma_f64 v[4:5], v[22:23], v[70:71], -v[4:5]
	;; [unrolled: 12-line block ×6, first 2 shown]
	v_add_f64 v[2:3], v[2:3], v[4:5]
	s_waitcnt vmcnt(0) lgkmcnt(0)
	v_mul_f64 v[4:5], v[44:45], v[92:93]
	v_mul_f64 v[0:1], v[42:43], v[92:93]
	v_fma_f64 v[4:5], v[42:43], v[90:91], -v[4:5]
	v_fmac_f64_e32 v[0:1], v[44:45], v[90:91]
	v_add_f64 v[2:3], v[2:3], v[4:5]
	v_add_f64 v[0:1], v[94:95], v[0:1]
	v_add_f64 v[2:3], v[48:49], -v[2:3]
	v_add_f64 v[0:1], v[46:47], -v[0:1]
	buffer_store_dword v3, off, s[0:3], 0 offset:660
	buffer_store_dword v2, off, s[0:3], 0 offset:656
	;; [unrolled: 1-line block ×4, first 2 shown]
	s_and_saveexec_b64 s[4:5], vcc
	s_cbranch_execz .LBB51_247
; %bb.246:
	v_accvgpr_read_b32 v0, a116
	buffer_load_dword v2, v0, s[0:3], 0 offen
	buffer_load_dword v3, v0, s[0:3], 0 offen offset:4
	buffer_load_dword v4, v0, s[0:3], 0 offen offset:8
	;; [unrolled: 1-line block ×3, first 2 shown]
	v_accvgpr_read_b32 v0, a156
	buffer_store_dword v96, off, s[0:3], 0 offset:640
	buffer_store_dword v96, off, s[0:3], 0 offset:644
	;; [unrolled: 1-line block ×4, first 2 shown]
	s_waitcnt vmcnt(4)
	ds_write_b128 v0, v[2:5]
.LBB51_247:
	s_or_b64 exec, exec, s[4:5]
	s_waitcnt lgkmcnt(0)
	; wave barrier
	s_waitcnt lgkmcnt(0)
	ds_read_b128 v[14:17], v96 offset:1472
	ds_read_b128 v[10:13], v96 offset:1488
	;; [unrolled: 1-line block ×4, first 2 shown]
	buffer_load_dword v48, off, s[0:3], 0 offset:640
	buffer_load_dword v49, off, s[0:3], 0 offset:644
	;; [unrolled: 1-line block ×20, first 2 shown]
	v_cmp_lt_u32_e32 vcc, 38, v255
	s_waitcnt vmcnt(12) lgkmcnt(3)
	v_mul_f64 v[0:1], v[14:15], v[56:57]
	v_fmac_f64_e32 v[0:1], v[16:17], v[50:51]
	v_add_f64 v[0:1], v[0:1], 0
	v_mul_f64 v[16:17], v[16:17], v[56:57]
	s_waitcnt vmcnt(8) lgkmcnt(2)
	v_mul_f64 v[18:19], v[10:11], v[58:59]
	v_fmac_f64_e32 v[18:19], v[12:13], v[52:53]
	v_add_f64 v[0:1], v[0:1], v[18:19]
	v_fma_f64 v[14:15], v[14:15], v[50:51], -v[16:17]
	s_waitcnt vmcnt(4) lgkmcnt(1)
	v_mul_f64 v[18:19], v[6:7], v[60:61]
	v_fmac_f64_e32 v[18:19], v[8:9], v[54:55]
	v_add_f64 v[0:1], v[0:1], v[18:19]
	s_waitcnt vmcnt(0) lgkmcnt(0)
	v_mul_f64 v[18:19], v[2:3], v[64:65]
	v_fmac_f64_e32 v[18:19], v[4:5], v[62:63]
	v_add_f64 v[0:1], v[0:1], v[18:19]
	ds_read_b128 v[18:21], v96 offset:1536
	buffer_load_dword v67, off, s[0:3], 0 offset:724
	buffer_load_dword v66, off, s[0:3], 0 offset:720
	;; [unrolled: 1-line block ×4, first 2 shown]
	v_mul_f64 v[12:13], v[12:13], v[58:59]
	v_add_f64 v[14:15], v[14:15], 0
	v_fma_f64 v[10:11], v[10:11], v[52:53], -v[12:13]
	v_mul_f64 v[8:9], v[8:9], v[60:61]
	v_add_f64 v[10:11], v[14:15], v[10:11]
	v_fma_f64 v[6:7], v[6:7], v[54:55], -v[8:9]
	;; [unrolled: 3-line block ×3, first 2 shown]
	v_add_f64 v[2:3], v[6:7], v[2:3]
	s_waitcnt vmcnt(0) lgkmcnt(0)
	v_mul_f64 v[22:23], v[18:19], v[68:69]
	v_fmac_f64_e32 v[22:23], v[20:21], v[66:67]
	v_add_f64 v[0:1], v[0:1], v[22:23]
	ds_read_b128 v[22:25], v96 offset:1552
	buffer_load_dword v71, off, s[0:3], 0 offset:740
	buffer_load_dword v70, off, s[0:3], 0 offset:736
	buffer_load_dword v73, off, s[0:3], 0 offset:748
	buffer_load_dword v72, off, s[0:3], 0 offset:744
	v_mul_f64 v[4:5], v[20:21], v[68:69]
	v_fma_f64 v[4:5], v[18:19], v[66:67], -v[4:5]
	v_add_f64 v[2:3], v[2:3], v[4:5]
	s_waitcnt vmcnt(0) lgkmcnt(0)
	v_mul_f64 v[26:27], v[22:23], v[72:73]
	v_fmac_f64_e32 v[26:27], v[24:25], v[70:71]
	v_add_f64 v[0:1], v[0:1], v[26:27]
	ds_read_b128 v[26:29], v96 offset:1568
	buffer_load_dword v75, off, s[0:3], 0 offset:756
	buffer_load_dword v74, off, s[0:3], 0 offset:752
	buffer_load_dword v77, off, s[0:3], 0 offset:764
	buffer_load_dword v76, off, s[0:3], 0 offset:760
	v_mul_f64 v[4:5], v[24:25], v[72:73]
	v_fma_f64 v[4:5], v[22:23], v[70:71], -v[4:5]
	;; [unrolled: 12-line block ×7, first 2 shown]
	v_add_f64 v[2:3], v[2:3], v[4:5]
	s_waitcnt vmcnt(0) lgkmcnt(0)
	v_mul_f64 v[4:5], v[96:97], v[100:101]
	v_mul_f64 v[102:103], v[94:95], v[100:101]
	v_fma_f64 v[4:5], v[94:95], v[98:99], -v[4:5]
	v_fmac_f64_e32 v[102:103], v[96:97], v[98:99]
	v_add_f64 v[2:3], v[2:3], v[4:5]
	v_add_f64 v[0:1], v[0:1], v[102:103]
	v_add_f64 v[2:3], v[48:49], -v[2:3]
	v_add_f64 v[0:1], v[46:47], -v[0:1]
	buffer_store_dword v3, off, s[0:3], 0 offset:644
	buffer_store_dword v2, off, s[0:3], 0 offset:640
	;; [unrolled: 1-line block ×4, first 2 shown]
	s_and_saveexec_b64 s[4:5], vcc
	s_cbranch_execz .LBB51_249
; %bb.248:
	v_accvgpr_read_b32 v0, a117
	buffer_load_dword v2, v0, s[0:3], 0 offen
	buffer_load_dword v3, v0, s[0:3], 0 offen offset:4
	buffer_load_dword v4, v0, s[0:3], 0 offen offset:8
	;; [unrolled: 1-line block ×3, first 2 shown]
	v_mov_b32_e32 v0, 0
	v_accvgpr_read_b32 v1, a156
	buffer_store_dword v0, off, s[0:3], 0 offset:624
	buffer_store_dword v0, off, s[0:3], 0 offset:628
	;; [unrolled: 1-line block ×4, first 2 shown]
	s_waitcnt vmcnt(4)
	ds_write_b128 v1, v[2:5]
.LBB51_249:
	s_or_b64 exec, exec, s[4:5]
	s_waitcnt lgkmcnt(0)
	; wave barrier
	s_waitcnt lgkmcnt(0)
	buffer_load_dword v2, off, s[0:3], 0 offset:640
	buffer_load_dword v3, off, s[0:3], 0 offset:644
	;; [unrolled: 1-line block ×56, first 2 shown]
	v_mov_b32_e32 v30, 0
	ds_read_b128 v[32:35], v30 offset:1456
	ds_read_b128 v[36:39], v30 offset:1472
	ds_read_b128 v[40:43], v30 offset:1488
	ds_read_b128 v[44:47], v30 offset:1504
	ds_read_b128 v[48:51], v30 offset:1520
	ds_read_b128 v[52:55], v30 offset:1536
	ds_read_b128 v[56:59], v30 offset:1552
	ds_read_b128 v[60:63], v30 offset:1568
	ds_read_b128 v[80:83], v30 offset:1648
	v_cmp_lt_u32_e32 vcc, 37, v255
	s_waitcnt vmcnt(52) lgkmcnt(8)
	v_mul_f64 v[64:65], v[32:33], v[6:7]
	v_fmac_f64_e32 v[64:65], v[34:35], v[2:3]
	v_add_f64 v[64:65], v[64:65], 0
	v_mul_f64 v[6:7], v[34:35], v[6:7]
	s_waitcnt vmcnt(48) lgkmcnt(7)
	v_mul_f64 v[66:67], v[36:37], v[8:9]
	v_fmac_f64_e32 v[66:67], v[38:39], v[4:5]
	s_waitcnt vmcnt(46) lgkmcnt(6)
	v_mul_f64 v[68:69], v[40:41], v[10:11]
	v_add_f64 v[64:65], v[64:65], v[66:67]
	s_waitcnt vmcnt(44) lgkmcnt(5)
	v_mul_f64 v[70:71], v[44:45], v[12:13]
	v_fma_f64 v[2:3], v[32:33], v[2:3], -v[6:7]
	v_mul_f64 v[6:7], v[38:39], v[8:9]
	v_add_f64 v[2:3], v[2:3], 0
	v_fma_f64 v[4:5], v[36:37], v[4:5], -v[6:7]
	s_waitcnt vmcnt(39) lgkmcnt(3)
	v_mul_f64 v[74:75], v[52:53], v[18:19]
	v_add_f64 v[2:3], v[2:3], v[4:5]
	s_waitcnt vmcnt(37)
	v_mul_f64 v[72:73], v[48:49], v[20:21]
	v_mul_f64 v[4:5], v[42:43], v[10:11]
	s_waitcnt vmcnt(35)
	v_fmac_f64_e32 v[72:73], v[50:51], v[22:23]
	s_waitcnt lgkmcnt(2)
	v_mul_f64 v[76:77], v[56:57], v[14:15]
	s_waitcnt vmcnt(33)
	v_fmac_f64_e32 v[68:69], v[42:43], v[28:29]
	v_add_f64 v[64:65], v[64:65], v[68:69]
	s_waitcnt vmcnt(31)
	v_fmac_f64_e32 v[70:71], v[46:47], v[26:27]
	v_add_f64 v[64:65], v[64:65], v[70:71]
	;; [unrolled: 3-line block ×3, first 2 shown]
	v_fma_f64 v[4:5], v[40:41], v[28:29], -v[4:5]
	s_waitcnt vmcnt(28)
	v_fmac_f64_e32 v[76:77], v[58:59], v[16:17]
	v_add_f64 v[64:65], v[64:65], v[74:75]
	v_add_f64 v[2:3], v[2:3], v[4:5]
	v_mul_f64 v[4:5], v[46:47], v[12:13]
	v_add_f64 v[68:69], v[64:65], v[76:77]
	ds_read_b128 v[64:67], v30 offset:1584
	s_waitcnt vmcnt(24) lgkmcnt(2)
	v_mul_f64 v[70:71], v[60:61], v[86:87]
	v_fma_f64 v[4:5], v[44:45], v[26:27], -v[4:5]
	s_waitcnt vmcnt(22)
	v_fmac_f64_e32 v[70:71], v[62:63], v[88:89]
	v_add_f64 v[2:3], v[2:3], v[4:5]
	v_mul_f64 v[4:5], v[50:51], v[20:21]
	v_add_f64 v[72:73], v[68:69], v[70:71]
	ds_read_b128 v[68:71], v30 offset:1600
	v_fma_f64 v[4:5], v[48:49], v[22:23], -v[4:5]
	v_add_f64 v[2:3], v[2:3], v[4:5]
	v_mul_f64 v[4:5], v[54:55], v[18:19]
	v_fma_f64 v[4:5], v[52:53], v[24:25], -v[4:5]
	s_waitcnt vmcnt(21) lgkmcnt(1)
	v_mul_f64 v[74:75], v[64:65], v[0:1]
	v_add_f64 v[2:3], v[2:3], v[4:5]
	v_mul_f64 v[4:5], v[58:59], v[14:15]
	s_waitcnt vmcnt(20)
	v_fmac_f64_e32 v[74:75], v[66:67], v[84:85]
	v_fma_f64 v[4:5], v[56:57], v[16:17], -v[4:5]
	v_add_f64 v[76:77], v[72:73], v[74:75]
	ds_read_b128 v[72:75], v30 offset:1616
	s_waitcnt vmcnt(16) lgkmcnt(1)
	v_mul_f64 v[78:79], v[68:69], v[94:95]
	v_add_f64 v[2:3], v[2:3], v[4:5]
	v_mul_f64 v[4:5], v[62:63], v[86:87]
	s_waitcnt vmcnt(14)
	v_fmac_f64_e32 v[78:79], v[70:71], v[96:97]
	v_fma_f64 v[4:5], v[60:61], v[88:89], -v[4:5]
	v_mul_f64 v[0:1], v[66:67], v[0:1]
	v_add_f64 v[110:111], v[76:77], v[78:79]
	ds_read_b128 v[76:79], v30 offset:1632
	v_add_f64 v[2:3], v[2:3], v[4:5]
	v_fma_f64 v[0:1], v[64:65], v[84:85], -v[0:1]
	v_add_f64 v[0:1], v[2:3], v[0:1]
	v_mul_f64 v[2:3], v[70:71], v[94:95]
	v_fma_f64 v[2:3], v[68:69], v[96:97], -v[2:3]
	v_add_f64 v[0:1], v[0:1], v[2:3]
	s_waitcnt vmcnt(13) lgkmcnt(1)
	v_mul_f64 v[2:3], v[74:75], v[90:91]
	v_mul_f64 v[112:113], v[72:73], v[90:91]
	s_waitcnt vmcnt(12)
	v_fma_f64 v[2:3], v[72:73], v[92:93], -v[2:3]
	v_fmac_f64_e32 v[112:113], v[74:75], v[92:93]
	v_add_f64 v[0:1], v[0:1], v[2:3]
	s_waitcnt vmcnt(8) lgkmcnt(0)
	v_mul_f64 v[2:3], v[78:79], v[102:103]
	v_add_f64 v[110:111], v[110:111], v[112:113]
	v_mul_f64 v[112:113], v[76:77], v[102:103]
	s_waitcnt vmcnt(6)
	v_fma_f64 v[2:3], v[76:77], v[104:105], -v[2:3]
	v_fmac_f64_e32 v[112:113], v[78:79], v[104:105]
	v_add_f64 v[0:1], v[0:1], v[2:3]
	s_waitcnt vmcnt(5)
	v_mul_f64 v[2:3], v[82:83], v[98:99]
	v_add_f64 v[110:111], v[110:111], v[112:113]
	v_mul_f64 v[112:113], v[80:81], v[98:99]
	s_waitcnt vmcnt(4)
	v_fma_f64 v[2:3], v[80:81], v[100:101], -v[2:3]
	v_fmac_f64_e32 v[112:113], v[82:83], v[100:101]
	v_add_f64 v[0:1], v[0:1], v[2:3]
	v_add_f64 v[110:111], v[110:111], v[112:113]
	s_waitcnt vmcnt(2)
	v_add_f64 v[0:1], v[106:107], -v[0:1]
	s_waitcnt vmcnt(0)
	v_add_f64 v[2:3], v[108:109], -v[110:111]
	buffer_store_dword v1, off, s[0:3], 0 offset:628
	buffer_store_dword v0, off, s[0:3], 0 offset:624
	;; [unrolled: 1-line block ×4, first 2 shown]
	s_and_saveexec_b64 s[4:5], vcc
	s_cbranch_execz .LBB51_251
; %bb.250:
	v_accvgpr_read_b32 v0, a118
	buffer_load_dword v2, v0, s[0:3], 0 offen
	buffer_load_dword v3, v0, s[0:3], 0 offen offset:4
	buffer_load_dword v4, v0, s[0:3], 0 offen offset:8
	;; [unrolled: 1-line block ×3, first 2 shown]
	v_accvgpr_read_b32 v0, a156
	buffer_store_dword v30, off, s[0:3], 0 offset:608
	buffer_store_dword v30, off, s[0:3], 0 offset:612
	;; [unrolled: 1-line block ×4, first 2 shown]
	s_waitcnt vmcnt(4)
	ds_write_b128 v0, v[2:5]
.LBB51_251:
	s_or_b64 exec, exec, s[4:5]
	s_waitcnt lgkmcnt(0)
	; wave barrier
	s_waitcnt lgkmcnt(0)
	buffer_load_dword v2, off, s[0:3], 0 offset:624
	buffer_load_dword v3, off, s[0:3], 0 offset:628
	buffer_load_dword v6, off, s[0:3], 0 offset:632
	buffer_load_dword v7, off, s[0:3], 0 offset:636
	buffer_load_dword v4, off, s[0:3], 0 offset:640
	buffer_load_dword v5, off, s[0:3], 0 offset:644
	buffer_load_dword v8, off, s[0:3], 0 offset:648
	buffer_load_dword v9, off, s[0:3], 0 offset:652
	buffer_load_dword v10, off, s[0:3], 0 offset:664
	buffer_load_dword v11, off, s[0:3], 0 offset:668
	buffer_load_dword v13, off, s[0:3], 0 offset:700
	buffer_load_dword v12, off, s[0:3], 0 offset:696
	buffer_load_dword v15, off, s[0:3], 0 offset:692
	buffer_load_dword v14, off, s[0:3], 0 offset:688
	buffer_load_dword v17, off, s[0:3], 0 offset:684
	buffer_load_dword v16, off, s[0:3], 0 offset:680
	buffer_load_dword v19, off, s[0:3], 0 offset:732
	buffer_load_dword v21, off, s[0:3], 0 offset:724
	buffer_load_dword v23, off, s[0:3], 0 offset:716
	buffer_load_dword v22, off, s[0:3], 0 offset:712
	buffer_load_dword v28, off, s[0:3], 0 offset:656
	buffer_load_dword v29, off, s[0:3], 0 offset:660
	buffer_load_dword v27, off, s[0:3], 0 offset:676
	buffer_load_dword v26, off, s[0:3], 0 offset:672
	buffer_load_dword v25, off, s[0:3], 0 offset:708
	buffer_load_dword v24, off, s[0:3], 0 offset:704
	buffer_load_dword v18, off, s[0:3], 0 offset:728
	buffer_load_dword v20, off, s[0:3], 0 offset:720
	buffer_load_dword v1, off, s[0:3], 0 offset:764
	buffer_load_dword v89, off, s[0:3], 0 offset:756
	buffer_load_dword v91, off, s[0:3], 0 offset:748
	buffer_load_dword v90, off, s[0:3], 0 offset:744
	buffer_load_dword v93, off, s[0:3], 0 offset:740
	buffer_load_dword v92, off, s[0:3], 0 offset:736
	buffer_load_dword v0, off, s[0:3], 0 offset:760
	buffer_load_dword v88, off, s[0:3], 0 offset:752
	buffer_load_dword v95, off, s[0:3], 0 offset:796
	buffer_load_dword v97, off, s[0:3], 0 offset:788
	buffer_load_dword v99, off, s[0:3], 0 offset:780
	buffer_load_dword v98, off, s[0:3], 0 offset:776
	buffer_load_dword v101, off, s[0:3], 0 offset:772
	buffer_load_dword v100, off, s[0:3], 0 offset:768
	buffer_load_dword v94, off, s[0:3], 0 offset:792
	buffer_load_dword v96, off, s[0:3], 0 offset:784
	buffer_load_dword v103, off, s[0:3], 0 offset:828
	buffer_load_dword v105, off, s[0:3], 0 offset:820
	buffer_load_dword v107, off, s[0:3], 0 offset:812
	buffer_load_dword v106, off, s[0:3], 0 offset:808
	buffer_load_dword v109, off, s[0:3], 0 offset:804
	buffer_load_dword v108, off, s[0:3], 0 offset:800
	buffer_load_dword v102, off, s[0:3], 0 offset:824
	buffer_load_dword v104, off, s[0:3], 0 offset:816
	buffer_load_dword v111, off, s[0:3], 0 offset:844
	buffer_load_dword v110, off, s[0:3], 0 offset:840
	buffer_load_dword v113, off, s[0:3], 0 offset:836
	buffer_load_dword v112, off, s[0:3], 0 offset:832
	buffer_load_dword v114, off, s[0:3], 0 offset:608
	buffer_load_dword v115, off, s[0:3], 0 offset:612
	buffer_load_dword v116, off, s[0:3], 0 offset:616
	buffer_load_dword v117, off, s[0:3], 0 offset:620
	ds_read_b128 v[32:35], v30 offset:1440
	ds_read_b128 v[36:39], v30 offset:1456
	;; [unrolled: 1-line block ×8, first 2 shown]
	v_cmp_lt_u32_e32 vcc, 36, v255
	ds_read_b128 v[84:87], v30 offset:1648
	s_waitcnt vmcnt(56) lgkmcnt(8)
	v_mul_f64 v[64:65], v[32:33], v[6:7]
	v_fmac_f64_e32 v[64:65], v[34:35], v[2:3]
	v_add_f64 v[64:65], v[64:65], 0
	v_mul_f64 v[6:7], v[34:35], v[6:7]
	s_waitcnt vmcnt(52) lgkmcnt(7)
	v_mul_f64 v[66:67], v[36:37], v[8:9]
	v_fmac_f64_e32 v[66:67], v[38:39], v[4:5]
	s_waitcnt vmcnt(50) lgkmcnt(6)
	v_mul_f64 v[68:69], v[40:41], v[10:11]
	v_add_f64 v[64:65], v[64:65], v[66:67]
	s_waitcnt vmcnt(48) lgkmcnt(4)
	v_mul_f64 v[72:73], v[48:49], v[12:13]
	v_fma_f64 v[2:3], v[32:33], v[2:3], -v[6:7]
	s_waitcnt vmcnt(46)
	v_fmac_f64_e32 v[72:73], v[50:51], v[14:15]
	v_mul_f64 v[6:7], v[38:39], v[8:9]
	s_waitcnt vmcnt(44)
	v_mul_f64 v[70:71], v[44:45], v[16:17]
	v_add_f64 v[2:3], v[2:3], 0
	v_fma_f64 v[4:5], v[36:37], v[4:5], -v[6:7]
	v_add_f64 v[2:3], v[2:3], v[4:5]
	s_waitcnt vmcnt(40) lgkmcnt(3)
	v_mul_f64 v[74:75], v[52:53], v[22:23]
	v_mul_f64 v[4:5], v[42:43], v[10:11]
	s_waitcnt vmcnt(38)
	v_fmac_f64_e32 v[68:69], v[42:43], v[28:29]
	v_add_f64 v[64:65], v[64:65], v[68:69]
	s_waitcnt vmcnt(36)
	v_fmac_f64_e32 v[70:71], v[46:47], v[26:27]
	v_add_f64 v[64:65], v[64:65], v[70:71]
	;; [unrolled: 3-line block ×3, first 2 shown]
	s_waitcnt vmcnt(33) lgkmcnt(2)
	v_mul_f64 v[66:67], v[56:57], v[18:19]
	v_add_f64 v[64:65], v[64:65], v[74:75]
	s_waitcnt vmcnt(32)
	v_fmac_f64_e32 v[66:67], v[58:59], v[20:21]
	v_add_f64 v[68:69], v[64:65], v[66:67]
	ds_read_b128 v[64:67], v30 offset:1568
	v_fma_f64 v[4:5], v[40:41], v[28:29], -v[4:5]
	v_add_f64 v[2:3], v[2:3], v[4:5]
	v_mul_f64 v[4:5], v[46:47], v[16:17]
	s_waitcnt vmcnt(28) lgkmcnt(2)
	v_mul_f64 v[70:71], v[60:61], v[90:91]
	v_fma_f64 v[4:5], v[44:45], v[26:27], -v[4:5]
	s_waitcnt vmcnt(26)
	v_fmac_f64_e32 v[70:71], v[62:63], v[92:93]
	v_add_f64 v[2:3], v[2:3], v[4:5]
	v_mul_f64 v[4:5], v[50:51], v[12:13]
	v_add_f64 v[72:73], v[68:69], v[70:71]
	ds_read_b128 v[68:71], v30 offset:1584
	s_waitcnt vmcnt(25) lgkmcnt(1)
	v_mul_f64 v[74:75], v[64:65], v[0:1]
	v_fma_f64 v[4:5], v[48:49], v[14:15], -v[4:5]
	s_waitcnt vmcnt(24)
	v_fmac_f64_e32 v[74:75], v[66:67], v[88:89]
	v_add_f64 v[2:3], v[2:3], v[4:5]
	v_mul_f64 v[4:5], v[54:55], v[22:23]
	v_add_f64 v[76:77], v[72:73], v[74:75]
	ds_read_b128 v[72:75], v30 offset:1600
	v_fma_f64 v[4:5], v[52:53], v[24:25], -v[4:5]
	v_add_f64 v[2:3], v[2:3], v[4:5]
	v_mul_f64 v[4:5], v[58:59], v[18:19]
	v_fma_f64 v[4:5], v[56:57], v[20:21], -v[4:5]
	s_waitcnt vmcnt(20) lgkmcnt(1)
	v_mul_f64 v[78:79], v[68:69], v[98:99]
	v_add_f64 v[2:3], v[2:3], v[4:5]
	v_mul_f64 v[4:5], v[62:63], v[90:91]
	s_waitcnt vmcnt(18)
	v_fmac_f64_e32 v[78:79], v[70:71], v[100:101]
	v_fma_f64 v[4:5], v[60:61], v[92:93], -v[4:5]
	v_mul_f64 v[0:1], v[66:67], v[0:1]
	v_add_f64 v[80:81], v[76:77], v[78:79]
	ds_read_b128 v[76:79], v30 offset:1616
	s_waitcnt vmcnt(17) lgkmcnt(1)
	v_mul_f64 v[82:83], v[72:73], v[94:95]
	v_add_f64 v[2:3], v[2:3], v[4:5]
	v_fma_f64 v[0:1], v[64:65], v[88:89], -v[0:1]
	s_waitcnt vmcnt(16)
	v_fmac_f64_e32 v[82:83], v[74:75], v[96:97]
	v_add_f64 v[0:1], v[2:3], v[0:1]
	v_mul_f64 v[2:3], v[70:71], v[98:99]
	v_add_f64 v[118:119], v[80:81], v[82:83]
	ds_read_b128 v[80:83], v30 offset:1632
	v_fma_f64 v[2:3], v[68:69], v[100:101], -v[2:3]
	v_add_f64 v[0:1], v[0:1], v[2:3]
	v_mul_f64 v[2:3], v[74:75], v[94:95]
	v_fma_f64 v[2:3], v[72:73], v[96:97], -v[2:3]
	v_add_f64 v[0:1], v[0:1], v[2:3]
	s_waitcnt vmcnt(12) lgkmcnt(1)
	v_mul_f64 v[2:3], v[78:79], v[106:107]
	v_mul_f64 v[120:121], v[76:77], v[106:107]
	s_waitcnt vmcnt(10)
	v_fma_f64 v[2:3], v[76:77], v[108:109], -v[2:3]
	v_fmac_f64_e32 v[120:121], v[78:79], v[108:109]
	v_add_f64 v[0:1], v[0:1], v[2:3]
	s_waitcnt vmcnt(9) lgkmcnt(0)
	v_mul_f64 v[2:3], v[82:83], v[102:103]
	v_add_f64 v[30:31], v[118:119], v[120:121]
	v_mul_f64 v[118:119], v[80:81], v[102:103]
	s_waitcnt vmcnt(8)
	v_fma_f64 v[2:3], v[80:81], v[104:105], -v[2:3]
	v_fmac_f64_e32 v[118:119], v[82:83], v[104:105]
	v_add_f64 v[0:1], v[0:1], v[2:3]
	s_waitcnt vmcnt(6)
	v_mul_f64 v[2:3], v[86:87], v[110:111]
	v_add_f64 v[30:31], v[30:31], v[118:119]
	v_mul_f64 v[118:119], v[84:85], v[110:111]
	s_waitcnt vmcnt(4)
	v_fma_f64 v[2:3], v[84:85], v[112:113], -v[2:3]
	v_fmac_f64_e32 v[118:119], v[86:87], v[112:113]
	v_add_f64 v[0:1], v[0:1], v[2:3]
	v_add_f64 v[30:31], v[30:31], v[118:119]
	s_waitcnt vmcnt(2)
	v_add_f64 v[0:1], v[114:115], -v[0:1]
	s_waitcnt vmcnt(0)
	v_add_f64 v[2:3], v[116:117], -v[30:31]
	buffer_store_dword v1, off, s[0:3], 0 offset:612
	buffer_store_dword v0, off, s[0:3], 0 offset:608
	;; [unrolled: 1-line block ×4, first 2 shown]
	s_and_saveexec_b64 s[4:5], vcc
	s_cbranch_execz .LBB51_253
; %bb.252:
	v_accvgpr_read_b32 v0, a119
	buffer_load_dword v2, v0, s[0:3], 0 offen
	buffer_load_dword v3, v0, s[0:3], 0 offen offset:4
	buffer_load_dword v4, v0, s[0:3], 0 offen offset:8
	;; [unrolled: 1-line block ×3, first 2 shown]
	v_mov_b32_e32 v0, 0
	v_accvgpr_read_b32 v1, a156
	buffer_store_dword v0, off, s[0:3], 0 offset:592
	buffer_store_dword v0, off, s[0:3], 0 offset:596
	;; [unrolled: 1-line block ×4, first 2 shown]
	s_waitcnt vmcnt(4)
	ds_write_b128 v1, v[2:5]
.LBB51_253:
	s_or_b64 exec, exec, s[4:5]
	s_waitcnt lgkmcnt(0)
	; wave barrier
	s_waitcnt lgkmcnt(0)
	buffer_load_dword v2, off, s[0:3], 0 offset:608
	buffer_load_dword v3, off, s[0:3], 0 offset:612
	;; [unrolled: 1-line block ×64, first 2 shown]
	v_mov_b32_e32 v46, 0
	ds_read_b128 v[38:41], v46 offset:1424
	ds_read_b128 v[42:45], v46 offset:1440
	;; [unrolled: 1-line block ×7, first 2 shown]
	v_cmp_lt_u32_e32 vcc, 35, v255
	s_waitcnt vmcnt(60) lgkmcnt(6)
	v_mul_f64 v[64:65], v[38:39], v[4:5]
	v_fmac_f64_e32 v[64:65], v[40:41], v[2:3]
	s_waitcnt vmcnt(58) lgkmcnt(5)
	v_mul_f64 v[66:67], v[42:43], v[6:7]
	v_add_f64 v[64:65], v[64:65], 0
	s_waitcnt vmcnt(56) lgkmcnt(4)
	v_mul_f64 v[68:69], v[48:49], v[8:9]
	v_mul_f64 v[4:5], v[40:41], v[4:5]
	s_waitcnt vmcnt(54) lgkmcnt(2)
	v_mul_f64 v[72:73], v[56:57], v[10:11]
	v_fma_f64 v[2:3], v[38:39], v[2:3], -v[4:5]
	v_mul_f64 v[4:5], v[44:45], v[6:7]
	s_waitcnt vmcnt(51)
	v_mul_f64 v[70:71], v[52:53], v[14:15]
	v_add_f64 v[2:3], v[2:3], 0
	s_waitcnt vmcnt(49)
	v_fmac_f64_e32 v[66:67], v[44:45], v[20:21]
	v_add_f64 v[64:65], v[64:65], v[66:67]
	s_waitcnt vmcnt(47)
	v_fmac_f64_e32 v[68:69], v[50:51], v[18:19]
	;; [unrolled: 3-line block ×4, first 2 shown]
	v_add_f64 v[68:69], v[64:65], v[72:73]
	ds_read_b128 v[64:67], v46 offset:1520
	s_waitcnt vmcnt(40) lgkmcnt(2)
	v_mul_f64 v[70:71], v[60:61], v[26:27]
	v_fma_f64 v[4:5], v[42:43], v[20:21], -v[4:5]
	s_waitcnt vmcnt(38)
	v_fmac_f64_e32 v[70:71], v[62:63], v[28:29]
	v_add_f64 v[72:73], v[68:69], v[70:71]
	ds_read_b128 v[68:71], v46 offset:1536
	s_waitcnt vmcnt(37) lgkmcnt(1)
	v_mul_f64 v[74:75], v[64:65], v[22:23]
	s_waitcnt vmcnt(36)
	v_fmac_f64_e32 v[74:75], v[66:67], v[24:25]
	v_add_f64 v[76:77], v[72:73], v[74:75]
	ds_read_b128 v[72:75], v46 offset:1552
	s_waitcnt vmcnt(32) lgkmcnt(1)
	v_mul_f64 v[78:79], v[68:69], v[34:35]
	v_add_f64 v[2:3], v[2:3], v[4:5]
	v_mul_f64 v[4:5], v[50:51], v[8:9]
	s_waitcnt vmcnt(30)
	v_fmac_f64_e32 v[78:79], v[70:71], v[36:37]
	v_fma_f64 v[4:5], v[48:49], v[18:19], -v[4:5]
	v_add_f64 v[80:81], v[76:77], v[78:79]
	ds_read_b128 v[76:79], v46 offset:1568
	v_add_f64 v[2:3], v[2:3], v[4:5]
	v_mul_f64 v[4:5], v[54:55], v[14:15]
	v_fma_f64 v[4:5], v[52:53], v[16:17], -v[4:5]
	v_add_f64 v[2:3], v[2:3], v[4:5]
	v_mul_f64 v[4:5], v[58:59], v[10:11]
	s_waitcnt vmcnt(29) lgkmcnt(1)
	v_mul_f64 v[82:83], v[72:73], v[30:31]
	v_fma_f64 v[4:5], v[56:57], v[12:13], -v[4:5]
	s_waitcnt vmcnt(28)
	v_fmac_f64_e32 v[82:83], v[74:75], v[32:33]
	v_add_f64 v[2:3], v[2:3], v[4:5]
	v_mul_f64 v[4:5], v[62:63], v[26:27]
	v_add_f64 v[84:85], v[80:81], v[82:83]
	ds_read_b128 v[80:83], v46 offset:1584
	s_waitcnt vmcnt(24) lgkmcnt(1)
	v_mul_f64 v[86:87], v[76:77], v[102:103]
	v_fma_f64 v[4:5], v[60:61], v[28:29], -v[4:5]
	s_waitcnt vmcnt(22)
	v_fmac_f64_e32 v[86:87], v[78:79], v[104:105]
	v_add_f64 v[2:3], v[2:3], v[4:5]
	v_mul_f64 v[4:5], v[66:67], v[22:23]
	v_add_f64 v[88:89], v[84:85], v[86:87]
	ds_read_b128 v[84:87], v46 offset:1600
	v_fma_f64 v[4:5], v[64:65], v[24:25], -v[4:5]
	v_add_f64 v[2:3], v[2:3], v[4:5]
	v_mul_f64 v[4:5], v[70:71], v[34:35]
	v_fma_f64 v[4:5], v[68:69], v[36:37], -v[4:5]
	s_waitcnt vmcnt(21) lgkmcnt(1)
	v_mul_f64 v[90:91], v[80:81], v[0:1]
	v_add_f64 v[2:3], v[2:3], v[4:5]
	v_mul_f64 v[4:5], v[74:75], v[30:31]
	s_waitcnt vmcnt(20)
	v_fmac_f64_e32 v[90:91], v[82:83], v[100:101]
	v_fma_f64 v[4:5], v[72:73], v[32:33], -v[4:5]
	v_add_f64 v[92:93], v[88:89], v[90:91]
	ds_read_b128 v[88:91], v46 offset:1616
	s_waitcnt vmcnt(16) lgkmcnt(1)
	v_mul_f64 v[94:95], v[84:85], v[110:111]
	v_add_f64 v[2:3], v[2:3], v[4:5]
	v_mul_f64 v[4:5], v[78:79], v[102:103]
	s_waitcnt vmcnt(14)
	v_fmac_f64_e32 v[94:95], v[86:87], v[112:113]
	v_fma_f64 v[4:5], v[76:77], v[104:105], -v[4:5]
	v_mul_f64 v[0:1], v[82:83], v[0:1]
	v_add_f64 v[126:127], v[92:93], v[94:95]
	ds_read_b128 v[92:95], v46 offset:1632
	v_add_f64 v[2:3], v[2:3], v[4:5]
	v_fma_f64 v[0:1], v[80:81], v[100:101], -v[0:1]
	v_add_f64 v[0:1], v[2:3], v[0:1]
	v_mul_f64 v[2:3], v[86:87], v[110:111]
	v_fma_f64 v[2:3], v[84:85], v[112:113], -v[2:3]
	v_add_f64 v[0:1], v[0:1], v[2:3]
	s_waitcnt vmcnt(13) lgkmcnt(1)
	v_mul_f64 v[2:3], v[90:91], v[106:107]
	v_mul_f64 v[128:129], v[88:89], v[106:107]
	s_waitcnt vmcnt(12)
	v_fma_f64 v[2:3], v[88:89], v[108:109], -v[2:3]
	v_fmac_f64_e32 v[128:129], v[90:91], v[108:109]
	v_add_f64 v[0:1], v[0:1], v[2:3]
	s_waitcnt vmcnt(8) lgkmcnt(0)
	v_mul_f64 v[2:3], v[94:95], v[118:119]
	v_add_f64 v[126:127], v[126:127], v[128:129]
	v_mul_f64 v[128:129], v[92:93], v[118:119]
	s_waitcnt vmcnt(6)
	v_fma_f64 v[2:3], v[92:93], v[120:121], -v[2:3]
	v_fmac_f64_e32 v[128:129], v[94:95], v[120:121]
	v_add_f64 v[0:1], v[0:1], v[2:3]
	s_waitcnt vmcnt(5)
	v_mul_f64 v[2:3], v[98:99], v[114:115]
	v_add_f64 v[126:127], v[126:127], v[128:129]
	v_mul_f64 v[128:129], v[96:97], v[114:115]
	s_waitcnt vmcnt(4)
	v_fma_f64 v[2:3], v[96:97], v[116:117], -v[2:3]
	v_fmac_f64_e32 v[128:129], v[98:99], v[116:117]
	v_add_f64 v[0:1], v[0:1], v[2:3]
	v_add_f64 v[126:127], v[126:127], v[128:129]
	s_waitcnt vmcnt(2)
	v_add_f64 v[0:1], v[122:123], -v[0:1]
	s_waitcnt vmcnt(0)
	v_add_f64 v[2:3], v[124:125], -v[126:127]
	buffer_store_dword v1, off, s[0:3], 0 offset:596
	buffer_store_dword v0, off, s[0:3], 0 offset:592
	;; [unrolled: 1-line block ×4, first 2 shown]
	s_and_saveexec_b64 s[4:5], vcc
	s_cbranch_execz .LBB51_255
; %bb.254:
	v_accvgpr_read_b32 v0, a120
	buffer_load_dword v2, v0, s[0:3], 0 offen
	buffer_load_dword v3, v0, s[0:3], 0 offen offset:4
	buffer_load_dword v4, v0, s[0:3], 0 offen offset:8
	;; [unrolled: 1-line block ×3, first 2 shown]
	v_accvgpr_read_b32 v0, a156
	buffer_store_dword v46, off, s[0:3], 0 offset:576
	buffer_store_dword v46, off, s[0:3], 0 offset:580
	;; [unrolled: 1-line block ×4, first 2 shown]
	s_waitcnt vmcnt(4)
	ds_write_b128 v0, v[2:5]
.LBB51_255:
	s_or_b64 exec, exec, s[4:5]
	s_waitcnt lgkmcnt(0)
	; wave barrier
	s_waitcnt lgkmcnt(0)
	buffer_load_dword v2, off, s[0:3], 0 offset:592
	buffer_load_dword v3, off, s[0:3], 0 offset:596
	;; [unrolled: 1-line block ×64, first 2 shown]
	ds_read_b128 v[48:51], v46 offset:1408
	ds_read_b128 v[52:55], v46 offset:1424
	;; [unrolled: 1-line block ×4, first 2 shown]
	buffer_load_dword v130, off, s[0:3], 0 offset:576
	buffer_load_dword v131, off, s[0:3], 0 offset:580
	;; [unrolled: 1-line block ×4, first 2 shown]
	v_cmp_lt_u32_e32 vcc, 34, v255
	ds_read_b128 v[108:111], v46 offset:1648
	s_waitcnt vmcnt(62) lgkmcnt(4)
	v_mul_f64 v[64:65], v[48:49], v[4:5]
	v_fmac_f64_e32 v[64:65], v[50:51], v[2:3]
	v_add_f64 v[64:65], v[64:65], 0
	s_waitcnt lgkmcnt(2)
	v_mul_f64 v[68:69], v[56:57], v[6:7]
	v_mul_f64 v[4:5], v[50:51], v[4:5]
	v_fma_f64 v[2:3], v[48:49], v[2:3], -v[4:5]
	s_waitcnt vmcnt(58) lgkmcnt(1)
	v_mul_f64 v[70:71], v[60:61], v[12:13]
	v_add_f64 v[2:3], v[2:3], 0
	s_waitcnt vmcnt(56)
	v_mul_f64 v[66:67], v[52:53], v[18:19]
	v_mul_f64 v[4:5], v[54:55], v[18:19]
	s_waitcnt vmcnt(53)
	v_fmac_f64_e32 v[68:69], v[58:59], v[16:17]
	s_waitcnt vmcnt(52)
	v_fmac_f64_e32 v[66:67], v[54:55], v[20:21]
	v_add_f64 v[72:73], v[64:65], v[66:67]
	ds_read_b128 v[64:67], v46 offset:1472
	v_add_f64 v[68:69], v[72:73], v[68:69]
	s_waitcnt vmcnt(50)
	v_fmac_f64_e32 v[70:71], v[62:63], v[14:15]
	v_add_f64 v[72:73], v[68:69], v[70:71]
	ds_read_b128 v[68:71], v46 offset:1488
	s_waitcnt vmcnt(49) lgkmcnt(1)
	v_mul_f64 v[74:75], v[64:65], v[8:9]
	s_waitcnt vmcnt(48)
	v_fmac_f64_e32 v[74:75], v[66:67], v[10:11]
	v_add_f64 v[76:77], v[72:73], v[74:75]
	ds_read_b128 v[72:75], v46 offset:1504
	s_waitcnt vmcnt(44) lgkmcnt(1)
	v_mul_f64 v[78:79], v[68:69], v[26:27]
	;; [unrolled: 6-line block ×3, first 2 shown]
	s_waitcnt vmcnt(40)
	v_fmac_f64_e32 v[82:83], v[74:75], v[24:25]
	v_add_f64 v[84:85], v[80:81], v[82:83]
	ds_read_b128 v[80:83], v46 offset:1536
	v_fma_f64 v[4:5], v[52:53], v[20:21], -v[4:5]
	s_waitcnt vmcnt(36) lgkmcnt(1)
	v_mul_f64 v[86:87], v[76:77], v[34:35]
	v_add_f64 v[2:3], v[2:3], v[4:5]
	v_mul_f64 v[4:5], v[58:59], v[6:7]
	s_waitcnt vmcnt(34)
	v_fmac_f64_e32 v[86:87], v[78:79], v[36:37]
	v_fma_f64 v[4:5], v[56:57], v[16:17], -v[4:5]
	v_add_f64 v[88:89], v[84:85], v[86:87]
	ds_read_b128 v[84:87], v46 offset:1552
	s_waitcnt vmcnt(33) lgkmcnt(1)
	v_mul_f64 v[90:91], v[80:81], v[30:31]
	v_add_f64 v[2:3], v[2:3], v[4:5]
	v_mul_f64 v[4:5], v[62:63], v[12:13]
	s_waitcnt vmcnt(32)
	v_fmac_f64_e32 v[90:91], v[82:83], v[32:33]
	v_fma_f64 v[4:5], v[60:61], v[14:15], -v[4:5]
	v_add_f64 v[92:93], v[88:89], v[90:91]
	ds_read_b128 v[88:91], v46 offset:1568
	v_add_f64 v[2:3], v[2:3], v[4:5]
	v_mul_f64 v[4:5], v[66:67], v[8:9]
	v_fma_f64 v[4:5], v[64:65], v[10:11], -v[4:5]
	v_add_f64 v[2:3], v[2:3], v[4:5]
	v_mul_f64 v[4:5], v[70:71], v[26:27]
	s_waitcnt vmcnt(28) lgkmcnt(1)
	v_mul_f64 v[94:95], v[84:85], v[42:43]
	v_fma_f64 v[4:5], v[68:69], v[28:29], -v[4:5]
	s_waitcnt vmcnt(26)
	v_fmac_f64_e32 v[94:95], v[86:87], v[44:45]
	v_add_f64 v[2:3], v[2:3], v[4:5]
	v_mul_f64 v[4:5], v[74:75], v[22:23]
	v_add_f64 v[96:97], v[92:93], v[94:95]
	ds_read_b128 v[92:95], v46 offset:1584
	s_waitcnt vmcnt(25) lgkmcnt(1)
	v_mul_f64 v[98:99], v[88:89], v[38:39]
	v_fma_f64 v[4:5], v[72:73], v[24:25], -v[4:5]
	s_waitcnt vmcnt(24)
	v_fmac_f64_e32 v[98:99], v[90:91], v[40:41]
	v_add_f64 v[2:3], v[2:3], v[4:5]
	v_mul_f64 v[4:5], v[78:79], v[34:35]
	v_add_f64 v[100:101], v[96:97], v[98:99]
	ds_read_b128 v[96:99], v46 offset:1600
	v_fma_f64 v[4:5], v[76:77], v[36:37], -v[4:5]
	v_add_f64 v[2:3], v[2:3], v[4:5]
	v_mul_f64 v[4:5], v[82:83], v[30:31]
	v_fma_f64 v[4:5], v[80:81], v[32:33], -v[4:5]
	s_waitcnt vmcnt(20) lgkmcnt(1)
	v_mul_f64 v[102:103], v[92:93], v[114:115]
	v_add_f64 v[2:3], v[2:3], v[4:5]
	v_mul_f64 v[4:5], v[86:87], v[42:43]
	s_waitcnt vmcnt(18)
	v_fmac_f64_e32 v[102:103], v[94:95], v[116:117]
	v_fma_f64 v[4:5], v[84:85], v[44:45], -v[4:5]
	v_add_f64 v[104:105], v[100:101], v[102:103]
	ds_read_b128 v[100:103], v46 offset:1616
	s_waitcnt vmcnt(17) lgkmcnt(1)
	v_mul_f64 v[106:107], v[96:97], v[0:1]
	v_add_f64 v[2:3], v[2:3], v[4:5]
	v_mul_f64 v[4:5], v[90:91], v[38:39]
	s_waitcnt vmcnt(16)
	v_fmac_f64_e32 v[106:107], v[98:99], v[112:113]
	v_fma_f64 v[4:5], v[88:89], v[40:41], -v[4:5]
	v_add_f64 v[134:135], v[104:105], v[106:107]
	ds_read_b128 v[104:107], v46 offset:1632
	v_add_f64 v[2:3], v[2:3], v[4:5]
	v_mul_f64 v[4:5], v[94:95], v[114:115]
	v_fma_f64 v[4:5], v[92:93], v[116:117], -v[4:5]
	v_mul_f64 v[0:1], v[98:99], v[0:1]
	v_add_f64 v[2:3], v[2:3], v[4:5]
	v_fma_f64 v[0:1], v[96:97], v[112:113], -v[0:1]
	v_add_f64 v[0:1], v[2:3], v[0:1]
	s_waitcnt vmcnt(12) lgkmcnt(1)
	v_mul_f64 v[2:3], v[102:103], v[122:123]
	v_mul_f64 v[136:137], v[100:101], v[122:123]
	s_waitcnt vmcnt(10)
	v_fma_f64 v[2:3], v[100:101], v[124:125], -v[2:3]
	v_fmac_f64_e32 v[136:137], v[102:103], v[124:125]
	v_add_f64 v[0:1], v[0:1], v[2:3]
	s_waitcnt vmcnt(9) lgkmcnt(0)
	v_mul_f64 v[2:3], v[106:107], v[118:119]
	v_add_f64 v[46:47], v[134:135], v[136:137]
	v_mul_f64 v[134:135], v[104:105], v[118:119]
	s_waitcnt vmcnt(8)
	v_fma_f64 v[2:3], v[104:105], v[120:121], -v[2:3]
	v_fmac_f64_e32 v[134:135], v[106:107], v[120:121]
	v_add_f64 v[0:1], v[0:1], v[2:3]
	s_waitcnt vmcnt(6)
	v_mul_f64 v[2:3], v[110:111], v[126:127]
	v_add_f64 v[46:47], v[46:47], v[134:135]
	v_mul_f64 v[134:135], v[108:109], v[126:127]
	s_waitcnt vmcnt(4)
	v_fma_f64 v[2:3], v[108:109], v[128:129], -v[2:3]
	v_fmac_f64_e32 v[134:135], v[110:111], v[128:129]
	v_add_f64 v[0:1], v[0:1], v[2:3]
	v_add_f64 v[46:47], v[46:47], v[134:135]
	s_waitcnt vmcnt(2)
	v_add_f64 v[0:1], v[130:131], -v[0:1]
	s_waitcnt vmcnt(0)
	v_add_f64 v[2:3], v[132:133], -v[46:47]
	buffer_store_dword v1, off, s[0:3], 0 offset:580
	buffer_store_dword v0, off, s[0:3], 0 offset:576
	;; [unrolled: 1-line block ×4, first 2 shown]
	s_and_saveexec_b64 s[4:5], vcc
	s_cbranch_execz .LBB51_257
; %bb.256:
	v_accvgpr_read_b32 v0, a121
	buffer_load_dword v2, v0, s[0:3], 0 offen
	buffer_load_dword v3, v0, s[0:3], 0 offen offset:4
	buffer_load_dword v4, v0, s[0:3], 0 offen offset:8
	;; [unrolled: 1-line block ×3, first 2 shown]
	v_mov_b32_e32 v0, 0
	v_accvgpr_read_b32 v1, a156
	buffer_store_dword v0, off, s[0:3], 0 offset:560
	buffer_store_dword v0, off, s[0:3], 0 offset:564
	;; [unrolled: 1-line block ×4, first 2 shown]
	s_waitcnt vmcnt(4)
	ds_write_b128 v1, v[2:5]
.LBB51_257:
	s_or_b64 exec, exec, s[4:5]
	s_waitcnt lgkmcnt(0)
	; wave barrier
	s_waitcnt lgkmcnt(0)
	buffer_load_dword v2, off, s[0:3], 0 offset:576
	buffer_load_dword v3, off, s[0:3], 0 offset:580
	;; [unrolled: 1-line block ×68, first 2 shown]
	v_mov_b32_e32 v52, 0
	buffer_load_dword v138, off, s[0:3], 0 offset:560
	buffer_load_dword v139, off, s[0:3], 0 offset:564
	;; [unrolled: 1-line block ×3, first 2 shown]
	ds_read_b128 v[46:49], v52 offset:1392
	ds_read_b128 v[54:57], v52 offset:1408
	buffer_load_dword v141, off, s[0:3], 0 offset:572
	ds_read_b128 v[58:61], v52 offset:1424
	ds_read_b128 v[62:65], v52 offset:1440
	;; [unrolled: 1-line block ×3, first 2 shown]
	v_cmp_lt_u32_e32 vcc, 33, v255
	s_waitcnt vmcnt(62) lgkmcnt(4)
	v_mul_f64 v[66:67], v[46:47], v[6:7]
	v_fmac_f64_e32 v[66:67], v[48:49], v[2:3]
	v_add_f64 v[66:67], v[66:67], 0
	v_mul_f64 v[6:7], v[48:49], v[6:7]
	s_waitcnt lgkmcnt(3)
	v_mul_f64 v[68:69], v[54:55], v[10:11]
	v_fmac_f64_e32 v[68:69], v[56:57], v[4:5]
	v_add_f64 v[66:67], v[66:67], v[68:69]
	v_fma_f64 v[2:3], v[46:47], v[2:3], -v[6:7]
	s_waitcnt vmcnt(60) lgkmcnt(2)
	v_mul_f64 v[68:69], v[58:59], v[12:13]
	v_fmac_f64_e32 v[68:69], v[60:61], v[8:9]
	v_add_f64 v[70:71], v[66:67], v[68:69]
	ds_read_b128 v[66:69], v52 offset:1456
	s_waitcnt vmcnt(56) lgkmcnt(2)
	v_mul_f64 v[72:73], v[62:63], v[18:19]
	v_mul_f64 v[6:7], v[56:57], v[10:11]
	s_waitcnt vmcnt(54)
	v_fmac_f64_e32 v[72:73], v[64:65], v[20:21]
	v_add_f64 v[74:75], v[70:71], v[72:73]
	ds_read_b128 v[70:73], v52 offset:1472
	s_waitcnt vmcnt(53) lgkmcnt(1)
	v_mul_f64 v[76:77], v[66:67], v[14:15]
	s_waitcnt vmcnt(52)
	v_fmac_f64_e32 v[76:77], v[68:69], v[16:17]
	v_add_f64 v[78:79], v[74:75], v[76:77]
	ds_read_b128 v[74:77], v52 offset:1488
	s_waitcnt vmcnt(48) lgkmcnt(1)
	;; [unrolled: 6-line block ×4, first 2 shown]
	v_mul_f64 v[88:89], v[78:79], v[34:35]
	s_waitcnt vmcnt(38)
	v_fmac_f64_e32 v[88:89], v[80:81], v[36:37]
	v_add_f64 v[90:91], v[86:87], v[88:89]
	ds_read_b128 v[86:89], v52 offset:1536
	v_add_f64 v[2:3], v[2:3], 0
	v_fma_f64 v[4:5], v[54:55], v[4:5], -v[6:7]
	v_add_f64 v[2:3], v[2:3], v[4:5]
	v_mul_f64 v[4:5], v[60:61], v[12:13]
	v_fma_f64 v[4:5], v[58:59], v[8:9], -v[4:5]
	s_waitcnt vmcnt(37) lgkmcnt(1)
	v_mul_f64 v[92:93], v[82:83], v[30:31]
	v_add_f64 v[2:3], v[2:3], v[4:5]
	v_mul_f64 v[4:5], v[64:65], v[18:19]
	s_waitcnt vmcnt(36)
	v_fmac_f64_e32 v[92:93], v[84:85], v[32:33]
	v_fma_f64 v[4:5], v[62:63], v[20:21], -v[4:5]
	v_add_f64 v[94:95], v[90:91], v[92:93]
	ds_read_b128 v[90:93], v52 offset:1552
	s_waitcnt vmcnt(32) lgkmcnt(1)
	v_mul_f64 v[96:97], v[86:87], v[42:43]
	v_add_f64 v[2:3], v[2:3], v[4:5]
	v_mul_f64 v[4:5], v[68:69], v[14:15]
	s_waitcnt vmcnt(30)
	v_fmac_f64_e32 v[96:97], v[88:89], v[44:45]
	v_fma_f64 v[4:5], v[66:67], v[16:17], -v[4:5]
	v_add_f64 v[98:99], v[94:95], v[96:97]
	ds_read_b128 v[94:97], v52 offset:1568
	v_add_f64 v[2:3], v[2:3], v[4:5]
	v_mul_f64 v[4:5], v[72:73], v[26:27]
	v_fma_f64 v[4:5], v[70:71], v[28:29], -v[4:5]
	v_add_f64 v[2:3], v[2:3], v[4:5]
	v_mul_f64 v[4:5], v[76:77], v[22:23]
	s_waitcnt vmcnt(29) lgkmcnt(1)
	v_mul_f64 v[100:101], v[90:91], v[38:39]
	v_fma_f64 v[4:5], v[74:75], v[24:25], -v[4:5]
	s_waitcnt vmcnt(28)
	v_fmac_f64_e32 v[100:101], v[92:93], v[40:41]
	v_add_f64 v[2:3], v[2:3], v[4:5]
	v_mul_f64 v[4:5], v[80:81], v[34:35]
	v_add_f64 v[102:103], v[98:99], v[100:101]
	ds_read_b128 v[98:101], v52 offset:1584
	s_waitcnt vmcnt(24) lgkmcnt(1)
	v_mul_f64 v[104:105], v[94:95], v[118:119]
	v_fma_f64 v[4:5], v[78:79], v[36:37], -v[4:5]
	s_waitcnt vmcnt(22)
	v_fmac_f64_e32 v[104:105], v[96:97], v[120:121]
	v_add_f64 v[2:3], v[2:3], v[4:5]
	v_mul_f64 v[4:5], v[84:85], v[30:31]
	v_add_f64 v[106:107], v[102:103], v[104:105]
	ds_read_b128 v[102:105], v52 offset:1600
	v_fma_f64 v[4:5], v[82:83], v[32:33], -v[4:5]
	v_add_f64 v[2:3], v[2:3], v[4:5]
	v_mul_f64 v[4:5], v[88:89], v[42:43]
	v_fma_f64 v[4:5], v[86:87], v[44:45], -v[4:5]
	s_waitcnt vmcnt(21) lgkmcnt(1)
	v_mul_f64 v[108:109], v[98:99], v[0:1]
	v_add_f64 v[2:3], v[2:3], v[4:5]
	v_mul_f64 v[4:5], v[92:93], v[38:39]
	s_waitcnt vmcnt(20)
	v_fmac_f64_e32 v[108:109], v[100:101], v[50:51]
	v_fma_f64 v[4:5], v[90:91], v[40:41], -v[4:5]
	v_add_f64 v[110:111], v[106:107], v[108:109]
	ds_read_b128 v[106:109], v52 offset:1616
	s_waitcnt vmcnt(16) lgkmcnt(1)
	v_mul_f64 v[112:113], v[102:103], v[126:127]
	v_add_f64 v[2:3], v[2:3], v[4:5]
	v_mul_f64 v[4:5], v[96:97], v[118:119]
	s_waitcnt vmcnt(14)
	v_fmac_f64_e32 v[112:113], v[104:105], v[128:129]
	v_fma_f64 v[4:5], v[94:95], v[120:121], -v[4:5]
	v_mul_f64 v[0:1], v[100:101], v[0:1]
	v_add_f64 v[142:143], v[110:111], v[112:113]
	ds_read_b128 v[110:113], v52 offset:1632
	v_add_f64 v[2:3], v[2:3], v[4:5]
	v_fma_f64 v[0:1], v[98:99], v[50:51], -v[0:1]
	v_add_f64 v[0:1], v[2:3], v[0:1]
	v_mul_f64 v[2:3], v[104:105], v[126:127]
	v_fma_f64 v[2:3], v[102:103], v[128:129], -v[2:3]
	v_add_f64 v[0:1], v[0:1], v[2:3]
	s_waitcnt vmcnt(13) lgkmcnt(1)
	v_mul_f64 v[2:3], v[108:109], v[122:123]
	v_mul_f64 v[144:145], v[106:107], v[122:123]
	s_waitcnt vmcnt(12)
	v_fma_f64 v[2:3], v[106:107], v[124:125], -v[2:3]
	v_fmac_f64_e32 v[144:145], v[108:109], v[124:125]
	v_add_f64 v[0:1], v[0:1], v[2:3]
	s_waitcnt vmcnt(8) lgkmcnt(0)
	v_mul_f64 v[2:3], v[112:113], v[134:135]
	v_add_f64 v[142:143], v[142:143], v[144:145]
	v_mul_f64 v[144:145], v[110:111], v[134:135]
	s_waitcnt vmcnt(6)
	v_fma_f64 v[2:3], v[110:111], v[136:137], -v[2:3]
	v_fmac_f64_e32 v[144:145], v[112:113], v[136:137]
	v_add_f64 v[0:1], v[0:1], v[2:3]
	s_waitcnt vmcnt(5)
	v_mul_f64 v[2:3], v[116:117], v[130:131]
	v_add_f64 v[142:143], v[142:143], v[144:145]
	v_mul_f64 v[144:145], v[114:115], v[130:131]
	s_waitcnt vmcnt(4)
	v_fma_f64 v[2:3], v[114:115], v[132:133], -v[2:3]
	v_fmac_f64_e32 v[144:145], v[116:117], v[132:133]
	v_add_f64 v[0:1], v[0:1], v[2:3]
	v_add_f64 v[142:143], v[142:143], v[144:145]
	s_waitcnt vmcnt(2)
	v_add_f64 v[0:1], v[138:139], -v[0:1]
	s_waitcnt vmcnt(0)
	v_add_f64 v[2:3], v[140:141], -v[142:143]
	buffer_store_dword v1, off, s[0:3], 0 offset:564
	buffer_store_dword v0, off, s[0:3], 0 offset:560
	buffer_store_dword v3, off, s[0:3], 0 offset:572
	buffer_store_dword v2, off, s[0:3], 0 offset:568
	s_and_saveexec_b64 s[4:5], vcc
	s_cbranch_execz .LBB51_259
; %bb.258:
	v_accvgpr_read_b32 v0, a122
	buffer_load_dword v2, v0, s[0:3], 0 offen
	buffer_load_dword v3, v0, s[0:3], 0 offen offset:4
	buffer_load_dword v4, v0, s[0:3], 0 offen offset:8
	;; [unrolled: 1-line block ×3, first 2 shown]
	v_accvgpr_read_b32 v0, a156
	buffer_store_dword v52, off, s[0:3], 0 offset:544
	buffer_store_dword v52, off, s[0:3], 0 offset:548
	;; [unrolled: 1-line block ×4, first 2 shown]
	s_waitcnt vmcnt(4)
	ds_write_b128 v0, v[2:5]
.LBB51_259:
	s_or_b64 exec, exec, s[4:5]
	s_waitcnt lgkmcnt(0)
	; wave barrier
	s_waitcnt lgkmcnt(0)
	buffer_load_dword v2, off, s[0:3], 0 offset:560
	buffer_load_dword v3, off, s[0:3], 0 offset:564
	buffer_load_dword v8, off, s[0:3], 0 offset:568
	buffer_load_dword v9, off, s[0:3], 0 offset:572
	buffer_load_dword v4, off, s[0:3], 0 offset:576
	buffer_load_dword v5, off, s[0:3], 0 offset:580
	buffer_load_dword v10, off, s[0:3], 0 offset:584
	buffer_load_dword v11, off, s[0:3], 0 offset:588
	buffer_load_dword v6, off, s[0:3], 0 offset:592
	buffer_load_dword v7, off, s[0:3], 0 offset:596
	buffer_load_dword v12, off, s[0:3], 0 offset:600
	buffer_load_dword v13, off, s[0:3], 0 offset:604
	buffer_load_dword v15, off, s[0:3], 0 offset:636
	buffer_load_dword v17, off, s[0:3], 0 offset:628
	buffer_load_dword v19, off, s[0:3], 0 offset:620
	buffer_load_dword v18, off, s[0:3], 0 offset:616
	buffer_load_dword v21, off, s[0:3], 0 offset:612
	buffer_load_dword v20, off, s[0:3], 0 offset:608
	buffer_load_dword v14, off, s[0:3], 0 offset:632
	buffer_load_dword v16, off, s[0:3], 0 offset:624
	buffer_load_dword v23, off, s[0:3], 0 offset:668
	buffer_load_dword v25, off, s[0:3], 0 offset:660
	buffer_load_dword v27, off, s[0:3], 0 offset:652
	buffer_load_dword v26, off, s[0:3], 0 offset:648
	buffer_load_dword v29, off, s[0:3], 0 offset:644
	buffer_load_dword v28, off, s[0:3], 0 offset:640
	buffer_load_dword v22, off, s[0:3], 0 offset:664
	buffer_load_dword v24, off, s[0:3], 0 offset:656
	buffer_load_dword v31, off, s[0:3], 0 offset:700
	buffer_load_dword v33, off, s[0:3], 0 offset:692
	buffer_load_dword v35, off, s[0:3], 0 offset:684
	buffer_load_dword v34, off, s[0:3], 0 offset:680
	buffer_load_dword v37, off, s[0:3], 0 offset:676
	buffer_load_dword v36, off, s[0:3], 0 offset:672
	buffer_load_dword v30, off, s[0:3], 0 offset:696
	buffer_load_dword v32, off, s[0:3], 0 offset:688
	buffer_load_dword v39, off, s[0:3], 0 offset:732
	buffer_load_dword v41, off, s[0:3], 0 offset:724
	buffer_load_dword v43, off, s[0:3], 0 offset:716
	buffer_load_dword v42, off, s[0:3], 0 offset:712
	buffer_load_dword v45, off, s[0:3], 0 offset:708
	buffer_load_dword v44, off, s[0:3], 0 offset:704
	buffer_load_dword v38, off, s[0:3], 0 offset:728
	buffer_load_dword v40, off, s[0:3], 0 offset:720
	buffer_load_dword v47, off, s[0:3], 0 offset:764
	buffer_load_dword v49, off, s[0:3], 0 offset:756
	buffer_load_dword v51, off, s[0:3], 0 offset:748
	buffer_load_dword v50, off, s[0:3], 0 offset:744
	buffer_load_dword v1, off, s[0:3], 0 offset:740
	buffer_load_dword v0, off, s[0:3], 0 offset:736
	buffer_load_dword v46, off, s[0:3], 0 offset:760
	buffer_load_dword v48, off, s[0:3], 0 offset:752
	buffer_load_dword v127, off, s[0:3], 0 offset:796
	buffer_load_dword v129, off, s[0:3], 0 offset:788
	buffer_load_dword v131, off, s[0:3], 0 offset:780
	buffer_load_dword v130, off, s[0:3], 0 offset:776
	buffer_load_dword v133, off, s[0:3], 0 offset:772
	buffer_load_dword v132, off, s[0:3], 0 offset:768
	buffer_load_dword v126, off, s[0:3], 0 offset:792
	buffer_load_dword v128, off, s[0:3], 0 offset:784
	buffer_load_dword v135, off, s[0:3], 0 offset:828
	buffer_load_dword v137, off, s[0:3], 0 offset:820
	buffer_load_dword v139, off, s[0:3], 0 offset:812
	buffer_load_dword v138, off, s[0:3], 0 offset:808
	buffer_load_dword v141, off, s[0:3], 0 offset:804
	buffer_load_dword v140, off, s[0:3], 0 offset:800
	buffer_load_dword v134, off, s[0:3], 0 offset:824
	buffer_load_dword v136, off, s[0:3], 0 offset:816
	buffer_load_dword v143, off, s[0:3], 0 offset:844
	buffer_load_dword v142, off, s[0:3], 0 offset:840
	buffer_load_dword v145, off, s[0:3], 0 offset:836
	buffer_load_dword v144, off, s[0:3], 0 offset:832
	ds_read_b128 v[54:57], v52 offset:1376
	buffer_load_dword v146, off, s[0:3], 0 offset:544
	buffer_load_dword v147, off, s[0:3], 0 offset:548
	;; [unrolled: 1-line block ×4, first 2 shown]
	ds_read_b128 v[58:61], v52 offset:1392
	ds_read_b128 v[62:65], v52 offset:1408
	;; [unrolled: 1-line block ×3, first 2 shown]
	v_cmp_lt_u32_e32 vcc, 32, v255
	ds_read_b128 v[122:125], v52 offset:1648
	s_waitcnt vmcnt(62) lgkmcnt(4)
	v_mul_f64 v[70:71], v[54:55], v[8:9]
	v_fmac_f64_e32 v[70:71], v[56:57], v[2:3]
	v_add_f64 v[70:71], v[70:71], 0
	v_mul_f64 v[8:9], v[56:57], v[8:9]
	s_waitcnt lgkmcnt(3)
	v_mul_f64 v[72:73], v[58:59], v[10:11]
	v_fmac_f64_e32 v[72:73], v[60:61], v[4:5]
	v_add_f64 v[70:71], v[70:71], v[72:73]
	v_fma_f64 v[2:3], v[54:55], v[2:3], -v[8:9]
	s_waitcnt lgkmcnt(2)
	v_mul_f64 v[72:73], v[62:63], v[12:13]
	v_fmac_f64_e32 v[72:73], v[64:65], v[6:7]
	v_add_f64 v[74:75], v[70:71], v[72:73]
	ds_read_b128 v[70:73], v52 offset:1440
	s_waitcnt vmcnt(60) lgkmcnt(2)
	v_mul_f64 v[76:77], v[66:67], v[18:19]
	v_mul_f64 v[8:9], v[60:61], v[10:11]
	s_waitcnt vmcnt(58)
	v_fmac_f64_e32 v[76:77], v[68:69], v[20:21]
	v_add_f64 v[78:79], v[74:75], v[76:77]
	ds_read_b128 v[74:77], v52 offset:1456
	s_waitcnt vmcnt(57) lgkmcnt(1)
	v_mul_f64 v[80:81], v[70:71], v[14:15]
	s_waitcnt vmcnt(56)
	v_fmac_f64_e32 v[80:81], v[72:73], v[16:17]
	v_add_f64 v[82:83], v[78:79], v[80:81]
	ds_read_b128 v[78:81], v52 offset:1472
	s_waitcnt vmcnt(52) lgkmcnt(1)
	;; [unrolled: 6-line block ×4, first 2 shown]
	v_mul_f64 v[92:93], v[82:83], v[34:35]
	s_waitcnt vmcnt(42)
	v_fmac_f64_e32 v[92:93], v[84:85], v[36:37]
	v_add_f64 v[2:3], v[2:3], 0
	v_fma_f64 v[4:5], v[58:59], v[4:5], -v[8:9]
	v_add_f64 v[94:95], v[90:91], v[92:93]
	ds_read_b128 v[90:93], v52 offset:1520
	s_waitcnt vmcnt(41) lgkmcnt(1)
	v_mul_f64 v[96:97], v[86:87], v[30:31]
	v_add_f64 v[2:3], v[2:3], v[4:5]
	v_mul_f64 v[4:5], v[64:65], v[12:13]
	s_waitcnt vmcnt(40)
	v_fmac_f64_e32 v[96:97], v[88:89], v[32:33]
	v_fma_f64 v[4:5], v[62:63], v[6:7], -v[4:5]
	v_add_f64 v[98:99], v[94:95], v[96:97]
	ds_read_b128 v[94:97], v52 offset:1536
	v_add_f64 v[2:3], v[2:3], v[4:5]
	v_mul_f64 v[4:5], v[68:69], v[18:19]
	v_fma_f64 v[4:5], v[66:67], v[20:21], -v[4:5]
	v_add_f64 v[2:3], v[2:3], v[4:5]
	v_mul_f64 v[4:5], v[72:73], v[14:15]
	s_waitcnt vmcnt(36) lgkmcnt(1)
	v_mul_f64 v[100:101], v[90:91], v[42:43]
	v_fma_f64 v[4:5], v[70:71], v[16:17], -v[4:5]
	s_waitcnt vmcnt(34)
	v_fmac_f64_e32 v[100:101], v[92:93], v[44:45]
	v_add_f64 v[2:3], v[2:3], v[4:5]
	v_mul_f64 v[4:5], v[76:77], v[26:27]
	v_add_f64 v[102:103], v[98:99], v[100:101]
	ds_read_b128 v[98:101], v52 offset:1552
	s_waitcnt vmcnt(33) lgkmcnt(1)
	v_mul_f64 v[104:105], v[94:95], v[38:39]
	v_fma_f64 v[4:5], v[74:75], v[28:29], -v[4:5]
	s_waitcnt vmcnt(32)
	v_fmac_f64_e32 v[104:105], v[96:97], v[40:41]
	v_add_f64 v[2:3], v[2:3], v[4:5]
	v_mul_f64 v[4:5], v[80:81], v[22:23]
	v_add_f64 v[106:107], v[102:103], v[104:105]
	ds_read_b128 v[102:105], v52 offset:1568
	v_fma_f64 v[4:5], v[78:79], v[24:25], -v[4:5]
	v_add_f64 v[2:3], v[2:3], v[4:5]
	v_mul_f64 v[4:5], v[84:85], v[34:35]
	v_fma_f64 v[4:5], v[82:83], v[36:37], -v[4:5]
	s_waitcnt vmcnt(28) lgkmcnt(1)
	v_mul_f64 v[108:109], v[98:99], v[50:51]
	v_add_f64 v[2:3], v[2:3], v[4:5]
	v_mul_f64 v[4:5], v[88:89], v[30:31]
	s_waitcnt vmcnt(26)
	v_fmac_f64_e32 v[108:109], v[100:101], v[0:1]
	v_fma_f64 v[4:5], v[86:87], v[32:33], -v[4:5]
	v_add_f64 v[110:111], v[106:107], v[108:109]
	ds_read_b128 v[106:109], v52 offset:1584
	s_waitcnt vmcnt(25) lgkmcnt(1)
	v_mul_f64 v[112:113], v[102:103], v[46:47]
	v_add_f64 v[2:3], v[2:3], v[4:5]
	v_mul_f64 v[4:5], v[92:93], v[42:43]
	s_waitcnt vmcnt(24)
	v_fmac_f64_e32 v[112:113], v[104:105], v[48:49]
	v_fma_f64 v[4:5], v[90:91], v[44:45], -v[4:5]
	v_add_f64 v[114:115], v[110:111], v[112:113]
	ds_read_b128 v[110:113], v52 offset:1600
	v_add_f64 v[2:3], v[2:3], v[4:5]
	v_mul_f64 v[4:5], v[96:97], v[38:39]
	v_fma_f64 v[4:5], v[94:95], v[40:41], -v[4:5]
	v_add_f64 v[2:3], v[2:3], v[4:5]
	v_mul_f64 v[4:5], v[100:101], v[50:51]
	s_waitcnt vmcnt(20) lgkmcnt(1)
	v_mul_f64 v[116:117], v[106:107], v[130:131]
	v_fma_f64 v[0:1], v[98:99], v[0:1], -v[4:5]
	s_waitcnt vmcnt(18)
	v_fmac_f64_e32 v[116:117], v[108:109], v[132:133]
	v_add_f64 v[0:1], v[2:3], v[0:1]
	v_mul_f64 v[2:3], v[104:105], v[46:47]
	v_add_f64 v[118:119], v[114:115], v[116:117]
	ds_read_b128 v[114:117], v52 offset:1616
	s_waitcnt vmcnt(17) lgkmcnt(1)
	v_mul_f64 v[120:121], v[110:111], v[126:127]
	v_fma_f64 v[2:3], v[102:103], v[48:49], -v[2:3]
	s_waitcnt vmcnt(16)
	v_fmac_f64_e32 v[120:121], v[112:113], v[128:129]
	v_add_f64 v[0:1], v[0:1], v[2:3]
	v_mul_f64 v[2:3], v[108:109], v[130:131]
	v_add_f64 v[150:151], v[118:119], v[120:121]
	ds_read_b128 v[118:121], v52 offset:1632
	v_fma_f64 v[2:3], v[106:107], v[132:133], -v[2:3]
	v_add_f64 v[0:1], v[0:1], v[2:3]
	v_mul_f64 v[2:3], v[112:113], v[126:127]
	v_fma_f64 v[2:3], v[110:111], v[128:129], -v[2:3]
	v_add_f64 v[0:1], v[0:1], v[2:3]
	s_waitcnt vmcnt(12) lgkmcnt(1)
	v_mul_f64 v[2:3], v[116:117], v[138:139]
	v_mul_f64 v[152:153], v[114:115], v[138:139]
	s_waitcnt vmcnt(10)
	v_fma_f64 v[2:3], v[114:115], v[140:141], -v[2:3]
	v_fmac_f64_e32 v[152:153], v[116:117], v[140:141]
	v_add_f64 v[0:1], v[0:1], v[2:3]
	s_waitcnt vmcnt(9) lgkmcnt(0)
	v_mul_f64 v[2:3], v[120:121], v[134:135]
	v_add_f64 v[52:53], v[150:151], v[152:153]
	v_mul_f64 v[150:151], v[118:119], v[134:135]
	s_waitcnt vmcnt(8)
	v_fma_f64 v[2:3], v[118:119], v[136:137], -v[2:3]
	v_fmac_f64_e32 v[150:151], v[120:121], v[136:137]
	v_add_f64 v[0:1], v[0:1], v[2:3]
	s_waitcnt vmcnt(6)
	v_mul_f64 v[2:3], v[124:125], v[142:143]
	v_add_f64 v[52:53], v[52:53], v[150:151]
	v_mul_f64 v[150:151], v[122:123], v[142:143]
	s_waitcnt vmcnt(4)
	v_fma_f64 v[2:3], v[122:123], v[144:145], -v[2:3]
	v_fmac_f64_e32 v[150:151], v[124:125], v[144:145]
	v_add_f64 v[0:1], v[0:1], v[2:3]
	v_add_f64 v[52:53], v[52:53], v[150:151]
	s_waitcnt vmcnt(2)
	v_add_f64 v[0:1], v[146:147], -v[0:1]
	s_waitcnt vmcnt(0)
	v_add_f64 v[2:3], v[148:149], -v[52:53]
	buffer_store_dword v1, off, s[0:3], 0 offset:548
	buffer_store_dword v0, off, s[0:3], 0 offset:544
	;; [unrolled: 1-line block ×4, first 2 shown]
	s_and_saveexec_b64 s[4:5], vcc
	s_cbranch_execz .LBB51_261
; %bb.260:
	v_accvgpr_read_b32 v0, a123
	buffer_load_dword v2, v0, s[0:3], 0 offen
	buffer_load_dword v3, v0, s[0:3], 0 offen offset:4
	buffer_load_dword v4, v0, s[0:3], 0 offen offset:8
	;; [unrolled: 1-line block ×3, first 2 shown]
	v_mov_b32_e32 v0, 0
	v_accvgpr_read_b32 v1, a156
	buffer_store_dword v0, off, s[0:3], 0 offset:528
	buffer_store_dword v0, off, s[0:3], 0 offset:532
	buffer_store_dword v0, off, s[0:3], 0 offset:536
	buffer_store_dword v0, off, s[0:3], 0 offset:540
	s_waitcnt vmcnt(4)
	ds_write_b128 v1, v[2:5]
.LBB51_261:
	s_or_b64 exec, exec, s[4:5]
	s_waitcnt lgkmcnt(0)
	; wave barrier
	s_waitcnt lgkmcnt(0)
	buffer_load_dword v2, off, s[0:3], 0 offset:544
	buffer_load_dword v3, off, s[0:3], 0 offset:548
	;; [unrolled: 1-line block ×76, first 2 shown]
	v_mov_b32_e32 v54, 0
	ds_read_b128 v[56:59], v54 offset:1360
	buffer_load_dword v154, off, s[0:3], 0 offset:528
	buffer_load_dword v155, off, s[0:3], 0 offset:532
	;; [unrolled: 1-line block ×4, first 2 shown]
	ds_read_b128 v[60:63], v54 offset:1376
	ds_read_b128 v[64:67], v54 offset:1392
	;; [unrolled: 1-line block ×4, first 2 shown]
	v_cmp_lt_u32_e32 vcc, 31, v255
	s_waitcnt vmcnt(62) lgkmcnt(4)
	v_mul_f64 v[72:73], v[56:57], v[8:9]
	v_fmac_f64_e32 v[72:73], v[58:59], v[2:3]
	v_add_f64 v[72:73], v[72:73], 0
	v_mul_f64 v[8:9], v[58:59], v[8:9]
	s_waitcnt lgkmcnt(3)
	v_mul_f64 v[74:75], v[60:61], v[10:11]
	v_fmac_f64_e32 v[74:75], v[62:63], v[4:5]
	v_add_f64 v[72:73], v[72:73], v[74:75]
	v_fma_f64 v[2:3], v[56:57], v[2:3], -v[8:9]
	s_waitcnt lgkmcnt(2)
	v_mul_f64 v[74:75], v[64:65], v[12:13]
	v_fmac_f64_e32 v[74:75], v[66:67], v[6:7]
	v_add_f64 v[76:77], v[72:73], v[74:75]
	ds_read_b128 v[72:75], v54 offset:1424
	s_waitcnt lgkmcnt(2)
	v_mul_f64 v[78:79], v[68:69], v[18:19]
	v_mul_f64 v[8:9], v[62:63], v[10:11]
	v_fmac_f64_e32 v[78:79], v[70:71], v[20:21]
	v_add_f64 v[80:81], v[76:77], v[78:79]
	ds_read_b128 v[76:79], v54 offset:1440
	s_waitcnt vmcnt(61) lgkmcnt(1)
	v_mul_f64 v[82:83], v[72:73], v[14:15]
	s_waitcnt vmcnt(60)
	v_fmac_f64_e32 v[82:83], v[74:75], v[16:17]
	v_add_f64 v[84:85], v[80:81], v[82:83]
	ds_read_b128 v[80:83], v54 offset:1456
	s_waitcnt vmcnt(56) lgkmcnt(1)
	v_mul_f64 v[86:87], v[76:77], v[26:27]
	s_waitcnt vmcnt(54)
	;; [unrolled: 6-line block ×4, first 2 shown]
	v_fmac_f64_e32 v[94:95], v[86:87], v[36:37]
	v_add_f64 v[96:97], v[92:93], v[94:95]
	ds_read_b128 v[92:95], v54 offset:1504
	s_waitcnt vmcnt(45) lgkmcnt(1)
	v_mul_f64 v[98:99], v[88:89], v[30:31]
	v_add_f64 v[2:3], v[2:3], 0
	v_fma_f64 v[4:5], v[60:61], v[4:5], -v[8:9]
	s_waitcnt vmcnt(44)
	v_fmac_f64_e32 v[98:99], v[90:91], v[32:33]
	v_add_f64 v[2:3], v[2:3], v[4:5]
	v_mul_f64 v[4:5], v[66:67], v[12:13]
	v_add_f64 v[100:101], v[96:97], v[98:99]
	ds_read_b128 v[96:99], v54 offset:1520
	s_waitcnt vmcnt(40) lgkmcnt(1)
	v_mul_f64 v[102:103], v[92:93], v[42:43]
	v_fma_f64 v[4:5], v[64:65], v[6:7], -v[4:5]
	s_waitcnt vmcnt(38)
	v_fmac_f64_e32 v[102:103], v[94:95], v[44:45]
	v_add_f64 v[2:3], v[2:3], v[4:5]
	v_mul_f64 v[4:5], v[70:71], v[18:19]
	v_add_f64 v[104:105], v[100:101], v[102:103]
	ds_read_b128 v[100:103], v54 offset:1536
	v_fma_f64 v[4:5], v[68:69], v[20:21], -v[4:5]
	v_add_f64 v[2:3], v[2:3], v[4:5]
	v_mul_f64 v[4:5], v[74:75], v[14:15]
	v_fma_f64 v[4:5], v[72:73], v[16:17], -v[4:5]
	s_waitcnt vmcnt(37) lgkmcnt(1)
	v_mul_f64 v[106:107], v[96:97], v[38:39]
	v_add_f64 v[2:3], v[2:3], v[4:5]
	v_mul_f64 v[4:5], v[78:79], v[26:27]
	s_waitcnt vmcnt(36)
	v_fmac_f64_e32 v[106:107], v[98:99], v[40:41]
	v_fma_f64 v[4:5], v[76:77], v[28:29], -v[4:5]
	v_add_f64 v[108:109], v[104:105], v[106:107]
	ds_read_b128 v[104:107], v54 offset:1552
	s_waitcnt vmcnt(32) lgkmcnt(1)
	v_mul_f64 v[110:111], v[100:101], v[50:51]
	v_add_f64 v[2:3], v[2:3], v[4:5]
	v_mul_f64 v[4:5], v[82:83], v[22:23]
	s_waitcnt vmcnt(30)
	v_fmac_f64_e32 v[110:111], v[102:103], v[52:53]
	v_fma_f64 v[4:5], v[80:81], v[24:25], -v[4:5]
	v_add_f64 v[112:113], v[108:109], v[110:111]
	ds_read_b128 v[108:111], v54 offset:1568
	v_add_f64 v[2:3], v[2:3], v[4:5]
	v_mul_f64 v[4:5], v[86:87], v[34:35]
	v_fma_f64 v[4:5], v[84:85], v[36:37], -v[4:5]
	v_add_f64 v[2:3], v[2:3], v[4:5]
	v_mul_f64 v[4:5], v[90:91], v[30:31]
	s_waitcnt vmcnt(29) lgkmcnt(1)
	v_mul_f64 v[114:115], v[104:105], v[46:47]
	v_fma_f64 v[4:5], v[88:89], v[32:33], -v[4:5]
	s_waitcnt vmcnt(28)
	v_fmac_f64_e32 v[114:115], v[106:107], v[48:49]
	v_add_f64 v[2:3], v[2:3], v[4:5]
	v_mul_f64 v[4:5], v[94:95], v[42:43]
	v_add_f64 v[116:117], v[112:113], v[114:115]
	ds_read_b128 v[112:115], v54 offset:1584
	s_waitcnt vmcnt(24) lgkmcnt(1)
	v_mul_f64 v[118:119], v[108:109], v[134:135]
	v_fma_f64 v[4:5], v[92:93], v[44:45], -v[4:5]
	s_waitcnt vmcnt(22)
	v_fmac_f64_e32 v[118:119], v[110:111], v[136:137]
	v_add_f64 v[2:3], v[2:3], v[4:5]
	v_mul_f64 v[4:5], v[98:99], v[38:39]
	v_add_f64 v[120:121], v[116:117], v[118:119]
	ds_read_b128 v[116:119], v54 offset:1600
	v_fma_f64 v[4:5], v[96:97], v[40:41], -v[4:5]
	v_add_f64 v[2:3], v[2:3], v[4:5]
	v_mul_f64 v[4:5], v[102:103], v[50:51]
	v_fma_f64 v[4:5], v[100:101], v[52:53], -v[4:5]
	s_waitcnt vmcnt(21) lgkmcnt(1)
	v_mul_f64 v[122:123], v[112:113], v[0:1]
	v_add_f64 v[2:3], v[2:3], v[4:5]
	v_mul_f64 v[4:5], v[106:107], v[46:47]
	s_waitcnt vmcnt(20)
	v_fmac_f64_e32 v[122:123], v[114:115], v[132:133]
	v_fma_f64 v[4:5], v[104:105], v[48:49], -v[4:5]
	v_add_f64 v[124:125], v[120:121], v[122:123]
	ds_read_b128 v[120:123], v54 offset:1616
	s_waitcnt vmcnt(16) lgkmcnt(1)
	v_mul_f64 v[126:127], v[116:117], v[142:143]
	v_add_f64 v[2:3], v[2:3], v[4:5]
	v_mul_f64 v[4:5], v[110:111], v[134:135]
	s_waitcnt vmcnt(14)
	v_fmac_f64_e32 v[126:127], v[118:119], v[144:145]
	v_fma_f64 v[4:5], v[108:109], v[136:137], -v[4:5]
	v_mul_f64 v[0:1], v[114:115], v[0:1]
	v_add_f64 v[158:159], v[124:125], v[126:127]
	ds_read_b128 v[124:127], v54 offset:1632
	v_add_f64 v[2:3], v[2:3], v[4:5]
	v_fma_f64 v[0:1], v[112:113], v[132:133], -v[0:1]
	v_add_f64 v[0:1], v[2:3], v[0:1]
	v_mul_f64 v[2:3], v[118:119], v[142:143]
	v_fma_f64 v[2:3], v[116:117], v[144:145], -v[2:3]
	v_add_f64 v[0:1], v[0:1], v[2:3]
	s_waitcnt vmcnt(13) lgkmcnt(1)
	v_mul_f64 v[2:3], v[122:123], v[138:139]
	v_mul_f64 v[160:161], v[120:121], v[138:139]
	s_waitcnt vmcnt(12)
	v_fma_f64 v[2:3], v[120:121], v[140:141], -v[2:3]
	v_fmac_f64_e32 v[160:161], v[122:123], v[140:141]
	v_add_f64 v[0:1], v[0:1], v[2:3]
	s_waitcnt vmcnt(8) lgkmcnt(0)
	v_mul_f64 v[2:3], v[126:127], v[150:151]
	v_add_f64 v[158:159], v[158:159], v[160:161]
	v_mul_f64 v[160:161], v[124:125], v[150:151]
	s_waitcnt vmcnt(6)
	v_fma_f64 v[2:3], v[124:125], v[152:153], -v[2:3]
	v_fmac_f64_e32 v[160:161], v[126:127], v[152:153]
	v_add_f64 v[0:1], v[0:1], v[2:3]
	s_waitcnt vmcnt(5)
	v_mul_f64 v[2:3], v[130:131], v[146:147]
	v_add_f64 v[158:159], v[158:159], v[160:161]
	v_mul_f64 v[160:161], v[128:129], v[146:147]
	s_waitcnt vmcnt(4)
	v_fma_f64 v[2:3], v[128:129], v[148:149], -v[2:3]
	v_fmac_f64_e32 v[160:161], v[130:131], v[148:149]
	v_add_f64 v[0:1], v[0:1], v[2:3]
	v_add_f64 v[158:159], v[158:159], v[160:161]
	s_waitcnt vmcnt(2)
	v_add_f64 v[0:1], v[154:155], -v[0:1]
	s_waitcnt vmcnt(0)
	v_add_f64 v[2:3], v[156:157], -v[158:159]
	buffer_store_dword v1, off, s[0:3], 0 offset:532
	buffer_store_dword v0, off, s[0:3], 0 offset:528
	;; [unrolled: 1-line block ×4, first 2 shown]
	s_and_saveexec_b64 s[4:5], vcc
	s_cbranch_execz .LBB51_263
; %bb.262:
	v_accvgpr_read_b32 v0, a124
	buffer_load_dword v2, v0, s[0:3], 0 offen
	buffer_load_dword v3, v0, s[0:3], 0 offen offset:4
	buffer_load_dword v4, v0, s[0:3], 0 offen offset:8
	;; [unrolled: 1-line block ×3, first 2 shown]
	v_accvgpr_read_b32 v0, a156
	buffer_store_dword v54, off, s[0:3], 0 offset:512
	buffer_store_dword v54, off, s[0:3], 0 offset:516
	;; [unrolled: 1-line block ×4, first 2 shown]
	s_waitcnt vmcnt(4)
	ds_write_b128 v0, v[2:5]
.LBB51_263:
	s_or_b64 exec, exec, s[4:5]
	s_waitcnt lgkmcnt(0)
	; wave barrier
	s_waitcnt lgkmcnt(0)
	buffer_load_dword v2, off, s[0:3], 0 offset:528
	buffer_load_dword v3, off, s[0:3], 0 offset:532
	buffer_load_dword v8, off, s[0:3], 0 offset:536
	buffer_load_dword v9, off, s[0:3], 0 offset:540
	buffer_load_dword v4, off, s[0:3], 0 offset:544
	buffer_load_dword v5, off, s[0:3], 0 offset:548
	buffer_load_dword v10, off, s[0:3], 0 offset:552
	buffer_load_dword v11, off, s[0:3], 0 offset:556
	buffer_load_dword v6, off, s[0:3], 0 offset:560
	buffer_load_dword v7, off, s[0:3], 0 offset:564
	buffer_load_dword v12, off, s[0:3], 0 offset:568
	buffer_load_dword v13, off, s[0:3], 0 offset:572
	buffer_load_dword v15, off, s[0:3], 0 offset:604
	buffer_load_dword v14, off, s[0:3], 0 offset:600
	buffer_load_dword v17, off, s[0:3], 0 offset:596
	buffer_load_dword v16, off, s[0:3], 0 offset:592
	buffer_load_dword v19, off, s[0:3], 0 offset:588
	buffer_load_dword v18, off, s[0:3], 0 offset:584
	buffer_load_dword v21, off, s[0:3], 0 offset:580
	buffer_load_dword v20, off, s[0:3], 0 offset:576
	buffer_load_dword v23, off, s[0:3], 0 offset:636
	buffer_load_dword v22, off, s[0:3], 0 offset:632
	buffer_load_dword v25, off, s[0:3], 0 offset:628
	buffer_load_dword v24, off, s[0:3], 0 offset:624
	buffer_load_dword v27, off, s[0:3], 0 offset:620
	buffer_load_dword v26, off, s[0:3], 0 offset:616
	buffer_load_dword v29, off, s[0:3], 0 offset:612
	buffer_load_dword v28, off, s[0:3], 0 offset:608
	buffer_load_dword v31, off, s[0:3], 0 offset:668
	buffer_load_dword v30, off, s[0:3], 0 offset:664
	buffer_load_dword v33, off, s[0:3], 0 offset:660
	buffer_load_dword v32, off, s[0:3], 0 offset:656
	buffer_load_dword v35, off, s[0:3], 0 offset:652
	buffer_load_dword v34, off, s[0:3], 0 offset:648
	buffer_load_dword v37, off, s[0:3], 0 offset:644
	buffer_load_dword v36, off, s[0:3], 0 offset:640
	buffer_load_dword v39, off, s[0:3], 0 offset:700
	buffer_load_dword v38, off, s[0:3], 0 offset:696
	buffer_load_dword v41, off, s[0:3], 0 offset:692
	buffer_load_dword v40, off, s[0:3], 0 offset:688
	buffer_load_dword v43, off, s[0:3], 0 offset:684
	buffer_load_dword v42, off, s[0:3], 0 offset:680
	buffer_load_dword v45, off, s[0:3], 0 offset:676
	buffer_load_dword v44, off, s[0:3], 0 offset:672
	buffer_load_dword v47, off, s[0:3], 0 offset:732
	buffer_load_dword v46, off, s[0:3], 0 offset:728
	buffer_load_dword v49, off, s[0:3], 0 offset:724
	buffer_load_dword v48, off, s[0:3], 0 offset:720
	buffer_load_dword v51, off, s[0:3], 0 offset:716
	buffer_load_dword v50, off, s[0:3], 0 offset:712
	buffer_load_dword v53, off, s[0:3], 0 offset:708
	buffer_load_dword v52, off, s[0:3], 0 offset:704
	buffer_load_dword v1, off, s[0:3], 0 offset:764
	buffer_load_dword v0, off, s[0:3], 0 offset:760
	buffer_load_dword v137, off, s[0:3], 0 offset:756
	buffer_load_dword v136, off, s[0:3], 0 offset:752
	buffer_load_dword v139, off, s[0:3], 0 offset:748
	buffer_load_dword v138, off, s[0:3], 0 offset:744
	buffer_load_dword v141, off, s[0:3], 0 offset:740
	buffer_load_dword v140, off, s[0:3], 0 offset:736
	buffer_load_dword v143, off, s[0:3], 0 offset:796
	buffer_load_dword v142, off, s[0:3], 0 offset:792
	buffer_load_dword v145, off, s[0:3], 0 offset:788
	buffer_load_dword v144, off, s[0:3], 0 offset:784
	buffer_load_dword v147, off, s[0:3], 0 offset:780
	buffer_load_dword v146, off, s[0:3], 0 offset:776
	buffer_load_dword v149, off, s[0:3], 0 offset:772
	buffer_load_dword v148, off, s[0:3], 0 offset:768
	buffer_load_dword v151, off, s[0:3], 0 offset:828
	buffer_load_dword v150, off, s[0:3], 0 offset:824
	buffer_load_dword v153, off, s[0:3], 0 offset:820
	buffer_load_dword v152, off, s[0:3], 0 offset:816
	buffer_load_dword v155, off, s[0:3], 0 offset:812
	buffer_load_dword v154, off, s[0:3], 0 offset:808
	buffer_load_dword v157, off, s[0:3], 0 offset:804
	buffer_load_dword v156, off, s[0:3], 0 offset:800
	ds_read_b128 v[56:59], v54 offset:1344
	buffer_load_dword v159, off, s[0:3], 0 offset:844
	buffer_load_dword v158, off, s[0:3], 0 offset:840
	;; [unrolled: 1-line block ×8, first 2 shown]
	ds_read_b128 v[60:63], v54 offset:1360
	ds_read_b128 v[64:67], v54 offset:1376
	;; [unrolled: 1-line block ×3, first 2 shown]
	v_cmp_lt_u32_e32 vcc, 30, v255
	ds_read_b128 v[132:135], v54 offset:1648
	s_waitcnt vmcnt(62) lgkmcnt(4)
	v_mul_f64 v[72:73], v[56:57], v[8:9]
	v_fmac_f64_e32 v[72:73], v[58:59], v[2:3]
	v_add_f64 v[72:73], v[72:73], 0
	v_mul_f64 v[8:9], v[58:59], v[8:9]
	s_waitcnt lgkmcnt(3)
	v_mul_f64 v[74:75], v[60:61], v[10:11]
	v_fmac_f64_e32 v[74:75], v[62:63], v[4:5]
	v_add_f64 v[72:73], v[72:73], v[74:75]
	v_fma_f64 v[2:3], v[56:57], v[2:3], -v[8:9]
	s_waitcnt lgkmcnt(2)
	v_mul_f64 v[74:75], v[64:65], v[12:13]
	v_fmac_f64_e32 v[74:75], v[66:67], v[6:7]
	v_add_f64 v[76:77], v[72:73], v[74:75]
	ds_read_b128 v[72:75], v54 offset:1408
	v_mul_f64 v[8:9], v[62:63], v[10:11]
	v_add_f64 v[2:3], v[2:3], 0
	s_waitcnt lgkmcnt(2)
	v_mul_f64 v[78:79], v[68:69], v[18:19]
	v_fma_f64 v[4:5], v[60:61], v[4:5], -v[8:9]
	v_fmac_f64_e32 v[78:79], v[70:71], v[20:21]
	v_add_f64 v[80:81], v[76:77], v[78:79]
	ds_read_b128 v[76:79], v54 offset:1424
	s_waitcnt lgkmcnt(1)
	v_mul_f64 v[82:83], v[72:73], v[14:15]
	v_fmac_f64_e32 v[82:83], v[74:75], v[16:17]
	v_add_f64 v[84:85], v[80:81], v[82:83]
	ds_read_b128 v[80:83], v54 offset:1440
	s_waitcnt vmcnt(58) lgkmcnt(1)
	v_mul_f64 v[86:87], v[76:77], v[26:27]
	s_waitcnt vmcnt(56)
	v_fmac_f64_e32 v[86:87], v[78:79], v[28:29]
	v_add_f64 v[88:89], v[84:85], v[86:87]
	ds_read_b128 v[84:87], v54 offset:1456
	s_waitcnt lgkmcnt(1)
	v_mul_f64 v[90:91], v[80:81], v[22:23]
	v_fmac_f64_e32 v[90:91], v[82:83], v[24:25]
	v_add_f64 v[92:93], v[88:89], v[90:91]
	ds_read_b128 v[88:91], v54 offset:1472
	s_waitcnt vmcnt(50) lgkmcnt(1)
	v_mul_f64 v[94:95], v[84:85], v[34:35]
	s_waitcnt vmcnt(48)
	v_fmac_f64_e32 v[94:95], v[86:87], v[36:37]
	v_add_f64 v[96:97], v[92:93], v[94:95]
	ds_read_b128 v[92:95], v54 offset:1488
	s_waitcnt lgkmcnt(1)
	v_mul_f64 v[98:99], v[88:89], v[30:31]
	v_fmac_f64_e32 v[98:99], v[90:91], v[32:33]
	v_add_f64 v[100:101], v[96:97], v[98:99]
	ds_read_b128 v[96:99], v54 offset:1504
	v_add_f64 v[2:3], v[2:3], v[4:5]
	v_mul_f64 v[4:5], v[66:67], v[12:13]
	s_waitcnt vmcnt(42) lgkmcnt(1)
	v_mul_f64 v[102:103], v[92:93], v[42:43]
	v_fma_f64 v[4:5], v[64:65], v[6:7], -v[4:5]
	s_waitcnt vmcnt(40)
	v_fmac_f64_e32 v[102:103], v[94:95], v[44:45]
	v_add_f64 v[2:3], v[2:3], v[4:5]
	v_mul_f64 v[4:5], v[70:71], v[18:19]
	v_add_f64 v[104:105], v[100:101], v[102:103]
	ds_read_b128 v[100:103], v54 offset:1520
	s_waitcnt lgkmcnt(1)
	v_mul_f64 v[106:107], v[96:97], v[38:39]
	v_fma_f64 v[4:5], v[68:69], v[20:21], -v[4:5]
	v_fmac_f64_e32 v[106:107], v[98:99], v[40:41]
	v_add_f64 v[2:3], v[2:3], v[4:5]
	v_mul_f64 v[4:5], v[74:75], v[14:15]
	v_add_f64 v[108:109], v[104:105], v[106:107]
	ds_read_b128 v[104:107], v54 offset:1536
	v_fma_f64 v[4:5], v[72:73], v[16:17], -v[4:5]
	v_add_f64 v[2:3], v[2:3], v[4:5]
	v_mul_f64 v[4:5], v[78:79], v[26:27]
	v_fma_f64 v[4:5], v[76:77], v[28:29], -v[4:5]
	s_waitcnt vmcnt(34) lgkmcnt(1)
	v_mul_f64 v[110:111], v[100:101], v[50:51]
	v_add_f64 v[2:3], v[2:3], v[4:5]
	v_mul_f64 v[4:5], v[82:83], v[22:23]
	s_waitcnt vmcnt(32)
	v_fmac_f64_e32 v[110:111], v[102:103], v[52:53]
	v_fma_f64 v[4:5], v[80:81], v[24:25], -v[4:5]
	v_add_f64 v[112:113], v[108:109], v[110:111]
	ds_read_b128 v[108:111], v54 offset:1552
	s_waitcnt lgkmcnt(1)
	v_mul_f64 v[114:115], v[104:105], v[46:47]
	v_add_f64 v[2:3], v[2:3], v[4:5]
	v_mul_f64 v[4:5], v[86:87], v[34:35]
	v_fmac_f64_e32 v[114:115], v[106:107], v[48:49]
	v_fma_f64 v[4:5], v[84:85], v[36:37], -v[4:5]
	v_add_f64 v[116:117], v[112:113], v[114:115]
	ds_read_b128 v[112:115], v54 offset:1568
	v_add_f64 v[2:3], v[2:3], v[4:5]
	v_mul_f64 v[4:5], v[90:91], v[30:31]
	v_fma_f64 v[4:5], v[88:89], v[32:33], -v[4:5]
	v_add_f64 v[2:3], v[2:3], v[4:5]
	v_mul_f64 v[4:5], v[94:95], v[42:43]
	s_waitcnt vmcnt(26) lgkmcnt(1)
	v_mul_f64 v[118:119], v[108:109], v[138:139]
	v_fma_f64 v[4:5], v[92:93], v[44:45], -v[4:5]
	s_waitcnt vmcnt(24)
	v_fmac_f64_e32 v[118:119], v[110:111], v[140:141]
	v_add_f64 v[2:3], v[2:3], v[4:5]
	v_mul_f64 v[4:5], v[98:99], v[38:39]
	v_add_f64 v[120:121], v[116:117], v[118:119]
	ds_read_b128 v[116:119], v54 offset:1584
	s_waitcnt lgkmcnt(1)
	v_mul_f64 v[122:123], v[112:113], v[0:1]
	v_fma_f64 v[4:5], v[96:97], v[40:41], -v[4:5]
	v_fmac_f64_e32 v[122:123], v[114:115], v[136:137]
	v_add_f64 v[2:3], v[2:3], v[4:5]
	v_mul_f64 v[4:5], v[102:103], v[50:51]
	v_add_f64 v[124:125], v[120:121], v[122:123]
	ds_read_b128 v[120:123], v54 offset:1600
	v_fma_f64 v[4:5], v[100:101], v[52:53], -v[4:5]
	v_add_f64 v[2:3], v[2:3], v[4:5]
	v_mul_f64 v[4:5], v[106:107], v[46:47]
	v_fma_f64 v[4:5], v[104:105], v[48:49], -v[4:5]
	s_waitcnt vmcnt(18) lgkmcnt(1)
	v_mul_f64 v[126:127], v[116:117], v[146:147]
	v_add_f64 v[2:3], v[2:3], v[4:5]
	v_mul_f64 v[4:5], v[110:111], v[138:139]
	s_waitcnt vmcnt(16)
	v_fmac_f64_e32 v[126:127], v[118:119], v[148:149]
	v_fma_f64 v[4:5], v[108:109], v[140:141], -v[4:5]
	v_mul_f64 v[0:1], v[114:115], v[0:1]
	v_add_f64 v[128:129], v[124:125], v[126:127]
	ds_read_b128 v[124:127], v54 offset:1616
	s_waitcnt lgkmcnt(1)
	v_mul_f64 v[130:131], v[120:121], v[142:143]
	v_add_f64 v[2:3], v[2:3], v[4:5]
	v_fma_f64 v[0:1], v[112:113], v[136:137], -v[0:1]
	v_fmac_f64_e32 v[130:131], v[122:123], v[144:145]
	v_add_f64 v[0:1], v[2:3], v[0:1]
	v_mul_f64 v[2:3], v[118:119], v[146:147]
	v_add_f64 v[166:167], v[128:129], v[130:131]
	ds_read_b128 v[128:131], v54 offset:1632
	v_fma_f64 v[2:3], v[116:117], v[148:149], -v[2:3]
	v_add_f64 v[0:1], v[0:1], v[2:3]
	v_mul_f64 v[2:3], v[122:123], v[142:143]
	v_fma_f64 v[2:3], v[120:121], v[144:145], -v[2:3]
	v_add_f64 v[0:1], v[0:1], v[2:3]
	s_waitcnt vmcnt(10) lgkmcnt(1)
	v_mul_f64 v[2:3], v[126:127], v[154:155]
	v_mul_f64 v[168:169], v[124:125], v[154:155]
	s_waitcnt vmcnt(8)
	v_fma_f64 v[2:3], v[124:125], v[156:157], -v[2:3]
	v_fmac_f64_e32 v[168:169], v[126:127], v[156:157]
	v_add_f64 v[0:1], v[0:1], v[2:3]
	s_waitcnt lgkmcnt(0)
	v_mul_f64 v[2:3], v[130:131], v[150:151]
	v_add_f64 v[54:55], v[166:167], v[168:169]
	v_mul_f64 v[166:167], v[128:129], v[150:151]
	v_fma_f64 v[2:3], v[128:129], v[152:153], -v[2:3]
	v_fmac_f64_e32 v[166:167], v[130:131], v[152:153]
	v_add_f64 v[0:1], v[0:1], v[2:3]
	s_waitcnt vmcnt(6)
	v_mul_f64 v[2:3], v[134:135], v[158:159]
	v_add_f64 v[54:55], v[54:55], v[166:167]
	v_mul_f64 v[166:167], v[132:133], v[158:159]
	s_waitcnt vmcnt(4)
	v_fma_f64 v[2:3], v[132:133], v[160:161], -v[2:3]
	v_fmac_f64_e32 v[166:167], v[134:135], v[160:161]
	v_add_f64 v[0:1], v[0:1], v[2:3]
	v_add_f64 v[54:55], v[54:55], v[166:167]
	s_waitcnt vmcnt(2)
	v_add_f64 v[0:1], v[162:163], -v[0:1]
	s_waitcnt vmcnt(0)
	v_add_f64 v[2:3], v[164:165], -v[54:55]
	buffer_store_dword v1, off, s[0:3], 0 offset:516
	buffer_store_dword v0, off, s[0:3], 0 offset:512
	;; [unrolled: 1-line block ×4, first 2 shown]
	s_and_saveexec_b64 s[4:5], vcc
	s_cbranch_execz .LBB51_265
; %bb.264:
	v_accvgpr_read_b32 v0, a125
	buffer_load_dword v2, v0, s[0:3], 0 offen
	buffer_load_dword v3, v0, s[0:3], 0 offen offset:4
	buffer_load_dword v4, v0, s[0:3], 0 offen offset:8
	;; [unrolled: 1-line block ×3, first 2 shown]
	v_mov_b32_e32 v0, 0
	v_accvgpr_read_b32 v1, a156
	buffer_store_dword v0, off, s[0:3], 0 offset:496
	buffer_store_dword v0, off, s[0:3], 0 offset:500
	;; [unrolled: 1-line block ×4, first 2 shown]
	s_waitcnt vmcnt(4)
	ds_write_b128 v1, v[2:5]
.LBB51_265:
	s_or_b64 exec, exec, s[4:5]
	s_waitcnt lgkmcnt(0)
	; wave barrier
	s_waitcnt lgkmcnt(0)
	buffer_load_dword v4, off, s[0:3], 0 offset:496
	buffer_load_dword v5, off, s[0:3], 0 offset:500
	;; [unrolled: 1-line block ×84, first 2 shown]
	v_mov_b32_e32 v86, 0
	ds_read_b128 v[66:69], v86 offset:1328
	buffer_load_dword v171, off, s[0:3], 0 offset:844
	buffer_load_dword v170, off, s[0:3], 0 offset:840
	;; [unrolled: 1-line block ×4, first 2 shown]
	ds_read_b128 v[70:73], v86 offset:1344
	ds_read_b128 v[74:77], v86 offset:1360
	;; [unrolled: 1-line block ×4, first 2 shown]
	v_cmp_lt_u32_e32 vcc, 29, v255
	s_waitcnt vmcnt(62) lgkmcnt(4)
	v_mul_f64 v[82:83], v[66:67], v[12:13]
	v_fmac_f64_e32 v[82:83], v[68:69], v[6:7]
	s_waitcnt lgkmcnt(3)
	v_mul_f64 v[84:85], v[70:71], v[14:15]
	v_add_f64 v[82:83], v[82:83], 0
	v_fmac_f64_e32 v[84:85], v[72:73], v[8:9]
	v_add_f64 v[82:83], v[82:83], v[84:85]
	s_waitcnt lgkmcnt(2)
	v_mul_f64 v[84:85], v[74:75], v[16:17]
	v_fmac_f64_e32 v[84:85], v[76:77], v[10:11]
	v_add_f64 v[88:89], v[82:83], v[84:85]
	ds_read_b128 v[82:85], v86 offset:1392
	v_mul_f64 v[12:13], v[68:69], v[12:13]
	s_waitcnt lgkmcnt(2)
	v_mul_f64 v[90:91], v[78:79], v[22:23]
	v_fma_f64 v[6:7], v[66:67], v[6:7], -v[12:13]
	v_fmac_f64_e32 v[90:91], v[80:81], v[24:25]
	v_add_f64 v[92:93], v[88:89], v[90:91]
	ds_read_b128 v[88:91], v86 offset:1408
	s_waitcnt lgkmcnt(1)
	v_mul_f64 v[94:95], v[82:83], v[18:19]
	v_fmac_f64_e32 v[94:95], v[84:85], v[20:21]
	v_add_f64 v[96:97], v[92:93], v[94:95]
	ds_read_b128 v[92:95], v86 offset:1424
	s_waitcnt vmcnt(58) lgkmcnt(1)
	v_mul_f64 v[98:99], v[88:89], v[30:31]
	s_waitcnt vmcnt(56)
	v_fmac_f64_e32 v[98:99], v[90:91], v[32:33]
	v_add_f64 v[100:101], v[96:97], v[98:99]
	ds_read_b128 v[96:99], v86 offset:1440
	s_waitcnt lgkmcnt(1)
	v_mul_f64 v[102:103], v[92:93], v[26:27]
	v_fmac_f64_e32 v[102:103], v[94:95], v[28:29]
	v_add_f64 v[104:105], v[100:101], v[102:103]
	ds_read_b128 v[100:103], v86 offset:1456
	s_waitcnt vmcnt(50) lgkmcnt(1)
	v_mul_f64 v[106:107], v[96:97], v[38:39]
	s_waitcnt vmcnt(48)
	v_fmac_f64_e32 v[106:107], v[98:99], v[40:41]
	v_add_f64 v[108:109], v[104:105], v[106:107]
	ds_read_b128 v[104:107], v86 offset:1472
	s_waitcnt lgkmcnt(1)
	v_mul_f64 v[110:111], v[100:101], v[34:35]
	v_fmac_f64_e32 v[110:111], v[102:103], v[36:37]
	v_add_f64 v[112:113], v[108:109], v[110:111]
	ds_read_b128 v[108:111], v86 offset:1488
	s_waitcnt vmcnt(42) lgkmcnt(1)
	v_mul_f64 v[114:115], v[104:105], v[46:47]
	v_mul_f64 v[12:13], v[72:73], v[14:15]
	s_waitcnt vmcnt(40)
	v_fmac_f64_e32 v[114:115], v[106:107], v[48:49]
	v_add_f64 v[6:7], v[6:7], 0
	v_fma_f64 v[8:9], v[70:71], v[8:9], -v[12:13]
	v_add_f64 v[116:117], v[112:113], v[114:115]
	ds_read_b128 v[112:115], v86 offset:1504
	v_add_f64 v[6:7], v[6:7], v[8:9]
	v_mul_f64 v[8:9], v[76:77], v[16:17]
	v_fma_f64 v[8:9], v[74:75], v[10:11], -v[8:9]
	v_add_f64 v[6:7], v[6:7], v[8:9]
	v_mul_f64 v[8:9], v[80:81], v[22:23]
	s_waitcnt lgkmcnt(1)
	v_mul_f64 v[118:119], v[108:109], v[42:43]
	v_fma_f64 v[8:9], v[78:79], v[24:25], -v[8:9]
	v_fmac_f64_e32 v[118:119], v[110:111], v[44:45]
	v_add_f64 v[6:7], v[6:7], v[8:9]
	v_mul_f64 v[8:9], v[84:85], v[18:19]
	v_add_f64 v[120:121], v[116:117], v[118:119]
	ds_read_b128 v[116:119], v86 offset:1520
	s_waitcnt vmcnt(34) lgkmcnt(1)
	v_mul_f64 v[122:123], v[112:113], v[54:55]
	v_fma_f64 v[8:9], v[82:83], v[20:21], -v[8:9]
	s_waitcnt vmcnt(32)
	v_fmac_f64_e32 v[122:123], v[114:115], v[56:57]
	v_add_f64 v[6:7], v[6:7], v[8:9]
	v_mul_f64 v[8:9], v[90:91], v[30:31]
	v_add_f64 v[124:125], v[120:121], v[122:123]
	ds_read_b128 v[120:123], v86 offset:1536
	v_fma_f64 v[8:9], v[88:89], v[32:33], -v[8:9]
	v_add_f64 v[6:7], v[6:7], v[8:9]
	v_mul_f64 v[8:9], v[94:95], v[26:27]
	v_fma_f64 v[8:9], v[92:93], v[28:29], -v[8:9]
	s_waitcnt lgkmcnt(1)
	v_mul_f64 v[126:127], v[116:117], v[50:51]
	v_add_f64 v[6:7], v[6:7], v[8:9]
	v_mul_f64 v[8:9], v[98:99], v[38:39]
	v_fmac_f64_e32 v[126:127], v[118:119], v[52:53]
	v_fma_f64 v[8:9], v[96:97], v[40:41], -v[8:9]
	v_add_f64 v[128:129], v[124:125], v[126:127]
	ds_read_b128 v[124:127], v86 offset:1552
	s_waitcnt vmcnt(26) lgkmcnt(1)
	v_mul_f64 v[130:131], v[120:121], v[62:63]
	v_add_f64 v[6:7], v[6:7], v[8:9]
	v_mul_f64 v[8:9], v[102:103], v[34:35]
	s_waitcnt vmcnt(24)
	v_fmac_f64_e32 v[130:131], v[122:123], v[64:65]
	v_fma_f64 v[8:9], v[100:101], v[36:37], -v[8:9]
	v_add_f64 v[132:133], v[128:129], v[130:131]
	ds_read_b128 v[128:131], v86 offset:1568
	v_add_f64 v[6:7], v[6:7], v[8:9]
	v_mul_f64 v[8:9], v[106:107], v[46:47]
	v_fma_f64 v[8:9], v[104:105], v[48:49], -v[8:9]
	v_add_f64 v[6:7], v[6:7], v[8:9]
	v_mul_f64 v[8:9], v[110:111], v[42:43]
	s_waitcnt lgkmcnt(1)
	v_mul_f64 v[134:135], v[124:125], v[58:59]
	v_fma_f64 v[8:9], v[108:109], v[44:45], -v[8:9]
	v_fmac_f64_e32 v[134:135], v[126:127], v[60:61]
	v_add_f64 v[6:7], v[6:7], v[8:9]
	v_mul_f64 v[8:9], v[114:115], v[54:55]
	v_add_f64 v[136:137], v[132:133], v[134:135]
	ds_read_b128 v[132:135], v86 offset:1584
	s_waitcnt vmcnt(18) lgkmcnt(1)
	v_mul_f64 v[138:139], v[128:129], v[154:155]
	v_fma_f64 v[8:9], v[112:113], v[56:57], -v[8:9]
	s_waitcnt vmcnt(16)
	v_fmac_f64_e32 v[138:139], v[130:131], v[156:157]
	v_add_f64 v[6:7], v[6:7], v[8:9]
	v_mul_f64 v[8:9], v[118:119], v[50:51]
	v_add_f64 v[140:141], v[136:137], v[138:139]
	ds_read_b128 v[136:139], v86 offset:1600
	v_fma_f64 v[8:9], v[116:117], v[52:53], -v[8:9]
	v_add_f64 v[6:7], v[6:7], v[8:9]
	v_mul_f64 v[8:9], v[122:123], v[62:63]
	v_fma_f64 v[8:9], v[120:121], v[64:65], -v[8:9]
	s_waitcnt lgkmcnt(1)
	v_mul_f64 v[142:143], v[132:133], v[0:1]
	v_add_f64 v[6:7], v[6:7], v[8:9]
	v_mul_f64 v[8:9], v[126:127], v[58:59]
	v_fmac_f64_e32 v[142:143], v[134:135], v[152:153]
	v_fma_f64 v[8:9], v[124:125], v[60:61], -v[8:9]
	v_add_f64 v[144:145], v[140:141], v[142:143]
	ds_read_b128 v[140:143], v86 offset:1616
	s_waitcnt vmcnt(10) lgkmcnt(1)
	v_mul_f64 v[146:147], v[136:137], v[162:163]
	v_add_f64 v[6:7], v[6:7], v[8:9]
	v_mul_f64 v[8:9], v[130:131], v[154:155]
	s_waitcnt vmcnt(8)
	v_fmac_f64_e32 v[146:147], v[138:139], v[164:165]
	v_fma_f64 v[8:9], v[128:129], v[156:157], -v[8:9]
	v_mul_f64 v[0:1], v[134:135], v[0:1]
	v_add_f64 v[174:175], v[144:145], v[146:147]
	ds_read_b128 v[144:147], v86 offset:1632
	v_add_f64 v[6:7], v[6:7], v[8:9]
	v_fma_f64 v[0:1], v[132:133], v[152:153], -v[0:1]
	v_add_f64 v[0:1], v[6:7], v[0:1]
	v_mul_f64 v[6:7], v[138:139], v[162:163]
	v_fma_f64 v[6:7], v[136:137], v[164:165], -v[6:7]
	v_add_f64 v[0:1], v[0:1], v[6:7]
	s_waitcnt lgkmcnt(1)
	v_mul_f64 v[6:7], v[142:143], v[158:159]
	v_mul_f64 v[176:177], v[140:141], v[158:159]
	v_fma_f64 v[6:7], v[140:141], v[160:161], -v[6:7]
	v_fmac_f64_e32 v[176:177], v[142:143], v[160:161]
	v_add_f64 v[0:1], v[0:1], v[6:7]
	s_waitcnt vmcnt(6) lgkmcnt(0)
	v_mul_f64 v[6:7], v[146:147], v[166:167]
	v_add_f64 v[174:175], v[174:175], v[176:177]
	v_mul_f64 v[176:177], v[144:145], v[166:167]
	s_waitcnt vmcnt(4)
	v_fma_f64 v[6:7], v[144:145], v[168:169], -v[6:7]
	v_fmac_f64_e32 v[176:177], v[146:147], v[168:169]
	v_add_f64 v[0:1], v[0:1], v[6:7]
	s_waitcnt vmcnt(2)
	v_mul_f64 v[6:7], v[150:151], v[170:171]
	v_add_f64 v[174:175], v[174:175], v[176:177]
	v_mul_f64 v[176:177], v[148:149], v[170:171]
	s_waitcnt vmcnt(0)
	v_fma_f64 v[6:7], v[148:149], v[172:173], -v[6:7]
	v_fmac_f64_e32 v[176:177], v[150:151], v[172:173]
	v_add_f64 v[0:1], v[0:1], v[6:7]
	v_add_f64 v[174:175], v[174:175], v[176:177]
	v_add_f64 v[0:1], v[4:5], -v[0:1]
	v_add_f64 v[2:3], v[2:3], -v[174:175]
	buffer_store_dword v1, off, s[0:3], 0 offset:500
	buffer_store_dword v0, off, s[0:3], 0 offset:496
	;; [unrolled: 1-line block ×4, first 2 shown]
	s_and_saveexec_b64 s[4:5], vcc
	s_cbranch_execz .LBB51_267
; %bb.266:
	v_accvgpr_read_b32 v0, a126
	buffer_load_dword v2, v0, s[0:3], 0 offen
	buffer_load_dword v3, v0, s[0:3], 0 offen offset:4
	buffer_load_dword v4, v0, s[0:3], 0 offen offset:8
	;; [unrolled: 1-line block ×3, first 2 shown]
	v_accvgpr_read_b32 v0, a156
	buffer_store_dword v86, off, s[0:3], 0 offset:480
	buffer_store_dword v86, off, s[0:3], 0 offset:484
	buffer_store_dword v86, off, s[0:3], 0 offset:488
	buffer_store_dword v86, off, s[0:3], 0 offset:492
	s_waitcnt vmcnt(4)
	ds_write_b128 v0, v[2:5]
.LBB51_267:
	s_or_b64 exec, exec, s[4:5]
	s_waitcnt lgkmcnt(0)
	; wave barrier
	s_waitcnt lgkmcnt(0)
	ds_read_b128 v[14:17], v86 offset:1312
	ds_read_b128 v[10:13], v86 offset:1328
	;; [unrolled: 1-line block ×4, first 2 shown]
	buffer_load_dword v20, off, s[0:3], 0 offset:480
	buffer_load_dword v21, off, s[0:3], 0 offset:484
	buffer_load_dword v18, off, s[0:3], 0 offset:488
	buffer_load_dword v19, off, s[0:3], 0 offset:492
	buffer_load_dword v22, off, s[0:3], 0 offset:496
	buffer_load_dword v23, off, s[0:3], 0 offset:500
	buffer_load_dword v28, off, s[0:3], 0 offset:504
	buffer_load_dword v29, off, s[0:3], 0 offset:508
	buffer_load_dword v24, off, s[0:3], 0 offset:512
	buffer_load_dword v25, off, s[0:3], 0 offset:516
	buffer_load_dword v30, off, s[0:3], 0 offset:520
	buffer_load_dword v31, off, s[0:3], 0 offset:524
	buffer_load_dword v26, off, s[0:3], 0 offset:528
	buffer_load_dword v27, off, s[0:3], 0 offset:532
	buffer_load_dword v32, off, s[0:3], 0 offset:536
	buffer_load_dword v33, off, s[0:3], 0 offset:540
	buffer_load_dword v35, off, s[0:3], 0 offset:572
	buffer_load_dword v34, off, s[0:3], 0 offset:568
	buffer_load_dword v37, off, s[0:3], 0 offset:564
	buffer_load_dword v36, off, s[0:3], 0 offset:560
	buffer_load_dword v39, off, s[0:3], 0 offset:556
	buffer_load_dword v38, off, s[0:3], 0 offset:552
	buffer_load_dword v41, off, s[0:3], 0 offset:548
	buffer_load_dword v40, off, s[0:3], 0 offset:544
	buffer_load_dword v43, off, s[0:3], 0 offset:604
	buffer_load_dword v42, off, s[0:3], 0 offset:600
	buffer_load_dword v45, off, s[0:3], 0 offset:596
	buffer_load_dword v44, off, s[0:3], 0 offset:592
	buffer_load_dword v47, off, s[0:3], 0 offset:588
	buffer_load_dword v46, off, s[0:3], 0 offset:584
	buffer_load_dword v49, off, s[0:3], 0 offset:580
	buffer_load_dword v48, off, s[0:3], 0 offset:576
	buffer_load_dword v51, off, s[0:3], 0 offset:636
	buffer_load_dword v50, off, s[0:3], 0 offset:632
	buffer_load_dword v53, off, s[0:3], 0 offset:628
	buffer_load_dword v52, off, s[0:3], 0 offset:624
	buffer_load_dword v55, off, s[0:3], 0 offset:620
	buffer_load_dword v54, off, s[0:3], 0 offset:616
	buffer_load_dword v57, off, s[0:3], 0 offset:612
	buffer_load_dword v56, off, s[0:3], 0 offset:608
	buffer_load_dword v59, off, s[0:3], 0 offset:668
	buffer_load_dword v58, off, s[0:3], 0 offset:664
	buffer_load_dword v61, off, s[0:3], 0 offset:660
	buffer_load_dword v60, off, s[0:3], 0 offset:656
	buffer_load_dword v63, off, s[0:3], 0 offset:652
	buffer_load_dword v62, off, s[0:3], 0 offset:648
	buffer_load_dword v65, off, s[0:3], 0 offset:644
	buffer_load_dword v64, off, s[0:3], 0 offset:640
	buffer_load_dword v67, off, s[0:3], 0 offset:700
	buffer_load_dword v66, off, s[0:3], 0 offset:696
	buffer_load_dword v69, off, s[0:3], 0 offset:692
	buffer_load_dword v68, off, s[0:3], 0 offset:688
	buffer_load_dword v71, off, s[0:3], 0 offset:684
	buffer_load_dword v70, off, s[0:3], 0 offset:680
	buffer_load_dword v73, off, s[0:3], 0 offset:676
	buffer_load_dword v72, off, s[0:3], 0 offset:672
	buffer_load_dword v75, off, s[0:3], 0 offset:732
	buffer_load_dword v74, off, s[0:3], 0 offset:728
	buffer_load_dword v77, off, s[0:3], 0 offset:724
	buffer_load_dword v76, off, s[0:3], 0 offset:720
	buffer_load_dword v79, off, s[0:3], 0 offset:716
	buffer_load_dword v78, off, s[0:3], 0 offset:712
	buffer_load_dword v81, off, s[0:3], 0 offset:708
	buffer_load_dword v80, off, s[0:3], 0 offset:704
	buffer_load_dword v83, off, s[0:3], 0 offset:764
	buffer_load_dword v82, off, s[0:3], 0 offset:760
	buffer_load_dword v85, off, s[0:3], 0 offset:756
	buffer_load_dword v84, off, s[0:3], 0 offset:752
	buffer_load_dword v1, off, s[0:3], 0 offset:748
	buffer_load_dword v0, off, s[0:3], 0 offset:744
	buffer_load_dword v161, off, s[0:3], 0 offset:740
	buffer_load_dword v160, off, s[0:3], 0 offset:736
	buffer_load_dword v163, off, s[0:3], 0 offset:796
	buffer_load_dword v162, off, s[0:3], 0 offset:792
	buffer_load_dword v165, off, s[0:3], 0 offset:788
	buffer_load_dword v164, off, s[0:3], 0 offset:784
	buffer_load_dword v167, off, s[0:3], 0 offset:780
	buffer_load_dword v166, off, s[0:3], 0 offset:776
	buffer_load_dword v169, off, s[0:3], 0 offset:772
	buffer_load_dword v168, off, s[0:3], 0 offset:768
	buffer_load_dword v171, off, s[0:3], 0 offset:828
	buffer_load_dword v170, off, s[0:3], 0 offset:824
	buffer_load_dword v173, off, s[0:3], 0 offset:820
	buffer_load_dword v172, off, s[0:3], 0 offset:816
	buffer_load_dword v175, off, s[0:3], 0 offset:812
	buffer_load_dword v174, off, s[0:3], 0 offset:808
	buffer_load_dword v177, off, s[0:3], 0 offset:804
	buffer_load_dword v176, off, s[0:3], 0 offset:800
	buffer_load_dword v179, off, s[0:3], 0 offset:844
	buffer_load_dword v178, off, s[0:3], 0 offset:840
	buffer_load_dword v181, off, s[0:3], 0 offset:836
	buffer_load_dword v180, off, s[0:3], 0 offset:832
	s_waitcnt vmcnt(62) lgkmcnt(3)
	v_mul_f64 v[88:89], v[14:15], v[28:29]
	v_fmac_f64_e32 v[88:89], v[16:17], v[22:23]
	s_waitcnt lgkmcnt(2)
	v_mul_f64 v[90:91], v[10:11], v[30:31]
	v_add_f64 v[88:89], v[88:89], 0
	v_fmac_f64_e32 v[90:91], v[12:13], v[24:25]
	v_add_f64 v[88:89], v[88:89], v[90:91]
	s_waitcnt lgkmcnt(1)
	v_mul_f64 v[90:91], v[6:7], v[32:33]
	v_fmac_f64_e32 v[90:91], v[8:9], v[26:27]
	v_add_f64 v[92:93], v[88:89], v[90:91]
	ds_read_b128 v[88:91], v86 offset:1376
	v_mul_f64 v[16:17], v[16:17], v[28:29]
	v_fma_f64 v[14:15], v[14:15], v[22:23], -v[16:17]
	s_waitcnt lgkmcnt(1)
	v_mul_f64 v[94:95], v[2:3], v[38:39]
	v_mul_f64 v[12:13], v[12:13], v[30:31]
	v_fmac_f64_e32 v[94:95], v[4:5], v[40:41]
	v_add_f64 v[96:97], v[92:93], v[94:95]
	ds_read_b128 v[92:95], v86 offset:1392
	s_waitcnt lgkmcnt(1)
	v_mul_f64 v[98:99], v[88:89], v[34:35]
	v_fmac_f64_e32 v[98:99], v[90:91], v[36:37]
	v_add_f64 v[100:101], v[96:97], v[98:99]
	ds_read_b128 v[96:99], v86 offset:1408
	s_waitcnt lgkmcnt(1)
	v_mul_f64 v[102:103], v[92:93], v[46:47]
	s_waitcnt vmcnt(60)
	v_fmac_f64_e32 v[102:103], v[94:95], v[48:49]
	v_add_f64 v[104:105], v[100:101], v[102:103]
	ds_read_b128 v[100:103], v86 offset:1424
	s_waitcnt lgkmcnt(1)
	v_mul_f64 v[106:107], v[96:97], v[42:43]
	v_fmac_f64_e32 v[106:107], v[98:99], v[44:45]
	v_add_f64 v[108:109], v[104:105], v[106:107]
	ds_read_b128 v[104:107], v86 offset:1440
	s_waitcnt vmcnt(54) lgkmcnt(1)
	v_mul_f64 v[110:111], v[100:101], v[54:55]
	s_waitcnt vmcnt(52)
	v_fmac_f64_e32 v[110:111], v[102:103], v[56:57]
	v_add_f64 v[112:113], v[108:109], v[110:111]
	ds_read_b128 v[108:111], v86 offset:1456
	s_waitcnt lgkmcnt(1)
	v_mul_f64 v[114:115], v[104:105], v[50:51]
	v_fmac_f64_e32 v[114:115], v[106:107], v[52:53]
	v_add_f64 v[116:117], v[112:113], v[114:115]
	ds_read_b128 v[112:115], v86 offset:1472
	s_waitcnt vmcnt(46) lgkmcnt(1)
	v_mul_f64 v[118:119], v[108:109], v[62:63]
	s_waitcnt vmcnt(44)
	v_fmac_f64_e32 v[118:119], v[110:111], v[64:65]
	v_add_f64 v[120:121], v[116:117], v[118:119]
	ds_read_b128 v[116:119], v86 offset:1488
	s_waitcnt lgkmcnt(1)
	v_mul_f64 v[122:123], v[112:113], v[58:59]
	v_fmac_f64_e32 v[122:123], v[114:115], v[60:61]
	v_add_f64 v[124:125], v[120:121], v[122:123]
	ds_read_b128 v[120:123], v86 offset:1504
	v_add_f64 v[14:15], v[14:15], 0
	v_fma_f64 v[10:11], v[10:11], v[24:25], -v[12:13]
	v_mul_f64 v[8:9], v[8:9], v[32:33]
	v_add_f64 v[10:11], v[14:15], v[10:11]
	v_fma_f64 v[6:7], v[6:7], v[26:27], -v[8:9]
	v_mul_f64 v[4:5], v[4:5], v[38:39]
	;; [unrolled: 3-line block ×3, first 2 shown]
	s_waitcnt vmcnt(38) lgkmcnt(1)
	v_mul_f64 v[126:127], v[116:117], v[70:71]
	v_add_f64 v[2:3], v[6:7], v[2:3]
	v_fma_f64 v[4:5], v[88:89], v[36:37], -v[4:5]
	s_waitcnt vmcnt(36)
	v_fmac_f64_e32 v[126:127], v[118:119], v[72:73]
	v_add_f64 v[2:3], v[2:3], v[4:5]
	v_mul_f64 v[4:5], v[94:95], v[46:47]
	v_add_f64 v[128:129], v[124:125], v[126:127]
	ds_read_b128 v[124:127], v86 offset:1520
	s_waitcnt lgkmcnt(1)
	v_mul_f64 v[130:131], v[120:121], v[66:67]
	v_fma_f64 v[4:5], v[92:93], v[48:49], -v[4:5]
	v_fmac_f64_e32 v[130:131], v[122:123], v[68:69]
	v_add_f64 v[2:3], v[2:3], v[4:5]
	v_mul_f64 v[4:5], v[98:99], v[42:43]
	v_add_f64 v[132:133], v[128:129], v[130:131]
	ds_read_b128 v[128:131], v86 offset:1536
	v_fma_f64 v[4:5], v[96:97], v[44:45], -v[4:5]
	v_add_f64 v[2:3], v[2:3], v[4:5]
	v_mul_f64 v[4:5], v[102:103], v[54:55]
	v_fma_f64 v[4:5], v[100:101], v[56:57], -v[4:5]
	s_waitcnt vmcnt(30) lgkmcnt(1)
	v_mul_f64 v[134:135], v[124:125], v[78:79]
	v_add_f64 v[2:3], v[2:3], v[4:5]
	v_mul_f64 v[4:5], v[106:107], v[50:51]
	s_waitcnt vmcnt(28)
	v_fmac_f64_e32 v[134:135], v[126:127], v[80:81]
	v_fma_f64 v[4:5], v[104:105], v[52:53], -v[4:5]
	v_add_f64 v[136:137], v[132:133], v[134:135]
	ds_read_b128 v[132:135], v86 offset:1552
	s_waitcnt lgkmcnt(1)
	v_mul_f64 v[138:139], v[128:129], v[74:75]
	v_add_f64 v[2:3], v[2:3], v[4:5]
	v_mul_f64 v[4:5], v[110:111], v[62:63]
	v_fmac_f64_e32 v[138:139], v[130:131], v[76:77]
	v_fma_f64 v[4:5], v[108:109], v[64:65], -v[4:5]
	v_add_f64 v[140:141], v[136:137], v[138:139]
	ds_read_b128 v[136:139], v86 offset:1568
	v_add_f64 v[2:3], v[2:3], v[4:5]
	v_mul_f64 v[4:5], v[114:115], v[58:59]
	v_fma_f64 v[4:5], v[112:113], v[60:61], -v[4:5]
	v_add_f64 v[2:3], v[2:3], v[4:5]
	v_mul_f64 v[4:5], v[118:119], v[70:71]
	s_waitcnt vmcnt(22) lgkmcnt(1)
	v_mul_f64 v[142:143], v[132:133], v[0:1]
	v_fma_f64 v[4:5], v[116:117], v[72:73], -v[4:5]
	s_waitcnt vmcnt(20)
	v_fmac_f64_e32 v[142:143], v[134:135], v[160:161]
	v_add_f64 v[2:3], v[2:3], v[4:5]
	v_mul_f64 v[4:5], v[122:123], v[66:67]
	v_add_f64 v[144:145], v[140:141], v[142:143]
	ds_read_b128 v[140:143], v86 offset:1584
	s_waitcnt lgkmcnt(1)
	v_mul_f64 v[146:147], v[136:137], v[82:83]
	v_fma_f64 v[4:5], v[120:121], v[68:69], -v[4:5]
	v_fmac_f64_e32 v[146:147], v[138:139], v[84:85]
	v_add_f64 v[2:3], v[2:3], v[4:5]
	v_mul_f64 v[4:5], v[126:127], v[78:79]
	v_add_f64 v[148:149], v[144:145], v[146:147]
	ds_read_b128 v[144:147], v86 offset:1600
	v_fma_f64 v[4:5], v[124:125], v[80:81], -v[4:5]
	v_add_f64 v[2:3], v[2:3], v[4:5]
	v_mul_f64 v[4:5], v[130:131], v[74:75]
	v_fma_f64 v[4:5], v[128:129], v[76:77], -v[4:5]
	v_mul_f64 v[0:1], v[134:135], v[0:1]
	s_waitcnt vmcnt(14) lgkmcnt(1)
	v_mul_f64 v[150:151], v[140:141], v[166:167]
	v_add_f64 v[2:3], v[2:3], v[4:5]
	v_fma_f64 v[0:1], v[132:133], v[160:161], -v[0:1]
	s_waitcnt vmcnt(12)
	v_fmac_f64_e32 v[150:151], v[142:143], v[168:169]
	v_add_f64 v[0:1], v[2:3], v[0:1]
	v_mul_f64 v[2:3], v[138:139], v[82:83]
	v_add_f64 v[152:153], v[148:149], v[150:151]
	ds_read_b128 v[148:151], v86 offset:1616
	s_waitcnt lgkmcnt(1)
	v_mul_f64 v[154:155], v[144:145], v[162:163]
	v_fma_f64 v[2:3], v[136:137], v[84:85], -v[2:3]
	v_fmac_f64_e32 v[154:155], v[146:147], v[164:165]
	v_add_f64 v[0:1], v[0:1], v[2:3]
	v_mul_f64 v[2:3], v[142:143], v[166:167]
	v_add_f64 v[182:183], v[152:153], v[154:155]
	ds_read_b128 v[152:155], v86 offset:1632
	ds_read_b128 v[156:159], v86 offset:1648
	v_fma_f64 v[2:3], v[140:141], v[168:169], -v[2:3]
	v_add_f64 v[0:1], v[0:1], v[2:3]
	v_mul_f64 v[2:3], v[146:147], v[162:163]
	v_fma_f64 v[2:3], v[144:145], v[164:165], -v[2:3]
	v_add_f64 v[0:1], v[0:1], v[2:3]
	s_waitcnt vmcnt(6) lgkmcnt(2)
	v_mul_f64 v[2:3], v[150:151], v[174:175]
	v_mul_f64 v[184:185], v[148:149], v[174:175]
	s_waitcnt vmcnt(4)
	v_fma_f64 v[2:3], v[148:149], v[176:177], -v[2:3]
	v_fmac_f64_e32 v[184:185], v[150:151], v[176:177]
	v_add_f64 v[0:1], v[0:1], v[2:3]
	s_waitcnt lgkmcnt(1)
	v_mul_f64 v[2:3], v[154:155], v[170:171]
	v_add_f64 v[86:87], v[182:183], v[184:185]
	v_mul_f64 v[182:183], v[152:153], v[170:171]
	v_fma_f64 v[2:3], v[152:153], v[172:173], -v[2:3]
	v_fmac_f64_e32 v[182:183], v[154:155], v[172:173]
	v_add_f64 v[0:1], v[0:1], v[2:3]
	s_waitcnt vmcnt(2) lgkmcnt(0)
	v_mul_f64 v[2:3], v[158:159], v[178:179]
	v_add_f64 v[86:87], v[86:87], v[182:183]
	v_mul_f64 v[182:183], v[156:157], v[178:179]
	s_waitcnt vmcnt(0)
	v_fma_f64 v[2:3], v[156:157], v[180:181], -v[2:3]
	v_fmac_f64_e32 v[182:183], v[158:159], v[180:181]
	v_add_f64 v[0:1], v[0:1], v[2:3]
	v_add_f64 v[86:87], v[86:87], v[182:183]
	v_add_f64 v[0:1], v[20:21], -v[0:1]
	v_cmp_lt_u32_e32 vcc, 28, v255
	v_add_f64 v[2:3], v[18:19], -v[86:87]
	buffer_store_dword v1, off, s[0:3], 0 offset:484
	buffer_store_dword v0, off, s[0:3], 0 offset:480
	;; [unrolled: 1-line block ×4, first 2 shown]
	s_and_saveexec_b64 s[4:5], vcc
	s_cbranch_execz .LBB51_269
; %bb.268:
	v_accvgpr_read_b32 v0, a127
	buffer_load_dword v2, v0, s[0:3], 0 offen
	buffer_load_dword v3, v0, s[0:3], 0 offen offset:4
	buffer_load_dword v4, v0, s[0:3], 0 offen offset:8
	;; [unrolled: 1-line block ×3, first 2 shown]
	v_mov_b32_e32 v0, 0
	v_accvgpr_read_b32 v1, a156
	buffer_store_dword v0, off, s[0:3], 0 offset:464
	buffer_store_dword v0, off, s[0:3], 0 offset:468
	;; [unrolled: 1-line block ×4, first 2 shown]
	s_waitcnt vmcnt(4)
	ds_write_b128 v1, v[2:5]
.LBB51_269:
	s_or_b64 exec, exec, s[4:5]
	s_waitcnt lgkmcnt(0)
	; wave barrier
	s_waitcnt lgkmcnt(0)
	buffer_load_dword v9, off, s[0:3], 0 offset:492
	buffer_load_dword v6, off, s[0:3], 0 offset:504
	;; [unrolled: 1-line block ×64, first 2 shown]
	v_mov_b32_e32 v98, 0
	ds_read_b128 v[74:77], v98 offset:1296
	ds_read_b128 v[78:81], v98 offset:1312
	buffer_load_dword v67, off, s[0:3], 0 offset:748
	buffer_load_dword v66, off, s[0:3], 0 offset:744
	;; [unrolled: 1-line block ×8, first 2 shown]
	ds_read_b128 v[82:85], v98 offset:1328
	ds_read_b128 v[86:89], v98 offset:1344
	buffer_load_dword v169, off, s[0:3], 0 offset:780
	buffer_load_dword v168, off, s[0:3], 0 offset:776
	buffer_load_dword v171, off, s[0:3], 0 offset:772
	buffer_load_dword v170, off, s[0:3], 0 offset:768
	buffer_load_dword v173, off, s[0:3], 0 offset:764
	buffer_load_dword v172, off, s[0:3], 0 offset:760
	buffer_load_dword v175, off, s[0:3], 0 offset:756
	buffer_load_dword v174, off, s[0:3], 0 offset:752
	buffer_load_dword v177, off, s[0:3], 0 offset:812
	buffer_load_dword v176, off, s[0:3], 0 offset:808
	buffer_load_dword v179, off, s[0:3], 0 offset:804
	buffer_load_dword v178, off, s[0:3], 0 offset:800
	buffer_load_dword v181, off, s[0:3], 0 offset:796
	buffer_load_dword v180, off, s[0:3], 0 offset:792
	buffer_load_dword v183, off, s[0:3], 0 offset:788
	buffer_load_dword v182, off, s[0:3], 0 offset:784
	buffer_load_dword v185, off, s[0:3], 0 offset:844
	buffer_load_dword v184, off, s[0:3], 0 offset:840
	buffer_load_dword v187, off, s[0:3], 0 offset:836
	buffer_load_dword v186, off, s[0:3], 0 offset:832
	buffer_load_dword v189, off, s[0:3], 0 offset:828
	buffer_load_dword v188, off, s[0:3], 0 offset:824
	buffer_load_dword v191, off, s[0:3], 0 offset:820
	buffer_load_dword v190, off, s[0:3], 0 offset:816
	ds_read_b128 v[164:167], v98 offset:1648
	v_cmp_lt_u32_e32 vcc, 27, v255
	s_waitcnt vmcnt(62) lgkmcnt(1)
	v_mul_f64 v[94:95], v[86:87], v[22:23]
	v_fmac_f64_e32 v[94:95], v[88:89], v[24:25]
	v_mul_f64 v[90:91], v[78:79], v[6:7]
	v_mul_f64 v[0:1], v[74:75], v[8:9]
	;; [unrolled: 1-line block ×3, first 2 shown]
	v_fmac_f64_e32 v[0:1], v[76:77], v[10:11]
	v_add_f64 v[0:1], v[0:1], 0
	v_fma_f64 v[8:9], v[74:75], v[10:11], -v[8:9]
	v_mul_f64 v[6:7], v[80:81], v[6:7]
	v_add_f64 v[8:9], v[8:9], 0
	v_fmac_f64_e32 v[90:91], v[80:81], v[14:15]
	v_add_f64 v[0:1], v[0:1], v[90:91]
	v_mul_f64 v[90:91], v[82:83], v[16:17]
	v_fmac_f64_e32 v[90:91], v[84:85], v[12:13]
	v_add_f64 v[0:1], v[0:1], v[90:91]
	ds_read_b128 v[90:93], v98 offset:1360
	v_add_f64 v[0:1], v[0:1], v[94:95]
	ds_read_b128 v[94:97], v98 offset:1376
	v_fma_f64 v[6:7], v[78:79], v[14:15], -v[6:7]
	v_add_f64 v[6:7], v[8:9], v[6:7]
	s_waitcnt lgkmcnt(1)
	v_mul_f64 v[100:101], v[90:91], v[18:19]
	v_fmac_f64_e32 v[100:101], v[92:93], v[20:21]
	v_add_f64 v[0:1], v[0:1], v[100:101]
	ds_read_b128 v[100:103], v98 offset:1392
	s_waitcnt lgkmcnt(1)
	v_mul_f64 v[104:105], v[94:95], v[30:31]
	v_fmac_f64_e32 v[104:105], v[96:97], v[32:33]
	v_add_f64 v[0:1], v[0:1], v[104:105]
	ds_read_b128 v[104:107], v98 offset:1408
	;; [unrolled: 5-line block ×3, first 2 shown]
	s_waitcnt vmcnt(58) lgkmcnt(1)
	v_mul_f64 v[112:113], v[104:105], v[38:39]
	s_waitcnt vmcnt(56)
	v_fmac_f64_e32 v[112:113], v[106:107], v[40:41]
	v_add_f64 v[0:1], v[0:1], v[112:113]
	ds_read_b128 v[112:115], v98 offset:1440
	s_waitcnt lgkmcnt(1)
	v_mul_f64 v[116:117], v[108:109], v[34:35]
	v_fmac_f64_e32 v[116:117], v[110:111], v[36:37]
	v_add_f64 v[0:1], v[0:1], v[116:117]
	ds_read_b128 v[116:119], v98 offset:1456
	s_waitcnt vmcnt(50) lgkmcnt(1)
	v_mul_f64 v[120:121], v[112:113], v[46:47]
	s_waitcnt vmcnt(48)
	v_fmac_f64_e32 v[120:121], v[114:115], v[48:49]
	v_add_f64 v[0:1], v[0:1], v[120:121]
	ds_read_b128 v[120:123], v98 offset:1472
	v_mul_f64 v[8:9], v[84:85], v[16:17]
	s_waitcnt lgkmcnt(1)
	v_mul_f64 v[124:125], v[116:117], v[42:43]
	v_fma_f64 v[8:9], v[82:83], v[12:13], -v[8:9]
	v_fmac_f64_e32 v[124:125], v[118:119], v[44:45]
	v_add_f64 v[6:7], v[6:7], v[8:9]
	v_mul_f64 v[8:9], v[88:89], v[22:23]
	v_add_f64 v[0:1], v[0:1], v[124:125]
	ds_read_b128 v[124:127], v98 offset:1488
	s_waitcnt vmcnt(42) lgkmcnt(1)
	v_mul_f64 v[128:129], v[120:121], v[54:55]
	v_fma_f64 v[8:9], v[86:87], v[24:25], -v[8:9]
	s_waitcnt vmcnt(40)
	v_fmac_f64_e32 v[128:129], v[122:123], v[56:57]
	v_add_f64 v[6:7], v[6:7], v[8:9]
	v_mul_f64 v[8:9], v[92:93], v[18:19]
	v_add_f64 v[0:1], v[0:1], v[128:129]
	ds_read_b128 v[128:131], v98 offset:1504
	v_fma_f64 v[8:9], v[90:91], v[20:21], -v[8:9]
	v_add_f64 v[6:7], v[6:7], v[8:9]
	v_mul_f64 v[8:9], v[96:97], v[30:31]
	v_fma_f64 v[8:9], v[94:95], v[32:33], -v[8:9]
	s_waitcnt lgkmcnt(1)
	v_mul_f64 v[132:133], v[124:125], v[50:51]
	v_add_f64 v[6:7], v[6:7], v[8:9]
	v_mul_f64 v[8:9], v[102:103], v[26:27]
	v_fmac_f64_e32 v[132:133], v[126:127], v[52:53]
	v_fma_f64 v[8:9], v[100:101], v[28:29], -v[8:9]
	v_add_f64 v[0:1], v[0:1], v[132:133]
	ds_read_b128 v[132:135], v98 offset:1520
	s_waitcnt vmcnt(34) lgkmcnt(1)
	v_mul_f64 v[136:137], v[128:129], v[62:63]
	v_add_f64 v[6:7], v[6:7], v[8:9]
	v_mul_f64 v[8:9], v[106:107], v[38:39]
	s_waitcnt vmcnt(32)
	v_fmac_f64_e32 v[136:137], v[130:131], v[64:65]
	v_fma_f64 v[8:9], v[104:105], v[40:41], -v[8:9]
	v_add_f64 v[0:1], v[0:1], v[136:137]
	ds_read_b128 v[136:139], v98 offset:1536
	v_add_f64 v[6:7], v[6:7], v[8:9]
	v_mul_f64 v[8:9], v[110:111], v[34:35]
	v_fma_f64 v[8:9], v[108:109], v[36:37], -v[8:9]
	v_add_f64 v[6:7], v[6:7], v[8:9]
	v_mul_f64 v[8:9], v[114:115], v[46:47]
	s_waitcnt lgkmcnt(1)
	v_mul_f64 v[140:141], v[132:133], v[58:59]
	v_fma_f64 v[8:9], v[112:113], v[48:49], -v[8:9]
	v_fmac_f64_e32 v[140:141], v[134:135], v[60:61]
	v_add_f64 v[6:7], v[6:7], v[8:9]
	v_mul_f64 v[8:9], v[118:119], v[42:43]
	v_add_f64 v[0:1], v[0:1], v[140:141]
	ds_read_b128 v[140:143], v98 offset:1552
	s_waitcnt vmcnt(26) lgkmcnt(1)
	v_mul_f64 v[144:145], v[136:137], v[70:71]
	v_fma_f64 v[8:9], v[116:117], v[44:45], -v[8:9]
	s_waitcnt vmcnt(24)
	v_fmac_f64_e32 v[144:145], v[138:139], v[72:73]
	v_add_f64 v[6:7], v[6:7], v[8:9]
	v_mul_f64 v[8:9], v[122:123], v[54:55]
	v_add_f64 v[0:1], v[0:1], v[144:145]
	ds_read_b128 v[144:147], v98 offset:1568
	v_fma_f64 v[8:9], v[120:121], v[56:57], -v[8:9]
	v_add_f64 v[6:7], v[6:7], v[8:9]
	v_mul_f64 v[8:9], v[126:127], v[50:51]
	v_fma_f64 v[8:9], v[124:125], v[52:53], -v[8:9]
	s_waitcnt lgkmcnt(1)
	v_mul_f64 v[148:149], v[140:141], v[66:67]
	v_add_f64 v[6:7], v[6:7], v[8:9]
	v_mul_f64 v[8:9], v[130:131], v[62:63]
	v_fmac_f64_e32 v[148:149], v[142:143], v[68:69]
	v_fma_f64 v[8:9], v[128:129], v[64:65], -v[8:9]
	v_add_f64 v[0:1], v[0:1], v[148:149]
	ds_read_b128 v[148:151], v98 offset:1584
	s_waitcnt vmcnt(18) lgkmcnt(1)
	v_mul_f64 v[152:153], v[144:145], v[172:173]
	v_add_f64 v[6:7], v[6:7], v[8:9]
	v_mul_f64 v[8:9], v[134:135], v[58:59]
	s_waitcnt vmcnt(16)
	v_fmac_f64_e32 v[152:153], v[146:147], v[174:175]
	v_fma_f64 v[8:9], v[132:133], v[60:61], -v[8:9]
	v_add_f64 v[0:1], v[0:1], v[152:153]
	ds_read_b128 v[152:155], v98 offset:1600
	v_add_f64 v[6:7], v[6:7], v[8:9]
	v_mul_f64 v[8:9], v[138:139], v[70:71]
	v_fma_f64 v[8:9], v[136:137], v[72:73], -v[8:9]
	v_add_f64 v[6:7], v[6:7], v[8:9]
	v_mul_f64 v[8:9], v[142:143], v[66:67]
	s_waitcnt lgkmcnt(1)
	v_mul_f64 v[156:157], v[148:149], v[168:169]
	v_fma_f64 v[8:9], v[140:141], v[68:69], -v[8:9]
	v_fmac_f64_e32 v[156:157], v[150:151], v[170:171]
	v_add_f64 v[6:7], v[6:7], v[8:9]
	v_mul_f64 v[8:9], v[146:147], v[172:173]
	v_add_f64 v[0:1], v[0:1], v[156:157]
	ds_read_b128 v[156:159], v98 offset:1616
	s_waitcnt vmcnt(10) lgkmcnt(1)
	v_mul_f64 v[160:161], v[152:153], v[180:181]
	v_fma_f64 v[8:9], v[144:145], v[174:175], -v[8:9]
	s_waitcnt vmcnt(8)
	v_fmac_f64_e32 v[160:161], v[154:155], v[182:183]
	v_add_f64 v[6:7], v[6:7], v[8:9]
	v_mul_f64 v[8:9], v[150:151], v[168:169]
	v_add_f64 v[0:1], v[0:1], v[160:161]
	ds_read_b128 v[160:163], v98 offset:1632
	v_fma_f64 v[8:9], v[148:149], v[170:171], -v[8:9]
	v_add_f64 v[6:7], v[6:7], v[8:9]
	v_mul_f64 v[8:9], v[154:155], v[180:181]
	v_fma_f64 v[8:9], v[152:153], v[182:183], -v[8:9]
	v_add_f64 v[6:7], v[6:7], v[8:9]
	s_waitcnt lgkmcnt(1)
	v_mul_f64 v[8:9], v[158:159], v[176:177]
	v_mul_f64 v[192:193], v[156:157], v[176:177]
	v_fma_f64 v[8:9], v[156:157], v[178:179], -v[8:9]
	v_fmac_f64_e32 v[192:193], v[158:159], v[178:179]
	v_add_f64 v[6:7], v[6:7], v[8:9]
	s_waitcnt vmcnt(2) lgkmcnt(0)
	v_mul_f64 v[8:9], v[162:163], v[188:189]
	v_add_f64 v[0:1], v[0:1], v[192:193]
	v_mul_f64 v[192:193], v[160:161], v[188:189]
	s_waitcnt vmcnt(0)
	v_fma_f64 v[8:9], v[160:161], v[190:191], -v[8:9]
	v_fmac_f64_e32 v[192:193], v[162:163], v[190:191]
	v_add_f64 v[6:7], v[6:7], v[8:9]
	v_mul_f64 v[8:9], v[166:167], v[184:185]
	v_add_f64 v[0:1], v[0:1], v[192:193]
	v_mul_f64 v[192:193], v[164:165], v[184:185]
	v_fma_f64 v[8:9], v[164:165], v[186:187], -v[8:9]
	v_fmac_f64_e32 v[192:193], v[166:167], v[186:187]
	v_add_f64 v[6:7], v[6:7], v[8:9]
	v_add_f64 v[0:1], v[0:1], v[192:193]
	v_add_f64 v[4:5], v[4:5], -v[6:7]
	v_add_f64 v[0:1], v[2:3], -v[0:1]
	buffer_store_dword v5, off, s[0:3], 0 offset:468
	buffer_store_dword v4, off, s[0:3], 0 offset:464
	;; [unrolled: 1-line block ×4, first 2 shown]
	s_and_saveexec_b64 s[4:5], vcc
	s_cbranch_execz .LBB51_271
; %bb.270:
	v_accvgpr_read_b32 v0, a128
	buffer_load_dword v2, v0, s[0:3], 0 offen
	buffer_load_dword v3, v0, s[0:3], 0 offen offset:4
	buffer_load_dword v4, v0, s[0:3], 0 offen offset:8
	;; [unrolled: 1-line block ×3, first 2 shown]
	v_accvgpr_read_b32 v0, a156
	buffer_store_dword v98, off, s[0:3], 0 offset:448
	buffer_store_dword v98, off, s[0:3], 0 offset:452
	buffer_store_dword v98, off, s[0:3], 0 offset:456
	buffer_store_dword v98, off, s[0:3], 0 offset:460
	s_waitcnt vmcnt(4)
	ds_write_b128 v0, v[2:5]
.LBB51_271:
	s_or_b64 exec, exec, s[4:5]
	s_waitcnt lgkmcnt(0)
	; wave barrier
	s_waitcnt lgkmcnt(0)
	buffer_load_dword v22, off, s[0:3], 0 offset:464
	buffer_load_dword v23, off, s[0:3], 0 offset:468
	;; [unrolled: 1-line block ×16, first 2 shown]
	ds_read_b128 v[2:5], v98 offset:1280
	ds_read_b128 v[6:9], v98 offset:1296
	;; [unrolled: 1-line block ×4, first 2 shown]
	buffer_load_dword v35, off, s[0:3], 0 offset:540
	buffer_load_dword v34, off, s[0:3], 0 offset:536
	;; [unrolled: 1-line block ×48, first 2 shown]
	v_cmp_lt_u32_e32 vcc, 26, v255
	s_waitcnt vmcnt(42) lgkmcnt(0)
	v_mul_f64 v[104:105], v[14:15], v[38:39]
	s_waitcnt vmcnt(40)
	v_fmac_f64_e32 v[104:105], v[16:17], v[40:41]
	v_mul_f64 v[0:1], v[2:3], v[24:25]
	v_fmac_f64_e32 v[0:1], v[4:5], v[22:23]
	v_add_f64 v[0:1], v[0:1], 0
	v_mul_f64 v[4:5], v[4:5], v[24:25]
	v_mul_f64 v[82:83], v[6:7], v[32:33]
	v_fma_f64 v[2:3], v[2:3], v[22:23], -v[4:5]
	v_mul_f64 v[100:101], v[10:11], v[26:27]
	v_fmac_f64_e32 v[100:101], v[12:13], v[30:31]
	v_fmac_f64_e32 v[82:83], v[8:9], v[28:29]
	v_add_f64 v[0:1], v[0:1], v[82:83]
	buffer_load_dword v83, off, s[0:3], 0 offset:732
	buffer_load_dword v82, off, s[0:3], 0 offset:728
	;; [unrolled: 1-line block ×32, first 2 shown]
	v_add_f64 v[0:1], v[0:1], v[100:101]
	ds_read_b128 v[100:103], v98 offset:1344
	buffer_load_dword v197, off, s[0:3], 0 offset:844
	buffer_load_dword v196, off, s[0:3], 0 offset:840
	;; [unrolled: 1-line block ×4, first 2 shown]
	v_add_f64 v[0:1], v[0:1], v[104:105]
	ds_read_b128 v[104:107], v98 offset:1360
	v_mul_f64 v[4:5], v[8:9], v[32:33]
	s_waitcnt lgkmcnt(1)
	v_mul_f64 v[108:109], v[100:101], v[34:35]
	v_fmac_f64_e32 v[108:109], v[102:103], v[36:37]
	v_add_f64 v[0:1], v[0:1], v[108:109]
	ds_read_b128 v[108:111], v98 offset:1376
	s_waitcnt vmcnt(62) lgkmcnt(1)
	v_mul_f64 v[112:113], v[104:105], v[46:47]
	v_fmac_f64_e32 v[112:113], v[106:107], v[48:49]
	v_add_f64 v[0:1], v[0:1], v[112:113]
	ds_read_b128 v[112:115], v98 offset:1392
	s_waitcnt lgkmcnt(1)
	v_mul_f64 v[116:117], v[108:109], v[42:43]
	v_fmac_f64_e32 v[116:117], v[110:111], v[44:45]
	v_add_f64 v[0:1], v[0:1], v[116:117]
	ds_read_b128 v[116:119], v98 offset:1408
	s_waitcnt lgkmcnt(1)
	v_mul_f64 v[120:121], v[112:113], v[54:55]
	s_waitcnt vmcnt(60)
	v_fmac_f64_e32 v[120:121], v[114:115], v[56:57]
	v_add_f64 v[0:1], v[0:1], v[120:121]
	ds_read_b128 v[120:123], v98 offset:1424
	s_waitcnt lgkmcnt(1)
	v_mul_f64 v[124:125], v[116:117], v[50:51]
	v_fmac_f64_e32 v[124:125], v[118:119], v[52:53]
	v_add_f64 v[0:1], v[0:1], v[124:125]
	ds_read_b128 v[124:127], v98 offset:1440
	s_waitcnt vmcnt(54) lgkmcnt(1)
	v_mul_f64 v[128:129], v[120:121], v[62:63]
	s_waitcnt vmcnt(52)
	v_fmac_f64_e32 v[128:129], v[122:123], v[64:65]
	v_add_f64 v[0:1], v[0:1], v[128:129]
	ds_read_b128 v[128:131], v98 offset:1456
	s_waitcnt lgkmcnt(1)
	v_mul_f64 v[132:133], v[124:125], v[58:59]
	v_fmac_f64_e32 v[132:133], v[126:127], v[60:61]
	v_add_f64 v[2:3], v[2:3], 0
	v_fma_f64 v[4:5], v[6:7], v[28:29], -v[4:5]
	v_add_f64 v[0:1], v[0:1], v[132:133]
	ds_read_b128 v[132:135], v98 offset:1472
	v_add_f64 v[2:3], v[2:3], v[4:5]
	v_mul_f64 v[4:5], v[12:13], v[26:27]
	v_fma_f64 v[4:5], v[10:11], v[30:31], -v[4:5]
	v_add_f64 v[2:3], v[2:3], v[4:5]
	v_mul_f64 v[4:5], v[16:17], v[38:39]
	s_waitcnt vmcnt(46) lgkmcnt(1)
	v_mul_f64 v[136:137], v[128:129], v[70:71]
	v_fma_f64 v[4:5], v[14:15], v[40:41], -v[4:5]
	s_waitcnt vmcnt(44)
	v_fmac_f64_e32 v[136:137], v[130:131], v[72:73]
	v_add_f64 v[2:3], v[2:3], v[4:5]
	v_mul_f64 v[4:5], v[102:103], v[34:35]
	v_add_f64 v[0:1], v[0:1], v[136:137]
	ds_read_b128 v[136:139], v98 offset:1488
	s_waitcnt lgkmcnt(1)
	v_mul_f64 v[140:141], v[132:133], v[66:67]
	v_fma_f64 v[4:5], v[100:101], v[36:37], -v[4:5]
	v_fmac_f64_e32 v[140:141], v[134:135], v[68:69]
	v_add_f64 v[2:3], v[2:3], v[4:5]
	v_mul_f64 v[4:5], v[106:107], v[46:47]
	v_add_f64 v[0:1], v[0:1], v[140:141]
	ds_read_b128 v[140:143], v98 offset:1504
	v_fma_f64 v[4:5], v[104:105], v[48:49], -v[4:5]
	v_add_f64 v[2:3], v[2:3], v[4:5]
	v_mul_f64 v[4:5], v[110:111], v[42:43]
	v_fma_f64 v[4:5], v[108:109], v[44:45], -v[4:5]
	s_waitcnt vmcnt(38) lgkmcnt(1)
	v_mul_f64 v[144:145], v[136:137], v[78:79]
	v_add_f64 v[2:3], v[2:3], v[4:5]
	v_mul_f64 v[4:5], v[114:115], v[54:55]
	s_waitcnt vmcnt(36)
	v_fmac_f64_e32 v[144:145], v[138:139], v[80:81]
	v_fma_f64 v[4:5], v[112:113], v[56:57], -v[4:5]
	v_add_f64 v[0:1], v[0:1], v[144:145]
	ds_read_b128 v[144:147], v98 offset:1520
	s_waitcnt lgkmcnt(1)
	v_mul_f64 v[148:149], v[140:141], v[74:75]
	v_add_f64 v[2:3], v[2:3], v[4:5]
	v_mul_f64 v[4:5], v[118:119], v[50:51]
	v_fmac_f64_e32 v[148:149], v[142:143], v[76:77]
	v_fma_f64 v[4:5], v[116:117], v[52:53], -v[4:5]
	v_add_f64 v[0:1], v[0:1], v[148:149]
	ds_read_b128 v[148:151], v98 offset:1536
	v_add_f64 v[2:3], v[2:3], v[4:5]
	v_mul_f64 v[4:5], v[122:123], v[62:63]
	v_fma_f64 v[4:5], v[120:121], v[64:65], -v[4:5]
	v_add_f64 v[2:3], v[2:3], v[4:5]
	v_mul_f64 v[4:5], v[126:127], v[58:59]
	s_waitcnt vmcnt(30) lgkmcnt(1)
	v_mul_f64 v[152:153], v[144:145], v[86:87]
	v_fma_f64 v[4:5], v[124:125], v[60:61], -v[4:5]
	s_waitcnt vmcnt(28)
	v_fmac_f64_e32 v[152:153], v[146:147], v[88:89]
	v_add_f64 v[2:3], v[2:3], v[4:5]
	v_mul_f64 v[4:5], v[130:131], v[70:71]
	v_add_f64 v[0:1], v[0:1], v[152:153]
	ds_read_b128 v[152:155], v98 offset:1552
	s_waitcnt lgkmcnt(1)
	v_mul_f64 v[156:157], v[148:149], v[82:83]
	v_fma_f64 v[4:5], v[128:129], v[72:73], -v[4:5]
	v_fmac_f64_e32 v[156:157], v[150:151], v[84:85]
	v_add_f64 v[2:3], v[2:3], v[4:5]
	v_mul_f64 v[4:5], v[134:135], v[66:67]
	v_add_f64 v[0:1], v[0:1], v[156:157]
	ds_read_b128 v[156:159], v98 offset:1568
	v_fma_f64 v[4:5], v[132:133], v[68:69], -v[4:5]
	v_add_f64 v[2:3], v[2:3], v[4:5]
	v_mul_f64 v[4:5], v[138:139], v[78:79]
	v_fma_f64 v[4:5], v[136:137], v[80:81], -v[4:5]
	s_waitcnt vmcnt(22) lgkmcnt(1)
	v_mul_f64 v[160:161], v[152:153], v[94:95]
	v_add_f64 v[2:3], v[2:3], v[4:5]
	v_mul_f64 v[4:5], v[142:143], v[74:75]
	s_waitcnt vmcnt(20)
	v_fmac_f64_e32 v[160:161], v[154:155], v[96:97]
	v_fma_f64 v[4:5], v[140:141], v[76:77], -v[4:5]
	v_add_f64 v[0:1], v[0:1], v[160:161]
	ds_read_b128 v[160:163], v98 offset:1584
	s_waitcnt lgkmcnt(1)
	v_mul_f64 v[164:165], v[156:157], v[90:91]
	v_add_f64 v[2:3], v[2:3], v[4:5]
	v_mul_f64 v[4:5], v[146:147], v[86:87]
	v_fmac_f64_e32 v[164:165], v[158:159], v[92:93]
	v_fma_f64 v[4:5], v[144:145], v[88:89], -v[4:5]
	v_add_f64 v[0:1], v[0:1], v[164:165]
	ds_read_b128 v[164:167], v98 offset:1600
	v_add_f64 v[2:3], v[2:3], v[4:5]
	v_mul_f64 v[4:5], v[150:151], v[82:83]
	v_fma_f64 v[4:5], v[148:149], v[84:85], -v[4:5]
	v_add_f64 v[2:3], v[2:3], v[4:5]
	v_mul_f64 v[4:5], v[154:155], v[94:95]
	s_waitcnt vmcnt(14) lgkmcnt(1)
	v_mul_f64 v[168:169], v[160:161], v[184:185]
	v_fma_f64 v[4:5], v[152:153], v[96:97], -v[4:5]
	s_waitcnt vmcnt(12)
	v_fmac_f64_e32 v[168:169], v[162:163], v[186:187]
	v_add_f64 v[2:3], v[2:3], v[4:5]
	v_mul_f64 v[4:5], v[158:159], v[90:91]
	v_add_f64 v[0:1], v[0:1], v[168:169]
	ds_read_b128 v[168:171], v98 offset:1616
	s_waitcnt lgkmcnt(1)
	v_mul_f64 v[172:173], v[164:165], v[180:181]
	v_fma_f64 v[4:5], v[156:157], v[92:93], -v[4:5]
	v_fmac_f64_e32 v[172:173], v[166:167], v[182:183]
	v_add_f64 v[2:3], v[2:3], v[4:5]
	v_mul_f64 v[4:5], v[162:163], v[184:185]
	v_add_f64 v[0:1], v[0:1], v[172:173]
	ds_read_b128 v[172:175], v98 offset:1632
	v_fma_f64 v[4:5], v[160:161], v[186:187], -v[4:5]
	v_add_f64 v[2:3], v[2:3], v[4:5]
	v_mul_f64 v[4:5], v[166:167], v[180:181]
	ds_read_b128 v[176:179], v98 offset:1648
	v_fma_f64 v[4:5], v[164:165], v[182:183], -v[4:5]
	v_add_f64 v[2:3], v[2:3], v[4:5]
	s_waitcnt vmcnt(6) lgkmcnt(2)
	v_mul_f64 v[4:5], v[170:171], v[192:193]
	s_waitcnt vmcnt(4)
	v_fma_f64 v[4:5], v[168:169], v[194:195], -v[4:5]
	v_mul_f64 v[200:201], v[168:169], v[192:193]
	v_add_f64 v[2:3], v[2:3], v[4:5]
	s_waitcnt lgkmcnt(1)
	v_mul_f64 v[4:5], v[174:175], v[188:189]
	v_fmac_f64_e32 v[200:201], v[170:171], v[194:195]
	v_mul_f64 v[98:99], v[172:173], v[188:189]
	v_fma_f64 v[4:5], v[172:173], v[190:191], -v[4:5]
	v_add_f64 v[0:1], v[0:1], v[200:201]
	v_fmac_f64_e32 v[98:99], v[174:175], v[190:191]
	v_add_f64 v[2:3], v[2:3], v[4:5]
	s_waitcnt vmcnt(2) lgkmcnt(0)
	v_mul_f64 v[4:5], v[178:179], v[196:197]
	v_add_f64 v[0:1], v[0:1], v[98:99]
	v_mul_f64 v[98:99], v[176:177], v[196:197]
	s_waitcnt vmcnt(0)
	v_fma_f64 v[4:5], v[176:177], v[198:199], -v[4:5]
	v_fmac_f64_e32 v[98:99], v[178:179], v[198:199]
	v_add_f64 v[2:3], v[2:3], v[4:5]
	v_add_f64 v[0:1], v[0:1], v[98:99]
	v_add_f64 v[2:3], v[20:21], -v[2:3]
	v_add_f64 v[0:1], v[18:19], -v[0:1]
	buffer_store_dword v3, off, s[0:3], 0 offset:452
	buffer_store_dword v2, off, s[0:3], 0 offset:448
	;; [unrolled: 1-line block ×4, first 2 shown]
	s_and_saveexec_b64 s[4:5], vcc
	s_cbranch_execz .LBB51_273
; %bb.272:
	v_accvgpr_read_b32 v0, a129
	buffer_load_dword v2, v0, s[0:3], 0 offen
	buffer_load_dword v3, v0, s[0:3], 0 offen offset:4
	buffer_load_dword v4, v0, s[0:3], 0 offen offset:8
	;; [unrolled: 1-line block ×3, first 2 shown]
	v_mov_b32_e32 v0, 0
	v_accvgpr_read_b32 v1, a156
	buffer_store_dword v0, off, s[0:3], 0 offset:432
	buffer_store_dword v0, off, s[0:3], 0 offset:436
	;; [unrolled: 1-line block ×4, first 2 shown]
	s_waitcnt vmcnt(4)
	ds_write_b128 v1, v[2:5]
.LBB51_273:
	s_or_b64 exec, exec, s[4:5]
	s_waitcnt lgkmcnt(0)
	; wave barrier
	s_waitcnt lgkmcnt(0)
	buffer_load_dword v22, off, s[0:3], 0 offset:448
	buffer_load_dword v23, off, s[0:3], 0 offset:452
	;; [unrolled: 1-line block ×64, first 2 shown]
	v_mov_b32_e32 v114, 0
	ds_read_b128 v[18:21], v114 offset:1264
	ds_read_b128 v[14:17], v114 offset:1280
	;; [unrolled: 1-line block ×5, first 2 shown]
	v_cmp_lt_u32_e32 vcc, 25, v255
	s_waitcnt vmcnt(60) lgkmcnt(4)
	v_mul_f64 v[0:1], v[18:19], v[26:27]
	v_fmac_f64_e32 v[0:1], v[20:21], v[22:23]
	v_add_f64 v[0:1], v[0:1], 0
	v_mul_f64 v[20:21], v[20:21], v[26:27]
	s_waitcnt vmcnt(56) lgkmcnt(3)
	v_mul_f64 v[86:87], v[14:15], v[28:29]
	v_fmac_f64_e32 v[86:87], v[16:17], v[24:25]
	s_waitcnt vmcnt(54) lgkmcnt(2)
	v_mul_f64 v[88:89], v[10:11], v[30:31]
	v_add_f64 v[0:1], v[0:1], v[86:87]
	v_fma_f64 v[18:19], v[18:19], v[22:23], -v[20:21]
	v_mul_f64 v[16:17], v[16:17], v[28:29]
	s_waitcnt vmcnt(50) lgkmcnt(1)
	v_mul_f64 v[102:103], v[6:7], v[40:41]
	v_add_f64 v[18:19], v[18:19], 0
	s_waitcnt vmcnt(48)
	v_fmac_f64_e32 v[88:89], v[12:13], v[44:45]
	v_add_f64 v[0:1], v[0:1], v[88:89]
	buffer_load_dword v87, off, s[0:3], 0 offset:716
	buffer_load_dword v86, off, s[0:3], 0 offset:712
	;; [unrolled: 1-line block ×40, first 2 shown]
	s_waitcnt vmcnt(62)
	v_fmac_f64_e32 v[102:103], v[8:9], v[42:43]
	v_add_f64 v[0:1], v[0:1], v[102:103]
	ds_read_b128 v[102:105], v114 offset:1344
	s_waitcnt lgkmcnt(1)
	v_mul_f64 v[106:107], v[2:3], v[36:37]
	v_fmac_f64_e32 v[106:107], v[4:5], v[38:39]
	v_add_f64 v[0:1], v[0:1], v[106:107]
	ds_read_b128 v[106:109], v114 offset:1360
	s_waitcnt lgkmcnt(1)
	v_mul_f64 v[110:111], v[102:103], v[50:51]
	;; [unrolled: 5-line block ×5, first 2 shown]
	v_fmac_f64_e32 v[124:125], v[118:119], v[56:57]
	v_add_f64 v[0:1], v[0:1], v[124:125]
	ds_read_b128 v[124:127], v114 offset:1424
	s_waitcnt vmcnt(58) lgkmcnt(1)
	v_mul_f64 v[128:129], v[120:121], v[66:67]
	s_waitcnt vmcnt(56)
	v_fmac_f64_e32 v[128:129], v[122:123], v[68:69]
	v_add_f64 v[0:1], v[0:1], v[128:129]
	ds_read_b128 v[128:131], v114 offset:1440
	s_waitcnt lgkmcnt(1)
	v_mul_f64 v[132:133], v[124:125], v[62:63]
	v_fmac_f64_e32 v[132:133], v[126:127], v[64:65]
	v_add_f64 v[0:1], v[0:1], v[132:133]
	ds_read_b128 v[132:135], v114 offset:1456
	s_waitcnt vmcnt(50) lgkmcnt(1)
	v_mul_f64 v[136:137], v[128:129], v[74:75]
	s_waitcnt vmcnt(48)
	v_fmac_f64_e32 v[136:137], v[130:131], v[76:77]
	v_add_f64 v[0:1], v[0:1], v[136:137]
	ds_read_b128 v[136:139], v114 offset:1472
	v_fma_f64 v[14:15], v[14:15], v[24:25], -v[16:17]
	v_mul_f64 v[12:13], v[12:13], v[30:31]
	v_add_f64 v[14:15], v[18:19], v[14:15]
	v_fma_f64 v[10:11], v[10:11], v[44:45], -v[12:13]
	v_mul_f64 v[8:9], v[8:9], v[40:41]
	s_waitcnt lgkmcnt(1)
	v_mul_f64 v[140:141], v[132:133], v[70:71]
	v_add_f64 v[10:11], v[14:15], v[10:11]
	v_fma_f64 v[6:7], v[6:7], v[42:43], -v[8:9]
	v_mul_f64 v[4:5], v[4:5], v[36:37]
	v_fmac_f64_e32 v[140:141], v[134:135], v[72:73]
	v_add_f64 v[6:7], v[10:11], v[6:7]
	v_fma_f64 v[2:3], v[2:3], v[38:39], -v[4:5]
	v_mul_f64 v[4:5], v[104:105], v[50:51]
	v_add_f64 v[0:1], v[0:1], v[140:141]
	ds_read_b128 v[140:143], v114 offset:1488
	s_waitcnt vmcnt(42) lgkmcnt(1)
	v_mul_f64 v[144:145], v[136:137], v[82:83]
	v_add_f64 v[2:3], v[6:7], v[2:3]
	v_fma_f64 v[4:5], v[102:103], v[52:53], -v[4:5]
	s_waitcnt vmcnt(40)
	v_fmac_f64_e32 v[144:145], v[138:139], v[84:85]
	v_add_f64 v[2:3], v[2:3], v[4:5]
	v_mul_f64 v[4:5], v[108:109], v[46:47]
	v_add_f64 v[0:1], v[0:1], v[144:145]
	ds_read_b128 v[144:147], v114 offset:1504
	v_fma_f64 v[4:5], v[106:107], v[48:49], -v[4:5]
	v_add_f64 v[2:3], v[2:3], v[4:5]
	v_mul_f64 v[4:5], v[112:113], v[58:59]
	v_fma_f64 v[4:5], v[110:111], v[60:61], -v[4:5]
	s_waitcnt lgkmcnt(1)
	v_mul_f64 v[148:149], v[140:141], v[78:79]
	v_add_f64 v[2:3], v[2:3], v[4:5]
	v_mul_f64 v[4:5], v[118:119], v[54:55]
	v_fmac_f64_e32 v[148:149], v[142:143], v[80:81]
	v_fma_f64 v[4:5], v[116:117], v[56:57], -v[4:5]
	v_add_f64 v[0:1], v[0:1], v[148:149]
	ds_read_b128 v[148:151], v114 offset:1520
	s_waitcnt vmcnt(34) lgkmcnt(1)
	v_mul_f64 v[152:153], v[144:145], v[90:91]
	v_add_f64 v[2:3], v[2:3], v[4:5]
	v_mul_f64 v[4:5], v[122:123], v[66:67]
	s_waitcnt vmcnt(32)
	v_fmac_f64_e32 v[152:153], v[146:147], v[92:93]
	v_fma_f64 v[4:5], v[120:121], v[68:69], -v[4:5]
	v_add_f64 v[0:1], v[0:1], v[152:153]
	ds_read_b128 v[152:155], v114 offset:1536
	v_add_f64 v[2:3], v[2:3], v[4:5]
	v_mul_f64 v[4:5], v[126:127], v[62:63]
	v_fma_f64 v[4:5], v[124:125], v[64:65], -v[4:5]
	v_add_f64 v[2:3], v[2:3], v[4:5]
	v_mul_f64 v[4:5], v[130:131], v[74:75]
	s_waitcnt lgkmcnt(1)
	v_mul_f64 v[156:157], v[148:149], v[86:87]
	v_fma_f64 v[4:5], v[128:129], v[76:77], -v[4:5]
	v_fmac_f64_e32 v[156:157], v[150:151], v[88:89]
	v_add_f64 v[2:3], v[2:3], v[4:5]
	v_mul_f64 v[4:5], v[134:135], v[70:71]
	v_add_f64 v[0:1], v[0:1], v[156:157]
	ds_read_b128 v[156:159], v114 offset:1552
	s_waitcnt vmcnt(26) lgkmcnt(1)
	v_mul_f64 v[160:161], v[152:153], v[98:99]
	v_fma_f64 v[4:5], v[132:133], v[72:73], -v[4:5]
	s_waitcnt vmcnt(24)
	v_fmac_f64_e32 v[160:161], v[154:155], v[100:101]
	v_add_f64 v[2:3], v[2:3], v[4:5]
	v_mul_f64 v[4:5], v[138:139], v[82:83]
	v_add_f64 v[0:1], v[0:1], v[160:161]
	ds_read_b128 v[160:163], v114 offset:1568
	v_fma_f64 v[4:5], v[136:137], v[84:85], -v[4:5]
	v_add_f64 v[2:3], v[2:3], v[4:5]
	v_mul_f64 v[4:5], v[142:143], v[78:79]
	v_fma_f64 v[4:5], v[140:141], v[80:81], -v[4:5]
	s_waitcnt lgkmcnt(1)
	v_mul_f64 v[164:165], v[156:157], v[94:95]
	v_add_f64 v[2:3], v[2:3], v[4:5]
	v_mul_f64 v[4:5], v[146:147], v[90:91]
	v_fmac_f64_e32 v[164:165], v[158:159], v[96:97]
	v_fma_f64 v[4:5], v[144:145], v[92:93], -v[4:5]
	v_add_f64 v[0:1], v[0:1], v[164:165]
	ds_read_b128 v[164:167], v114 offset:1584
	s_waitcnt vmcnt(18) lgkmcnt(1)
	v_mul_f64 v[168:169], v[160:161], v[188:189]
	v_add_f64 v[2:3], v[2:3], v[4:5]
	v_mul_f64 v[4:5], v[150:151], v[86:87]
	s_waitcnt vmcnt(16)
	v_fmac_f64_e32 v[168:169], v[162:163], v[190:191]
	v_fma_f64 v[4:5], v[148:149], v[88:89], -v[4:5]
	v_add_f64 v[0:1], v[0:1], v[168:169]
	ds_read_b128 v[168:171], v114 offset:1600
	v_add_f64 v[2:3], v[2:3], v[4:5]
	v_mul_f64 v[4:5], v[154:155], v[98:99]
	v_fma_f64 v[4:5], v[152:153], v[100:101], -v[4:5]
	v_add_f64 v[2:3], v[2:3], v[4:5]
	v_mul_f64 v[4:5], v[158:159], v[94:95]
	s_waitcnt lgkmcnt(1)
	v_mul_f64 v[172:173], v[164:165], v[184:185]
	v_fma_f64 v[4:5], v[156:157], v[96:97], -v[4:5]
	v_fmac_f64_e32 v[172:173], v[166:167], v[186:187]
	v_add_f64 v[2:3], v[2:3], v[4:5]
	v_mul_f64 v[4:5], v[162:163], v[188:189]
	v_add_f64 v[0:1], v[0:1], v[172:173]
	ds_read_b128 v[172:175], v114 offset:1616
	s_waitcnt vmcnt(10) lgkmcnt(1)
	v_mul_f64 v[176:177], v[168:169], v[196:197]
	v_fma_f64 v[4:5], v[160:161], v[190:191], -v[4:5]
	s_waitcnt vmcnt(8)
	v_fmac_f64_e32 v[176:177], v[170:171], v[198:199]
	v_add_f64 v[2:3], v[2:3], v[4:5]
	v_mul_f64 v[4:5], v[166:167], v[184:185]
	v_add_f64 v[0:1], v[0:1], v[176:177]
	ds_read_b128 v[176:179], v114 offset:1632
	ds_read_b128 v[180:183], v114 offset:1648
	v_fma_f64 v[4:5], v[164:165], v[186:187], -v[4:5]
	v_add_f64 v[2:3], v[2:3], v[4:5]
	v_mul_f64 v[4:5], v[170:171], v[196:197]
	v_fma_f64 v[4:5], v[168:169], v[198:199], -v[4:5]
	v_add_f64 v[2:3], v[2:3], v[4:5]
	s_waitcnt lgkmcnt(2)
	v_mul_f64 v[4:5], v[174:175], v[192:193]
	v_mul_f64 v[208:209], v[172:173], v[192:193]
	v_fma_f64 v[4:5], v[172:173], v[194:195], -v[4:5]
	v_fmac_f64_e32 v[208:209], v[174:175], v[194:195]
	v_add_f64 v[2:3], v[2:3], v[4:5]
	s_waitcnt vmcnt(2) lgkmcnt(1)
	v_mul_f64 v[4:5], v[178:179], v[204:205]
	v_add_f64 v[0:1], v[0:1], v[208:209]
	v_mul_f64 v[208:209], v[176:177], v[204:205]
	s_waitcnt vmcnt(0)
	v_fma_f64 v[4:5], v[176:177], v[206:207], -v[4:5]
	v_fmac_f64_e32 v[208:209], v[178:179], v[206:207]
	v_add_f64 v[2:3], v[2:3], v[4:5]
	s_waitcnt lgkmcnt(0)
	v_mul_f64 v[4:5], v[182:183], v[200:201]
	v_add_f64 v[0:1], v[0:1], v[208:209]
	v_mul_f64 v[208:209], v[180:181], v[200:201]
	v_fma_f64 v[4:5], v[180:181], v[202:203], -v[4:5]
	v_fmac_f64_e32 v[208:209], v[182:183], v[202:203]
	v_add_f64 v[2:3], v[2:3], v[4:5]
	v_add_f64 v[0:1], v[0:1], v[208:209]
	v_add_f64 v[2:3], v[34:35], -v[2:3]
	v_add_f64 v[0:1], v[32:33], -v[0:1]
	buffer_store_dword v3, off, s[0:3], 0 offset:436
	buffer_store_dword v2, off, s[0:3], 0 offset:432
	;; [unrolled: 1-line block ×4, first 2 shown]
	s_and_saveexec_b64 s[4:5], vcc
	s_cbranch_execz .LBB51_275
; %bb.274:
	v_accvgpr_read_b32 v0, a130
	buffer_load_dword v2, v0, s[0:3], 0 offen
	buffer_load_dword v3, v0, s[0:3], 0 offen offset:4
	buffer_load_dword v4, v0, s[0:3], 0 offen offset:8
	;; [unrolled: 1-line block ×3, first 2 shown]
	v_accvgpr_read_b32 v0, a156
	buffer_store_dword v114, off, s[0:3], 0 offset:416
	buffer_store_dword v114, off, s[0:3], 0 offset:420
	;; [unrolled: 1-line block ×4, first 2 shown]
	s_waitcnt vmcnt(4)
	ds_write_b128 v0, v[2:5]
.LBB51_275:
	s_or_b64 exec, exec, s[4:5]
	s_waitcnt lgkmcnt(0)
	; wave barrier
	s_waitcnt lgkmcnt(0)
	buffer_load_dword v26, off, s[0:3], 0 offset:432
	buffer_load_dword v27, off, s[0:3], 0 offset:436
	;; [unrolled: 1-line block ×24, first 2 shown]
	ds_read_b128 v[22:25], v114 offset:1248
	ds_read_b128 v[18:21], v114 offset:1264
	;; [unrolled: 1-line block ×6, first 2 shown]
	buffer_load_dword v51, off, s[0:3], 0 offset:540
	buffer_load_dword v50, off, s[0:3], 0 offset:536
	;; [unrolled: 1-line block ×40, first 2 shown]
	v_cmp_lt_u32_e32 vcc, 24, v255
	s_waitcnt vmcnt(34) lgkmcnt(0)
	v_mul_f64 v[120:121], v[14:15], v[54:55]
	s_waitcnt vmcnt(32)
	v_fmac_f64_e32 v[120:121], v[16:17], v[56:57]
	v_mul_f64 v[0:1], v[22:23], v[28:29]
	v_fmac_f64_e32 v[0:1], v[24:25], v[26:27]
	v_mul_f64 v[90:91], v[18:19], v[30:31]
	v_add_f64 v[0:1], v[0:1], 0
	v_mul_f64 v[92:93], v[10:11], v[32:33]
	v_mul_f64 v[24:25], v[24:25], v[28:29]
	;; [unrolled: 1-line block ×3, first 2 shown]
	v_fma_f64 v[22:23], v[22:23], v[26:27], -v[24:25]
	v_add_f64 v[22:23], v[22:23], 0
	v_mul_f64 v[94:95], v[6:7], v[42:43]
	v_fmac_f64_e32 v[90:91], v[20:21], v[48:49]
	v_add_f64 v[0:1], v[0:1], v[90:91]
	v_fmac_f64_e32 v[92:93], v[12:13], v[46:47]
	v_add_f64 v[0:1], v[0:1], v[92:93]
	;; [unrolled: 2-line block ×3, first 2 shown]
	buffer_load_dword v91, off, s[0:3], 0 offset:700
	buffer_load_dword v90, off, s[0:3], 0 offset:696
	;; [unrolled: 1-line block ×40, first 2 shown]
	v_fmac_f64_e32 v[116:117], v[4:5], v[40:41]
	v_add_f64 v[0:1], v[0:1], v[116:117]
	ds_read_b128 v[116:119], v114 offset:1344
	buffer_load_dword v213, off, s[0:3], 0 offset:844
	buffer_load_dword v212, off, s[0:3], 0 offset:840
	;; [unrolled: 1-line block ×4, first 2 shown]
	v_add_f64 v[0:1], v[0:1], v[120:121]
	ds_read_b128 v[120:123], v114 offset:1360
	v_mul_f64 v[20:21], v[20:21], v[30:31]
	s_waitcnt lgkmcnt(1)
	v_mul_f64 v[124:125], v[116:117], v[50:51]
	v_fmac_f64_e32 v[124:125], v[118:119], v[52:53]
	v_add_f64 v[0:1], v[0:1], v[124:125]
	ds_read_b128 v[124:127], v114 offset:1376
	s_waitcnt vmcnt(62) lgkmcnt(1)
	v_mul_f64 v[128:129], v[120:121], v[62:63]
	v_fmac_f64_e32 v[128:129], v[122:123], v[64:65]
	v_add_f64 v[0:1], v[0:1], v[128:129]
	ds_read_b128 v[128:131], v114 offset:1392
	s_waitcnt lgkmcnt(1)
	v_mul_f64 v[132:133], v[124:125], v[58:59]
	v_fmac_f64_e32 v[132:133], v[126:127], v[60:61]
	v_add_f64 v[0:1], v[0:1], v[132:133]
	ds_read_b128 v[132:135], v114 offset:1408
	s_waitcnt lgkmcnt(1)
	v_mul_f64 v[136:137], v[128:129], v[70:71]
	s_waitcnt vmcnt(60)
	v_fmac_f64_e32 v[136:137], v[130:131], v[72:73]
	v_add_f64 v[0:1], v[0:1], v[136:137]
	ds_read_b128 v[136:139], v114 offset:1424
	s_waitcnt lgkmcnt(1)
	v_mul_f64 v[140:141], v[132:133], v[66:67]
	v_fmac_f64_e32 v[140:141], v[134:135], v[68:69]
	v_add_f64 v[0:1], v[0:1], v[140:141]
	ds_read_b128 v[140:143], v114 offset:1440
	s_waitcnt vmcnt(54) lgkmcnt(1)
	v_mul_f64 v[144:145], v[136:137], v[78:79]
	s_waitcnt vmcnt(52)
	v_fmac_f64_e32 v[144:145], v[138:139], v[80:81]
	v_add_f64 v[0:1], v[0:1], v[144:145]
	ds_read_b128 v[144:147], v114 offset:1456
	s_waitcnt lgkmcnt(1)
	v_mul_f64 v[148:149], v[140:141], v[74:75]
	v_fmac_f64_e32 v[148:149], v[142:143], v[76:77]
	v_fma_f64 v[18:19], v[18:19], v[48:49], -v[20:21]
	v_mul_f64 v[12:13], v[12:13], v[32:33]
	v_add_f64 v[0:1], v[0:1], v[148:149]
	ds_read_b128 v[148:151], v114 offset:1472
	v_add_f64 v[18:19], v[22:23], v[18:19]
	v_fma_f64 v[10:11], v[10:11], v[46:47], -v[12:13]
	v_mul_f64 v[8:9], v[8:9], v[42:43]
	v_add_f64 v[10:11], v[18:19], v[10:11]
	v_fma_f64 v[6:7], v[6:7], v[44:45], -v[8:9]
	v_mul_f64 v[4:5], v[4:5], v[38:39]
	v_add_f64 v[6:7], v[10:11], v[6:7]
	v_fma_f64 v[2:3], v[2:3], v[40:41], -v[4:5]
	v_mul_f64 v[4:5], v[16:17], v[54:55]
	s_waitcnt vmcnt(46) lgkmcnt(1)
	v_mul_f64 v[152:153], v[144:145], v[86:87]
	v_add_f64 v[2:3], v[6:7], v[2:3]
	v_fma_f64 v[4:5], v[14:15], v[56:57], -v[4:5]
	s_waitcnt vmcnt(44)
	v_fmac_f64_e32 v[152:153], v[146:147], v[88:89]
	v_add_f64 v[2:3], v[2:3], v[4:5]
	v_mul_f64 v[4:5], v[118:119], v[50:51]
	v_add_f64 v[0:1], v[0:1], v[152:153]
	ds_read_b128 v[152:155], v114 offset:1488
	s_waitcnt lgkmcnt(1)
	v_mul_f64 v[156:157], v[148:149], v[82:83]
	v_fma_f64 v[4:5], v[116:117], v[52:53], -v[4:5]
	v_fmac_f64_e32 v[156:157], v[150:151], v[84:85]
	v_add_f64 v[2:3], v[2:3], v[4:5]
	v_mul_f64 v[4:5], v[122:123], v[62:63]
	v_add_f64 v[0:1], v[0:1], v[156:157]
	ds_read_b128 v[156:159], v114 offset:1504
	v_fma_f64 v[4:5], v[120:121], v[64:65], -v[4:5]
	v_add_f64 v[2:3], v[2:3], v[4:5]
	v_mul_f64 v[4:5], v[126:127], v[58:59]
	v_fma_f64 v[4:5], v[124:125], v[60:61], -v[4:5]
	s_waitcnt vmcnt(38) lgkmcnt(1)
	v_mul_f64 v[160:161], v[152:153], v[94:95]
	v_add_f64 v[2:3], v[2:3], v[4:5]
	v_mul_f64 v[4:5], v[130:131], v[70:71]
	s_waitcnt vmcnt(36)
	v_fmac_f64_e32 v[160:161], v[154:155], v[96:97]
	v_fma_f64 v[4:5], v[128:129], v[72:73], -v[4:5]
	v_add_f64 v[0:1], v[0:1], v[160:161]
	ds_read_b128 v[160:163], v114 offset:1520
	s_waitcnt lgkmcnt(1)
	v_mul_f64 v[164:165], v[156:157], v[90:91]
	v_add_f64 v[2:3], v[2:3], v[4:5]
	v_mul_f64 v[4:5], v[134:135], v[66:67]
	v_fmac_f64_e32 v[164:165], v[158:159], v[92:93]
	v_fma_f64 v[4:5], v[132:133], v[68:69], -v[4:5]
	v_add_f64 v[0:1], v[0:1], v[164:165]
	ds_read_b128 v[164:167], v114 offset:1536
	v_add_f64 v[2:3], v[2:3], v[4:5]
	v_mul_f64 v[4:5], v[138:139], v[78:79]
	v_fma_f64 v[4:5], v[136:137], v[80:81], -v[4:5]
	v_add_f64 v[2:3], v[2:3], v[4:5]
	v_mul_f64 v[4:5], v[142:143], v[74:75]
	s_waitcnt vmcnt(30) lgkmcnt(1)
	v_mul_f64 v[168:169], v[160:161], v[102:103]
	v_fma_f64 v[4:5], v[140:141], v[76:77], -v[4:5]
	s_waitcnt vmcnt(28)
	v_fmac_f64_e32 v[168:169], v[162:163], v[104:105]
	v_add_f64 v[2:3], v[2:3], v[4:5]
	v_mul_f64 v[4:5], v[146:147], v[86:87]
	v_add_f64 v[0:1], v[0:1], v[168:169]
	ds_read_b128 v[168:171], v114 offset:1552
	s_waitcnt lgkmcnt(1)
	v_mul_f64 v[172:173], v[164:165], v[98:99]
	v_fma_f64 v[4:5], v[144:145], v[88:89], -v[4:5]
	v_fmac_f64_e32 v[172:173], v[166:167], v[100:101]
	v_add_f64 v[2:3], v[2:3], v[4:5]
	v_mul_f64 v[4:5], v[150:151], v[82:83]
	v_add_f64 v[0:1], v[0:1], v[172:173]
	ds_read_b128 v[172:175], v114 offset:1568
	v_fma_f64 v[4:5], v[148:149], v[84:85], -v[4:5]
	v_add_f64 v[2:3], v[2:3], v[4:5]
	v_mul_f64 v[4:5], v[154:155], v[94:95]
	v_fma_f64 v[4:5], v[152:153], v[96:97], -v[4:5]
	s_waitcnt vmcnt(22) lgkmcnt(1)
	v_mul_f64 v[176:177], v[168:169], v[110:111]
	v_add_f64 v[2:3], v[2:3], v[4:5]
	v_mul_f64 v[4:5], v[158:159], v[90:91]
	s_waitcnt vmcnt(20)
	v_fmac_f64_e32 v[176:177], v[170:171], v[112:113]
	v_fma_f64 v[4:5], v[156:157], v[92:93], -v[4:5]
	v_add_f64 v[0:1], v[0:1], v[176:177]
	ds_read_b128 v[176:179], v114 offset:1584
	s_waitcnt lgkmcnt(1)
	v_mul_f64 v[180:181], v[172:173], v[106:107]
	v_add_f64 v[2:3], v[2:3], v[4:5]
	v_mul_f64 v[4:5], v[162:163], v[102:103]
	v_fmac_f64_e32 v[180:181], v[174:175], v[108:109]
	v_fma_f64 v[4:5], v[160:161], v[104:105], -v[4:5]
	v_add_f64 v[0:1], v[0:1], v[180:181]
	ds_read_b128 v[180:183], v114 offset:1600
	v_add_f64 v[2:3], v[2:3], v[4:5]
	v_mul_f64 v[4:5], v[166:167], v[98:99]
	v_fma_f64 v[4:5], v[164:165], v[100:101], -v[4:5]
	v_add_f64 v[2:3], v[2:3], v[4:5]
	v_mul_f64 v[4:5], v[170:171], v[110:111]
	s_waitcnt vmcnt(14) lgkmcnt(1)
	v_mul_f64 v[184:185], v[176:177], v[200:201]
	v_fma_f64 v[4:5], v[168:169], v[112:113], -v[4:5]
	s_waitcnt vmcnt(12)
	v_fmac_f64_e32 v[184:185], v[178:179], v[202:203]
	v_add_f64 v[2:3], v[2:3], v[4:5]
	v_mul_f64 v[4:5], v[174:175], v[106:107]
	v_add_f64 v[0:1], v[0:1], v[184:185]
	ds_read_b128 v[184:187], v114 offset:1616
	s_waitcnt lgkmcnt(1)
	v_mul_f64 v[188:189], v[180:181], v[196:197]
	v_fma_f64 v[4:5], v[172:173], v[108:109], -v[4:5]
	v_fmac_f64_e32 v[188:189], v[182:183], v[198:199]
	v_add_f64 v[2:3], v[2:3], v[4:5]
	v_mul_f64 v[4:5], v[178:179], v[200:201]
	v_add_f64 v[0:1], v[0:1], v[188:189]
	ds_read_b128 v[188:191], v114 offset:1632
	v_fma_f64 v[4:5], v[176:177], v[202:203], -v[4:5]
	v_add_f64 v[2:3], v[2:3], v[4:5]
	v_mul_f64 v[4:5], v[182:183], v[196:197]
	ds_read_b128 v[192:195], v114 offset:1648
	v_fma_f64 v[4:5], v[180:181], v[198:199], -v[4:5]
	v_add_f64 v[2:3], v[2:3], v[4:5]
	s_waitcnt vmcnt(6) lgkmcnt(2)
	v_mul_f64 v[4:5], v[186:187], v[208:209]
	s_waitcnt vmcnt(4)
	v_fma_f64 v[4:5], v[184:185], v[210:211], -v[4:5]
	v_mul_f64 v[216:217], v[184:185], v[208:209]
	v_add_f64 v[2:3], v[2:3], v[4:5]
	s_waitcnt lgkmcnt(1)
	v_mul_f64 v[4:5], v[190:191], v[204:205]
	v_fmac_f64_e32 v[216:217], v[186:187], v[210:211]
	v_mul_f64 v[114:115], v[188:189], v[204:205]
	v_fma_f64 v[4:5], v[188:189], v[206:207], -v[4:5]
	v_add_f64 v[0:1], v[0:1], v[216:217]
	v_fmac_f64_e32 v[114:115], v[190:191], v[206:207]
	v_add_f64 v[2:3], v[2:3], v[4:5]
	s_waitcnt vmcnt(2) lgkmcnt(0)
	v_mul_f64 v[4:5], v[194:195], v[212:213]
	v_add_f64 v[0:1], v[0:1], v[114:115]
	v_mul_f64 v[114:115], v[192:193], v[212:213]
	s_waitcnt vmcnt(0)
	v_fma_f64 v[4:5], v[192:193], v[214:215], -v[4:5]
	v_fmac_f64_e32 v[114:115], v[194:195], v[214:215]
	v_add_f64 v[2:3], v[2:3], v[4:5]
	v_add_f64 v[0:1], v[0:1], v[114:115]
	v_add_f64 v[2:3], v[36:37], -v[2:3]
	v_add_f64 v[0:1], v[34:35], -v[0:1]
	buffer_store_dword v3, off, s[0:3], 0 offset:420
	buffer_store_dword v2, off, s[0:3], 0 offset:416
	;; [unrolled: 1-line block ×4, first 2 shown]
	s_and_saveexec_b64 s[4:5], vcc
	s_cbranch_execz .LBB51_277
; %bb.276:
	v_accvgpr_read_b32 v0, a131
	buffer_load_dword v2, v0, s[0:3], 0 offen
	buffer_load_dword v3, v0, s[0:3], 0 offen offset:4
	buffer_load_dword v4, v0, s[0:3], 0 offen offset:8
	;; [unrolled: 1-line block ×3, first 2 shown]
	v_mov_b32_e32 v0, 0
	v_accvgpr_read_b32 v1, a156
	buffer_store_dword v0, off, s[0:3], 0 offset:400
	buffer_store_dword v0, off, s[0:3], 0 offset:404
	;; [unrolled: 1-line block ×4, first 2 shown]
	s_waitcnt vmcnt(4)
	ds_write_b128 v1, v[2:5]
.LBB51_277:
	s_or_b64 exec, exec, s[4:5]
	s_waitcnt lgkmcnt(0)
	; wave barrier
	s_waitcnt lgkmcnt(0)
	buffer_load_dword v30, off, s[0:3], 0 offset:416
	buffer_load_dword v31, off, s[0:3], 0 offset:420
	;; [unrolled: 1-line block ×56, first 2 shown]
	v_mov_b32_e32 v134, 0
	ds_read_b128 v[26:29], v134 offset:1232
	ds_read_b128 v[22:25], v134 offset:1248
	;; [unrolled: 1-line block ×7, first 2 shown]
	v_cmp_lt_u32_e32 vcc, 23, v255
	s_waitcnt vmcnt(52) lgkmcnt(6)
	v_mul_f64 v[0:1], v[26:27], v[34:35]
	v_fmac_f64_e32 v[0:1], v[28:29], v[30:31]
	v_add_f64 v[0:1], v[0:1], 0
	v_mul_f64 v[28:29], v[28:29], v[34:35]
	s_waitcnt vmcnt(48) lgkmcnt(5)
	v_mul_f64 v[86:87], v[22:23], v[36:37]
	v_fmac_f64_e32 v[86:87], v[24:25], v[32:33]
	s_waitcnt vmcnt(46) lgkmcnt(4)
	v_mul_f64 v[88:89], v[18:19], v[38:39]
	v_add_f64 v[0:1], v[0:1], v[86:87]
	s_waitcnt vmcnt(44) lgkmcnt(2)
	v_mul_f64 v[92:93], v[10:11], v[40:41]
	v_fma_f64 v[26:27], v[26:27], v[30:31], -v[28:29]
	s_waitcnt vmcnt(42)
	v_fmac_f64_e32 v[92:93], v[12:13], v[42:43]
	v_mul_f64 v[24:25], v[24:25], v[36:37]
	s_waitcnt vmcnt(40)
	v_mul_f64 v[90:91], v[14:15], v[48:49]
	v_add_f64 v[26:27], v[26:27], 0
	v_fma_f64 v[22:23], v[22:23], v[32:33], -v[24:25]
	v_add_f64 v[22:23], v[26:27], v[22:23]
	s_waitcnt vmcnt(36) lgkmcnt(1)
	v_mul_f64 v[110:111], v[6:7], v[54:55]
	v_mul_f64 v[12:13], v[12:13], v[40:41]
	s_waitcnt vmcnt(34)
	v_fmac_f64_e32 v[88:89], v[20:21], v[60:61]
	v_add_f64 v[0:1], v[0:1], v[88:89]
	s_waitcnt vmcnt(32)
	v_fmac_f64_e32 v[90:91], v[16:17], v[58:59]
	v_add_f64 v[0:1], v[0:1], v[90:91]
	v_add_f64 v[116:117], v[0:1], v[92:93]
	buffer_load_dword v87, off, s[0:3], 0 offset:652
	buffer_load_dword v86, off, s[0:3], 0 offset:648
	;; [unrolled: 1-line block ×56, first 2 shown]
	ds_read_b128 v[124:127], v134 offset:1344
	ds_read_b128 v[128:131], v134 offset:1360
	v_mul_f64 v[20:21], v[20:21], v[38:39]
	v_fma_f64 v[18:19], v[18:19], v[60:61], -v[20:21]
	v_mul_f64 v[16:17], v[16:17], v[48:49]
	s_waitcnt vmcnt(62)
	v_fmac_f64_e32 v[110:111], v[8:9], v[56:57]
	v_add_f64 v[18:19], v[22:23], v[18:19]
	v_fma_f64 v[14:15], v[14:15], v[58:59], -v[16:17]
	v_add_f64 v[110:111], v[116:117], v[110:111]
	s_waitcnt lgkmcnt(2)
	v_mul_f64 v[116:117], v[2:3], v[50:51]
	v_add_f64 v[14:15], v[18:19], v[14:15]
	v_fma_f64 v[10:11], v[10:11], v[42:43], -v[12:13]
	v_mul_f64 v[8:9], v[8:9], v[54:55]
	v_fmac_f64_e32 v[116:117], v[4:5], v[52:53]
	ds_read_b128 v[136:139], v134 offset:1376
	ds_read_b128 v[140:143], v134 offset:1392
	v_add_f64 v[10:11], v[14:15], v[10:11]
	v_fma_f64 v[6:7], v[6:7], v[56:57], -v[8:9]
	v_mul_f64 v[4:5], v[4:5], v[50:51]
	v_add_f64 v[110:111], v[110:111], v[116:117]
	s_waitcnt lgkmcnt(3)
	v_mul_f64 v[116:117], v[124:125], v[66:67]
	v_add_f64 v[6:7], v[10:11], v[6:7]
	v_fma_f64 v[2:3], v[2:3], v[52:53], -v[4:5]
	v_mul_f64 v[4:5], v[126:127], v[66:67]
	v_fmac_f64_e32 v[116:117], v[126:127], v[68:69]
	v_add_f64 v[2:3], v[6:7], v[2:3]
	v_fma_f64 v[4:5], v[124:125], v[68:69], -v[4:5]
	v_add_f64 v[110:111], v[110:111], v[116:117]
	s_waitcnt lgkmcnt(2)
	v_mul_f64 v[116:117], v[128:129], v[62:63]
	v_add_f64 v[2:3], v[2:3], v[4:5]
	v_mul_f64 v[4:5], v[130:131], v[62:63]
	v_fmac_f64_e32 v[116:117], v[130:131], v[64:65]
	ds_read_b128 v[144:147], v134 offset:1408
	ds_read_b128 v[148:151], v134 offset:1424
	v_fma_f64 v[4:5], v[128:129], v[64:65], -v[4:5]
	v_add_f64 v[110:111], v[110:111], v[116:117]
	s_waitcnt lgkmcnt(3)
	v_mul_f64 v[116:117], v[136:137], v[74:75]
	v_add_f64 v[2:3], v[2:3], v[4:5]
	v_mul_f64 v[4:5], v[138:139], v[74:75]
	v_fmac_f64_e32 v[116:117], v[138:139], v[76:77]
	v_fma_f64 v[4:5], v[136:137], v[76:77], -v[4:5]
	v_add_f64 v[110:111], v[110:111], v[116:117]
	s_waitcnt lgkmcnt(2)
	v_mul_f64 v[116:117], v[140:141], v[70:71]
	v_add_f64 v[2:3], v[2:3], v[4:5]
	v_mul_f64 v[4:5], v[142:143], v[70:71]
	v_fmac_f64_e32 v[116:117], v[142:143], v[72:73]
	ds_read_b128 v[152:155], v134 offset:1440
	ds_read_b128 v[156:159], v134 offset:1456
	v_fma_f64 v[4:5], v[140:141], v[72:73], -v[4:5]
	v_add_f64 v[110:111], v[110:111], v[116:117]
	s_waitcnt vmcnt(58) lgkmcnt(3)
	v_mul_f64 v[116:117], v[144:145], v[82:83]
	v_add_f64 v[2:3], v[2:3], v[4:5]
	v_mul_f64 v[4:5], v[146:147], v[82:83]
	s_waitcnt vmcnt(56)
	v_fmac_f64_e32 v[116:117], v[146:147], v[84:85]
	v_fma_f64 v[4:5], v[144:145], v[84:85], -v[4:5]
	v_add_f64 v[110:111], v[110:111], v[116:117]
	s_waitcnt lgkmcnt(2)
	v_mul_f64 v[116:117], v[148:149], v[78:79]
	v_add_f64 v[2:3], v[2:3], v[4:5]
	v_mul_f64 v[4:5], v[150:151], v[78:79]
	v_fmac_f64_e32 v[116:117], v[150:151], v[80:81]
	ds_read_b128 v[160:163], v134 offset:1472
	ds_read_b128 v[164:167], v134 offset:1488
	v_fma_f64 v[4:5], v[148:149], v[80:81], -v[4:5]
	v_add_f64 v[110:111], v[110:111], v[116:117]
	s_waitcnt vmcnt(50) lgkmcnt(3)
	v_mul_f64 v[116:117], v[152:153], v[90:91]
	v_add_f64 v[2:3], v[2:3], v[4:5]
	v_mul_f64 v[4:5], v[154:155], v[90:91]
	s_waitcnt vmcnt(48)
	;; [unrolled: 17-line block ×7, first 2 shown]
	v_fma_f64 v[2:3], v[192:193], v[216:217], -v[2:3]
	v_fmac_f64_e32 v[116:117], v[194:195], v[216:217]
	v_add_f64 v[0:1], v[0:1], v[2:3]
	s_waitcnt lgkmcnt(2)
	v_mul_f64 v[2:3], v[198:199], v[210:211]
	v_add_f64 v[110:111], v[110:111], v[116:117]
	v_mul_f64 v[116:117], v[196:197], v[210:211]
	v_fma_f64 v[2:3], v[196:197], v[212:213], -v[2:3]
	v_fmac_f64_e32 v[116:117], v[198:199], v[212:213]
	v_add_f64 v[0:1], v[0:1], v[2:3]
	s_waitcnt vmcnt(2) lgkmcnt(1)
	v_mul_f64 v[2:3], v[202:203], v[222:223]
	v_add_f64 v[110:111], v[110:111], v[116:117]
	v_mul_f64 v[116:117], v[200:201], v[222:223]
	s_waitcnt vmcnt(0)
	v_fma_f64 v[2:3], v[200:201], v[224:225], -v[2:3]
	v_fmac_f64_e32 v[116:117], v[202:203], v[224:225]
	v_add_f64 v[0:1], v[0:1], v[2:3]
	s_waitcnt lgkmcnt(0)
	v_mul_f64 v[2:3], v[206:207], v[218:219]
	v_add_f64 v[110:111], v[110:111], v[116:117]
	v_mul_f64 v[116:117], v[204:205], v[218:219]
	v_fma_f64 v[2:3], v[204:205], v[220:221], -v[2:3]
	v_fmac_f64_e32 v[116:117], v[206:207], v[220:221]
	v_add_f64 v[0:1], v[0:1], v[2:3]
	v_add_f64 v[110:111], v[110:111], v[116:117]
	v_add_f64 v[0:1], v[46:47], -v[0:1]
	v_add_f64 v[2:3], v[44:45], -v[110:111]
	buffer_store_dword v1, off, s[0:3], 0 offset:404
	buffer_store_dword v0, off, s[0:3], 0 offset:400
	;; [unrolled: 1-line block ×4, first 2 shown]
	s_and_saveexec_b64 s[4:5], vcc
	s_cbranch_execz .LBB51_279
; %bb.278:
	v_accvgpr_read_b32 v0, a132
	buffer_load_dword v2, v0, s[0:3], 0 offen
	buffer_load_dword v3, v0, s[0:3], 0 offen offset:4
	buffer_load_dword v4, v0, s[0:3], 0 offen offset:8
	;; [unrolled: 1-line block ×3, first 2 shown]
	v_accvgpr_read_b32 v0, a156
	buffer_store_dword v134, off, s[0:3], 0 offset:384
	buffer_store_dword v134, off, s[0:3], 0 offset:388
	;; [unrolled: 1-line block ×4, first 2 shown]
	s_waitcnt vmcnt(4)
	ds_write_b128 v0, v[2:5]
.LBB51_279:
	s_or_b64 exec, exec, s[4:5]
	s_waitcnt lgkmcnt(0)
	; wave barrier
	s_waitcnt lgkmcnt(0)
	buffer_load_dword v34, off, s[0:3], 0 offset:400
	buffer_load_dword v35, off, s[0:3], 0 offset:404
	;; [unrolled: 1-line block ×32, first 2 shown]
	ds_read_b128 v[30:33], v134 offset:1216
	ds_read_b128 v[26:29], v134 offset:1232
	;; [unrolled: 1-line block ×8, first 2 shown]
	buffer_load_dword v67, off, s[0:3], 0 offset:540
	buffer_load_dword v66, off, s[0:3], 0 offset:536
	;; [unrolled: 1-line block ×24, first 2 shown]
	v_cmp_lt_u32_e32 vcc, 22, v255
	s_waitcnt vmcnt(52) lgkmcnt(7)
	v_mul_f64 v[0:1], v[30:31], v[38:39]
	v_fmac_f64_e32 v[0:1], v[32:33], v[34:35]
	v_add_f64 v[0:1], v[0:1], 0
	v_mul_f64 v[32:33], v[32:33], v[38:39]
	s_waitcnt vmcnt(48) lgkmcnt(6)
	v_mul_f64 v[90:91], v[26:27], v[40:41]
	v_fmac_f64_e32 v[90:91], v[28:29], v[36:37]
	s_waitcnt vmcnt(46) lgkmcnt(5)
	v_mul_f64 v[92:93], v[22:23], v[42:43]
	v_add_f64 v[0:1], v[0:1], v[90:91]
	s_waitcnt vmcnt(44) lgkmcnt(4)
	v_mul_f64 v[94:95], v[18:19], v[48:49]
	v_fma_f64 v[30:31], v[30:31], v[34:35], -v[32:33]
	s_waitcnt vmcnt(42) lgkmcnt(1)
	v_mul_f64 v[122:123], v[2:3], v[50:51]
	v_mul_f64 v[28:29], v[28:29], v[40:41]
	s_waitcnt vmcnt(18) lgkmcnt(0)
	v_mul_f64 v[138:139], v[14:15], v[70:71]
	v_mul_f64 v[98:99], v[6:7], v[54:55]
	s_waitcnt vmcnt(16)
	v_fmac_f64_e32 v[138:139], v[16:17], v[72:73]
	v_mul_f64 v[96:97], v[10:11], v[56:57]
	v_add_f64 v[30:31], v[30:31], 0
	v_fmac_f64_e32 v[96:97], v[12:13], v[58:59]
	v_fma_f64 v[26:27], v[26:27], v[36:37], -v[28:29]
	v_fmac_f64_e32 v[92:93], v[24:25], v[64:65]
	v_add_f64 v[0:1], v[0:1], v[92:93]
	v_fmac_f64_e32 v[94:95], v[20:21], v[62:63]
	v_add_f64 v[0:1], v[0:1], v[94:95]
	;; [unrolled: 2-line block ×3, first 2 shown]
	v_add_f64 v[124:125], v[0:1], v[98:99]
	buffer_load_dword v91, off, s[0:3], 0 offset:636
	buffer_load_dword v90, off, s[0:3], 0 offset:632
	;; [unrolled: 1-line block ×56, first 2 shown]
	v_fmac_f64_e32 v[122:123], v[4:5], v[52:53]
	v_add_f64 v[136:137], v[124:125], v[122:123]
	ds_read_b128 v[122:125], v134 offset:1344
	buffer_load_dword v227, off, s[0:3], 0 offset:844
	buffer_load_dword v226, off, s[0:3], 0 offset:840
	;; [unrolled: 1-line block ×4, first 2 shown]
	v_add_f64 v[140:141], v[136:137], v[138:139]
	ds_read_b128 v[136:139], v134 offset:1360
	v_mul_f64 v[24:25], v[24:25], v[42:43]
	s_waitcnt lgkmcnt(1)
	v_mul_f64 v[142:143], v[122:123], v[66:67]
	v_fmac_f64_e32 v[142:143], v[124:125], v[68:69]
	v_add_f64 v[144:145], v[140:141], v[142:143]
	ds_read_b128 v[140:143], v134 offset:1376
	s_waitcnt vmcnt(62) lgkmcnt(1)
	v_mul_f64 v[146:147], v[136:137], v[78:79]
	v_fmac_f64_e32 v[146:147], v[138:139], v[80:81]
	v_add_f64 v[148:149], v[144:145], v[146:147]
	ds_read_b128 v[144:147], v134 offset:1392
	s_waitcnt lgkmcnt(1)
	v_mul_f64 v[150:151], v[140:141], v[74:75]
	v_fmac_f64_e32 v[150:151], v[142:143], v[76:77]
	v_add_f64 v[152:153], v[148:149], v[150:151]
	ds_read_b128 v[148:151], v134 offset:1408
	s_waitcnt lgkmcnt(1)
	v_mul_f64 v[154:155], v[144:145], v[86:87]
	s_waitcnt vmcnt(60)
	v_fmac_f64_e32 v[154:155], v[146:147], v[88:89]
	v_add_f64 v[156:157], v[152:153], v[154:155]
	ds_read_b128 v[152:155], v134 offset:1424
	s_waitcnt lgkmcnt(1)
	v_mul_f64 v[158:159], v[148:149], v[82:83]
	v_fmac_f64_e32 v[158:159], v[150:151], v[84:85]
	v_add_f64 v[160:161], v[156:157], v[158:159]
	ds_read_b128 v[156:159], v134 offset:1440
	v_add_f64 v[26:27], v[30:31], v[26:27]
	v_fma_f64 v[22:23], v[22:23], v[64:65], -v[24:25]
	s_waitcnt vmcnt(54) lgkmcnt(1)
	v_mul_f64 v[162:163], v[152:153], v[94:95]
	v_mul_f64 v[20:21], v[20:21], v[48:49]
	s_waitcnt vmcnt(52)
	v_fmac_f64_e32 v[162:163], v[154:155], v[96:97]
	v_add_f64 v[164:165], v[160:161], v[162:163]
	ds_read_b128 v[160:163], v134 offset:1456
	s_waitcnt lgkmcnt(1)
	v_mul_f64 v[166:167], v[156:157], v[90:91]
	v_fmac_f64_e32 v[166:167], v[158:159], v[92:93]
	v_add_f64 v[168:169], v[164:165], v[166:167]
	ds_read_b128 v[164:167], v134 offset:1472
	v_add_f64 v[22:23], v[26:27], v[22:23]
	v_fma_f64 v[18:19], v[18:19], v[62:63], -v[20:21]
	v_mul_f64 v[12:13], v[12:13], v[56:57]
	v_add_f64 v[18:19], v[22:23], v[18:19]
	v_fma_f64 v[10:11], v[10:11], v[58:59], -v[12:13]
	v_mul_f64 v[8:9], v[8:9], v[54:55]
	;; [unrolled: 3-line block ×3, first 2 shown]
	s_waitcnt vmcnt(46) lgkmcnt(1)
	v_mul_f64 v[170:171], v[160:161], v[102:103]
	v_add_f64 v[6:7], v[10:11], v[6:7]
	v_fma_f64 v[2:3], v[2:3], v[52:53], -v[4:5]
	v_mul_f64 v[4:5], v[16:17], v[70:71]
	s_waitcnt vmcnt(44)
	v_fmac_f64_e32 v[170:171], v[162:163], v[104:105]
	v_add_f64 v[2:3], v[6:7], v[2:3]
	v_fma_f64 v[4:5], v[14:15], v[72:73], -v[4:5]
	v_add_f64 v[172:173], v[168:169], v[170:171]
	ds_read_b128 v[168:171], v134 offset:1488
	s_waitcnt lgkmcnt(1)
	v_mul_f64 v[174:175], v[164:165], v[98:99]
	v_add_f64 v[2:3], v[2:3], v[4:5]
	v_mul_f64 v[4:5], v[124:125], v[66:67]
	v_fmac_f64_e32 v[174:175], v[166:167], v[100:101]
	v_fma_f64 v[4:5], v[122:123], v[68:69], -v[4:5]
	v_add_f64 v[176:177], v[172:173], v[174:175]
	ds_read_b128 v[172:175], v134 offset:1504
	v_add_f64 v[2:3], v[2:3], v[4:5]
	v_mul_f64 v[4:5], v[138:139], v[78:79]
	v_fma_f64 v[4:5], v[136:137], v[80:81], -v[4:5]
	v_add_f64 v[2:3], v[2:3], v[4:5]
	v_mul_f64 v[4:5], v[142:143], v[74:75]
	s_waitcnt vmcnt(38) lgkmcnt(1)
	v_mul_f64 v[178:179], v[168:169], v[110:111]
	v_fma_f64 v[4:5], v[140:141], v[76:77], -v[4:5]
	s_waitcnt vmcnt(36)
	v_fmac_f64_e32 v[178:179], v[170:171], v[112:113]
	v_add_f64 v[2:3], v[2:3], v[4:5]
	v_mul_f64 v[4:5], v[146:147], v[86:87]
	v_add_f64 v[180:181], v[176:177], v[178:179]
	ds_read_b128 v[176:179], v134 offset:1520
	s_waitcnt lgkmcnt(1)
	v_mul_f64 v[182:183], v[172:173], v[106:107]
	v_fma_f64 v[4:5], v[144:145], v[88:89], -v[4:5]
	v_fmac_f64_e32 v[182:183], v[174:175], v[108:109]
	v_add_f64 v[2:3], v[2:3], v[4:5]
	v_mul_f64 v[4:5], v[150:151], v[82:83]
	v_add_f64 v[184:185], v[180:181], v[182:183]
	ds_read_b128 v[180:183], v134 offset:1536
	v_fma_f64 v[4:5], v[148:149], v[84:85], -v[4:5]
	v_add_f64 v[2:3], v[2:3], v[4:5]
	v_mul_f64 v[4:5], v[154:155], v[94:95]
	v_fma_f64 v[4:5], v[152:153], v[96:97], -v[4:5]
	s_waitcnt vmcnt(30) lgkmcnt(1)
	v_mul_f64 v[186:187], v[176:177], v[118:119]
	v_add_f64 v[2:3], v[2:3], v[4:5]
	v_mul_f64 v[4:5], v[158:159], v[90:91]
	s_waitcnt vmcnt(28)
	v_fmac_f64_e32 v[186:187], v[178:179], v[120:121]
	v_fma_f64 v[4:5], v[156:157], v[92:93], -v[4:5]
	v_add_f64 v[188:189], v[184:185], v[186:187]
	ds_read_b128 v[184:187], v134 offset:1552
	s_waitcnt lgkmcnt(1)
	v_mul_f64 v[190:191], v[180:181], v[114:115]
	v_add_f64 v[2:3], v[2:3], v[4:5]
	v_mul_f64 v[4:5], v[162:163], v[102:103]
	v_fmac_f64_e32 v[190:191], v[182:183], v[116:117]
	v_fma_f64 v[4:5], v[160:161], v[104:105], -v[4:5]
	v_add_f64 v[192:193], v[188:189], v[190:191]
	ds_read_b128 v[188:191], v134 offset:1568
	v_add_f64 v[2:3], v[2:3], v[4:5]
	v_mul_f64 v[4:5], v[166:167], v[98:99]
	v_fma_f64 v[4:5], v[164:165], v[100:101], -v[4:5]
	v_add_f64 v[2:3], v[2:3], v[4:5]
	v_mul_f64 v[4:5], v[170:171], v[110:111]
	s_waitcnt vmcnt(22) lgkmcnt(1)
	v_mul_f64 v[194:195], v[184:185], v[130:131]
	v_fma_f64 v[4:5], v[168:169], v[112:113], -v[4:5]
	s_waitcnt vmcnt(20)
	v_fmac_f64_e32 v[194:195], v[186:187], v[132:133]
	v_add_f64 v[2:3], v[2:3], v[4:5]
	v_mul_f64 v[4:5], v[174:175], v[106:107]
	v_add_f64 v[196:197], v[192:193], v[194:195]
	ds_read_b128 v[192:195], v134 offset:1584
	s_waitcnt lgkmcnt(1)
	v_mul_f64 v[198:199], v[188:189], v[126:127]
	v_fma_f64 v[4:5], v[172:173], v[108:109], -v[4:5]
	v_fmac_f64_e32 v[198:199], v[190:191], v[128:129]
	v_add_f64 v[2:3], v[2:3], v[4:5]
	v_mul_f64 v[4:5], v[178:179], v[118:119]
	v_add_f64 v[200:201], v[196:197], v[198:199]
	ds_read_b128 v[196:199], v134 offset:1600
	v_fma_f64 v[4:5], v[176:177], v[120:121], -v[4:5]
	v_add_f64 v[2:3], v[2:3], v[4:5]
	v_mul_f64 v[4:5], v[182:183], v[114:115]
	v_fma_f64 v[4:5], v[180:181], v[116:117], -v[4:5]
	s_waitcnt vmcnt(14) lgkmcnt(1)
	v_mul_f64 v[202:203], v[192:193], v[210:211]
	v_add_f64 v[2:3], v[2:3], v[4:5]
	v_mul_f64 v[4:5], v[186:187], v[130:131]
	s_waitcnt vmcnt(12)
	v_fmac_f64_e32 v[202:203], v[194:195], v[212:213]
	v_fma_f64 v[4:5], v[184:185], v[132:133], -v[4:5]
	v_add_f64 v[204:205], v[200:201], v[202:203]
	ds_read_b128 v[200:203], v134 offset:1616
	s_waitcnt lgkmcnt(1)
	v_mul_f64 v[206:207], v[196:197], v[0:1]
	v_add_f64 v[2:3], v[2:3], v[4:5]
	v_mul_f64 v[4:5], v[190:191], v[126:127]
	v_fmac_f64_e32 v[206:207], v[198:199], v[208:209]
	v_fma_f64 v[4:5], v[188:189], v[128:129], -v[4:5]
	v_add_f64 v[230:231], v[204:205], v[206:207]
	ds_read_b128 v[204:207], v134 offset:1632
	v_add_f64 v[2:3], v[2:3], v[4:5]
	v_mul_f64 v[4:5], v[194:195], v[210:211]
	v_fma_f64 v[4:5], v[192:193], v[212:213], -v[4:5]
	v_mul_f64 v[0:1], v[198:199], v[0:1]
	ds_read_b128 v[222:225], v134 offset:1648
	v_add_f64 v[2:3], v[2:3], v[4:5]
	v_fma_f64 v[0:1], v[196:197], v[208:209], -v[0:1]
	v_add_f64 v[0:1], v[2:3], v[0:1]
	s_waitcnt vmcnt(6) lgkmcnt(2)
	v_mul_f64 v[2:3], v[202:203], v[218:219]
	v_mul_f64 v[232:233], v[200:201], v[218:219]
	s_waitcnt vmcnt(4)
	v_fma_f64 v[2:3], v[200:201], v[220:221], -v[2:3]
	v_fmac_f64_e32 v[232:233], v[202:203], v[220:221]
	v_add_f64 v[0:1], v[0:1], v[2:3]
	s_waitcnt lgkmcnt(1)
	v_mul_f64 v[2:3], v[206:207], v[214:215]
	v_add_f64 v[134:135], v[230:231], v[232:233]
	v_mul_f64 v[230:231], v[204:205], v[214:215]
	v_fma_f64 v[2:3], v[204:205], v[216:217], -v[2:3]
	v_fmac_f64_e32 v[230:231], v[206:207], v[216:217]
	v_add_f64 v[0:1], v[0:1], v[2:3]
	s_waitcnt vmcnt(2) lgkmcnt(0)
	v_mul_f64 v[2:3], v[224:225], v[226:227]
	v_add_f64 v[134:135], v[134:135], v[230:231]
	v_mul_f64 v[230:231], v[222:223], v[226:227]
	s_waitcnt vmcnt(0)
	v_fma_f64 v[2:3], v[222:223], v[228:229], -v[2:3]
	v_fmac_f64_e32 v[230:231], v[224:225], v[228:229]
	v_add_f64 v[0:1], v[0:1], v[2:3]
	v_add_f64 v[134:135], v[134:135], v[230:231]
	v_add_f64 v[0:1], v[46:47], -v[0:1]
	v_add_f64 v[2:3], v[44:45], -v[134:135]
	buffer_store_dword v1, off, s[0:3], 0 offset:388
	buffer_store_dword v0, off, s[0:3], 0 offset:384
	;; [unrolled: 1-line block ×4, first 2 shown]
	s_and_saveexec_b64 s[4:5], vcc
	s_cbranch_execz .LBB51_281
; %bb.280:
	v_accvgpr_read_b32 v0, a133
	buffer_load_dword v2, v0, s[0:3], 0 offen
	buffer_load_dword v3, v0, s[0:3], 0 offen offset:4
	buffer_load_dword v4, v0, s[0:3], 0 offen offset:8
	buffer_load_dword v5, v0, s[0:3], 0 offen offset:12
	v_mov_b32_e32 v0, 0
	v_accvgpr_read_b32 v1, a156
	buffer_store_dword v0, off, s[0:3], 0 offset:368
	buffer_store_dword v0, off, s[0:3], 0 offset:372
	;; [unrolled: 1-line block ×4, first 2 shown]
	s_waitcnt vmcnt(4)
	ds_write_b128 v1, v[2:5]
.LBB51_281:
	s_or_b64 exec, exec, s[4:5]
	s_waitcnt lgkmcnt(0)
	; wave barrier
	s_waitcnt lgkmcnt(0)
	buffer_load_dword v38, off, s[0:3], 0 offset:384
	buffer_load_dword v39, off, s[0:3], 0 offset:388
	;; [unrolled: 1-line block ×48, first 2 shown]
	v_mov_b32_e32 v150, 0
	ds_read_b128 v[34:37], v150 offset:1200
	ds_read_b128 v[30:33], v150 offset:1216
	ds_read_b128 v[26:29], v150 offset:1232
	ds_read_b128 v[22:25], v150 offset:1248
	ds_read_b128 v[18:21], v150 offset:1264
	ds_read_b128 v[14:17], v150 offset:1280
	ds_read_b128 v[10:13], v150 offset:1296
	ds_read_b128 v[6:9], v150 offset:1312
	ds_read_b128 v[2:5], v150 offset:1328
	v_cmp_lt_u32_e32 vcc, 21, v255
	s_waitcnt vmcnt(44) lgkmcnt(8)
	v_mul_f64 v[0:1], v[34:35], v[42:43]
	v_fmac_f64_e32 v[0:1], v[36:37], v[38:39]
	v_add_f64 v[0:1], v[0:1], 0
	v_mul_f64 v[36:37], v[36:37], v[42:43]
	s_waitcnt vmcnt(40) lgkmcnt(7)
	v_mul_f64 v[86:87], v[30:31], v[44:45]
	v_fmac_f64_e32 v[86:87], v[32:33], v[40:41]
	s_waitcnt vmcnt(38) lgkmcnt(6)
	v_mul_f64 v[88:89], v[26:27], v[46:47]
	v_add_f64 v[0:1], v[0:1], v[86:87]
	s_waitcnt vmcnt(36) lgkmcnt(4)
	v_mul_f64 v[92:93], v[18:19], v[48:49]
	v_fma_f64 v[34:35], v[34:35], v[38:39], -v[36:37]
	s_waitcnt vmcnt(34)
	v_fmac_f64_e32 v[92:93], v[20:21], v[50:51]
	v_mul_f64 v[32:33], v[32:33], v[44:45]
	s_waitcnt vmcnt(32)
	v_mul_f64 v[90:91], v[22:23], v[52:53]
	v_add_f64 v[34:35], v[34:35], 0
	s_waitcnt vmcnt(30) lgkmcnt(2)
	v_mul_f64 v[96:97], v[10:11], v[54:55]
	v_fma_f64 v[30:31], v[30:31], v[40:41], -v[32:33]
	s_waitcnt vmcnt(28)
	v_fmac_f64_e32 v[96:97], v[12:13], v[56:57]
	v_add_f64 v[30:31], v[34:35], v[30:31]
	s_waitcnt vmcnt(26)
	v_mul_f64 v[94:95], v[14:15], v[58:59]
	v_mul_f64 v[20:21], v[20:21], v[48:49]
	v_fma_f64 v[18:19], v[18:19], v[50:51], -v[20:21]
	v_mul_f64 v[12:13], v[12:13], v[54:55]
	s_waitcnt vmcnt(22) lgkmcnt(1)
	v_mul_f64 v[110:111], v[6:7], v[68:69]
	v_fma_f64 v[10:11], v[10:11], v[56:57], -v[12:13]
	s_waitcnt vmcnt(20)
	v_fmac_f64_e32 v[88:89], v[28:29], v[76:77]
	v_add_f64 v[0:1], v[0:1], v[88:89]
	s_waitcnt vmcnt(18)
	v_fmac_f64_e32 v[90:91], v[24:25], v[74:75]
	v_add_f64 v[0:1], v[0:1], v[90:91]
	;; [unrolled: 3-line block ×3, first 2 shown]
	v_add_f64 v[0:1], v[0:1], v[94:95]
	v_add_f64 v[112:113], v[0:1], v[96:97]
	buffer_load_dword v87, off, s[0:3], 0 offset:588
	buffer_load_dword v86, off, s[0:3], 0 offset:584
	;; [unrolled: 1-line block ×72, first 2 shown]
	s_waitcnt vmcnt(62)
	v_fmac_f64_e32 v[110:111], v[8:9], v[70:71]
	v_add_f64 v[142:143], v[112:113], v[110:111]
	ds_read_b128 v[110:113], v150 offset:1344
	s_waitcnt lgkmcnt(1)
	v_mul_f64 v[144:145], v[2:3], v[64:65]
	v_fmac_f64_e32 v[144:145], v[4:5], v[66:67]
	v_add_f64 v[146:147], v[142:143], v[144:145]
	ds_read_b128 v[142:145], v150 offset:1360
	s_waitcnt lgkmcnt(1)
	v_mul_f64 v[148:149], v[110:111], v[82:83]
	;; [unrolled: 5-line block ×5, first 2 shown]
	v_fmac_f64_e32 v[162:163], v[154:155], v[88:89]
	v_add_f64 v[164:165], v[160:161], v[162:163]
	ds_read_b128 v[160:163], v150 offset:1424
	s_waitcnt vmcnt(58) lgkmcnt(1)
	v_mul_f64 v[166:167], v[156:157], v[98:99]
	s_waitcnt vmcnt(56)
	v_fmac_f64_e32 v[166:167], v[158:159], v[100:101]
	v_add_f64 v[168:169], v[164:165], v[166:167]
	ds_read_b128 v[164:167], v150 offset:1440
	s_waitcnt lgkmcnt(1)
	v_mul_f64 v[170:171], v[160:161], v[94:95]
	v_fmac_f64_e32 v[170:171], v[162:163], v[96:97]
	v_add_f64 v[172:173], v[168:169], v[170:171]
	ds_read_b128 v[168:171], v150 offset:1456
	s_waitcnt vmcnt(50) lgkmcnt(1)
	v_mul_f64 v[174:175], v[164:165], v[106:107]
	v_mul_f64 v[28:29], v[28:29], v[46:47]
	s_waitcnt vmcnt(48)
	v_fmac_f64_e32 v[174:175], v[166:167], v[108:109]
	v_fma_f64 v[26:27], v[26:27], v[76:77], -v[28:29]
	v_mul_f64 v[24:25], v[24:25], v[52:53]
	v_add_f64 v[176:177], v[172:173], v[174:175]
	ds_read_b128 v[172:175], v150 offset:1472
	v_add_f64 v[26:27], v[30:31], v[26:27]
	v_fma_f64 v[22:23], v[22:23], v[74:75], -v[24:25]
	v_add_f64 v[22:23], v[26:27], v[22:23]
	v_mul_f64 v[16:17], v[16:17], v[58:59]
	v_add_f64 v[18:19], v[22:23], v[18:19]
	v_fma_f64 v[14:15], v[14:15], v[72:73], -v[16:17]
	s_waitcnt lgkmcnt(1)
	v_mul_f64 v[178:179], v[168:169], v[102:103]
	v_add_f64 v[14:15], v[18:19], v[14:15]
	v_mul_f64 v[8:9], v[8:9], v[68:69]
	v_fmac_f64_e32 v[178:179], v[170:171], v[104:105]
	v_add_f64 v[10:11], v[14:15], v[10:11]
	v_fma_f64 v[6:7], v[6:7], v[70:71], -v[8:9]
	v_mul_f64 v[4:5], v[4:5], v[64:65]
	v_add_f64 v[180:181], v[176:177], v[178:179]
	ds_read_b128 v[176:179], v150 offset:1488
	s_waitcnt vmcnt(42) lgkmcnt(1)
	v_mul_f64 v[182:183], v[172:173], v[118:119]
	v_add_f64 v[6:7], v[10:11], v[6:7]
	v_fma_f64 v[2:3], v[2:3], v[66:67], -v[4:5]
	v_mul_f64 v[4:5], v[112:113], v[82:83]
	s_waitcnt vmcnt(40)
	v_fmac_f64_e32 v[182:183], v[174:175], v[120:121]
	v_add_f64 v[2:3], v[6:7], v[2:3]
	v_fma_f64 v[4:5], v[110:111], v[84:85], -v[4:5]
	v_add_f64 v[184:185], v[180:181], v[182:183]
	ds_read_b128 v[180:183], v150 offset:1504
	v_add_f64 v[2:3], v[2:3], v[4:5]
	v_mul_f64 v[4:5], v[144:145], v[78:79]
	v_fma_f64 v[4:5], v[142:143], v[80:81], -v[4:5]
	v_add_f64 v[2:3], v[2:3], v[4:5]
	v_mul_f64 v[4:5], v[148:149], v[90:91]
	s_waitcnt lgkmcnt(1)
	v_mul_f64 v[186:187], v[176:177], v[114:115]
	v_fma_f64 v[4:5], v[146:147], v[92:93], -v[4:5]
	v_fmac_f64_e32 v[186:187], v[178:179], v[116:117]
	v_add_f64 v[2:3], v[2:3], v[4:5]
	v_mul_f64 v[4:5], v[154:155], v[86:87]
	v_add_f64 v[188:189], v[184:185], v[186:187]
	ds_read_b128 v[184:187], v150 offset:1520
	s_waitcnt vmcnt(34) lgkmcnt(1)
	v_mul_f64 v[190:191], v[180:181], v[126:127]
	v_fma_f64 v[4:5], v[152:153], v[88:89], -v[4:5]
	s_waitcnt vmcnt(32)
	v_fmac_f64_e32 v[190:191], v[182:183], v[128:129]
	v_add_f64 v[2:3], v[2:3], v[4:5]
	v_mul_f64 v[4:5], v[158:159], v[98:99]
	v_add_f64 v[192:193], v[188:189], v[190:191]
	ds_read_b128 v[188:191], v150 offset:1536
	v_fma_f64 v[4:5], v[156:157], v[100:101], -v[4:5]
	v_add_f64 v[2:3], v[2:3], v[4:5]
	v_mul_f64 v[4:5], v[162:163], v[94:95]
	v_fma_f64 v[4:5], v[160:161], v[96:97], -v[4:5]
	s_waitcnt lgkmcnt(1)
	v_mul_f64 v[194:195], v[184:185], v[122:123]
	v_add_f64 v[2:3], v[2:3], v[4:5]
	v_mul_f64 v[4:5], v[166:167], v[106:107]
	v_fmac_f64_e32 v[194:195], v[186:187], v[124:125]
	v_fma_f64 v[4:5], v[164:165], v[108:109], -v[4:5]
	v_add_f64 v[196:197], v[192:193], v[194:195]
	ds_read_b128 v[192:195], v150 offset:1552
	s_waitcnt vmcnt(26) lgkmcnt(1)
	v_mul_f64 v[198:199], v[188:189], v[134:135]
	v_add_f64 v[2:3], v[2:3], v[4:5]
	v_mul_f64 v[4:5], v[170:171], v[102:103]
	s_waitcnt vmcnt(24)
	v_fmac_f64_e32 v[198:199], v[190:191], v[136:137]
	v_fma_f64 v[4:5], v[168:169], v[104:105], -v[4:5]
	v_add_f64 v[200:201], v[196:197], v[198:199]
	ds_read_b128 v[196:199], v150 offset:1568
	v_add_f64 v[2:3], v[2:3], v[4:5]
	v_mul_f64 v[4:5], v[174:175], v[118:119]
	v_fma_f64 v[4:5], v[172:173], v[120:121], -v[4:5]
	v_add_f64 v[2:3], v[2:3], v[4:5]
	v_mul_f64 v[4:5], v[178:179], v[114:115]
	s_waitcnt lgkmcnt(1)
	v_mul_f64 v[202:203], v[192:193], v[130:131]
	v_fma_f64 v[4:5], v[176:177], v[116:117], -v[4:5]
	v_fmac_f64_e32 v[202:203], v[194:195], v[132:133]
	v_add_f64 v[2:3], v[2:3], v[4:5]
	v_mul_f64 v[4:5], v[182:183], v[126:127]
	v_add_f64 v[204:205], v[200:201], v[202:203]
	ds_read_b128 v[200:203], v150 offset:1584
	s_waitcnt vmcnt(18) lgkmcnt(1)
	v_mul_f64 v[206:207], v[196:197], v[0:1]
	v_fma_f64 v[4:5], v[180:181], v[128:129], -v[4:5]
	s_waitcnt vmcnt(16)
	v_fmac_f64_e32 v[206:207], v[198:199], v[208:209]
	v_add_f64 v[2:3], v[2:3], v[4:5]
	v_mul_f64 v[4:5], v[186:187], v[122:123]
	v_add_f64 v[222:223], v[204:205], v[206:207]
	ds_read_b128 v[204:207], v150 offset:1600
	v_fma_f64 v[4:5], v[184:185], v[124:125], -v[4:5]
	v_add_f64 v[2:3], v[2:3], v[4:5]
	v_mul_f64 v[4:5], v[190:191], v[134:135]
	v_fma_f64 v[4:5], v[188:189], v[136:137], -v[4:5]
	s_waitcnt lgkmcnt(1)
	v_mul_f64 v[224:225], v[200:201], v[138:139]
	v_add_f64 v[2:3], v[2:3], v[4:5]
	v_mul_f64 v[4:5], v[194:195], v[130:131]
	v_fmac_f64_e32 v[224:225], v[202:203], v[140:141]
	v_fma_f64 v[4:5], v[192:193], v[132:133], -v[4:5]
	v_mul_f64 v[0:1], v[198:199], v[0:1]
	v_add_f64 v[226:227], v[222:223], v[224:225]
	ds_read_b128 v[222:225], v150 offset:1616
	s_waitcnt vmcnt(10) lgkmcnt(1)
	v_mul_f64 v[228:229], v[204:205], v[214:215]
	v_add_f64 v[2:3], v[2:3], v[4:5]
	v_fma_f64 v[0:1], v[196:197], v[208:209], -v[0:1]
	s_waitcnt vmcnt(8)
	v_fmac_f64_e32 v[228:229], v[206:207], v[216:217]
	v_add_f64 v[0:1], v[2:3], v[0:1]
	v_mul_f64 v[2:3], v[202:203], v[138:139]
	v_add_f64 v[238:239], v[226:227], v[228:229]
	ds_read_b128 v[226:229], v150 offset:1632
	ds_read_b128 v[230:233], v150 offset:1648
	v_fma_f64 v[2:3], v[200:201], v[140:141], -v[2:3]
	v_add_f64 v[0:1], v[0:1], v[2:3]
	v_mul_f64 v[2:3], v[206:207], v[214:215]
	v_fma_f64 v[2:3], v[204:205], v[216:217], -v[2:3]
	v_add_f64 v[0:1], v[0:1], v[2:3]
	s_waitcnt lgkmcnt(2)
	v_mul_f64 v[2:3], v[224:225], v[210:211]
	v_mul_f64 v[240:241], v[222:223], v[210:211]
	v_fma_f64 v[2:3], v[222:223], v[212:213], -v[2:3]
	v_fmac_f64_e32 v[240:241], v[224:225], v[212:213]
	v_add_f64 v[0:1], v[0:1], v[2:3]
	s_waitcnt vmcnt(2) lgkmcnt(1)
	v_mul_f64 v[2:3], v[228:229], v[234:235]
	v_add_f64 v[238:239], v[238:239], v[240:241]
	v_mul_f64 v[240:241], v[226:227], v[234:235]
	s_waitcnt vmcnt(0)
	v_fma_f64 v[2:3], v[226:227], v[236:237], -v[2:3]
	v_fmac_f64_e32 v[240:241], v[228:229], v[236:237]
	v_add_f64 v[0:1], v[0:1], v[2:3]
	s_waitcnt lgkmcnt(0)
	v_mul_f64 v[2:3], v[232:233], v[218:219]
	v_add_f64 v[238:239], v[238:239], v[240:241]
	v_mul_f64 v[240:241], v[230:231], v[218:219]
	v_fma_f64 v[2:3], v[230:231], v[220:221], -v[2:3]
	v_fmac_f64_e32 v[240:241], v[232:233], v[220:221]
	v_add_f64 v[0:1], v[0:1], v[2:3]
	v_add_f64 v[238:239], v[238:239], v[240:241]
	v_add_f64 v[0:1], v[62:63], -v[0:1]
	v_add_f64 v[2:3], v[60:61], -v[238:239]
	buffer_store_dword v1, off, s[0:3], 0 offset:372
	buffer_store_dword v0, off, s[0:3], 0 offset:368
	;; [unrolled: 1-line block ×4, first 2 shown]
	s_and_saveexec_b64 s[4:5], vcc
	s_cbranch_execz .LBB51_283
; %bb.282:
	v_accvgpr_read_b32 v0, a134
	buffer_load_dword v2, v0, s[0:3], 0 offen
	buffer_load_dword v3, v0, s[0:3], 0 offen offset:4
	buffer_load_dword v4, v0, s[0:3], 0 offen offset:8
	;; [unrolled: 1-line block ×3, first 2 shown]
	v_accvgpr_read_b32 v0, a156
	buffer_store_dword v150, off, s[0:3], 0 offset:352
	buffer_store_dword v150, off, s[0:3], 0 offset:356
	;; [unrolled: 1-line block ×4, first 2 shown]
	s_waitcnt vmcnt(4)
	ds_write_b128 v0, v[2:5]
.LBB51_283:
	s_or_b64 exec, exec, s[4:5]
	s_waitcnt lgkmcnt(0)
	; wave barrier
	s_waitcnt lgkmcnt(0)
	buffer_load_dword v48, off, s[0:3], 0 offset:368
	buffer_load_dword v49, off, s[0:3], 0 offset:372
	;; [unrolled: 1-line block ×40, first 2 shown]
	ds_read_b128 v[38:41], v150 offset:1184
	ds_read_b128 v[34:37], v150 offset:1200
	;; [unrolled: 1-line block ×10, first 2 shown]
	buffer_load_dword v83, off, s[0:3], 0 offset:540
	buffer_load_dword v82, off, s[0:3], 0 offset:536
	;; [unrolled: 1-line block ×8, first 2 shown]
	v_cmp_lt_u32_e32 vcc, 20, v255
	s_waitcnt vmcnt(44) lgkmcnt(9)
	v_mul_f64 v[0:1], v[38:39], v[50:51]
	v_fmac_f64_e32 v[0:1], v[40:41], v[48:49]
	v_add_f64 v[0:1], v[0:1], 0
	v_mul_f64 v[40:41], v[40:41], v[50:51]
	s_waitcnt vmcnt(40) lgkmcnt(8)
	v_mul_f64 v[90:91], v[34:35], v[44:45]
	v_fmac_f64_e32 v[90:91], v[36:37], v[42:43]
	s_waitcnt vmcnt(38) lgkmcnt(7)
	v_mul_f64 v[92:93], v[30:31], v[46:47]
	v_add_f64 v[0:1], v[0:1], v[90:91]
	s_waitcnt vmcnt(36) lgkmcnt(5)
	v_mul_f64 v[96:97], v[22:23], v[52:53]
	v_mul_f64 v[36:37], v[36:37], v[44:45]
	s_waitcnt vmcnt(34)
	v_fmac_f64_e32 v[96:97], v[24:25], v[54:55]
	v_fma_f64 v[34:35], v[34:35], v[42:43], -v[36:37]
	s_waitcnt vmcnt(32)
	v_mul_f64 v[94:95], v[26:27], v[56:57]
	v_mul_f64 v[24:25], v[24:25], v[52:53]
	s_waitcnt vmcnt(30) lgkmcnt(4)
	v_mul_f64 v[98:99], v[18:19], v[62:63]
	v_fma_f64 v[22:23], v[22:23], v[54:55], -v[24:25]
	s_waitcnt vmcnt(28) lgkmcnt(1)
	v_mul_f64 v[122:123], v[2:3], v[64:65]
	s_waitcnt vmcnt(25)
	v_mul_f64 v[102:103], v[6:7], v[68:69]
	s_waitcnt vmcnt(23)
	;; [unrolled: 2-line block ×3, first 2 shown]
	v_fmac_f64_e32 v[100:101], v[12:13], v[72:73]
	v_mul_f64 v[12:13], v[12:13], v[70:71]
	s_waitcnt vmcnt(19)
	v_fmac_f64_e32 v[92:93], v[32:33], v[80:81]
	v_add_f64 v[0:1], v[0:1], v[92:93]
	s_waitcnt vmcnt(17)
	v_fmac_f64_e32 v[94:95], v[28:29], v[78:79]
	v_add_f64 v[0:1], v[0:1], v[94:95]
	s_waitcnt vmcnt(15)
	v_fmac_f64_e32 v[98:99], v[20:21], v[76:77]
	v_add_f64 v[0:1], v[0:1], v[96:97]
	v_add_f64 v[0:1], v[0:1], v[98:99]
	s_waitcnt vmcnt(13)
	v_fmac_f64_e32 v[102:103], v[8:9], v[74:75]
	v_add_f64 v[0:1], v[0:1], v[100:101]
	v_add_f64 v[124:125], v[0:1], v[102:103]
	buffer_load_dword v91, off, s[0:3], 0 offset:572
	buffer_load_dword v90, off, s[0:3], 0 offset:568
	;; [unrolled: 1-line block ×72, first 2 shown]
	s_waitcnt vmcnt(62)
	v_fmac_f64_e32 v[122:123], v[4:5], v[66:67]
	v_add_f64 v[152:153], v[124:125], v[122:123]
	ds_read_b128 v[122:125], v150 offset:1344
	buffer_load_dword v235, off, s[0:3], 0 offset:844
	buffer_load_dword v234, off, s[0:3], 0 offset:840
	;; [unrolled: 1-line block ×4, first 2 shown]
	s_waitcnt lgkmcnt(1)
	v_mul_f64 v[154:155], v[14:15], v[86:87]
	v_fmac_f64_e32 v[154:155], v[16:17], v[88:89]
	v_add_f64 v[156:157], v[152:153], v[154:155]
	ds_read_b128 v[152:155], v150 offset:1360
	s_waitcnt lgkmcnt(1)
	v_mul_f64 v[158:159], v[122:123], v[82:83]
	v_fmac_f64_e32 v[158:159], v[124:125], v[84:85]
	v_add_f64 v[160:161], v[156:157], v[158:159]
	ds_read_b128 v[156:159], v150 offset:1376
	v_mul_f64 v[32:33], v[32:33], v[46:47]
	s_waitcnt lgkmcnt(1)
	v_mul_f64 v[162:163], v[152:153], v[94:95]
	v_fma_f64 v[30:31], v[30:31], v[80:81], -v[32:33]
	v_fmac_f64_e32 v[162:163], v[154:155], v[96:97]
	v_add_f64 v[164:165], v[160:161], v[162:163]
	ds_read_b128 v[160:163], v150 offset:1392
	s_waitcnt lgkmcnt(1)
	v_mul_f64 v[166:167], v[156:157], v[90:91]
	v_fmac_f64_e32 v[166:167], v[158:159], v[92:93]
	v_add_f64 v[168:169], v[164:165], v[166:167]
	ds_read_b128 v[164:167], v150 offset:1408
	s_waitcnt vmcnt(62) lgkmcnt(1)
	v_mul_f64 v[170:171], v[160:161], v[102:103]
	s_waitcnt vmcnt(60)
	v_fmac_f64_e32 v[170:171], v[162:163], v[104:105]
	v_add_f64 v[172:173], v[168:169], v[170:171]
	ds_read_b128 v[168:171], v150 offset:1424
	s_waitcnt lgkmcnt(1)
	v_mul_f64 v[174:175], v[164:165], v[98:99]
	v_fmac_f64_e32 v[174:175], v[166:167], v[100:101]
	v_add_f64 v[176:177], v[172:173], v[174:175]
	ds_read_b128 v[172:175], v150 offset:1440
	s_waitcnt vmcnt(54) lgkmcnt(1)
	v_mul_f64 v[178:179], v[168:169], v[110:111]
	s_waitcnt vmcnt(52)
	;; [unrolled: 11-line block ×7, first 2 shown]
	v_fmac_f64_e32 v[232:233], v[224:225], v[212:213]
	v_add_f64 v[238:239], v[230:231], v[232:233]
	ds_read_b128 v[230:233], v150 offset:1616
	s_waitcnt lgkmcnt(1)
	v_mul_f64 v[240:241], v[226:227], v[0:1]
	v_fmac_f64_e32 v[240:241], v[228:229], v[208:209]
	v_add_f64 v[238:239], v[238:239], v[240:241]
	v_fma_f64 v[240:241], v[38:39], v[48:49], -v[40:41]
	ds_read_b128 v[38:41], v150 offset:1632
	ds_read_b128 v[48:51], v150 offset:1648
	s_waitcnt vmcnt(6) lgkmcnt(2)
	v_mul_f64 v[242:243], v[230:231], v[218:219]
	s_waitcnt vmcnt(4)
	v_fmac_f64_e32 v[242:243], v[232:233], v[220:221]
	v_add_f64 v[150:151], v[238:239], v[242:243]
	s_waitcnt lgkmcnt(1)
	v_mul_f64 v[238:239], v[38:39], v[214:215]
	v_fmac_f64_e32 v[238:239], v[40:41], v[216:217]
	v_add_f64 v[150:151], v[150:151], v[238:239]
	s_waitcnt vmcnt(2) lgkmcnt(0)
	v_mul_f64 v[238:239], v[48:49], v[234:235]
	s_waitcnt vmcnt(0)
	v_fmac_f64_e32 v[238:239], v[50:51], v[236:237]
	v_add_f64 v[150:151], v[150:151], v[238:239]
	v_add_f64 v[238:239], v[240:241], 0
	;; [unrolled: 1-line block ×3, first 2 shown]
	v_mul_f64 v[28:29], v[28:29], v[56:57]
	v_add_f64 v[30:31], v[34:35], v[30:31]
	v_fma_f64 v[26:27], v[26:27], v[78:79], -v[28:29]
	v_add_f64 v[26:27], v[30:31], v[26:27]
	v_mul_f64 v[20:21], v[20:21], v[62:63]
	v_add_f64 v[22:23], v[26:27], v[22:23]
	v_fma_f64 v[18:19], v[18:19], v[76:77], -v[20:21]
	v_add_f64 v[18:19], v[22:23], v[18:19]
	v_fma_f64 v[10:11], v[10:11], v[72:73], -v[12:13]
	v_mul_f64 v[8:9], v[8:9], v[68:69]
	v_add_f64 v[10:11], v[18:19], v[10:11]
	v_fma_f64 v[6:7], v[6:7], v[74:75], -v[8:9]
	v_mul_f64 v[4:5], v[4:5], v[64:65]
	;; [unrolled: 3-line block ×3, first 2 shown]
	v_add_f64 v[2:3], v[6:7], v[2:3]
	v_fma_f64 v[4:5], v[14:15], v[88:89], -v[4:5]
	v_add_f64 v[2:3], v[2:3], v[4:5]
	v_mul_f64 v[4:5], v[124:125], v[82:83]
	v_fma_f64 v[4:5], v[122:123], v[84:85], -v[4:5]
	v_add_f64 v[2:3], v[2:3], v[4:5]
	v_mul_f64 v[4:5], v[154:155], v[94:95]
	v_fma_f64 v[4:5], v[152:153], v[96:97], -v[4:5]
	v_add_f64 v[2:3], v[2:3], v[4:5]
	v_mul_f64 v[4:5], v[158:159], v[90:91]
	v_fma_f64 v[4:5], v[156:157], v[92:93], -v[4:5]
	v_add_f64 v[2:3], v[2:3], v[4:5]
	v_mul_f64 v[4:5], v[162:163], v[102:103]
	v_fma_f64 v[4:5], v[160:161], v[104:105], -v[4:5]
	v_add_f64 v[2:3], v[2:3], v[4:5]
	v_mul_f64 v[4:5], v[166:167], v[98:99]
	v_fma_f64 v[4:5], v[164:165], v[100:101], -v[4:5]
	v_add_f64 v[2:3], v[2:3], v[4:5]
	v_mul_f64 v[4:5], v[170:171], v[110:111]
	v_fma_f64 v[4:5], v[168:169], v[112:113], -v[4:5]
	v_add_f64 v[2:3], v[2:3], v[4:5]
	v_mul_f64 v[4:5], v[174:175], v[106:107]
	v_fma_f64 v[4:5], v[172:173], v[108:109], -v[4:5]
	v_add_f64 v[2:3], v[2:3], v[4:5]
	v_mul_f64 v[4:5], v[178:179], v[118:119]
	v_fma_f64 v[4:5], v[176:177], v[120:121], -v[4:5]
	v_add_f64 v[2:3], v[2:3], v[4:5]
	v_mul_f64 v[4:5], v[182:183], v[114:115]
	v_fma_f64 v[4:5], v[180:181], v[116:117], -v[4:5]
	v_add_f64 v[2:3], v[2:3], v[4:5]
	v_mul_f64 v[4:5], v[186:187], v[130:131]
	v_fma_f64 v[4:5], v[184:185], v[132:133], -v[4:5]
	v_add_f64 v[2:3], v[2:3], v[4:5]
	v_mul_f64 v[4:5], v[190:191], v[126:127]
	v_fma_f64 v[4:5], v[188:189], v[128:129], -v[4:5]
	v_add_f64 v[2:3], v[2:3], v[4:5]
	v_mul_f64 v[4:5], v[194:195], v[138:139]
	v_fma_f64 v[4:5], v[192:193], v[140:141], -v[4:5]
	v_add_f64 v[2:3], v[2:3], v[4:5]
	v_mul_f64 v[4:5], v[198:199], v[134:135]
	v_fma_f64 v[4:5], v[196:197], v[136:137], -v[4:5]
	v_add_f64 v[2:3], v[2:3], v[4:5]
	v_mul_f64 v[4:5], v[202:203], v[146:147]
	v_fma_f64 v[4:5], v[200:201], v[148:149], -v[4:5]
	v_add_f64 v[2:3], v[2:3], v[4:5]
	v_mul_f64 v[4:5], v[206:207], v[142:143]
	v_fma_f64 v[4:5], v[204:205], v[144:145], -v[4:5]
	v_add_f64 v[2:3], v[2:3], v[4:5]
	v_mul_f64 v[4:5], v[224:225], v[210:211]
	v_fma_f64 v[4:5], v[222:223], v[212:213], -v[4:5]
	v_mul_f64 v[0:1], v[228:229], v[0:1]
	v_add_f64 v[2:3], v[2:3], v[4:5]
	v_fma_f64 v[0:1], v[226:227], v[208:209], -v[0:1]
	v_add_f64 v[0:1], v[2:3], v[0:1]
	v_mul_f64 v[2:3], v[232:233], v[218:219]
	v_fma_f64 v[2:3], v[230:231], v[220:221], -v[2:3]
	v_add_f64 v[0:1], v[0:1], v[2:3]
	v_mul_f64 v[2:3], v[40:41], v[214:215]
	v_fma_f64 v[2:3], v[38:39], v[216:217], -v[2:3]
	v_add_f64 v[0:1], v[0:1], v[2:3]
	v_mul_f64 v[2:3], v[50:51], v[234:235]
	v_fma_f64 v[2:3], v[48:49], v[236:237], -v[2:3]
	v_add_f64 v[0:1], v[0:1], v[2:3]
	v_add_f64 v[0:1], v[60:61], -v[0:1]
	v_add_f64 v[2:3], v[58:59], -v[150:151]
	buffer_store_dword v1, off, s[0:3], 0 offset:356
	buffer_store_dword v0, off, s[0:3], 0 offset:352
	;; [unrolled: 1-line block ×4, first 2 shown]
	s_and_saveexec_b64 s[4:5], vcc
	s_cbranch_execz .LBB51_285
; %bb.284:
	v_accvgpr_read_b32 v0, a135
	buffer_load_dword v2, v0, s[0:3], 0 offen
	buffer_load_dword v3, v0, s[0:3], 0 offen offset:4
	buffer_load_dword v4, v0, s[0:3], 0 offen offset:8
	;; [unrolled: 1-line block ×3, first 2 shown]
	v_mov_b32_e32 v0, 0
	v_accvgpr_read_b32 v1, a156
	buffer_store_dword v0, off, s[0:3], 0 offset:336
	buffer_store_dword v0, off, s[0:3], 0 offset:340
	;; [unrolled: 1-line block ×4, first 2 shown]
	s_waitcnt vmcnt(4)
	ds_write_b128 v1, v[2:5]
.LBB51_285:
	s_or_b64 exec, exec, s[4:5]
	s_waitcnt lgkmcnt(0)
	; wave barrier
	s_waitcnt lgkmcnt(0)
	buffer_load_dword v106, off, s[0:3], 0 offset:352
	buffer_load_dword v107, off, s[0:3], 0 offset:356
	;; [unrolled: 1-line block ×49, first 2 shown]
	v_mov_b32_e32 v254, 0
	ds_read_b128 v[110:113], v254 offset:1168
	ds_read_b128 v[250:253], v254 offset:1184
	;; [unrolled: 1-line block ×10, first 2 shown]
	buffer_load_dword v158, off, s[0:3], 0 offset:544
	buffer_load_dword v173, off, s[0:3], 0 offset:540
	;; [unrolled: 1-line block ×69, first 2 shown]
	v_accvgpr_write_b32 a155, v255
	v_cmp_lt_u32_e32 vcc, 19, v255
	s_waitcnt vmcnt(62) lgkmcnt(9)
	v_mul_f64 v[0:1], v[110:111], v[108:109]
	v_fmac_f64_e32 v[0:1], v[112:113], v[106:107]
	v_add_f64 v[0:1], v[0:1], 0
	v_mul_f64 v[108:109], v[112:113], v[108:109]
	s_waitcnt lgkmcnt(8)
	v_mul_f64 v[34:35], v[250:251], v[116:117]
	v_fmac_f64_e32 v[34:35], v[252:253], v[114:115]
	s_waitcnt lgkmcnt(7)
	v_mul_f64 v[36:37], v[30:31], v[118:119]
	v_add_f64 v[0:1], v[0:1], v[34:35]
	s_waitcnt lgkmcnt(5)
	v_mul_f64 v[40:41], v[22:23], v[120:121]
	v_mul_f64 v[116:117], v[252:253], v[116:117]
	v_fmac_f64_e32 v[40:41], v[24:25], v[122:123]
	v_fma_f64 v[248:249], v[110:111], v[106:107], -v[108:109]
	v_mul_f64 v[38:39], v[26:27], v[124:125]
	v_fma_f64 v[250:251], v[250:251], v[114:115], -v[116:117]
	s_waitcnt lgkmcnt(3)
	v_mul_f64 v[44:45], v[14:15], v[126:127]
	v_mul_f64 v[24:25], v[24:25], v[120:121]
	v_fmac_f64_e32 v[44:45], v[16:17], v[128:129]
	v_fma_f64 v[22:23], v[22:23], v[122:123], -v[24:25]
	v_mul_f64 v[42:43], v[18:19], v[130:131]
	v_mul_f64 v[16:17], v[16:17], v[126:127]
	s_waitcnt lgkmcnt(1)
	v_mul_f64 v[48:49], v[6:7], v[132:133]
	v_fma_f64 v[14:15], v[14:15], v[128:129], -v[16:17]
	v_fmac_f64_e32 v[48:49], v[8:9], v[134:135]
	v_mul_f64 v[8:9], v[8:9], v[132:133]
	v_mul_f64 v[46:47], v[10:11], v[140:141]
	v_fma_f64 v[6:7], v[6:7], v[134:135], -v[8:9]
	s_waitcnt lgkmcnt(0)
	v_mul_f64 v[50:51], v[2:3], v[136:137]
	v_fmac_f64_e32 v[36:37], v[32:33], v[152:153]
	v_add_f64 v[0:1], v[0:1], v[36:37]
	v_fmac_f64_e32 v[38:39], v[28:29], v[150:151]
	v_add_f64 v[0:1], v[0:1], v[38:39]
	v_add_f64 v[0:1], v[0:1], v[40:41]
	ds_read_b128 v[38:41], v254 offset:1328
	ds_read_b128 v[34:37], v254 offset:1344
	buffer_load_dword v231, off, s[0:3], 0 offset:844
	buffer_load_dword v230, off, s[0:3], 0 offset:840
	;; [unrolled: 1-line block ×8, first 2 shown]
	v_fmac_f64_e32 v[42:43], v[20:21], v[148:149]
	v_add_f64 v[0:1], v[0:1], v[42:43]
	v_fmac_f64_e32 v[46:47], v[12:13], v[146:147]
	v_add_f64 v[0:1], v[0:1], v[44:45]
	v_add_f64 v[0:1], v[0:1], v[46:47]
	v_fmac_f64_e32 v[50:51], v[4:5], v[144:145]
	v_add_f64 v[0:1], v[0:1], v[48:49]
	s_waitcnt lgkmcnt(1)
	v_mul_f64 v[42:43], v[38:39], v[142:143]
	v_add_f64 v[0:1], v[0:1], v[50:51]
	v_fmac_f64_e32 v[42:43], v[40:41], v[154:155]
	v_add_f64 v[0:1], v[0:1], v[42:43]
	ds_read_b128 v[42:45], v254 offset:1360
	s_waitcnt lgkmcnt(1)
	v_mul_f64 v[46:47], v[34:35], v[172:173]
	v_fmac_f64_e32 v[46:47], v[36:37], v[176:177]
	v_add_f64 v[0:1], v[0:1], v[46:47]
	ds_read_b128 v[46:49], v254 offset:1376
	s_waitcnt lgkmcnt(1)
	v_mul_f64 v[50:51], v[42:43], v[156:157]
	v_fmac_f64_e32 v[50:51], v[44:45], v[158:159]
	v_add_f64 v[0:1], v[0:1], v[50:51]
	ds_read_b128 v[50:53], v254 offset:1392
	s_waitcnt vmcnt(62) lgkmcnt(1)
	v_mul_f64 v[54:55], v[46:47], v[180:181]
	v_fmac_f64_e32 v[54:55], v[48:49], v[184:185]
	v_add_f64 v[0:1], v[0:1], v[54:55]
	ds_read_b128 v[54:57], v254 offset:1408
	s_waitcnt lgkmcnt(1)
	v_mul_f64 v[58:59], v[50:51], v[160:161]
	v_fmac_f64_e32 v[58:59], v[52:53], v[162:163]
	v_add_f64 v[0:1], v[0:1], v[58:59]
	ds_read_b128 v[58:61], v254 offset:1424
	s_waitcnt vmcnt(58) lgkmcnt(1)
	v_mul_f64 v[62:63], v[54:55], v[188:189]
	s_waitcnt vmcnt(56)
	v_fmac_f64_e32 v[62:63], v[56:57], v[192:193]
	v_add_f64 v[0:1], v[0:1], v[62:63]
	ds_read_b128 v[62:65], v254 offset:1440
	s_waitcnt lgkmcnt(1)
	v_mul_f64 v[66:67], v[58:59], v[164:165]
	v_fmac_f64_e32 v[66:67], v[60:61], v[166:167]
	v_add_f64 v[0:1], v[0:1], v[66:67]
	ds_read_b128 v[66:69], v254 offset:1456
	s_waitcnt vmcnt(50) lgkmcnt(1)
	v_mul_f64 v[70:71], v[62:63], v[196:197]
	s_waitcnt vmcnt(48)
	;; [unrolled: 11-line block ×5, first 2 shown]
	v_fmac_f64_e32 v[94:95], v[88:89], v[228:229]
	v_add_f64 v[0:1], v[0:1], v[94:95]
	ds_read_b128 v[94:97], v254 offset:1568
	s_waitcnt lgkmcnt(1)
	v_mul_f64 v[98:99], v[90:91], v[190:191]
	v_fmac_f64_e32 v[98:99], v[92:93], v[194:195]
	v_add_f64 v[0:1], v[0:1], v[98:99]
	ds_read_b128 v[98:101], v254 offset:1584
	ds_read_b128 v[102:105], v254 offset:1600
	;; [unrolled: 1-line block ×5, first 2 shown]
	buffer_load_dword v252, off, s[0:3], 0 offset:344
	buffer_load_dword v253, off, s[0:3], 0 offset:348
	s_waitcnt vmcnt(20) lgkmcnt(5)
	v_mul_f64 v[210:211], v[94:95], v[232:233]
	s_waitcnt vmcnt(18)
	v_fmac_f64_e32 v[210:211], v[96:97], v[236:237]
	v_add_f64 v[0:1], v[0:1], v[210:211]
	s_waitcnt lgkmcnt(4)
	v_mul_f64 v[210:211], v[98:99], v[198:199]
	v_fmac_f64_e32 v[210:211], v[100:101], v[202:203]
	v_add_f64 v[0:1], v[0:1], v[210:211]
	s_waitcnt vmcnt(12) lgkmcnt(3)
	v_mul_f64 v[210:211], v[102:103], v[238:239]
	s_waitcnt vmcnt(10)
	v_fmac_f64_e32 v[210:211], v[104:105], v[240:241]
	v_add_f64 v[0:1], v[0:1], v[210:211]
	s_waitcnt lgkmcnt(2)
	v_mul_f64 v[210:211], v[110:111], v[206:207]
	v_fmac_f64_e32 v[210:211], v[112:113], v[212:213]
	v_add_f64 v[0:1], v[0:1], v[210:211]
	;; [unrolled: 9-line block ×3, first 2 shown]
	v_add_f64 v[0:1], v[248:249], 0
	v_mul_f64 v[32:33], v[32:33], v[118:119]
	v_add_f64 v[0:1], v[0:1], v[250:251]
	v_fma_f64 v[30:31], v[30:31], v[152:153], -v[32:33]
	v_mul_f64 v[28:29], v[28:29], v[124:125]
	v_add_f64 v[0:1], v[0:1], v[30:31]
	v_fma_f64 v[26:27], v[26:27], v[150:151], -v[28:29]
	v_add_f64 v[0:1], v[0:1], v[26:27]
	v_mul_f64 v[20:21], v[20:21], v[130:131]
	v_add_f64 v[0:1], v[0:1], v[22:23]
	v_fma_f64 v[18:19], v[18:19], v[148:149], -v[20:21]
	v_add_f64 v[0:1], v[0:1], v[18:19]
	;; [unrolled: 4-line block ×4, first 2 shown]
	v_mul_f64 v[2:3], v[40:41], v[142:143]
	v_fma_f64 v[2:3], v[38:39], v[154:155], -v[2:3]
	v_add_f64 v[0:1], v[0:1], v[2:3]
	v_mul_f64 v[2:3], v[36:37], v[172:173]
	v_fma_f64 v[2:3], v[34:35], v[176:177], -v[2:3]
	v_add_f64 v[0:1], v[0:1], v[2:3]
	;; [unrolled: 3-line block ×21, first 2 shown]
	v_add_f64 v[0:1], v[138:139], -v[0:1]
	s_waitcnt vmcnt(0)
	v_add_f64 v[2:3], v[252:253], -v[246:247]
	buffer_store_dword v1, off, s[0:3], 0 offset:340
	buffer_store_dword v0, off, s[0:3], 0 offset:336
	;; [unrolled: 1-line block ×4, first 2 shown]
	s_and_saveexec_b64 s[4:5], vcc
	s_cbranch_execz .LBB51_287
; %bb.286:
	v_accvgpr_read_b32 v0, a136
	buffer_load_dword v2, v0, s[0:3], 0 offen
	buffer_load_dword v3, v0, s[0:3], 0 offen offset:4
	buffer_load_dword v4, v0, s[0:3], 0 offen offset:8
	;; [unrolled: 1-line block ×3, first 2 shown]
	v_accvgpr_read_b32 v0, a156
	buffer_store_dword v254, off, s[0:3], 0 offset:320
	buffer_store_dword v254, off, s[0:3], 0 offset:324
	;; [unrolled: 1-line block ×4, first 2 shown]
	s_waitcnt vmcnt(4)
	ds_write_b128 v0, v[2:5]
.LBB51_287:
	s_or_b64 exec, exec, s[4:5]
	s_waitcnt lgkmcnt(0)
	; wave barrier
	s_waitcnt lgkmcnt(0)
	buffer_load_dword v112, off, s[0:3], 0 offset:336
	buffer_load_dword v113, off, s[0:3], 0 offset:340
	;; [unrolled: 1-line block ×36, first 2 shown]
	ds_read_b128 v[102:105], v254 offset:1152
	ds_read_b128 v[106:109], v254 offset:1168
	;; [unrolled: 1-line block ×9, first 2 shown]
	buffer_load_dword v143, off, s[0:3], 0 offset:508
	buffer_load_dword v142, off, s[0:3], 0 offset:504
	;; [unrolled: 1-line block ×78, first 2 shown]
	v_accvgpr_read_b32 v218, a155
	v_cmp_lt_u32_e32 vcc, 18, v218
	s_waitcnt vmcnt(62) lgkmcnt(8)
	v_mul_f64 v[0:1], v[102:103], v[246:247]
	v_fmac_f64_e32 v[0:1], v[104:105], v[112:113]
	v_add_f64 v[0:1], v[0:1], 0
	v_mul_f64 v[104:105], v[104:105], v[246:247]
	s_waitcnt lgkmcnt(7)
	v_mul_f64 v[26:27], v[106:107], v[248:249]
	v_fmac_f64_e32 v[26:27], v[108:109], v[110:111]
	s_waitcnt lgkmcnt(6)
	v_mul_f64 v[28:29], v[114:115], v[244:245]
	v_add_f64 v[0:1], v[0:1], v[26:27]
	s_waitcnt lgkmcnt(4)
	v_mul_f64 v[32:33], v[18:19], v[118:119]
	v_fma_f64 v[246:247], v[102:103], v[112:113], -v[104:105]
	v_fmac_f64_e32 v[32:33], v[20:21], v[120:121]
	v_mul_f64 v[108:109], v[108:109], v[248:249]
	v_mul_f64 v[30:31], v[22:23], v[122:123]
	v_fma_f64 v[248:249], v[106:107], v[110:111], -v[108:109]
	s_waitcnt lgkmcnt(2)
	v_mul_f64 v[36:37], v[10:11], v[124:125]
	v_mul_f64 v[20:21], v[20:21], v[118:119]
	v_fmac_f64_e32 v[36:37], v[12:13], v[126:127]
	v_fma_f64 v[18:19], v[18:19], v[120:121], -v[20:21]
	v_mul_f64 v[34:35], v[14:15], v[130:131]
	v_mul_f64 v[12:13], v[12:13], v[124:125]
	s_waitcnt lgkmcnt(1)
	v_mul_f64 v[38:39], v[6:7], v[128:129]
	v_fma_f64 v[10:11], v[10:11], v[126:127], -v[12:13]
	v_fmac_f64_e32 v[28:29], v[116:117], v[250:251]
	v_add_f64 v[0:1], v[0:1], v[28:29]
	v_fmac_f64_e32 v[30:31], v[24:25], v[138:139]
	v_add_f64 v[0:1], v[0:1], v[30:31]
	;; [unrolled: 2-line block ×3, first 2 shown]
	v_add_f64 v[0:1], v[0:1], v[34:35]
	v_fmac_f64_e32 v[38:39], v[8:9], v[134:135]
	v_add_f64 v[0:1], v[0:1], v[36:37]
	v_add_f64 v[0:1], v[0:1], v[38:39]
	s_waitcnt lgkmcnt(0)
	v_mul_f64 v[30:31], v[2:3], v[132:133]
	v_fmac_f64_e32 v[30:31], v[4:5], v[140:141]
	ds_read_b128 v[26:29], v254 offset:1296
	v_add_f64 v[0:1], v[0:1], v[30:31]
	ds_read_b128 v[30:33], v254 offset:1312
	buffer_load_dword v231, off, s[0:3], 0 offset:772
	buffer_load_dword v230, off, s[0:3], 0 offset:768
	v_mul_f64 v[116:117], v[116:117], v[244:245]
	s_waitcnt lgkmcnt(1)
	v_mul_f64 v[34:35], v[26:27], v[146:147]
	v_fmac_f64_e32 v[34:35], v[28:29], v[148:149]
	v_add_f64 v[0:1], v[0:1], v[34:35]
	ds_read_b128 v[34:37], v254 offset:1328
	s_waitcnt lgkmcnt(1)
	v_mul_f64 v[38:39], v[30:31], v[142:143]
	v_fmac_f64_e32 v[38:39], v[32:33], v[144:145]
	v_add_f64 v[0:1], v[0:1], v[38:39]
	ds_read_b128 v[38:41], v254 offset:1344
	s_waitcnt lgkmcnt(1)
	v_mul_f64 v[42:43], v[34:35], v[158:159]
	v_fmac_f64_e32 v[42:43], v[36:37], v[160:161]
	v_add_f64 v[0:1], v[0:1], v[42:43]
	ds_read_b128 v[42:45], v254 offset:1360
	s_waitcnt lgkmcnt(1)
	v_mul_f64 v[46:47], v[38:39], v[150:151]
	v_fmac_f64_e32 v[46:47], v[40:41], v[152:153]
	v_add_f64 v[0:1], v[0:1], v[46:47]
	ds_read_b128 v[46:49], v254 offset:1376
	buffer_load_dword v233, off, s[0:3], 0 offset:828
	buffer_load_dword v235, off, s[0:3], 0 offset:812
	;; [unrolled: 1-line block ×12, first 2 shown]
	s_waitcnt vmcnt(62) lgkmcnt(1)
	v_mul_f64 v[50:51], v[42:43], v[174:175]
	v_fmac_f64_e32 v[50:51], v[44:45], v[178:179]
	v_add_f64 v[0:1], v[0:1], v[50:51]
	ds_read_b128 v[50:53], v254 offset:1392
	s_waitcnt lgkmcnt(1)
	v_mul_f64 v[54:55], v[46:47], v[154:155]
	v_fmac_f64_e32 v[54:55], v[48:49], v[156:157]
	v_add_f64 v[0:1], v[0:1], v[54:55]
	ds_read_b128 v[54:57], v254 offset:1408
	s_waitcnt lgkmcnt(1)
	v_mul_f64 v[58:59], v[50:51], v[182:183]
	s_waitcnt vmcnt(60)
	v_fmac_f64_e32 v[58:59], v[52:53], v[186:187]
	v_add_f64 v[0:1], v[0:1], v[58:59]
	ds_read_b128 v[58:61], v254 offset:1424
	s_waitcnt lgkmcnt(1)
	v_mul_f64 v[62:63], v[54:55], v[162:163]
	v_fmac_f64_e32 v[62:63], v[56:57], v[164:165]
	v_add_f64 v[0:1], v[0:1], v[62:63]
	ds_read_b128 v[62:65], v254 offset:1440
	s_waitcnt vmcnt(54) lgkmcnt(1)
	v_mul_f64 v[66:67], v[58:59], v[190:191]
	s_waitcnt vmcnt(52)
	v_fmac_f64_e32 v[66:67], v[60:61], v[194:195]
	v_add_f64 v[0:1], v[0:1], v[66:67]
	ds_read_b128 v[66:69], v254 offset:1456
	s_waitcnt lgkmcnt(1)
	v_mul_f64 v[70:71], v[62:63], v[166:167]
	v_fmac_f64_e32 v[70:71], v[64:65], v[168:169]
	v_add_f64 v[0:1], v[0:1], v[70:71]
	ds_read_b128 v[70:73], v254 offset:1472
	s_waitcnt vmcnt(46) lgkmcnt(1)
	;; [unrolled: 11-line block ×4, first 2 shown]
	v_mul_f64 v[90:91], v[82:83], v[212:213]
	s_waitcnt vmcnt(28)
	v_fmac_f64_e32 v[90:91], v[84:85], v[222:223]
	v_add_f64 v[0:1], v[0:1], v[90:91]
	ds_read_b128 v[90:93], v254 offset:1552
	ds_read_b128 v[94:97], v254 offset:1568
	s_waitcnt lgkmcnt(2)
	v_mul_f64 v[98:99], v[86:87], v[184:185]
	v_fmac_f64_e32 v[98:99], v[88:89], v[188:189]
	v_add_f64 v[0:1], v[0:1], v[98:99]
	s_waitcnt vmcnt(22) lgkmcnt(1)
	v_mul_f64 v[98:99], v[90:91], v[224:225]
	s_waitcnt vmcnt(20)
	v_fmac_f64_e32 v[98:99], v[92:93], v[226:227]
	v_add_f64 v[0:1], v[0:1], v[98:99]
	s_waitcnt lgkmcnt(0)
	v_mul_f64 v[98:99], v[94:95], v[192:193]
	v_fmac_f64_e32 v[98:99], v[96:97], v[196:197]
	v_add_f64 v[0:1], v[0:1], v[98:99]
	ds_read_b128 v[98:101], v254 offset:1584
	ds_read_b128 v[102:105], v254 offset:1600
	;; [unrolled: 1-line block ×3, first 2 shown]
	v_fma_f64 v[250:251], v[114:115], v[250:251], -v[116:117]
	ds_read_b128 v[114:117], v254 offset:1648
	s_waitcnt vmcnt(14) lgkmcnt(3)
	v_mul_f64 v[112:113], v[98:99], v[228:229]
	s_waitcnt lgkmcnt(2)
	v_mul_f64 v[110:111], v[102:103], v[200:201]
	s_waitcnt vmcnt(12)
	v_fmac_f64_e32 v[112:113], v[100:101], v[230:231]
	v_add_f64 v[0:1], v[0:1], v[112:113]
	v_fmac_f64_e32 v[110:111], v[104:105], v[204:205]
	v_add_f64 v[0:1], v[0:1], v[110:111]
	ds_read_b128 v[110:113], v254 offset:1632
	buffer_load_dword v254, off, s[0:3], 0 offset:320
	buffer_load_dword v255, off, s[0:3], 0 offset:324
	buffer_load_dword v252, off, s[0:3], 0 offset:328
	buffer_load_dword v253, off, s[0:3], 0 offset:332
	v_mul_f64 v[24:25], v[24:25], v[122:123]
	v_fma_f64 v[22:23], v[22:23], v[138:139], -v[24:25]
	v_mul_f64 v[16:17], v[16:17], v[130:131]
	s_waitcnt vmcnt(13) lgkmcnt(2)
	v_mul_f64 v[210:211], v[106:107], v[234:235]
	v_fma_f64 v[14:15], v[14:15], v[136:137], -v[16:17]
	s_waitcnt vmcnt(11)
	v_fmac_f64_e32 v[210:211], v[108:109], v[240:241]
	v_add_f64 v[0:1], v[0:1], v[210:211]
	s_waitcnt vmcnt(10) lgkmcnt(0)
	v_mul_f64 v[210:211], v[110:111], v[232:233]
	s_waitcnt vmcnt(8)
	v_fmac_f64_e32 v[210:211], v[112:113], v[238:239]
	v_add_f64 v[0:1], v[0:1], v[210:211]
	s_waitcnt vmcnt(6)
	v_mul_f64 v[210:211], v[114:115], v[236:237]
	v_mul_f64 v[8:9], v[8:9], v[128:129]
	s_waitcnt vmcnt(4)
	v_fmac_f64_e32 v[210:211], v[116:117], v[242:243]
	v_add_f64 v[244:245], v[0:1], v[210:211]
	v_add_f64 v[0:1], v[246:247], 0
	v_add_f64 v[0:1], v[0:1], v[248:249]
	v_add_f64 v[0:1], v[0:1], v[250:251]
	v_add_f64 v[0:1], v[0:1], v[22:23]
	v_add_f64 v[0:1], v[0:1], v[18:19]
	v_add_f64 v[0:1], v[0:1], v[14:15]
	v_add_f64 v[0:1], v[0:1], v[10:11]
	v_fma_f64 v[6:7], v[6:7], v[134:135], -v[8:9]
	v_mul_f64 v[4:5], v[4:5], v[132:133]
	v_add_f64 v[0:1], v[0:1], v[6:7]
	v_fma_f64 v[2:3], v[2:3], v[140:141], -v[4:5]
	v_add_f64 v[0:1], v[0:1], v[2:3]
	v_mul_f64 v[2:3], v[28:29], v[146:147]
	v_fma_f64 v[2:3], v[26:27], v[148:149], -v[2:3]
	v_add_f64 v[0:1], v[0:1], v[2:3]
	v_mul_f64 v[2:3], v[32:33], v[142:143]
	;; [unrolled: 3-line block ×23, first 2 shown]
	v_fma_f64 v[2:3], v[114:115], v[242:243], -v[2:3]
	v_add_f64 v[0:1], v[0:1], v[2:3]
	s_waitcnt vmcnt(2)
	v_add_f64 v[0:1], v[254:255], -v[0:1]
	s_waitcnt vmcnt(0)
	v_add_f64 v[2:3], v[252:253], -v[244:245]
	buffer_store_dword v1, off, s[0:3], 0 offset:324
	buffer_store_dword v0, off, s[0:3], 0 offset:320
	;; [unrolled: 1-line block ×4, first 2 shown]
	s_and_saveexec_b64 s[4:5], vcc
	s_cbranch_execz .LBB51_289
; %bb.288:
	v_accvgpr_read_b32 v0, a137
	buffer_load_dword v2, v0, s[0:3], 0 offen
	buffer_load_dword v3, v0, s[0:3], 0 offen offset:4
	buffer_load_dword v4, v0, s[0:3], 0 offen offset:8
	;; [unrolled: 1-line block ×3, first 2 shown]
	v_mov_b32_e32 v0, 0
	v_accvgpr_read_b32 v1, a156
	buffer_store_dword v0, off, s[0:3], 0 offset:304
	buffer_store_dword v0, off, s[0:3], 0 offset:308
	;; [unrolled: 1-line block ×4, first 2 shown]
	s_waitcnt vmcnt(4)
	ds_write_b128 v1, v[2:5]
.LBB51_289:
	s_or_b64 exec, exec, s[4:5]
	s_waitcnt lgkmcnt(0)
	; wave barrier
	s_waitcnt lgkmcnt(0)
	buffer_load_dword v94, off, s[0:3], 0 offset:320
	buffer_load_dword v95, off, s[0:3], 0 offset:324
	;; [unrolled: 1-line block ×52, first 2 shown]
	v_mov_b32_e32 v254, 0
	ds_read_b128 v[102:105], v254 offset:1136
	ds_read_b128 v[114:117], v254 offset:1152
	ds_read_b128 v[244:247], v254 offset:1168
	ds_read_b128 v[250:253], v254 offset:1184
	ds_read_b128 v[22:25], v254 offset:1200
	ds_read_b128 v[18:21], v254 offset:1216
	ds_read_b128 v[14:17], v254 offset:1232
	ds_read_b128 v[10:13], v254 offset:1248
	ds_read_b128 v[6:9], v254 offset:1264
	ds_read_b128 v[2:5], v254 offset:1280
	v_cmp_lt_u32_e32 vcc, 17, v218
	s_waitcnt vmcnt(48) lgkmcnt(9)
	v_mul_f64 v[0:1], v[102:103], v[96:97]
	v_fmac_f64_e32 v[0:1], v[104:105], v[94:95]
	v_add_f64 v[0:1], v[0:1], 0
	v_mul_f64 v[96:97], v[104:105], v[96:97]
	s_waitcnt vmcnt(44) lgkmcnt(8)
	v_mul_f64 v[26:27], v[114:115], v[100:101]
	v_fmac_f64_e32 v[26:27], v[116:117], v[98:99]
	s_waitcnt vmcnt(42) lgkmcnt(7)
	v_mul_f64 v[28:29], v[244:245], v[106:107]
	v_add_f64 v[0:1], v[0:1], v[26:27]
	s_waitcnt vmcnt(40) lgkmcnt(5)
	v_mul_f64 v[32:33], v[22:23], v[120:121]
	v_fma_f64 v[210:211], v[102:103], v[94:95], -v[96:97]
	s_waitcnt vmcnt(38)
	v_fmac_f64_e32 v[32:33], v[24:25], v[124:125]
	v_mul_f64 v[100:101], v[116:117], v[100:101]
	s_waitcnt vmcnt(36)
	v_mul_f64 v[30:31], v[250:251], v[110:111]
	v_fma_f64 v[214:215], v[114:115], v[98:99], -v[100:101]
	s_waitcnt vmcnt(34) lgkmcnt(3)
	v_mul_f64 v[36:37], v[14:15], v[118:119]
	v_mul_f64 v[106:107], v[246:247], v[106:107]
	s_waitcnt vmcnt(32)
	v_fmac_f64_e32 v[36:37], v[16:17], v[122:123]
	v_mul_f64 v[110:111], v[252:253], v[110:111]
	s_waitcnt vmcnt(30)
	v_mul_f64 v[34:35], v[18:19], v[130:131]
	v_mul_f64 v[24:25], v[24:25], v[120:121]
	v_fma_f64 v[22:23], v[22:23], v[124:125], -v[24:25]
	s_waitcnt vmcnt(27) lgkmcnt(2)
	v_mul_f64 v[38:39], v[10:11], v[128:129]
	s_waitcnt vmcnt(26) lgkmcnt(1)
	v_mul_f64 v[40:41], v[6:7], v[126:127]
	v_mul_f64 v[16:17], v[16:17], v[118:119]
	s_waitcnt vmcnt(24)
	v_fmac_f64_e32 v[28:29], v[246:247], v[108:109]
	v_add_f64 v[0:1], v[0:1], v[28:29]
	s_waitcnt vmcnt(22)
	v_fmac_f64_e32 v[30:31], v[252:253], v[112:113]
	v_add_f64 v[0:1], v[0:1], v[30:31]
	v_add_f64 v[0:1], v[0:1], v[32:33]
	ds_read_b128 v[26:29], v254 offset:1296
	ds_read_b128 v[30:33], v254 offset:1312
	buffer_load_dword v155, off, s[0:3], 0 offset:556
	buffer_load_dword v154, off, s[0:3], 0 offset:552
	;; [unrolled: 1-line block ×56, first 2 shown]
	s_waitcnt vmcnt(62)
	v_fmac_f64_e32 v[34:35], v[20:21], v[134:135]
	v_add_f64 v[0:1], v[0:1], v[34:35]
	v_fmac_f64_e32 v[38:39], v[12:13], v[132:133]
	v_add_f64 v[0:1], v[0:1], v[36:37]
	v_add_f64 v[0:1], v[0:1], v[38:39]
	v_fmac_f64_e32 v[40:41], v[8:9], v[138:139]
	s_waitcnt lgkmcnt(2)
	v_mul_f64 v[34:35], v[2:3], v[142:143]
	v_add_f64 v[0:1], v[0:1], v[40:41]
	v_fmac_f64_e32 v[34:35], v[4:5], v[144:145]
	v_add_f64 v[0:1], v[0:1], v[34:35]
	s_waitcnt lgkmcnt(1)
	v_mul_f64 v[34:35], v[26:27], v[136:137]
	v_fmac_f64_e32 v[34:35], v[28:29], v[140:141]
	v_add_f64 v[0:1], v[0:1], v[34:35]
	s_waitcnt lgkmcnt(0)
	v_mul_f64 v[34:35], v[30:31], v[146:147]
	s_waitcnt vmcnt(60)
	v_fmac_f64_e32 v[34:35], v[32:33], v[150:151]
	v_add_f64 v[0:1], v[0:1], v[34:35]
	ds_read_b128 v[34:37], v254 offset:1328
	buffer_load_dword v199, off, s[0:3], 0 offset:780
	buffer_load_dword v198, off, s[0:3], 0 offset:776
	;; [unrolled: 1-line block ×16, first 2 shown]
	ds_read_b128 v[38:41], v254 offset:1344
	buffer_load_dword v231, off, s[0:3], 0 offset:844
	buffer_load_dword v230, off, s[0:3], 0 offset:840
	;; [unrolled: 1-line block ×8, first 2 shown]
	ds_read_b128 v[98:101], v254 offset:1584
	s_waitcnt vmcnt(62) lgkmcnt(2)
	v_mul_f64 v[42:43], v[34:35], v[148:149]
	v_fmac_f64_e32 v[42:43], v[36:37], v[152:153]
	v_add_f64 v[0:1], v[0:1], v[42:43]
	ds_read_b128 v[42:45], v254 offset:1360
	v_fma_f64 v[248:249], v[244:245], v[108:109], -v[106:107]
	ds_read_b128 v[106:109], v254 offset:1616
	v_fma_f64 v[246:247], v[250:251], v[112:113], -v[110:111]
	v_mul_f64 v[20:21], v[20:21], v[130:131]
	s_waitcnt lgkmcnt(3)
	v_mul_f64 v[46:47], v[38:39], v[170:171]
	v_fma_f64 v[18:19], v[18:19], v[134:135], -v[20:21]
	v_fmac_f64_e32 v[46:47], v[40:41], v[174:175]
	v_add_f64 v[0:1], v[0:1], v[46:47]
	ds_read_b128 v[46:49], v254 offset:1376
	s_waitcnt lgkmcnt(2)
	v_mul_f64 v[50:51], v[42:43], v[154:155]
	v_fmac_f64_e32 v[50:51], v[44:45], v[156:157]
	v_add_f64 v[0:1], v[0:1], v[50:51]
	ds_read_b128 v[50:53], v254 offset:1392
	s_waitcnt lgkmcnt(1)
	v_mul_f64 v[54:55], v[46:47], v[178:179]
	;; [unrolled: 5-line block ×3, first 2 shown]
	v_fmac_f64_e32 v[58:59], v[52:53], v[160:161]
	v_add_f64 v[0:1], v[0:1], v[58:59]
	ds_read_b128 v[58:61], v254 offset:1424
	s_waitcnt vmcnt(58) lgkmcnt(1)
	v_mul_f64 v[62:63], v[54:55], v[186:187]
	s_waitcnt vmcnt(56)
	v_fmac_f64_e32 v[62:63], v[56:57], v[190:191]
	v_add_f64 v[0:1], v[0:1], v[62:63]
	ds_read_b128 v[62:65], v254 offset:1440
	s_waitcnt lgkmcnt(1)
	v_mul_f64 v[66:67], v[58:59], v[162:163]
	v_fmac_f64_e32 v[66:67], v[60:61], v[164:165]
	v_add_f64 v[0:1], v[0:1], v[66:67]
	ds_read_b128 v[66:69], v254 offset:1456
	s_waitcnt vmcnt(50) lgkmcnt(1)
	v_mul_f64 v[70:71], v[62:63], v[194:195]
	s_waitcnt vmcnt(48)
	v_fmac_f64_e32 v[70:71], v[64:65], v[196:197]
	v_add_f64 v[0:1], v[0:1], v[70:71]
	ds_read_b128 v[70:73], v254 offset:1472
	s_waitcnt lgkmcnt(1)
	v_mul_f64 v[74:75], v[66:67], v[166:167]
	;; [unrolled: 11-line block ×3, first 2 shown]
	v_fmac_f64_e32 v[82:83], v[76:77], v[176:177]
	v_add_f64 v[0:1], v[0:1], v[82:83]
	ds_read_b128 v[82:85], v254 offset:1520
	ds_read_b128 v[86:89], v254 offset:1536
	s_waitcnt vmcnt(34) lgkmcnt(2)
	v_mul_f64 v[90:91], v[78:79], v[208:209]
	s_waitcnt vmcnt(32)
	v_fmac_f64_e32 v[90:91], v[80:81], v[224:225]
	v_add_f64 v[0:1], v[0:1], v[90:91]
	s_waitcnt lgkmcnt(1)
	v_mul_f64 v[90:91], v[82:83], v[180:181]
	v_fmac_f64_e32 v[90:91], v[84:85], v[184:185]
	v_add_f64 v[0:1], v[0:1], v[90:91]
	s_waitcnt vmcnt(27) lgkmcnt(0)
	v_mul_f64 v[90:91], v[86:87], v[222:223]
	s_waitcnt vmcnt(25)
	v_fmac_f64_e32 v[90:91], v[88:89], v[226:227]
	v_add_f64 v[0:1], v[0:1], v[90:91]
	ds_read_b128 v[90:93], v254 offset:1552
	ds_read_b128 v[94:97], v254 offset:1568
	v_fma_f64 v[14:15], v[14:15], v[122:123], -v[16:17]
	v_mul_f64 v[12:13], v[12:13], v[128:129]
	v_fma_f64 v[10:11], v[10:11], v[132:133], -v[12:13]
	s_waitcnt lgkmcnt(1)
	v_mul_f64 v[102:103], v[90:91], v[188:189]
	s_waitcnt vmcnt(24)
	v_fmac_f64_e32 v[102:103], v[92:93], v[192:193]
	v_add_f64 v[0:1], v[0:1], v[102:103]
	s_waitcnt vmcnt(18) lgkmcnt(0)
	v_mul_f64 v[102:103], v[94:95], v[228:229]
	s_waitcnt vmcnt(16)
	v_fmac_f64_e32 v[102:103], v[96:97], v[232:233]
	v_add_f64 v[0:1], v[0:1], v[102:103]
	v_mul_f64 v[102:103], v[98:99], v[198:199]
	v_fmac_f64_e32 v[102:103], v[100:101], v[202:203]
	v_add_f64 v[0:1], v[0:1], v[102:103]
	ds_read_b128 v[102:105], v254 offset:1600
	ds_read_b128 v[110:113], v254 offset:1632
	v_mul_f64 v[8:9], v[8:9], v[126:127]
	v_fma_f64 v[6:7], v[6:7], v[138:139], -v[8:9]
	v_mul_f64 v[4:5], v[4:5], v[142:143]
	s_waitcnt vmcnt(10) lgkmcnt(1)
	v_mul_f64 v[114:115], v[102:103], v[236:237]
	s_waitcnt vmcnt(8)
	v_fmac_f64_e32 v[114:115], v[104:105], v[238:239]
	v_add_f64 v[0:1], v[0:1], v[114:115]
	v_mul_f64 v[114:115], v[106:107], v[206:207]
	v_fmac_f64_e32 v[114:115], v[108:109], v[212:213]
	v_add_f64 v[0:1], v[0:1], v[114:115]
	s_waitcnt vmcnt(2) lgkmcnt(0)
	v_mul_f64 v[114:115], v[110:111], v[240:241]
	s_waitcnt vmcnt(0)
	v_fmac_f64_e32 v[114:115], v[112:113], v[242:243]
	v_add_f64 v[0:1], v[0:1], v[114:115]
	ds_read_b128 v[114:117], v254 offset:1648
	buffer_load_dword v252, off, s[0:3], 0 offset:304
	buffer_load_dword v253, off, s[0:3], 0 offset:308
	v_fma_f64 v[2:3], v[2:3], v[144:145], -v[4:5]
	s_waitcnt lgkmcnt(0)
	v_mul_f64 v[216:217], v[114:115], v[230:231]
	v_fmac_f64_e32 v[216:217], v[116:117], v[234:235]
	v_add_f64 v[244:245], v[0:1], v[216:217]
	v_add_f64 v[0:1], v[210:211], 0
	;; [unrolled: 1-line block ×4, first 2 shown]
	buffer_load_dword v248, off, s[0:3], 0 offset:312
	buffer_load_dword v249, off, s[0:3], 0 offset:316
	v_add_f64 v[0:1], v[0:1], v[246:247]
	v_add_f64 v[0:1], v[0:1], v[22:23]
	;; [unrolled: 1-line block ×7, first 2 shown]
	v_mul_f64 v[2:3], v[28:29], v[136:137]
	v_fma_f64 v[2:3], v[26:27], v[140:141], -v[2:3]
	v_add_f64 v[0:1], v[0:1], v[2:3]
	v_mul_f64 v[2:3], v[32:33], v[146:147]
	v_fma_f64 v[2:3], v[30:31], v[150:151], -v[2:3]
	v_add_f64 v[0:1], v[0:1], v[2:3]
	;; [unrolled: 3-line block ×23, first 2 shown]
	s_waitcnt vmcnt(2)
	v_add_f64 v[0:1], v[252:253], -v[0:1]
	s_waitcnt vmcnt(0)
	v_add_f64 v[2:3], v[248:249], -v[244:245]
	buffer_store_dword v1, off, s[0:3], 0 offset:308
	buffer_store_dword v0, off, s[0:3], 0 offset:304
	;; [unrolled: 1-line block ×4, first 2 shown]
	s_and_saveexec_b64 s[4:5], vcc
	s_cbranch_execz .LBB51_291
; %bb.290:
	v_accvgpr_read_b32 v0, a138
	buffer_load_dword v2, v0, s[0:3], 0 offen
	buffer_load_dword v3, v0, s[0:3], 0 offen offset:4
	buffer_load_dword v4, v0, s[0:3], 0 offen offset:8
	;; [unrolled: 1-line block ×3, first 2 shown]
	v_accvgpr_read_b32 v0, a156
	buffer_store_dword v254, off, s[0:3], 0 offset:288
	buffer_store_dword v254, off, s[0:3], 0 offset:292
	;; [unrolled: 1-line block ×4, first 2 shown]
	s_waitcnt vmcnt(4)
	ds_write_b128 v0, v[2:5]
.LBB51_291:
	s_or_b64 exec, exec, s[4:5]
	s_waitcnt lgkmcnt(0)
	; wave barrier
	s_waitcnt lgkmcnt(0)
	buffer_load_dword v86, off, s[0:3], 0 offset:304
	buffer_load_dword v87, off, s[0:3], 0 offset:308
	;; [unrolled: 1-line block ×42, first 2 shown]
	ds_read_b128 v[94:97], v254 offset:1120
	ds_read_b128 v[106:109], v254 offset:1136
	;; [unrolled: 1-line block ×10, first 2 shown]
	buffer_load_dword v145, off, s[0:3], 0 offset:452
	buffer_load_dword v144, off, s[0:3], 0 offset:448
	ds_read_b128 v[6:9], v254 offset:1280
	buffer_load_dword v141, off, s[0:3], 0 offset:508
	buffer_load_dword v140, off, s[0:3], 0 offset:504
	;; [unrolled: 1-line block ×80, first 2 shown]
	s_waitcnt vmcnt(62) lgkmcnt(10)
	v_mul_f64 v[0:1], v[94:95], v[88:89]
	v_fmac_f64_e32 v[0:1], v[96:97], v[86:87]
	v_add_f64 v[0:1], v[0:1], 0
	v_mul_f64 v[88:89], v[96:97], v[88:89]
	s_waitcnt lgkmcnt(9)
	v_mul_f64 v[26:27], v[106:107], v[92:93]
	v_fmac_f64_e32 v[26:27], v[108:109], v[90:91]
	s_waitcnt lgkmcnt(8)
	v_mul_f64 v[28:29], v[114:115], v[98:99]
	v_add_f64 v[0:1], v[0:1], v[26:27]
	s_waitcnt lgkmcnt(6)
	v_mul_f64 v[32:33], v[248:249], v[110:111]
	v_fma_f64 v[210:211], v[94:95], v[86:87], -v[88:89]
	v_fmac_f64_e32 v[32:33], v[250:251], v[112:113]
	v_mul_f64 v[92:93], v[108:109], v[92:93]
	v_mul_f64 v[30:31], v[244:245], v[102:103]
	v_fma_f64 v[214:215], v[106:107], v[90:91], -v[92:93]
	s_waitcnt lgkmcnt(4)
	v_mul_f64 v[36:37], v[18:19], v[118:119]
	v_mul_f64 v[98:99], v[116:117], v[98:99]
	v_fmac_f64_e32 v[36:37], v[20:21], v[120:121]
	v_mul_f64 v[102:103], v[246:247], v[102:103]
	v_mul_f64 v[34:35], v[22:23], v[122:123]
	;; [unrolled: 1-line block ×3, first 2 shown]
	s_waitcnt lgkmcnt(2)
	v_mul_f64 v[40:41], v[10:11], v[124:125]
	v_fma_f64 v[248:249], v[248:249], v[112:113], -v[110:111]
	v_mul_f64 v[20:21], v[20:21], v[118:119]
	v_mul_f64 v[38:39], v[14:15], v[130:131]
	v_fma_f64 v[18:19], v[18:19], v[120:121], -v[20:21]
	s_waitcnt lgkmcnt(1)
	v_mul_f64 v[42:43], v[2:3], v[128:129]
	v_fmac_f64_e32 v[28:29], v[116:117], v[100:101]
	v_add_f64 v[0:1], v[0:1], v[28:29]
	v_fmac_f64_e32 v[30:31], v[246:247], v[104:105]
	v_add_f64 v[0:1], v[0:1], v[30:31]
	;; [unrolled: 2-line block ×3, first 2 shown]
	v_add_f64 v[0:1], v[0:1], v[34:35]
	ds_read_b128 v[26:29], v254 offset:1296
	v_fmac_f64_e32 v[38:39], v[16:17], v[132:133]
	v_add_f64 v[0:1], v[0:1], v[36:37]
	v_fmac_f64_e32 v[40:41], v[12:13], v[126:127]
	v_add_f64 v[0:1], v[0:1], v[38:39]
	v_add_f64 v[0:1], v[0:1], v[40:41]
	v_fmac_f64_e32 v[42:43], v[4:5], v[144:145]
	s_waitcnt lgkmcnt(1)
	v_mul_f64 v[30:31], v[6:7], v[136:137]
	v_add_f64 v[0:1], v[0:1], v[42:43]
	v_fmac_f64_e32 v[30:31], v[8:9], v[138:139]
	v_add_f64 v[0:1], v[0:1], v[30:31]
	ds_read_b128 v[30:33], v254 offset:1312
	s_waitcnt lgkmcnt(1)
	v_mul_f64 v[34:35], v[26:27], v[146:147]
	v_fmac_f64_e32 v[34:35], v[28:29], v[162:163]
	v_add_f64 v[0:1], v[0:1], v[34:35]
	ds_read_b128 v[34:37], v254 offset:1328
	s_waitcnt lgkmcnt(1)
	v_mul_f64 v[38:39], v[30:31], v[140:141]
	v_fmac_f64_e32 v[38:39], v[32:33], v[142:143]
	v_add_f64 v[0:1], v[0:1], v[38:39]
	ds_read_b128 v[38:41], v254 offset:1344
	s_waitcnt lgkmcnt(1)
	v_mul_f64 v[42:43], v[34:35], v[166:167]
	v_fmac_f64_e32 v[42:43], v[36:37], v[170:171]
	v_add_f64 v[0:1], v[0:1], v[42:43]
	ds_read_b128 v[42:45], v254 offset:1360
	s_waitcnt lgkmcnt(1)
	v_mul_f64 v[46:47], v[38:39], v[148:149]
	v_fmac_f64_e32 v[46:47], v[40:41], v[150:151]
	v_add_f64 v[0:1], v[0:1], v[46:47]
	ds_read_b128 v[46:49], v254 offset:1376
	s_waitcnt vmcnt(58) lgkmcnt(1)
	v_mul_f64 v[50:51], v[42:43], v[174:175]
	s_waitcnt vmcnt(56)
	v_fmac_f64_e32 v[50:51], v[44:45], v[178:179]
	v_add_f64 v[0:1], v[0:1], v[50:51]
	ds_read_b128 v[50:53], v254 offset:1392
	buffer_load_dword v232, off, s[0:3], 0 offset:824
	buffer_load_dword v237, off, s[0:3], 0 offset:812
	;; [unrolled: 1-line block ×8, first 2 shown]
	s_waitcnt lgkmcnt(1)
	v_mul_f64 v[54:55], v[46:47], v[152:153]
	v_fmac_f64_e32 v[54:55], v[48:49], v[154:155]
	v_add_f64 v[0:1], v[0:1], v[54:55]
	ds_read_b128 v[54:57], v254 offset:1408
	buffer_load_dword v241, off, s[0:3], 0 offset:844
	buffer_load_dword v240, off, s[0:3], 0 offset:840
	;; [unrolled: 1-line block ×4, first 2 shown]
	s_waitcnt vmcnt(62) lgkmcnt(1)
	v_mul_f64 v[58:59], v[50:51], v[182:183]
	s_waitcnt vmcnt(60)
	v_fmac_f64_e32 v[58:59], v[52:53], v[186:187]
	v_add_f64 v[0:1], v[0:1], v[58:59]
	ds_read_b128 v[58:61], v254 offset:1424
	s_waitcnt lgkmcnt(1)
	v_mul_f64 v[62:63], v[54:55], v[156:157]
	v_fmac_f64_e32 v[62:63], v[56:57], v[158:159]
	v_add_f64 v[0:1], v[0:1], v[62:63]
	ds_read_b128 v[62:65], v254 offset:1440
	s_waitcnt vmcnt(54) lgkmcnt(1)
	v_mul_f64 v[66:67], v[58:59], v[190:191]
	s_waitcnt vmcnt(52)
	v_fmac_f64_e32 v[66:67], v[60:61], v[194:195]
	v_add_f64 v[0:1], v[0:1], v[66:67]
	ds_read_b128 v[66:69], v254 offset:1456
	s_waitcnt lgkmcnt(1)
	v_mul_f64 v[70:71], v[62:63], v[160:161]
	v_fmac_f64_e32 v[70:71], v[64:65], v[164:165]
	v_add_f64 v[0:1], v[0:1], v[70:71]
	ds_read_b128 v[70:73], v254 offset:1472
	s_waitcnt vmcnt(46) lgkmcnt(1)
	v_mul_f64 v[74:75], v[66:67], v[198:199]
	s_waitcnt vmcnt(44)
	v_fmac_f64_e32 v[74:75], v[68:69], v[202:203]
	v_add_f64 v[0:1], v[0:1], v[74:75]
	ds_read_b128 v[74:77], v254 offset:1488
	ds_read_b128 v[78:81], v254 offset:1504
	s_waitcnt lgkmcnt(2)
	v_mul_f64 v[82:83], v[70:71], v[168:169]
	v_fmac_f64_e32 v[82:83], v[72:73], v[172:173]
	v_add_f64 v[0:1], v[0:1], v[82:83]
	s_waitcnt vmcnt(38) lgkmcnt(1)
	v_mul_f64 v[82:83], v[74:75], v[206:207]
	s_waitcnt vmcnt(36)
	v_fmac_f64_e32 v[82:83], v[76:77], v[208:209]
	v_add_f64 v[0:1], v[0:1], v[82:83]
	s_waitcnt lgkmcnt(0)
	v_mul_f64 v[82:83], v[78:79], v[176:177]
	v_fmac_f64_e32 v[82:83], v[80:81], v[180:181]
	v_add_f64 v[0:1], v[0:1], v[82:83]
	ds_read_b128 v[82:85], v254 offset:1520
	ds_read_b128 v[86:89], v254 offset:1536
	;; [unrolled: 1-line block ×3, first 2 shown]
	v_fma_f64 v[216:217], v[114:115], v[100:101], -v[98:99]
	ds_read_b128 v[98:101], v254 offset:1584
	s_waitcnt vmcnt(30) lgkmcnt(3)
	v_mul_f64 v[94:95], v[82:83], v[212:213]
	s_waitcnt vmcnt(28)
	v_fmac_f64_e32 v[94:95], v[84:85], v[222:223]
	v_add_f64 v[0:1], v[0:1], v[94:95]
	s_waitcnt lgkmcnt(2)
	v_mul_f64 v[94:95], v[86:87], v[184:185]
	v_fmac_f64_e32 v[94:95], v[88:89], v[188:189]
	v_add_f64 v[0:1], v[0:1], v[94:95]
	ds_read_b128 v[94:97], v254 offset:1568
	s_waitcnt vmcnt(22) lgkmcnt(2)
	v_mul_f64 v[106:107], v[90:91], v[224:225]
	s_waitcnt vmcnt(20)
	v_fmac_f64_e32 v[106:107], v[92:93], v[226:227]
	v_add_f64 v[0:1], v[0:1], v[106:107]
	v_fma_f64 v[246:247], v[244:245], v[104:105], -v[102:103]
	s_waitcnt lgkmcnt(0)
	v_mul_f64 v[106:107], v[94:95], v[192:193]
	v_fmac_f64_e32 v[106:107], v[96:97], v[196:197]
	v_add_f64 v[0:1], v[0:1], v[106:107]
	ds_read_b128 v[106:109], v254 offset:1600
	ds_read_b128 v[102:105], v254 offset:1616
	;; [unrolled: 1-line block ×3, first 2 shown]
	s_waitcnt vmcnt(14)
	v_mul_f64 v[114:115], v[98:99], v[228:229]
	s_waitcnt vmcnt(12)
	v_fmac_f64_e32 v[114:115], v[100:101], v[230:231]
	v_add_f64 v[0:1], v[0:1], v[114:115]
	s_waitcnt lgkmcnt(2)
	v_mul_f64 v[114:115], v[106:107], v[200:201]
	v_fmac_f64_e32 v[114:115], v[108:109], v[204:205]
	v_add_f64 v[0:1], v[0:1], v[114:115]
	v_mul_f64 v[24:25], v[24:25], v[122:123]
	v_fma_f64 v[22:23], v[22:23], v[134:135], -v[24:25]
	v_mul_f64 v[16:17], v[16:17], v[130:131]
	v_fma_f64 v[14:15], v[14:15], v[132:133], -v[16:17]
	;; [unrolled: 2-line block ×4, first 2 shown]
	s_waitcnt vmcnt(9) lgkmcnt(1)
	v_mul_f64 v[114:115], v[102:103], v[236:237]
	s_waitcnt vmcnt(7)
	v_fmac_f64_e32 v[114:115], v[104:105], v[238:239]
	v_add_f64 v[0:1], v[0:1], v[114:115]
	s_waitcnt vmcnt(5) lgkmcnt(0)
	v_mul_f64 v[114:115], v[110:111], v[232:233]
	s_waitcnt vmcnt(4)
	v_fmac_f64_e32 v[114:115], v[112:113], v[234:235]
	v_add_f64 v[0:1], v[0:1], v[114:115]
	ds_read_b128 v[114:117], v254 offset:1648
	buffer_load_dword v254, off, s[0:3], 0 offset:288
	buffer_load_dword v255, off, s[0:3], 0 offset:292
	;; [unrolled: 1-line block ×4, first 2 shown]
	s_waitcnt vmcnt(6) lgkmcnt(0)
	v_mul_f64 v[218:219], v[114:115], v[240:241]
	s_waitcnt vmcnt(4)
	v_fmac_f64_e32 v[218:219], v[116:117], v[242:243]
	v_add_f64 v[244:245], v[0:1], v[218:219]
	v_add_f64 v[0:1], v[210:211], 0
	v_add_f64 v[0:1], v[0:1], v[214:215]
	v_add_f64 v[250:251], v[0:1], v[216:217]
	v_add_f64 v[0:1], v[250:251], v[246:247]
	v_add_f64 v[0:1], v[0:1], v[248:249]
	v_add_f64 v[0:1], v[0:1], v[22:23]
	v_add_f64 v[0:1], v[0:1], v[18:19]
	v_add_f64 v[0:1], v[0:1], v[14:15]
	v_add_f64 v[0:1], v[0:1], v[10:11]
	v_add_f64 v[0:1], v[0:1], v[2:3]
	v_mul_f64 v[2:3], v[8:9], v[136:137]
	v_fma_f64 v[2:3], v[6:7], v[138:139], -v[2:3]
	v_add_f64 v[0:1], v[0:1], v[2:3]
	v_mul_f64 v[2:3], v[28:29], v[146:147]
	v_fma_f64 v[2:3], v[26:27], v[162:163], -v[2:3]
	v_add_f64 v[0:1], v[0:1], v[2:3]
	v_mul_f64 v[2:3], v[32:33], v[140:141]
	v_fma_f64 v[2:3], v[30:31], v[142:143], -v[2:3]
	v_add_f64 v[0:1], v[0:1], v[2:3]
	v_mul_f64 v[2:3], v[36:37], v[166:167]
	v_fma_f64 v[2:3], v[34:35], v[170:171], -v[2:3]
	v_add_f64 v[0:1], v[0:1], v[2:3]
	v_mul_f64 v[2:3], v[40:41], v[148:149]
	v_fma_f64 v[2:3], v[38:39], v[150:151], -v[2:3]
	v_add_f64 v[0:1], v[0:1], v[2:3]
	v_mul_f64 v[2:3], v[44:45], v[174:175]
	v_fma_f64 v[2:3], v[42:43], v[178:179], -v[2:3]
	v_add_f64 v[0:1], v[0:1], v[2:3]
	v_mul_f64 v[2:3], v[48:49], v[152:153]
	v_fma_f64 v[2:3], v[46:47], v[154:155], -v[2:3]
	v_add_f64 v[0:1], v[0:1], v[2:3]
	v_mul_f64 v[2:3], v[52:53], v[182:183]
	v_fma_f64 v[2:3], v[50:51], v[186:187], -v[2:3]
	v_add_f64 v[0:1], v[0:1], v[2:3]
	v_mul_f64 v[2:3], v[56:57], v[156:157]
	v_fma_f64 v[2:3], v[54:55], v[158:159], -v[2:3]
	v_add_f64 v[0:1], v[0:1], v[2:3]
	v_mul_f64 v[2:3], v[60:61], v[190:191]
	v_fma_f64 v[2:3], v[58:59], v[194:195], -v[2:3]
	v_add_f64 v[0:1], v[0:1], v[2:3]
	v_mul_f64 v[2:3], v[64:65], v[160:161]
	v_fma_f64 v[2:3], v[62:63], v[164:165], -v[2:3]
	v_add_f64 v[0:1], v[0:1], v[2:3]
	v_mul_f64 v[2:3], v[68:69], v[198:199]
	v_fma_f64 v[2:3], v[66:67], v[202:203], -v[2:3]
	v_add_f64 v[0:1], v[0:1], v[2:3]
	v_mul_f64 v[2:3], v[72:73], v[168:169]
	v_fma_f64 v[2:3], v[70:71], v[172:173], -v[2:3]
	v_add_f64 v[0:1], v[0:1], v[2:3]
	v_mul_f64 v[2:3], v[76:77], v[206:207]
	v_fma_f64 v[2:3], v[74:75], v[208:209], -v[2:3]
	v_add_f64 v[0:1], v[0:1], v[2:3]
	v_mul_f64 v[2:3], v[80:81], v[176:177]
	v_fma_f64 v[2:3], v[78:79], v[180:181], -v[2:3]
	v_add_f64 v[0:1], v[0:1], v[2:3]
	v_mul_f64 v[2:3], v[84:85], v[212:213]
	v_fma_f64 v[2:3], v[82:83], v[222:223], -v[2:3]
	v_add_f64 v[0:1], v[0:1], v[2:3]
	v_mul_f64 v[2:3], v[88:89], v[184:185]
	v_fma_f64 v[2:3], v[86:87], v[188:189], -v[2:3]
	v_add_f64 v[0:1], v[0:1], v[2:3]
	v_mul_f64 v[2:3], v[92:93], v[224:225]
	v_fma_f64 v[2:3], v[90:91], v[226:227], -v[2:3]
	v_add_f64 v[0:1], v[0:1], v[2:3]
	v_mul_f64 v[2:3], v[96:97], v[192:193]
	v_fma_f64 v[2:3], v[94:95], v[196:197], -v[2:3]
	v_add_f64 v[0:1], v[0:1], v[2:3]
	v_mul_f64 v[2:3], v[100:101], v[228:229]
	v_fma_f64 v[2:3], v[98:99], v[230:231], -v[2:3]
	v_add_f64 v[0:1], v[0:1], v[2:3]
	v_mul_f64 v[2:3], v[108:109], v[200:201]
	v_fma_f64 v[2:3], v[106:107], v[204:205], -v[2:3]
	v_add_f64 v[0:1], v[0:1], v[2:3]
	v_mul_f64 v[2:3], v[104:105], v[236:237]
	v_fma_f64 v[2:3], v[102:103], v[238:239], -v[2:3]
	v_add_f64 v[0:1], v[0:1], v[2:3]
	v_mul_f64 v[2:3], v[112:113], v[232:233]
	v_fma_f64 v[2:3], v[110:111], v[234:235], -v[2:3]
	v_add_f64 v[0:1], v[0:1], v[2:3]
	v_mul_f64 v[2:3], v[116:117], v[240:241]
	v_fma_f64 v[2:3], v[114:115], v[242:243], -v[2:3]
	v_add_f64 v[0:1], v[0:1], v[2:3]
	s_waitcnt vmcnt(2)
	v_add_f64 v[0:1], v[254:255], -v[0:1]
	v_accvgpr_read_b32 v255, a155
	v_cmp_lt_u32_e32 vcc, 16, v255
	s_waitcnt vmcnt(0)
	v_add_f64 v[2:3], v[252:253], -v[244:245]
	buffer_store_dword v1, off, s[0:3], 0 offset:292
	buffer_store_dword v0, off, s[0:3], 0 offset:288
	;; [unrolled: 1-line block ×4, first 2 shown]
	s_and_saveexec_b64 s[4:5], vcc
	s_cbranch_execz .LBB51_293
; %bb.292:
	v_accvgpr_read_b32 v0, a139
	buffer_load_dword v2, v0, s[0:3], 0 offen
	buffer_load_dword v3, v0, s[0:3], 0 offen offset:4
	buffer_load_dword v4, v0, s[0:3], 0 offen offset:8
	;; [unrolled: 1-line block ×3, first 2 shown]
	v_mov_b32_e32 v0, 0
	v_accvgpr_read_b32 v1, a156
	buffer_store_dword v0, off, s[0:3], 0 offset:272
	buffer_store_dword v0, off, s[0:3], 0 offset:276
	;; [unrolled: 1-line block ×4, first 2 shown]
	s_waitcnt vmcnt(4)
	ds_write_b128 v1, v[2:5]
.LBB51_293:
	s_or_b64 exec, exec, s[4:5]
	s_waitcnt lgkmcnt(0)
	; wave barrier
	s_waitcnt lgkmcnt(0)
	buffer_load_dword v82, off, s[0:3], 0 offset:288
	buffer_load_dword v83, off, s[0:3], 0 offset:292
	;; [unrolled: 1-line block ×54, first 2 shown]
	v_mov_b32_e32 v254, 0
	ds_read_b128 v[90:93], v254 offset:1104
	ds_read_b128 v[106:109], v254 offset:1120
	;; [unrolled: 1-line block ×9, first 2 shown]
	buffer_load_dword v149, off, s[0:3], 0 offset:516
	buffer_load_dword v148, off, s[0:3], 0 offset:512
	;; [unrolled: 1-line block ×62, first 2 shown]
	v_cmp_lt_u32_e32 vcc, 15, v255
	s_waitcnt vmcnt(62) lgkmcnt(8)
	v_mul_f64 v[0:1], v[90:91], v[84:85]
	v_fmac_f64_e32 v[0:1], v[92:93], v[82:83]
	v_add_f64 v[0:1], v[0:1], 0
	v_mul_f64 v[84:85], v[92:93], v[84:85]
	s_waitcnt lgkmcnt(7)
	v_mul_f64 v[14:15], v[106:107], v[88:89]
	v_fmac_f64_e32 v[14:15], v[108:109], v[86:87]
	s_waitcnt lgkmcnt(6)
	v_mul_f64 v[16:17], v[114:115], v[94:95]
	v_add_f64 v[0:1], v[0:1], v[14:15]
	s_waitcnt lgkmcnt(4)
	v_mul_f64 v[20:21], v[246:247], v[102:103]
	v_fma_f64 v[210:211], v[90:91], v[82:83], -v[84:85]
	v_fmac_f64_e32 v[20:21], v[248:249], v[104:105]
	v_mul_f64 v[88:89], v[108:109], v[88:89]
	v_mul_f64 v[18:19], v[242:243], v[98:99]
	v_fma_f64 v[214:215], v[106:107], v[86:87], -v[88:89]
	s_waitcnt lgkmcnt(2)
	v_mul_f64 v[24:25], v[10:11], v[118:119]
	v_mul_f64 v[94:95], v[116:117], v[94:95]
	v_fmac_f64_e32 v[24:25], v[12:13], v[120:121]
	v_mul_f64 v[98:99], v[244:245], v[98:99]
	v_mul_f64 v[22:23], v[250:251], v[110:111]
	;; [unrolled: 1-line block ×3, first 2 shown]
	s_waitcnt lgkmcnt(1)
	v_mul_f64 v[26:27], v[6:7], v[122:123]
	v_mul_f64 v[110:111], v[252:253], v[110:111]
	v_fmac_f64_e32 v[16:17], v[116:117], v[96:97]
	v_add_f64 v[0:1], v[0:1], v[16:17]
	v_fmac_f64_e32 v[18:19], v[244:245], v[100:101]
	v_add_f64 v[0:1], v[0:1], v[18:19]
	ds_read_b128 v[14:17], v254 offset:1248
	v_fmac_f64_e32 v[22:23], v[252:253], v[112:113]
	v_add_f64 v[0:1], v[0:1], v[20:21]
	v_add_f64 v[0:1], v[0:1], v[22:23]
	v_fmac_f64_e32 v[26:27], v[8:9], v[126:127]
	v_add_f64 v[0:1], v[0:1], v[24:25]
	s_waitcnt lgkmcnt(1)
	v_mul_f64 v[18:19], v[2:3], v[124:125]
	v_add_f64 v[0:1], v[0:1], v[26:27]
	v_fmac_f64_e32 v[18:19], v[4:5], v[128:129]
	v_add_f64 v[0:1], v[0:1], v[18:19]
	ds_read_b128 v[18:21], v254 offset:1264
	s_waitcnt lgkmcnt(1)
	v_mul_f64 v[22:23], v[14:15], v[134:135]
	v_fmac_f64_e32 v[22:23], v[16:17], v[136:137]
	v_add_f64 v[0:1], v[0:1], v[22:23]
	ds_read_b128 v[22:25], v254 offset:1280
	s_waitcnt lgkmcnt(1)
	v_mul_f64 v[26:27], v[18:19], v[130:131]
	;; [unrolled: 5-line block ×4, first 2 shown]
	v_fmac_f64_e32 v[34:35], v[28:29], v[140:141]
	v_add_f64 v[0:1], v[0:1], v[34:35]
	ds_read_b128 v[34:37], v254 offset:1328
	s_waitcnt vmcnt(58) lgkmcnt(1)
	v_mul_f64 v[38:39], v[30:31], v[162:163]
	s_waitcnt vmcnt(56)
	v_fmac_f64_e32 v[38:39], v[32:33], v[166:167]
	v_add_f64 v[0:1], v[0:1], v[38:39]
	ds_read_b128 v[38:41], v254 offset:1344
	s_waitcnt lgkmcnt(1)
	v_mul_f64 v[42:43], v[34:35], v[142:143]
	v_fmac_f64_e32 v[42:43], v[36:37], v[148:149]
	v_add_f64 v[0:1], v[0:1], v[42:43]
	ds_read_b128 v[42:45], v254 offset:1360
	s_waitcnt vmcnt(50) lgkmcnt(1)
	v_mul_f64 v[46:47], v[38:39], v[170:171]
	s_waitcnt vmcnt(48)
	v_fmac_f64_e32 v[46:47], v[40:41], v[174:175]
	v_add_f64 v[0:1], v[0:1], v[46:47]
	ds_read_b128 v[46:49], v254 offset:1376
	buffer_load_dword v213, off, s[0:3], 0 offset:764
	buffer_load_dword v212, off, s[0:3], 0 offset:760
	;; [unrolled: 1-line block ×8, first 2 shown]
	s_waitcnt lgkmcnt(1)
	v_mul_f64 v[50:51], v[42:43], v[150:151]
	v_fmac_f64_e32 v[50:51], v[44:45], v[152:153]
	v_add_f64 v[0:1], v[0:1], v[50:51]
	ds_read_b128 v[50:53], v254 offset:1392
	s_waitcnt vmcnt(50) lgkmcnt(1)
	v_mul_f64 v[54:55], v[46:47], v[178:179]
	s_waitcnt vmcnt(48)
	v_fmac_f64_e32 v[54:55], v[48:49], v[182:183]
	buffer_load_dword v225, off, s[0:3], 0 offset:812
	buffer_load_dword v231, off, s[0:3], 0 offset:796
	;; [unrolled: 1-line block ×12, first 2 shown]
	v_add_f64 v[0:1], v[0:1], v[54:55]
	ds_read_b128 v[54:57], v254 offset:1408
	s_waitcnt lgkmcnt(1)
	v_mul_f64 v[58:59], v[50:51], v[154:155]
	v_fmac_f64_e32 v[58:59], v[52:53], v[156:157]
	v_add_f64 v[0:1], v[0:1], v[58:59]
	ds_read_b128 v[58:61], v254 offset:1424
	s_waitcnt vmcnt(54) lgkmcnt(1)
	v_mul_f64 v[62:63], v[54:55], v[186:187]
	s_waitcnt vmcnt(52)
	v_fmac_f64_e32 v[62:63], v[56:57], v[190:191]
	v_add_f64 v[0:1], v[0:1], v[62:63]
	ds_read_b128 v[62:65], v254 offset:1440
	s_waitcnt lgkmcnt(1)
	v_mul_f64 v[66:67], v[58:59], v[158:159]
	v_fmac_f64_e32 v[66:67], v[60:61], v[160:161]
	v_add_f64 v[0:1], v[0:1], v[66:67]
	ds_read_b128 v[66:69], v254 offset:1456
	s_waitcnt vmcnt(46) lgkmcnt(1)
	v_mul_f64 v[70:71], v[62:63], v[194:195]
	s_waitcnt vmcnt(44)
	v_fmac_f64_e32 v[70:71], v[64:65], v[196:197]
	v_add_f64 v[0:1], v[0:1], v[70:71]
	ds_read_b128 v[70:73], v254 offset:1472
	ds_read_b128 v[74:77], v254 offset:1488
	s_waitcnt lgkmcnt(2)
	v_mul_f64 v[78:79], v[66:67], v[164:165]
	v_fmac_f64_e32 v[78:79], v[68:69], v[168:169]
	v_add_f64 v[0:1], v[0:1], v[78:79]
	s_waitcnt vmcnt(38) lgkmcnt(1)
	v_mul_f64 v[78:79], v[70:71], v[198:199]
	s_waitcnt vmcnt(36)
	v_fmac_f64_e32 v[78:79], v[72:73], v[200:201]
	v_add_f64 v[0:1], v[0:1], v[78:79]
	s_waitcnt lgkmcnt(0)
	v_mul_f64 v[78:79], v[74:75], v[172:173]
	v_fmac_f64_e32 v[78:79], v[76:77], v[176:177]
	v_add_f64 v[0:1], v[0:1], v[78:79]
	ds_read_b128 v[78:81], v254 offset:1504
	ds_read_b128 v[82:85], v254 offset:1520
	;; [unrolled: 1-line block ×3, first 2 shown]
	v_fma_f64 v[216:217], v[114:115], v[96:97], -v[94:95]
	ds_read_b128 v[94:97], v254 offset:1568
	s_waitcnt vmcnt(30) lgkmcnt(3)
	v_mul_f64 v[90:91], v[78:79], v[202:203]
	s_waitcnt vmcnt(28)
	v_fmac_f64_e32 v[90:91], v[80:81], v[204:205]
	v_add_f64 v[0:1], v[0:1], v[90:91]
	s_waitcnt lgkmcnt(2)
	v_mul_f64 v[90:91], v[82:83], v[180:181]
	v_fmac_f64_e32 v[90:91], v[84:85], v[184:185]
	v_add_f64 v[0:1], v[0:1], v[90:91]
	s_waitcnt vmcnt(22) lgkmcnt(1)
	v_mul_f64 v[90:91], v[86:87], v[206:207]
	s_waitcnt vmcnt(20)
	v_fmac_f64_e32 v[90:91], v[88:89], v[208:209]
	v_add_f64 v[0:1], v[0:1], v[90:91]
	ds_read_b128 v[90:93], v254 offset:1552
	v_fma_f64 v[218:219], v[242:243], v[100:101], -v[98:99]
	ds_read_b128 v[98:101], v254 offset:1584
	buffer_load_dword v240, off, s[0:3], 0 offset:840
	v_fma_f64 v[220:221], v[246:247], v[104:105], -v[102:103]
	s_waitcnt lgkmcnt(1)
	v_mul_f64 v[106:107], v[90:91], v[188:189]
	v_fmac_f64_e32 v[106:107], v[92:93], v[192:193]
	v_add_f64 v[0:1], v[0:1], v[106:107]
	ds_read_b128 v[102:105], v254 offset:1600
	v_fma_f64 v[250:251], v[250:251], v[112:113], -v[110:111]
	ds_read_b128 v[110:113], v254 offset:1632
	v_mul_f64 v[12:13], v[12:13], v[118:119]
	v_fma_f64 v[10:11], v[10:11], v[120:121], -v[12:13]
	v_mul_f64 v[8:9], v[8:9], v[122:123]
	v_fma_f64 v[6:7], v[6:7], v[126:127], -v[8:9]
	;; [unrolled: 2-line block ×3, first 2 shown]
	s_waitcnt vmcnt(19)
	v_mul_f64 v[106:107], v[94:95], v[212:213]
	s_waitcnt vmcnt(17)
	v_fmac_f64_e32 v[106:107], v[96:97], v[222:223]
	v_add_f64 v[0:1], v[0:1], v[106:107]
	s_waitcnt vmcnt(15) lgkmcnt(2)
	v_mul_f64 v[106:107], v[98:99], v[226:227]
	s_waitcnt vmcnt(13)
	v_fmac_f64_e32 v[106:107], v[100:101], v[228:229]
	v_add_f64 v[0:1], v[0:1], v[106:107]
	ds_read_b128 v[106:109], v254 offset:1616
	buffer_load_dword v244, off, s[0:3], 0 offset:832
	buffer_load_dword v241, off, s[0:3], 0 offset:844
	;; [unrolled: 1-line block ×3, first 2 shown]
	s_waitcnt vmcnt(13) lgkmcnt(2)
	v_mul_f64 v[114:115], v[102:103], v[230:231]
	s_waitcnt vmcnt(11)
	v_fmac_f64_e32 v[114:115], v[104:105], v[236:237]
	v_add_f64 v[0:1], v[0:1], v[114:115]
	s_waitcnt vmcnt(10) lgkmcnt(0)
	v_mul_f64 v[114:115], v[106:107], v[224:225]
	s_waitcnt vmcnt(8)
	v_fmac_f64_e32 v[114:115], v[108:109], v[234:235]
	v_add_f64 v[0:1], v[0:1], v[114:115]
	s_waitcnt vmcnt(6)
	v_mul_f64 v[114:115], v[110:111], v[232:233]
	s_waitcnt vmcnt(4)
	v_fmac_f64_e32 v[114:115], v[112:113], v[238:239]
	v_add_f64 v[0:1], v[0:1], v[114:115]
	ds_read_b128 v[114:117], v254 offset:1648
	buffer_load_dword v248, off, s[0:3], 0 offset:272
	buffer_load_dword v249, off, s[0:3], 0 offset:276
	;; [unrolled: 1-line block ×4, first 2 shown]
	s_waitcnt vmcnt(5) lgkmcnt(0)
	v_mul_f64 v[242:243], v[114:115], v[240:241]
	s_waitcnt vmcnt(4)
	v_fmac_f64_e32 v[242:243], v[116:117], v[244:245]
	v_add_f64 v[242:243], v[0:1], v[242:243]
	v_add_f64 v[0:1], v[210:211], 0
	;; [unrolled: 1-line block ×10, first 2 shown]
	v_mul_f64 v[2:3], v[16:17], v[134:135]
	v_fma_f64 v[2:3], v[14:15], v[136:137], -v[2:3]
	v_add_f64 v[0:1], v[0:1], v[2:3]
	v_mul_f64 v[2:3], v[20:21], v[130:131]
	v_fma_f64 v[2:3], v[18:19], v[132:133], -v[2:3]
	v_add_f64 v[0:1], v[0:1], v[2:3]
	;; [unrolled: 3-line block ×26, first 2 shown]
	s_waitcnt vmcnt(2)
	v_add_f64 v[0:1], v[248:249], -v[0:1]
	s_waitcnt vmcnt(0)
	v_add_f64 v[2:3], v[246:247], -v[242:243]
	buffer_store_dword v1, off, s[0:3], 0 offset:276
	buffer_store_dword v0, off, s[0:3], 0 offset:272
	;; [unrolled: 1-line block ×4, first 2 shown]
	s_and_saveexec_b64 s[4:5], vcc
	s_cbranch_execz .LBB51_295
; %bb.294:
	v_accvgpr_read_b32 v0, a140
	buffer_load_dword v2, v0, s[0:3], 0 offen
	buffer_load_dword v3, v0, s[0:3], 0 offen offset:4
	buffer_load_dword v4, v0, s[0:3], 0 offen offset:8
	;; [unrolled: 1-line block ×3, first 2 shown]
	v_accvgpr_read_b32 v0, a156
	buffer_store_dword v254, off, s[0:3], 0 offset:256
	buffer_store_dword v254, off, s[0:3], 0 offset:260
	;; [unrolled: 1-line block ×4, first 2 shown]
	s_waitcnt vmcnt(4)
	ds_write_b128 v0, v[2:5]
.LBB51_295:
	s_or_b64 exec, exec, s[4:5]
	s_waitcnt lgkmcnt(0)
	; wave barrier
	s_waitcnt lgkmcnt(0)
	buffer_load_dword v84, off, s[0:3], 0 offset:272
	buffer_load_dword v85, off, s[0:3], 0 offset:276
	;; [unrolled: 1-line block ×34, first 2 shown]
	ds_read_b128 v[74:77], v254 offset:1088
	ds_read_b128 v[78:81], v254 offset:1104
	;; [unrolled: 1-line block ×8, first 2 shown]
	buffer_load_dword v125, off, s[0:3], 0 offset:388
	buffer_load_dword v124, off, s[0:3], 0 offset:384
	ds_read_b128 v[6:9], v254 offset:1216
	buffer_load_dword v127, off, s[0:3], 0 offset:444
	buffer_load_dword v126, off, s[0:3], 0 offset:440
	;; [unrolled: 1-line block ×80, first 2 shown]
	s_waitcnt vmcnt(62) lgkmcnt(8)
	v_mul_f64 v[0:1], v[74:75], v[106:107]
	v_fmac_f64_e32 v[0:1], v[76:77], v[84:85]
	v_add_f64 v[0:1], v[0:1], 0
	v_mul_f64 v[76:77], v[76:77], v[106:107]
	s_waitcnt lgkmcnt(7)
	v_mul_f64 v[10:11], v[78:79], v[96:97]
	v_fmac_f64_e32 v[10:11], v[80:81], v[82:83]
	s_waitcnt lgkmcnt(6)
	v_mul_f64 v[12:13], v[86:87], v[94:95]
	v_add_f64 v[0:1], v[0:1], v[10:11]
	s_waitcnt lgkmcnt(4)
	v_mul_f64 v[16:17], v[98:99], v[108:109]
	v_fma_f64 v[210:211], v[74:75], v[84:85], -v[76:77]
	v_fmac_f64_e32 v[16:17], v[100:101], v[114:115]
	v_mul_f64 v[80:81], v[80:81], v[96:97]
	v_mul_f64 v[14:15], v[90:91], v[116:117]
	v_fma_f64 v[214:215], v[78:79], v[82:83], -v[80:81]
	s_waitcnt lgkmcnt(2)
	v_mul_f64 v[20:21], v[110:111], v[240:241]
	v_mul_f64 v[100:101], v[100:101], v[108:109]
	v_fma_f64 v[220:221], v[98:99], v[114:115], -v[100:101]
	v_mul_f64 v[18:19], v[102:103], v[244:245]
	s_waitcnt lgkmcnt(1)
	v_mul_f64 v[22:23], v[2:3], v[118:119]
	v_fmac_f64_e32 v[12:13], v[88:89], v[250:251]
	v_add_f64 v[0:1], v[0:1], v[12:13]
	v_fmac_f64_e32 v[14:15], v[92:93], v[248:249]
	v_add_f64 v[0:1], v[0:1], v[14:15]
	;; [unrolled: 2-line block ×4, first 2 shown]
	v_add_f64 v[0:1], v[0:1], v[20:21]
	s_waitcnt lgkmcnt(0)
	v_mul_f64 v[14:15], v[6:7], v[120:121]
	ds_read_b128 v[10:13], v254 offset:1232
	v_fmac_f64_e32 v[22:23], v[4:5], v[124:125]
	v_add_f64 v[0:1], v[0:1], v[22:23]
	v_fmac_f64_e32 v[14:15], v[8:9], v[122:123]
	v_add_f64 v[0:1], v[0:1], v[14:15]
	ds_read_b128 v[14:17], v254 offset:1248
	s_waitcnt lgkmcnt(1)
	v_mul_f64 v[18:19], v[10:11], v[130:131]
	v_fmac_f64_e32 v[18:19], v[12:13], v[132:133]
	v_add_f64 v[0:1], v[0:1], v[18:19]
	ds_read_b128 v[18:21], v254 offset:1264
	s_waitcnt lgkmcnt(1)
	v_mul_f64 v[22:23], v[14:15], v[126:127]
	;; [unrolled: 5-line block ×4, first 2 shown]
	v_fmac_f64_e32 v[30:31], v[24:25], v[136:137]
	v_add_f64 v[0:1], v[0:1], v[30:31]
	ds_read_b128 v[30:33], v254 offset:1312
	s_waitcnt vmcnt(58) lgkmcnt(1)
	v_mul_f64 v[34:35], v[26:27], v[158:159]
	s_waitcnt vmcnt(56)
	v_fmac_f64_e32 v[34:35], v[28:29], v[162:163]
	v_add_f64 v[0:1], v[0:1], v[34:35]
	ds_read_b128 v[34:37], v254 offset:1328
	s_waitcnt lgkmcnt(1)
	v_mul_f64 v[38:39], v[30:31], v[138:139]
	v_fmac_f64_e32 v[38:39], v[32:33], v[140:141]
	v_add_f64 v[0:1], v[0:1], v[38:39]
	ds_read_b128 v[38:41], v254 offset:1344
	s_waitcnt vmcnt(50) lgkmcnt(1)
	v_mul_f64 v[42:43], v[34:35], v[166:167]
	s_waitcnt vmcnt(48)
	v_fmac_f64_e32 v[42:43], v[36:37], v[170:171]
	v_add_f64 v[0:1], v[0:1], v[42:43]
	ds_read_b128 v[42:45], v254 offset:1360
	s_waitcnt lgkmcnt(1)
	v_mul_f64 v[46:47], v[38:39], v[146:147]
	v_fmac_f64_e32 v[46:47], v[40:41], v[148:149]
	v_add_f64 v[0:1], v[0:1], v[46:47]
	ds_read_b128 v[46:49], v254 offset:1376
	buffer_load_dword v207, off, s[0:3], 0 offset:764
	buffer_load_dword v209, off, s[0:3], 0 offset:748
	;; [unrolled: 1-line block ×12, first 2 shown]
	s_waitcnt vmcnt(54) lgkmcnt(1)
	v_mul_f64 v[50:51], v[42:43], v[174:175]
	s_waitcnt vmcnt(52)
	v_fmac_f64_e32 v[50:51], v[44:45], v[178:179]
	v_add_f64 v[0:1], v[0:1], v[50:51]
	ds_read_b128 v[50:53], v254 offset:1392
	s_waitcnt lgkmcnt(1)
	v_mul_f64 v[54:55], v[46:47], v[150:151]
	v_fmac_f64_e32 v[54:55], v[48:49], v[152:153]
	buffer_load_dword v231, off, s[0:3], 0 offset:796
	buffer_load_dword v230, off, s[0:3], 0 offset:792
	;; [unrolled: 1-line block ×12, first 2 shown]
	v_add_f64 v[0:1], v[0:1], v[54:55]
	ds_read_b128 v[54:57], v254 offset:1408
	s_waitcnt vmcnt(58) lgkmcnt(1)
	v_mul_f64 v[58:59], v[50:51], v[182:183]
	s_waitcnt vmcnt(56)
	v_fmac_f64_e32 v[58:59], v[52:53], v[186:187]
	v_add_f64 v[0:1], v[0:1], v[58:59]
	ds_read_b128 v[58:61], v254 offset:1424
	s_waitcnt lgkmcnt(1)
	v_mul_f64 v[62:63], v[54:55], v[154:155]
	v_fmac_f64_e32 v[62:63], v[56:57], v[156:157]
	v_add_f64 v[0:1], v[0:1], v[62:63]
	ds_read_b128 v[62:65], v254 offset:1440
	ds_read_b128 v[66:69], v254 offset:1456
	s_waitcnt vmcnt(50) lgkmcnt(2)
	v_mul_f64 v[70:71], v[58:59], v[190:191]
	s_waitcnt vmcnt(48)
	v_fmac_f64_e32 v[70:71], v[60:61], v[192:193]
	v_add_f64 v[0:1], v[0:1], v[70:71]
	s_waitcnt lgkmcnt(1)
	v_mul_f64 v[70:71], v[62:63], v[160:161]
	v_fmac_f64_e32 v[70:71], v[64:65], v[164:165]
	v_add_f64 v[0:1], v[0:1], v[70:71]
	s_waitcnt vmcnt(42) lgkmcnt(0)
	v_mul_f64 v[70:71], v[66:67], v[194:195]
	s_waitcnt vmcnt(40)
	v_fmac_f64_e32 v[70:71], v[68:69], v[196:197]
	v_add_f64 v[0:1], v[0:1], v[70:71]
	ds_read_b128 v[70:73], v254 offset:1472
	ds_read_b128 v[74:77], v254 offset:1488
	;; [unrolled: 1-line block ×3, first 2 shown]
	v_mul_f64 v[88:89], v[88:89], v[94:95]
	v_fma_f64 v[216:217], v[86:87], v[250:251], -v[88:89]
	ds_read_b128 v[86:89], v254 offset:1536
	s_waitcnt lgkmcnt(3)
	v_mul_f64 v[84:85], v[70:71], v[168:169]
	v_fmac_f64_e32 v[84:85], v[72:73], v[172:173]
	s_waitcnt vmcnt(34) lgkmcnt(2)
	v_mul_f64 v[82:83], v[74:75], v[198:199]
	v_add_f64 v[0:1], v[0:1], v[84:85]
	s_waitcnt vmcnt(32)
	v_fmac_f64_e32 v[82:83], v[76:77], v[200:201]
	v_add_f64 v[0:1], v[0:1], v[82:83]
	s_waitcnt lgkmcnt(1)
	v_mul_f64 v[82:83], v[78:79], v[176:177]
	v_fmac_f64_e32 v[82:83], v[80:81], v[180:181]
	v_add_f64 v[0:1], v[0:1], v[82:83]
	ds_read_b128 v[82:85], v254 offset:1520
	v_mul_f64 v[92:93], v[92:93], v[116:117]
	v_fma_f64 v[218:219], v[90:91], v[248:249], -v[92:93]
	ds_read_b128 v[90:93], v254 offset:1552
	ds_read_b128 v[98:101], v254 offset:1584
	s_waitcnt vmcnt(26) lgkmcnt(2)
	v_mul_f64 v[94:95], v[82:83], v[202:203]
	s_waitcnt vmcnt(24)
	v_fmac_f64_e32 v[94:95], v[84:85], v[204:205]
	v_add_f64 v[0:1], v[0:1], v[94:95]
	v_mul_f64 v[94:95], v[86:87], v[184:185]
	v_fmac_f64_e32 v[94:95], v[88:89], v[188:189]
	v_add_f64 v[0:1], v[0:1], v[94:95]
	ds_read_b128 v[94:97], v254 offset:1568
	v_mul_f64 v[104:105], v[104:105], v[244:245]
	v_mul_f64 v[112:113], v[112:113], v[240:241]
	v_fma_f64 v[250:251], v[102:103], v[246:247], -v[104:105]
	v_fma_f64 v[252:253], v[110:111], v[242:243], -v[112:113]
	ds_read_b128 v[110:113], v254 offset:1632
	v_mul_f64 v[4:5], v[4:5], v[118:119]
	v_fma_f64 v[2:3], v[2:3], v[124:125], -v[4:5]
	ds_read_b128 v[102:105], v254 offset:1616
	s_waitcnt vmcnt(21) lgkmcnt(4)
	v_mul_f64 v[106:107], v[90:91], v[208:209]
	s_waitcnt vmcnt(19)
	v_fmac_f64_e32 v[106:107], v[92:93], v[224:225]
	v_add_f64 v[0:1], v[0:1], v[106:107]
	s_waitcnt vmcnt(18) lgkmcnt(2)
	v_mul_f64 v[106:107], v[94:95], v[206:207]
	s_waitcnt vmcnt(16)
	v_fmac_f64_e32 v[106:107], v[96:97], v[222:223]
	v_add_f64 v[0:1], v[0:1], v[106:107]
	ds_read_b128 v[106:109], v254 offset:1600
	buffer_load_dword v243, off, s[0:3], 0 offset:844
	buffer_load_dword v242, off, s[0:3], 0 offset:840
	;; [unrolled: 1-line block ×4, first 2 shown]
	s_waitcnt vmcnt(18)
	v_mul_f64 v[114:115], v[98:99], v[212:213]
	s_waitcnt vmcnt(16)
	v_fmac_f64_e32 v[114:115], v[100:101], v[226:227]
	v_add_f64 v[0:1], v[0:1], v[114:115]
	s_waitcnt vmcnt(14) lgkmcnt(0)
	v_mul_f64 v[114:115], v[106:107], v[230:231]
	s_waitcnt vmcnt(12)
	v_fmac_f64_e32 v[114:115], v[108:109], v[232:233]
	v_add_f64 v[0:1], v[0:1], v[114:115]
	s_waitcnt vmcnt(9)
	v_mul_f64 v[114:115], v[102:103], v[236:237]
	s_waitcnt vmcnt(7)
	v_fmac_f64_e32 v[114:115], v[104:105], v[238:239]
	v_add_f64 v[0:1], v[0:1], v[114:115]
	s_waitcnt vmcnt(5)
	v_mul_f64 v[114:115], v[110:111], v[228:229]
	s_waitcnt vmcnt(4)
	v_fmac_f64_e32 v[114:115], v[112:113], v[234:235]
	v_add_f64 v[0:1], v[0:1], v[114:115]
	ds_read_b128 v[114:117], v254 offset:1648
	buffer_load_dword v248, off, s[0:3], 0 offset:256
	buffer_load_dword v249, off, s[0:3], 0 offset:260
	;; [unrolled: 1-line block ×4, first 2 shown]
	s_waitcnt vmcnt(6) lgkmcnt(0)
	v_mul_f64 v[240:241], v[114:115], v[242:243]
	s_waitcnt vmcnt(4)
	v_fmac_f64_e32 v[240:241], v[116:117], v[244:245]
	v_add_f64 v[240:241], v[0:1], v[240:241]
	v_add_f64 v[0:1], v[210:211], 0
	;; [unrolled: 1-line block ×9, first 2 shown]
	v_mul_f64 v[2:3], v[8:9], v[120:121]
	v_fma_f64 v[2:3], v[6:7], v[122:123], -v[2:3]
	v_add_f64 v[0:1], v[0:1], v[2:3]
	v_mul_f64 v[2:3], v[12:13], v[130:131]
	v_fma_f64 v[2:3], v[10:11], v[132:133], -v[2:3]
	v_add_f64 v[0:1], v[0:1], v[2:3]
	;; [unrolled: 3-line block ×28, first 2 shown]
	v_accvgpr_read_b32 v255, a155
	s_waitcnt vmcnt(2)
	v_add_f64 v[0:1], v[248:249], -v[0:1]
	v_cmp_lt_u32_e32 vcc, 14, v255
	s_waitcnt vmcnt(0)
	v_add_f64 v[2:3], v[246:247], -v[240:241]
	buffer_store_dword v1, off, s[0:3], 0 offset:260
	buffer_store_dword v0, off, s[0:3], 0 offset:256
	;; [unrolled: 1-line block ×4, first 2 shown]
	s_and_saveexec_b64 s[4:5], vcc
	s_cbranch_execz .LBB51_297
; %bb.296:
	v_accvgpr_read_b32 v0, a141
	buffer_load_dword v2, v0, s[0:3], 0 offen
	buffer_load_dword v3, v0, s[0:3], 0 offen offset:4
	buffer_load_dword v4, v0, s[0:3], 0 offen offset:8
	;; [unrolled: 1-line block ×3, first 2 shown]
	v_mov_b32_e32 v0, 0
	v_accvgpr_read_b32 v1, a156
	buffer_store_dword v0, off, s[0:3], 0 offset:240
	buffer_store_dword v0, off, s[0:3], 0 offset:244
	buffer_store_dword v0, off, s[0:3], 0 offset:248
	buffer_store_dword v0, off, s[0:3], 0 offset:252
	s_waitcnt vmcnt(4)
	ds_write_b128 v1, v[2:5]
.LBB51_297:
	s_or_b64 exec, exec, s[4:5]
	s_waitcnt lgkmcnt(0)
	; wave barrier
	s_waitcnt lgkmcnt(0)
	buffer_load_dword v66, off, s[0:3], 0 offset:256
	buffer_load_dword v67, off, s[0:3], 0 offset:260
	;; [unrolled: 1-line block ×55, first 2 shown]
	v_mov_b32_e32 v254, 0
	ds_read_b128 v[74:77], v254 offset:1072
	ds_read_b128 v[86:89], v254 offset:1088
	;; [unrolled: 1-line block ×9, first 2 shown]
	buffer_load_dword v136, off, s[0:3], 0 offset:480
	buffer_load_dword v155, off, s[0:3], 0 offset:476
	;; [unrolled: 1-line block ×61, first 2 shown]
	v_cmp_lt_u32_e32 vcc, 13, v255
	s_waitcnt vmcnt(62) lgkmcnt(8)
	v_mul_f64 v[0:1], v[74:75], v[68:69]
	v_fmac_f64_e32 v[0:1], v[76:77], v[66:67]
	v_add_f64 v[0:1], v[0:1], 0
	v_mul_f64 v[68:69], v[76:77], v[68:69]
	s_waitcnt lgkmcnt(7)
	v_mul_f64 v[6:7], v[86:87], v[72:73]
	v_fmac_f64_e32 v[6:7], v[88:89], v[70:71]
	s_waitcnt lgkmcnt(6)
	v_mul_f64 v[8:9], v[98:99], v[78:79]
	v_add_f64 v[0:1], v[0:1], v[6:7]
	s_waitcnt lgkmcnt(4)
	v_mul_f64 v[12:13], v[114:115], v[90:91]
	v_fma_f64 v[210:211], v[74:75], v[66:67], -v[68:69]
	v_fmac_f64_e32 v[12:13], v[116:117], v[92:93]
	v_mul_f64 v[72:73], v[88:89], v[72:73]
	v_mul_f64 v[10:11], v[110:111], v[82:83]
	v_fma_f64 v[214:215], v[86:87], v[70:71], -v[72:73]
	s_waitcnt lgkmcnt(2)
	v_mul_f64 v[16:17], v[244:245], v[102:103]
	v_mul_f64 v[78:79], v[100:101], v[78:79]
	;; [unrolled: 1-line block ×5, first 2 shown]
	s_waitcnt lgkmcnt(1)
	v_mul_f64 v[18:19], v[248:249], v[106:107]
	v_fmac_f64_e32 v[18:19], v[250:251], v[108:109]
	v_fmac_f64_e32 v[8:9], v[100:101], v[80:81]
	v_add_f64 v[0:1], v[0:1], v[8:9]
	v_fmac_f64_e32 v[10:11], v[112:113], v[84:85]
	v_add_f64 v[0:1], v[0:1], v[10:11]
	;; [unrolled: 2-line block ×3, first 2 shown]
	ds_read_b128 v[6:9], v254 offset:1216
	v_fmac_f64_e32 v[16:17], v[246:247], v[104:105]
	v_add_f64 v[0:1], v[0:1], v[14:15]
	v_add_f64 v[0:1], v[0:1], v[16:17]
	s_waitcnt lgkmcnt(1)
	v_mul_f64 v[10:11], v[2:3], v[118:119]
	v_add_f64 v[0:1], v[0:1], v[18:19]
	v_fmac_f64_e32 v[10:11], v[4:5], v[120:121]
	v_add_f64 v[0:1], v[0:1], v[10:11]
	ds_read_b128 v[10:13], v254 offset:1232
	s_waitcnt lgkmcnt(1)
	v_mul_f64 v[14:15], v[6:7], v[126:127]
	v_fmac_f64_e32 v[14:15], v[8:9], v[128:129]
	v_add_f64 v[0:1], v[0:1], v[14:15]
	ds_read_b128 v[14:17], v254 offset:1248
	s_waitcnt lgkmcnt(1)
	v_mul_f64 v[18:19], v[10:11], v[122:123]
	;; [unrolled: 5-line block ×4, first 2 shown]
	v_fmac_f64_e32 v[26:27], v[20:21], v[132:133]
	v_add_f64 v[0:1], v[0:1], v[26:27]
	ds_read_b128 v[26:29], v254 offset:1296
	s_waitcnt vmcnt(58) lgkmcnt(1)
	v_mul_f64 v[30:31], v[22:23], v[154:155]
	s_waitcnt vmcnt(56)
	v_fmac_f64_e32 v[30:31], v[24:25], v[158:159]
	v_add_f64 v[0:1], v[0:1], v[30:31]
	ds_read_b128 v[30:33], v254 offset:1312
	s_waitcnt lgkmcnt(1)
	v_mul_f64 v[34:35], v[26:27], v[134:135]
	v_fmac_f64_e32 v[34:35], v[28:29], v[136:137]
	v_add_f64 v[0:1], v[0:1], v[34:35]
	ds_read_b128 v[34:37], v254 offset:1328
	s_waitcnt vmcnt(50) lgkmcnt(1)
	v_mul_f64 v[38:39], v[30:31], v[162:163]
	s_waitcnt vmcnt(48)
	v_fmac_f64_e32 v[38:39], v[32:33], v[166:167]
	v_add_f64 v[0:1], v[0:1], v[38:39]
	ds_read_b128 v[38:41], v254 offset:1344
	s_waitcnt lgkmcnt(1)
	v_mul_f64 v[42:43], v[34:35], v[142:143]
	v_fmac_f64_e32 v[42:43], v[36:37], v[144:145]
	v_add_f64 v[0:1], v[0:1], v[42:43]
	ds_read_b128 v[42:45], v254 offset:1360
	s_waitcnt vmcnt(42) lgkmcnt(1)
	v_mul_f64 v[46:47], v[38:39], v[170:171]
	s_waitcnt vmcnt(40)
	v_fmac_f64_e32 v[46:47], v[40:41], v[174:175]
	v_add_f64 v[0:1], v[0:1], v[46:47]
	ds_read_b128 v[46:49], v254 offset:1376
	buffer_load_dword v203, off, s[0:3], 0 offset:732
	buffer_load_dword v202, off, s[0:3], 0 offset:728
	;; [unrolled: 1-line block ×4, first 2 shown]
	s_waitcnt lgkmcnt(1)
	v_mul_f64 v[50:51], v[42:43], v[146:147]
	v_fmac_f64_e32 v[50:51], v[44:45], v[148:149]
	v_add_f64 v[0:1], v[0:1], v[50:51]
	ds_read_b128 v[50:53], v254 offset:1392
	buffer_load_dword v207, off, s[0:3], 0 offset:748
	buffer_load_dword v206, off, s[0:3], 0 offset:744
	;; [unrolled: 1-line block ×8, first 2 shown]
	s_waitcnt vmcnt(46) lgkmcnt(1)
	v_mul_f64 v[54:55], v[46:47], v[178:179]
	s_waitcnt vmcnt(44)
	v_fmac_f64_e32 v[54:55], v[48:49], v[182:183]
	v_add_f64 v[0:1], v[0:1], v[54:55]
	ds_read_b128 v[54:57], v254 offset:1408
	buffer_load_dword v227, off, s[0:3], 0 offset:780
	buffer_load_dword v226, off, s[0:3], 0 offset:776
	;; [unrolled: 1-line block ×12, first 2 shown]
	s_waitcnt lgkmcnt(1)
	v_mul_f64 v[58:59], v[50:51], v[150:151]
	v_fmac_f64_e32 v[58:59], v[52:53], v[152:153]
	v_add_f64 v[0:1], v[0:1], v[58:59]
	ds_read_b128 v[58:61], v254 offset:1424
	s_waitcnt vmcnt(50) lgkmcnt(1)
	v_mul_f64 v[62:63], v[54:55], v[186:187]
	s_waitcnt vmcnt(48)
	v_fmac_f64_e32 v[62:63], v[56:57], v[188:189]
	v_add_f64 v[0:1], v[0:1], v[62:63]
	buffer_load_dword v237, off, s[0:3], 0 offset:828
	buffer_load_dword v236, off, s[0:3], 0 offset:824
	;; [unrolled: 1-line block ×4, first 2 shown]
	s_waitcnt lgkmcnt(0)
	v_mul_f64 v[62:63], v[58:59], v[156:157]
	v_fmac_f64_e32 v[62:63], v[60:61], v[160:161]
	v_add_f64 v[0:1], v[0:1], v[62:63]
	ds_read_b128 v[62:65], v254 offset:1440
	ds_read_b128 v[66:69], v254 offset:1456
	;; [unrolled: 1-line block ×3, first 2 shown]
	v_fma_f64 v[216:217], v[98:99], v[80:81], -v[78:79]
	ds_read_b128 v[78:81], v254 offset:1504
	s_waitcnt vmcnt(46) lgkmcnt(3)
	v_mul_f64 v[74:75], v[62:63], v[190:191]
	s_waitcnt vmcnt(44)
	v_fmac_f64_e32 v[74:75], v[64:65], v[192:193]
	v_add_f64 v[0:1], v[0:1], v[74:75]
	s_waitcnt lgkmcnt(2)
	v_mul_f64 v[74:75], v[66:67], v[164:165]
	v_fmac_f64_e32 v[74:75], v[68:69], v[168:169]
	v_add_f64 v[0:1], v[0:1], v[74:75]
	ds_read_b128 v[74:77], v254 offset:1488
	s_waitcnt vmcnt(38) lgkmcnt(2)
	v_mul_f64 v[86:87], v[70:71], v[194:195]
	s_waitcnt vmcnt(36)
	v_fmac_f64_e32 v[86:87], v[72:73], v[196:197]
	v_fma_f64 v[218:219], v[110:111], v[84:85], -v[82:83]
	ds_read_b128 v[82:85], v254 offset:1520
	v_add_f64 v[0:1], v[0:1], v[86:87]
	s_waitcnt lgkmcnt(1)
	v_mul_f64 v[86:87], v[74:75], v[172:173]
	v_fmac_f64_e32 v[86:87], v[76:77], v[176:177]
	v_add_f64 v[0:1], v[0:1], v[86:87]
	s_waitcnt vmcnt(30)
	v_mul_f64 v[86:87], v[78:79], v[198:199]
	s_waitcnt vmcnt(28)
	v_fmac_f64_e32 v[86:87], v[80:81], v[200:201]
	v_add_f64 v[0:1], v[0:1], v[86:87]
	s_waitcnt lgkmcnt(0)
	v_mul_f64 v[86:87], v[82:83], v[180:181]
	v_fmac_f64_e32 v[86:87], v[84:85], v[184:185]
	v_add_f64 v[0:1], v[0:1], v[86:87]
	ds_read_b128 v[86:89], v254 offset:1536
	v_fma_f64 v[220:221], v[114:115], v[92:93], -v[90:91]
	ds_read_b128 v[90:93], v254 offset:1552
	v_mul_f64 v[94:95], v[242:243], v[94:95]
	v_fma_f64 v[252:253], v[240:241], v[96:97], -v[94:95]
	ds_read_b128 v[94:97], v254 offset:1568
	v_mul_f64 v[102:103], v[246:247], v[102:103]
	;; [unrolled: 3-line block ×3, first 2 shown]
	v_fma_f64 v[250:251], v[248:249], v[108:109], -v[106:107]
	v_mul_f64 v[4:5], v[4:5], v[118:119]
	v_fma_f64 v[2:3], v[2:3], v[120:121], -v[4:5]
	ds_read_b128 v[106:109], v254 offset:1616
	s_waitcnt vmcnt(26) lgkmcnt(4)
	v_mul_f64 v[98:99], v[86:87], v[202:203]
	s_waitcnt vmcnt(24)
	v_fmac_f64_e32 v[98:99], v[88:89], v[204:205]
	v_add_f64 v[0:1], v[0:1], v[98:99]
	s_waitcnt vmcnt(22) lgkmcnt(3)
	v_mul_f64 v[98:99], v[90:91], v[206:207]
	s_waitcnt vmcnt(20)
	v_fmac_f64_e32 v[98:99], v[92:93], v[212:213]
	v_add_f64 v[0:1], v[0:1], v[98:99]
	;; [unrolled: 5-line block ×3, first 2 shown]
	ds_read_b128 v[98:101], v254 offset:1584
	s_waitcnt vmcnt(14) lgkmcnt(0)
	v_mul_f64 v[110:111], v[98:99], v[226:227]
	s_waitcnt vmcnt(12)
	v_fmac_f64_e32 v[110:111], v[100:101], v[228:229]
	v_add_f64 v[0:1], v[0:1], v[110:111]
	s_waitcnt vmcnt(9)
	v_mul_f64 v[110:111], v[102:103], v[232:233]
	s_waitcnt vmcnt(7)
	v_fmac_f64_e32 v[110:111], v[104:105], v[234:235]
	v_add_f64 v[0:1], v[0:1], v[110:111]
	s_waitcnt vmcnt(5)
	v_mul_f64 v[110:111], v[106:107], v[224:225]
	s_waitcnt vmcnt(4)
	v_fmac_f64_e32 v[110:111], v[108:109], v[230:231]
	v_add_f64 v[0:1], v[0:1], v[110:111]
	ds_read_b128 v[110:113], v254 offset:1632
	buffer_load_dword v242, off, s[0:3], 0 offset:840
	buffer_load_dword v243, off, s[0:3], 0 offset:844
	buffer_load_dword v244, off, s[0:3], 0 offset:832
	buffer_load_dword v245, off, s[0:3], 0 offset:836
	s_waitcnt vmcnt(6) lgkmcnt(0)
	v_mul_f64 v[114:115], v[110:111], v[236:237]
	s_waitcnt vmcnt(4)
	v_fmac_f64_e32 v[114:115], v[112:113], v[238:239]
	v_add_f64 v[0:1], v[0:1], v[114:115]
	ds_read_b128 v[114:117], v254 offset:1648
	buffer_load_dword v248, off, s[0:3], 0 offset:240
	buffer_load_dword v249, off, s[0:3], 0 offset:244
	s_waitcnt vmcnt(4) lgkmcnt(0)
	v_mul_f64 v[240:241], v[114:115], v[242:243]
	s_waitcnt vmcnt(2)
	v_fmac_f64_e32 v[240:241], v[116:117], v[244:245]
	v_add_f64 v[240:241], v[0:1], v[240:241]
	v_add_f64 v[0:1], v[210:211], 0
	v_add_f64 v[0:1], v[0:1], v[214:215]
	v_add_f64 v[0:1], v[0:1], v[216:217]
	v_add_f64 v[0:1], v[0:1], v[218:219]
	v_add_f64 v[0:1], v[0:1], v[220:221]
	v_add_f64 v[0:1], v[0:1], v[252:253]
	v_add_f64 v[252:253], v[0:1], v[246:247]
	buffer_load_dword v246, off, s[0:3], 0 offset:248
	buffer_load_dword v247, off, s[0:3], 0 offset:252
	v_add_f64 v[0:1], v[252:253], v[250:251]
	v_add_f64 v[0:1], v[0:1], v[2:3]
	v_mul_f64 v[2:3], v[8:9], v[126:127]
	v_fma_f64 v[2:3], v[6:7], v[128:129], -v[2:3]
	v_add_f64 v[0:1], v[0:1], v[2:3]
	v_mul_f64 v[2:3], v[12:13], v[122:123]
	v_fma_f64 v[2:3], v[10:11], v[124:125], -v[2:3]
	;; [unrolled: 3-line block ×28, first 2 shown]
	v_add_f64 v[0:1], v[0:1], v[2:3]
	s_waitcnt vmcnt(2)
	v_add_f64 v[0:1], v[248:249], -v[0:1]
	s_waitcnt vmcnt(0)
	v_add_f64 v[2:3], v[246:247], -v[240:241]
	buffer_store_dword v1, off, s[0:3], 0 offset:244
	buffer_store_dword v0, off, s[0:3], 0 offset:240
	;; [unrolled: 1-line block ×4, first 2 shown]
	s_and_saveexec_b64 s[4:5], vcc
	s_cbranch_execz .LBB51_299
; %bb.298:
	v_accvgpr_read_b32 v0, a142
	buffer_load_dword v2, v0, s[0:3], 0 offen
	buffer_load_dword v3, v0, s[0:3], 0 offen offset:4
	buffer_load_dword v4, v0, s[0:3], 0 offen offset:8
	;; [unrolled: 1-line block ×3, first 2 shown]
	v_accvgpr_read_b32 v0, a156
	buffer_store_dword v254, off, s[0:3], 0 offset:224
	buffer_store_dword v254, off, s[0:3], 0 offset:228
	;; [unrolled: 1-line block ×4, first 2 shown]
	s_waitcnt vmcnt(4)
	ds_write_b128 v0, v[2:5]
.LBB51_299:
	s_or_b64 exec, exec, s[4:5]
	s_waitcnt lgkmcnt(0)
	; wave barrier
	s_waitcnt lgkmcnt(0)
	buffer_load_dword v66, off, s[0:3], 0 offset:240
	buffer_load_dword v67, off, s[0:3], 0 offset:244
	;; [unrolled: 1-line block ×42, first 2 shown]
	ds_read_b128 v[78:81], v254 offset:1056
	ds_read_b128 v[90:93], v254 offset:1072
	ds_read_b128 v[102:105], v254 offset:1088
	ds_read_b128 v[110:113], v254 offset:1104
	ds_read_b128 v[114:117], v254 offset:1120
	ds_read_b128 v[240:243], v254 offset:1136
	ds_read_b128 v[244:247], v254 offset:1152
	ds_read_b128 v[248:251], v254 offset:1168
	ds_read_b128 v[214:217], v254 offset:1184
	ds_read_b128 v[118:121], v254 offset:1200
	buffer_load_dword v129, off, s[0:3], 0 offset:388
	buffer_load_dword v128, off, s[0:3], 0 offset:384
	ds_read_b128 v[6:9], v254 offset:1216
	buffer_load_dword v125, off, s[0:3], 0 offset:444
	buffer_load_dword v124, off, s[0:3], 0 offset:440
	;; [unrolled: 1-line block ×80, first 2 shown]
	s_waitcnt vmcnt(62) lgkmcnt(9)
	v_mul_f64 v[10:11], v[90:91], v[64:65]
	v_fmac_f64_e32 v[10:11], v[92:93], v[62:63]
	s_waitcnt lgkmcnt(8)
	v_mul_f64 v[12:13], v[102:103], v[70:71]
	v_mul_f64 v[64:65], v[92:93], v[64:65]
	s_waitcnt lgkmcnt(6)
	v_mul_f64 v[16:17], v[114:115], v[82:83]
	v_fma_f64 v[218:219], v[90:91], v[62:63], -v[64:65]
	v_fmac_f64_e32 v[16:17], v[116:117], v[84:85]
	v_mul_f64 v[70:71], v[104:105], v[70:71]
	v_mul_f64 v[14:15], v[110:111], v[74:75]
	;; [unrolled: 1-line block ×3, first 2 shown]
	s_waitcnt lgkmcnt(4)
	v_mul_f64 v[20:21], v[244:245], v[94:95]
	v_mul_f64 v[82:83], v[116:117], v[82:83]
	v_fmac_f64_e32 v[20:21], v[246:247], v[96:97]
	v_mul_f64 v[94:95], v[246:247], v[94:95]
	v_mul_f64 v[18:19], v[240:241], v[86:87]
	;; [unrolled: 1-line block ×3, first 2 shown]
	s_waitcnt lgkmcnt(2)
	v_mul_f64 v[24:25], v[214:215], v[106:107]
	v_fma_f64 v[246:247], v[244:245], v[96:97], -v[94:95]
	v_mul_f64 v[22:23], v[248:249], v[98:99]
	v_mul_f64 v[98:99], v[250:251], v[98:99]
	s_waitcnt lgkmcnt(1)
	v_mul_f64 v[26:27], v[118:119], v[4:5]
	v_fmac_f64_e32 v[12:13], v[104:105], v[72:73]
	v_fma_f64 v[220:221], v[102:103], v[72:73], -v[70:71]
	v_fmac_f64_e32 v[14:15], v[112:113], v[76:77]
	v_fma_f64 v[252:253], v[110:111], v[76:77], -v[74:75]
	;; [unrolled: 2-line block ×3, first 2 shown]
	v_fmac_f64_e32 v[22:23], v[250:251], v[100:101]
	v_fmac_f64_e32 v[24:25], v[216:217], v[108:109]
	v_fma_f64 v[250:251], v[248:249], v[100:101], -v[98:99]
	v_pk_mov_b32 v[2:3], v[0:1], v[0:1] op_sel:[0,1]
	v_mul_f64 v[0:1], v[78:79], v[68:69]
	v_fmac_f64_e32 v[0:1], v[80:81], v[66:67]
	v_add_f64 v[0:1], v[0:1], 0
	v_add_f64 v[0:1], v[0:1], v[10:11]
	;; [unrolled: 1-line block ×9, first 2 shown]
	v_fmac_f64_e32 v[26:27], v[120:121], v[128:129]
	ds_read_b128 v[10:13], v254 offset:1232
	s_waitcnt lgkmcnt(1)
	v_mul_f64 v[14:15], v[6:7], v[2:3]
	v_add_f64 v[0:1], v[0:1], v[26:27]
	v_fmac_f64_e32 v[14:15], v[8:9], v[122:123]
	v_add_f64 v[0:1], v[0:1], v[14:15]
	ds_read_b128 v[14:17], v254 offset:1248
	s_waitcnt lgkmcnt(1)
	v_mul_f64 v[18:19], v[10:11], v[130:131]
	v_fmac_f64_e32 v[18:19], v[12:13], v[146:147]
	v_add_f64 v[0:1], v[0:1], v[18:19]
	ds_read_b128 v[18:21], v254 offset:1264
	s_waitcnt lgkmcnt(1)
	v_mul_f64 v[22:23], v[14:15], v[124:125]
	;; [unrolled: 5-line block ×4, first 2 shown]
	v_fmac_f64_e32 v[30:31], v[24:25], v[134:135]
	v_add_f64 v[0:1], v[0:1], v[30:31]
	ds_read_b128 v[30:33], v254 offset:1312
	s_waitcnt vmcnt(58) lgkmcnt(1)
	v_mul_f64 v[34:35], v[26:27], v[158:159]
	s_waitcnt vmcnt(56)
	v_fmac_f64_e32 v[34:35], v[28:29], v[162:163]
	v_add_f64 v[0:1], v[0:1], v[34:35]
	ds_read_b128 v[34:37], v254 offset:1328
	s_waitcnt lgkmcnt(1)
	v_mul_f64 v[38:39], v[30:31], v[136:137]
	v_fmac_f64_e32 v[38:39], v[32:33], v[138:139]
	v_add_f64 v[0:1], v[0:1], v[38:39]
	ds_read_b128 v[38:41], v254 offset:1344
	s_waitcnt vmcnt(50) lgkmcnt(1)
	v_mul_f64 v[42:43], v[34:35], v[166:167]
	s_waitcnt vmcnt(48)
	v_fmac_f64_e32 v[42:43], v[36:37], v[170:171]
	v_add_f64 v[0:1], v[0:1], v[42:43]
	ds_read_b128 v[42:45], v254 offset:1360
	s_waitcnt lgkmcnt(1)
	v_mul_f64 v[46:47], v[38:39], v[140:141]
	;; [unrolled: 11-line block ×3, first 2 shown]
	buffer_load_dword v207, off, s[0:3], 0 offset:748
	buffer_load_dword v206, off, s[0:3], 0 offset:744
	;; [unrolled: 1-line block ×4, first 2 shown]
	v_fmac_f64_e32 v[54:55], v[48:49], v[148:149]
	v_add_f64 v[0:1], v[0:1], v[54:55]
	ds_read_b128 v[54:57], v254 offset:1408
	buffer_load_dword v222, off, s[0:3], 0 offset:760
	buffer_load_dword v224, off, s[0:3], 0 offset:752
	;; [unrolled: 1-line block ×16, first 2 shown]
	s_waitcnt vmcnt(54) lgkmcnt(1)
	v_mul_f64 v[58:59], v[50:51], v[182:183]
	s_waitcnt vmcnt(52)
	v_fmac_f64_e32 v[58:59], v[52:53], v[186:187]
	v_add_f64 v[0:1], v[0:1], v[58:59]
	ds_read_b128 v[58:61], v254 offset:1424
	buffer_load_dword v236, off, s[0:3], 0 offset:824
	buffer_load_dword v238, off, s[0:3], 0 offset:816
	;; [unrolled: 1-line block ×4, first 2 shown]
	v_mul_f64 v[68:69], v[80:81], v[68:69]
	ds_read_b128 v[62:65], v254 offset:1440
	ds_read_b128 v[70:73], v254 offset:1472
	v_fma_f64 v[210:211], v[78:79], v[66:67], -v[68:69]
	s_waitcnt lgkmcnt(3)
	v_mul_f64 v[66:67], v[54:55], v[152:153]
	v_fmac_f64_e32 v[66:67], v[56:57], v[156:157]
	v_add_f64 v[0:1], v[0:1], v[66:67]
	s_waitcnt vmcnt(50) lgkmcnt(2)
	v_mul_f64 v[66:67], v[58:59], v[190:191]
	s_waitcnt vmcnt(48)
	v_fmac_f64_e32 v[66:67], v[60:61], v[192:193]
	v_add_f64 v[0:1], v[0:1], v[66:67]
	s_waitcnt lgkmcnt(1)
	v_mul_f64 v[66:67], v[62:63], v[160:161]
	v_fmac_f64_e32 v[66:67], v[64:65], v[164:165]
	v_add_f64 v[0:1], v[0:1], v[66:67]
	ds_read_b128 v[66:69], v254 offset:1456
	ds_read_b128 v[74:77], v254 offset:1488
	v_accvgpr_write_b32 a159, v3
	v_accvgpr_write_b32 a158, v2
	v_fma_f64 v[2:3], v[114:115], v[84:85], -v[82:83]
	s_waitcnt vmcnt(42) lgkmcnt(1)
	v_mul_f64 v[78:79], v[66:67], v[194:195]
	s_waitcnt vmcnt(40)
	v_fmac_f64_e32 v[78:79], v[68:69], v[196:197]
	v_add_f64 v[0:1], v[0:1], v[78:79]
	v_mul_f64 v[78:79], v[70:71], v[168:169]
	v_fmac_f64_e32 v[78:79], v[72:73], v[172:173]
	v_add_f64 v[0:1], v[0:1], v[78:79]
	ds_read_b128 v[78:81], v254 offset:1504
	ds_read_b128 v[82:85], v254 offset:1520
	s_waitcnt vmcnt(34) lgkmcnt(2)
	v_mul_f64 v[90:91], v[74:75], v[198:199]
	s_waitcnt vmcnt(32)
	v_fmac_f64_e32 v[90:91], v[76:77], v[200:201]
	ds_read_b128 v[86:89], v254 offset:1536
	ds_read_b128 v[94:97], v254 offset:1568
	v_add_f64 v[0:1], v[0:1], v[90:91]
	s_waitcnt lgkmcnt(3)
	v_mul_f64 v[90:91], v[78:79], v[176:177]
	v_fmac_f64_e32 v[90:91], v[80:81], v[180:181]
	v_add_f64 v[0:1], v[0:1], v[90:91]
	s_waitcnt vmcnt(26) lgkmcnt(2)
	v_mul_f64 v[90:91], v[82:83], v[202:203]
	s_waitcnt vmcnt(24)
	v_fmac_f64_e32 v[90:91], v[84:85], v[204:205]
	v_add_f64 v[0:1], v[0:1], v[90:91]
	s_waitcnt lgkmcnt(1)
	v_mul_f64 v[90:91], v[86:87], v[184:185]
	v_fmac_f64_e32 v[90:91], v[88:89], v[188:189]
	v_add_f64 v[0:1], v[0:1], v[90:91]
	ds_read_b128 v[90:93], v254 offset:1552
	ds_read_b128 v[98:101], v254 offset:1584
	v_add_f64 v[210:211], v[210:211], 0
	v_add_f64 v[210:211], v[210:211], v[218:219]
	v_add_f64 v[210:211], v[210:211], v[220:221]
	v_add_f64 v[210:211], v[210:211], v[252:253]
	v_add_f64 v[2:3], v[210:211], v[2:3]
	v_add_f64 v[2:3], v[2:3], v[240:241]
	s_waitcnt vmcnt(13) lgkmcnt(0)
	v_mul_f64 v[112:113], v[98:99], v[226:227]
	v_mul_f64 v[102:103], v[90:91], v[206:207]
	s_waitcnt vmcnt(11)
	v_fmac_f64_e32 v[112:113], v[100:101], v[232:233]
	v_fmac_f64_e32 v[102:103], v[92:93], v[208:209]
	v_add_f64 v[0:1], v[0:1], v[102:103]
	v_mul_f64 v[102:103], v[94:95], v[222:223]
	v_fmac_f64_e32 v[102:103], v[96:97], v[224:225]
	v_add_f64 v[110:111], v[0:1], v[102:103]
	ds_read_b128 v[102:105], v254 offset:1600
	v_mul_f64 v[0:1], v[216:217], v[106:107]
	v_fma_f64 v[0:1], v[214:215], v[108:109], -v[0:1]
	ds_read_b128 v[106:109], v254 offset:1616
	v_add_f64 v[110:111], v[110:111], v[112:113]
	s_waitcnt vmcnt(10) lgkmcnt(1)
	v_mul_f64 v[112:113], v[102:103], v[212:213]
	s_waitcnt vmcnt(8)
	v_fmac_f64_e32 v[112:113], v[104:105], v[230:231]
	v_add_f64 v[110:111], v[110:111], v[112:113]
	s_waitcnt vmcnt(6) lgkmcnt(0)
	v_mul_f64 v[112:113], v[106:107], v[228:229]
	s_waitcnt vmcnt(4)
	v_fmac_f64_e32 v[112:113], v[108:109], v[234:235]
	v_add_f64 v[114:115], v[110:111], v[112:113]
	ds_read_b128 v[110:113], v254 offset:1632
	buffer_load_dword v243, off, s[0:3], 0 offset:844
	buffer_load_dword v242, off, s[0:3], 0 offset:840
	;; [unrolled: 1-line block ×4, first 2 shown]
	s_waitcnt vmcnt(5) lgkmcnt(0)
	v_mul_f64 v[116:117], v[110:111], v[236:237]
	s_waitcnt vmcnt(4)
	v_fmac_f64_e32 v[116:117], v[112:113], v[238:239]
	v_add_f64 v[214:215], v[114:115], v[116:117]
	ds_read_b128 v[114:117], v254 offset:1648
	v_add_f64 v[254:255], v[2:3], v[246:247]
	buffer_load_dword v248, off, s[0:3], 0 offset:224
	buffer_load_dword v249, off, s[0:3], 0 offset:228
	;; [unrolled: 1-line block ×4, first 2 shown]
	v_add_f64 v[2:3], v[254:255], v[250:251]
	v_add_f64 v[0:1], v[2:3], v[0:1]
	v_mul_f64 v[2:3], v[120:121], v[4:5]
	v_fma_f64 v[2:3], v[118:119], v[128:129], -v[2:3]
	v_add_f64 v[0:1], v[0:1], v[2:3]
	v_accvgpr_read_b32 v2, a158
	v_accvgpr_read_b32 v3, a159
	v_mul_f64 v[2:3], v[8:9], v[2:3]
	v_fma_f64 v[2:3], v[6:7], v[122:123], -v[2:3]
	v_add_f64 v[0:1], v[0:1], v[2:3]
	v_mul_f64 v[2:3], v[12:13], v[130:131]
	v_fma_f64 v[2:3], v[10:11], v[146:147], -v[2:3]
	v_add_f64 v[0:1], v[0:1], v[2:3]
	;; [unrolled: 3-line block ×27, first 2 shown]
	s_waitcnt vmcnt(6) lgkmcnt(0)
	v_mul_f64 v[2:3], v[116:117], v[242:243]
	v_mul_f64 v[216:217], v[114:115], v[242:243]
	s_waitcnt vmcnt(4)
	v_fma_f64 v[2:3], v[114:115], v[244:245], -v[2:3]
	v_fmac_f64_e32 v[216:217], v[116:117], v[244:245]
	v_add_f64 v[0:1], v[0:1], v[2:3]
	v_accvgpr_read_b32 v255, a155
	v_add_f64 v[214:215], v[214:215], v[216:217]
	s_waitcnt vmcnt(2)
	v_add_f64 v[0:1], v[248:249], -v[0:1]
	v_cmp_lt_u32_e32 vcc, 12, v255
	s_waitcnt vmcnt(0)
	v_add_f64 v[2:3], v[246:247], -v[214:215]
	buffer_store_dword v1, off, s[0:3], 0 offset:228
	buffer_store_dword v0, off, s[0:3], 0 offset:224
	;; [unrolled: 1-line block ×4, first 2 shown]
	s_and_saveexec_b64 s[4:5], vcc
	s_cbranch_execz .LBB51_301
; %bb.300:
	v_accvgpr_read_b32 v0, a143
	buffer_load_dword v2, v0, s[0:3], 0 offen
	buffer_load_dword v3, v0, s[0:3], 0 offen offset:4
	buffer_load_dword v4, v0, s[0:3], 0 offen offset:8
	;; [unrolled: 1-line block ×3, first 2 shown]
	v_mov_b32_e32 v0, 0
	v_accvgpr_read_b32 v1, a156
	buffer_store_dword v0, off, s[0:3], 0 offset:208
	buffer_store_dword v0, off, s[0:3], 0 offset:212
	;; [unrolled: 1-line block ×4, first 2 shown]
	s_waitcnt vmcnt(4)
	ds_write_b128 v1, v[2:5]
.LBB51_301:
	s_or_b64 exec, exec, s[4:5]
	s_waitcnt lgkmcnt(0)
	; wave barrier
	s_waitcnt lgkmcnt(0)
	buffer_load_dword v54, off, s[0:3], 0 offset:224
	buffer_load_dword v55, off, s[0:3], 0 offset:228
	buffer_load_dword v56, off, s[0:3], 0 offset:232
	buffer_load_dword v57, off, s[0:3], 0 offset:236
	buffer_load_dword v58, off, s[0:3], 0 offset:240
	buffer_load_dword v59, off, s[0:3], 0 offset:244
	buffer_load_dword v60, off, s[0:3], 0 offset:248
	buffer_load_dword v61, off, s[0:3], 0 offset:252
	buffer_load_dword v66, off, s[0:3], 0 offset:264
	buffer_load_dword v67, off, s[0:3], 0 offset:268
	buffer_load_dword v79, off, s[0:3], 0 offset:300
	buffer_load_dword v78, off, s[0:3], 0 offset:296
	buffer_load_dword v81, off, s[0:3], 0 offset:292
	buffer_load_dword v80, off, s[0:3], 0 offset:288
	buffer_load_dword v71, off, s[0:3], 0 offset:284
	buffer_load_dword v70, off, s[0:3], 0 offset:280
	buffer_load_dword v91, off, s[0:3], 0 offset:332
	buffer_load_dword v90, off, s[0:3], 0 offset:328
	buffer_load_dword v93, off, s[0:3], 0 offset:324
	buffer_load_dword v92, off, s[0:3], 0 offset:320
	buffer_load_dword v83, off, s[0:3], 0 offset:316
	buffer_load_dword v82, off, s[0:3], 0 offset:312
	buffer_load_dword v103, off, s[0:3], 0 offset:364
	buffer_load_dword v102, off, s[0:3], 0 offset:360
	buffer_load_dword v104, off, s[0:3], 0 offset:352
	buffer_load_dword v95, off, s[0:3], 0 offset:348
	buffer_load_dword v94, off, s[0:3], 0 offset:344
	buffer_load_dword v107, off, s[0:3], 0 offset:380
	buffer_load_dword v106, off, s[0:3], 0 offset:376
	buffer_load_dword v68, off, s[0:3], 0 offset:256
	buffer_load_dword v69, off, s[0:3], 0 offset:260
	buffer_load_dword v73, off, s[0:3], 0 offset:276
	buffer_load_dword v72, off, s[0:3], 0 offset:272
	buffer_load_dword v85, off, s[0:3], 0 offset:308
	buffer_load_dword v84, off, s[0:3], 0 offset:304
	buffer_load_dword v97, off, s[0:3], 0 offset:340
	buffer_load_dword v96, off, s[0:3], 0 offset:336
	buffer_load_dword v105, off, s[0:3], 0 offset:356
	buffer_load_dword v4, off, s[0:3], 0 offset:392
	buffer_load_dword v0, off, s[0:3], 0 offset:384
	buffer_load_dword v1, off, s[0:3], 0 offset:388
	buffer_load_dword v5, off, s[0:3], 0 offset:396
	buffer_load_dword v109, off, s[0:3], 0 offset:372
	buffer_load_dword v108, off, s[0:3], 0 offset:368
	buffer_load_dword v123, off, s[0:3], 0 offset:428
	buffer_load_dword v122, off, s[0:3], 0 offset:424
	buffer_load_dword v125, off, s[0:3], 0 offset:420
	buffer_load_dword v124, off, s[0:3], 0 offset:416
	buffer_load_dword v127, off, s[0:3], 0 offset:412
	v_mov_b32_e32 v254, 0
	ds_read_b128 v[62:65], v254 offset:1040
	ds_read_b128 v[74:77], v254 offset:1056
	;; [unrolled: 1-line block ×11, first 2 shown]
	buffer_load_dword v126, off, s[0:3], 0 offset:408
	buffer_load_dword v143, off, s[0:3], 0 offset:404
	;; [unrolled: 1-line block ×75, first 2 shown]
	v_cmp_lt_u32_e32 vcc, 11, v255
	s_waitcnt vmcnt(62) lgkmcnt(9)
	v_mul_f64 v[6:7], v[74:75], v[60:61]
	v_fmac_f64_e32 v[6:7], v[76:77], v[58:59]
	s_waitcnt lgkmcnt(8)
	v_mul_f64 v[8:9], v[86:87], v[66:67]
	v_mul_f64 v[60:61], v[76:77], v[60:61]
	s_waitcnt lgkmcnt(6)
	v_mul_f64 v[12:13], v[110:111], v[78:79]
	v_fma_f64 v[218:219], v[74:75], v[58:59], -v[60:61]
	v_fmac_f64_e32 v[12:13], v[112:113], v[80:81]
	v_mul_f64 v[66:67], v[88:89], v[66:67]
	v_mul_f64 v[10:11], v[98:99], v[70:71]
	;; [unrolled: 1-line block ×3, first 2 shown]
	s_waitcnt lgkmcnt(4)
	v_mul_f64 v[16:17], v[214:215], v[90:91]
	v_mul_f64 v[78:79], v[112:113], v[78:79]
	v_fmac_f64_e32 v[16:17], v[216:217], v[92:93]
	v_fma_f64 v[252:253], v[110:111], v[80:81], -v[78:79]
	v_mul_f64 v[14:15], v[114:115], v[82:83]
	v_mul_f64 v[82:83], v[116:117], v[82:83]
	s_waitcnt lgkmcnt(2)
	v_mul_f64 v[20:21], v[240:241], v[102:103]
	v_mul_f64 v[90:91], v[216:217], v[90:91]
	v_fma_f64 v[214:215], v[214:215], v[92:93], -v[90:91]
	v_mul_f64 v[18:19], v[236:237], v[94:95]
	v_mul_f64 v[94:95], v[238:239], v[94:95]
	s_waitcnt lgkmcnt(1)
	v_mul_f64 v[22:23], v[244:245], v[106:107]
	v_mul_f64 v[102:103], v[242:243], v[102:103]
	v_fmac_f64_e32 v[8:9], v[88:89], v[68:69]
	v_fma_f64 v[220:221], v[86:87], v[68:69], -v[66:67]
	v_fmac_f64_e32 v[10:11], v[100:101], v[72:73]
	v_fma_f64 v[248:249], v[98:99], v[72:73], -v[70:71]
	;; [unrolled: 2-line block ×3, first 2 shown]
	v_fmac_f64_e32 v[18:19], v[238:239], v[96:97]
	v_fmac_f64_e32 v[20:21], v[242:243], v[104:105]
	v_fmac_f64_e32 v[22:23], v[246:247], v[108:109]
	v_fma_f64 v[216:217], v[236:237], v[96:97], -v[94:95]
	v_pk_mov_b32 v[2:3], v[0:1], v[0:1] op_sel:[0,1]
	v_mul_f64 v[0:1], v[62:63], v[56:57]
	v_fmac_f64_e32 v[0:1], v[64:65], v[54:55]
	v_add_f64 v[0:1], v[0:1], 0
	v_add_f64 v[0:1], v[0:1], v[6:7]
	;; [unrolled: 1-line block ×9, first 2 shown]
	ds_read_b128 v[6:9], v254 offset:1216
	s_waitcnt lgkmcnt(1)
	v_mul_f64 v[10:11], v[118:119], v[4:5]
	v_add_f64 v[0:1], v[0:1], v[22:23]
	v_fmac_f64_e32 v[10:11], v[120:121], v[2:3]
	v_add_f64 v[0:1], v[0:1], v[10:11]
	ds_read_b128 v[10:13], v254 offset:1232
	s_waitcnt lgkmcnt(1)
	v_mul_f64 v[14:15], v[6:7], v[126:127]
	v_fmac_f64_e32 v[14:15], v[8:9], v[142:143]
	v_add_f64 v[0:1], v[0:1], v[14:15]
	ds_read_b128 v[14:17], v254 offset:1248
	s_waitcnt lgkmcnt(1)
	v_mul_f64 v[18:19], v[10:11], v[122:123]
	;; [unrolled: 5-line block ×4, first 2 shown]
	v_fmac_f64_e32 v[26:27], v[20:21], v[130:131]
	v_add_f64 v[0:1], v[0:1], v[26:27]
	ds_read_b128 v[26:29], v254 offset:1296
	s_waitcnt vmcnt(58) lgkmcnt(1)
	v_mul_f64 v[30:31], v[22:23], v[154:155]
	s_waitcnt vmcnt(56)
	v_fmac_f64_e32 v[30:31], v[24:25], v[158:159]
	v_add_f64 v[0:1], v[0:1], v[30:31]
	ds_read_b128 v[30:33], v254 offset:1312
	s_waitcnt lgkmcnt(1)
	v_mul_f64 v[34:35], v[26:27], v[132:133]
	v_fmac_f64_e32 v[34:35], v[28:29], v[134:135]
	v_add_f64 v[0:1], v[0:1], v[34:35]
	ds_read_b128 v[34:37], v254 offset:1328
	s_waitcnt vmcnt(50) lgkmcnt(1)
	v_mul_f64 v[38:39], v[30:31], v[162:163]
	s_waitcnt vmcnt(48)
	v_fmac_f64_e32 v[38:39], v[32:33], v[166:167]
	v_add_f64 v[0:1], v[0:1], v[38:39]
	ds_read_b128 v[38:41], v254 offset:1344
	s_waitcnt lgkmcnt(1)
	v_mul_f64 v[42:43], v[34:35], v[136:137]
	;; [unrolled: 11-line block ×3, first 2 shown]
	buffer_load_dword v203, off, s[0:3], 0 offset:732
	buffer_load_dword v202, off, s[0:3], 0 offset:728
	;; [unrolled: 1-line block ×4, first 2 shown]
	v_fmac_f64_e32 v[50:51], v[44:45], v[144:145]
	v_add_f64 v[0:1], v[0:1], v[50:51]
	ds_read_b128 v[50:53], v254 offset:1392
	buffer_load_dword v206, off, s[0:3], 0 offset:744
	buffer_load_dword v208, off, s[0:3], 0 offset:736
	;; [unrolled: 1-line block ×20, first 2 shown]
	s_waitcnt vmcnt(58) lgkmcnt(1)
	v_mul_f64 v[210:211], v[46:47], v[178:179]
	s_waitcnt vmcnt(56)
	v_fmac_f64_e32 v[210:211], v[48:49], v[182:183]
	v_mul_f64 v[56:57], v[64:65], v[56:57]
	v_add_f64 v[0:1], v[0:1], v[210:211]
	v_fma_f64 v[210:211], v[62:63], v[54:55], -v[56:57]
	ds_read_b128 v[54:57], v254 offset:1408
	ds_read_b128 v[58:61], v254 offset:1424
	s_waitcnt lgkmcnt(2)
	v_mul_f64 v[62:63], v[50:51], v[148:149]
	v_fmac_f64_e32 v[62:63], v[52:53], v[152:153]
	v_add_f64 v[0:1], v[0:1], v[62:63]
	s_waitcnt vmcnt(50) lgkmcnt(1)
	v_mul_f64 v[62:63], v[54:55], v[186:187]
	s_waitcnt vmcnt(48)
	v_fmac_f64_e32 v[62:63], v[56:57], v[188:189]
	v_add_f64 v[0:1], v[0:1], v[62:63]
	s_waitcnt lgkmcnt(0)
	v_mul_f64 v[62:63], v[58:59], v[156:157]
	v_fmac_f64_e32 v[62:63], v[60:61], v[160:161]
	v_add_f64 v[0:1], v[0:1], v[62:63]
	ds_read_b128 v[62:65], v254 offset:1440
	ds_read_b128 v[66:69], v254 offset:1456
	;; [unrolled: 1-line block ×5, first 2 shown]
	s_waitcnt vmcnt(42) lgkmcnt(4)
	v_mul_f64 v[74:75], v[62:63], v[190:191]
	s_waitcnt vmcnt(40)
	v_fmac_f64_e32 v[74:75], v[64:65], v[192:193]
	v_add_f64 v[0:1], v[0:1], v[74:75]
	s_waitcnt lgkmcnt(3)
	v_mul_f64 v[74:75], v[66:67], v[164:165]
	v_fmac_f64_e32 v[74:75], v[68:69], v[168:169]
	v_add_f64 v[0:1], v[0:1], v[74:75]
	ds_read_b128 v[74:77], v254 offset:1488
	s_waitcnt vmcnt(34) lgkmcnt(3)
	v_mul_f64 v[86:87], v[70:71], v[194:195]
	s_waitcnt vmcnt(32)
	v_fmac_f64_e32 v[86:87], v[72:73], v[196:197]
	v_add_f64 v[0:1], v[0:1], v[86:87]
	ds_read_b128 v[90:93], v254 offset:1552
	s_waitcnt lgkmcnt(1)
	v_mul_f64 v[86:87], v[74:75], v[172:173]
	v_fmac_f64_e32 v[86:87], v[76:77], v[176:177]
	v_add_f64 v[0:1], v[0:1], v[86:87]
	s_waitcnt vmcnt(26)
	v_mul_f64 v[86:87], v[78:79], v[198:199]
	s_waitcnt vmcnt(24)
	v_fmac_f64_e32 v[86:87], v[80:81], v[200:201]
	v_add_f64 v[0:1], v[0:1], v[86:87]
	v_mul_f64 v[86:87], v[82:83], v[180:181]
	v_fmac_f64_e32 v[86:87], v[84:85], v[184:185]
	v_add_f64 v[0:1], v[0:1], v[86:87]
	ds_read_b128 v[86:89], v254 offset:1536
	ds_read_b128 v[94:97], v254 offset:1568
	v_accvgpr_write_b32 a159, v3
	v_accvgpr_write_b32 a158, v2
	v_fma_f64 v[2:3], v[240:241], v[104:105], -v[102:103]
	ds_read_b128 v[102:105], v254 offset:1600
	v_add_f64 v[210:211], v[210:211], 0
	v_add_f64 v[210:211], v[210:211], v[218:219]
	;; [unrolled: 1-line block ×9, first 2 shown]
	v_mul_f64 v[2:3], v[120:121], v[4:5]
	v_accvgpr_read_b32 v4, a158
	v_accvgpr_read_b32 v5, a159
	v_fma_f64 v[2:3], v[118:119], v[4:5], -v[2:3]
	s_waitcnt vmcnt(22) lgkmcnt(2)
	v_mul_f64 v[98:99], v[86:87], v[202:203]
	s_waitcnt vmcnt(20)
	v_fmac_f64_e32 v[98:99], v[88:89], v[204:205]
	v_add_f64 v[0:1], v[0:1], v[98:99]
	s_waitcnt vmcnt(17)
	v_mul_f64 v[98:99], v[90:91], v[206:207]
	s_waitcnt vmcnt(16)
	v_fmac_f64_e32 v[98:99], v[92:93], v[208:209]
	v_add_f64 v[0:1], v[0:1], v[98:99]
	ds_read_b128 v[98:101], v254 offset:1584
	s_waitcnt vmcnt(14) lgkmcnt(2)
	v_mul_f64 v[110:111], v[94:95], v[222:223]
	s_waitcnt vmcnt(12)
	v_fmac_f64_e32 v[110:111], v[96:97], v[226:227]
	v_add_f64 v[110:111], v[0:1], v[110:111]
	v_mul_f64 v[0:1], v[246:247], v[106:107]
	v_fma_f64 v[0:1], v[244:245], v[108:109], -v[0:1]
	ds_read_b128 v[106:109], v254 offset:1616
	buffer_load_dword v237, off, s[0:3], 0 offset:828
	buffer_load_dword v236, off, s[0:3], 0 offset:824
	;; [unrolled: 1-line block ×4, first 2 shown]
	s_waitcnt vmcnt(14) lgkmcnt(1)
	v_mul_f64 v[112:113], v[98:99], v[224:225]
	s_waitcnt vmcnt(12)
	v_fmac_f64_e32 v[112:113], v[100:101], v[228:229]
	v_add_f64 v[110:111], v[110:111], v[112:113]
	s_waitcnt vmcnt(9)
	v_mul_f64 v[112:113], v[102:103], v[232:233]
	s_waitcnt vmcnt(7)
	v_fmac_f64_e32 v[112:113], v[104:105], v[234:235]
	v_add_f64 v[110:111], v[110:111], v[112:113]
	s_waitcnt vmcnt(5) lgkmcnt(0)
	v_mul_f64 v[112:113], v[106:107], v[212:213]
	s_waitcnt vmcnt(4)
	v_fmac_f64_e32 v[112:113], v[108:109], v[230:231]
	v_add_f64 v[114:115], v[110:111], v[112:113]
	ds_read_b128 v[110:113], v254 offset:1632
	buffer_load_dword v242, off, s[0:3], 0 offset:840
	buffer_load_dword v243, off, s[0:3], 0 offset:844
	;; [unrolled: 1-line block ×4, first 2 shown]
	v_add_f64 v[0:1], v[252:253], v[0:1]
	v_add_f64 v[0:1], v[0:1], v[2:3]
	v_mul_f64 v[2:3], v[8:9], v[126:127]
	v_fma_f64 v[2:3], v[6:7], v[142:143], -v[2:3]
	v_add_f64 v[0:1], v[0:1], v[2:3]
	v_mul_f64 v[2:3], v[12:13], v[122:123]
	v_fma_f64 v[2:3], v[10:11], v[124:125], -v[2:3]
	;; [unrolled: 3-line block ×21, first 2 shown]
	v_add_f64 v[0:1], v[0:1], v[2:3]
	v_mul_f64 v[2:3], v[92:93], v[206:207]
	s_waitcnt vmcnt(6) lgkmcnt(0)
	v_mul_f64 v[116:117], v[110:111], v[236:237]
	v_fma_f64 v[2:3], v[90:91], v[208:209], -v[2:3]
	s_waitcnt vmcnt(4)
	v_fmac_f64_e32 v[116:117], v[112:113], v[238:239]
	v_add_f64 v[240:241], v[114:115], v[116:117]
	ds_read_b128 v[114:117], v254 offset:1648
	buffer_load_dword v248, off, s[0:3], 0 offset:208
	buffer_load_dword v249, off, s[0:3], 0 offset:212
	v_add_f64 v[0:1], v[0:1], v[2:3]
	v_mul_f64 v[2:3], v[96:97], v[222:223]
	v_fma_f64 v[2:3], v[94:95], v[226:227], -v[2:3]
	v_add_f64 v[0:1], v[0:1], v[2:3]
	v_mul_f64 v[2:3], v[100:101], v[224:225]
	s_waitcnt vmcnt(4) lgkmcnt(0)
	v_mul_f64 v[246:247], v[114:115], v[242:243]
	v_fma_f64 v[2:3], v[98:99], v[228:229], -v[2:3]
	s_waitcnt vmcnt(2)
	v_fmac_f64_e32 v[246:247], v[116:117], v[244:245]
	v_add_f64 v[240:241], v[240:241], v[246:247]
	buffer_load_dword v246, off, s[0:3], 0 offset:216
	buffer_load_dword v247, off, s[0:3], 0 offset:220
	v_add_f64 v[0:1], v[0:1], v[2:3]
	v_mul_f64 v[2:3], v[104:105], v[232:233]
	v_fma_f64 v[2:3], v[102:103], v[234:235], -v[2:3]
	v_add_f64 v[0:1], v[0:1], v[2:3]
	v_mul_f64 v[2:3], v[108:109], v[212:213]
	v_fma_f64 v[2:3], v[106:107], v[230:231], -v[2:3]
	;; [unrolled: 3-line block ×4, first 2 shown]
	v_add_f64 v[0:1], v[0:1], v[2:3]
	s_waitcnt vmcnt(2)
	v_add_f64 v[0:1], v[248:249], -v[0:1]
	s_waitcnt vmcnt(0)
	v_add_f64 v[2:3], v[246:247], -v[240:241]
	buffer_store_dword v1, off, s[0:3], 0 offset:212
	buffer_store_dword v0, off, s[0:3], 0 offset:208
	;; [unrolled: 1-line block ×4, first 2 shown]
	s_and_saveexec_b64 s[4:5], vcc
	s_cbranch_execz .LBB51_303
; %bb.302:
	v_accvgpr_read_b32 v0, a144
	buffer_load_dword v2, v0, s[0:3], 0 offen
	buffer_load_dword v3, v0, s[0:3], 0 offen offset:4
	buffer_load_dword v4, v0, s[0:3], 0 offen offset:8
	;; [unrolled: 1-line block ×3, first 2 shown]
	v_accvgpr_read_b32 v0, a156
	buffer_store_dword v254, off, s[0:3], 0 offset:192
	buffer_store_dword v254, off, s[0:3], 0 offset:196
	;; [unrolled: 1-line block ×4, first 2 shown]
	s_waitcnt vmcnt(4)
	ds_write_b128 v0, v[2:5]
.LBB51_303:
	s_or_b64 exec, exec, s[4:5]
	s_waitcnt lgkmcnt(0)
	; wave barrier
	s_waitcnt lgkmcnt(0)
	buffer_load_dword v56, off, s[0:3], 0 offset:208
	buffer_load_dword v57, off, s[0:3], 0 offset:212
	;; [unrolled: 1-line block ×42, first 2 shown]
	ds_read_b128 v[78:81], v254 offset:1024
	ds_read_b128 v[90:93], v254 offset:1040
	;; [unrolled: 1-line block ×10, first 2 shown]
	buffer_load_dword v1, off, s[0:3], 0 offset:356
	buffer_load_dword v0, off, s[0:3], 0 offset:352
	ds_read_b128 v[106:109], v254 offset:1184
	buffer_load_dword v3, off, s[0:3], 0 offset:412
	buffer_load_dword v2, off, s[0:3], 0 offset:408
	s_waitcnt vmcnt(38) lgkmcnt(9)
	v_mul_f64 v[4:5], v[90:91], v[62:63]
	v_fmac_f64_e32 v[4:5], v[92:93], v[54:55]
	s_waitcnt vmcnt(36) lgkmcnt(8)
	v_mul_f64 v[6:7], v[114:115], v[58:59]
	v_mul_f64 v[58:59], v[116:117], v[58:59]
	s_waitcnt vmcnt(34) lgkmcnt(6)
	v_mul_f64 v[10:11], v[236:237], v[70:71]
	v_mul_f64 v[70:71], v[238:239], v[70:71]
	s_waitcnt vmcnt(32)
	v_fmac_f64_e32 v[10:11], v[238:239], v[72:73]
	s_waitcnt vmcnt(30)
	v_mul_f64 v[8:9], v[214:215], v[64:65]
	s_waitcnt vmcnt(28) lgkmcnt(4)
	v_mul_f64 v[14:15], v[244:245], v[82:83]
	v_mul_f64 v[82:83], v[246:247], v[82:83]
	s_waitcnt vmcnt(26)
	v_fmac_f64_e32 v[14:15], v[246:247], v[84:85]
	v_fma_f64 v[246:247], v[244:245], v[84:85], -v[82:83]
	s_waitcnt vmcnt(24)
	v_mul_f64 v[12:13], v[240:241], v[74:75]
	v_mul_f64 v[74:75], v[242:243], v[74:75]
	s_waitcnt vmcnt(22) lgkmcnt(2)
	v_mul_f64 v[18:19], v[218:219], v[94:95]
	v_mul_f64 v[94:95], v[220:221], v[94:95]
	s_waitcnt vmcnt(19)
	v_mul_f64 v[16:17], v[248:249], v[86:87]
	v_mul_f64 v[86:87], v[250:251], v[86:87]
	s_waitcnt vmcnt(17) lgkmcnt(1)
	v_mul_f64 v[20:21], v[98:99], v[102:103]
	s_waitcnt vmcnt(15)
	v_fmac_f64_e32 v[6:7], v[116:117], v[68:69]
	s_waitcnt vmcnt(13)
	v_fmac_f64_e32 v[8:9], v[216:217], v[66:67]
	s_waitcnt vmcnt(11)
	v_fmac_f64_e32 v[12:13], v[242:243], v[76:77]
	v_fma_f64 v[240:241], v[240:241], v[76:77], -v[74:75]
	s_waitcnt vmcnt(9)
	v_fmac_f64_e32 v[16:17], v[250:251], v[88:89]
	s_waitcnt vmcnt(8)
	v_fmac_f64_e32 v[18:19], v[220:221], v[96:97]
	v_fma_f64 v[248:249], v[248:249], v[88:89], -v[86:87]
	v_fma_f64 v[218:219], v[218:219], v[96:97], -v[94:95]
	s_waitcnt vmcnt(2)
	v_fmac_f64_e32 v[20:21], v[100:101], v[0:1]
	v_mul_f64 v[100:101], v[100:101], v[102:103]
	s_waitcnt vmcnt(0)
	v_pk_mov_b32 v[22:23], v[2:3], v[2:3] op_sel:[0,1]
	buffer_load_dword v3, off, s[0:3], 0 offset:404
	buffer_load_dword v2, off, s[0:3], 0 offset:400
	;; [unrolled: 1-line block ×78, first 2 shown]
	ds_read_b128 v[118:121], v254 offset:1200
	v_accvgpr_write_b32 a159, v23
	v_accvgpr_write_b32 a158, v22
	v_fma_f64 v[250:251], v[98:99], v[0:1], -v[100:101]
	s_waitcnt vmcnt(62)
	v_pk_mov_b32 v[24:25], v[2:3], v[2:3] op_sel:[0,1]
	v_mul_f64 v[2:3], v[78:79], v[60:61]
	v_fmac_f64_e32 v[2:3], v[80:81], v[56:57]
	v_add_f64 v[2:3], v[2:3], 0
	v_add_f64 v[2:3], v[2:3], v[4:5]
	;; [unrolled: 1-line block ×9, first 2 shown]
	s_waitcnt lgkmcnt(1)
	v_mul_f64 v[8:9], v[106:107], v[110:111]
	v_add_f64 v[6:7], v[2:3], v[20:21]
	v_fmac_f64_e32 v[8:9], v[108:109], v[112:113]
	v_add_f64 v[10:11], v[6:7], v[8:9]
	ds_read_b128 v[6:9], v254 offset:1216
	s_waitcnt lgkmcnt(1)
	v_mul_f64 v[12:13], v[118:119], v[122:123]
	v_fmac_f64_e32 v[12:13], v[120:121], v[138:139]
	v_add_f64 v[14:15], v[10:11], v[12:13]
	ds_read_b128 v[10:13], v254 offset:1232
	s_waitcnt lgkmcnt(1)
	v_mul_f64 v[16:17], v[6:7], v[22:23]
	;; [unrolled: 5-line block ×3, first 2 shown]
	v_fmac_f64_e32 v[20:21], v[12:13], v[146:147]
	v_add_f64 v[22:23], v[18:19], v[20:21]
	ds_read_b128 v[18:21], v254 offset:1264
	v_accvgpr_write_b32 a161, v25
	v_accvgpr_write_b32 a160, v24
	s_waitcnt lgkmcnt(1)
	v_mul_f64 v[24:25], v[14:15], v[124:125]
	v_fmac_f64_e32 v[24:25], v[16:17], v[126:127]
	v_add_f64 v[26:27], v[22:23], v[24:25]
	ds_read_b128 v[22:25], v254 offset:1280
	s_waitcnt vmcnt(58) lgkmcnt(1)
	v_mul_f64 v[28:29], v[18:19], v[150:151]
	s_waitcnt vmcnt(56)
	v_fmac_f64_e32 v[28:29], v[20:21], v[154:155]
	v_add_f64 v[30:31], v[26:27], v[28:29]
	ds_read_b128 v[26:29], v254 offset:1296
	s_waitcnt lgkmcnt(1)
	v_mul_f64 v[32:33], v[22:23], v[128:129]
	v_fmac_f64_e32 v[32:33], v[24:25], v[130:131]
	v_add_f64 v[34:35], v[30:31], v[32:33]
	ds_read_b128 v[30:33], v254 offset:1312
	s_waitcnt vmcnt(50) lgkmcnt(1)
	v_mul_f64 v[36:37], v[26:27], v[158:159]
	s_waitcnt vmcnt(48)
	v_fmac_f64_e32 v[36:37], v[28:29], v[162:163]
	v_add_f64 v[38:39], v[34:35], v[36:37]
	ds_read_b128 v[34:37], v254 offset:1328
	s_waitcnt lgkmcnt(1)
	v_mul_f64 v[40:41], v[30:31], v[132:133]
	v_fmac_f64_e32 v[40:41], v[32:33], v[134:135]
	v_add_f64 v[42:43], v[38:39], v[40:41]
	ds_read_b128 v[38:41], v254 offset:1344
	s_waitcnt vmcnt(42) lgkmcnt(1)
	v_mul_f64 v[44:45], v[34:35], v[166:167]
	s_waitcnt vmcnt(40)
	v_fmac_f64_e32 v[44:45], v[36:37], v[170:171]
	v_add_f64 v[46:47], v[42:43], v[44:45]
	ds_read_b128 v[42:45], v254 offset:1360
	s_waitcnt lgkmcnt(1)
	v_mul_f64 v[48:49], v[38:39], v[136:137]
	v_fmac_f64_e32 v[48:49], v[40:41], v[140:141]
	v_add_f64 v[50:51], v[46:47], v[48:49]
	ds_read_b128 v[46:49], v254 offset:1376
	s_waitcnt vmcnt(34) lgkmcnt(1)
	v_mul_f64 v[52:53], v[42:43], v[174:175]
	s_waitcnt vmcnt(32)
	v_fmac_f64_e32 v[52:53], v[44:45], v[178:179]
	v_add_f64 v[104:105], v[50:51], v[52:53]
	ds_read_b128 v[50:53], v254 offset:1392
	buffer_load_dword v198, off, s[0:3], 0 offset:728
	buffer_load_dword v203, off, s[0:3], 0 offset:716
	;; [unrolled: 1-line block ×8, first 2 shown]
	s_waitcnt lgkmcnt(1)
	v_mul_f64 v[206:207], v[46:47], v[144:145]
	v_fmac_f64_e32 v[206:207], v[48:49], v[148:149]
	v_add_f64 v[104:105], v[104:105], v[206:207]
	buffer_load_dword v207, off, s[0:3], 0 offset:748
	buffer_load_dword v206, off, s[0:3], 0 offset:744
	;; [unrolled: 1-line block ×20, first 2 shown]
	v_mul_f64 v[60:61], v[80:81], v[60:61]
	s_waitcnt vmcnt(54) lgkmcnt(0)
	v_mul_f64 v[210:211], v[50:51], v[182:183]
	v_fma_f64 v[252:253], v[78:79], v[56:57], -v[60:61]
	v_mul_f64 v[56:57], v[92:93], v[62:63]
	v_fma_f64 v[2:3], v[90:91], v[54:55], -v[56:57]
	s_waitcnt vmcnt(52)
	v_fmac_f64_e32 v[210:211], v[52:53], v[184:185]
	ds_read_b128 v[54:57], v254 offset:1408
	v_add_f64 v[4:5], v[104:105], v[210:211]
	v_fma_f64 v[210:211], v[114:115], v[68:69], -v[58:59]
	ds_read_b128 v[58:61], v254 offset:1424
	v_mul_f64 v[62:63], v[216:217], v[64:65]
	v_fma_f64 v[214:215], v[214:215], v[66:67], -v[62:63]
	ds_read_b128 v[62:65], v254 offset:1440
	s_waitcnt lgkmcnt(2)
	v_mul_f64 v[68:69], v[54:55], v[152:153]
	v_fmac_f64_e32 v[68:69], v[56:57], v[156:157]
	s_waitcnt vmcnt(46) lgkmcnt(1)
	v_mul_f64 v[66:67], v[58:59], v[186:187]
	v_add_f64 v[4:5], v[4:5], v[68:69]
	s_waitcnt vmcnt(44)
	v_fmac_f64_e32 v[66:67], v[60:61], v[188:189]
	v_add_f64 v[4:5], v[4:5], v[66:67]
	v_fma_f64 v[216:217], v[236:237], v[72:73], -v[70:71]
	ds_read_b128 v[70:73], v254 offset:1472
	s_waitcnt lgkmcnt(1)
	v_mul_f64 v[66:67], v[62:63], v[160:161]
	v_fmac_f64_e32 v[66:67], v[64:65], v[164:165]
	v_add_f64 v[4:5], v[4:5], v[66:67]
	ds_read_b128 v[66:69], v254 offset:1456
	ds_read_b128 v[74:77], v254 offset:1488
	;; [unrolled: 1-line block ×5, first 2 shown]
	s_waitcnt vmcnt(38) lgkmcnt(4)
	v_mul_f64 v[78:79], v[66:67], v[190:191]
	s_waitcnt vmcnt(36)
	v_fmac_f64_e32 v[78:79], v[68:69], v[192:193]
	v_add_f64 v[4:5], v[4:5], v[78:79]
	v_mul_f64 v[78:79], v[70:71], v[168:169]
	v_fmac_f64_e32 v[78:79], v[72:73], v[172:173]
	v_add_f64 v[4:5], v[4:5], v[78:79]
	s_waitcnt vmcnt(30) lgkmcnt(3)
	v_mul_f64 v[78:79], v[74:75], v[194:195]
	s_waitcnt vmcnt(28)
	v_fmac_f64_e32 v[78:79], v[76:77], v[196:197]
	v_add_f64 v[4:5], v[4:5], v[78:79]
	ds_read_b128 v[78:81], v254 offset:1504
	ds_read_b128 v[98:101], v254 offset:1584
	s_waitcnt lgkmcnt(1)
	v_mul_f64 v[90:91], v[78:79], v[176:177]
	v_fmac_f64_e32 v[90:91], v[80:81], v[180:181]
	v_add_f64 v[4:5], v[4:5], v[90:91]
	s_waitcnt vmcnt(25)
	v_mul_f64 v[90:91], v[82:83], v[202:203]
	s_waitcnt vmcnt(23)
	v_fmac_f64_e32 v[90:91], v[84:85], v[204:205]
	v_add_f64 v[4:5], v[4:5], v[90:91]
	s_waitcnt vmcnt(21)
	v_mul_f64 v[90:91], v[86:87], v[198:199]
	s_waitcnt vmcnt(20)
	v_fmac_f64_e32 v[90:91], v[88:89], v[200:201]
	v_add_f64 v[4:5], v[4:5], v[90:91]
	ds_read_b128 v[90:93], v254 offset:1552
	s_waitcnt vmcnt(18) lgkmcnt(0)
	v_mul_f64 v[104:105], v[90:91], v[206:207]
	s_waitcnt vmcnt(16)
	v_fmac_f64_e32 v[104:105], v[92:93], v[208:209]
	v_add_f64 v[0:1], v[4:5], v[104:105]
	s_waitcnt vmcnt(14)
	v_mul_f64 v[4:5], v[94:95], v[222:223]
	s_waitcnt vmcnt(12)
	v_fmac_f64_e32 v[4:5], v[96:97], v[224:225]
	ds_read_b128 v[102:105], v254 offset:1600
	v_add_f64 v[4:5], v[0:1], v[4:5]
	v_mul_f64 v[0:1], v[108:109], v[110:111]
	v_fma_f64 v[0:1], v[106:107], v[112:113], -v[0:1]
	ds_read_b128 v[106:109], v254 offset:1616
	buffer_load_dword v236, off, s[0:3], 0 offset:824
	buffer_load_dword v237, off, s[0:3], 0 offset:828
	;; [unrolled: 1-line block ×4, first 2 shown]
	s_waitcnt vmcnt(13)
	v_mul_f64 v[110:111], v[98:99], v[228:229]
	s_waitcnt vmcnt(11)
	v_fmac_f64_e32 v[110:111], v[100:101], v[232:233]
	v_add_f64 v[4:5], v[4:5], v[110:111]
	s_waitcnt vmcnt(9) lgkmcnt(1)
	v_mul_f64 v[110:111], v[102:103], v[212:213]
	s_waitcnt vmcnt(8)
	v_fmac_f64_e32 v[110:111], v[104:105], v[226:227]
	v_add_f64 v[4:5], v[4:5], v[110:111]
	s_waitcnt vmcnt(6) lgkmcnt(0)
	v_mul_f64 v[110:111], v[106:107], v[230:231]
	s_waitcnt vmcnt(4)
	v_fmac_f64_e32 v[110:111], v[108:109], v[234:235]
	v_add_f64 v[4:5], v[4:5], v[110:111]
	ds_read_b128 v[110:113], v254 offset:1632
	buffer_load_dword v243, off, s[0:3], 0 offset:844
	buffer_load_dword v242, off, s[0:3], 0 offset:840
	;; [unrolled: 1-line block ×4, first 2 shown]
	s_waitcnt vmcnt(6) lgkmcnt(0)
	v_mul_f64 v[114:115], v[110:111], v[236:237]
	s_waitcnt vmcnt(4)
	v_fmac_f64_e32 v[114:115], v[112:113], v[238:239]
	v_add_f64 v[4:5], v[4:5], v[114:115]
	ds_read_b128 v[114:117], v254 offset:1648
	s_waitcnt vmcnt(2) lgkmcnt(0)
	v_mul_f64 v[220:221], v[114:115], v[242:243]
	s_waitcnt vmcnt(0)
	v_fmac_f64_e32 v[220:221], v[116:117], v[244:245]
	v_add_f64 v[4:5], v[4:5], v[220:221]
	v_add_f64 v[220:221], v[252:253], 0
	;; [unrolled: 1-line block ×9, first 2 shown]
	buffer_load_dword v248, off, s[0:3], 0 offset:192
	buffer_load_dword v249, off, s[0:3], 0 offset:196
	;; [unrolled: 1-line block ×4, first 2 shown]
	v_add_f64 v[254:255], v[2:3], v[218:219]
	v_add_f64 v[2:3], v[254:255], v[250:251]
	;; [unrolled: 1-line block ×3, first 2 shown]
	v_mul_f64 v[2:3], v[120:121], v[122:123]
	v_fma_f64 v[2:3], v[118:119], v[138:139], -v[2:3]
	v_add_f64 v[0:1], v[0:1], v[2:3]
	v_accvgpr_read_b32 v2, a158
	v_accvgpr_read_b32 v3, a159
	v_mul_f64 v[2:3], v[8:9], v[2:3]
	v_accvgpr_read_b32 v8, a160
	v_accvgpr_read_b32 v9, a161
	v_fma_f64 v[2:3], v[6:7], v[8:9], -v[2:3]
	v_add_f64 v[0:1], v[0:1], v[2:3]
	v_mul_f64 v[2:3], v[12:13], v[142:143]
	v_fma_f64 v[2:3], v[10:11], v[146:147], -v[2:3]
	v_add_f64 v[0:1], v[0:1], v[2:3]
	v_mul_f64 v[2:3], v[16:17], v[124:125]
	;; [unrolled: 3-line block ×27, first 2 shown]
	v_fma_f64 v[2:3], v[114:115], v[244:245], -v[2:3]
	v_add_f64 v[0:1], v[0:1], v[2:3]
	v_accvgpr_read_b32 v255, a155
	s_waitcnt vmcnt(2)
	v_add_f64 v[0:1], v[248:249], -v[0:1]
	v_cmp_lt_u32_e32 vcc, 10, v255
	s_waitcnt vmcnt(0)
	v_add_f64 v[2:3], v[246:247], -v[4:5]
	buffer_store_dword v1, off, s[0:3], 0 offset:196
	buffer_store_dword v0, off, s[0:3], 0 offset:192
	;; [unrolled: 1-line block ×4, first 2 shown]
	s_and_saveexec_b64 s[4:5], vcc
	s_cbranch_execz .LBB51_305
; %bb.304:
	v_accvgpr_read_b32 v0, a145
	buffer_load_dword v2, v0, s[0:3], 0 offen
	buffer_load_dword v3, v0, s[0:3], 0 offen offset:4
	buffer_load_dword v4, v0, s[0:3], 0 offen offset:8
	;; [unrolled: 1-line block ×3, first 2 shown]
	v_mov_b32_e32 v0, 0
	v_accvgpr_read_b32 v1, a156
	buffer_store_dword v0, off, s[0:3], 0 offset:176
	buffer_store_dword v0, off, s[0:3], 0 offset:180
	;; [unrolled: 1-line block ×4, first 2 shown]
	s_waitcnt vmcnt(4)
	ds_write_b128 v1, v[2:5]
.LBB51_305:
	s_or_b64 exec, exec, s[4:5]
	s_waitcnt lgkmcnt(0)
	; wave barrier
	s_waitcnt lgkmcnt(0)
	buffer_load_dword v54, off, s[0:3], 0 offset:192
	buffer_load_dword v55, off, s[0:3], 0 offset:196
	;; [unrolled: 1-line block ×46, first 2 shown]
	v_mov_b32_e32 v254, 0
	v_cmp_lt_u32_e32 vcc, 9, v255
	s_waitcnt vmcnt(0)
	v_pk_mov_b32 v[20:21], v[0:1], v[0:1] op_sel:[0,1]
	buffer_load_dword v1, off, s[0:3], 0 offset:388
	buffer_load_dword v0, off, s[0:3], 0 offset:384
	buffer_load_dword v107, off, s[0:3], 0 offset:380
	ds_read_b128 v[94:97], v254 offset:1008
	ds_read_b128 v[108:111], v254 offset:1024
	;; [unrolled: 1-line block ×11, first 2 shown]
	buffer_load_dword v106, off, s[0:3], 0 offset:376
	buffer_load_dword v211, off, s[0:3], 0 offset:372
	;; [unrolled: 1-line block ×75, first 2 shown]
	s_waitcnt lgkmcnt(9)
	v_mul_f64 v[2:3], v[108:109], v[116:117]
	s_waitcnt lgkmcnt(8)
	v_mul_f64 v[4:5], v[112:113], v[60:61]
	v_fmac_f64_e32 v[2:3], v[110:111], v[58:59]
	s_waitcnt lgkmcnt(7)
	v_mul_f64 v[6:7], v[214:215], v[68:69]
	v_fmac_f64_e32 v[4:5], v[114:115], v[84:85]
	;; [unrolled: 3-line block ×5, first 2 shown]
	ds_read_b128 v[62:65], v254 offset:1184
	ds_read_b128 v[118:121], v254 offset:1200
	s_waitcnt lgkmcnt(5)
	v_mul_f64 v[14:15], v[244:245], v[78:79]
	v_fmac_f64_e32 v[12:13], v[242:243], v[76:77]
	s_waitcnt lgkmcnt(4)
	v_mul_f64 v[16:17], v[248:249], v[86:87]
	v_fmac_f64_e32 v[14:15], v[246:247], v[80:81]
	;; [unrolled: 3-line block ×3, first 2 shown]
	v_fmac_f64_e32 v[18:19], v[234:235], v[92:93]
	v_accvgpr_write_b32 a159, v21
	v_accvgpr_write_b32 a158, v20
	v_mul_f64 v[74:75], v[242:243], v[74:75]
	v_fma_f64 v[240:241], v[240:241], v[76:77], -v[74:75]
	v_mul_f64 v[78:79], v[246:247], v[78:79]
	v_fma_f64 v[246:247], v[244:245], v[80:81], -v[78:79]
	;; [unrolled: 2-line block ×4, first 2 shown]
	s_waitcnt vmcnt(62)
	v_pk_mov_b32 v[22:23], v[0:1], v[0:1] op_sel:[0,1]
	v_mul_f64 v[0:1], v[94:95], v[56:57]
	v_fmac_f64_e32 v[0:1], v[96:97], v[54:55]
	v_add_f64 v[0:1], v[0:1], 0
	v_add_f64 v[0:1], v[0:1], v[2:3]
	;; [unrolled: 1-line block ×9, first 2 shown]
	s_waitcnt lgkmcnt(2)
	v_mul_f64 v[2:3], v[98:99], v[102:103]
	v_add_f64 v[0:1], v[0:1], v[18:19]
	v_fmac_f64_e32 v[2:3], v[100:101], v[104:105]
	s_waitcnt lgkmcnt(1)
	v_mul_f64 v[6:7], v[62:63], v[106:107]
	v_add_f64 v[0:1], v[0:1], v[2:3]
	v_fmac_f64_e32 v[6:7], v[64:65], v[210:211]
	s_waitcnt lgkmcnt(0)
	v_mul_f64 v[10:11], v[118:119], v[20:21]
	v_add_f64 v[0:1], v[0:1], v[6:7]
	ds_read_b128 v[6:9], v254 offset:1216
	v_fmac_f64_e32 v[10:11], v[120:121], v[22:23]
	v_add_f64 v[0:1], v[0:1], v[10:11]
	ds_read_b128 v[10:13], v254 offset:1232
	v_accvgpr_write_b32 a161, v23
	s_waitcnt lgkmcnt(1)
	v_mul_f64 v[14:15], v[6:7], v[138:139]
	v_fmac_f64_e32 v[14:15], v[8:9], v[142:143]
	v_add_f64 v[0:1], v[0:1], v[14:15]
	s_waitcnt lgkmcnt(0)
	v_mul_f64 v[18:19], v[10:11], v[122:123]
	ds_read_b128 v[14:17], v254 offset:1248
	v_fmac_f64_e32 v[18:19], v[12:13], v[124:125]
	v_add_f64 v[0:1], v[0:1], v[18:19]
	ds_read_b128 v[18:21], v254 offset:1264
	v_accvgpr_write_b32 a160, v22
	s_waitcnt vmcnt(58) lgkmcnt(1)
	v_mul_f64 v[22:23], v[14:15], v[146:147]
	s_waitcnt vmcnt(56)
	v_fmac_f64_e32 v[22:23], v[16:17], v[150:151]
	v_add_f64 v[0:1], v[0:1], v[22:23]
	s_waitcnt lgkmcnt(0)
	v_mul_f64 v[26:27], v[18:19], v[126:127]
	ds_read_b128 v[22:25], v254 offset:1280
	v_fmac_f64_e32 v[26:27], v[20:21], v[128:129]
	v_add_f64 v[0:1], v[0:1], v[26:27]
	ds_read_b128 v[26:29], v254 offset:1296
	v_mul_f64 v[56:57], v[96:97], v[56:57]
	s_waitcnt vmcnt(50) lgkmcnt(1)
	v_mul_f64 v[30:31], v[22:23], v[154:155]
	s_waitcnt vmcnt(48)
	v_fmac_f64_e32 v[30:31], v[24:25], v[158:159]
	v_add_f64 v[0:1], v[0:1], v[30:31]
	s_waitcnt lgkmcnt(0)
	v_mul_f64 v[34:35], v[26:27], v[130:131]
	ds_read_b128 v[30:33], v254 offset:1312
	v_fmac_f64_e32 v[34:35], v[28:29], v[132:133]
	v_add_f64 v[0:1], v[0:1], v[34:35]
	ds_read_b128 v[34:37], v254 offset:1328
	v_fma_f64 v[2:3], v[94:95], v[54:55], -v[56:57]
	s_waitcnt vmcnt(42) lgkmcnt(1)
	v_mul_f64 v[38:39], v[30:31], v[162:163]
	s_waitcnt vmcnt(40)
	v_fmac_f64_e32 v[38:39], v[32:33], v[166:167]
	v_add_f64 v[0:1], v[0:1], v[38:39]
	s_waitcnt lgkmcnt(0)
	v_mul_f64 v[42:43], v[34:35], v[134:135]
	ds_read_b128 v[38:41], v254 offset:1344
	v_fmac_f64_e32 v[42:43], v[36:37], v[136:137]
	v_add_f64 v[0:1], v[0:1], v[42:43]
	ds_read_b128 v[42:45], v254 offset:1360
	v_mul_f64 v[94:95], v[110:111], v[116:117]
	s_waitcnt vmcnt(34) lgkmcnt(1)
	v_mul_f64 v[46:47], v[38:39], v[170:171]
	s_waitcnt vmcnt(32)
	v_fmac_f64_e32 v[46:47], v[40:41], v[174:175]
	v_add_f64 v[0:1], v[0:1], v[46:47]
	s_waitcnt lgkmcnt(0)
	v_mul_f64 v[50:51], v[42:43], v[140:141]
	v_fmac_f64_e32 v[50:51], v[44:45], v[144:145]
	ds_read_b128 v[46:49], v254 offset:1376
	v_add_f64 v[0:1], v[0:1], v[50:51]
	ds_read_b128 v[50:53], v254 offset:1392
	buffer_load_dword v195, off, s[0:3], 0 offset:700
	buffer_load_dword v194, off, s[0:3], 0 offset:696
	;; [unrolled: 1-line block ×8, first 2 shown]
	s_waitcnt vmcnt(34) lgkmcnt(1)
	v_mul_f64 v[198:199], v[46:47], v[178:179]
	s_waitcnt vmcnt(32)
	v_fmac_f64_e32 v[198:199], v[48:49], v[180:181]
	v_add_f64 v[0:1], v[0:1], v[198:199]
	buffer_load_dword v199, off, s[0:3], 0 offset:748
	buffer_load_dword v205, off, s[0:3], 0 offset:732
	;; [unrolled: 1-line block ×8, first 2 shown]
	ds_read_b128 v[54:57], v254 offset:1408
	buffer_load_dword v213, off, s[0:3], 0 offset:764
	buffer_load_dword v212, off, s[0:3], 0 offset:760
	;; [unrolled: 1-line block ×12, first 2 shown]
	s_waitcnt lgkmcnt(1)
	v_mul_f64 v[4:5], v[50:51], v[148:149]
	v_fma_f64 v[94:95], v[108:109], v[58:59], -v[94:95]
	v_mul_f64 v[58:59], v[114:115], v[60:61]
	v_fma_f64 v[96:97], v[112:113], v[84:85], -v[58:59]
	v_fmac_f64_e32 v[4:5], v[52:53], v[152:153]
	s_waitcnt vmcnt(46) lgkmcnt(0)
	v_mul_f64 v[58:59], v[54:55], v[182:183]
	v_add_f64 v[0:1], v[0:1], v[4:5]
	v_mul_f64 v[4:5], v[216:217], v[68:69]
	s_waitcnt vmcnt(44)
	v_fmac_f64_e32 v[58:59], v[56:57], v[184:185]
	v_fma_f64 v[4:5], v[214:215], v[82:83], -v[4:5]
	buffer_load_dword v214, off, s[0:3], 0 offset:808
	buffer_load_dword v216, off, s[0:3], 0 offset:800
	;; [unrolled: 1-line block ×4, first 2 shown]
	v_add_f64 v[0:1], v[0:1], v[58:59]
	ds_read_b128 v[58:61], v254 offset:1424
	v_mul_f64 v[68:69], v[220:221], v[252:253]
	v_fma_f64 v[252:253], v[218:219], v[66:67], -v[68:69]
	ds_read_b128 v[218:221], v254 offset:1440
	v_mul_f64 v[66:67], v[238:239], v[70:71]
	v_fma_f64 v[108:109], v[236:237], v[72:73], -v[66:67]
	ds_read_b128 v[66:69], v254 offset:1456
	ds_read_b128 v[74:77], v254 offset:1488
	s_waitcnt lgkmcnt(3)
	v_mul_f64 v[82:83], v[58:59], v[156:157]
	v_fmac_f64_e32 v[82:83], v[60:61], v[160:161]
	s_waitcnt vmcnt(42) lgkmcnt(2)
	v_mul_f64 v[70:71], v[218:219], v[186:187]
	v_add_f64 v[0:1], v[0:1], v[82:83]
	s_waitcnt vmcnt(40)
	v_fmac_f64_e32 v[70:71], v[220:221], v[188:189]
	v_add_f64 v[0:1], v[0:1], v[70:71]
	s_waitcnt lgkmcnt(1)
	v_mul_f64 v[70:71], v[66:67], v[164:165]
	v_fmac_f64_e32 v[70:71], v[68:69], v[168:169]
	v_add_f64 v[0:1], v[0:1], v[70:71]
	ds_read_b128 v[70:73], v254 offset:1472
	ds_read_b128 v[78:81], v254 offset:1504
	;; [unrolled: 1-line block ×4, first 2 shown]
	v_mul_f64 v[100:101], v[100:101], v[102:103]
	s_waitcnt vmcnt(34) lgkmcnt(3)
	v_mul_f64 v[82:83], v[70:71], v[190:191]
	s_waitcnt vmcnt(32)
	v_fmac_f64_e32 v[82:83], v[72:73], v[192:193]
	v_add_f64 v[0:1], v[0:1], v[82:83]
	v_mul_f64 v[82:83], v[74:75], v[172:173]
	v_fmac_f64_e32 v[82:83], v[76:77], v[176:177]
	v_add_f64 v[0:1], v[0:1], v[82:83]
	v_fma_f64 v[236:237], v[98:99], v[104:105], -v[100:101]
	ds_read_b128 v[98:101], v254 offset:1584
	ds_read_b128 v[102:105], v254 offset:1600
	v_mul_f64 v[64:65], v[64:65], v[106:107]
	v_fma_f64 v[62:63], v[62:63], v[210:211], -v[64:65]
	v_accvgpr_write_b32 a163, v63
	v_accvgpr_write_b32 a162, v62
	v_add_f64 v[2:3], v[2:3], 0
	ds_read_b128 v[86:89], v254 offset:1536
	v_add_f64 v[2:3], v[2:3], v[94:95]
	v_add_f64 v[2:3], v[2:3], v[96:97]
	;; [unrolled: 1-line block ×9, first 2 shown]
	v_accvgpr_read_b32 v4, a158
	v_add_f64 v[252:253], v[2:3], v[236:237]
	v_accvgpr_read_b32 v2, a162
	v_accvgpr_read_b32 v5, a159
	;; [unrolled: 1-line block ×4, first 2 shown]
	v_mul_f64 v[4:5], v[120:121], v[4:5]
	v_accvgpr_read_b32 v95, a161
	v_add_f64 v[2:3], v[252:253], v[2:3]
	v_fma_f64 v[4:5], v[118:119], v[94:95], -v[4:5]
	v_add_f64 v[2:3], v[2:3], v[4:5]
	s_waitcnt vmcnt(30) lgkmcnt(5)
	v_mul_f64 v[82:83], v[78:79], v[194:195]
	v_mul_f64 v[4:5], v[8:9], v[138:139]
	s_waitcnt vmcnt(28)
	v_fmac_f64_e32 v[82:83], v[80:81], v[196:197]
	v_add_f64 v[0:1], v[0:1], v[82:83]
	ds_read_b128 v[82:85], v254 offset:1520
	s_waitcnt vmcnt(9) lgkmcnt(3)
	v_mul_f64 v[62:63], v[98:99], v[224:225]
	s_waitcnt vmcnt(8)
	v_fmac_f64_e32 v[62:63], v[100:101], v[226:227]
	v_fma_f64 v[4:5], v[6:7], v[142:143], -v[4:5]
	v_add_f64 v[2:3], v[2:3], v[4:5]
	s_waitcnt lgkmcnt(0)
	v_mul_f64 v[110:111], v[82:83], v[200:201]
	v_fmac_f64_e32 v[110:111], v[84:85], v[202:203]
	v_add_f64 v[0:1], v[0:1], v[110:111]
	v_mul_f64 v[110:111], v[86:87], v[204:205]
	v_fmac_f64_e32 v[110:111], v[88:89], v[208:209]
	v_add_f64 v[0:1], v[0:1], v[110:111]
	;; [unrolled: 3-line block ×4, first 2 shown]
	v_add_f64 v[0:1], v[0:1], v[62:63]
	s_waitcnt vmcnt(6)
	v_mul_f64 v[62:63], v[102:103], v[228:229]
	s_waitcnt vmcnt(4)
	v_fmac_f64_e32 v[62:63], v[104:105], v[230:231]
	v_add_f64 v[0:1], v[0:1], v[62:63]
	ds_read_b128 v[62:65], v254 offset:1616
	buffer_load_dword v211, off, s[0:3], 0 offset:828
	buffer_load_dword v210, off, s[0:3], 0 offset:824
	;; [unrolled: 1-line block ×4, first 2 shown]
	v_mul_f64 v[4:5], v[12:13], v[122:123]
	v_fma_f64 v[4:5], v[10:11], v[124:125], -v[4:5]
	v_add_f64 v[2:3], v[2:3], v[4:5]
	s_waitcnt vmcnt(5) lgkmcnt(0)
	v_mul_f64 v[110:111], v[62:63], v[214:215]
	s_waitcnt vmcnt(4)
	v_fmac_f64_e32 v[110:111], v[64:65], v[216:217]
	v_add_f64 v[0:1], v[0:1], v[110:111]
	ds_read_b128 v[110:113], v254 offset:1632
	buffer_load_dword v242, off, s[0:3], 0 offset:840
	buffer_load_dword v243, off, s[0:3], 0 offset:844
	;; [unrolled: 1-line block ×4, first 2 shown]
	v_mul_f64 v[4:5], v[16:17], v[146:147]
	v_fma_f64 v[4:5], v[14:15], v[150:151], -v[4:5]
	v_add_f64 v[2:3], v[2:3], v[4:5]
	v_mul_f64 v[4:5], v[20:21], v[126:127]
	v_fma_f64 v[4:5], v[18:19], v[128:129], -v[4:5]
	v_add_f64 v[2:3], v[2:3], v[4:5]
	v_mul_f64 v[4:5], v[24:25], v[154:155]
	v_fma_f64 v[4:5], v[22:23], v[158:159], -v[4:5]
	v_add_f64 v[2:3], v[2:3], v[4:5]
	v_mul_f64 v[4:5], v[28:29], v[130:131]
	v_fma_f64 v[4:5], v[26:27], v[132:133], -v[4:5]
	v_add_f64 v[2:3], v[2:3], v[4:5]
	v_mul_f64 v[4:5], v[32:33], v[162:163]
	v_fma_f64 v[4:5], v[30:31], v[166:167], -v[4:5]
	v_add_f64 v[2:3], v[2:3], v[4:5]
	v_mul_f64 v[4:5], v[36:37], v[134:135]
	v_fma_f64 v[4:5], v[34:35], v[136:137], -v[4:5]
	v_add_f64 v[2:3], v[2:3], v[4:5]
	v_mul_f64 v[4:5], v[40:41], v[170:171]
	v_fma_f64 v[4:5], v[38:39], v[174:175], -v[4:5]
	v_add_f64 v[2:3], v[2:3], v[4:5]
	v_mul_f64 v[4:5], v[44:45], v[140:141]
	v_fma_f64 v[4:5], v[42:43], v[144:145], -v[4:5]
	v_add_f64 v[2:3], v[2:3], v[4:5]
	v_mul_f64 v[4:5], v[48:49], v[178:179]
	v_fma_f64 v[4:5], v[46:47], v[180:181], -v[4:5]
	v_add_f64 v[2:3], v[2:3], v[4:5]
	v_mul_f64 v[4:5], v[52:53], v[148:149]
	v_fma_f64 v[4:5], v[50:51], v[152:153], -v[4:5]
	v_add_f64 v[2:3], v[2:3], v[4:5]
	v_mul_f64 v[4:5], v[56:57], v[182:183]
	v_fma_f64 v[4:5], v[54:55], v[184:185], -v[4:5]
	v_add_f64 v[2:3], v[2:3], v[4:5]
	v_mul_f64 v[4:5], v[60:61], v[156:157]
	v_fma_f64 v[4:5], v[58:59], v[160:161], -v[4:5]
	v_add_f64 v[2:3], v[2:3], v[4:5]
	v_mul_f64 v[4:5], v[220:221], v[186:187]
	v_fma_f64 v[4:5], v[218:219], v[188:189], -v[4:5]
	v_add_f64 v[2:3], v[2:3], v[4:5]
	v_mul_f64 v[4:5], v[68:69], v[164:165]
	v_fma_f64 v[4:5], v[66:67], v[168:169], -v[4:5]
	v_add_f64 v[2:3], v[2:3], v[4:5]
	v_mul_f64 v[4:5], v[72:73], v[190:191]
	v_fma_f64 v[4:5], v[70:71], v[192:193], -v[4:5]
	v_add_f64 v[2:3], v[2:3], v[4:5]
	v_mul_f64 v[4:5], v[76:77], v[172:173]
	v_fma_f64 v[4:5], v[74:75], v[176:177], -v[4:5]
	v_add_f64 v[2:3], v[2:3], v[4:5]
	v_mul_f64 v[4:5], v[80:81], v[194:195]
	v_fma_f64 v[4:5], v[78:79], v[196:197], -v[4:5]
	v_add_f64 v[2:3], v[2:3], v[4:5]
	v_mul_f64 v[4:5], v[84:85], v[200:201]
	v_fma_f64 v[4:5], v[82:83], v[202:203], -v[4:5]
	v_add_f64 v[2:3], v[2:3], v[4:5]
	v_mul_f64 v[4:5], v[88:89], v[204:205]
	v_fma_f64 v[4:5], v[86:87], v[208:209], -v[4:5]
	v_add_f64 v[2:3], v[2:3], v[4:5]
	v_mul_f64 v[4:5], v[92:93], v[198:199]
	v_fma_f64 v[4:5], v[90:91], v[206:207], -v[4:5]
	v_add_f64 v[2:3], v[2:3], v[4:5]
	v_mul_f64 v[4:5], v[234:235], v[212:213]
	v_fma_f64 v[4:5], v[232:233], v[222:223], -v[4:5]
	v_add_f64 v[2:3], v[2:3], v[4:5]
	v_mul_f64 v[4:5], v[100:101], v[224:225]
	v_fma_f64 v[4:5], v[98:99], v[226:227], -v[4:5]
	v_add_f64 v[2:3], v[2:3], v[4:5]
	v_mul_f64 v[4:5], v[104:105], v[228:229]
	v_fma_f64 v[4:5], v[102:103], v[230:231], -v[4:5]
	v_add_f64 v[2:3], v[2:3], v[4:5]
	s_waitcnt vmcnt(6) lgkmcnt(0)
	v_mul_f64 v[114:115], v[110:111], v[210:211]
	v_mul_f64 v[4:5], v[64:65], v[214:215]
	s_waitcnt vmcnt(4)
	v_fmac_f64_e32 v[114:115], v[112:113], v[238:239]
	v_add_f64 v[0:1], v[0:1], v[114:115]
	ds_read_b128 v[114:117], v254 offset:1648
	buffer_load_dword v248, off, s[0:3], 0 offset:176
	buffer_load_dword v249, off, s[0:3], 0 offset:180
	;; [unrolled: 1-line block ×4, first 2 shown]
	v_fma_f64 v[4:5], v[62:63], v[216:217], -v[4:5]
	v_add_f64 v[2:3], v[2:3], v[4:5]
	v_mul_f64 v[4:5], v[112:113], v[210:211]
	v_fma_f64 v[4:5], v[110:111], v[238:239], -v[4:5]
	v_add_f64 v[2:3], v[2:3], v[4:5]
	s_waitcnt vmcnt(6) lgkmcnt(0)
	v_mul_f64 v[4:5], v[116:117], v[242:243]
	v_mul_f64 v[106:107], v[114:115], v[242:243]
	s_waitcnt vmcnt(4)
	v_fma_f64 v[4:5], v[114:115], v[244:245], -v[4:5]
	v_fmac_f64_e32 v[106:107], v[116:117], v[244:245]
	v_add_f64 v[2:3], v[2:3], v[4:5]
	v_add_f64 v[0:1], v[0:1], v[106:107]
	s_waitcnt vmcnt(2)
	v_add_f64 v[2:3], v[248:249], -v[2:3]
	s_waitcnt vmcnt(0)
	v_add_f64 v[0:1], v[246:247], -v[0:1]
	buffer_store_dword v3, off, s[0:3], 0 offset:180
	buffer_store_dword v2, off, s[0:3], 0 offset:176
	;; [unrolled: 1-line block ×4, first 2 shown]
	s_and_saveexec_b64 s[4:5], vcc
	s_cbranch_execz .LBB51_307
; %bb.306:
	v_accvgpr_read_b32 v0, a146
	buffer_load_dword v2, v0, s[0:3], 0 offen
	buffer_load_dword v3, v0, s[0:3], 0 offen offset:4
	buffer_load_dword v4, v0, s[0:3], 0 offen offset:8
	;; [unrolled: 1-line block ×3, first 2 shown]
	v_accvgpr_read_b32 v0, a156
	buffer_store_dword v254, off, s[0:3], 0 offset:160
	buffer_store_dword v254, off, s[0:3], 0 offset:164
	;; [unrolled: 1-line block ×4, first 2 shown]
	s_waitcnt vmcnt(4)
	ds_write_b128 v0, v[2:5]
.LBB51_307:
	s_or_b64 exec, exec, s[4:5]
	s_waitcnt lgkmcnt(0)
	; wave barrier
	s_waitcnt lgkmcnt(0)
	buffer_load_dword v58, off, s[0:3], 0 offset:176
	buffer_load_dword v59, off, s[0:3], 0 offset:180
	;; [unrolled: 1-line block ×42, first 2 shown]
	ds_read_b128 v[110:113], v254 offset:992
	ds_read_b128 v[114:117], v254 offset:1008
	;; [unrolled: 1-line block ×10, first 2 shown]
	buffer_load_dword v1, off, s[0:3], 0 offset:324
	buffer_load_dword v0, off, s[0:3], 0 offset:320
	ds_read_b128 v[90:93], v254 offset:1152
	buffer_load_dword v105, off, s[0:3], 0 offset:380
	buffer_load_dword v104, off, s[0:3], 0 offset:376
	;; [unrolled: 1-line block ×6, first 2 shown]
	s_waitcnt vmcnt(46) lgkmcnt(10)
	v_mul_f64 v[2:3], v[110:111], v[60:61]
	v_fmac_f64_e32 v[2:3], v[112:113], v[58:59]
	v_add_f64 v[2:3], v[2:3], 0
	v_mul_f64 v[60:61], v[112:113], v[60:61]
	s_waitcnt vmcnt(42) lgkmcnt(9)
	v_mul_f64 v[4:5], v[114:115], v[62:63]
	v_fmac_f64_e32 v[4:5], v[116:117], v[56:57]
	v_add_f64 v[2:3], v[2:3], v[4:5]
	buffer_load_dword v253, off, s[0:3], 0 offset:356
	buffer_load_dword v252, off, s[0:3], 0 offset:352
	;; [unrolled: 1-line block ×4, first 2 shown]
	s_waitcnt vmcnt(44) lgkmcnt(8)
	v_mul_f64 v[6:7], v[212:213], v[54:55]
	s_waitcnt vmcnt(42) lgkmcnt(6)
	v_mul_f64 v[10:11], v[232:233], v[64:65]
	s_waitcnt vmcnt(40)
	v_fmac_f64_e32 v[10:11], v[234:235], v[66:67]
	v_mul_f64 v[54:55], v[214:215], v[54:55]
	s_waitcnt vmcnt(38)
	v_mul_f64 v[8:9], v[216:217], v[68:69]
	s_waitcnt vmcnt(36) lgkmcnt(4)
	v_mul_f64 v[14:15], v[240:241], v[70:71]
	s_waitcnt vmcnt(34)
	v_fmac_f64_e32 v[14:15], v[242:243], v[72:73]
	s_waitcnt vmcnt(32)
	v_mul_f64 v[12:13], v[236:237], v[74:75]
	s_waitcnt vmcnt(30) lgkmcnt(2)
	v_mul_f64 v[18:19], v[248:249], v[78:79]
	v_mul_f64 v[78:79], v[250:251], v[78:79]
	s_waitcnt vmcnt(27)
	v_mul_f64 v[16:17], v[244:245], v[76:77]
	s_waitcnt vmcnt(25) lgkmcnt(1)
	v_mul_f64 v[20:21], v[82:83], v[86:87]
	s_waitcnt vmcnt(23)
	v_fmac_f64_e32 v[6:7], v[214:215], v[100:101]
	v_add_f64 v[2:3], v[2:3], v[6:7]
	s_waitcnt vmcnt(21)
	v_fmac_f64_e32 v[8:9], v[218:219], v[98:99]
	v_add_f64 v[2:3], v[2:3], v[8:9]
	;; [unrolled: 3-line block ×3, first 2 shown]
	v_add_f64 v[2:3], v[2:3], v[12:13]
	s_waitcnt vmcnt(17)
	v_fmac_f64_e32 v[16:17], v[246:247], v[88:89]
	v_add_f64 v[2:3], v[2:3], v[14:15]
	s_waitcnt vmcnt(16)
	v_fmac_f64_e32 v[18:19], v[250:251], v[80:81]
	v_add_f64 v[2:3], v[2:3], v[16:17]
	v_add_f64 v[2:3], v[2:3], v[18:19]
	v_fma_f64 v[54:55], v[212:213], v[100:101], -v[54:55]
	s_waitcnt vmcnt(10)
	v_fmac_f64_e32 v[20:21], v[84:85], v[0:1]
	v_add_f64 v[2:3], v[2:3], v[20:21]
	v_fma_f64 v[248:249], v[248:249], v[80:81], -v[78:79]
	v_mul_f64 v[84:85], v[84:85], v[86:87]
	v_fma_f64 v[0:1], v[82:83], v[0:1], -v[84:85]
	s_waitcnt vmcnt(0)
	v_pk_mov_b32 v[18:19], v[4:5], v[4:5] op_sel:[0,1]
	buffer_load_dword v5, off, s[0:3], 0 offset:404
	buffer_load_dword v4, off, s[0:3], 0 offset:400
	v_accvgpr_write_b32 a159, v19
	v_accvgpr_write_b32 a158, v18
	s_waitcnt vmcnt(0)
	v_pk_mov_b32 v[22:23], v[4:5], v[4:5] op_sel:[0,1]
	buffer_load_dword v135, off, s[0:3], 0 offset:396
	buffer_load_dword v134, off, s[0:3], 0 offset:392
	;; [unrolled: 1-line block ×6, first 2 shown]
	v_accvgpr_write_b32 a161, v23
	v_accvgpr_write_b32 a160, v22
	s_waitcnt vmcnt(0)
	v_pk_mov_b32 v[26:27], v[4:5], v[4:5] op_sel:[0,1]
	buffer_load_dword v5, off, s[0:3], 0 offset:436
	buffer_load_dword v4, off, s[0:3], 0 offset:432
	v_accvgpr_write_b32 a163, v27
	v_accvgpr_write_b32 a162, v26
	s_waitcnt vmcnt(0)
	v_pk_mov_b32 v[28:29], v[4:5], v[4:5] op_sel:[0,1]
	buffer_load_dword v143, off, s[0:3], 0 offset:428
	buffer_load_dword v142, off, s[0:3], 0 offset:424
	;; [unrolled: 1-line block ×60, first 2 shown]
	ds_read_b128 v[118:121], v254 offset:1168
	ds_read_b128 v[222:225], v254 offset:1184
	;; [unrolled: 1-line block ×5, first 2 shown]
	v_accvgpr_write_b32 a165, v29
	s_waitcnt lgkmcnt(3)
	v_mul_f64 v[8:9], v[222:223], v[104:105]
	v_fmac_f64_e32 v[8:9], v[224:225], v[106:107]
	s_waitcnt lgkmcnt(2)
	v_mul_f64 v[12:13], v[126:127], v[134:135]
	v_fmac_f64_e32 v[12:13], v[128:129], v[138:139]
	;; [unrolled: 3-line block ×3, first 2 shown]
	v_accvgpr_write_b32 a164, v28
	s_waitcnt vmcnt(46)
	v_pk_mov_b32 v[42:43], v[4:5], v[4:5] op_sel:[0,1]
	v_mul_f64 v[4:5], v[90:91], v[96:97]
	v_fmac_f64_e32 v[4:5], v[92:93], v[102:103]
	v_add_f64 v[2:3], v[2:3], v[4:5]
	v_mul_f64 v[4:5], v[118:119], v[108:109]
	v_fmac_f64_e32 v[4:5], v[120:121], v[252:253]
	v_add_f64 v[6:7], v[2:3], v[4:5]
	v_add_f64 v[10:11], v[6:7], v[8:9]
	;; [unrolled: 1-line block ×4, first 2 shown]
	ds_read_b128 v[14:17], v254 offset:1248
	s_waitcnt lgkmcnt(1)
	v_mul_f64 v[20:21], v[122:123], v[142:143]
	v_fmac_f64_e32 v[20:21], v[124:125], v[146:147]
	v_add_f64 v[22:23], v[18:19], v[20:21]
	ds_read_b128 v[18:21], v254 offset:1264
	s_waitcnt lgkmcnt(1)
	v_mul_f64 v[24:25], v[14:15], v[26:27]
	v_fmac_f64_e32 v[24:25], v[16:17], v[28:29]
	v_add_f64 v[26:27], v[22:23], v[24:25]
	;; [unrolled: 5-line block ×4, first 2 shown]
	ds_read_b128 v[30:33], v254 offset:1312
	s_waitcnt vmcnt(42) lgkmcnt(1)
	v_mul_f64 v[36:37], v[26:27], v[158:159]
	s_waitcnt vmcnt(40)
	v_fmac_f64_e32 v[36:37], v[28:29], v[162:163]
	v_add_f64 v[38:39], v[34:35], v[36:37]
	ds_read_b128 v[34:37], v254 offset:1328
	s_waitcnt lgkmcnt(1)
	v_mul_f64 v[40:41], v[30:31], v[42:43]
	v_accvgpr_write_b32 a167, v43
	v_fmac_f64_e32 v[40:41], v[32:33], v[132:133]
	v_accvgpr_write_b32 a166, v42
	v_add_f64 v[42:43], v[38:39], v[40:41]
	ds_read_b128 v[38:41], v254 offset:1344
	s_waitcnt vmcnt(34) lgkmcnt(1)
	v_mul_f64 v[44:45], v[34:35], v[166:167]
	s_waitcnt vmcnt(32)
	v_fmac_f64_e32 v[44:45], v[36:37], v[170:171]
	v_add_f64 v[46:47], v[42:43], v[44:45]
	ds_read_b128 v[42:45], v254 offset:1360
	s_waitcnt lgkmcnt(1)
	v_mul_f64 v[48:49], v[38:39], v[136:137]
	v_fmac_f64_e32 v[48:49], v[40:41], v[140:141]
	v_add_f64 v[50:51], v[46:47], v[48:49]
	ds_read_b128 v[46:49], v254 offset:1376
	s_waitcnt vmcnt(26) lgkmcnt(1)
	v_mul_f64 v[52:53], v[42:43], v[174:175]
	s_waitcnt vmcnt(24)
	v_fmac_f64_e32 v[52:53], v[44:45], v[176:177]
	v_add_f64 v[2:3], v[50:51], v[52:53]
	ds_read_b128 v[50:53], v254 offset:1392
	buffer_load_dword v13, off, s[0:3], 0 offset:684
	buffer_load_dword v12, off, s[0:3], 0 offset:680
	;; [unrolled: 1-line block ×20, first 2 shown]
	v_fma_f64 v[6:7], v[110:111], v[58:59], -v[60:61]
	v_mul_f64 v[58:59], v[116:117], v[62:63]
	v_fma_f64 v[226:227], v[114:115], v[56:57], -v[58:59]
	v_mul_f64 v[56:57], v[218:219], v[68:69]
	v_fma_f64 v[56:57], v[216:217], v[98:99], -v[56:57]
	buffer_load_dword v214, off, s[0:3], 0 offset:760
	buffer_load_dword v216, off, s[0:3], 0 offset:752
	;; [unrolled: 1-line block ×12, first 2 shown]
	s_waitcnt lgkmcnt(1)
	v_mul_f64 v[4:5], v[46:47], v[144:145]
	v_fmac_f64_e32 v[4:5], v[48:49], v[148:149]
	v_add_f64 v[58:59], v[2:3], v[4:5]
	v_mul_f64 v[2:3], v[234:235], v[64:65]
	v_fma_f64 v[2:3], v[232:233], v[66:67], -v[2:3]
	buffer_load_dword v233, off, s[0:3], 0 offset:812
	buffer_load_dword v232, off, s[0:3], 0 offset:808
	buffer_load_dword v235, off, s[0:3], 0 offset:804
	buffer_load_dword v234, off, s[0:3], 0 offset:800
	ds_read_b128 v[8:11], v254 offset:1408
	s_waitcnt vmcnt(54) lgkmcnt(1)
	v_mul_f64 v[4:5], v[50:51], v[178:179]
	s_waitcnt vmcnt(52)
	v_fmac_f64_e32 v[4:5], v[52:53], v[180:181]
	v_add_f64 v[4:5], v[58:59], v[4:5]
	v_mul_f64 v[58:59], v[238:239], v[74:75]
	v_fma_f64 v[94:95], v[236:237], v[94:95], -v[58:59]
	ds_read_b128 v[58:61], v254 offset:1424
	s_waitcnt lgkmcnt(1)
	v_mul_f64 v[62:63], v[8:9], v[152:153]
	v_fmac_f64_e32 v[62:63], v[10:11], v[156:157]
	v_add_f64 v[4:5], v[4:5], v[62:63]
	ds_read_b128 v[62:65], v254 offset:1440
	v_mul_f64 v[66:67], v[242:243], v[70:71]
	s_waitcnt vmcnt(46) lgkmcnt(1)
	v_mul_f64 v[70:71], v[58:59], v[182:183]
	v_fma_f64 v[240:241], v[240:241], v[72:73], -v[66:67]
	ds_read_b128 v[66:69], v254 offset:1456
	s_waitcnt vmcnt(44)
	v_fmac_f64_e32 v[70:71], v[60:61], v[184:185]
	v_add_f64 v[4:5], v[4:5], v[70:71]
	v_mul_f64 v[70:71], v[246:247], v[76:77]
	v_fma_f64 v[246:247], v[244:245], v[88:89], -v[70:71]
	ds_read_b128 v[70:73], v254 offset:1472
	ds_read_b128 v[78:81], v254 offset:1504
	s_waitcnt lgkmcnt(3)
	v_mul_f64 v[74:75], v[62:63], v[160:161]
	v_fmac_f64_e32 v[74:75], v[64:65], v[164:165]
	v_add_f64 v[4:5], v[4:5], v[74:75]
	s_waitcnt vmcnt(38) lgkmcnt(2)
	v_mul_f64 v[74:75], v[66:67], v[186:187]
	s_waitcnt vmcnt(36)
	v_fmac_f64_e32 v[74:75], v[68:69], v[188:189]
	v_add_f64 v[4:5], v[4:5], v[74:75]
	s_waitcnt lgkmcnt(1)
	v_mul_f64 v[74:75], v[70:71], v[168:169]
	v_fmac_f64_e32 v[74:75], v[72:73], v[172:173]
	v_add_f64 v[4:5], v[4:5], v[74:75]
	ds_read_b128 v[74:77], v254 offset:1488
	ds_read_b128 v[82:85], v254 offset:1520
	v_mul_f64 v[92:93], v[92:93], v[96:97]
	v_fma_f64 v[96:97], v[90:91], v[102:103], -v[92:93]
	v_add_f64 v[6:7], v[6:7], 0
	v_add_f64 v[6:7], v[6:7], v[226:227]
	;; [unrolled: 1-line block ×10, first 2 shown]
	v_mul_f64 v[2:3], v[128:129], v[134:135]
	v_fma_f64 v[2:3], v[126:127], v[138:139], -v[2:3]
	v_accvgpr_read_b32 v6, a160
	ds_read_b128 v[90:93], v254 offset:1552
	v_accvgpr_read_b32 v7, a161
	s_waitcnt vmcnt(25) lgkmcnt(1)
	v_mul_f64 v[98:99], v[82:83], v[200:201]
	s_waitcnt vmcnt(23)
	v_fmac_f64_e32 v[98:99], v[84:85], v[206:207]
	v_mul_f64 v[88:89], v[74:75], v[12:13]
	v_fmac_f64_e32 v[88:89], v[76:77], v[130:131]
	v_mul_f64 v[86:87], v[78:79], v[196:197]
	v_add_f64 v[4:5], v[4:5], v[88:89]
	v_fmac_f64_e32 v[86:87], v[80:81], v[198:199]
	v_add_f64 v[4:5], v[4:5], v[86:87]
	ds_read_b128 v[86:89], v254 offset:1536
	v_add_f64 v[4:5], v[4:5], v[98:99]
	s_waitcnt vmcnt(18) lgkmcnt(1)
	v_mul_f64 v[102:103], v[90:91], v[202:203]
	s_waitcnt vmcnt(16)
	v_fmac_f64_e32 v[102:103], v[92:93], v[208:209]
	s_waitcnt lgkmcnt(0)
	v_mul_f64 v[98:99], v[86:87], v[194:195]
	v_fmac_f64_e32 v[98:99], v[88:89], v[204:205]
	v_add_f64 v[4:5], v[4:5], v[98:99]
	v_mul_f64 v[98:99], v[120:121], v[108:109]
	v_fma_f64 v[250:251], v[118:119], v[252:253], -v[98:99]
	ds_read_b128 v[98:101], v254 offset:1568
	ds_read_b128 v[118:121], v254 offset:1584
	v_add_f64 v[4:5], v[4:5], v[102:103]
	v_mul_f64 v[102:103], v[224:225], v[104:105]
	v_fma_f64 v[252:253], v[222:223], v[106:107], -v[102:103]
	ds_read_b128 v[102:105], v254 offset:1600
	s_waitcnt vmcnt(13) lgkmcnt(2)
	v_mul_f64 v[106:107], v[98:99], v[214:215]
	s_waitcnt vmcnt(12)
	v_fmac_f64_e32 v[106:107], v[100:101], v[216:217]
	v_add_f64 v[4:5], v[4:5], v[106:107]
	s_waitcnt vmcnt(9) lgkmcnt(1)
	v_mul_f64 v[106:107], v[118:119], v[228:229]
	s_waitcnt vmcnt(7)
	v_fmac_f64_e32 v[106:107], v[120:121], v[230:231]
	v_add_f64 v[4:5], v[4:5], v[106:107]
	;; [unrolled: 5-line block ×3, first 2 shown]
	ds_read_b128 v[106:109], v254 offset:1616
	buffer_load_dword v236, off, s[0:3], 0 offset:824
	buffer_load_dword v237, off, s[0:3], 0 offset:828
	;; [unrolled: 1-line block ×4, first 2 shown]
	s_waitcnt vmcnt(6) lgkmcnt(0)
	v_mul_f64 v[110:111], v[106:107], v[232:233]
	s_waitcnt vmcnt(4)
	v_fmac_f64_e32 v[110:111], v[108:109], v[234:235]
	v_add_f64 v[4:5], v[4:5], v[110:111]
	ds_read_b128 v[110:113], v254 offset:1632
	buffer_load_dword v243, off, s[0:3], 0 offset:844
	buffer_load_dword v242, off, s[0:3], 0 offset:840
	;; [unrolled: 1-line block ×4, first 2 shown]
	s_waitcnt vmcnt(6) lgkmcnt(0)
	v_mul_f64 v[114:115], v[110:111], v[236:237]
	s_waitcnt vmcnt(4)
	v_fmac_f64_e32 v[114:115], v[112:113], v[238:239]
	v_add_f64 v[4:5], v[4:5], v[114:115]
	ds_read_b128 v[114:117], v254 offset:1648
	buffer_load_dword v248, off, s[0:3], 0 offset:160
	buffer_load_dword v249, off, s[0:3], 0 offset:164
	;; [unrolled: 1-line block ×4, first 2 shown]
	v_add_f64 v[254:255], v[0:1], v[96:97]
	v_add_f64 v[0:1], v[254:255], v[250:251]
	;; [unrolled: 1-line block ×4, first 2 shown]
	v_accvgpr_read_b32 v2, a158
	v_accvgpr_read_b32 v3, a159
	v_mul_f64 v[2:3], v[192:193], v[2:3]
	v_fma_f64 v[2:3], v[190:191], v[6:7], -v[2:3]
	v_add_f64 v[0:1], v[0:1], v[2:3]
	v_mul_f64 v[2:3], v[124:125], v[142:143]
	v_fma_f64 v[2:3], v[122:123], v[146:147], -v[2:3]
	v_add_f64 v[0:1], v[0:1], v[2:3]
	v_accvgpr_read_b32 v2, a162
	v_accvgpr_read_b32 v3, a163
	v_accvgpr_read_b32 v6, a164
	v_mul_f64 v[2:3], v[16:17], v[2:3]
	v_accvgpr_read_b32 v7, a165
	v_fma_f64 v[2:3], v[14:15], v[6:7], -v[2:3]
	v_add_f64 v[0:1], v[0:1], v[2:3]
	v_mul_f64 v[2:3], v[20:21], v[150:151]
	v_fma_f64 v[2:3], v[18:19], v[154:155], -v[2:3]
	v_add_f64 v[0:1], v[0:1], v[2:3]
	v_mul_f64 v[2:3], v[24:25], v[220:221]
	;; [unrolled: 3-line block ×3, first 2 shown]
	v_fma_f64 v[2:3], v[26:27], v[162:163], -v[2:3]
	v_add_f64 v[0:1], v[0:1], v[2:3]
	v_accvgpr_read_b32 v2, a166
	v_accvgpr_read_b32 v3, a167
	v_mul_f64 v[2:3], v[32:33], v[2:3]
	v_fma_f64 v[2:3], v[30:31], v[132:133], -v[2:3]
	v_add_f64 v[0:1], v[0:1], v[2:3]
	v_mul_f64 v[2:3], v[36:37], v[166:167]
	v_fma_f64 v[2:3], v[34:35], v[170:171], -v[2:3]
	v_add_f64 v[0:1], v[0:1], v[2:3]
	;; [unrolled: 3-line block ×21, first 2 shown]
	s_waitcnt vmcnt(6) lgkmcnt(0)
	v_mul_f64 v[2:3], v[116:117], v[242:243]
	v_mul_f64 v[222:223], v[114:115], v[242:243]
	s_waitcnt vmcnt(4)
	v_fma_f64 v[2:3], v[114:115], v[244:245], -v[2:3]
	v_fmac_f64_e32 v[222:223], v[116:117], v[244:245]
	v_add_f64 v[0:1], v[0:1], v[2:3]
	v_accvgpr_read_b32 v255, a155
	v_add_f64 v[4:5], v[4:5], v[222:223]
	s_waitcnt vmcnt(2)
	v_add_f64 v[0:1], v[248:249], -v[0:1]
	v_cmp_lt_u32_e32 vcc, 8, v255
	s_waitcnt vmcnt(0)
	v_add_f64 v[2:3], v[246:247], -v[4:5]
	buffer_store_dword v1, off, s[0:3], 0 offset:164
	buffer_store_dword v0, off, s[0:3], 0 offset:160
	;; [unrolled: 1-line block ×4, first 2 shown]
	s_and_saveexec_b64 s[4:5], vcc
	s_cbranch_execz .LBB51_309
; %bb.308:
	v_accvgpr_read_b32 v0, a147
	buffer_load_dword v2, v0, s[0:3], 0 offen
	buffer_load_dword v3, v0, s[0:3], 0 offen offset:4
	buffer_load_dword v4, v0, s[0:3], 0 offen offset:8
	;; [unrolled: 1-line block ×3, first 2 shown]
	v_mov_b32_e32 v0, 0
	v_accvgpr_read_b32 v1, a156
	buffer_store_dword v0, off, s[0:3], 0 offset:144
	buffer_store_dword v0, off, s[0:3], 0 offset:148
	;; [unrolled: 1-line block ×4, first 2 shown]
	s_waitcnt vmcnt(4)
	ds_write_b128 v1, v[2:5]
.LBB51_309:
	s_or_b64 exec, exec, s[4:5]
	s_waitcnt lgkmcnt(0)
	; wave barrier
	s_waitcnt lgkmcnt(0)
	buffer_load_dword v50, off, s[0:3], 0 offset:160
	buffer_load_dword v51, off, s[0:3], 0 offset:164
	;; [unrolled: 1-line block ×54, first 2 shown]
	v_mov_b32_e32 v254, 0
	ds_read_b128 v[102:105], v254 offset:976
	ds_read_b128 v[106:109], v254 offset:992
	;; [unrolled: 1-line block ×9, first 2 shown]
	v_cmp_lt_u32_e32 vcc, 7, v255
	s_waitcnt vmcnt(46) lgkmcnt(7)
	v_mul_f64 v[2:3], v[106:107], v[58:59]
	v_fmac_f64_e32 v[2:3], v[108:109], v[52:53]
	s_waitcnt vmcnt(44) lgkmcnt(6)
	v_mul_f64 v[4:5], v[110:111], v[202:203]
	s_waitcnt vmcnt(42) lgkmcnt(4)
	v_mul_f64 v[8:9], v[206:207], v[212:213]
	s_waitcnt vmcnt(40)
	v_fmac_f64_e32 v[8:9], v[208:209], v[60:61]
	s_waitcnt vmcnt(38)
	v_mul_f64 v[6:7], v[114:115], v[64:65]
	s_waitcnt vmcnt(36) lgkmcnt(2)
	v_mul_f64 v[12:13], v[218:219], v[66:67]
	v_mul_f64 v[66:67], v[220:221], v[66:67]
	s_waitcnt vmcnt(34)
	v_fmac_f64_e32 v[12:13], v[220:221], v[70:71]
	s_waitcnt vmcnt(32)
	v_mul_f64 v[10:11], v[214:215], v[76:77]
	s_waitcnt vmcnt(30) lgkmcnt(1)
	v_mul_f64 v[14:15], v[232:233], v[68:69]
	s_waitcnt vmcnt(28)
	v_fmac_f64_e32 v[4:5], v[112:113], v[82:83]
	s_waitcnt vmcnt(26)
	v_fmac_f64_e32 v[6:7], v[116:117], v[80:81]
	;; [unrolled: 2-line block ×4, first 2 shown]
	s_waitcnt vmcnt(0)
	v_pk_mov_b32 v[16:17], v[0:1], v[0:1] op_sel:[0,1]
	v_mul_f64 v[0:1], v[102:103], v[198:199]
	v_fmac_f64_e32 v[0:1], v[104:105], v[50:51]
	v_add_f64 v[0:1], v[0:1], 0
	v_add_f64 v[0:1], v[0:1], v[2:3]
	buffer_load_dword v3, off, s[0:3], 0 offset:388
	buffer_load_dword v2, off, s[0:3], 0 offset:384
	v_add_f64 v[0:1], v[0:1], v[4:5]
	v_add_f64 v[0:1], v[0:1], v[6:7]
	;; [unrolled: 1-line block ×6, first 2 shown]
	v_accvgpr_write_b32 a159, v17
	v_accvgpr_write_b32 a158, v16
	v_mul_f64 v[104:105], v[104:105], v[198:199]
	s_waitcnt vmcnt(0)
	v_pk_mov_b32 v[4:5], v[2:3], v[2:3] op_sel:[0,1]
	buffer_load_dword v179, off, s[0:3], 0 offset:380
	buffer_load_dword v178, off, s[0:3], 0 offset:376
	;; [unrolled: 1-line block ×6, first 2 shown]
	v_accvgpr_write_b32 a161, v5
	v_accvgpr_write_b32 a160, v4
	s_waitcnt vmcnt(0)
	v_pk_mov_b32 v[8:9], v[2:3], v[2:3] op_sel:[0,1]
	buffer_load_dword v3, off, s[0:3], 0 offset:420
	buffer_load_dword v2, off, s[0:3], 0 offset:416
	v_accvgpr_write_b32 a163, v9
	v_accvgpr_write_b32 a162, v8
	s_waitcnt vmcnt(0)
	v_pk_mov_b32 v[20:21], v[2:3], v[2:3] op_sel:[0,1]
	buffer_load_dword v139, off, s[0:3], 0 offset:412
	buffer_load_dword v138, off, s[0:3], 0 offset:408
	;; [unrolled: 1-line block ×52, first 2 shown]
	ds_read_b128 v[240:243], v254 offset:1120
	ds_read_b128 v[244:247], v254 offset:1136
	;; [unrolled: 1-line block ×7, first 2 shown]
	v_accvgpr_write_b32 a165, v21
	v_accvgpr_write_b32 a164, v20
	s_waitcnt lgkmcnt(2)
	v_mul_f64 v[6:7], v[54:55], v[178:179]
	v_fmac_f64_e32 v[6:7], v[56:57], v[62:63]
	s_waitcnt lgkmcnt(1)
	v_mul_f64 v[10:11], v[124:125], v[16:17]
	v_fmac_f64_e32 v[10:11], v[126:127], v[4:5]
	v_mul_f64 v[56:57], v[56:57], v[178:179]
	s_waitcnt vmcnt(46)
	v_pk_mov_b32 v[28:29], v[2:3], v[2:3] op_sel:[0,1]
	v_mul_f64 v[2:3], v[236:237], v[74:75]
	v_fmac_f64_e32 v[2:3], v[238:239], v[84:85]
	v_add_f64 v[0:1], v[0:1], v[2:3]
	v_mul_f64 v[2:3], v[240:241], v[90:91]
	v_fmac_f64_e32 v[2:3], v[242:243], v[92:93]
	v_add_f64 v[0:1], v[0:1], v[2:3]
	;; [unrolled: 3-line block ×5, first 2 shown]
	v_add_f64 v[0:1], v[0:1], v[6:7]
	v_add_f64 v[0:1], v[0:1], v[10:11]
	ds_read_b128 v[10:13], v254 offset:1232
	s_waitcnt lgkmcnt(1)
	v_mul_f64 v[14:15], v[128:129], v[138:139]
	v_fmac_f64_e32 v[14:15], v[130:131], v[142:143]
	v_add_f64 v[0:1], v[0:1], v[14:15]
	ds_read_b128 v[14:17], v254 offset:1248
	s_waitcnt lgkmcnt(1)
	v_mul_f64 v[18:19], v[10:11], v[8:9]
	v_fmac_f64_e32 v[18:19], v[12:13], v[20:21]
	v_add_f64 v[0:1], v[0:1], v[18:19]
	ds_read_b128 v[18:21], v254 offset:1264
	s_waitcnt vmcnt(42) lgkmcnt(1)
	v_mul_f64 v[22:23], v[14:15], v[146:147]
	s_waitcnt vmcnt(40)
	v_fmac_f64_e32 v[22:23], v[16:17], v[150:151]
	v_add_f64 v[0:1], v[0:1], v[22:23]
	ds_read_b128 v[22:25], v254 offset:1280
	s_waitcnt lgkmcnt(1)
	v_mul_f64 v[26:27], v[18:19], v[28:29]
	v_accvgpr_write_b32 a167, v29
	v_fmac_f64_e32 v[26:27], v[20:21], v[252:253]
	v_accvgpr_write_b32 a166, v28
	v_add_f64 v[0:1], v[0:1], v[26:27]
	ds_read_b128 v[26:29], v254 offset:1296
	s_waitcnt vmcnt(34) lgkmcnt(1)
	v_mul_f64 v[30:31], v[22:23], v[154:155]
	s_waitcnt vmcnt(32)
	v_fmac_f64_e32 v[30:31], v[24:25], v[158:159]
	v_add_f64 v[0:1], v[0:1], v[30:31]
	ds_read_b128 v[30:33], v254 offset:1312
	s_waitcnt lgkmcnt(1)
	v_mul_f64 v[34:35], v[26:27], v[210:211]
	v_fmac_f64_e32 v[34:35], v[28:29], v[132:133]
	v_add_f64 v[0:1], v[0:1], v[34:35]
	ds_read_b128 v[34:37], v254 offset:1328
	s_waitcnt vmcnt(26) lgkmcnt(1)
	v_mul_f64 v[38:39], v[30:31], v[162:163]
	s_waitcnt vmcnt(24)
	v_fmac_f64_e32 v[38:39], v[32:33], v[164:165]
	v_add_f64 v[0:1], v[0:1], v[38:39]
	ds_read_b128 v[38:41], v254 offset:1344
	s_waitcnt lgkmcnt(1)
	v_mul_f64 v[42:43], v[34:35], v[134:135]
	v_fmac_f64_e32 v[42:43], v[36:37], v[136:137]
	v_add_f64 v[46:47], v[0:1], v[42:43]
	ds_read_b128 v[42:45], v254 offset:1360
	buffer_load_dword v123, off, s[0:3], 0 offset:652
	buffer_load_dword v181, off, s[0:3], 0 offset:636
	;; [unrolled: 1-line block ×8, first 2 shown]
	s_waitcnt vmcnt(26) lgkmcnt(1)
	v_mul_f64 v[48:49], v[38:39], v[166:167]
	s_waitcnt vmcnt(24)
	v_fmac_f64_e32 v[48:49], v[40:41], v[168:169]
	v_add_f64 v[190:191], v[46:47], v[48:49]
	ds_read_b128 v[46:49], v254 offset:1376
	buffer_load_dword v187, off, s[0:3], 0 offset:668
	buffer_load_dword v186, off, s[0:3], 0 offset:664
	;; [unrolled: 1-line block ×4, first 2 shown]
	s_waitcnt lgkmcnt(1)
	v_mul_f64 v[192:193], v[42:43], v[140:141]
	v_fmac_f64_e32 v[192:193], v[44:45], v[144:145]
	v_add_f64 v[0:1], v[190:191], v[192:193]
	buffer_load_dword v191, off, s[0:3], 0 offset:684
	buffer_load_dword v190, off, s[0:3], 0 offset:680
	;; [unrolled: 1-line block ×12, first 2 shown]
	v_fma_f64 v[8:9], v[102:103], v[50:51], -v[104:105]
	v_mul_f64 v[50:51], v[108:109], v[58:59]
	v_fma_f64 v[222:223], v[106:107], v[52:53], -v[50:51]
	v_mul_f64 v[50:51], v[112:113], v[202:203]
	v_fma_f64 v[102:103], v[110:111], v[82:83], -v[50:51]
	buffer_load_dword v203, off, s[0:3], 0 offset:732
	buffer_load_dword v202, off, s[0:3], 0 offset:728
	buffer_load_dword v205, off, s[0:3], 0 offset:724
	buffer_load_dword v204, off, s[0:3], 0 offset:720
	v_mul_f64 v[50:51], v[116:117], v[64:65]
	v_fma_f64 v[104:105], v[114:115], v[80:81], -v[50:51]
	v_mul_f64 v[50:51], v[208:209], v[212:213]
	buffer_load_dword v209, off, s[0:3], 0 offset:748
	buffer_load_dword v208, off, s[0:3], 0 offset:744
	;; [unrolled: 1-line block ×4, first 2 shown]
	v_fma_f64 v[6:7], v[206:207], v[60:61], -v[50:51]
	buffer_load_dword v207, off, s[0:3], 0 offset:780
	buffer_load_dword v65, off, s[0:3], 0 offset:764
	;; [unrolled: 1-line block ×12, first 2 shown]
	ds_read_b128 v[50:53], v254 offset:1392
	v_mul_f64 v[60:61], v[216:217], v[76:77]
	v_fma_f64 v[4:5], v[214:215], v[78:79], -v[60:61]
	ds_read_b128 v[214:217], v254 offset:1408
	s_waitcnt vmcnt(54) lgkmcnt(2)
	v_mul_f64 v[58:59], v[46:47], v[170:171]
	s_waitcnt vmcnt(52)
	v_fmac_f64_e32 v[58:59], v[48:49], v[172:173]
	v_add_f64 v[0:1], v[0:1], v[58:59]
	s_waitcnt lgkmcnt(1)
	v_mul_f64 v[58:59], v[50:51], v[148:149]
	v_fmac_f64_e32 v[58:59], v[52:53], v[152:153]
	v_add_f64 v[0:1], v[0:1], v[58:59]
	s_waitcnt vmcnt(46) lgkmcnt(0)
	v_mul_f64 v[58:59], v[214:215], v[174:175]
	s_waitcnt vmcnt(44)
	v_fmac_f64_e32 v[58:59], v[216:217], v[176:177]
	v_add_f64 v[0:1], v[0:1], v[58:59]
	ds_read_b128 v[58:61], v254 offset:1424
	v_fma_f64 v[2:3], v[218:219], v[70:71], -v[66:67]
	ds_read_b128 v[218:221], v254 offset:1440
	v_mul_f64 v[66:67], v[234:235], v[68:69]
	v_fma_f64 v[232:233], v[232:233], v[72:73], -v[66:67]
	ds_read_b128 v[66:69], v254 offset:1456
	s_waitcnt lgkmcnt(2)
	v_mul_f64 v[70:71], v[58:59], v[156:157]
	v_fmac_f64_e32 v[70:71], v[60:61], v[160:161]
	v_add_f64 v[0:1], v[0:1], v[70:71]
	v_mul_f64 v[74:75], v[238:239], v[74:75]
	v_fma_f64 v[234:235], v[236:237], v[84:85], -v[74:75]
	ds_read_b128 v[74:77], v254 offset:1488
	v_mul_f64 v[78:79], v[242:243], v[90:91]
	v_fma_f64 v[240:241], v[240:241], v[92:93], -v[78:79]
	v_mul_f64 v[86:87], v[246:247], v[86:87]
	v_fma_f64 v[246:247], v[244:245], v[88:89], -v[86:87]
	;; [unrolled: 2-line block ×3, first 2 shown]
	v_add_f64 v[8:9], v[8:9], 0
	v_add_f64 v[8:9], v[8:9], v[222:223]
	;; [unrolled: 1-line block ×5, first 2 shown]
	ds_read_b128 v[78:81], v254 offset:1504
	v_add_f64 v[4:5], v[6:7], v[4:5]
	v_add_f64 v[2:3], v[4:5], v[2:3]
	;; [unrolled: 1-line block ×6, first 2 shown]
	v_accvgpr_read_b32 v4, a158
	v_accvgpr_read_b32 v5, a159
	v_accvgpr_read_b32 v6, a160
	v_mul_f64 v[4:5], v[126:127], v[4:5]
	ds_read_b128 v[86:89], v254 offset:1536
	v_accvgpr_read_b32 v7, a161
	v_fma_f64 v[4:5], v[124:125], v[6:7], -v[4:5]
	v_accvgpr_read_b32 v6, a164
	s_waitcnt vmcnt(41) lgkmcnt(4)
	v_mul_f64 v[70:71], v[218:219], v[180:181]
	v_accvgpr_read_b32 v7, a165
	s_waitcnt vmcnt(39)
	v_fmac_f64_e32 v[70:71], v[220:221], v[184:185]
	v_add_f64 v[0:1], v[0:1], v[70:71]
	s_waitcnt vmcnt(38) lgkmcnt(3)
	v_mul_f64 v[70:71], v[66:67], v[122:123]
	s_waitcnt vmcnt(36)
	v_fmac_f64_e32 v[70:71], v[68:69], v[182:183]
	v_add_f64 v[0:1], v[0:1], v[70:71]
	ds_read_b128 v[70:73], v254 offset:1472
	ds_read_b128 v[94:97], v254 offset:1568
	s_waitcnt vmcnt(34) lgkmcnt(1)
	v_mul_f64 v[82:83], v[70:71], v[186:187]
	s_waitcnt vmcnt(32)
	v_fmac_f64_e32 v[82:83], v[72:73], v[188:189]
	v_add_f64 v[0:1], v[0:1], v[82:83]
	s_waitcnt vmcnt(30)
	v_mul_f64 v[82:83], v[74:75], v[190:191]
	s_waitcnt vmcnt(28)
	v_fmac_f64_e32 v[82:83], v[76:77], v[194:195]
	v_add_f64 v[0:1], v[0:1], v[82:83]
	s_waitcnt vmcnt(26)
	v_mul_f64 v[82:83], v[78:79], v[192:193]
	s_waitcnt vmcnt(24)
	v_fmac_f64_e32 v[82:83], v[80:81], v[196:197]
	v_add_f64 v[0:1], v[0:1], v[82:83]
	ds_read_b128 v[82:85], v254 offset:1520
	s_waitcnt vmcnt(21) lgkmcnt(0)
	v_mul_f64 v[90:91], v[82:83], v[198:199]
	s_waitcnt vmcnt(20)
	v_fmac_f64_e32 v[90:91], v[84:85], v[200:201]
	v_add_f64 v[106:107], v[0:1], v[90:91]
	v_mul_f64 v[90:91], v[250:251], v[98:99]
	v_fma_f64 v[248:249], v[248:249], v[100:101], -v[90:91]
	ds_read_b128 v[90:93], v254 offset:1552
	s_waitcnt vmcnt(18)
	v_mul_f64 v[98:99], v[86:87], v[202:203]
	s_waitcnt vmcnt(16)
	v_fmac_f64_e32 v[98:99], v[88:89], v[204:205]
	v_add_f64 v[98:99], v[106:107], v[98:99]
	v_fma_f64 v[250:251], v[54:55], v[62:63], -v[56:57]
	s_waitcnt vmcnt(14) lgkmcnt(0)
	v_mul_f64 v[100:101], v[90:91], v[208:209]
	s_waitcnt vmcnt(12)
	v_fmac_f64_e32 v[100:101], v[92:93], v[212:213]
	v_add_f64 v[106:107], v[98:99], v[100:101]
	ds_read_b128 v[98:101], v254 offset:1584
	ds_read_b128 v[54:57], v254 offset:1600
	s_waitcnt vmcnt(9)
	v_mul_f64 v[62:63], v[94:95], v[64:65]
	s_waitcnt vmcnt(7)
	v_fmac_f64_e32 v[62:63], v[96:97], v[228:229]
	v_add_f64 v[62:63], v[106:107], v[62:63]
	s_waitcnt vmcnt(6) lgkmcnt(1)
	v_mul_f64 v[106:107], v[98:99], v[206:207]
	s_waitcnt vmcnt(4)
	v_fmac_f64_e32 v[106:107], v[100:101], v[226:227]
	v_add_f64 v[62:63], v[62:63], v[106:107]
	s_waitcnt vmcnt(2) lgkmcnt(0)
	v_mul_f64 v[106:107], v[54:55], v[224:225]
	buffer_load_dword v0, off, s[0:3], 0 offset:808
	s_waitcnt vmcnt(1)
	v_fmac_f64_e32 v[106:107], v[56:57], v[230:231]
	v_add_f64 v[110:111], v[62:63], v[106:107]
	buffer_load_dword v62, off, s[0:3], 0 offset:800
	buffer_load_dword v1, off, s[0:3], 0 offset:812
	;; [unrolled: 1-line block ×3, first 2 shown]
	ds_read_b128 v[106:109], v254 offset:1616
	buffer_load_dword v237, off, s[0:3], 0 offset:828
	buffer_load_dword v236, off, s[0:3], 0 offset:824
	;; [unrolled: 1-line block ×4, first 2 shown]
	v_add_f64 v[2:3], v[2:3], v[248:249]
	v_add_f64 v[118:119], v[2:3], v[118:119]
	;; [unrolled: 1-line block ×4, first 2 shown]
	v_mul_f64 v[4:5], v[130:131], v[138:139]
	v_fma_f64 v[4:5], v[128:129], v[142:143], -v[4:5]
	v_add_f64 v[2:3], v[2:3], v[4:5]
	v_accvgpr_read_b32 v4, a162
	v_accvgpr_read_b32 v5, a163
	v_mul_f64 v[4:5], v[12:13], v[4:5]
	v_fma_f64 v[4:5], v[10:11], v[6:7], -v[4:5]
	v_add_f64 v[2:3], v[2:3], v[4:5]
	v_mul_f64 v[4:5], v[16:17], v[146:147]
	v_fma_f64 v[4:5], v[14:15], v[150:151], -v[4:5]
	v_add_f64 v[2:3], v[2:3], v[4:5]
	v_accvgpr_read_b32 v4, a166
	v_accvgpr_read_b32 v5, a167
	v_mul_f64 v[4:5], v[20:21], v[4:5]
	v_fma_f64 v[4:5], v[18:19], v[252:253], -v[4:5]
	v_add_f64 v[2:3], v[2:3], v[4:5]
	v_mul_f64 v[4:5], v[24:25], v[154:155]
	v_fma_f64 v[4:5], v[22:23], v[158:159], -v[4:5]
	v_add_f64 v[2:3], v[2:3], v[4:5]
	;; [unrolled: 3-line block ×19, first 2 shown]
	v_mul_f64 v[4:5], v[96:97], v[64:65]
	v_fma_f64 v[4:5], v[94:95], v[228:229], -v[4:5]
	s_waitcnt vmcnt(5) lgkmcnt(0)
	v_mul_f64 v[112:113], v[106:107], v[0:1]
	s_waitcnt vmcnt(4)
	v_fmac_f64_e32 v[112:113], v[108:109], v[62:63]
	v_add_f64 v[114:115], v[110:111], v[112:113]
	ds_read_b128 v[110:113], v254 offset:1632
	buffer_load_dword v242, off, s[0:3], 0 offset:840
	buffer_load_dword v243, off, s[0:3], 0 offset:844
	;; [unrolled: 1-line block ×4, first 2 shown]
	v_add_f64 v[2:3], v[2:3], v[4:5]
	v_mul_f64 v[4:5], v[100:101], v[206:207]
	v_fma_f64 v[4:5], v[98:99], v[226:227], -v[4:5]
	s_waitcnt vmcnt(6) lgkmcnt(0)
	v_mul_f64 v[116:117], v[110:111], v[236:237]
	s_waitcnt vmcnt(4)
	v_fmac_f64_e32 v[116:117], v[112:113], v[238:239]
	v_add_f64 v[120:121], v[114:115], v[116:117]
	ds_read_b128 v[114:117], v254 offset:1648
	buffer_load_dword v248, off, s[0:3], 0 offset:144
	buffer_load_dword v249, off, s[0:3], 0 offset:148
	;; [unrolled: 1-line block ×4, first 2 shown]
	v_add_f64 v[2:3], v[2:3], v[4:5]
	v_mul_f64 v[4:5], v[56:57], v[224:225]
	v_fma_f64 v[4:5], v[54:55], v[230:231], -v[4:5]
	v_mul_f64 v[0:1], v[108:109], v[0:1]
	v_add_f64 v[2:3], v[2:3], v[4:5]
	v_fma_f64 v[0:1], v[106:107], v[62:63], -v[0:1]
	v_add_f64 v[0:1], v[2:3], v[0:1]
	v_mul_f64 v[2:3], v[112:113], v[236:237]
	v_fma_f64 v[2:3], v[110:111], v[238:239], -v[2:3]
	v_add_f64 v[0:1], v[0:1], v[2:3]
	s_waitcnt vmcnt(6) lgkmcnt(0)
	v_mul_f64 v[2:3], v[116:117], v[242:243]
	v_mul_f64 v[178:179], v[114:115], v[242:243]
	s_waitcnt vmcnt(4)
	v_fma_f64 v[2:3], v[114:115], v[244:245], -v[2:3]
	v_fmac_f64_e32 v[178:179], v[116:117], v[244:245]
	v_add_f64 v[0:1], v[0:1], v[2:3]
	v_add_f64 v[120:121], v[120:121], v[178:179]
	s_waitcnt vmcnt(2)
	v_add_f64 v[0:1], v[248:249], -v[0:1]
	s_waitcnt vmcnt(0)
	v_add_f64 v[2:3], v[246:247], -v[120:121]
	buffer_store_dword v1, off, s[0:3], 0 offset:148
	buffer_store_dword v0, off, s[0:3], 0 offset:144
	;; [unrolled: 1-line block ×4, first 2 shown]
	s_and_saveexec_b64 s[4:5], vcc
	s_cbranch_execz .LBB51_311
; %bb.310:
	v_accvgpr_read_b32 v0, a148
	buffer_load_dword v2, v0, s[0:3], 0 offen
	buffer_load_dword v3, v0, s[0:3], 0 offen offset:4
	buffer_load_dword v4, v0, s[0:3], 0 offen offset:8
	;; [unrolled: 1-line block ×3, first 2 shown]
	v_accvgpr_read_b32 v0, a156
	buffer_store_dword v254, off, s[0:3], 0 offset:128
	buffer_store_dword v254, off, s[0:3], 0 offset:132
	;; [unrolled: 1-line block ×4, first 2 shown]
	s_waitcnt vmcnt(4)
	ds_write_b128 v0, v[2:5]
.LBB51_311:
	s_or_b64 exec, exec, s[4:5]
	s_waitcnt lgkmcnt(0)
	; wave barrier
	s_waitcnt lgkmcnt(0)
	buffer_load_dword v90, off, s[0:3], 0 offset:144
	buffer_load_dword v91, off, s[0:3], 0 offset:148
	;; [unrolled: 1-line block ×36, first 2 shown]
	ds_read_b128 v[82:85], v254 offset:960
	ds_read_b128 v[78:81], v254 offset:976
	;; [unrolled: 1-line block ×9, first 2 shown]
	buffer_load_dword v235, off, s[0:3], 0 offset:316
	buffer_load_dword v234, off, s[0:3], 0 offset:312
	buffer_load_dword v237, off, s[0:3], 0 offset:308
	buffer_load_dword v236, off, s[0:3], 0 offset:304
	buffer_load_dword v239, off, s[0:3], 0 offset:300
	buffer_load_dword v238, off, s[0:3], 0 offset:296
	buffer_load_dword v241, off, s[0:3], 0 offset:292
	buffer_load_dword v240, off, s[0:3], 0 offset:288
	buffer_load_dword v247, off, s[0:3], 0 offset:348
	buffer_load_dword v246, off, s[0:3], 0 offset:344
	buffer_load_dword v249, off, s[0:3], 0 offset:340
	buffer_load_dword v248, off, s[0:3], 0 offset:336
	buffer_load_dword v251, off, s[0:3], 0 offset:332
	buffer_load_dword v250, off, s[0:3], 0 offset:328
	buffer_load_dword v253, off, s[0:3], 0 offset:324
	buffer_load_dword v252, off, s[0:3], 0 offset:320
	buffer_load_dword v243, off, s[0:3], 0 offset:380
	buffer_load_dword v242, off, s[0:3], 0 offset:376
	buffer_load_dword v245, off, s[0:3], 0 offset:372
	s_waitcnt vmcnt(51) lgkmcnt(8)
	v_mul_f64 v[0:1], v[82:83], v[92:93]
	v_fmac_f64_e32 v[0:1], v[84:85], v[90:91]
	v_add_f64 v[0:1], v[0:1], 0
	s_waitcnt vmcnt(47) lgkmcnt(7)
	v_mul_f64 v[2:3], v[78:79], v[94:95]
	v_fmac_f64_e32 v[2:3], v[80:81], v[194:195]
	s_waitcnt vmcnt(45) lgkmcnt(6)
	v_mul_f64 v[4:5], v[74:75], v[88:89]
	v_add_f64 v[0:1], v[0:1], v[2:3]
	s_waitcnt vmcnt(43) lgkmcnt(4)
	v_mul_f64 v[8:9], v[62:63], v[96:97]
	v_mul_f64 v[80:81], v[80:81], v[94:95]
	s_waitcnt vmcnt(41)
	v_fmac_f64_e32 v[8:9], v[64:65], v[98:99]
	v_fma_f64 v[200:201], v[78:79], v[194:195], -v[80:81]
	s_waitcnt vmcnt(39)
	v_mul_f64 v[6:7], v[70:71], v[100:101]
	v_mul_f64 v[64:65], v[64:65], v[96:97]
	s_waitcnt vmcnt(37) lgkmcnt(2)
	v_mul_f64 v[12:13], v[54:55], v[104:105]
	v_fma_f64 v[78:79], v[62:63], v[98:99], -v[64:65]
	s_waitcnt vmcnt(35)
	v_fmac_f64_e32 v[12:13], v[56:57], v[108:109]
	v_mul_f64 v[56:57], v[56:57], v[104:105]
	s_waitcnt vmcnt(33)
	v_mul_f64 v[10:11], v[50:51], v[112:113]
	s_waitcnt vmcnt(31) lgkmcnt(1)
	v_mul_f64 v[14:15], v[58:59], v[106:107]
	s_waitcnt vmcnt(29)
	v_fmac_f64_e32 v[4:5], v[76:77], v[198:199]
	v_add_f64 v[0:1], v[0:1], v[4:5]
	s_waitcnt vmcnt(27)
	v_fmac_f64_e32 v[6:7], v[72:73], v[116:117]
	v_add_f64 v[0:1], v[0:1], v[6:7]
	;; [unrolled: 3-line block ×3, first 2 shown]
	v_add_f64 v[0:1], v[0:1], v[10:11]
	v_add_f64 v[0:1], v[0:1], v[12:13]
	buffer_load_dword v244, off, s[0:3], 0 offset:368
	buffer_load_dword v13, off, s[0:3], 0 offset:364
	;; [unrolled: 1-line block ×7, first 2 shown]
	s_waitcnt vmcnt(30)
	v_fmac_f64_e32 v[14:15], v[60:61], v[110:111]
	v_add_f64 v[0:1], v[0:1], v[14:15]
	v_mul_f64 v[76:77], v[76:77], v[88:89]
	v_fma_f64 v[74:75], v[74:75], v[198:199], -v[76:77]
	v_mul_f64 v[52:53], v[52:53], v[112:113]
	v_fma_f64 v[80:81], v[50:51], v[114:115], -v[52:53]
	v_mul_f64 v[60:61], v[60:61], v[106:107]
	v_mul_f64 v[72:73], v[72:73], v[100:101]
	v_fma_f64 v[76:77], v[70:71], v[116:117], -v[72:73]
	s_waitcnt vmcnt(0)
	v_pk_mov_b32 v[18:19], v[2:3], v[2:3] op_sel:[0,1]
	buffer_load_dword v3, off, s[0:3], 0 offset:404
	buffer_load_dword v2, off, s[0:3], 0 offset:400
	v_accvgpr_write_b32 a159, v19
	v_accvgpr_write_b32 a158, v18
	s_waitcnt vmcnt(0)
	v_pk_mov_b32 v[20:21], v[2:3], v[2:3] op_sel:[0,1]
	buffer_load_dword v211, off, s[0:3], 0 offset:396
	buffer_load_dword v210, off, s[0:3], 0 offset:392
	buffer_load_dword v139, off, s[0:3], 0 offset:388
	buffer_load_dword v138, off, s[0:3], 0 offset:384
	buffer_load_dword v3, off, s[0:3], 0 offset:444
	buffer_load_dword v2, off, s[0:3], 0 offset:440
	v_accvgpr_write_b32 a161, v21
	v_accvgpr_write_b32 a160, v20
	s_waitcnt vmcnt(0)
	v_pk_mov_b32 v[26:27], v[2:3], v[2:3] op_sel:[0,1]
	buffer_load_dword v3, off, s[0:3], 0 offset:436
	buffer_load_dword v2, off, s[0:3], 0 offset:432
	v_accvgpr_write_b32 a163, v27
	v_accvgpr_write_b32 a162, v26
	s_waitcnt vmcnt(0)
	v_pk_mov_b32 v[28:29], v[2:3], v[2:3] op_sel:[0,1]
	buffer_load_dword v143, off, s[0:3], 0 offset:428
	buffer_load_dword v142, off, s[0:3], 0 offset:424
	buffer_load_dword v147, off, s[0:3], 0 offset:420
	buffer_load_dword v146, off, s[0:3], 0 offset:416
	buffer_load_dword v3, off, s[0:3], 0 offset:476
	buffer_load_dword v2, off, s[0:3], 0 offset:472
	v_accvgpr_write_b32 a165, v29
	v_accvgpr_write_b32 a164, v28
	;; [unrolled: 16-line block ×3, first 2 shown]
	s_waitcnt vmcnt(0)
	v_pk_mov_b32 v[42:43], v[2:3], v[2:3] op_sel:[0,1]
	buffer_load_dword v3, off, s[0:3], 0 offset:500
	buffer_load_dword v2, off, s[0:3], 0 offset:496
	v_accvgpr_write_b32 a171, v43
	v_accvgpr_write_b32 a170, v42
	s_waitcnt vmcnt(0)
	v_pk_mov_b32 v[44:45], v[2:3], v[2:3] op_sel:[0,1]
	buffer_load_dword v159, off, s[0:3], 0 offset:492
	buffer_load_dword v158, off, s[0:3], 0 offset:488
	;; [unrolled: 1-line block ×28, first 2 shown]
	ds_read_b128 v[214:217], v254 offset:1104
	ds_read_b128 v[218:221], v254 offset:1120
	;; [unrolled: 1-line block ×7, first 2 shown]
	v_accvgpr_write_b32 a173, v45
	v_accvgpr_write_b32 a172, v44
	s_waitcnt lgkmcnt(6)
	v_mul_f64 v[70:71], v[216:217], v[238:239]
	v_fma_f64 v[96:97], v[214:215], v[240:241], -v[70:71]
	s_waitcnt lgkmcnt(0)
	v_mul_f64 v[24:25], v[122:123], v[26:27]
	v_fmac_f64_e32 v[24:25], v[124:125], v[28:29]
	s_waitcnt vmcnt(22)
	v_pk_mov_b32 v[174:175], v[2:3], v[2:3] op_sel:[0,1]
	v_mul_f64 v[2:3], v[66:67], v[102:103]
	v_fmac_f64_e32 v[2:3], v[68:69], v[232:233]
	v_add_f64 v[0:1], v[0:1], v[2:3]
	v_mul_f64 v[2:3], v[214:215], v[238:239]
	v_fmac_f64_e32 v[2:3], v[216:217], v[240:241]
	v_add_f64 v[0:1], v[0:1], v[2:3]
	;; [unrolled: 3-line block ×3, first 2 shown]
	ds_read_b128 v[0:3], v254 offset:1152
	v_mul_f64 v[6:7], v[118:119], v[250:251]
	v_fmac_f64_e32 v[6:7], v[120:121], v[252:253]
	v_add_f64 v[8:9], v[4:5], v[6:7]
	ds_read_b128 v[4:7], v254 offset:1168
	s_waitcnt lgkmcnt(1)
	v_mul_f64 v[10:11], v[0:1], v[246:247]
	v_fmac_f64_e32 v[10:11], v[2:3], v[248:249]
	v_add_f64 v[14:15], v[8:9], v[10:11]
	ds_read_b128 v[8:11], v254 offset:1184
	s_waitcnt lgkmcnt(1)
	v_mul_f64 v[16:17], v[4:5], v[12:13]
	v_fmac_f64_e32 v[16:17], v[6:7], v[86:87]
	v_add_f64 v[14:15], v[14:15], v[16:17]
	v_accvgpr_write_b32 a174, v174
	s_waitcnt lgkmcnt(0)
	v_mul_f64 v[16:17], v[8:9], v[242:243]
	v_fmac_f64_e32 v[16:17], v[10:11], v[244:245]
	v_add_f64 v[14:15], v[14:15], v[16:17]
	v_mul_f64 v[16:17], v[134:135], v[210:211]
	v_fmac_f64_e32 v[16:17], v[136:137], v[138:139]
	v_add_f64 v[14:15], v[14:15], v[16:17]
	v_mul_f64 v[16:17], v[126:127], v[18:19]
	v_fmac_f64_e32 v[16:17], v[128:129], v[20:21]
	v_mul_f64 v[20:21], v[130:131], v[142:143]
	v_add_f64 v[18:19], v[14:15], v[16:17]
	v_fmac_f64_e32 v[20:21], v[132:133], v[146:147]
	v_add_f64 v[22:23], v[18:19], v[20:21]
	ds_read_b128 v[18:21], v254 offset:1264
	v_add_f64 v[26:27], v[22:23], v[24:25]
	ds_read_b128 v[22:25], v254 offset:1280
	v_accvgpr_write_b32 a175, v175
	v_mul_f64 v[16:17], v[84:85], v[92:93]
	s_waitcnt lgkmcnt(1)
	v_mul_f64 v[28:29], v[18:19], v[150:151]
	v_fmac_f64_e32 v[28:29], v[20:21], v[154:155]
	v_add_f64 v[30:31], v[26:27], v[28:29]
	ds_read_b128 v[26:29], v254 offset:1296
	s_waitcnt lgkmcnt(1)
	v_mul_f64 v[32:33], v[22:23], v[34:35]
	v_fmac_f64_e32 v[32:33], v[24:25], v[36:37]
	v_add_f64 v[34:35], v[30:31], v[32:33]
	ds_read_b128 v[30:33], v254 offset:1312
	;; [unrolled: 5-line block ×4, first 2 shown]
	s_waitcnt vmcnt(18) lgkmcnt(1)
	v_mul_f64 v[44:45], v[34:35], v[162:163]
	s_waitcnt vmcnt(16)
	v_fmac_f64_e32 v[44:45], v[36:37], v[164:165]
	v_add_f64 v[46:47], v[42:43], v[44:45]
	ds_read_b128 v[42:45], v254 offset:1360
	s_waitcnt lgkmcnt(1)
	v_mul_f64 v[48:49], v[38:39], v[174:175]
	buffer_load_dword v175, off, s[0:3], 0 offset:620
	buffer_load_dword v174, off, s[0:3], 0 offset:616
	;; [unrolled: 1-line block ×4, first 2 shown]
	v_fmac_f64_e32 v[48:49], v[40:41], v[140:141]
	v_add_f64 v[178:179], v[46:47], v[48:49]
	ds_read_b128 v[46:49], v254 offset:1376
	buffer_load_dword v181, off, s[0:3], 0 offset:636
	buffer_load_dword v180, off, s[0:3], 0 offset:632
	;; [unrolled: 1-line block ×4, first 2 shown]
	s_waitcnt vmcnt(18) lgkmcnt(1)
	v_mul_f64 v[184:185], v[42:43], v[166:167]
	s_waitcnt vmcnt(16)
	v_fmac_f64_e32 v[184:185], v[44:45], v[168:169]
	v_add_f64 v[14:15], v[178:179], v[184:185]
	buffer_load_dword v179, off, s[0:3], 0 offset:668
	buffer_load_dword v187, off, s[0:3], 0 offset:652
	;; [unrolled: 1-line block ×28, first 2 shown]
	s_waitcnt lgkmcnt(0)
	v_mul_f64 v[50:51], v[46:47], v[144:145]
	v_fmac_f64_e32 v[50:51], v[48:49], v[148:149]
	buffer_load_dword v223, off, s[0:3], 0 offset:764
	buffer_load_dword v222, off, s[0:3], 0 offset:760
	;; [unrolled: 1-line block ×12, first 2 shown]
	v_add_f64 v[14:15], v[14:15], v[50:51]
	ds_read_b128 v[50:53], v254 offset:1392
	v_fma_f64 v[16:17], v[82:83], v[90:91], -v[16:17]
	v_fma_f64 v[90:91], v[54:55], v[108:109], -v[56:57]
	ds_read_b128 v[54:57], v254 offset:1408
	v_fma_f64 v[92:93], v[58:59], v[110:111], -v[60:61]
	ds_read_b128 v[58:61], v254 offset:1424
	s_waitcnt vmcnt(50) lgkmcnt(2)
	v_mul_f64 v[62:63], v[50:51], v[170:171]
	s_waitcnt vmcnt(48)
	v_fmac_f64_e32 v[62:63], v[52:53], v[172:173]
	v_add_f64 v[14:15], v[14:15], v[62:63]
	s_waitcnt lgkmcnt(1)
	v_mul_f64 v[62:63], v[54:55], v[152:153]
	v_fmac_f64_e32 v[62:63], v[56:57], v[156:157]
	v_mul_f64 v[68:69], v[68:69], v[102:103]
	v_add_f64 v[14:15], v[14:15], v[62:63]
	v_fma_f64 v[94:95], v[66:67], v[232:233], -v[68:69]
	ds_read_b128 v[66:69], v254 offset:1456
	ds_read_b128 v[214:217], v254 offset:1488
	v_mul_f64 v[2:3], v[2:3], v[246:247]
	v_fma_f64 v[246:247], v[0:1], v[248:249], -v[2:3]
	ds_read_b128 v[0:3], v254 offset:1552
	v_mul_f64 v[6:7], v[6:7], v[12:13]
	v_fma_f64 v[12:13], v[4:5], v[86:87], -v[6:7]
	ds_read_b128 v[4:7], v254 offset:1584
	v_mul_f64 v[10:11], v[10:11], v[242:243]
	ds_read_b128 v[70:73], v254 offset:1472
	s_waitcnt vmcnt(46) lgkmcnt(5)
	v_mul_f64 v[62:63], v[58:59], v[174:175]
	s_waitcnt vmcnt(44)
	v_fmac_f64_e32 v[62:63], v[60:61], v[176:177]
	v_add_f64 v[14:15], v[14:15], v[62:63]
	ds_read_b128 v[62:65], v254 offset:1440
	s_waitcnt vmcnt(42) lgkmcnt(0)
	v_mul_f64 v[82:83], v[62:63], v[180:181]
	s_waitcnt vmcnt(40)
	v_fmac_f64_e32 v[82:83], v[64:65], v[182:183]
	v_add_f64 v[14:15], v[14:15], v[82:83]
	s_waitcnt vmcnt(37)
	v_mul_f64 v[82:83], v[66:67], v[186:187]
	s_waitcnt vmcnt(35)
	v_fmac_f64_e32 v[82:83], v[68:69], v[190:191]
	v_add_f64 v[14:15], v[14:15], v[82:83]
	s_waitcnt vmcnt(34)
	v_mul_f64 v[82:83], v[70:71], v[178:179]
	s_waitcnt vmcnt(32)
	v_fmac_f64_e32 v[82:83], v[72:73], v[188:189]
	v_add_f64 v[14:15], v[14:15], v[82:83]
	v_mul_f64 v[82:83], v[220:221], v[234:235]
	v_fma_f64 v[240:241], v[218:219], v[236:237], -v[82:83]
	ds_read_b128 v[218:221], v254 offset:1504
	s_waitcnt vmcnt(29)
	v_mul_f64 v[82:83], v[214:215], v[192:193]
	s_waitcnt vmcnt(27)
	v_fmac_f64_e32 v[82:83], v[216:217], v[196:197]
	v_add_f64 v[14:15], v[14:15], v[82:83]
	v_mul_f64 v[82:83], v[120:121], v[250:251]
	v_fma_f64 v[250:251], v[118:119], v[252:253], -v[82:83]
	ds_read_b128 v[82:85], v254 offset:1520
	ds_read_b128 v[118:121], v254 offset:1536
	s_waitcnt vmcnt(25) lgkmcnt(2)
	v_mul_f64 v[98:99], v[218:219], v[184:185]
	s_waitcnt vmcnt(24)
	v_fmac_f64_e32 v[98:99], v[220:221], v[194:195]
	v_add_f64 v[14:15], v[14:15], v[98:99]
	s_waitcnt vmcnt(21) lgkmcnt(1)
	v_mul_f64 v[98:99], v[82:83], v[88:89]
	s_waitcnt vmcnt(19)
	v_fmac_f64_e32 v[98:99], v[84:85], v[206:207]
	v_add_f64 v[14:15], v[14:15], v[98:99]
	s_waitcnt vmcnt(18) lgkmcnt(0)
	v_mul_f64 v[98:99], v[118:119], v[198:199]
	s_waitcnt vmcnt(16)
	v_fmac_f64_e32 v[98:99], v[120:121], v[204:205]
	v_add_f64 v[14:15], v[14:15], v[98:99]
	ds_read_b128 v[98:101], v254 offset:1568
	s_waitcnt vmcnt(14)
	v_mul_f64 v[102:103], v[0:1], v[202:203]
	s_waitcnt vmcnt(12)
	v_fmac_f64_e32 v[102:103], v[2:3], v[208:209]
	v_add_f64 v[14:15], v[14:15], v[102:103]
	ds_read_b128 v[102:105], v254 offset:1600
	buffer_load_dword v233, off, s[0:3], 0 offset:812
	buffer_load_dword v232, off, s[0:3], 0 offset:808
	;; [unrolled: 1-line block ×4, first 2 shown]
	ds_read_b128 v[106:109], v254 offset:1616
	buffer_load_dword v236, off, s[0:3], 0 offset:824
	buffer_load_dword v237, off, s[0:3], 0 offset:828
	;; [unrolled: 1-line block ×4, first 2 shown]
	v_fma_f64 v[252:253], v[8:9], v[244:245], -v[10:11]
	ds_read_b128 v[110:113], v254 offset:1632
	buffer_load_dword v243, off, s[0:3], 0 offset:844
	buffer_load_dword v242, off, s[0:3], 0 offset:840
	;; [unrolled: 1-line block ×4, first 2 shown]
	s_waitcnt vmcnt(22) lgkmcnt(3)
	v_mul_f64 v[8:9], v[98:99], v[222:223]
	s_waitcnt vmcnt(20)
	v_fmac_f64_e32 v[8:9], v[100:101], v[224:225]
	s_waitcnt vmcnt(17)
	v_mul_f64 v[10:11], v[4:5], v[228:229]
	v_add_f64 v[8:9], v[14:15], v[8:9]
	s_waitcnt vmcnt(15)
	v_fmac_f64_e32 v[10:11], v[6:7], v[230:231]
	v_add_f64 v[8:9], v[8:9], v[10:11]
	s_waitcnt vmcnt(13) lgkmcnt(2)
	v_mul_f64 v[10:11], v[102:103], v[212:213]
	s_waitcnt vmcnt(12)
	v_fmac_f64_e32 v[10:11], v[104:105], v[226:227]
	ds_read_b128 v[114:117], v254 offset:1648
	v_add_f64 v[8:9], v[8:9], v[10:11]
	v_accvgpr_read_b32 v14, a160
	v_accvgpr_read_b32 v15, a161
	v_mul_f64 v[2:3], v[2:3], v[202:203]
	v_fma_f64 v[0:1], v[0:1], v[208:209], -v[2:3]
	v_mul_f64 v[2:3], v[100:101], v[222:223]
	v_fma_f64 v[2:3], v[98:99], v[224:225], -v[2:3]
	s_waitcnt vmcnt(10) lgkmcnt(2)
	v_mul_f64 v[10:11], v[106:107], v[232:233]
	s_waitcnt vmcnt(8)
	v_fmac_f64_e32 v[10:11], v[108:109], v[234:235]
	v_add_f64 v[8:9], v[8:9], v[10:11]
	s_waitcnt vmcnt(6) lgkmcnt(1)
	v_mul_f64 v[10:11], v[110:111], v[236:237]
	s_waitcnt vmcnt(4)
	v_fmac_f64_e32 v[10:11], v[112:113], v[238:239]
	v_add_f64 v[8:9], v[8:9], v[10:11]
	;; [unrolled: 5-line block ×3, first 2 shown]
	v_add_f64 v[10:11], v[16:17], 0
	v_add_f64 v[10:11], v[10:11], v[200:201]
	;; [unrolled: 1-line block ×13, first 2 shown]
	buffer_load_dword v248, off, s[0:3], 0 offset:128
	buffer_load_dword v249, off, s[0:3], 0 offset:132
	;; [unrolled: 1-line block ×4, first 2 shown]
	v_add_f64 v[10:11], v[254:255], v[12:13]
	v_mul_f64 v[12:13], v[136:137], v[210:211]
	v_add_f64 v[10:11], v[10:11], v[252:253]
	v_fma_f64 v[12:13], v[134:135], v[138:139], -v[12:13]
	v_add_f64 v[10:11], v[10:11], v[12:13]
	v_accvgpr_read_b32 v12, a158
	v_accvgpr_read_b32 v13, a159
	v_mul_f64 v[12:13], v[128:129], v[12:13]
	v_fma_f64 v[12:13], v[126:127], v[14:15], -v[12:13]
	v_add_f64 v[10:11], v[10:11], v[12:13]
	v_mul_f64 v[12:13], v[132:133], v[142:143]
	v_fma_f64 v[12:13], v[130:131], v[146:147], -v[12:13]
	v_add_f64 v[10:11], v[10:11], v[12:13]
	v_accvgpr_read_b32 v12, a162
	v_accvgpr_read_b32 v13, a163
	v_accvgpr_read_b32 v14, a164
	v_mul_f64 v[12:13], v[124:125], v[12:13]
	v_accvgpr_read_b32 v15, a165
	v_fma_f64 v[12:13], v[122:123], v[14:15], -v[12:13]
	v_add_f64 v[10:11], v[10:11], v[12:13]
	v_mul_f64 v[12:13], v[20:21], v[150:151]
	v_fma_f64 v[12:13], v[18:19], v[154:155], -v[12:13]
	v_add_f64 v[10:11], v[10:11], v[12:13]
	v_accvgpr_read_b32 v12, a166
	v_accvgpr_read_b32 v13, a167
	v_accvgpr_read_b32 v14, a168
	v_mul_f64 v[12:13], v[24:25], v[12:13]
	v_accvgpr_read_b32 v15, a169
	v_fma_f64 v[12:13], v[22:23], v[14:15], -v[12:13]
	v_add_f64 v[10:11], v[10:11], v[12:13]
	v_mul_f64 v[12:13], v[28:29], v[158:159]
	v_fma_f64 v[12:13], v[26:27], v[160:161], -v[12:13]
	v_add_f64 v[10:11], v[10:11], v[12:13]
	v_accvgpr_read_b32 v12, a170
	v_accvgpr_read_b32 v13, a171
	v_accvgpr_read_b32 v14, a172
	v_mul_f64 v[12:13], v[32:33], v[12:13]
	v_accvgpr_read_b32 v15, a173
	v_fma_f64 v[12:13], v[30:31], v[14:15], -v[12:13]
	v_add_f64 v[10:11], v[10:11], v[12:13]
	v_mul_f64 v[12:13], v[36:37], v[162:163]
	v_fma_f64 v[12:13], v[34:35], v[164:165], -v[12:13]
	v_add_f64 v[10:11], v[10:11], v[12:13]
	v_accvgpr_read_b32 v12, a174
	v_accvgpr_read_b32 v13, a175
	v_mul_f64 v[12:13], v[40:41], v[12:13]
	v_fma_f64 v[12:13], v[38:39], v[140:141], -v[12:13]
	v_add_f64 v[10:11], v[10:11], v[12:13]
	v_mul_f64 v[12:13], v[44:45], v[166:167]
	v_fma_f64 v[12:13], v[42:43], v[168:169], -v[12:13]
	v_add_f64 v[10:11], v[10:11], v[12:13]
	;; [unrolled: 3-line block ×13, first 2 shown]
	v_add_f64 v[0:1], v[10:11], v[0:1]
	v_add_f64 v[0:1], v[0:1], v[2:3]
	v_mul_f64 v[2:3], v[6:7], v[228:229]
	v_fma_f64 v[2:3], v[4:5], v[230:231], -v[2:3]
	v_add_f64 v[0:1], v[0:1], v[2:3]
	v_mul_f64 v[2:3], v[104:105], v[212:213]
	v_fma_f64 v[2:3], v[102:103], v[226:227], -v[2:3]
	;; [unrolled: 3-line block ×5, first 2 shown]
	v_add_f64 v[0:1], v[0:1], v[2:3]
	v_accvgpr_read_b32 v255, a155
	s_waitcnt vmcnt(2)
	v_add_f64 v[0:1], v[248:249], -v[0:1]
	v_cmp_lt_u32_e32 vcc, 6, v255
	s_waitcnt vmcnt(0)
	v_add_f64 v[2:3], v[246:247], -v[8:9]
	buffer_store_dword v1, off, s[0:3], 0 offset:132
	buffer_store_dword v0, off, s[0:3], 0 offset:128
	;; [unrolled: 1-line block ×4, first 2 shown]
	s_and_saveexec_b64 s[4:5], vcc
	s_cbranch_execz .LBB51_313
; %bb.312:
	v_accvgpr_read_b32 v3, a149
	buffer_load_dword v0, v3, s[0:3], 0 offen
	buffer_load_dword v1, v3, s[0:3], 0 offen offset:4
	buffer_load_dword v2, v3, s[0:3], 0 offen offset:8
	s_nop 0
	buffer_load_dword v3, v3, s[0:3], 0 offen offset:12
	v_mov_b32_e32 v4, 0
	v_accvgpr_read_b32 v5, a156
	buffer_store_dword v4, off, s[0:3], 0 offset:112
	buffer_store_dword v4, off, s[0:3], 0 offset:116
	;; [unrolled: 1-line block ×4, first 2 shown]
	s_waitcnt vmcnt(4)
	ds_write_b128 v5, v[0:3]
.LBB51_313:
	s_or_b64 exec, exec, s[4:5]
	s_waitcnt lgkmcnt(0)
	; wave barrier
	s_waitcnt lgkmcnt(0)
	buffer_load_dword v56, off, s[0:3], 0 offset:128
	buffer_load_dword v57, off, s[0:3], 0 offset:132
	;; [unrolled: 1-line block ×36, first 2 shown]
	v_mov_b32_e32 v254, 0
	buffer_load_dword v87, off, s[0:3], 0 offset:300
	buffer_load_dword v86, off, s[0:3], 0 offset:296
	buffer_load_dword v89, off, s[0:3], 0 offset:292
	buffer_load_dword v88, off, s[0:3], 0 offset:288
	buffer_load_dword v91, off, s[0:3], 0 offset:284
	buffer_load_dword v90, off, s[0:3], 0 offset:280
	buffer_load_dword v93, off, s[0:3], 0 offset:276
	buffer_load_dword v92, off, s[0:3], 0 offset:272
	buffer_load_dword v97, off, s[0:3], 0 offset:332
	buffer_load_dword v96, off, s[0:3], 0 offset:328
	buffer_load_dword v99, off, s[0:3], 0 offset:324
	buffer_load_dword v98, off, s[0:3], 0 offset:320
	buffer_load_dword v101, off, s[0:3], 0 offset:316
	buffer_load_dword v100, off, s[0:3], 0 offset:312
	buffer_load_dword v103, off, s[0:3], 0 offset:308
	buffer_load_dword v102, off, s[0:3], 0 offset:304
	buffer_load_dword v95, off, s[0:3], 0 offset:364
	buffer_load_dword v94, off, s[0:3], 0 offset:360
	ds_read_b128 v[110:113], v254 offset:944
	ds_read_b128 v[114:117], v254 offset:960
	;; [unrolled: 1-line block ×9, first 2 shown]
	v_cmp_lt_u32_e32 vcc, 5, v255
	s_waitcnt vmcnt(50) lgkmcnt(8)
	v_mul_f64 v[0:1], v[110:111], v[58:59]
	v_fmac_f64_e32 v[0:1], v[112:113], v[56:57]
	v_add_f64 v[0:1], v[0:1], 0
	s_waitcnt vmcnt(46) lgkmcnt(7)
	v_mul_f64 v[2:3], v[114:115], v[54:55]
	v_fmac_f64_e32 v[2:3], v[116:117], v[52:53]
	s_waitcnt vmcnt(44) lgkmcnt(6)
	v_mul_f64 v[4:5], v[194:195], v[50:51]
	v_add_f64 v[0:1], v[0:1], v[2:3]
	s_waitcnt vmcnt(42) lgkmcnt(4)
	v_mul_f64 v[8:9], v[202:203], v[60:61]
	v_mul_f64 v[50:51], v[196:197], v[50:51]
	s_waitcnt vmcnt(40)
	v_fmac_f64_e32 v[8:9], v[204:205], v[62:63]
	v_mul_f64 v[54:55], v[116:117], v[54:55]
	s_waitcnt vmcnt(38)
	v_mul_f64 v[6:7], v[198:199], v[64:65]
	v_fma_f64 v[228:229], v[114:115], v[52:53], -v[54:55]
	s_waitcnt vmcnt(36) lgkmcnt(2)
	v_mul_f64 v[12:13], v[210:211], v[74:75]
	s_waitcnt vmcnt(34)
	v_fmac_f64_e32 v[12:13], v[212:213], v[72:73]
	s_waitcnt vmcnt(32)
	v_mul_f64 v[10:11], v[206:207], v[76:77]
	v_mul_f64 v[54:55], v[208:209], v[76:77]
	s_waitcnt vmcnt(30) lgkmcnt(1)
	v_mul_f64 v[14:15], v[214:215], v[68:69]
	s_waitcnt vmcnt(28)
	v_fmac_f64_e32 v[4:5], v[196:197], v[82:83]
	v_add_f64 v[0:1], v[0:1], v[4:5]
	buffer_load_dword v105, off, s[0:3], 0 offset:356
	buffer_load_dword v104, off, s[0:3], 0 offset:352
	;; [unrolled: 1-line block ×8, first 2 shown]
	s_waitcnt vmcnt(34)
	v_fmac_f64_e32 v[6:7], v[200:201], v[80:81]
	v_add_f64 v[0:1], v[0:1], v[6:7]
	s_waitcnt vmcnt(32)
	v_fmac_f64_e32 v[10:11], v[208:209], v[78:79]
	v_add_f64 v[0:1], v[0:1], v[8:9]
	v_add_f64 v[0:1], v[0:1], v[10:11]
	s_waitcnt vmcnt(30)
	v_fmac_f64_e32 v[14:15], v[216:217], v[70:71]
	v_add_f64 v[0:1], v[0:1], v[12:13]
	v_add_f64 v[0:1], v[0:1], v[14:15]
	v_fma_f64 v[230:231], v[194:195], v[82:83], -v[50:51]
	v_mul_f64 v[50:51], v[200:201], v[64:65]
	s_waitcnt vmcnt(0)
	v_pk_mov_b32 v[16:17], v[2:3], v[2:3] op_sel:[0,1]
	buffer_load_dword v3, off, s[0:3], 0 offset:388
	buffer_load_dword v2, off, s[0:3], 0 offset:384
	v_accvgpr_write_b32 a159, v17
	v_accvgpr_write_b32 a158, v16
	s_waitcnt vmcnt(0)
	v_pk_mov_b32 v[18:19], v[2:3], v[2:3] op_sel:[0,1]
	buffer_load_dword v107, off, s[0:3], 0 offset:380
	buffer_load_dword v106, off, s[0:3], 0 offset:376
	;; [unrolled: 1-line block ×6, first 2 shown]
	v_accvgpr_write_b32 a161, v19
	v_accvgpr_write_b32 a160, v18
	s_waitcnt vmcnt(0)
	v_pk_mov_b32 v[22:23], v[2:3], v[2:3] op_sel:[0,1]
	buffer_load_dword v3, off, s[0:3], 0 offset:420
	buffer_load_dword v2, off, s[0:3], 0 offset:416
	v_accvgpr_write_b32 a163, v23
	v_accvgpr_write_b32 a162, v22
	s_waitcnt vmcnt(0)
	v_pk_mov_b32 v[24:25], v[2:3], v[2:3] op_sel:[0,1]
	buffer_load_dword v139, off, s[0:3], 0 offset:412
	buffer_load_dword v138, off, s[0:3], 0 offset:408
	;; [unrolled: 1-line block ×6, first 2 shown]
	v_accvgpr_write_b32 a165, v25
	v_accvgpr_write_b32 a164, v24
	s_waitcnt vmcnt(0)
	v_pk_mov_b32 v[30:31], v[2:3], v[2:3] op_sel:[0,1]
	buffer_load_dword v3, off, s[0:3], 0 offset:452
	buffer_load_dword v2, off, s[0:3], 0 offset:448
	v_accvgpr_write_b32 a167, v31
	v_accvgpr_write_b32 a166, v30
	s_waitcnt vmcnt(0)
	v_pk_mov_b32 v[32:33], v[2:3], v[2:3] op_sel:[0,1]
	buffer_load_dword v147, off, s[0:3], 0 offset:444
	buffer_load_dword v146, off, s[0:3], 0 offset:440
	;; [unrolled: 1-line block ×36, first 2 shown]
	ds_read_b128 v[232:235], v254 offset:1088
	ds_read_b128 v[236:239], v254 offset:1104
	;; [unrolled: 1-line block ×8, first 2 shown]
	v_accvgpr_write_b32 a169, v33
	v_accvgpr_write_b32 a168, v32
	s_waitcnt lgkmcnt(2)
	v_mul_f64 v[8:9], v[118:119], v[94:95]
	v_fmac_f64_e32 v[8:9], v[120:121], v[104:105]
	s_waitcnt lgkmcnt(0)
	v_mul_f64 v[20:21], v[122:123], v[22:23]
	v_fmac_f64_e32 v[20:21], v[124:125], v[24:25]
	ds_read_b128 v[130:133], v254 offset:1200
	s_waitcnt lgkmcnt(0)
	v_mul_f64 v[12:13], v[130:131], v[16:17]
	v_mul_f64 v[16:17], v[126:127], v[138:139]
	v_fmac_f64_e32 v[12:13], v[132:133], v[18:19]
	v_fmac_f64_e32 v[16:17], v[128:129], v[142:143]
	s_waitcnt vmcnt(28)
	v_pk_mov_b32 v[38:39], v[2:3], v[2:3] op_sel:[0,1]
	v_mul_f64 v[2:3], v[218:219], v[66:67]
	v_fmac_f64_e32 v[2:3], v[220:221], v[84:85]
	v_add_f64 v[0:1], v[0:1], v[2:3]
	v_mul_f64 v[2:3], v[232:233], v[90:91]
	v_fmac_f64_e32 v[2:3], v[234:235], v[92:93]
	v_add_f64 v[0:1], v[0:1], v[2:3]
	v_mul_f64 v[2:3], v[236:237], v[86:87]
	v_fmac_f64_e32 v[2:3], v[238:239], v[88:89]
	v_add_f64 v[0:1], v[0:1], v[2:3]
	v_mul_f64 v[2:3], v[240:241], v[100:101]
	v_fmac_f64_e32 v[2:3], v[242:243], v[102:103]
	v_add_f64 v[0:1], v[0:1], v[2:3]
	v_mul_f64 v[2:3], v[244:245], v[96:97]
	v_fmac_f64_e32 v[2:3], v[246:247], v[98:99]
	v_add_f64 v[0:1], v[0:1], v[2:3]
	v_mul_f64 v[2:3], v[248:249], v[4:5]
	v_fmac_f64_e32 v[2:3], v[250:251], v[222:223]
	v_add_f64 v[6:7], v[0:1], v[2:3]
	ds_read_b128 v[0:3], v254 offset:1184
	v_add_f64 v[6:7], v[6:7], v[8:9]
	v_accvgpr_write_b32 a171, v39
	v_accvgpr_write_b32 a170, v38
	v_mul_f64 v[4:5], v[250:251], v[4:5]
	s_waitcnt lgkmcnt(0)
	v_mul_f64 v[8:9], v[0:1], v[106:107]
	v_fmac_f64_e32 v[8:9], v[2:3], v[108:109]
	v_add_f64 v[10:11], v[6:7], v[8:9]
	v_add_f64 v[14:15], v[10:11], v[12:13]
	;; [unrolled: 1-line block ×3, first 2 shown]
	ds_read_b128 v[14:17], v254 offset:1248
	v_add_f64 v[22:23], v[18:19], v[20:21]
	ds_read_b128 v[18:21], v254 offset:1264
	v_mul_f64 v[8:9], v[112:113], v[58:59]
	v_fma_f64 v[58:59], v[198:199], v[80:81], -v[50:51]
	s_waitcnt lgkmcnt(1)
	v_mul_f64 v[24:25], v[14:15], v[146:147]
	v_fmac_f64_e32 v[24:25], v[16:17], v[150:151]
	v_add_f64 v[26:27], v[22:23], v[24:25]
	ds_read_b128 v[22:25], v254 offset:1280
	s_waitcnt lgkmcnt(1)
	v_mul_f64 v[28:29], v[18:19], v[30:31]
	v_fmac_f64_e32 v[28:29], v[20:21], v[32:33]
	v_add_f64 v[30:31], v[26:27], v[28:29]
	ds_read_b128 v[26:29], v254 offset:1296
	s_waitcnt vmcnt(26) lgkmcnt(1)
	v_mul_f64 v[32:33], v[22:23], v[154:155]
	s_waitcnt vmcnt(24)
	v_fmac_f64_e32 v[32:33], v[24:25], v[156:157]
	v_add_f64 v[34:35], v[30:31], v[32:33]
	ds_read_b128 v[30:33], v254 offset:1312
	s_waitcnt lgkmcnt(1)
	v_mul_f64 v[36:37], v[26:27], v[252:253]
	v_fmac_f64_e32 v[36:37], v[28:29], v[38:39]
	v_add_f64 v[38:39], v[34:35], v[36:37]
	ds_read_b128 v[34:37], v254 offset:1328
	s_waitcnt vmcnt(18) lgkmcnt(1)
	v_mul_f64 v[40:41], v[30:31], v[158:159]
	s_waitcnt vmcnt(16)
	;; [unrolled: 11-line block ×3, first 2 shown]
	v_fmac_f64_e32 v[48:49], v[40:41], v[164:165]
	v_add_f64 v[172:173], v[46:47], v[48:49]
	ds_read_b128 v[46:49], v254 offset:1376
	buffer_load_dword v171, off, s[0:3], 0 offset:604
	buffer_load_dword v170, off, s[0:3], 0 offset:600
	;; [unrolled: 1-line block ×4, first 2 shown]
	s_waitcnt lgkmcnt(1)
	v_mul_f64 v[176:177], v[42:43], v[140:141]
	v_fmac_f64_e32 v[176:177], v[44:45], v[144:145]
	v_add_f64 v[6:7], v[172:173], v[176:177]
	buffer_load_dword v177, off, s[0:3], 0 offset:620
	buffer_load_dword v176, off, s[0:3], 0 offset:616
	;; [unrolled: 1-line block ×24, first 2 shown]
	v_mul_f64 v[50:51], v[204:205], v[60:61]
	v_fma_f64 v[60:61], v[202:203], v[62:63], -v[50:51]
	buffer_load_dword v199, off, s[0:3], 0 offset:716
	buffer_load_dword v198, off, s[0:3], 0 offset:712
	;; [unrolled: 1-line block ×8, first 2 shown]
	ds_read_b128 v[50:53], v254 offset:1392
	v_fma_f64 v[10:11], v[110:111], v[56:57], -v[8:9]
	v_fma_f64 v[110:111], v[206:207], v[78:79], -v[54:55]
	v_mul_f64 v[54:55], v[212:213], v[74:75]
	v_fma_f64 v[112:113], v[210:211], v[72:73], -v[54:55]
	s_waitcnt vmcnt(38) lgkmcnt(1)
	v_mul_f64 v[54:55], v[46:47], v[166:167]
	s_waitcnt vmcnt(36)
	v_fmac_f64_e32 v[54:55], v[48:49], v[168:169]
	v_add_f64 v[6:7], v[6:7], v[54:55]
	s_waitcnt lgkmcnt(0)
	v_mul_f64 v[54:55], v[50:51], v[148:149]
	v_mul_f64 v[56:57], v[216:217], v[68:69]
	v_fmac_f64_e32 v[54:55], v[52:53], v[152:153]
	buffer_load_dword v209, off, s[0:3], 0 offset:748
	buffer_load_dword v208, off, s[0:3], 0 offset:744
	;; [unrolled: 1-line block ×12, first 2 shown]
	v_fma_f64 v[114:115], v[214:215], v[70:71], -v[56:57]
	buffer_load_dword v215, off, s[0:3], 0 offset:796
	buffer_load_dword v214, off, s[0:3], 0 offset:792
	;; [unrolled: 1-line block ×4, first 2 shown]
	v_add_f64 v[6:7], v[6:7], v[54:55]
	ds_read_b128 v[54:57], v254 offset:1408
	v_mul_f64 v[62:63], v[220:221], v[66:67]
	v_fma_f64 v[116:117], v[218:219], v[84:85], -v[62:63]
	ds_read_b128 v[218:221], v254 offset:1424
	v_mul_f64 v[70:71], v[238:239], v[86:87]
	v_mul_f64 v[2:3], v[2:3], v[106:107]
	v_fma_f64 v[250:251], v[0:1], v[108:109], -v[2:3]
	v_add_f64 v[10:11], v[10:11], 0
	v_add_f64 v[10:11], v[10:11], v[228:229]
	;; [unrolled: 1-line block ×9, first 2 shown]
	ds_read_b128 v[82:85], v254 offset:1520
	s_waitcnt vmcnt(50) lgkmcnt(2)
	v_mul_f64 v[62:63], v[54:55], v[170:171]
	s_waitcnt vmcnt(48)
	v_fmac_f64_e32 v[62:63], v[56:57], v[174:175]
	v_add_f64 v[6:7], v[6:7], v[62:63]
	v_mul_f64 v[62:63], v[234:235], v[90:91]
	v_fma_f64 v[232:233], v[232:233], v[92:93], -v[62:63]
	ds_read_b128 v[62:65], v254 offset:1440
	s_waitcnt vmcnt(46) lgkmcnt(2)
	v_mul_f64 v[66:67], v[218:219], v[176:177]
	s_waitcnt vmcnt(44)
	v_fmac_f64_e32 v[66:67], v[220:221], v[178:179]
	v_add_f64 v[6:7], v[6:7], v[66:67]
	ds_read_b128 v[66:69], v254 offset:1456
	s_waitcnt vmcnt(41) lgkmcnt(1)
	v_mul_f64 v[74:75], v[62:63], v[182:183]
	v_fma_f64 v[234:235], v[236:237], v[88:89], -v[70:71]
	s_waitcnt vmcnt(39)
	v_fmac_f64_e32 v[74:75], v[64:65], v[186:187]
	ds_read_b128 v[70:73], v254 offset:1472
	v_add_f64 v[6:7], v[6:7], v[74:75]
	s_waitcnt vmcnt(38) lgkmcnt(1)
	v_mul_f64 v[78:79], v[66:67], v[172:173]
	v_mul_f64 v[74:75], v[242:243], v[100:101]
	s_waitcnt vmcnt(36)
	v_fmac_f64_e32 v[78:79], v[68:69], v[184:185]
	v_fma_f64 v[8:9], v[240:241], v[102:103], -v[74:75]
	ds_read_b128 v[74:77], v254 offset:1488
	v_add_f64 v[6:7], v[6:7], v[78:79]
	ds_read_b128 v[78:81], v254 offset:1504
	s_waitcnt vmcnt(33) lgkmcnt(2)
	v_mul_f64 v[12:13], v[70:71], v[190:191]
	s_waitcnt vmcnt(31)
	v_fmac_f64_e32 v[12:13], v[72:73], v[192:193]
	v_add_f64 v[6:7], v[6:7], v[12:13]
	s_waitcnt vmcnt(29) lgkmcnt(1)
	v_mul_f64 v[12:13], v[74:75], v[180:181]
	ds_read_b128 v[86:89], v254 offset:1536
	s_waitcnt vmcnt(28)
	v_fmac_f64_e32 v[12:13], v[76:77], v[188:189]
	s_waitcnt vmcnt(26) lgkmcnt(1)
	v_mul_f64 v[90:91], v[78:79], v[194:195]
	v_add_f64 v[6:7], v[6:7], v[12:13]
	s_waitcnt vmcnt(24)
	v_fmac_f64_e32 v[90:91], v[80:81], v[196:197]
	v_mul_f64 v[12:13], v[246:247], v[96:97]
	v_fma_f64 v[246:247], v[248:249], v[222:223], -v[4:5]
	v_add_f64 v[4:5], v[6:7], v[90:91]
	ds_read_b128 v[90:93], v254 offset:1552
	s_waitcnt vmcnt(22)
	v_mul_f64 v[6:7], v[82:83], v[198:199]
	s_waitcnt vmcnt(20)
	v_fmac_f64_e32 v[6:7], v[84:85], v[202:203]
	v_add_f64 v[4:5], v[4:5], v[6:7]
	s_waitcnt vmcnt(18) lgkmcnt(1)
	v_mul_f64 v[6:7], v[86:87], v[200:201]
	s_waitcnt vmcnt(16)
	v_fmac_f64_e32 v[6:7], v[88:89], v[204:205]
	v_add_f64 v[4:5], v[4:5], v[6:7]
	v_mul_f64 v[6:7], v[120:121], v[94:95]
	v_fma_f64 v[12:13], v[244:245], v[98:99], -v[12:13]
	v_fma_f64 v[118:119], v[118:119], v[104:105], -v[6:7]
	ds_read_b128 v[94:97], v254 offset:1568
	ds_read_b128 v[98:101], v254 offset:1584
	;; [unrolled: 1-line block ×3, first 2 shown]
	buffer_load_dword v120, off, s[0:3], 0 offset:808
	buffer_load_dword v121, off, s[0:3], 0 offset:812
	;; [unrolled: 1-line block ×4, first 2 shown]
	s_waitcnt vmcnt(18) lgkmcnt(3)
	v_mul_f64 v[6:7], v[90:91], v[208:209]
	s_waitcnt vmcnt(16)
	v_fmac_f64_e32 v[6:7], v[92:93], v[212:213]
	s_waitcnt vmcnt(13) lgkmcnt(2)
	v_mul_f64 v[2:3], v[94:95], v[224:225]
	v_add_f64 v[0:1], v[4:5], v[6:7]
	s_waitcnt vmcnt(11)
	v_fmac_f64_e32 v[2:3], v[96:97], v[226:227]
	ds_read_b128 v[106:109], v254 offset:1616
	buffer_load_dword v237, off, s[0:3], 0 offset:828
	buffer_load_dword v236, off, s[0:3], 0 offset:824
	;; [unrolled: 1-line block ×4, first 2 shown]
	v_add_f64 v[0:1], v[0:1], v[2:3]
	s_waitcnt vmcnt(13) lgkmcnt(2)
	v_mul_f64 v[2:3], v[98:99], v[206:207]
	s_waitcnt vmcnt(12)
	v_fmac_f64_e32 v[2:3], v[100:101], v[210:211]
	v_add_f64 v[0:1], v[0:1], v[2:3]
	s_waitcnt vmcnt(10) lgkmcnt(1)
	v_mul_f64 v[2:3], v[102:103], v[214:215]
	s_waitcnt vmcnt(8)
	v_fmac_f64_e32 v[2:3], v[104:105], v[216:217]
	v_add_f64 v[0:1], v[0:1], v[2:3]
	v_add_f64 v[10:11], v[10:11], v[232:233]
	;; [unrolled: 1-line block ×6, first 2 shown]
	v_accvgpr_read_b32 v10, a158
	v_accvgpr_read_b32 v11, a159
	;; [unrolled: 1-line block ×3, first 2 shown]
	v_add_f64 v[118:119], v[8:9], v[118:119]
	v_mul_f64 v[10:11], v[132:133], v[10:11]
	v_accvgpr_read_b32 v13, a161
	v_add_f64 v[8:9], v[118:119], v[250:251]
	v_fma_f64 v[10:11], v[130:131], v[12:13], -v[10:11]
	v_add_f64 v[8:9], v[8:9], v[10:11]
	v_mul_f64 v[10:11], v[128:129], v[138:139]
	v_fma_f64 v[10:11], v[126:127], v[142:143], -v[10:11]
	v_add_f64 v[8:9], v[8:9], v[10:11]
	v_accvgpr_read_b32 v10, a162
	v_accvgpr_read_b32 v11, a163
	;; [unrolled: 1-line block ×3, first 2 shown]
	v_mul_f64 v[10:11], v[124:125], v[10:11]
	v_accvgpr_read_b32 v13, a165
	v_fma_f64 v[10:11], v[122:123], v[12:13], -v[10:11]
	v_add_f64 v[8:9], v[8:9], v[10:11]
	v_mul_f64 v[10:11], v[16:17], v[146:147]
	v_fma_f64 v[10:11], v[14:15], v[150:151], -v[10:11]
	v_add_f64 v[8:9], v[8:9], v[10:11]
	v_accvgpr_read_b32 v10, a166
	v_accvgpr_read_b32 v11, a167
	;; [unrolled: 1-line block ×3, first 2 shown]
	v_mul_f64 v[10:11], v[20:21], v[10:11]
	v_accvgpr_read_b32 v13, a169
	v_fma_f64 v[10:11], v[18:19], v[12:13], -v[10:11]
	v_add_f64 v[8:9], v[8:9], v[10:11]
	v_mul_f64 v[10:11], v[24:25], v[154:155]
	v_fma_f64 v[10:11], v[22:23], v[156:157], -v[10:11]
	v_accvgpr_read_b32 v12, a170
	v_add_f64 v[8:9], v[8:9], v[10:11]
	v_mul_f64 v[10:11], v[28:29], v[252:253]
	v_accvgpr_read_b32 v13, a171
	v_fma_f64 v[10:11], v[26:27], v[12:13], -v[10:11]
	v_add_f64 v[8:9], v[8:9], v[10:11]
	v_mul_f64 v[10:11], v[32:33], v[158:159]
	v_fma_f64 v[10:11], v[30:31], v[160:161], -v[10:11]
	v_add_f64 v[8:9], v[8:9], v[10:11]
	v_mul_f64 v[10:11], v[36:37], v[134:135]
	v_fma_f64 v[10:11], v[34:35], v[136:137], -v[10:11]
	v_add_f64 v[8:9], v[8:9], v[10:11]
	v_mul_f64 v[10:11], v[40:41], v[162:163]
	v_fma_f64 v[10:11], v[38:39], v[164:165], -v[10:11]
	v_add_f64 v[8:9], v[8:9], v[10:11]
	v_mul_f64 v[10:11], v[44:45], v[140:141]
	v_fma_f64 v[10:11], v[42:43], v[144:145], -v[10:11]
	v_add_f64 v[8:9], v[8:9], v[10:11]
	v_mul_f64 v[10:11], v[48:49], v[166:167]
	v_fma_f64 v[10:11], v[46:47], v[168:169], -v[10:11]
	v_add_f64 v[8:9], v[8:9], v[10:11]
	v_mul_f64 v[10:11], v[52:53], v[148:149]
	v_fma_f64 v[10:11], v[50:51], v[152:153], -v[10:11]
	v_add_f64 v[8:9], v[8:9], v[10:11]
	v_mul_f64 v[10:11], v[56:57], v[170:171]
	v_fma_f64 v[10:11], v[54:55], v[174:175], -v[10:11]
	v_add_f64 v[8:9], v[8:9], v[10:11]
	s_waitcnt vmcnt(6) lgkmcnt(0)
	v_mul_f64 v[2:3], v[106:107], v[120:121]
	v_mul_f64 v[10:11], v[220:221], v[176:177]
	s_waitcnt vmcnt(4)
	v_fmac_f64_e32 v[2:3], v[108:109], v[222:223]
	v_add_f64 v[4:5], v[0:1], v[2:3]
	ds_read_b128 v[0:3], v254 offset:1632
	buffer_load_dword v242, off, s[0:3], 0 offset:840
	buffer_load_dword v243, off, s[0:3], 0 offset:844
	buffer_load_dword v244, off, s[0:3], 0 offset:832
	buffer_load_dword v245, off, s[0:3], 0 offset:836
	v_fma_f64 v[10:11], v[218:219], v[178:179], -v[10:11]
	v_add_f64 v[8:9], v[8:9], v[10:11]
	v_mul_f64 v[10:11], v[64:65], v[182:183]
	s_waitcnt vmcnt(6) lgkmcnt(0)
	v_mul_f64 v[6:7], v[0:1], v[236:237]
	s_waitcnt vmcnt(4)
	v_fmac_f64_e32 v[6:7], v[2:3], v[238:239]
	v_add_f64 v[240:241], v[4:5], v[6:7]
	ds_read_b128 v[4:7], v254 offset:1648
	v_fma_f64 v[10:11], v[62:63], v[186:187], -v[10:11]
	v_add_f64 v[8:9], v[8:9], v[10:11]
	v_mul_f64 v[10:11], v[68:69], v[172:173]
	v_fma_f64 v[10:11], v[66:67], v[184:185], -v[10:11]
	v_add_f64 v[8:9], v[8:9], v[10:11]
	v_mul_f64 v[10:11], v[72:73], v[190:191]
	v_fma_f64 v[10:11], v[70:71], v[192:193], -v[10:11]
	v_add_f64 v[8:9], v[8:9], v[10:11]
	v_mul_f64 v[10:11], v[76:77], v[180:181]
	v_fma_f64 v[10:11], v[74:75], v[188:189], -v[10:11]
	v_add_f64 v[8:9], v[8:9], v[10:11]
	v_mul_f64 v[10:11], v[80:81], v[194:195]
	v_fma_f64 v[10:11], v[78:79], v[196:197], -v[10:11]
	v_add_f64 v[8:9], v[8:9], v[10:11]
	v_mul_f64 v[10:11], v[84:85], v[198:199]
	v_fma_f64 v[10:11], v[82:83], v[202:203], -v[10:11]
	v_add_f64 v[8:9], v[8:9], v[10:11]
	v_mul_f64 v[10:11], v[88:89], v[200:201]
	v_fma_f64 v[10:11], v[86:87], v[204:205], -v[10:11]
	v_add_f64 v[8:9], v[8:9], v[10:11]
	v_mul_f64 v[10:11], v[92:93], v[208:209]
	v_fma_f64 v[10:11], v[90:91], v[212:213], -v[10:11]
	v_add_f64 v[8:9], v[8:9], v[10:11]
	v_mul_f64 v[10:11], v[96:97], v[224:225]
	v_fma_f64 v[10:11], v[94:95], v[226:227], -v[10:11]
	v_add_f64 v[8:9], v[8:9], v[10:11]
	v_mul_f64 v[10:11], v[100:101], v[206:207]
	v_fma_f64 v[10:11], v[98:99], v[210:211], -v[10:11]
	v_add_f64 v[8:9], v[8:9], v[10:11]
	v_mul_f64 v[10:11], v[104:105], v[214:215]
	v_fma_f64 v[10:11], v[102:103], v[216:217], -v[10:11]
	v_add_f64 v[8:9], v[8:9], v[10:11]
	v_mul_f64 v[10:11], v[108:109], v[120:121]
	v_fma_f64 v[10:11], v[106:107], v[222:223], -v[10:11]
	v_mul_f64 v[2:3], v[2:3], v[236:237]
	v_add_f64 v[8:9], v[8:9], v[10:11]
	v_fma_f64 v[0:1], v[0:1], v[238:239], -v[2:3]
	v_add_f64 v[0:1], v[8:9], v[0:1]
	s_waitcnt vmcnt(2) lgkmcnt(0)
	v_mul_f64 v[248:249], v[4:5], v[242:243]
	v_mul_f64 v[2:3], v[6:7], v[242:243]
	s_waitcnt vmcnt(0)
	v_fmac_f64_e32 v[248:249], v[6:7], v[244:245]
	v_add_f64 v[240:241], v[240:241], v[248:249]
	buffer_load_dword v248, off, s[0:3], 0 offset:112
	buffer_load_dword v249, off, s[0:3], 0 offset:116
	;; [unrolled: 1-line block ×4, first 2 shown]
	v_fma_f64 v[2:3], v[4:5], v[244:245], -v[2:3]
	v_add_f64 v[0:1], v[0:1], v[2:3]
	s_waitcnt vmcnt(2)
	v_add_f64 v[0:1], v[248:249], -v[0:1]
	s_waitcnt vmcnt(0)
	v_add_f64 v[2:3], v[246:247], -v[240:241]
	buffer_store_dword v1, off, s[0:3], 0 offset:116
	buffer_store_dword v0, off, s[0:3], 0 offset:112
	;; [unrolled: 1-line block ×4, first 2 shown]
	s_and_saveexec_b64 s[4:5], vcc
	s_cbranch_execz .LBB51_315
; %bb.314:
	v_accvgpr_read_b32 v3, a150
	buffer_load_dword v0, v3, s[0:3], 0 offen
	buffer_load_dword v1, v3, s[0:3], 0 offen offset:4
	buffer_load_dword v2, v3, s[0:3], 0 offen offset:8
	s_nop 0
	buffer_load_dword v3, v3, s[0:3], 0 offen offset:12
	v_accvgpr_read_b32 v4, a156
	buffer_store_dword v254, off, s[0:3], 0 offset:96
	buffer_store_dword v254, off, s[0:3], 0 offset:100
	;; [unrolled: 1-line block ×4, first 2 shown]
	s_waitcnt vmcnt(4)
	ds_write_b128 v4, v[0:3]
.LBB51_315:
	s_or_b64 exec, exec, s[4:5]
	s_waitcnt lgkmcnt(0)
	; wave barrier
	s_waitcnt lgkmcnt(0)
	buffer_load_dword v60, off, s[0:3], 0 offset:112
	buffer_load_dword v61, off, s[0:3], 0 offset:116
	;; [unrolled: 1-line block ×42, first 2 shown]
	ds_read_b128 v[114:117], v254 offset:928
	ds_read_b128 v[180:183], v254 offset:944
	;; [unrolled: 1-line block ×10, first 2 shown]
	buffer_load_dword v1, off, s[0:3], 0 offset:260
	buffer_load_dword v0, off, s[0:3], 0 offset:256
	ds_read_b128 v[62:65], v254 offset:1088
	buffer_load_dword v101, off, s[0:3], 0 offset:316
	buffer_load_dword v100, off, s[0:3], 0 offset:312
	;; [unrolled: 1-line block ×6, first 2 shown]
	s_waitcnt vmcnt(46) lgkmcnt(10)
	v_mul_f64 v[2:3], v[114:115], v[174:175]
	v_fmac_f64_e32 v[2:3], v[116:117], v[60:61]
	v_add_f64 v[2:3], v[2:3], 0
	s_waitcnt vmcnt(42) lgkmcnt(9)
	v_mul_f64 v[4:5], v[180:181], v[58:59]
	v_fmac_f64_e32 v[4:5], v[182:183], v[50:51]
	v_add_f64 v[2:3], v[2:3], v[4:5]
	buffer_load_dword v253, off, s[0:3], 0 offset:292
	buffer_load_dword v252, off, s[0:3], 0 offset:288
	;; [unrolled: 1-line block ×20, first 2 shown]
	s_waitcnt vmcnt(60) lgkmcnt(8)
	v_mul_f64 v[6:7], v[184:185], v[52:53]
	s_waitcnt vmcnt(58) lgkmcnt(6)
	v_mul_f64 v[10:11], v[198:199], v[68:69]
	s_waitcnt vmcnt(56)
	v_fmac_f64_e32 v[10:11], v[200:201], v[70:71]
	v_mul_f64 v[58:59], v[182:183], v[58:59]
	s_waitcnt vmcnt(54)
	v_mul_f64 v[8:9], v[192:193], v[72:73]
	v_fma_f64 v[224:225], v[180:181], v[50:51], -v[58:59]
	s_waitcnt vmcnt(52) lgkmcnt(4)
	v_mul_f64 v[14:15], v[206:207], v[74:75]
	v_mul_f64 v[50:51], v[186:187], v[52:53]
	s_waitcnt vmcnt(50)
	v_fmac_f64_e32 v[14:15], v[208:209], v[76:77]
	s_waitcnt vmcnt(48)
	v_mul_f64 v[12:13], v[202:203], v[78:79]
	s_waitcnt vmcnt(46) lgkmcnt(2)
	v_mul_f64 v[18:19], v[214:215], v[82:83]
	s_waitcnt vmcnt(43)
	v_mul_f64 v[16:17], v[210:211], v[86:87]
	s_waitcnt vmcnt(41) lgkmcnt(1)
	v_mul_f64 v[20:21], v[54:55], v[80:81]
	s_waitcnt vmcnt(39)
	v_fmac_f64_e32 v[6:7], v[186:187], v[96:97]
	v_add_f64 v[2:3], v[2:3], v[6:7]
	s_waitcnt vmcnt(37)
	v_fmac_f64_e32 v[8:9], v[194:195], v[92:93]
	v_add_f64 v[2:3], v[2:3], v[8:9]
	;; [unrolled: 3-line block ×3, first 2 shown]
	v_add_f64 v[2:3], v[2:3], v[12:13]
	s_waitcnt vmcnt(33)
	v_fmac_f64_e32 v[16:17], v[212:213], v[88:89]
	v_add_f64 v[2:3], v[2:3], v[14:15]
	s_waitcnt vmcnt(32)
	v_fmac_f64_e32 v[18:19], v[216:217], v[84:85]
	v_add_f64 v[2:3], v[2:3], v[16:17]
	v_add_f64 v[2:3], v[2:3], v[18:19]
	v_fma_f64 v[96:97], v[184:185], v[96:97], -v[50:51]
	s_waitcnt vmcnt(26)
	v_fmac_f64_e32 v[20:21], v[56:57], v[0:1]
	v_add_f64 v[2:3], v[2:3], v[20:21]
	v_mul_f64 v[50:51], v[194:195], v[72:73]
	v_mul_f64 v[56:57], v[56:57], v[80:81]
	s_waitcnt vmcnt(0)
	v_pk_mov_b32 v[18:19], v[4:5], v[4:5] op_sel:[0,1]
	buffer_load_dword v5, off, s[0:3], 0 offset:404
	buffer_load_dword v4, off, s[0:3], 0 offset:400
	v_accvgpr_write_b32 a161, v19
	v_accvgpr_write_b32 a160, v18
	s_waitcnt vmcnt(0)
	v_pk_mov_b32 v[22:23], v[4:5], v[4:5] op_sel:[0,1]
	buffer_load_dword v5, off, s[0:3], 0 offset:396
	buffer_load_dword v4, off, s[0:3], 0 offset:392
	v_accvgpr_write_b32 a163, v23
	v_accvgpr_write_b32 a162, v22
	s_waitcnt vmcnt(0)
	v_pk_mov_b32 v[14:15], v[4:5], v[4:5] op_sel:[0,1]
	buffer_load_dword v139, off, s[0:3], 0 offset:388
	buffer_load_dword v138, off, s[0:3], 0 offset:384
	buffer_load_dword v5, off, s[0:3], 0 offset:444
	buffer_load_dword v4, off, s[0:3], 0 offset:440
	v_accvgpr_write_b32 a159, v15
	v_accvgpr_write_b32 a158, v14
	s_waitcnt vmcnt(0)
	v_pk_mov_b32 v[26:27], v[4:5], v[4:5] op_sel:[0,1]
	buffer_load_dword v5, off, s[0:3], 0 offset:436
	buffer_load_dword v4, off, s[0:3], 0 offset:432
	v_accvgpr_write_b32 a165, v27
	v_accvgpr_write_b32 a164, v26
	s_waitcnt vmcnt(0)
	v_pk_mov_b32 v[28:29], v[4:5], v[4:5] op_sel:[0,1]
	buffer_load_dword v143, off, s[0:3], 0 offset:428
	buffer_load_dword v142, off, s[0:3], 0 offset:424
	buffer_load_dword v147, off, s[0:3], 0 offset:420
	buffer_load_dword v146, off, s[0:3], 0 offset:416
	buffer_load_dword v5, off, s[0:3], 0 offset:476
	buffer_load_dword v4, off, s[0:3], 0 offset:472
	v_accvgpr_write_b32 a167, v29
	v_accvgpr_write_b32 a166, v28
	s_waitcnt vmcnt(0)
	v_pk_mov_b32 v[34:35], v[4:5], v[4:5] op_sel:[0,1]
	buffer_load_dword v5, off, s[0:3], 0 offset:468
	buffer_load_dword v4, off, s[0:3], 0 offset:464
	v_accvgpr_write_b32 a169, v35
	v_accvgpr_write_b32 a168, v34
	s_waitcnt vmcnt(0)
	v_pk_mov_b32 v[36:37], v[4:5], v[4:5] op_sel:[0,1]
	buffer_load_dword v151, off, s[0:3], 0 offset:460
	buffer_load_dword v150, off, s[0:3], 0 offset:456
	;; [unrolled: 16-line block ×3, first 2 shown]
	buffer_load_dword v161, off, s[0:3], 0 offset:484
	buffer_load_dword v160, off, s[0:3], 0 offset:480
	;; [unrolled: 1-line block ×26, first 2 shown]
	ds_read_b128 v[218:221], v254 offset:1104
	ds_read_b128 v[232:235], v254 offset:1120
	;; [unrolled: 1-line block ×10, first 2 shown]
	s_waitcnt lgkmcnt(4)
	v_mul_f64 v[8:9], v[248:249], v[106:107]
	v_fmac_f64_e32 v[8:9], v[250:251], v[108:109]
	s_waitcnt lgkmcnt(3)
	v_mul_f64 v[12:13], v[134:135], v[14:15]
	v_fmac_f64_e32 v[12:13], v[136:137], v[138:139]
	;; [unrolled: 3-line block ×4, first 2 shown]
	ds_read_b128 v[118:121], v254 offset:1264
	s_waitcnt lgkmcnt(1)
	v_mul_f64 v[24:25], v[122:123], v[26:27]
	v_fmac_f64_e32 v[24:25], v[124:125], v[28:29]
	v_accvgpr_write_b32 a175, v45
	v_accvgpr_write_b32 a174, v44
	s_waitcnt vmcnt(22)
	v_pk_mov_b32 v[176:177], v[4:5], v[4:5] op_sel:[0,1]
	v_mul_f64 v[4:5], v[62:63], v[94:95]
	v_fmac_f64_e32 v[4:5], v[64:65], v[98:99]
	v_add_f64 v[2:3], v[2:3], v[4:5]
	v_mul_f64 v[4:5], v[218:219], v[104:105]
	v_fmac_f64_e32 v[4:5], v[220:221], v[252:253]
	v_add_f64 v[2:3], v[2:3], v[4:5]
	;; [unrolled: 3-line block ×6, first 2 shown]
	v_add_f64 v[10:11], v[6:7], v[8:9]
	v_add_f64 v[14:15], v[10:11], v[12:13]
	;; [unrolled: 1-line block ×5, first 2 shown]
	ds_read_b128 v[22:25], v254 offset:1280
	s_waitcnt lgkmcnt(1)
	v_mul_f64 v[28:29], v[118:119], v[150:151]
	v_fmac_f64_e32 v[28:29], v[120:121], v[154:155]
	v_add_f64 v[30:31], v[26:27], v[28:29]
	ds_read_b128 v[26:29], v254 offset:1296
	s_waitcnt lgkmcnt(1)
	v_mul_f64 v[32:33], v[22:23], v[34:35]
	v_fmac_f64_e32 v[32:33], v[24:25], v[36:37]
	v_add_f64 v[34:35], v[30:31], v[32:33]
	;; [unrolled: 5-line block ×4, first 2 shown]
	ds_read_b128 v[38:41], v254 offset:1344
	ds_read_b128 v[42:45], v254 offset:1360
	s_waitcnt vmcnt(18) lgkmcnt(2)
	v_mul_f64 v[48:49], v[34:35], v[162:163]
	s_waitcnt vmcnt(16)
	v_fmac_f64_e32 v[48:49], v[36:37], v[164:165]
	v_add_f64 v[46:47], v[46:47], v[48:49]
	s_waitcnt lgkmcnt(1)
	v_mul_f64 v[48:49], v[38:39], v[176:177]
	v_fmac_f64_e32 v[48:49], v[40:41], v[140:141]
	v_add_f64 v[46:47], v[46:47], v[48:49]
	s_waitcnt vmcnt(10) lgkmcnt(0)
	v_mul_f64 v[48:49], v[42:43], v[166:167]
	v_accvgpr_write_b32 a176, v176
	s_waitcnt vmcnt(8)
	v_fmac_f64_e32 v[48:49], v[44:45], v[168:169]
	v_accvgpr_write_b32 a177, v177
	v_add_f64 v[2:3], v[46:47], v[48:49]
	ds_read_b128 v[46:49], v254 offset:1376
	v_mul_f64 v[4:5], v[116:117], v[174:175]
	buffer_load_dword v175, off, s[0:3], 0 offset:620
	buffer_load_dword v174, off, s[0:3], 0 offset:616
	;; [unrolled: 1-line block ×16, first 2 shown]
	v_fma_f64 v[14:15], v[192:193], v[92:93], -v[50:51]
	buffer_load_dword v182, off, s[0:3], 0 offset:696
	buffer_load_dword v195, off, s[0:3], 0 offset:684
	;; [unrolled: 1-line block ×8, first 2 shown]
	v_mul_f64 v[8:9], v[200:201], v[68:69]
	v_fma_f64 v[10:11], v[198:199], v[70:71], -v[8:9]
	buffer_load_dword v199, off, s[0:3], 0 offset:716
	buffer_load_dword v198, off, s[0:3], 0 offset:712
	;; [unrolled: 1-line block ×4, first 2 shown]
	v_mul_f64 v[12:13], v[208:209], v[74:75]
	v_mul_f64 v[50:51], v[204:205], v[78:79]
	v_fma_f64 v[12:13], v[206:207], v[76:77], -v[12:13]
	buffer_load_dword v204, off, s[0:3], 0 offset:728
	buffer_load_dword v206, off, s[0:3], 0 offset:720
	;; [unrolled: 1-line block ×4, first 2 shown]
	v_fma_f64 v[8:9], v[202:203], v[90:91], -v[50:51]
	v_mul_f64 v[50:51], v[212:213], v[86:87]
	v_fma_f64 v[6:7], v[210:211], v[88:89], -v[50:51]
	buffer_load_dword v203, off, s[0:3], 0 offset:764
	buffer_load_dword v209, off, s[0:3], 0 offset:748
	;; [unrolled: 1-line block ×12, first 2 shown]
	v_mul_f64 v[16:17], v[216:217], v[82:83]
	ds_read_b128 v[50:53], v254 offset:1392
	v_fma_f64 v[16:17], v[214:215], v[84:85], -v[16:17]
	buffer_load_dword v214, off, s[0:3], 0 offset:792
	buffer_load_dword v216, off, s[0:3], 0 offset:784
	;; [unrolled: 1-line block ×4, first 2 shown]
	v_fma_f64 v[18:19], v[114:115], v[60:61], -v[4:5]
	v_fma_f64 v[4:5], v[54:55], v[0:1], -v[56:57]
	ds_read_b128 v[54:57], v254 offset:1408
	s_waitcnt lgkmcnt(2)
	v_mul_f64 v[58:59], v[46:47], v[144:145]
	v_fmac_f64_e32 v[58:59], v[48:49], v[148:149]
	v_add_f64 v[2:3], v[2:3], v[58:59]
	s_waitcnt vmcnt(50) lgkmcnt(1)
	v_mul_f64 v[58:59], v[50:51], v[170:171]
	s_waitcnt vmcnt(48)
	v_fmac_f64_e32 v[58:59], v[52:53], v[172:173]
	v_mul_f64 v[64:65], v[64:65], v[94:95]
	v_add_f64 v[2:3], v[2:3], v[58:59]
	v_fma_f64 v[94:95], v[62:63], v[98:99], -v[64:65]
	ds_read_b128 v[62:65], v254 offset:1440
	s_waitcnt lgkmcnt(1)
	v_mul_f64 v[58:59], v[54:55], v[152:153]
	v_fmac_f64_e32 v[58:59], v[56:57], v[156:157]
	v_add_f64 v[2:3], v[2:3], v[58:59]
	ds_read_b128 v[58:61], v254 offset:1424
	v_mul_f64 v[74:75], v[234:235], v[100:101]
	v_fma_f64 v[232:233], v[232:233], v[102:103], -v[74:75]
	ds_read_b128 v[74:77], v254 offset:1488
	v_mul_f64 v[86:87], v[242:243], v[110:111]
	v_fma_f64 v[0:1], v[240:241], v[112:113], -v[86:87]
	v_add_f64 v[18:19], v[18:19], 0
	v_add_f64 v[18:19], v[18:19], v[224:225]
	;; [unrolled: 1-line block ×11, first 2 shown]
	ds_read_b128 v[86:89], v254 offset:1536
	ds_read_b128 v[90:93], v254 offset:1552
	;; [unrolled: 1-line block ×3, first 2 shown]
	s_waitcnt vmcnt(46) lgkmcnt(4)
	v_mul_f64 v[70:71], v[58:59], v[174:175]
	s_waitcnt vmcnt(44)
	v_fmac_f64_e32 v[70:71], v[60:61], v[178:179]
	v_add_f64 v[2:3], v[2:3], v[70:71]
	v_mul_f64 v[70:71], v[220:221], v[104:105]
	v_fma_f64 v[252:253], v[218:219], v[252:253], -v[70:71]
	ds_read_b128 v[218:221], v254 offset:1456
	s_waitcnt vmcnt(41)
	v_mul_f64 v[70:71], v[62:63], v[176:177]
	s_waitcnt vmcnt(40)
	v_fmac_f64_e32 v[70:71], v[64:65], v[180:181]
	v_add_f64 v[2:3], v[2:3], v[70:71]
	ds_read_b128 v[70:73], v254 offset:1472
	s_waitcnt vmcnt(38) lgkmcnt(1)
	v_mul_f64 v[78:79], v[218:219], v[184:185]
	s_waitcnt vmcnt(36)
	v_fmac_f64_e32 v[78:79], v[220:221], v[188:189]
	v_add_f64 v[2:3], v[2:3], v[78:79]
	v_mul_f64 v[78:79], v[238:239], v[222:223]
	v_fma_f64 v[222:223], v[236:237], v[228:229], -v[78:79]
	ds_read_b128 v[78:81], v254 offset:1504
	s_waitcnt vmcnt(34) lgkmcnt(1)
	v_mul_f64 v[82:83], v[70:71], v[186:187]
	s_waitcnt vmcnt(32)
	v_fmac_f64_e32 v[82:83], v[72:73], v[190:191]
	v_add_f64 v[2:3], v[2:3], v[82:83]
	s_waitcnt vmcnt(29)
	v_mul_f64 v[82:83], v[74:75], v[194:195]
	s_waitcnt vmcnt(27)
	v_fmac_f64_e32 v[82:83], v[76:77], v[196:197]
	v_add_f64 v[2:3], v[2:3], v[82:83]
	s_waitcnt vmcnt(25) lgkmcnt(0)
	v_mul_f64 v[82:83], v[78:79], v[182:183]
	s_waitcnt vmcnt(24)
	v_fmac_f64_e32 v[82:83], v[80:81], v[192:193]
	v_add_f64 v[2:3], v[2:3], v[82:83]
	ds_read_b128 v[82:85], v254 offset:1520
	s_waitcnt vmcnt(13)
	v_mul_f64 v[102:103], v[90:91], v[208:209]
	s_waitcnt vmcnt(11)
	v_fmac_f64_e32 v[102:103], v[92:93], v[68:69]
	v_add_f64 v[4:5], v[4:5], v[252:253]
	v_add_f64 v[4:5], v[4:5], v[232:233]
	s_waitcnt lgkmcnt(0)
	v_mul_f64 v[20:21], v[82:83], v[198:199]
	v_fmac_f64_e32 v[20:21], v[84:85], v[200:201]
	v_add_f64 v[20:21], v[2:3], v[20:21]
	v_mul_f64 v[2:3], v[246:247], v[230:231]
	ds_read_b128 v[228:231], v254 offset:1568
	v_fma_f64 v[2:3], v[244:245], v[66:67], -v[2:3]
	v_mul_f64 v[66:67], v[86:87], v[204:205]
	v_fmac_f64_e32 v[66:67], v[88:89], v[206:207]
	v_add_f64 v[20:21], v[20:21], v[66:67]
	v_add_f64 v[20:21], v[20:21], v[102:103]
	s_waitcnt vmcnt(10) lgkmcnt(0)
	v_mul_f64 v[102:103], v[228:229], v[202:203]
	s_waitcnt vmcnt(8)
	v_fmac_f64_e32 v[102:103], v[230:231], v[210:211]
	v_add_f64 v[20:21], v[20:21], v[102:103]
	s_waitcnt vmcnt(6)
	v_mul_f64 v[102:103], v[98:99], v[212:213]
	s_waitcnt vmcnt(4)
	v_fmac_f64_e32 v[102:103], v[100:101], v[226:227]
	v_mul_f64 v[66:67], v[250:251], v[106:107]
	v_add_f64 v[20:21], v[20:21], v[102:103]
	ds_read_b128 v[102:105], v254 offset:1600
	buffer_load_dword v251, off, s[0:3], 0 offset:812
	buffer_load_dword v250, off, s[0:3], 0 offset:808
	;; [unrolled: 1-line block ×4, first 2 shown]
	v_fma_f64 v[66:67], v[248:249], v[108:109], -v[66:67]
	v_add_f64 v[4:5], v[4:5], v[222:223]
	s_waitcnt vmcnt(5) lgkmcnt(0)
	v_mul_f64 v[106:107], v[102:103], v[214:215]
	s_waitcnt vmcnt(4)
	v_fmac_f64_e32 v[106:107], v[104:105], v[216:217]
	v_add_f64 v[20:21], v[20:21], v[106:107]
	ds_read_b128 v[106:109], v254 offset:1616
	buffer_load_dword v236, off, s[0:3], 0 offset:824
	buffer_load_dword v237, off, s[0:3], 0 offset:828
	buffer_load_dword v238, off, s[0:3], 0 offset:816
	buffer_load_dword v239, off, s[0:3], 0 offset:820
	s_waitcnt vmcnt(6) lgkmcnt(0)
	v_mul_f64 v[110:111], v[106:107], v[250:251]
	s_waitcnt vmcnt(4)
	v_fmac_f64_e32 v[110:111], v[108:109], v[234:235]
	v_add_f64 v[20:21], v[20:21], v[110:111]
	ds_read_b128 v[110:113], v254 offset:1632
	buffer_load_dword v243, off, s[0:3], 0 offset:844
	buffer_load_dword v242, off, s[0:3], 0 offset:840
	buffer_load_dword v245, off, s[0:3], 0 offset:836
	buffer_load_dword v244, off, s[0:3], 0 offset:832
	;; [unrolled: 10-line block ×3, first 2 shown]
	v_add_f64 v[254:255], v[4:5], v[0:1]
	v_add_f64 v[0:1], v[254:255], v[2:3]
	v_accvgpr_read_b32 v2, a158
	v_accvgpr_read_b32 v3, a159
	v_mul_f64 v[2:3], v[136:137], v[2:3]
	v_add_f64 v[0:1], v[0:1], v[66:67]
	v_fma_f64 v[2:3], v[134:135], v[138:139], -v[2:3]
	v_add_f64 v[0:1], v[0:1], v[2:3]
	v_accvgpr_read_b32 v2, a160
	v_accvgpr_read_b32 v3, a161
	v_accvgpr_read_b32 v4, a162
	v_mul_f64 v[2:3], v[132:133], v[2:3]
	v_accvgpr_read_b32 v5, a163
	v_fma_f64 v[2:3], v[130:131], v[4:5], -v[2:3]
	v_add_f64 v[0:1], v[0:1], v[2:3]
	v_mul_f64 v[2:3], v[128:129], v[142:143]
	v_fma_f64 v[2:3], v[126:127], v[146:147], -v[2:3]
	v_add_f64 v[0:1], v[0:1], v[2:3]
	v_accvgpr_read_b32 v2, a164
	v_accvgpr_read_b32 v3, a165
	v_accvgpr_read_b32 v4, a166
	v_mul_f64 v[2:3], v[124:125], v[2:3]
	v_accvgpr_read_b32 v5, a167
	v_fma_f64 v[2:3], v[122:123], v[4:5], -v[2:3]
	v_add_f64 v[0:1], v[0:1], v[2:3]
	v_mul_f64 v[2:3], v[120:121], v[150:151]
	;; [unrolled: 10-line block ×4, first 2 shown]
	v_fma_f64 v[2:3], v[34:35], v[164:165], -v[2:3]
	v_add_f64 v[0:1], v[0:1], v[2:3]
	v_accvgpr_read_b32 v2, a176
	v_accvgpr_read_b32 v3, a177
	v_mul_f64 v[2:3], v[40:41], v[2:3]
	v_fma_f64 v[2:3], v[38:39], v[140:141], -v[2:3]
	v_add_f64 v[0:1], v[0:1], v[2:3]
	v_mul_f64 v[2:3], v[44:45], v[166:167]
	v_fma_f64 v[2:3], v[42:43], v[168:169], -v[2:3]
	v_add_f64 v[0:1], v[0:1], v[2:3]
	;; [unrolled: 3-line block ×19, first 2 shown]
	s_waitcnt vmcnt(6) lgkmcnt(0)
	v_mul_f64 v[2:3], v[116:117], v[242:243]
	v_mul_f64 v[240:241], v[114:115], v[242:243]
	s_waitcnt vmcnt(4)
	v_fma_f64 v[2:3], v[114:115], v[244:245], -v[2:3]
	v_fmac_f64_e32 v[240:241], v[116:117], v[244:245]
	v_add_f64 v[0:1], v[0:1], v[2:3]
	v_accvgpr_read_b32 v255, a155
	v_add_f64 v[240:241], v[20:21], v[240:241]
	s_waitcnt vmcnt(2)
	v_add_f64 v[0:1], v[248:249], -v[0:1]
	v_cmp_lt_u32_e32 vcc, 4, v255
	s_waitcnt vmcnt(0)
	v_add_f64 v[2:3], v[246:247], -v[240:241]
	buffer_store_dword v1, off, s[0:3], 0 offset:100
	buffer_store_dword v0, off, s[0:3], 0 offset:96
	;; [unrolled: 1-line block ×4, first 2 shown]
	s_and_saveexec_b64 s[4:5], vcc
	s_cbranch_execz .LBB51_317
; %bb.316:
	v_accvgpr_read_b32 v3, a151
	buffer_load_dword v0, v3, s[0:3], 0 offen
	buffer_load_dword v1, v3, s[0:3], 0 offen offset:4
	buffer_load_dword v2, v3, s[0:3], 0 offen offset:8
	s_nop 0
	buffer_load_dword v3, v3, s[0:3], 0 offen offset:12
	v_mov_b32_e32 v4, 0
	v_accvgpr_read_b32 v5, a156
	buffer_store_dword v4, off, s[0:3], 0 offset:80
	buffer_store_dword v4, off, s[0:3], 0 offset:84
	;; [unrolled: 1-line block ×4, first 2 shown]
	s_waitcnt vmcnt(4)
	ds_write_b128 v5, v[0:3]
.LBB51_317:
	s_or_b64 exec, exec, s[4:5]
	s_waitcnt lgkmcnt(0)
	; wave barrier
	s_waitcnt lgkmcnt(0)
	buffer_load_dword v48, off, s[0:3], 0 offset:96
	buffer_load_dword v49, off, s[0:3], 0 offset:100
	buffer_load_dword v52, off, s[0:3], 0 offset:104
	buffer_load_dword v53, off, s[0:3], 0 offset:108
	buffer_load_dword v50, off, s[0:3], 0 offset:112
	buffer_load_dword v51, off, s[0:3], 0 offset:116
	buffer_load_dword v54, off, s[0:3], 0 offset:120
	buffer_load_dword v55, off, s[0:3], 0 offset:124
	buffer_load_dword v46, off, s[0:3], 0 offset:136
	buffer_load_dword v47, off, s[0:3], 0 offset:140
	buffer_load_dword v63, off, s[0:3], 0 offset:172
	buffer_load_dword v62, off, s[0:3], 0 offset:168
	buffer_load_dword v57, off, s[0:3], 0 offset:164
	buffer_load_dword v56, off, s[0:3], 0 offset:160
	buffer_load_dword v65, off, s[0:3], 0 offset:156
	buffer_load_dword v64, off, s[0:3], 0 offset:152
	buffer_load_dword v67, off, s[0:3], 0 offset:204
	buffer_load_dword v66, off, s[0:3], 0 offset:200
	buffer_load_dword v69, off, s[0:3], 0 offset:196
	buffer_load_dword v68, off, s[0:3], 0 offset:192
	buffer_load_dword v71, off, s[0:3], 0 offset:188
	buffer_load_dword v70, off, s[0:3], 0 offset:184
	buffer_load_dword v77, off, s[0:3], 0 offset:236
	buffer_load_dword v76, off, s[0:3], 0 offset:232
	buffer_load_dword v74, off, s[0:3], 0 offset:224
	buffer_load_dword v79, off, s[0:3], 0 offset:220
	buffer_load_dword v78, off, s[0:3], 0 offset:216
	buffer_load_dword v73, off, s[0:3], 0 offset:252
	buffer_load_dword v72, off, s[0:3], 0 offset:248
	buffer_load_dword v90, off, s[0:3], 0 offset:128
	buffer_load_dword v91, off, s[0:3], 0 offset:132
	buffer_load_dword v89, off, s[0:3], 0 offset:148
	buffer_load_dword v88, off, s[0:3], 0 offset:144
	buffer_load_dword v83, off, s[0:3], 0 offset:180
	buffer_load_dword v82, off, s[0:3], 0 offset:176
	buffer_load_dword v81, off, s[0:3], 0 offset:212
	buffer_load_dword v80, off, s[0:3], 0 offset:208
	buffer_load_dword v75, off, s[0:3], 0 offset:228
	buffer_load_dword v84, off, s[0:3], 0 offset:264
	buffer_load_dword v86, off, s[0:3], 0 offset:256
	buffer_load_dword v87, off, s[0:3], 0 offset:260
	buffer_load_dword v85, off, s[0:3], 0 offset:268
	v_mov_b32_e32 v254, 0
	buffer_load_dword v99, off, s[0:3], 0 offset:244
	buffer_load_dword v98, off, s[0:3], 0 offset:240
	;; [unrolled: 1-line block ×7, first 2 shown]
	ds_read_b128 v[112:115], v254 offset:912
	ds_read_b128 v[170:173], v254 offset:928
	;; [unrolled: 1-line block ×11, first 2 shown]
	v_cmp_lt_u32_e32 vcc, 3, v255
	s_waitcnt vmcnt(45) lgkmcnt(10)
	v_mul_f64 v[0:1], v[112:113], v[52:53]
	v_fmac_f64_e32 v[0:1], v[114:115], v[48:49]
	v_add_f64 v[0:1], v[0:1], 0
	v_mul_f64 v[52:53], v[114:115], v[52:53]
	s_waitcnt vmcnt(41) lgkmcnt(9)
	v_mul_f64 v[2:3], v[170:171], v[54:55]
	v_fmac_f64_e32 v[2:3], v[172:173], v[50:51]
	s_waitcnt vmcnt(39) lgkmcnt(8)
	v_mul_f64 v[4:5], v[178:179], v[46:47]
	v_add_f64 v[0:1], v[0:1], v[2:3]
	s_waitcnt vmcnt(37) lgkmcnt(6)
	v_mul_f64 v[8:9], v[188:189], v[62:63]
	v_mul_f64 v[46:47], v[180:181], v[46:47]
	s_waitcnt vmcnt(35)
	v_fmac_f64_e32 v[8:9], v[190:191], v[56:57]
	s_waitcnt vmcnt(33)
	v_mul_f64 v[6:7], v[182:183], v[64:65]
	s_waitcnt vmcnt(31) lgkmcnt(4)
	v_mul_f64 v[12:13], v[198:199], v[66:67]
	s_waitcnt vmcnt(29)
	v_fmac_f64_e32 v[12:13], v[200:201], v[68:69]
	s_waitcnt vmcnt(27)
	v_mul_f64 v[10:11], v[194:195], v[70:71]
	s_waitcnt vmcnt(25) lgkmcnt(2)
	v_mul_f64 v[16:17], v[208:209], v[76:77]
	s_waitcnt vmcnt(22)
	v_mul_f64 v[14:15], v[202:203], v[78:79]
	s_waitcnt vmcnt(20) lgkmcnt(1)
	v_mul_f64 v[18:19], v[212:213], v[72:73]
	s_waitcnt vmcnt(18)
	v_fmac_f64_e32 v[4:5], v[180:181], v[90:91]
	v_add_f64 v[0:1], v[0:1], v[4:5]
	s_waitcnt vmcnt(16)
	v_fmac_f64_e32 v[6:7], v[184:185], v[88:89]
	v_add_f64 v[0:1], v[0:1], v[6:7]
	;; [unrolled: 3-line block ×3, first 2 shown]
	v_add_f64 v[0:1], v[0:1], v[10:11]
	s_waitcnt vmcnt(12)
	v_fmac_f64_e32 v[14:15], v[204:205], v[80:81]
	v_add_f64 v[0:1], v[0:1], v[12:13]
	s_waitcnt vmcnt(11)
	v_fmac_f64_e32 v[16:17], v[210:211], v[74:75]
	v_add_f64 v[0:1], v[0:1], v[14:15]
	v_add_f64 v[6:7], v[0:1], v[16:17]
	buffer_load_dword v96, off, s[0:3], 0 offset:280
	buffer_load_dword v221, off, s[0:3], 0 offset:276
	;; [unrolled: 1-line block ×21, first 2 shown]
	s_waitcnt vmcnt(26)
	v_fmac_f64_e32 v[18:19], v[214:215], v[98:99]
	s_waitcnt lgkmcnt(0)
	v_mul_f64 v[8:9], v[58:59], v[84:85]
	v_add_f64 v[6:7], v[6:7], v[18:19]
	v_fmac_f64_e32 v[8:9], v[60:61], v[86:87]
	v_add_f64 v[6:7], v[6:7], v[8:9]
	v_fma_f64 v[90:91], v[178:179], v[90:91], -v[46:47]
	v_mul_f64 v[46:47], v[184:185], v[64:65]
	v_fma_f64 v[64:65], v[182:183], v[88:89], -v[46:47]
	v_mul_f64 v[46:47], v[190:191], v[62:63]
	v_fma_f64 v[62:63], v[188:189], v[56:57], -v[46:47]
	s_waitcnt vmcnt(0)
	v_pk_mov_b32 v[14:15], v[4:5], v[4:5] op_sel:[0,1]
	buffer_load_dword v5, off, s[0:3], 0 offset:388
	buffer_load_dword v4, off, s[0:3], 0 offset:384
	v_accvgpr_write_b32 a159, v15
	v_accvgpr_write_b32 a158, v14
	s_waitcnt vmcnt(0)
	v_pk_mov_b32 v[16:17], v[4:5], v[4:5] op_sel:[0,1]
	buffer_load_dword v105, off, s[0:3], 0 offset:380
	buffer_load_dword v104, off, s[0:3], 0 offset:376
	buffer_load_dword v107, off, s[0:3], 0 offset:372
	buffer_load_dword v106, off, s[0:3], 0 offset:368
	buffer_load_dword v5, off, s[0:3], 0 offset:428
	buffer_load_dword v4, off, s[0:3], 0 offset:424
	v_accvgpr_write_b32 a161, v17
	v_accvgpr_write_b32 a160, v16
	s_waitcnt vmcnt(0)
	v_pk_mov_b32 v[22:23], v[4:5], v[4:5] op_sel:[0,1]
	buffer_load_dword v5, off, s[0:3], 0 offset:420
	buffer_load_dword v4, off, s[0:3], 0 offset:416
	v_accvgpr_write_b32 a163, v23
	v_accvgpr_write_b32 a162, v22
	s_waitcnt vmcnt(0)
	v_pk_mov_b32 v[24:25], v[4:5], v[4:5] op_sel:[0,1]
	buffer_load_dword v139, off, s[0:3], 0 offset:412
	buffer_load_dword v138, off, s[0:3], 0 offset:408
	buffer_load_dword v143, off, s[0:3], 0 offset:404
	buffer_load_dword v142, off, s[0:3], 0 offset:400
	buffer_load_dword v5, off, s[0:3], 0 offset:460
	buffer_load_dword v4, off, s[0:3], 0 offset:456
	v_accvgpr_write_b32 a165, v25
	v_accvgpr_write_b32 a164, v24
	;; [unrolled: 16-line block ×3, first 2 shown]
	s_waitcnt vmcnt(0)
	v_pk_mov_b32 v[38:39], v[4:5], v[4:5] op_sel:[0,1]
	buffer_load_dword v5, off, s[0:3], 0 offset:484
	buffer_load_dword v4, off, s[0:3], 0 offset:480
	v_accvgpr_write_b32 a171, v39
	v_accvgpr_write_b32 a170, v38
	s_waitcnt vmcnt(0)
	v_pk_mov_b32 v[40:41], v[4:5], v[4:5] op_sel:[0,1]
	buffer_load_dword v155, off, s[0:3], 0 offset:476
	buffer_load_dword v154, off, s[0:3], 0 offset:472
	;; [unrolled: 1-line block ×28, first 2 shown]
	ds_read_b128 v[216:219], v254 offset:1088
	ds_read_b128 v[232:235], v254 offset:1104
	;; [unrolled: 1-line block ×6, first 2 shown]
	s_waitcnt lgkmcnt(5)
	v_mul_f64 v[8:9], v[216:217], v[96:97]
	v_fmac_f64_e32 v[8:9], v[218:219], v[220:221]
	v_add_f64 v[6:7], v[6:7], v[8:9]
	s_waitcnt lgkmcnt(4)
	v_mul_f64 v[8:9], v[232:233], v[92:93]
	v_fmac_f64_e32 v[8:9], v[234:235], v[94:95]
	v_add_f64 v[6:7], v[6:7], v[8:9]
	;; [unrolled: 4-line block ×3, first 2 shown]
	s_waitcnt lgkmcnt(2)
	v_mul_f64 v[8:9], v[240:241], v[108:109]
	v_fmac_f64_e32 v[8:9], v[242:243], v[110:111]
	ds_read_b128 v[116:119], v254 offset:1184
	ds_read_b128 v[132:135], v254 offset:1200
	v_add_f64 v[6:7], v[6:7], v[8:9]
	s_waitcnt lgkmcnt(3)
	v_mul_f64 v[8:9], v[244:245], v[206:207]
	v_fmac_f64_e32 v[8:9], v[246:247], v[2:3]
	ds_read_b128 v[128:131], v254 offset:1216
	ds_read_b128 v[124:127], v254 offset:1232
	v_add_f64 v[6:7], v[6:7], v[8:9]
	s_waitcnt lgkmcnt(4)
	v_mul_f64 v[8:9], v[248:249], v[100:101]
	v_fmac_f64_e32 v[8:9], v[250:251], v[102:103]
	v_add_f64 v[6:7], v[6:7], v[8:9]
	s_waitcnt lgkmcnt(3)
	v_mul_f64 v[8:9], v[116:117], v[104:105]
	v_fmac_f64_e32 v[8:9], v[118:119], v[106:107]
	s_waitcnt lgkmcnt(2)
	v_mul_f64 v[12:13], v[132:133], v[14:15]
	v_add_f64 v[10:11], v[6:7], v[8:9]
	v_fmac_f64_e32 v[12:13], v[134:135], v[16:17]
	s_waitcnt lgkmcnt(1)
	v_mul_f64 v[16:17], v[128:129], v[138:139]
	v_add_f64 v[14:15], v[10:11], v[12:13]
	;; [unrolled: 4-line block ×3, first 2 shown]
	ds_read_b128 v[120:123], v254 offset:1248
	v_fmac_f64_e32 v[20:21], v[126:127], v[24:25]
	v_add_f64 v[22:23], v[18:19], v[20:21]
	ds_read_b128 v[18:21], v254 offset:1264
	v_accvgpr_write_b32 a173, v41
	s_waitcnt lgkmcnt(1)
	v_mul_f64 v[24:25], v[120:121], v[146:147]
	v_fmac_f64_e32 v[24:25], v[122:123], v[150:151]
	v_add_f64 v[26:27], v[22:23], v[24:25]
	s_waitcnt lgkmcnt(0)
	v_mul_f64 v[28:29], v[18:19], v[30:31]
	ds_read_b128 v[22:25], v254 offset:1280
	v_fmac_f64_e32 v[28:29], v[20:21], v[32:33]
	v_add_f64 v[30:31], v[26:27], v[28:29]
	ds_read_b128 v[26:29], v254 offset:1296
	v_accvgpr_write_b32 a172, v40
	v_fma_f64 v[14:15], v[112:113], v[48:49], -v[52:53]
	s_waitcnt vmcnt(26) lgkmcnt(1)
	v_mul_f64 v[32:33], v[22:23], v[154:155]
	v_mul_f64 v[48:49], v[172:173], v[54:55]
	s_waitcnt vmcnt(24)
	v_fmac_f64_e32 v[32:33], v[24:25], v[156:157]
	s_waitcnt lgkmcnt(0)
	v_mul_f64 v[36:37], v[26:27], v[38:39]
	v_add_f64 v[34:35], v[30:31], v[32:33]
	ds_read_b128 v[30:33], v254 offset:1312
	v_fmac_f64_e32 v[36:37], v[28:29], v[40:41]
	v_add_f64 v[38:39], v[34:35], v[36:37]
	ds_read_b128 v[34:37], v254 offset:1328
	s_waitcnt vmcnt(22)
	v_accvgpr_write_b32 a175, v5
	s_waitcnt vmcnt(18) lgkmcnt(1)
	v_mul_f64 v[40:41], v[30:31], v[158:159]
	s_waitcnt vmcnt(16)
	v_fmac_f64_e32 v[40:41], v[32:33], v[160:161]
	v_add_f64 v[42:43], v[38:39], v[40:41]
	s_waitcnt lgkmcnt(0)
	v_mul_f64 v[44:45], v[34:35], v[4:5]
	v_fmac_f64_e32 v[44:45], v[36:37], v[136:137]
	ds_read_b128 v[38:41], v254 offset:1344
	v_accvgpr_write_b32 a174, v4
	v_add_f64 v[4:5], v[42:43], v[44:45]
	ds_read_b128 v[42:45], v254 offset:1360
	v_fma_f64 v[112:113], v[170:171], v[50:51], -v[48:49]
	buffer_load_dword v171, off, s[0:3], 0 offset:604
	buffer_load_dword v170, off, s[0:3], 0 offset:600
	;; [unrolled: 1-line block ×24, first 2 shown]
	v_mul_f64 v[50:51], v[196:197], v[70:71]
	ds_read_b128 v[46:49], v254 offset:1376
	v_fma_f64 v[10:11], v[194:195], v[82:83], -v[50:51]
	buffer_load_dword v195, off, s[0:3], 0 offset:700
	buffer_load_dword v194, off, s[0:3], 0 offset:696
	;; [unrolled: 1-line block ×4, first 2 shown]
	v_mul_f64 v[12:13], v[200:201], v[66:67]
	v_fma_f64 v[12:13], v[198:199], v[68:69], -v[12:13]
	buffer_load_dword v198, off, s[0:3], 0 offset:712
	buffer_load_dword v200, off, s[0:3], 0 offset:704
	buffer_load_dword v199, off, s[0:3], 0 offset:716
	buffer_load_dword v201, off, s[0:3], 0 offset:708
	v_mul_f64 v[50:51], v[204:205], v[78:79]
	s_waitcnt vmcnt(42) lgkmcnt(2)
	v_mul_f64 v[8:9], v[38:39], v[162:163]
	v_fma_f64 v[6:7], v[202:203], v[80:81], -v[50:51]
	v_mul_f64 v[50:51], v[214:215], v[72:73]
	s_waitcnt vmcnt(40)
	v_fmac_f64_e32 v[8:9], v[40:41], v[164:165]
	v_mul_f64 v[16:17], v[210:211], v[76:77]
	buffer_load_dword v205, off, s[0:3], 0 offset:732
	buffer_load_dword v204, off, s[0:3], 0 offset:728
	;; [unrolled: 1-line block ×16, first 2 shown]
	v_fma_f64 v[212:213], v[212:213], v[98:99], -v[50:51]
	ds_read_b128 v[50:53], v254 offset:1392
	ds_read_b128 v[54:57], v254 offset:1408
	v_add_f64 v[4:5], v[4:5], v[8:9]
	s_waitcnt lgkmcnt(3)
	v_mul_f64 v[8:9], v[42:43], v[140:141]
	v_fmac_f64_e32 v[8:9], v[44:45], v[144:145]
	v_add_f64 v[4:5], v[4:5], v[8:9]
	s_waitcnt vmcnt(50) lgkmcnt(2)
	v_mul_f64 v[8:9], v[46:47], v[166:167]
	s_waitcnt vmcnt(48)
	v_fmac_f64_e32 v[8:9], v[48:49], v[168:169]
	v_add_f64 v[4:5], v[4:5], v[8:9]
	s_waitcnt lgkmcnt(1)
	v_mul_f64 v[8:9], v[50:51], v[148:149]
	v_fmac_f64_e32 v[8:9], v[52:53], v[152:153]
	v_add_f64 v[4:5], v[4:5], v[8:9]
	v_mul_f64 v[8:9], v[60:61], v[84:85]
	v_fma_f64 v[8:9], v[58:59], v[86:87], -v[8:9]
	ds_read_b128 v[58:61], v254 offset:1424
	v_fma_f64 v[16:17], v[208:209], v[74:75], -v[16:17]
	v_mul_f64 v[70:71], v[234:235], v[92:93]
	v_fma_f64 v[92:93], v[232:233], v[94:95], -v[70:71]
	ds_read_b128 v[82:85], v254 offset:1520
	ds_read_b128 v[86:89], v254 offset:1536
	v_add_f64 v[14:15], v[14:15], 0
	v_add_f64 v[14:15], v[14:15], v[112:113]
	;; [unrolled: 1-line block ×11, first 2 shown]
	v_accvgpr_read_b32 v8, a158
	v_accvgpr_read_b32 v9, a159
	;; [unrolled: 1-line block ×3, first 2 shown]
	v_mul_f64 v[8:9], v[134:135], v[8:9]
	v_accvgpr_read_b32 v11, a161
	v_fma_f64 v[8:9], v[132:133], v[10:11], -v[8:9]
	v_accvgpr_read_b32 v10, a164
	v_accvgpr_read_b32 v11, a165
	ds_read_b128 v[70:73], v254 offset:1472
	s_waitcnt vmcnt(46) lgkmcnt(4)
	v_mul_f64 v[66:67], v[54:55], v[170:171]
	s_waitcnt vmcnt(44)
	v_fmac_f64_e32 v[66:67], v[56:57], v[176:177]
	v_add_f64 v[4:5], v[4:5], v[66:67]
	v_mul_f64 v[66:67], v[218:219], v[96:97]
	v_fma_f64 v[208:209], v[216:217], v[220:221], -v[66:67]
	ds_read_b128 v[218:221], v254 offset:1440
	s_waitcnt vmcnt(41) lgkmcnt(4)
	v_mul_f64 v[66:67], v[58:59], v[172:173]
	s_waitcnt vmcnt(40)
	v_fmac_f64_e32 v[66:67], v[60:61], v[174:175]
	v_add_f64 v[4:5], v[4:5], v[66:67]
	ds_read_b128 v[66:69], v254 offset:1456
	s_waitcnt vmcnt(37) lgkmcnt(1)
	v_mul_f64 v[74:75], v[218:219], v[182:183]
	s_waitcnt vmcnt(35)
	v_fmac_f64_e32 v[74:75], v[220:221], v[184:185]
	v_add_f64 v[4:5], v[4:5], v[74:75]
	v_mul_f64 v[74:75], v[238:239], v[252:253]
	v_fma_f64 v[252:253], v[236:237], v[0:1], -v[74:75]
	ds_read_b128 v[74:77], v254 offset:1488
	s_waitcnt vmcnt(34) lgkmcnt(1)
	v_mul_f64 v[78:79], v[66:67], v[178:179]
	s_waitcnt vmcnt(32)
	v_fmac_f64_e32 v[78:79], v[68:69], v[186:187]
	v_add_f64 v[0:1], v[4:5], v[78:79]
	ds_read_b128 v[78:81], v254 offset:1504
	s_waitcnt vmcnt(29)
	v_mul_f64 v[4:5], v[70:71], v[190:191]
	s_waitcnt vmcnt(27)
	v_fmac_f64_e32 v[4:5], v[72:73], v[192:193]
	v_add_f64 v[0:1], v[0:1], v[4:5]
	s_waitcnt vmcnt(25) lgkmcnt(1)
	v_mul_f64 v[4:5], v[74:75], v[180:181]
	s_waitcnt vmcnt(24)
	v_fmac_f64_e32 v[4:5], v[76:77], v[188:189]
	v_add_f64 v[0:1], v[0:1], v[4:5]
	v_mul_f64 v[4:5], v[242:243], v[108:109]
	v_fma_f64 v[110:111], v[240:241], v[110:111], -v[4:5]
	s_waitcnt vmcnt(22) lgkmcnt(0)
	v_mul_f64 v[4:5], v[78:79], v[194:195]
	s_waitcnt vmcnt(20)
	v_fmac_f64_e32 v[4:5], v[80:81], v[196:197]
	v_add_f64 v[0:1], v[0:1], v[4:5]
	v_mul_f64 v[4:5], v[246:247], v[206:207]
	v_fma_f64 v[206:207], v[244:245], v[2:3], -v[4:5]
	s_waitcnt vmcnt(17)
	v_mul_f64 v[2:3], v[82:83], v[198:199]
	s_waitcnt vmcnt(16)
	v_fmac_f64_e32 v[2:3], v[84:85], v[200:201]
	v_mul_f64 v[4:5], v[118:119], v[104:105]
	v_add_f64 v[0:1], v[0:1], v[2:3]
	ds_read_b128 v[214:217], v254 offset:1552
	ds_read_b128 v[94:97], v254 offset:1568
	v_mul_f64 v[2:3], v[250:251], v[100:101]
	v_fma_f64 v[250:251], v[116:117], v[106:107], -v[4:5]
	ds_read_b128 v[98:101], v254 offset:1584
	buffer_load_dword v5, off, s[0:3], 0 offset:796
	buffer_load_dword v4, off, s[0:3], 0 offset:792
	;; [unrolled: 1-line block ×4, first 2 shown]
	v_fma_f64 v[242:243], v[248:249], v[102:103], -v[2:3]
	ds_read_b128 v[102:105], v254 offset:1600
	buffer_load_dword v234, off, s[0:3], 0 offset:808
	buffer_load_dword v235, off, s[0:3], 0 offset:812
	;; [unrolled: 1-line block ×4, first 2 shown]
	s_waitcnt vmcnt(22)
	v_mul_f64 v[2:3], v[86:87], v[204:205]
	s_waitcnt vmcnt(20)
	v_fmac_f64_e32 v[2:3], v[88:89], v[222:223]
	v_add_f64 v[0:1], v[0:1], v[2:3]
	s_waitcnt vmcnt(18) lgkmcnt(3)
	v_mul_f64 v[2:3], v[214:215], v[210:211]
	s_waitcnt vmcnt(16)
	v_fmac_f64_e32 v[2:3], v[216:217], v[224:225]
	v_add_f64 v[0:1], v[0:1], v[2:3]
	s_waitcnt vmcnt(13) lgkmcnt(2)
	v_mul_f64 v[2:3], v[94:95], v[228:229]
	s_waitcnt vmcnt(11)
	v_fmac_f64_e32 v[2:3], v[96:97], v[230:231]
	ds_read_b128 v[106:109], v254 offset:1616
	buffer_load_dword v239, off, s[0:3], 0 offset:828
	buffer_load_dword v238, off, s[0:3], 0 offset:824
	;; [unrolled: 1-line block ×4, first 2 shown]
	v_add_f64 v[0:1], v[0:1], v[2:3]
	s_waitcnt vmcnt(13) lgkmcnt(2)
	v_mul_f64 v[2:3], v[98:99], v[202:203]
	s_waitcnt vmcnt(12)
	v_fmac_f64_e32 v[2:3], v[100:101], v[226:227]
	v_add_f64 v[0:1], v[0:1], v[2:3]
	v_add_f64 v[6:7], v[6:7], v[208:209]
	;; [unrolled: 1-line block ×9, first 2 shown]
	v_mul_f64 v[8:9], v[130:131], v[138:139]
	v_fma_f64 v[8:9], v[128:129], v[142:143], -v[8:9]
	v_add_f64 v[6:7], v[6:7], v[8:9]
	v_accvgpr_read_b32 v8, a162
	v_accvgpr_read_b32 v9, a163
	v_mul_f64 v[8:9], v[126:127], v[8:9]
	v_fma_f64 v[8:9], v[124:125], v[10:11], -v[8:9]
	v_add_f64 v[6:7], v[6:7], v[8:9]
	v_mul_f64 v[8:9], v[122:123], v[146:147]
	v_fma_f64 v[8:9], v[120:121], v[150:151], -v[8:9]
	v_add_f64 v[6:7], v[6:7], v[8:9]
	v_accvgpr_read_b32 v8, a166
	v_accvgpr_read_b32 v9, a167
	;; [unrolled: 1-line block ×3, first 2 shown]
	v_mul_f64 v[8:9], v[20:21], v[8:9]
	v_accvgpr_read_b32 v11, a169
	v_fma_f64 v[8:9], v[18:19], v[10:11], -v[8:9]
	v_add_f64 v[6:7], v[6:7], v[8:9]
	v_mul_f64 v[8:9], v[24:25], v[154:155]
	v_fma_f64 v[8:9], v[22:23], v[156:157], -v[8:9]
	v_add_f64 v[6:7], v[6:7], v[8:9]
	v_accvgpr_read_b32 v8, a170
	v_accvgpr_read_b32 v9, a171
	;; [unrolled: 1-line block ×3, first 2 shown]
	v_mul_f64 v[8:9], v[28:29], v[8:9]
	v_accvgpr_read_b32 v11, a173
	v_fma_f64 v[8:9], v[26:27], v[10:11], -v[8:9]
	v_add_f64 v[6:7], v[6:7], v[8:9]
	v_mul_f64 v[8:9], v[32:33], v[158:159]
	v_fma_f64 v[8:9], v[30:31], v[160:161], -v[8:9]
	v_add_f64 v[6:7], v[6:7], v[8:9]
	v_accvgpr_read_b32 v8, a174
	v_accvgpr_read_b32 v9, a175
	v_mul_f64 v[8:9], v[36:37], v[8:9]
	v_fma_f64 v[8:9], v[34:35], v[136:137], -v[8:9]
	v_add_f64 v[6:7], v[6:7], v[8:9]
	v_mul_f64 v[8:9], v[40:41], v[162:163]
	v_fma_f64 v[8:9], v[38:39], v[164:165], -v[8:9]
	v_add_f64 v[6:7], v[6:7], v[8:9]
	;; [unrolled: 3-line block ×6, first 2 shown]
	v_mul_f64 v[8:9], v[60:61], v[172:173]
	s_waitcnt vmcnt(10) lgkmcnt(1)
	v_mul_f64 v[2:3], v[102:103], v[4:5]
	v_fma_f64 v[8:9], v[58:59], v[174:175], -v[8:9]
	s_waitcnt vmcnt(8)
	v_fmac_f64_e32 v[2:3], v[104:105], v[232:233]
	v_add_f64 v[0:1], v[0:1], v[2:3]
	s_waitcnt vmcnt(6) lgkmcnt(0)
	v_mul_f64 v[2:3], v[106:107], v[234:235]
	s_waitcnt vmcnt(4)
	v_fmac_f64_e32 v[2:3], v[108:109], v[236:237]
	v_add_f64 v[114:115], v[0:1], v[2:3]
	ds_read_b128 v[0:3], v254 offset:1632
	buffer_load_dword v244, off, s[0:3], 0 offset:840
	buffer_load_dword v245, off, s[0:3], 0 offset:844
	;; [unrolled: 1-line block ×4, first 2 shown]
	v_add_f64 v[6:7], v[6:7], v[8:9]
	v_mul_f64 v[8:9], v[220:221], v[182:183]
	v_fma_f64 v[8:9], v[218:219], v[184:185], -v[8:9]
	v_add_f64 v[6:7], v[6:7], v[8:9]
	s_waitcnt vmcnt(6) lgkmcnt(0)
	v_mul_f64 v[116:117], v[0:1], v[238:239]
	v_mul_f64 v[8:9], v[68:69], v[178:179]
	s_waitcnt vmcnt(4)
	v_fmac_f64_e32 v[116:117], v[2:3], v[240:241]
	v_add_f64 v[118:119], v[114:115], v[116:117]
	ds_read_b128 v[114:117], v254 offset:1648
	v_fma_f64 v[8:9], v[66:67], v[186:187], -v[8:9]
	v_add_f64 v[6:7], v[6:7], v[8:9]
	v_mul_f64 v[8:9], v[72:73], v[190:191]
	v_fma_f64 v[8:9], v[70:71], v[192:193], -v[8:9]
	v_add_f64 v[6:7], v[6:7], v[8:9]
	v_mul_f64 v[8:9], v[76:77], v[180:181]
	;; [unrolled: 3-line block ×8, first 2 shown]
	v_fma_f64 v[8:9], v[98:99], v[226:227], -v[8:9]
	v_mul_f64 v[4:5], v[104:105], v[4:5]
	v_add_f64 v[6:7], v[6:7], v[8:9]
	v_fma_f64 v[4:5], v[102:103], v[232:233], -v[4:5]
	v_add_f64 v[4:5], v[6:7], v[4:5]
	v_mul_f64 v[6:7], v[108:109], v[234:235]
	v_fma_f64 v[6:7], v[106:107], v[236:237], -v[6:7]
	v_mul_f64 v[2:3], v[2:3], v[238:239]
	v_add_f64 v[4:5], v[4:5], v[6:7]
	v_fma_f64 v[0:1], v[0:1], v[240:241], -v[2:3]
	v_add_f64 v[0:1], v[4:5], v[0:1]
	s_waitcnt vmcnt(2) lgkmcnt(0)
	v_mul_f64 v[248:249], v[114:115], v[244:245]
	v_mul_f64 v[2:3], v[116:117], v[244:245]
	s_waitcnt vmcnt(0)
	v_fmac_f64_e32 v[248:249], v[116:117], v[246:247]
	v_add_f64 v[118:119], v[118:119], v[248:249]
	buffer_load_dword v248, off, s[0:3], 0 offset:80
	buffer_load_dword v249, off, s[0:3], 0 offset:84
	;; [unrolled: 1-line block ×4, first 2 shown]
	v_fma_f64 v[2:3], v[114:115], v[246:247], -v[2:3]
	v_add_f64 v[0:1], v[0:1], v[2:3]
	s_waitcnt vmcnt(2)
	v_add_f64 v[0:1], v[248:249], -v[0:1]
	s_waitcnt vmcnt(0)
	v_add_f64 v[2:3], v[212:213], -v[118:119]
	buffer_store_dword v1, off, s[0:3], 0 offset:84
	buffer_store_dword v0, off, s[0:3], 0 offset:80
	;; [unrolled: 1-line block ×4, first 2 shown]
	s_and_saveexec_b64 s[4:5], vcc
	s_cbranch_execz .LBB51_319
; %bb.318:
	v_accvgpr_read_b32 v3, a152
	buffer_load_dword v0, v3, s[0:3], 0 offen
	buffer_load_dword v1, v3, s[0:3], 0 offen offset:4
	buffer_load_dword v2, v3, s[0:3], 0 offen offset:8
	s_nop 0
	buffer_load_dword v3, v3, s[0:3], 0 offen offset:12
	v_accvgpr_read_b32 v4, a156
	buffer_store_dword v254, off, s[0:3], 0 offset:64
	buffer_store_dword v254, off, s[0:3], 0 offset:68
	;; [unrolled: 1-line block ×4, first 2 shown]
	s_waitcnt vmcnt(4)
	ds_write_b128 v4, v[0:3]
.LBB51_319:
	s_or_b64 exec, exec, s[4:5]
	s_waitcnt lgkmcnt(0)
	; wave barrier
	s_waitcnt lgkmcnt(0)
	buffer_load_dword v42, off, s[0:3], 0 offset:80
	buffer_load_dword v43, off, s[0:3], 0 offset:84
	;; [unrolled: 1-line block ×42, first 2 shown]
	ds_read_b128 v[110:113], v254 offset:896
	ds_read_b128 v[114:117], v254 offset:912
	;; [unrolled: 1-line block ×10, first 2 shown]
	buffer_load_dword v223, off, s[0:3], 0 offset:228
	buffer_load_dword v222, off, s[0:3], 0 offset:224
	ds_read_b128 v[50:53], v254 offset:1056
	buffer_load_dword v89, off, s[0:3], 0 offset:284
	buffer_load_dword v88, off, s[0:3], 0 offset:280
	;; [unrolled: 1-line block ×8, first 2 shown]
	s_waitcnt vmcnt(48) lgkmcnt(10)
	v_mul_f64 v[0:1], v[110:111], v[48:49]
	v_fmac_f64_e32 v[0:1], v[112:113], v[42:43]
	v_add_f64 v[0:1], v[0:1], 0
	v_mul_f64 v[48:49], v[112:113], v[48:49]
	s_waitcnt vmcnt(44) lgkmcnt(9)
	v_mul_f64 v[2:3], v[114:115], v[54:55]
	v_fmac_f64_e32 v[2:3], v[116:117], v[44:45]
	s_waitcnt vmcnt(42) lgkmcnt(8)
	v_mul_f64 v[4:5], v[174:175], v[46:47]
	v_add_f64 v[0:1], v[0:1], v[2:3]
	s_waitcnt vmcnt(40) lgkmcnt(6)
	v_mul_f64 v[8:9], v[186:187], v[58:59]
	v_mul_f64 v[46:47], v[176:177], v[46:47]
	s_waitcnt vmcnt(38)
	v_fmac_f64_e32 v[8:9], v[188:189], v[56:57]
	s_waitcnt vmcnt(36)
	v_mul_f64 v[6:7], v[178:179], v[60:61]
	s_waitcnt vmcnt(34) lgkmcnt(4)
	v_mul_f64 v[12:13], v[194:195], v[224:225]
	s_waitcnt vmcnt(32)
	v_fmac_f64_e32 v[12:13], v[196:197], v[64:65]
	s_waitcnt vmcnt(30)
	v_mul_f64 v[10:11], v[190:191], v[66:67]
	s_waitcnt vmcnt(28) lgkmcnt(2)
	v_mul_f64 v[16:17], v[202:203], v[68:69]
	s_waitcnt vmcnt(25)
	v_mul_f64 v[14:15], v[198:199], v[74:75]
	s_waitcnt vmcnt(23) lgkmcnt(1)
	v_mul_f64 v[18:19], v[208:209], v[72:73]
	s_waitcnt vmcnt(21)
	v_fmac_f64_e32 v[4:5], v[176:177], v[82:83]
	v_add_f64 v[0:1], v[0:1], v[4:5]
	s_waitcnt vmcnt(19)
	v_fmac_f64_e32 v[6:7], v[180:181], v[80:81]
	v_add_f64 v[0:1], v[0:1], v[6:7]
	;; [unrolled: 3-line block ×3, first 2 shown]
	v_add_f64 v[0:1], v[0:1], v[10:11]
	s_waitcnt vmcnt(15)
	v_fmac_f64_e32 v[14:15], v[200:201], v[76:77]
	v_add_f64 v[0:1], v[0:1], v[12:13]
	s_waitcnt vmcnt(14)
	v_fmac_f64_e32 v[16:17], v[204:205], v[70:71]
	v_add_f64 v[0:1], v[0:1], v[14:15]
	v_add_f64 v[6:7], v[0:1], v[16:17]
	buffer_load_dword v107, off, s[0:3], 0 offset:316
	buffer_load_dword v106, off, s[0:3], 0 offset:312
	;; [unrolled: 1-line block ×26, first 2 shown]
	s_waitcnt vmcnt(34)
	v_fmac_f64_e32 v[18:19], v[210:211], v[222:223]
	v_add_f64 v[6:7], v[6:7], v[18:19]
	v_fma_f64 v[226:227], v[174:175], v[82:83], -v[46:47]
	v_mul_f64 v[46:47], v[180:181], v[60:61]
	v_fma_f64 v[80:81], v[178:179], v[80:81], -v[46:47]
	v_mul_f64 v[46:47], v[188:189], v[58:59]
	;; [unrolled: 2-line block ×3, first 2 shown]
	s_waitcnt vmcnt(0)
	v_pk_mov_b32 v[20:21], v[4:5], v[4:5] op_sel:[0,1]
	buffer_load_dword v5, off, s[0:3], 0 offset:404
	buffer_load_dword v9, off, s[0:3], 0 offset:396
	;; [unrolled: 1-line block ×3, first 2 shown]
	v_accvgpr_write_b32 a163, v21
	v_accvgpr_write_b32 a162, v20
	s_waitcnt vmcnt(0)
	v_pk_mov_b32 v[14:15], v[8:9], v[8:9] op_sel:[0,1]
	buffer_load_dword v9, off, s[0:3], 0 offset:388
	buffer_load_dword v8, off, s[0:3], 0 offset:384
	;; [unrolled: 1-line block ×3, first 2 shown]
	v_accvgpr_write_b32 a159, v15
	v_accvgpr_write_b32 a158, v14
	s_waitcnt vmcnt(1)
	v_pk_mov_b32 v[16:17], v[8:9], v[8:9] op_sel:[0,1]
	s_waitcnt vmcnt(0)
	v_pk_mov_b32 v[22:23], v[4:5], v[4:5] op_sel:[0,1]
	buffer_load_dword v5, off, s[0:3], 0 offset:444
	buffer_load_dword v4, off, s[0:3], 0 offset:440
	v_accvgpr_write_b32 a161, v17
	v_accvgpr_write_b32 a160, v16
	;; [unrolled: 1-line block ×4, first 2 shown]
	s_waitcnt vmcnt(0)
	v_pk_mov_b32 v[26:27], v[4:5], v[4:5] op_sel:[0,1]
	buffer_load_dword v5, off, s[0:3], 0 offset:436
	buffer_load_dword v9, off, s[0:3], 0 offset:428
	;; [unrolled: 1-line block ×6, first 2 shown]
	v_accvgpr_write_b32 a169, v27
	v_accvgpr_write_b32 a168, v26
	s_waitcnt vmcnt(3)
	v_pk_mov_b32 v[24:25], v[8:9], v[8:9] op_sel:[0,1]
	s_waitcnt vmcnt(0)
	v_pk_mov_b32 v[28:29], v[4:5], v[4:5] op_sel:[0,1]
	buffer_load_dword v5, off, s[0:3], 0 offset:476
	buffer_load_dword v4, off, s[0:3], 0 offset:472
	s_waitcnt lgkmcnt(0)
	v_mul_f64 v[8:9], v[50:51], v[84:85]
	v_fmac_f64_e32 v[8:9], v[52:53], v[86:87]
	v_add_f64 v[6:7], v[6:7], v[8:9]
	v_accvgpr_write_b32 a167, v25
	v_accvgpr_write_b32 a166, v24
	;; [unrolled: 1-line block ×4, first 2 shown]
	v_mul_f64 v[52:53], v[52:53], v[84:85]
	s_waitcnt vmcnt(0)
	v_pk_mov_b32 v[34:35], v[4:5], v[4:5] op_sel:[0,1]
	buffer_load_dword v5, off, s[0:3], 0 offset:468
	buffer_load_dword v149, off, s[0:3], 0 offset:460
	;; [unrolled: 1-line block ×6, first 2 shown]
	v_accvgpr_write_b32 a173, v35
	v_accvgpr_write_b32 a172, v34
	s_waitcnt vmcnt(0)
	v_pk_mov_b32 v[36:37], v[4:5], v[4:5] op_sel:[0,1]
	buffer_load_dword v5, off, s[0:3], 0 offset:508
	buffer_load_dword v4, off, s[0:3], 0 offset:504
	v_accvgpr_write_b32 a175, v37
	v_accvgpr_write_b32 a174, v36
	s_waitcnt vmcnt(0)
	v_pk_mov_b32 v[38:39], v[4:5], v[4:5] op_sel:[0,1]
	buffer_load_dword v5, off, s[0:3], 0 offset:500
	buffer_load_dword v153, off, s[0:3], 0 offset:492
	;; [unrolled: 1-line block ×20, first 2 shown]
	ds_read_b128 v[212:215], v254 offset:1072
	ds_read_b128 v[216:219], v254 offset:1088
	ds_read_b128 v[232:235], v254 offset:1104
	ds_read_b128 v[236:239], v254 offset:1120
	ds_read_b128 v[240:243], v254 offset:1136
	ds_read_b128 v[244:247], v254 offset:1152
	s_waitcnt lgkmcnt(5)
	v_mul_f64 v[8:9], v[212:213], v[96:97]
	v_fmac_f64_e32 v[8:9], v[214:215], v[252:253]
	v_add_f64 v[6:7], v[6:7], v[8:9]
	s_waitcnt lgkmcnt(4)
	v_mul_f64 v[8:9], v[216:217], v[88:89]
	v_fmac_f64_e32 v[8:9], v[218:219], v[90:91]
	v_add_f64 v[6:7], v[6:7], v[8:9]
	;; [unrolled: 4-line block ×3, first 2 shown]
	s_waitcnt lgkmcnt(2)
	v_mul_f64 v[8:9], v[236:237], v[106:107]
	v_fmac_f64_e32 v[8:9], v[238:239], v[108:109]
	ds_read_b128 v[248:251], v254 offset:1168
	ds_read_b128 v[118:121], v254 offset:1184
	v_add_f64 v[6:7], v[6:7], v[8:9]
	s_waitcnt lgkmcnt(3)
	v_mul_f64 v[8:9], v[240:241], v[2:3]
	v_fmac_f64_e32 v[8:9], v[242:243], v[62:63]
	v_add_f64 v[6:7], v[6:7], v[8:9]
	s_waitcnt lgkmcnt(2)
	v_mul_f64 v[8:9], v[244:245], v[92:93]
	ds_read_b128 v[138:141], v254 offset:1200
	ds_read_b128 v[134:137], v254 offset:1216
	v_fmac_f64_e32 v[8:9], v[246:247], v[94:95]
	v_add_f64 v[6:7], v[6:7], v[8:9]
	s_waitcnt lgkmcnt(3)
	v_mul_f64 v[8:9], v[248:249], v[102:103]
	ds_read_b128 v[130:133], v254 offset:1232
	ds_read_b128 v[126:129], v254 offset:1248
	v_fmac_f64_e32 v[8:9], v[250:251], v[104:105]
	v_add_f64 v[6:7], v[6:7], v[8:9]
	s_waitcnt lgkmcnt(4)
	v_mul_f64 v[8:9], v[118:119], v[98:99]
	v_fmac_f64_e32 v[8:9], v[120:121], v[100:101]
	s_waitcnt lgkmcnt(3)
	v_mul_f64 v[12:13], v[138:139], v[14:15]
	v_add_f64 v[10:11], v[6:7], v[8:9]
	v_fmac_f64_e32 v[12:13], v[140:141], v[16:17]
	s_waitcnt lgkmcnt(2)
	v_mul_f64 v[16:17], v[134:135], v[20:21]
	ds_read_b128 v[122:125], v254 offset:1264
	v_add_f64 v[14:15], v[10:11], v[12:13]
	v_fmac_f64_e32 v[16:17], v[136:137], v[22:23]
	s_waitcnt lgkmcnt(2)
	v_mul_f64 v[20:21], v[130:131], v[24:25]
	v_add_f64 v[18:19], v[14:15], v[16:17]
	v_fmac_f64_e32 v[20:21], v[132:133], v[144:145]
	s_waitcnt lgkmcnt(1)
	v_mul_f64 v[24:25], v[126:127], v[26:27]
	v_add_f64 v[22:23], v[18:19], v[20:21]
	v_fmac_f64_e32 v[24:25], v[128:129], v[28:29]
	v_add_f64 v[26:27], v[22:23], v[24:25]
	ds_read_b128 v[22:25], v254 offset:1280
	s_waitcnt lgkmcnt(1)
	v_mul_f64 v[28:29], v[122:123], v[148:149]
	v_fmac_f64_e32 v[28:29], v[124:125], v[150:151]
	v_add_f64 v[30:31], v[26:27], v[28:29]
	ds_read_b128 v[26:29], v254 offset:1296
	s_waitcnt lgkmcnt(1)
	v_mul_f64 v[32:33], v[22:23], v[34:35]
	v_fmac_f64_e32 v[32:33], v[24:25], v[36:37]
	v_add_f64 v[34:35], v[30:31], v[32:33]
	ds_read_b128 v[30:33], v254 offset:1312
	v_accvgpr_write_b32 a177, v39
	v_accvgpr_write_b32 a176, v38
	v_mul_f64 v[8:9], v[116:117], v[54:55]
	v_fma_f64 v[14:15], v[110:111], v[42:43], -v[48:49]
	s_waitcnt vmcnt(17) lgkmcnt(1)
	v_mul_f64 v[36:37], v[26:27], v[152:153]
	s_waitcnt lgkmcnt(0)
	v_mul_f64 v[166:167], v[30:31], v[38:39]
	s_waitcnt vmcnt(15)
	v_fmac_f64_e32 v[36:37], v[28:29], v[154:155]
	v_add_f64 v[164:165], v[34:35], v[36:37]
	ds_read_b128 v[34:37], v254 offset:1328
	ds_read_b128 v[38:41], v254 offset:1344
	s_waitcnt vmcnt(14)
	v_fmac_f64_e32 v[166:167], v[32:33], v[4:5]
	v_add_f64 v[164:165], v[164:165], v[166:167]
	v_accvgpr_write_b32 a179, v5
	s_waitcnt vmcnt(9) lgkmcnt(1)
	v_mul_f64 v[166:167], v[34:35], v[156:157]
	s_waitcnt vmcnt(7)
	v_fmac_f64_e32 v[166:167], v[36:37], v[160:161]
	v_add_f64 v[164:165], v[164:165], v[166:167]
	s_waitcnt lgkmcnt(0)
	v_mul_f64 v[166:167], v[38:39], v[220:221]
	s_waitcnt vmcnt(6)
	v_fmac_f64_e32 v[166:167], v[40:41], v[142:143]
	v_accvgpr_write_b32 a178, v4
	v_add_f64 v[4:5], v[164:165], v[166:167]
	buffer_load_dword v167, off, s[0:3], 0 offset:564
	buffer_load_dword v166, off, s[0:3], 0 offset:560
	;; [unrolled: 1-line block ×10, first 2 shown]
	v_fma_f64 v[10:11], v[114:115], v[44:45], -v[8:9]
	ds_read_b128 v[42:45], v254 offset:1360
	buffer_load_dword v175, off, s[0:3], 0 offset:620
	buffer_load_dword v174, off, s[0:3], 0 offset:616
	buffer_load_dword v177, off, s[0:3], 0 offset:612
	buffer_load_dword v176, off, s[0:3], 0 offset:608
	buffer_load_dword v179, off, s[0:3], 0 offset:636
	buffer_load_dword v178, off, s[0:3], 0 offset:632
	buffer_load_dword v183, off, s[0:3], 0 offset:628
	buffer_load_dword v182, off, s[0:3], 0 offset:624
	buffer_load_dword v181, off, s[0:3], 0 offset:652
	buffer_load_dword v180, off, s[0:3], 0 offset:648
	buffer_load_dword v185, off, s[0:3], 0 offset:644
	buffer_load_dword v184, off, s[0:3], 0 offset:640
	buffer_load_dword v186, off, s[0:3], 0 offset:664
	v_fma_f64 v[110:111], v[190:191], v[78:79], -v[46:47]
	buffer_load_dword v190, off, s[0:3], 0 offset:656
	buffer_load_dword v187, off, s[0:3], 0 offset:668
	;; [unrolled: 1-line block ×3, first 2 shown]
	v_mul_f64 v[46:47], v[196:197], v[224:225]
	v_fma_f64 v[112:113], v[194:195], v[64:65], -v[46:47]
	buffer_load_dword v78, off, s[0:3], 0 offset:696
	buffer_load_dword v195, off, s[0:3], 0 offset:684
	buffer_load_dword v194, off, s[0:3], 0 offset:680
	buffer_load_dword v197, off, s[0:3], 0 offset:676
	buffer_load_dword v196, off, s[0:3], 0 offset:672
	buffer_load_dword v192, off, s[0:3], 0 offset:688
	buffer_load_dword v79, off, s[0:3], 0 offset:700
	buffer_load_dword v193, off, s[0:3], 0 offset:692
	v_mul_f64 v[48:49], v[200:201], v[74:75]
	v_fma_f64 v[8:9], v[198:199], v[76:77], -v[48:49]
	buffer_load_dword v199, off, s[0:3], 0 offset:716
	buffer_load_dword v198, off, s[0:3], 0 offset:712
	;; [unrolled: 1-line block ×4, first 2 shown]
	v_mul_f64 v[12:13], v[204:205], v[68:69]
	v_mul_f64 v[48:49], v[210:211], v[72:73]
	buffer_load_dword v205, off, s[0:3], 0 offset:732
	buffer_load_dword v204, off, s[0:3], 0 offset:728
	;; [unrolled: 1-line block ×4, first 2 shown]
	v_fma_f64 v[12:13], v[202:203], v[70:71], -v[12:13]
	v_fma_f64 v[208:209], v[208:209], v[222:223], -v[48:49]
	buffer_load_dword v202, off, s[0:3], 0 offset:760
	buffer_load_dword v225, off, s[0:3], 0 offset:748
	;; [unrolled: 1-line block ×12, first 2 shown]
	s_waitcnt vmcnt(56) lgkmcnt(0)
	v_mul_f64 v[46:47], v[42:43], v[158:159]
	s_waitcnt vmcnt(54)
	v_fmac_f64_e32 v[46:47], v[44:45], v[162:163]
	v_add_f64 v[4:5], v[4:5], v[46:47]
	ds_read_b128 v[46:49], v254 offset:1376
	v_fma_f64 v[6:7], v[50:51], v[86:87], -v[52:53]
	ds_read_b128 v[50:53], v254 offset:1392
	v_mul_f64 v[54:55], v[214:215], v[96:97]
	v_fma_f64 v[212:213], v[212:213], v[252:253], -v[54:55]
	ds_read_b128 v[54:57], v254 offset:1408
	ds_read_b128 v[58:61], v254 offset:1424
	s_waitcnt lgkmcnt(3)
	v_mul_f64 v[16:17], v[46:47], v[146:147]
	v_mul_f64 v[0:1], v[234:235], v[0:1]
	v_fma_f64 v[206:207], v[232:233], v[206:207], -v[0:1]
	ds_read_b128 v[18:21], v254 offset:1504
	v_mul_f64 v[86:87], v[246:247], v[92:93]
	ds_read_b128 v[66:69], v254 offset:1456
	ds_read_b128 v[74:77], v254 offset:1488
	s_waitcnt vmcnt(52)
	v_fmac_f64_e32 v[16:17], v[48:49], v[166:167]
	v_add_f64 v[4:5], v[4:5], v[16:17]
	s_waitcnt vmcnt(49) lgkmcnt(5)
	v_mul_f64 v[16:17], v[50:51], v[170:171]
	s_waitcnt vmcnt(47)
	v_fmac_f64_e32 v[16:17], v[52:53], v[172:173]
	v_add_f64 v[4:5], v[4:5], v[16:17]
	s_waitcnt vmcnt(45) lgkmcnt(4)
	v_mul_f64 v[16:17], v[54:55], v[164:165]
	s_waitcnt vmcnt(44)
	v_fmac_f64_e32 v[16:17], v[56:57], v[168:169]
	v_add_f64 v[4:5], v[4:5], v[16:17]
	v_mul_f64 v[16:17], v[218:219], v[88:89]
	v_fma_f64 v[16:17], v[216:217], v[90:91], -v[16:17]
	ds_read_b128 v[214:217], v254 offset:1440
	s_waitcnt vmcnt(42) lgkmcnt(4)
	v_mul_f64 v[70:71], v[58:59], v[174:175]
	s_waitcnt vmcnt(40)
	v_fmac_f64_e32 v[70:71], v[60:61], v[176:177]
	v_add_f64 v[0:1], v[4:5], v[70:71]
	ds_read_b128 v[70:73], v254 offset:1472
	s_waitcnt vmcnt(38) lgkmcnt(1)
	v_mul_f64 v[4:5], v[214:215], v[178:179]
	s_waitcnt vmcnt(36)
	v_fmac_f64_e32 v[4:5], v[216:217], v[182:183]
	v_add_f64 v[0:1], v[0:1], v[4:5]
	s_waitcnt vmcnt(34)
	v_mul_f64 v[4:5], v[66:67], v[180:181]
	s_waitcnt vmcnt(32)
	v_fmac_f64_e32 v[4:5], v[68:69], v[184:185]
	s_waitcnt vmcnt(29) lgkmcnt(0)
	v_mul_f64 v[82:83], v[70:71], v[186:187]
	v_add_f64 v[4:5], v[0:1], v[4:5]
	s_waitcnt vmcnt(28)
	v_fmac_f64_e32 v[82:83], v[72:73], v[190:191]
	v_mul_f64 v[0:1], v[238:239], v[106:107]
	v_add_f64 v[4:5], v[4:5], v[82:83]
	s_waitcnt vmcnt(25)
	v_mul_f64 v[82:83], v[74:75], v[194:195]
	v_fma_f64 v[218:219], v[236:237], v[108:109], -v[0:1]
	v_mul_f64 v[0:1], v[242:243], v[2:3]
	s_waitcnt vmcnt(23)
	v_fmac_f64_e32 v[82:83], v[76:77], v[196:197]
	v_fma_f64 v[62:63], v[240:241], v[62:63], -v[0:1]
	v_add_f64 v[4:5], v[4:5], v[82:83]
	v_fma_f64 v[0:1], v[244:245], v[94:95], -v[86:87]
	ds_read_b128 v[86:89], v254 offset:1536
	s_waitcnt vmcnt(21)
	v_mul_f64 v[82:83], v[18:19], v[78:79]
	s_waitcnt vmcnt(20)
	v_fmac_f64_e32 v[82:83], v[20:21], v[192:193]
	v_add_f64 v[4:5], v[4:5], v[82:83]
	ds_read_b128 v[82:85], v254 offset:1520
	v_mul_f64 v[90:91], v[250:251], v[102:103]
	v_fma_f64 v[250:251], v[248:249], v[104:105], -v[90:91]
	ds_read_b128 v[90:93], v254 offset:1552
	ds_read_b128 v[94:97], v254 offset:1568
	s_waitcnt vmcnt(18) lgkmcnt(2)
	v_mul_f64 v[2:3], v[82:83], v[198:199]
	s_waitcnt vmcnt(16)
	v_fmac_f64_e32 v[2:3], v[84:85], v[200:201]
	v_add_f64 v[2:3], v[4:5], v[2:3]
	s_waitcnt vmcnt(14)
	v_mul_f64 v[4:5], v[86:87], v[204:205]
	s_waitcnt vmcnt(12)
	v_fmac_f64_e32 v[4:5], v[88:89], v[210:211]
	v_add_f64 v[2:3], v[2:3], v[4:5]
	v_mul_f64 v[4:5], v[120:121], v[98:99]
	v_fma_f64 v[252:253], v[118:119], v[100:101], -v[4:5]
	ds_read_b128 v[98:101], v254 offset:1584
	s_waitcnt vmcnt(9) lgkmcnt(2)
	v_mul_f64 v[4:5], v[90:91], v[224:225]
	s_waitcnt vmcnt(7)
	v_fmac_f64_e32 v[4:5], v[92:93], v[228:229]
	v_add_f64 v[2:3], v[2:3], v[4:5]
	s_waitcnt vmcnt(5) lgkmcnt(1)
	v_mul_f64 v[4:5], v[94:95], v[202:203]
	s_waitcnt vmcnt(4)
	v_fmac_f64_e32 v[4:5], v[96:97], v[222:223]
	v_add_f64 v[2:3], v[2:3], v[4:5]
	;; [unrolled: 5-line block ×3, first 2 shown]
	buffer_load_dword v4, off, s[0:3], 0 offset:792
	buffer_load_dword v5, off, s[0:3], 0 offset:796
	;; [unrolled: 1-line block ×4, first 2 shown]
	ds_read_b128 v[102:105], v254 offset:1600
	buffer_load_dword v235, off, s[0:3], 0 offset:812
	buffer_load_dword v234, off, s[0:3], 0 offset:808
	;; [unrolled: 1-line block ×4, first 2 shown]
	s_waitcnt vmcnt(6) lgkmcnt(0)
	v_mul_f64 v[106:107], v[102:103], v[4:5]
	s_waitcnt vmcnt(4)
	v_fmac_f64_e32 v[106:107], v[104:105], v[232:233]
	v_add_f64 v[2:3], v[2:3], v[106:107]
	ds_read_b128 v[106:109], v254 offset:1616
	buffer_load_dword v238, off, s[0:3], 0 offset:824
	buffer_load_dword v239, off, s[0:3], 0 offset:828
	;; [unrolled: 1-line block ×4, first 2 shown]
	ds_read_b128 v[118:121], v254 offset:1632
	buffer_load_dword v245, off, s[0:3], 0 offset:844
	buffer_load_dword v244, off, s[0:3], 0 offset:840
	;; [unrolled: 1-line block ×4, first 2 shown]
	s_waitcnt vmcnt(10) lgkmcnt(1)
	v_mul_f64 v[114:115], v[106:107], v[234:235]
	s_waitcnt vmcnt(8)
	v_fmac_f64_e32 v[114:115], v[108:109], v[236:237]
	v_add_f64 v[2:3], v[2:3], v[114:115]
	s_waitcnt vmcnt(6) lgkmcnt(0)
	v_mul_f64 v[114:115], v[118:119], v[238:239]
	s_waitcnt vmcnt(4)
	v_fmac_f64_e32 v[114:115], v[120:121], v[240:241]
	v_add_f64 v[2:3], v[2:3], v[114:115]
	ds_read_b128 v[114:117], v254 offset:1648
	s_waitcnt vmcnt(2) lgkmcnt(0)
	v_mul_f64 v[242:243], v[114:115], v[244:245]
	s_waitcnt vmcnt(0)
	v_fmac_f64_e32 v[242:243], v[116:117], v[246:247]
	v_add_f64 v[242:243], v[2:3], v[242:243]
	v_add_f64 v[2:3], v[14:15], 0
	;; [unrolled: 1-line block ×13, first 2 shown]
	buffer_load_dword v248, off, s[0:3], 0 offset:64
	buffer_load_dword v249, off, s[0:3], 0 offset:68
	;; [unrolled: 1-line block ×4, first 2 shown]
	v_add_f64 v[2:3], v[2:3], v[16:17]
	v_add_f64 v[2:3], v[2:3], v[206:207]
	v_add_f64 v[2:3], v[2:3], v[218:219]
	v_add_f64 v[2:3], v[2:3], v[62:63]
	v_add_f64 v[254:255], v[2:3], v[0:1]
	v_accvgpr_read_b32 v2, a158
	v_accvgpr_read_b32 v3, a159
	;; [unrolled: 1-line block ×3, first 2 shown]
	v_add_f64 v[0:1], v[254:255], v[250:251]
	v_mul_f64 v[2:3], v[140:141], v[2:3]
	v_accvgpr_read_b32 v7, a161
	v_add_f64 v[0:1], v[0:1], v[252:253]
	v_fma_f64 v[2:3], v[138:139], v[6:7], -v[2:3]
	v_add_f64 v[0:1], v[0:1], v[2:3]
	v_accvgpr_read_b32 v2, a162
	v_accvgpr_read_b32 v3, a163
	;; [unrolled: 1-line block ×3, first 2 shown]
	v_mul_f64 v[2:3], v[136:137], v[2:3]
	v_accvgpr_read_b32 v7, a165
	v_fma_f64 v[2:3], v[134:135], v[6:7], -v[2:3]
	v_add_f64 v[0:1], v[0:1], v[2:3]
	v_accvgpr_read_b32 v2, a166
	v_accvgpr_read_b32 v3, a167
	v_mul_f64 v[2:3], v[132:133], v[2:3]
	v_fma_f64 v[2:3], v[130:131], v[144:145], -v[2:3]
	v_add_f64 v[0:1], v[0:1], v[2:3]
	v_accvgpr_read_b32 v2, a168
	v_accvgpr_read_b32 v3, a169
	v_accvgpr_read_b32 v6, a170
	v_mul_f64 v[2:3], v[128:129], v[2:3]
	v_accvgpr_read_b32 v7, a171
	v_fma_f64 v[2:3], v[126:127], v[6:7], -v[2:3]
	v_add_f64 v[0:1], v[0:1], v[2:3]
	v_mul_f64 v[2:3], v[124:125], v[148:149]
	v_fma_f64 v[2:3], v[122:123], v[150:151], -v[2:3]
	v_add_f64 v[0:1], v[0:1], v[2:3]
	v_accvgpr_read_b32 v2, a172
	v_accvgpr_read_b32 v3, a173
	v_accvgpr_read_b32 v6, a174
	v_mul_f64 v[2:3], v[24:25], v[2:3]
	v_accvgpr_read_b32 v7, a175
	v_fma_f64 v[2:3], v[22:23], v[6:7], -v[2:3]
	v_add_f64 v[0:1], v[0:1], v[2:3]
	;; [unrolled: 10-line block ×3, first 2 shown]
	v_mul_f64 v[2:3], v[36:37], v[156:157]
	v_fma_f64 v[2:3], v[34:35], v[160:161], -v[2:3]
	v_add_f64 v[0:1], v[0:1], v[2:3]
	v_mul_f64 v[2:3], v[40:41], v[220:221]
	v_fma_f64 v[2:3], v[38:39], v[142:143], -v[2:3]
	v_add_f64 v[0:1], v[0:1], v[2:3]
	;; [unrolled: 3-line block ×21, first 2 shown]
	s_waitcnt vmcnt(2)
	v_add_f64 v[0:1], v[248:249], -v[0:1]
	s_waitcnt vmcnt(0)
	v_add_f64 v[2:3], v[212:213], -v[242:243]
	buffer_store_dword v1, off, s[0:3], 0 offset:68
	buffer_store_dword v0, off, s[0:3], 0 offset:64
	;; [unrolled: 1-line block ×4, first 2 shown]
	v_accvgpr_read_b32 v0, a155
	v_cmp_lt_u32_e32 vcc, 2, v0
	s_and_saveexec_b64 s[4:5], vcc
	s_cbranch_execz .LBB51_321
; %bb.320:
	v_accvgpr_read_b32 v3, a153
	buffer_load_dword v0, v3, s[0:3], 0 offen
	buffer_load_dword v1, v3, s[0:3], 0 offen offset:4
	buffer_load_dword v2, v3, s[0:3], 0 offen offset:8
	s_nop 0
	buffer_load_dword v3, v3, s[0:3], 0 offen offset:12
	v_mov_b32_e32 v4, 0
	v_accvgpr_read_b32 v5, a156
	buffer_store_dword v4, off, s[0:3], 0 offset:48
	buffer_store_dword v4, off, s[0:3], 0 offset:52
	;; [unrolled: 1-line block ×4, first 2 shown]
	s_waitcnt vmcnt(4)
	ds_write_b128 v5, v[0:3]
.LBB51_321:
	s_or_b64 exec, exec, s[4:5]
	s_waitcnt lgkmcnt(0)
	; wave barrier
	s_waitcnt lgkmcnt(0)
	buffer_load_dword v38, off, s[0:3], 0 offset:64
	buffer_load_dword v39, off, s[0:3], 0 offset:68
	;; [unrolled: 1-line block ×42, first 2 shown]
	v_mov_b32_e32 v212, 0
	buffer_load_dword v99, off, s[0:3], 0 offset:212
	buffer_load_dword v98, off, s[0:3], 0 offset:208
	;; [unrolled: 1-line block ×7, first 2 shown]
	ds_read_b128 v[108:111], v212 offset:880
	ds_read_b128 v[112:115], v212 offset:896
	;; [unrolled: 1-line block ×11, first 2 shown]
	s_waitcnt vmcnt(45) lgkmcnt(10)
	v_mul_f64 v[0:1], v[108:109], v[40:41]
	v_fmac_f64_e32 v[0:1], v[110:111], v[38:39]
	v_add_f64 v[0:1], v[0:1], 0
	v_mul_f64 v[40:41], v[110:111], v[40:41]
	s_waitcnt vmcnt(41) lgkmcnt(9)
	v_mul_f64 v[2:3], v[112:113], v[46:47]
	v_fmac_f64_e32 v[2:3], v[114:115], v[44:45]
	s_waitcnt vmcnt(39) lgkmcnt(8)
	v_mul_f64 v[4:5], v[136:137], v[42:43]
	v_add_f64 v[0:1], v[0:1], v[2:3]
	s_waitcnt vmcnt(37) lgkmcnt(6)
	v_mul_f64 v[8:9], v[146:147], v[48:49]
	v_mul_f64 v[42:43], v[138:139], v[42:43]
	s_waitcnt vmcnt(35)
	v_fmac_f64_e32 v[8:9], v[148:149], v[50:51]
	s_waitcnt vmcnt(33)
	v_mul_f64 v[6:7], v[140:141], v[52:53]
	s_waitcnt vmcnt(31) lgkmcnt(4)
	v_mul_f64 v[12:13], v[156:157], v[56:57]
	s_waitcnt vmcnt(29)
	v_fmac_f64_e32 v[12:13], v[158:159], v[54:55]
	s_waitcnt vmcnt(27)
	v_mul_f64 v[10:11], v[150:151], v[58:59]
	s_waitcnt vmcnt(25) lgkmcnt(2)
	v_mul_f64 v[16:17], v[164:165], v[64:65]
	s_waitcnt vmcnt(22)
	v_mul_f64 v[14:15], v[160:161], v[66:67]
	s_waitcnt vmcnt(20) lgkmcnt(1)
	v_mul_f64 v[18:19], v[168:169], v[60:61]
	s_waitcnt vmcnt(18)
	v_fmac_f64_e32 v[4:5], v[138:139], v[74:75]
	v_add_f64 v[0:1], v[0:1], v[4:5]
	s_waitcnt vmcnt(16)
	v_fmac_f64_e32 v[6:7], v[142:143], v[72:73]
	v_add_f64 v[0:1], v[0:1], v[6:7]
	;; [unrolled: 3-line block ×3, first 2 shown]
	v_add_f64 v[0:1], v[0:1], v[10:11]
	s_waitcnt vmcnt(12)
	v_fmac_f64_e32 v[14:15], v[162:163], v[68:69]
	v_add_f64 v[0:1], v[0:1], v[12:13]
	s_waitcnt vmcnt(11)
	v_fmac_f64_e32 v[16:17], v[166:167], v[62:63]
	v_add_f64 v[0:1], v[0:1], v[14:15]
	v_add_f64 v[2:3], v[0:1], v[16:17]
	buffer_load_dword v84, off, s[0:3], 0 offset:248
	buffer_load_dword v117, off, s[0:3], 0 offset:244
	;; [unrolled: 1-line block ×29, first 2 shown]
	s_waitcnt vmcnt(34)
	v_fmac_f64_e32 v[18:19], v[170:171], v[98:99]
	s_waitcnt lgkmcnt(0)
	v_mul_f64 v[6:7], v[172:173], v[76:77]
	v_add_f64 v[2:3], v[2:3], v[18:19]
	v_fmac_f64_e32 v[6:7], v[174:175], v[82:83]
	v_add_f64 v[2:3], v[2:3], v[6:7]
	v_fma_f64 v[74:75], v[136:137], v[74:75], -v[42:43]
	v_mul_f64 v[42:43], v[142:143], v[52:53]
	v_fma_f64 v[176:177], v[140:141], v[72:73], -v[42:43]
	v_mul_f64 v[52:53], v[170:171], v[60:61]
	s_waitcnt vmcnt(0)
	v_pk_mov_b32 v[8:9], v[4:5], v[4:5] op_sel:[0,1]
	buffer_load_dword v5, off, s[0:3], 0 offset:388
	buffer_load_dword v4, off, s[0:3], 0 offset:384
	v_accvgpr_write_b32 a159, v9
	v_accvgpr_write_b32 a158, v8
	s_waitcnt vmcnt(0)
	v_pk_mov_b32 v[12:13], v[4:5], v[4:5] op_sel:[0,1]
	buffer_load_dword v95, off, s[0:3], 0 offset:380
	buffer_load_dword v94, off, s[0:3], 0 offset:376
	buffer_load_dword v97, off, s[0:3], 0 offset:372
	buffer_load_dword v96, off, s[0:3], 0 offset:368
	buffer_load_dword v5, off, s[0:3], 0 offset:428
	buffer_load_dword v4, off, s[0:3], 0 offset:424
	v_accvgpr_write_b32 a161, v13
	v_accvgpr_write_b32 a160, v12
	s_waitcnt vmcnt(0)
	v_pk_mov_b32 v[16:17], v[4:5], v[4:5] op_sel:[0,1]
	buffer_load_dword v5, off, s[0:3], 0 offset:420
	buffer_load_dword v4, off, s[0:3], 0 offset:416
	v_accvgpr_write_b32 a163, v17
	v_accvgpr_write_b32 a162, v16
	s_waitcnt vmcnt(0)
	v_pk_mov_b32 v[20:21], v[4:5], v[4:5] op_sel:[0,1]
	buffer_load_dword v239, off, s[0:3], 0 offset:412
	buffer_load_dword v238, off, s[0:3], 0 offset:408
	buffer_load_dword v243, off, s[0:3], 0 offset:404
	buffer_load_dword v242, off, s[0:3], 0 offset:400
	buffer_load_dword v5, off, s[0:3], 0 offset:460
	buffer_load_dword v4, off, s[0:3], 0 offset:456
	v_accvgpr_write_b32 a165, v21
	v_accvgpr_write_b32 a164, v20
	;; [unrolled: 16-line block ×4, first 2 shown]
	s_waitcnt vmcnt(0)
	v_pk_mov_b32 v[132:133], v[4:5], v[4:5] op_sel:[0,1]
	buffer_load_dword v5, off, s[0:3], 0 offset:516
	buffer_load_dword v4, off, s[0:3], 0 offset:512
	;; [unrolled: 1-line block ×14, first 2 shown]
	ds_read_b128 v[180:183], v212 offset:1056
	ds_read_b128 v[184:187], v212 offset:1072
	;; [unrolled: 1-line block ×6, first 2 shown]
	s_waitcnt lgkmcnt(5)
	v_mul_f64 v[6:7], v[180:181], v[84:85]
	v_fmac_f64_e32 v[6:7], v[182:183], v[116:117]
	v_add_f64 v[2:3], v[2:3], v[6:7]
	s_waitcnt lgkmcnt(4)
	v_mul_f64 v[6:7], v[184:185], v[78:79]
	v_fmac_f64_e32 v[6:7], v[186:187], v[80:81]
	v_add_f64 v[2:3], v[2:3], v[6:7]
	;; [unrolled: 4-line block ×3, first 2 shown]
	s_waitcnt lgkmcnt(2)
	v_mul_f64 v[6:7], v[192:193], v[104:105]
	v_fmac_f64_e32 v[6:7], v[194:195], v[106:107]
	ds_read_b128 v[204:207], v212 offset:1152
	ds_read_b128 v[208:211], v212 offset:1168
	v_add_f64 v[2:3], v[2:3], v[6:7]
	s_waitcnt lgkmcnt(3)
	v_mul_f64 v[6:7], v[196:197], v[128:129]
	v_fmac_f64_e32 v[6:7], v[198:199], v[0:1]
	v_add_f64 v[2:3], v[2:3], v[6:7]
	s_waitcnt lgkmcnt(2)
	v_mul_f64 v[6:7], v[200:201], v[86:87]
	v_fmac_f64_e32 v[6:7], v[202:203], v[88:89]
	ds_read_b128 v[214:217], v212 offset:1184
	ds_read_b128 v[118:121], v212 offset:1200
	v_add_f64 v[2:3], v[2:3], v[6:7]
	s_waitcnt lgkmcnt(3)
	v_mul_f64 v[6:7], v[204:205], v[100:101]
	v_fmac_f64_e32 v[6:7], v[206:207], v[102:103]
	ds_read_b128 v[222:225], v212 offset:1216
	ds_read_b128 v[226:229], v212 offset:1232
	;; [unrolled: 6-line block ×3, first 2 shown]
	v_add_f64 v[2:3], v[2:3], v[6:7]
	s_waitcnt lgkmcnt(5)
	v_mul_f64 v[6:7], v[214:215], v[94:95]
	v_fmac_f64_e32 v[6:7], v[216:217], v[96:97]
	s_waitcnt lgkmcnt(4)
	v_mul_f64 v[10:11], v[118:119], v[8:9]
	v_add_f64 v[2:3], v[2:3], v[6:7]
	v_fmac_f64_e32 v[10:11], v[120:121], v[12:13]
	s_waitcnt lgkmcnt(3)
	v_mul_f64 v[14:15], v[222:223], v[238:239]
	v_add_f64 v[2:3], v[2:3], v[10:11]
	;; [unrolled: 4-line block ×5, first 2 shown]
	ds_read_b128 v[22:25], v212 offset:1280
	v_fmac_f64_e32 v[26:27], v[236:237], v[30:31]
	v_add_f64 v[2:3], v[2:3], v[26:27]
	ds_read_b128 v[26:29], v212 offset:1296
	v_fma_f64 v[18:19], v[108:109], v[38:39], -v[40:41]
	s_waitcnt lgkmcnt(1)
	v_mul_f64 v[30:31], v[22:23], v[250:251]
	v_fmac_f64_e32 v[30:31], v[24:25], v[252:253]
	v_add_f64 v[2:3], v[2:3], v[30:31]
	s_waitcnt lgkmcnt(0)
	v_mul_f64 v[34:35], v[26:27], v[36:37]
	v_fmac_f64_e32 v[34:35], v[28:29], v[130:131]
	ds_read_b128 v[30:33], v212 offset:1312
	v_add_f64 v[2:3], v[2:3], v[34:35]
	ds_read_b128 v[34:37], v212 offset:1328
	ds_read_b128 v[38:41], v212 offset:1344
	buffer_load_dword v21, off, s[0:3], 0 offset:572
	buffer_load_dword v20, off, s[0:3], 0 offset:568
	;; [unrolled: 1-line block ×4, first 2 shown]
	s_waitcnt vmcnt(14) lgkmcnt(2)
	v_mul_f64 v[108:109], v[30:31], v[254:255]
	v_accvgpr_write_b32 a175, v133
	s_waitcnt vmcnt(12)
	v_fmac_f64_e32 v[108:109], v[32:33], v[122:123]
	v_add_f64 v[2:3], v[2:3], v[108:109]
	s_waitcnt lgkmcnt(1)
	v_mul_f64 v[108:109], v[34:35], v[132:133]
	v_accvgpr_write_b32 a174, v132
	buffer_load_dword v132, off, s[0:3], 0 offset:584
	buffer_load_dword v134, off, s[0:3], 0 offset:576
	buffer_load_dword v133, off, s[0:3], 0 offset:588
	buffer_load_dword v135, off, s[0:3], 0 offset:580
	buffer_load_dword v137, off, s[0:3], 0 offset:620
	buffer_load_dword v139, off, s[0:3], 0 offset:604
	buffer_load_dword v138, off, s[0:3], 0 offset:600
	buffer_load_dword v145, off, s[0:3], 0 offset:596
	buffer_load_dword v144, off, s[0:3], 0 offset:592
	buffer_load_dword v136, off, s[0:3], 0 offset:616
	buffer_load_dword v143, off, s[0:3], 0 offset:612
	buffer_load_dword v142, off, s[0:3], 0 offset:608
	v_fmac_f64_e32 v[108:109], v[36:37], v[4:5]
	s_waitcnt vmcnt(18) lgkmcnt(0)
	v_mul_f64 v[110:111], v[38:39], v[124:125]
	v_add_f64 v[108:109], v[2:3], v[108:109]
	s_waitcnt vmcnt(16)
	v_fmac_f64_e32 v[110:111], v[40:41], v[126:127]
	v_mul_f64 v[2:3], v[114:115], v[46:47]
	v_mul_f64 v[46:47], v[148:149], v[48:49]
	v_fma_f64 v[16:17], v[112:113], v[44:45], -v[2:3]
	v_add_f64 v[108:109], v[108:109], v[110:111]
	ds_read_b128 v[42:45], v212 offset:1360
	v_fma_f64 v[110:111], v[146:147], v[50:51], -v[46:47]
	buffer_load_dword v140, off, s[0:3], 0 offset:648
	buffer_load_dword v147, off, s[0:3], 0 offset:636
	;; [unrolled: 1-line block ×5, first 2 shown]
	v_mul_f64 v[46:47], v[152:153], v[58:59]
	v_fma_f64 v[112:113], v[150:151], v[70:71], -v[46:47]
	buffer_load_dword v150, off, s[0:3], 0 offset:640
	buffer_load_dword v141, off, s[0:3], 0 offset:652
	;; [unrolled: 1-line block ×7, first 2 shown]
	v_mul_f64 v[46:47], v[158:159], v[56:57]
	v_fma_f64 v[14:15], v[156:157], v[54:55], -v[46:47]
	v_mul_f64 v[46:47], v[162:163], v[66:67]
	v_fma_f64 v[12:13], v[160:161], v[68:69], -v[46:47]
	buffer_load_dword v158, off, s[0:3], 0 offset:680
	buffer_load_dword v160, off, s[0:3], 0 offset:672
	;; [unrolled: 1-line block ×4, first 2 shown]
	v_mul_f64 v[46:47], v[166:167], v[64:65]
	v_fma_f64 v[10:11], v[164:165], v[62:63], -v[46:47]
	buffer_load_dword v157, off, s[0:3], 0 offset:716
	buffer_load_dword v163, off, s[0:3], 0 offset:700
	;; [unrolled: 1-line block ×8, first 2 shown]
	ds_read_b128 v[46:49], v212 offset:1376
	v_fma_f64 v[8:9], v[168:169], v[98:99], -v[52:53]
	buffer_load_dword v169, off, s[0:3], 0 offset:732
	buffer_load_dword v168, off, s[0:3], 0 offset:728
	;; [unrolled: 1-line block ×4, first 2 shown]
	v_mul_f64 v[52:53], v[174:175], v[76:77]
	v_fma_f64 v[6:7], v[172:173], v[82:83], -v[52:53]
	buffer_load_dword v172, off, s[0:3], 0 offset:744
	buffer_load_dword v174, off, s[0:3], 0 offset:736
	;; [unrolled: 1-line block ×8, first 2 shown]
	v_accvgpr_write_b32 a177, v5
	s_waitcnt lgkmcnt(1)
	v_mul_f64 v[50:51], v[42:43], v[240:241]
	v_mul_f64 v[52:53], v[182:183], v[84:85]
	v_accvgpr_write_b32 a176, v4
	v_fmac_f64_e32 v[50:51], v[44:45], v[244:245]
	v_fma_f64 v[4:5], v[180:181], v[116:117], -v[52:53]
	v_add_f64 v[50:51], v[108:109], v[50:51]
	buffer_load_dword v180, off, s[0:3], 0 offset:776
	buffer_load_dword v182, off, s[0:3], 0 offset:768
	;; [unrolled: 1-line block ×4, first 2 shown]
	v_mul_f64 v[54:55], v[186:187], v[78:79]
	v_fma_f64 v[184:185], v[184:185], v[80:81], -v[54:55]
	ds_read_b128 v[54:57], v212 offset:1408
	v_mul_f64 v[58:59], v[190:191], v[218:219]
	v_fma_f64 v[186:187], v[188:189], v[220:221], -v[58:59]
	ds_read_b128 v[58:61], v212 offset:1424
	;; [unrolled: 3-line block ×6, first 2 shown]
	v_mul_f64 v[94:95], v[216:217], v[94:95]
	v_fma_f64 v[94:95], v[214:215], v[96:97], -v[94:95]
	v_accvgpr_write_b32 a179, v95
	v_accvgpr_write_b32 a178, v94
	v_add_f64 v[18:19], v[18:19], 0
	v_add_f64 v[16:17], v[18:19], v[16:17]
	v_add_f64 v[16:17], v[16:17], v[74:75]
	v_add_f64 v[16:17], v[16:17], v[176:177]
	v_add_f64 v[16:17], v[16:17], v[110:111]
	v_add_f64 v[16:17], v[16:17], v[112:113]
	ds_read_b128 v[70:73], v212 offset:1472
	v_add_f64 v[14:15], v[16:17], v[14:15]
	v_add_f64 v[12:13], v[14:15], v[12:13]
	;; [unrolled: 1-line block ×3, first 2 shown]
	s_waitcnt vmcnt(54) lgkmcnt(7)
	v_mul_f64 v[52:53], v[46:47], v[20:21]
	v_add_f64 v[8:9], v[10:11], v[8:9]
	s_waitcnt vmcnt(52)
	v_fmac_f64_e32 v[52:53], v[48:49], v[130:131]
	v_add_f64 v[62:63], v[50:51], v[52:53]
	ds_read_b128 v[50:53], v212 offset:1392
	v_add_f64 v[6:7], v[8:9], v[6:7]
	v_add_f64 v[4:5], v[6:7], v[4:5]
	;; [unrolled: 1-line block ×4, first 2 shown]
	s_waitcnt vmcnt(49) lgkmcnt(0)
	v_mul_f64 v[64:65], v[50:51], v[132:133]
	s_waitcnt vmcnt(48)
	v_fmac_f64_e32 v[64:65], v[52:53], v[134:135]
	v_add_f64 v[62:63], v[62:63], v[64:65]
	s_waitcnt vmcnt(45)
	v_mul_f64 v[64:65], v[54:55], v[138:139]
	s_waitcnt vmcnt(43)
	v_fmac_f64_e32 v[64:65], v[56:57], v[144:145]
	v_add_f64 v[62:63], v[62:63], v[64:65]
	s_waitcnt vmcnt(42)
	v_mul_f64 v[64:65], v[58:59], v[136:137]
	s_waitcnt vmcnt(40)
	v_fmac_f64_e32 v[64:65], v[60:61], v[142:143]
	v_add_f64 v[78:79], v[62:63], v[64:65]
	ds_read_b128 v[62:65], v212 offset:1440
	ds_read_b128 v[94:97], v212 offset:1568
	v_add_f64 v[4:5], v[4:5], v[188:189]
	v_add_f64 v[2:3], v[4:5], v[2:3]
	v_accvgpr_read_b32 v4, a160
	s_waitcnt vmcnt(37) lgkmcnt(1)
	v_mul_f64 v[80:81], v[62:63], v[146:147]
	s_waitcnt vmcnt(35)
	v_fmac_f64_e32 v[80:81], v[64:65], v[148:149]
	v_add_f64 v[78:79], v[78:79], v[80:81]
	s_waitcnt vmcnt(33)
	v_mul_f64 v[80:81], v[66:67], v[140:141]
	s_waitcnt vmcnt(32)
	v_fmac_f64_e32 v[80:81], v[68:69], v[150:151]
	v_add_f64 v[78:79], v[78:79], v[80:81]
	s_waitcnt vmcnt(30)
	v_mul_f64 v[80:81], v[70:71], v[152:153]
	s_waitcnt vmcnt(28)
	v_fmac_f64_e32 v[80:81], v[72:73], v[154:155]
	v_add_f64 v[98:99], v[78:79], v[80:81]
	v_mul_f64 v[78:79], v[202:203], v[86:87]
	v_fma_f64 v[202:203], v[200:201], v[88:89], -v[78:79]
	ds_read_b128 v[78:81], v212 offset:1504
	s_waitcnt vmcnt(25)
	v_mul_f64 v[86:87], v[218:219], v[158:159]
	s_waitcnt vmcnt(24)
	v_fmac_f64_e32 v[86:87], v[220:221], v[160:161]
	v_add_f64 v[86:87], v[98:99], v[86:87]
	v_add_f64 v[2:3], v[2:3], v[202:203]
	s_waitcnt vmcnt(21) lgkmcnt(0)
	v_mul_f64 v[88:89], v[78:79], v[162:163]
	s_waitcnt vmcnt(19)
	v_fmac_f64_e32 v[88:89], v[80:81], v[166:167]
	v_add_f64 v[86:87], v[86:87], v[88:89]
	s_waitcnt vmcnt(18)
	v_mul_f64 v[88:89], v[82:83], v[156:157]
	s_waitcnt vmcnt(16)
	v_fmac_f64_e32 v[88:89], v[84:85], v[164:165]
	v_add_f64 v[98:99], v[86:87], v[88:89]
	ds_read_b128 v[86:89], v212 offset:1536
	v_add_f64 v[2:3], v[2:3], v[204:205]
	v_add_f64 v[0:1], v[2:3], v[0:1]
	v_accvgpr_read_b32 v2, a178
	v_accvgpr_read_b32 v3, a179
	s_waitcnt vmcnt(14) lgkmcnt(0)
	v_mul_f64 v[100:101], v[86:87], v[168:169]
	s_waitcnt vmcnt(12)
	v_fmac_f64_e32 v[100:101], v[88:89], v[170:171]
	v_add_f64 v[98:99], v[98:99], v[100:101]
	s_waitcnt vmcnt(9)
	v_mul_f64 v[100:101], v[90:91], v[172:173]
	s_waitcnt vmcnt(8)
	v_fmac_f64_e32 v[100:101], v[92:93], v[174:175]
	v_add_f64 v[98:99], v[98:99], v[100:101]
	s_waitcnt vmcnt(6)
	v_mul_f64 v[100:101], v[94:95], v[76:77]
	s_waitcnt vmcnt(4)
	v_fmac_f64_e32 v[100:101], v[96:97], v[178:179]
	v_add_f64 v[102:103], v[98:99], v[100:101]
	ds_read_b128 v[98:101], v212 offset:1584
	buffer_load_dword v209, off, s[0:3], 0 offset:796
	buffer_load_dword v208, off, s[0:3], 0 offset:792
	;; [unrolled: 1-line block ×4, first 2 shown]
	v_add_f64 v[0:1], v[0:1], v[2:3]
	v_accvgpr_read_b32 v2, a158
	v_accvgpr_read_b32 v3, a159
	s_waitcnt vmcnt(5) lgkmcnt(0)
	v_mul_f64 v[104:105], v[98:99], v[180:181]
	s_waitcnt vmcnt(4)
	v_fmac_f64_e32 v[104:105], v[100:101], v[182:183]
	v_add_f64 v[106:107], v[102:103], v[104:105]
	ds_read_b128 v[102:105], v212 offset:1600
	buffer_load_dword v210, off, s[0:3], 0 offset:808
	buffer_load_dword v211, off, s[0:3], 0 offset:812
	;; [unrolled: 1-line block ×4, first 2 shown]
	v_mul_f64 v[2:3], v[120:121], v[2:3]
	v_accvgpr_read_b32 v5, a161
	v_fma_f64 v[2:3], v[118:119], v[4:5], -v[2:3]
	v_add_f64 v[0:1], v[0:1], v[2:3]
	v_mul_f64 v[2:3], v[224:225], v[238:239]
	v_fma_f64 v[2:3], v[222:223], v[242:243], -v[2:3]
	v_add_f64 v[0:1], v[0:1], v[2:3]
	v_accvgpr_read_b32 v2, a162
	v_accvgpr_read_b32 v3, a163
	v_accvgpr_read_b32 v4, a164
	v_mul_f64 v[2:3], v[228:229], v[2:3]
	v_accvgpr_read_b32 v5, a165
	v_fma_f64 v[2:3], v[226:227], v[4:5], -v[2:3]
	v_add_f64 v[0:1], v[0:1], v[2:3]
	v_mul_f64 v[2:3], v[232:233], v[246:247]
	v_fma_f64 v[2:3], v[230:231], v[248:249], -v[2:3]
	v_add_f64 v[0:1], v[0:1], v[2:3]
	v_accvgpr_read_b32 v2, a166
	v_accvgpr_read_b32 v3, a167
	v_accvgpr_read_b32 v4, a168
	;; [unrolled: 10-line block ×4, first 2 shown]
	v_mul_f64 v[2:3], v[36:37], v[2:3]
	v_accvgpr_read_b32 v5, a177
	v_fma_f64 v[2:3], v[34:35], v[4:5], -v[2:3]
	v_add_f64 v[0:1], v[0:1], v[2:3]
	v_mul_f64 v[2:3], v[40:41], v[124:125]
	v_fma_f64 v[2:3], v[38:39], v[126:127], -v[2:3]
	v_add_f64 v[0:1], v[0:1], v[2:3]
	v_mul_f64 v[2:3], v[44:45], v[240:241]
	;; [unrolled: 3-line block ×9, first 2 shown]
	s_waitcnt vmcnt(6) lgkmcnt(0)
	v_mul_f64 v[108:109], v[102:103], v[208:209]
	v_fma_f64 v[2:3], v[70:71], v[154:155], -v[2:3]
	s_waitcnt vmcnt(4)
	v_fmac_f64_e32 v[108:109], v[104:105], v[128:129]
	v_add_f64 v[114:115], v[106:107], v[108:109]
	ds_read_b128 v[106:109], v212 offset:1616
	buffer_load_dword v193, off, s[0:3], 0 offset:828
	buffer_load_dword v192, off, s[0:3], 0 offset:824
	;; [unrolled: 1-line block ×4, first 2 shown]
	ds_read_b128 v[214:217], v212 offset:1632
	buffer_load_dword v198, off, s[0:3], 0 offset:840
	buffer_load_dword v199, off, s[0:3], 0 offset:844
	;; [unrolled: 1-line block ×4, first 2 shown]
	v_add_f64 v[0:1], v[0:1], v[2:3]
	s_waitcnt vmcnt(10) lgkmcnt(1)
	v_mul_f64 v[116:117], v[106:107], v[210:211]
	s_waitcnt vmcnt(8)
	v_fmac_f64_e32 v[116:117], v[108:109], v[190:191]
	v_add_f64 v[114:115], v[114:115], v[116:117]
	v_mul_f64 v[2:3], v[220:221], v[158:159]
	v_fma_f64 v[2:3], v[218:219], v[160:161], -v[2:3]
	v_add_f64 v[0:1], v[0:1], v[2:3]
	v_mul_f64 v[2:3], v[80:81], v[162:163]
	v_fma_f64 v[2:3], v[78:79], v[166:167], -v[2:3]
	;; [unrolled: 3-line block ×9, first 2 shown]
	v_add_f64 v[0:1], v[0:1], v[2:3]
	s_waitcnt vmcnt(6) lgkmcnt(0)
	v_mul_f64 v[116:117], v[214:215], v[192:193]
	v_mul_f64 v[2:3], v[216:217], v[192:193]
	s_waitcnt vmcnt(4)
	v_fmac_f64_e32 v[116:117], v[216:217], v[194:195]
	v_add_f64 v[196:197], v[114:115], v[116:117]
	ds_read_b128 v[114:117], v212 offset:1648
	buffer_load_dword v204, off, s[0:3], 0 offset:48
	buffer_load_dword v205, off, s[0:3], 0 offset:52
	;; [unrolled: 1-line block ×4, first 2 shown]
	v_fma_f64 v[2:3], v[214:215], v[194:195], -v[2:3]
	v_add_f64 v[0:1], v[0:1], v[2:3]
	s_waitcnt vmcnt(6) lgkmcnt(0)
	v_mul_f64 v[2:3], v[116:117], v[198:199]
	v_mul_f64 v[206:207], v[114:115], v[198:199]
	s_waitcnt vmcnt(4)
	v_fma_f64 v[2:3], v[114:115], v[200:201], -v[2:3]
	v_fmac_f64_e32 v[206:207], v[116:117], v[200:201]
	v_add_f64 v[0:1], v[0:1], v[2:3]
	v_add_f64 v[196:197], v[196:197], v[206:207]
	s_waitcnt vmcnt(2)
	v_add_f64 v[0:1], v[204:205], -v[0:1]
	s_waitcnt vmcnt(0)
	v_add_f64 v[2:3], v[202:203], -v[196:197]
	buffer_store_dword v1, off, s[0:3], 0 offset:52
	buffer_store_dword v0, off, s[0:3], 0 offset:48
	;; [unrolled: 1-line block ×4, first 2 shown]
	v_accvgpr_read_b32 v0, a155
	v_cmp_lt_u32_e32 vcc, 1, v0
	s_and_saveexec_b64 s[4:5], vcc
	s_cbranch_execz .LBB51_323
; %bb.322:
	v_accvgpr_read_b32 v3, a154
	buffer_load_dword v0, v3, s[0:3], 0 offen
	buffer_load_dword v1, v3, s[0:3], 0 offen offset:4
	buffer_load_dword v2, v3, s[0:3], 0 offen offset:8
	s_nop 0
	buffer_load_dword v3, v3, s[0:3], 0 offen offset:12
	v_accvgpr_read_b32 v4, a156
	buffer_store_dword v212, off, s[0:3], 0 offset:32
	buffer_store_dword v212, off, s[0:3], 0 offset:36
	buffer_store_dword v212, off, s[0:3], 0 offset:40
	buffer_store_dword v212, off, s[0:3], 0 offset:44
	s_waitcnt vmcnt(4)
	ds_write_b128 v4, v[0:3]
.LBB51_323:
	s_or_b64 exec, exec, s[4:5]
	s_waitcnt lgkmcnt(0)
	; wave barrier
	s_waitcnt lgkmcnt(0)
	buffer_load_dword v34, off, s[0:3], 0 offset:48
	buffer_load_dword v35, off, s[0:3], 0 offset:52
	;; [unrolled: 1-line block ×42, first 2 shown]
	ds_read_b128 v[42:45], v212 offset:864
	ds_read_b128 v[108:111], v212 offset:880
	;; [unrolled: 1-line block ×10, first 2 shown]
	buffer_load_dword v1, off, s[0:3], 0 offset:196
	buffer_load_dword v0, off, s[0:3], 0 offset:192
	ds_read_b128 v[46:49], v212 offset:1024
	buffer_load_dword v85, off, s[0:3], 0 offset:252
	buffer_load_dword v84, off, s[0:3], 0 offset:248
	;; [unrolled: 1-line block ×6, first 2 shown]
	s_waitcnt vmcnt(46) lgkmcnt(10)
	v_mul_f64 v[2:3], v[42:43], v[36:37]
	v_fmac_f64_e32 v[2:3], v[44:45], v[34:35]
	v_add_f64 v[2:3], v[2:3], 0
	v_mul_f64 v[36:37], v[44:45], v[36:37]
	s_waitcnt vmcnt(42) lgkmcnt(9)
	v_mul_f64 v[4:5], v[108:109], v[40:41]
	v_fmac_f64_e32 v[4:5], v[110:111], v[38:39]
	s_waitcnt vmcnt(40) lgkmcnt(8)
	v_mul_f64 v[6:7], v[112:113], v[128:129]
	v_add_f64 v[2:3], v[2:3], v[4:5]
	s_waitcnt vmcnt(38) lgkmcnt(6)
	v_mul_f64 v[10:11], v[140:141], v[144:145]
	v_mul_f64 v[40:41], v[110:111], v[40:41]
	s_waitcnt vmcnt(36)
	v_fmac_f64_e32 v[10:11], v[142:143], v[54:55]
	v_fma_f64 v[108:109], v[108:109], v[38:39], -v[40:41]
	s_waitcnt vmcnt(34)
	v_mul_f64 v[8:9], v[136:137], v[56:57]
	v_mul_f64 v[110:111], v[114:115], v[128:129]
	s_waitcnt vmcnt(32) lgkmcnt(4)
	v_mul_f64 v[14:15], v[152:153], v[58:59]
	v_mul_f64 v[56:57], v[138:139], v[56:57]
	s_waitcnt vmcnt(30)
	v_fmac_f64_e32 v[14:15], v[154:155], v[60:61]
	s_waitcnt vmcnt(28)
	v_mul_f64 v[12:13], v[148:149], v[170:171]
	s_waitcnt vmcnt(26) lgkmcnt(2)
	v_mul_f64 v[18:19], v[160:161], v[178:179]
	s_waitcnt vmcnt(23)
	v_mul_f64 v[16:17], v[156:157], v[70:71]
	s_waitcnt vmcnt(21) lgkmcnt(1)
	v_mul_f64 v[20:21], v[164:165], v[68:69]
	s_waitcnt vmcnt(19)
	v_fmac_f64_e32 v[6:7], v[114:115], v[78:79]
	v_add_f64 v[2:3], v[2:3], v[6:7]
	s_waitcnt vmcnt(17)
	v_fmac_f64_e32 v[8:9], v[138:139], v[76:77]
	v_add_f64 v[2:3], v[2:3], v[8:9]
	;; [unrolled: 3-line block ×3, first 2 shown]
	v_add_f64 v[2:3], v[2:3], v[12:13]
	s_waitcnt vmcnt(13)
	v_fmac_f64_e32 v[16:17], v[158:159], v[72:73]
	v_add_f64 v[2:3], v[2:3], v[14:15]
	s_waitcnt vmcnt(12)
	v_fmac_f64_e32 v[18:19], v[162:163], v[66:67]
	v_add_f64 v[2:3], v[2:3], v[16:17]
	v_add_f64 v[6:7], v[2:3], v[18:19]
	buffer_load_dword v177, off, s[0:3], 0 offset:228
	buffer_load_dword v176, off, s[0:3], 0 offset:224
	;; [unrolled: 1-line block ×36, first 2 shown]
	s_waitcnt vmcnt(42)
	v_fmac_f64_e32 v[20:21], v[166:167], v[0:1]
	s_waitcnt lgkmcnt(0)
	v_mul_f64 v[8:9], v[46:47], v[80:81]
	v_add_f64 v[6:7], v[6:7], v[20:21]
	v_fmac_f64_e32 v[8:9], v[48:49], v[82:83]
	v_add_f64 v[6:7], v[6:7], v[8:9]
	v_fma_f64 v[110:111], v[112:113], v[78:79], -v[110:111]
	v_fma_f64 v[112:113], v[136:137], v[76:77], -v[56:57]
	v_mul_f64 v[56:57], v[142:143], v[144:145]
	v_mul_f64 v[48:49], v[48:49], v[80:81]
	s_waitcnt vmcnt(0)
	v_pk_mov_b32 v[18:19], v[4:5], v[4:5] op_sel:[0,1]
	buffer_load_dword v5, off, s[0:3], 0 offset:404
	buffer_load_dword v4, off, s[0:3], 0 offset:400
	v_accvgpr_write_b32 a163, v19
	v_accvgpr_write_b32 a162, v18
	s_waitcnt vmcnt(0)
	v_pk_mov_b32 v[22:23], v[4:5], v[4:5] op_sel:[0,1]
	buffer_load_dword v5, off, s[0:3], 0 offset:396
	buffer_load_dword v4, off, s[0:3], 0 offset:392
	v_accvgpr_write_b32 a165, v23
	v_accvgpr_write_b32 a164, v22
	;; [unrolled: 6-line block ×6, first 2 shown]
	s_waitcnt vmcnt(0)
	v_pk_mov_b32 v[24:25], v[4:5], v[4:5] op_sel:[0,1]
	buffer_load_dword v241, off, s[0:3], 0 offset:420
	buffer_load_dword v240, off, s[0:3], 0 offset:416
	;; [unrolled: 1-line block ×4, first 2 shown]
	v_accvgpr_write_b32 a167, v25
	v_accvgpr_write_b32 a166, v24
	s_waitcnt vmcnt(0)
	v_pk_mov_b32 v[130:131], v[4:5], v[4:5] op_sel:[0,1]
	buffer_load_dword v5, off, s[0:3], 0 offset:468
	buffer_load_dword v4, off, s[0:3], 0 offset:464
	v_accvgpr_write_b32 a173, v131
	v_accvgpr_write_b32 a172, v130
	s_waitcnt vmcnt(0)
	v_pk_mov_b32 v[132:133], v[4:5], v[4:5] op_sel:[0,1]
	buffer_load_dword v127, off, s[0:3], 0 offset:460
	buffer_load_dword v126, off, s[0:3], 0 offset:456
	;; [unrolled: 1-line block ×6, first 2 shown]
	v_accvgpr_write_b32 a175, v133
	v_accvgpr_write_b32 a174, v132
	s_waitcnt vmcnt(0)
	v_pk_mov_b32 v[134:135], v[4:5], v[4:5] op_sel:[0,1]
	buffer_load_dword v5, off, s[0:3], 0 offset:500
	buffer_load_dword v4, off, s[0:3], 0 offset:496
	v_accvgpr_write_b32 a177, v135
	v_accvgpr_write_b32 a176, v134
	s_waitcnt vmcnt(0)
	v_pk_mov_b32 v[146:147], v[4:5], v[4:5] op_sel:[0,1]
	buffer_load_dword v245, off, s[0:3], 0 offset:492
	buffer_load_dword v244, off, s[0:3], 0 offset:488
	;; [unrolled: 1-line block ×12, first 2 shown]
	ds_read_b128 v[172:175], v212 offset:1040
	ds_read_b128 v[184:187], v212 offset:1056
	;; [unrolled: 1-line block ×6, first 2 shown]
	s_waitcnt lgkmcnt(5)
	v_mul_f64 v[8:9], v[172:173], v[116:117]
	v_fmac_f64_e32 v[8:9], v[174:175], v[176:177]
	v_add_f64 v[6:7], v[6:7], v[8:9]
	s_waitcnt lgkmcnt(4)
	v_mul_f64 v[8:9], v[184:185], v[84:85]
	v_fmac_f64_e32 v[8:9], v[186:187], v[86:87]
	v_add_f64 v[6:7], v[6:7], v[8:9]
	;; [unrolled: 4-line block ×3, first 2 shown]
	s_waitcnt lgkmcnt(2)
	v_mul_f64 v[8:9], v[192:193], v[168:169]
	v_fmac_f64_e32 v[8:9], v[194:195], v[2:3]
	ds_read_b128 v[204:207], v212 offset:1136
	ds_read_b128 v[208:211], v212 offset:1152
	v_add_f64 v[6:7], v[6:7], v[8:9]
	s_waitcnt lgkmcnt(3)
	v_mul_f64 v[8:9], v[196:197], v[62:63]
	v_fmac_f64_e32 v[8:9], v[198:199], v[64:65]
	v_add_f64 v[6:7], v[6:7], v[8:9]
	s_waitcnt lgkmcnt(2)
	v_mul_f64 v[8:9], v[200:201], v[100:101]
	v_fmac_f64_e32 v[8:9], v[202:203], v[102:103]
	ds_read_b128 v[214:217], v212 offset:1168
	ds_read_b128 v[218:221], v212 offset:1184
	v_add_f64 v[6:7], v[6:7], v[8:9]
	s_waitcnt lgkmcnt(3)
	v_mul_f64 v[8:9], v[204:205], v[104:105]
	v_fmac_f64_e32 v[8:9], v[206:207], v[106:107]
	v_add_f64 v[6:7], v[6:7], v[8:9]
	s_waitcnt lgkmcnt(2)
	v_mul_f64 v[8:9], v[208:209], v[88:89]
	ds_read_b128 v[234:237], v212 offset:1200
	ds_read_b128 v[230:233], v212 offset:1216
	v_fmac_f64_e32 v[8:9], v[210:211], v[92:93]
	v_add_f64 v[6:7], v[6:7], v[8:9]
	s_waitcnt lgkmcnt(3)
	v_mul_f64 v[8:9], v[214:215], v[90:91]
	ds_read_b128 v[226:229], v212 offset:1232
	ds_read_b128 v[222:225], v212 offset:1248
	v_fmac_f64_e32 v[8:9], v[216:217], v[98:99]
	v_add_f64 v[6:7], v[6:7], v[8:9]
	s_waitcnt lgkmcnt(4)
	v_mul_f64 v[8:9], v[218:219], v[94:95]
	ds_read_b128 v[122:125], v212 offset:1264
	ds_read_b128 v[118:121], v212 offset:1280
	v_fmac_f64_e32 v[8:9], v[220:221], v[96:97]
	s_waitcnt lgkmcnt(5)
	v_mul_f64 v[12:13], v[234:235], v[14:15]
	v_add_f64 v[10:11], v[6:7], v[8:9]
	v_fmac_f64_e32 v[12:13], v[236:237], v[16:17]
	s_waitcnt lgkmcnt(4)
	v_mul_f64 v[16:17], v[230:231], v[18:19]
	v_add_f64 v[14:15], v[10:11], v[12:13]
	;; [unrolled: 4-line block ×6, first 2 shown]
	ds_read_b128 v[26:29], v212 offset:1296
	v_fmac_f64_e32 v[32:33], v[120:121], v[132:133]
	v_add_f64 v[130:131], v[30:31], v[32:33]
	ds_read_b128 v[30:33], v212 offset:1312
	v_fma_f64 v[18:19], v[42:43], v[34:35], -v[36:37]
	ds_read_b128 v[34:37], v212 offset:1328
	v_accvgpr_write_b32 a179, v147
	s_waitcnt vmcnt(10) lgkmcnt(2)
	v_mul_f64 v[42:43], v[26:27], v[244:245]
	s_waitcnt lgkmcnt(1)
	v_mul_f64 v[44:45], v[30:31], v[134:135]
	s_waitcnt vmcnt(8)
	v_fmac_f64_e32 v[42:43], v[28:29], v[246:247]
	v_add_f64 v[42:43], v[130:131], v[42:43]
	v_fmac_f64_e32 v[44:45], v[32:33], v[146:147]
	v_add_f64 v[42:43], v[42:43], v[44:45]
	v_accvgpr_write_b32 a178, v146
	v_mul_f64 v[8:9], v[150:151], v[170:171]
	s_waitcnt vmcnt(2) lgkmcnt(0)
	v_mul_f64 v[44:45], v[34:35], v[248:249]
	v_fma_f64 v[14:15], v[140:141], v[54:55], -v[56:57]
	s_waitcnt vmcnt(0)
	v_fmac_f64_e32 v[44:45], v[36:37], v[250:251]
	v_add_f64 v[252:253], v[42:43], v[44:45]
	ds_read_b128 v[42:45], v212 offset:1344
	ds_read_b128 v[38:41], v212 offset:1360
	buffer_load_dword v128, off, s[0:3], 0 offset:568
	buffer_load_dword v133, off, s[0:3], 0 offset:556
	buffer_load_dword v132, off, s[0:3], 0 offset:552
	buffer_load_dword v135, off, s[0:3], 0 offset:548
	buffer_load_dword v134, off, s[0:3], 0 offset:544
	buffer_load_dword v136, off, s[0:3], 0 offset:560
	buffer_load_dword v129, off, s[0:3], 0 offset:572
	buffer_load_dword v137, off, s[0:3], 0 offset:564
	buffer_load_dword v131, off, s[0:3], 0 offset:604
	buffer_load_dword v130, off, s[0:3], 0 offset:600
	buffer_load_dword v145, off, s[0:3], 0 offset:588
	buffer_load_dword v144, off, s[0:3], 0 offset:584
	buffer_load_dword v147, off, s[0:3], 0 offset:580
	buffer_load_dword v146, off, s[0:3], 0 offset:576
	buffer_load_dword v143, off, s[0:3], 0 offset:596
	buffer_load_dword v142, off, s[0:3], 0 offset:592
	buffer_load_dword v138, off, s[0:3], 0 offset:632
	v_fma_f64 v[10:11], v[148:149], v[74:75], -v[8:9]
	buffer_load_dword v140, off, s[0:3], 0 offset:624
	buffer_load_dword v149, off, s[0:3], 0 offset:620
	;; [unrolled: 1-line block ×7, first 2 shown]
	v_mul_f64 v[54:55], v[154:155], v[58:59]
	v_fma_f64 v[8:9], v[152:153], v[60:61], -v[54:55]
	buffer_load_dword v153, off, s[0:3], 0 offset:652
	buffer_load_dword v152, off, s[0:3], 0 offset:648
	;; [unrolled: 1-line block ×4, first 2 shown]
	v_mul_f64 v[54:55], v[158:159], v[70:71]
	v_fma_f64 v[254:255], v[156:157], v[72:73], -v[54:55]
	v_mul_f64 v[54:55], v[162:163], v[178:179]
	buffer_load_dword v158, off, s[0:3], 0 offset:664
	v_fma_f64 v[6:7], v[160:161], v[66:67], -v[54:55]
	buffer_load_dword v160, off, s[0:3], 0 offset:656
	buffer_load_dword v159, off, s[0:3], 0 offset:668
	;; [unrolled: 1-line block ×3, first 2 shown]
	v_mul_f64 v[16:17], v[166:167], v[68:69]
	v_fma_f64 v[16:17], v[164:165], v[0:1], -v[16:17]
	buffer_load_dword v157, off, s[0:3], 0 offset:700
	buffer_load_dword v163, off, s[0:3], 0 offset:684
	;; [unrolled: 1-line block ×12, first 2 shown]
	s_waitcnt lgkmcnt(1)
	v_mul_f64 v[12:13], v[42:43], v[4:5]
	v_mul_f64 v[20:21], v[174:175], v[116:117]
	v_fma_f64 v[20:21], v[172:173], v[176:177], -v[20:21]
	buffer_load_dword v174, off, s[0:3], 0 offset:728
	buffer_load_dword v176, off, s[0:3], 0 offset:720
	;; [unrolled: 1-line block ×12, first 2 shown]
	v_fmac_f64_e32 v[12:13], v[44:45], v[238:239]
	v_add_f64 v[54:55], v[252:253], v[12:13]
	v_mul_f64 v[12:13], v[186:187], v[84:85]
	v_fma_f64 v[184:185], v[184:185], v[86:87], -v[12:13]
	buffer_load_dword v253, off, s[0:3], 0 offset:780
	buffer_load_dword v252, off, s[0:3], 0 offset:776
	buffer_load_dword v13, off, s[0:3], 0 offset:772
	buffer_load_dword v12, off, s[0:3], 0 offset:768
	v_accvgpr_write_b32 a181, v5
	v_accvgpr_write_b32 a180, v4
	v_fma_f64 v[4:5], v[46:47], v[82:83], -v[48:49]
	ds_read_b128 v[46:49], v212 offset:1376
	v_mul_f64 v[50:51], v[190:191], v[50:51]
	v_fma_f64 v[186:187], v[188:189], v[52:53], -v[50:51]
	ds_read_b128 v[50:53], v212 offset:1392
	v_mul_f64 v[58:59], v[194:195], v[168:169]
	v_fma_f64 v[168:169], v[192:193], v[2:3], -v[58:59]
	v_mul_f64 v[62:63], v[198:199], v[62:63]
	v_fma_f64 v[196:197], v[196:197], v[64:65], -v[62:63]
	ds_read_b128 v[62:65], v212 offset:1440
	v_mul_f64 v[70:71], v[202:203], v[100:101]
	v_fma_f64 v[202:203], v[200:201], v[102:103], -v[70:71]
	ds_read_b128 v[70:73], v212 offset:1472
	v_mul_f64 v[82:83], v[210:211], v[88:89]
	v_fma_f64 v[0:1], v[208:209], v[92:93], -v[82:83]
	v_mul_f64 v[86:87], v[216:217], v[90:91]
	ds_read_b128 v[90:93], v212 offset:1536
	v_add_f64 v[18:19], v[18:19], 0
	v_add_f64 v[18:19], v[18:19], v[108:109]
	;; [unrolled: 1-line block ×17, first 2 shown]
	v_accvgpr_read_b32 v6, a160
	v_accvgpr_read_b32 v7, a161
	ds_read_b128 v[58:61], v212 offset:1424
	ds_read_b128 v[82:85], v212 offset:1520
	s_waitcnt vmcnt(48) lgkmcnt(5)
	v_mul_f64 v[2:3], v[50:51], v[144:145]
	v_mul_f64 v[56:57], v[38:39], v[132:133]
	s_waitcnt vmcnt(46)
	v_fmac_f64_e32 v[2:3], v[52:53], v[146:147]
	v_fmac_f64_e32 v[56:57], v[40:41], v[134:135]
	v_add_f64 v[54:55], v[54:55], v[56:57]
	v_mul_f64 v[56:57], v[46:47], v[128:129]
	v_fmac_f64_e32 v[56:57], v[48:49], v[136:137]
	v_add_f64 v[66:67], v[54:55], v[56:57]
	ds_read_b128 v[54:57], v212 offset:1408
	v_add_f64 v[2:3], v[66:67], v[2:3]
	s_waitcnt lgkmcnt(0)
	v_mul_f64 v[66:67], v[54:55], v[130:131]
	s_waitcnt vmcnt(44)
	v_fmac_f64_e32 v[66:67], v[56:57], v[142:143]
	v_add_f64 v[2:3], v[2:3], v[66:67]
	s_waitcnt vmcnt(40)
	v_mul_f64 v[66:67], v[58:59], v[148:149]
	s_waitcnt vmcnt(38)
	v_fmac_f64_e32 v[66:67], v[60:61], v[150:151]
	v_add_f64 v[2:3], v[2:3], v[66:67]
	s_waitcnt vmcnt(37)
	v_mul_f64 v[66:67], v[62:63], v[138:139]
	s_waitcnt vmcnt(36)
	v_fmac_f64_e32 v[66:67], v[64:65], v[140:141]
	v_add_f64 v[2:3], v[2:3], v[66:67]
	ds_read_b128 v[66:69], v212 offset:1456
	s_waitcnt vmcnt(29)
	v_mul_f64 v[78:79], v[70:71], v[158:159]
	s_waitcnt vmcnt(28)
	v_fmac_f64_e32 v[78:79], v[72:73], v[160:161]
	s_waitcnt lgkmcnt(0)
	v_mul_f64 v[74:75], v[66:67], v[152:153]
	v_fmac_f64_e32 v[74:75], v[68:69], v[154:155]
	v_add_f64 v[2:3], v[2:3], v[74:75]
	v_mul_f64 v[74:75], v[206:207], v[104:105]
	v_fma_f64 v[204:205], v[204:205], v[106:107], -v[74:75]
	ds_read_b128 v[74:77], v212 offset:1488
	v_add_f64 v[2:3], v[2:3], v[78:79]
	ds_read_b128 v[78:81], v212 offset:1504
	v_fma_f64 v[206:207], v[214:215], v[98:99], -v[86:87]
	ds_read_b128 v[86:89], v212 offset:1552
	s_waitcnt vmcnt(25) lgkmcnt(2)
	v_mul_f64 v[24:25], v[74:75], v[162:163]
	s_waitcnt vmcnt(23)
	v_fmac_f64_e32 v[24:25], v[76:77], v[22:23]
	v_add_f64 v[2:3], v[2:3], v[24:25]
	s_waitcnt vmcnt(22) lgkmcnt(1)
	v_mul_f64 v[24:25], v[78:79], v[156:157]
	s_waitcnt vmcnt(20)
	v_fmac_f64_e32 v[24:25], v[80:81], v[166:167]
	v_add_f64 v[2:3], v[2:3], v[24:25]
	s_waitcnt vmcnt(18)
	v_mul_f64 v[24:25], v[82:83], v[164:165]
	s_waitcnt vmcnt(16)
	v_fmac_f64_e32 v[24:25], v[84:85], v[170:171]
	v_add_f64 v[2:3], v[2:3], v[24:25]
	v_mul_f64 v[24:25], v[220:221], v[94:95]
	v_fma_f64 v[208:209], v[218:219], v[96:97], -v[24:25]
	ds_read_b128 v[94:97], v212 offset:1568
	ds_read_b128 v[98:101], v212 offset:1584
	s_waitcnt vmcnt(13)
	v_mul_f64 v[24:25], v[90:91], v[174:175]
	s_waitcnt vmcnt(12)
	v_fmac_f64_e32 v[24:25], v[92:93], v[176:177]
	v_add_f64 v[2:3], v[2:3], v[24:25]
	s_waitcnt vmcnt(9) lgkmcnt(2)
	v_mul_f64 v[24:25], v[86:87], v[180:181]
	s_waitcnt vmcnt(7)
	v_fmac_f64_e32 v[24:25], v[88:89], v[182:183]
	v_add_f64 v[2:3], v[2:3], v[24:25]
	s_waitcnt vmcnt(5) lgkmcnt(1)
	;; [unrolled: 5-line block ×3, first 2 shown]
	v_mul_f64 v[24:25], v[98:99], v[252:253]
	s_waitcnt vmcnt(0)
	v_fmac_f64_e32 v[24:25], v[100:101], v[12:13]
	v_add_f64 v[24:25], v[2:3], v[24:25]
	buffer_load_dword v2, off, s[0:3], 0 offset:792
	buffer_load_dword v3, off, s[0:3], 0 offset:796
	buffer_load_dword v106, off, s[0:3], 0 offset:784
	buffer_load_dword v107, off, s[0:3], 0 offset:788
	ds_read_b128 v[102:105], v212 offset:1600
	buffer_load_dword v189, off, s[0:3], 0 offset:812
	buffer_load_dword v188, off, s[0:3], 0 offset:808
	buffer_load_dword v191, off, s[0:3], 0 offset:804
	buffer_load_dword v190, off, s[0:3], 0 offset:800
	ds_read_b128 v[214:217], v212 offset:1616
	;; [unrolled: 5-line block ×3, first 2 shown]
	buffer_load_dword v199, off, s[0:3], 0 offset:844
	buffer_load_dword v198, off, s[0:3], 0 offset:840
	;; [unrolled: 1-line block ×4, first 2 shown]
	v_add_f64 v[4:5], v[4:5], v[204:205]
	s_waitcnt vmcnt(14) lgkmcnt(2)
	v_mul_f64 v[114:115], v[102:103], v[2:3]
	v_mul_f64 v[2:3], v[104:105], v[2:3]
	s_waitcnt vmcnt(12)
	v_fmac_f64_e32 v[114:115], v[104:105], v[106:107]
	v_add_f64 v[24:25], v[24:25], v[114:115]
	s_waitcnt vmcnt(10) lgkmcnt(1)
	v_mul_f64 v[114:115], v[214:215], v[188:189]
	s_waitcnt vmcnt(8)
	v_fmac_f64_e32 v[114:115], v[216:217], v[190:191]
	v_add_f64 v[24:25], v[24:25], v[114:115]
	s_waitcnt vmcnt(6) lgkmcnt(0)
	v_mul_f64 v[114:115], v[218:219], v[192:193]
	s_waitcnt vmcnt(4)
	v_fmac_f64_e32 v[114:115], v[220:221], v[194:195]
	v_add_f64 v[24:25], v[24:25], v[114:115]
	ds_read_b128 v[114:117], v212 offset:1648
	buffer_load_dword v204, off, s[0:3], 0 offset:32
	buffer_load_dword v205, off, s[0:3], 0 offset:36
	;; [unrolled: 1-line block ×4, first 2 shown]
	v_add_f64 v[212:213], v[4:5], v[0:1]
	v_accvgpr_read_b32 v4, a158
	v_accvgpr_read_b32 v5, a159
	v_add_f64 v[0:1], v[212:213], v[206:207]
	v_mul_f64 v[4:5], v[236:237], v[4:5]
	v_add_f64 v[0:1], v[0:1], v[208:209]
	v_fma_f64 v[4:5], v[234:235], v[6:7], -v[4:5]
	v_add_f64 v[0:1], v[0:1], v[4:5]
	v_accvgpr_read_b32 v4, a162
	v_accvgpr_read_b32 v5, a163
	;; [unrolled: 1-line block ×3, first 2 shown]
	v_mul_f64 v[4:5], v[232:233], v[4:5]
	v_accvgpr_read_b32 v7, a165
	v_fma_f64 v[4:5], v[230:231], v[6:7], -v[4:5]
	v_add_f64 v[0:1], v[0:1], v[4:5]
	v_accvgpr_read_b32 v4, a166
	v_accvgpr_read_b32 v5, a167
	v_mul_f64 v[4:5], v[228:229], v[4:5]
	v_fma_f64 v[4:5], v[226:227], v[240:241], -v[4:5]
	v_add_f64 v[0:1], v[0:1], v[4:5]
	v_accvgpr_read_b32 v4, a168
	v_accvgpr_read_b32 v5, a169
	v_accvgpr_read_b32 v6, a170
	v_mul_f64 v[4:5], v[224:225], v[4:5]
	v_accvgpr_read_b32 v7, a171
	v_fma_f64 v[4:5], v[222:223], v[6:7], -v[4:5]
	v_add_f64 v[0:1], v[0:1], v[4:5]
	v_mul_f64 v[4:5], v[124:125], v[126:127]
	v_fma_f64 v[4:5], v[122:123], v[242:243], -v[4:5]
	v_add_f64 v[0:1], v[0:1], v[4:5]
	v_accvgpr_read_b32 v4, a172
	v_accvgpr_read_b32 v5, a173
	v_accvgpr_read_b32 v6, a174
	v_mul_f64 v[4:5], v[120:121], v[4:5]
	v_accvgpr_read_b32 v7, a175
	v_fma_f64 v[4:5], v[118:119], v[6:7], -v[4:5]
	v_add_f64 v[0:1], v[0:1], v[4:5]
	;; [unrolled: 10-line block ×3, first 2 shown]
	v_mul_f64 v[4:5], v[36:37], v[248:249]
	v_fma_f64 v[4:5], v[34:35], v[250:251], -v[4:5]
	v_add_f64 v[0:1], v[0:1], v[4:5]
	v_accvgpr_read_b32 v4, a180
	v_accvgpr_read_b32 v5, a181
	v_mul_f64 v[4:5], v[44:45], v[4:5]
	v_fma_f64 v[4:5], v[42:43], v[238:239], -v[4:5]
	v_add_f64 v[0:1], v[0:1], v[4:5]
	v_mul_f64 v[4:5], v[40:41], v[132:133]
	v_fma_f64 v[4:5], v[38:39], v[134:135], -v[4:5]
	v_add_f64 v[0:1], v[0:1], v[4:5]
	v_mul_f64 v[4:5], v[48:49], v[128:129]
	v_fma_f64 v[4:5], v[46:47], v[136:137], -v[4:5]
	v_add_f64 v[0:1], v[0:1], v[4:5]
	v_mul_f64 v[4:5], v[52:53], v[144:145]
	v_fma_f64 v[4:5], v[50:51], v[146:147], -v[4:5]
	v_add_f64 v[0:1], v[0:1], v[4:5]
	v_mul_f64 v[4:5], v[56:57], v[130:131]
	v_fma_f64 v[4:5], v[54:55], v[142:143], -v[4:5]
	v_add_f64 v[0:1], v[0:1], v[4:5]
	v_mul_f64 v[4:5], v[60:61], v[148:149]
	v_fma_f64 v[4:5], v[58:59], v[150:151], -v[4:5]
	v_add_f64 v[0:1], v[0:1], v[4:5]
	v_mul_f64 v[4:5], v[64:65], v[138:139]
	v_fma_f64 v[4:5], v[62:63], v[140:141], -v[4:5]
	v_add_f64 v[0:1], v[0:1], v[4:5]
	v_mul_f64 v[4:5], v[68:69], v[152:153]
	v_fma_f64 v[4:5], v[66:67], v[154:155], -v[4:5]
	v_add_f64 v[0:1], v[0:1], v[4:5]
	v_mul_f64 v[4:5], v[72:73], v[158:159]
	v_fma_f64 v[4:5], v[70:71], v[160:161], -v[4:5]
	v_add_f64 v[0:1], v[0:1], v[4:5]
	v_mul_f64 v[4:5], v[76:77], v[162:163]
	v_fma_f64 v[4:5], v[74:75], v[22:23], -v[4:5]
	v_add_f64 v[0:1], v[0:1], v[4:5]
	v_mul_f64 v[4:5], v[80:81], v[156:157]
	v_fma_f64 v[4:5], v[78:79], v[166:167], -v[4:5]
	v_add_f64 v[0:1], v[0:1], v[4:5]
	v_mul_f64 v[4:5], v[84:85], v[164:165]
	v_fma_f64 v[4:5], v[82:83], v[170:171], -v[4:5]
	v_add_f64 v[0:1], v[0:1], v[4:5]
	v_mul_f64 v[4:5], v[92:93], v[174:175]
	v_fma_f64 v[4:5], v[90:91], v[176:177], -v[4:5]
	v_add_f64 v[0:1], v[0:1], v[4:5]
	v_mul_f64 v[4:5], v[88:89], v[180:181]
	v_fma_f64 v[4:5], v[86:87], v[182:183], -v[4:5]
	v_add_f64 v[0:1], v[0:1], v[4:5]
	v_mul_f64 v[4:5], v[96:97], v[172:173]
	v_fma_f64 v[4:5], v[94:95], v[178:179], -v[4:5]
	v_add_f64 v[0:1], v[0:1], v[4:5]
	v_mul_f64 v[4:5], v[100:101], v[252:253]
	v_fma_f64 v[4:5], v[98:99], v[12:13], -v[4:5]
	v_add_f64 v[0:1], v[0:1], v[4:5]
	v_fma_f64 v[2:3], v[102:103], v[106:107], -v[2:3]
	v_add_f64 v[0:1], v[0:1], v[2:3]
	v_mul_f64 v[2:3], v[216:217], v[188:189]
	v_fma_f64 v[2:3], v[214:215], v[190:191], -v[2:3]
	v_add_f64 v[0:1], v[0:1], v[2:3]
	v_mul_f64 v[2:3], v[220:221], v[192:193]
	v_fma_f64 v[2:3], v[218:219], v[194:195], -v[2:3]
	v_add_f64 v[0:1], v[0:1], v[2:3]
	s_waitcnt vmcnt(6) lgkmcnt(0)
	v_mul_f64 v[2:3], v[116:117], v[198:199]
	v_mul_f64 v[210:211], v[114:115], v[198:199]
	s_waitcnt vmcnt(4)
	v_fma_f64 v[2:3], v[114:115], v[200:201], -v[2:3]
	v_fmac_f64_e32 v[210:211], v[116:117], v[200:201]
	v_add_f64 v[0:1], v[0:1], v[2:3]
	v_add_f64 v[210:211], v[24:25], v[210:211]
	s_waitcnt vmcnt(2)
	v_add_f64 v[0:1], v[204:205], -v[0:1]
	s_waitcnt vmcnt(0)
	v_add_f64 v[2:3], v[202:203], -v[210:211]
	buffer_store_dword v1, off, s[0:3], 0 offset:36
	buffer_store_dword v0, off, s[0:3], 0 offset:32
	buffer_store_dword v3, off, s[0:3], 0 offset:44
	buffer_store_dword v2, off, s[0:3], 0 offset:40
	v_accvgpr_read_b32 v0, a155
	v_cmp_ne_u32_e32 vcc, 0, v0
	s_and_saveexec_b64 s[4:5], vcc
	s_cbranch_execz .LBB51_325
; %bb.324:
	buffer_load_dword v0, off, s[0:3], 0 offset:16
	buffer_load_dword v1, off, s[0:3], 0 offset:20
	;; [unrolled: 1-line block ×4, first 2 shown]
	v_mov_b32_e32 v4, 0
	v_accvgpr_read_b32 v5, a156
	buffer_store_dword v4, off, s[0:3], 0 offset:16
	buffer_store_dword v4, off, s[0:3], 0 offset:20
	;; [unrolled: 1-line block ×4, first 2 shown]
	s_waitcnt vmcnt(4)
	ds_write_b128 v5, v[0:3]
.LBB51_325:
	s_or_b64 exec, exec, s[4:5]
	s_waitcnt lgkmcnt(0)
	; wave barrier
	s_waitcnt lgkmcnt(0)
	buffer_load_dword v218, off, s[0:3], 0 offset:32
	buffer_load_dword v219, off, s[0:3], 0 offset:36
	;; [unrolled: 1-line block ×36, first 2 shown]
	v_mov_b32_e32 v16, 0
	buffer_load_dword v65, off, s[0:3], 0 offset:204
	buffer_load_dword v64, off, s[0:3], 0 offset:200
	;; [unrolled: 1-line block ×18, first 2 shown]
	ds_read_b128 v[28:31], v16 offset:848
	ds_read_b128 v[112:115], v16 offset:864
	;; [unrolled: 1-line block ×9, first 2 shown]
	s_and_b64 vcc, exec, s[20:21]
	s_waitcnt vmcnt(50) lgkmcnt(8)
	v_mul_f64 v[0:1], v[28:29], v[26:27]
	v_fmac_f64_e32 v[0:1], v[30:31], v[218:219]
	v_add_f64 v[0:1], v[0:1], 0
	v_mul_f64 v[26:27], v[30:31], v[26:27]
	s_waitcnt vmcnt(46) lgkmcnt(7)
	v_mul_f64 v[2:3], v[112:113], v[36:37]
	v_fmac_f64_e32 v[2:3], v[114:115], v[34:35]
	v_add_f64 v[0:1], v[0:1], v[2:3]
	buffer_load_dword v109, off, s[0:3], 0 offset:260
	buffer_load_dword v108, off, s[0:3], 0 offset:256
	;; [unrolled: 1-line block ×32, first 2 shown]
	s_waitcnt vmcnt(62) lgkmcnt(6)
	v_mul_f64 v[4:5], v[130:131], v[32:33]
	s_waitcnt lgkmcnt(4)
	v_mul_f64 v[8:9], v[138:139], v[38:39]
	v_fmac_f64_e32 v[8:9], v[140:141], v[40:41]
	v_fma_f64 v[218:219], v[28:29], v[218:219], -v[26:27]
	v_mul_f64 v[6:7], v[134:135], v[42:43]
	v_mul_f64 v[36:37], v[114:115], v[36:37]
	s_waitcnt lgkmcnt(2)
	v_mul_f64 v[12:13], v[146:147], v[48:49]
	v_mul_f64 v[32:33], v[132:133], v[32:33]
	v_fmac_f64_e32 v[12:13], v[148:149], v[50:51]
	v_mul_f64 v[48:49], v[148:149], v[48:49]
	v_mul_f64 v[10:11], v[142:143], v[54:55]
	v_mul_f64 v[54:55], v[144:145], v[54:55]
	s_waitcnt lgkmcnt(1)
	v_mul_f64 v[14:15], v[150:151], v[46:47]
	v_mul_f64 v[46:47], v[152:153], v[46:47]
	s_waitcnt vmcnt(60)
	v_fmac_f64_e32 v[4:5], v[132:133], v[60:61]
	v_add_f64 v[0:1], v[0:1], v[4:5]
	s_waitcnt vmcnt(58)
	v_fmac_f64_e32 v[6:7], v[136:137], v[58:59]
	v_add_f64 v[0:1], v[0:1], v[6:7]
	;; [unrolled: 3-line block ×3, first 2 shown]
	v_add_f64 v[0:1], v[0:1], v[10:11]
	v_add_f64 v[0:1], v[0:1], v[12:13]
	s_waitcnt vmcnt(54)
	v_fmac_f64_e32 v[14:15], v[152:153], v[52:53]
	v_add_f64 v[0:1], v[0:1], v[14:15]
	v_fma_f64 v[56:57], v[142:143], v[56:57], -v[54:55]
	v_fma_f64 v[114:115], v[150:151], v[52:53], -v[46:47]
	s_waitcnt vmcnt(0)
	v_pk_mov_b32 v[12:13], v[2:3], v[2:3] op_sel:[0,1]
	buffer_load_dword v3, off, s[0:3], 0 offset:388
	buffer_load_dword v2, off, s[0:3], 0 offset:384
	v_accvgpr_write_b32 a157, v13
	v_accvgpr_write_b32 a156, v12
	s_waitcnt vmcnt(0)
	v_pk_mov_b32 v[18:19], v[2:3], v[2:3] op_sel:[0,1]
	buffer_load_dword v93, off, s[0:3], 0 offset:380
	buffer_load_dword v92, off, s[0:3], 0 offset:376
	buffer_load_dword v95, off, s[0:3], 0 offset:372
	buffer_load_dword v94, off, s[0:3], 0 offset:368
	buffer_load_dword v3, off, s[0:3], 0 offset:428
	buffer_load_dword v2, off, s[0:3], 0 offset:424
	v_accvgpr_write_b32 a159, v19
	v_accvgpr_write_b32 a158, v18
	s_waitcnt vmcnt(0)
	v_pk_mov_b32 v[20:21], v[2:3], v[2:3] op_sel:[0,1]
	buffer_load_dword v3, off, s[0:3], 0 offset:420
	buffer_load_dword v2, off, s[0:3], 0 offset:416
	v_accvgpr_write_b32 a165, v21
	v_accvgpr_write_b32 a164, v20
	s_waitcnt vmcnt(0)
	v_pk_mov_b32 v[22:23], v[2:3], v[2:3] op_sel:[0,1]
	buffer_load_dword v3, off, s[0:3], 0 offset:412
	buffer_load_dword v2, off, s[0:3], 0 offset:408
	;; [unrolled: 6-line block ×9, first 2 shown]
	v_pk_mov_b32 v[26:27], v[126:127], v[126:127] op_sel:[0,1]
	s_waitcnt vmcnt(0)
	v_pk_mov_b32 v[128:129], v[2:3], v[2:3] op_sel:[0,1]
	buffer_load_dword v3, off, s[0:3], 0 offset:476
	buffer_load_dword v2, off, s[0:3], 0 offset:472
	buffer_load_dword v25, off, s[0:3], 0 offset:468
	buffer_load_dword v24, off, s[0:3], 0 offset:464
	ds_read_b128 v[158:161], v16 offset:992
	ds_read_b128 v[162:165], v16 offset:1008
	;; [unrolled: 1-line block ×9, first 2 shown]
	buffer_load_dword v249, off, s[0:3], 0 offset:508
	buffer_load_dword v248, off, s[0:3], 0 offset:504
	buffer_load_dword v251, off, s[0:3], 0 offset:500
	buffer_load_dword v250, off, s[0:3], 0 offset:496
	buffer_load_dword v253, off, s[0:3], 0 offset:524
	buffer_load_dword v252, off, s[0:3], 0 offset:520
	buffer_load_dword v247, off, s[0:3], 0 offset:516
	buffer_load_dword v246, off, s[0:3], 0 offset:512
	buffer_load_dword v255, off, s[0:3], 0 offset:540
	buffer_load_dword v254, off, s[0:3], 0 offset:536
	buffer_load_dword v121, off, s[0:3], 0 offset:532
	buffer_load_dword v120, off, s[0:3], 0 offset:528
	ds_read_b128 v[198:201], v16 offset:1136
	ds_read_b128 v[202:205], v16 offset:1152
	ds_read_b128 v[206:209], v16 offset:1168
	ds_read_b128 v[210:213], v16 offset:1184
	ds_read_b128 v[242:245], v16 offset:1200
	ds_read_b128 v[238:241], v16 offset:1216
	ds_read_b128 v[226:229], v16 offset:1264
	ds_read_b128 v[222:225], v16 offset:1280
	ds_read_b128 v[234:237], v16 offset:1232
	ds_read_b128 v[230:233], v16 offset:1248
	s_waitcnt lgkmcnt(6)
	v_mul_f64 v[6:7], v[210:211], v[92:93]
	v_fmac_f64_e32 v[6:7], v[212:213], v[94:95]
	s_waitcnt lgkmcnt(5)
	v_mul_f64 v[10:11], v[242:243], v[12:13]
	s_waitcnt lgkmcnt(4)
	v_mul_f64 v[14:15], v[238:239], v[122:123]
	v_fmac_f64_e32 v[10:11], v[244:245], v[18:19]
	v_fmac_f64_e32 v[14:15], v[240:241], v[124:125]
	s_waitcnt lgkmcnt(3)
	v_mul_f64 v[124:125], v[226:227], v[116:117]
	s_waitcnt lgkmcnt(1)
	v_mul_f64 v[18:19], v[234:235], v[20:21]
	v_fmac_f64_e32 v[124:125], v[228:229], v[118:119]
	ds_read_b128 v[116:119], v16 offset:1296
	v_fmac_f64_e32 v[18:19], v[236:237], v[22:23]
	s_waitcnt lgkmcnt(1)
	v_mul_f64 v[22:23], v[230:231], v[174:175]
	v_fmac_f64_e32 v[22:23], v[232:233], v[176:177]
	v_accvgpr_write_b32 a177, v129
	v_accvgpr_write_b32 a176, v128
	v_mul_f64 v[92:93], v[212:213], v[92:93]
	s_waitcnt vmcnt(14)
	v_pk_mov_b32 v[220:221], v[2:3], v[2:3] op_sel:[0,1]
	v_mul_f64 v[2:3], v[154:155], v[44:45]
	v_fmac_f64_e32 v[2:3], v[156:157], v[62:63]
	v_add_f64 v[0:1], v[0:1], v[2:3]
	v_mul_f64 v[2:3], v[158:159], v[68:69]
	v_fmac_f64_e32 v[2:3], v[160:161], v[70:71]
	v_add_f64 v[0:1], v[0:1], v[2:3]
	;; [unrolled: 3-line block ×13, first 2 shown]
	v_add_f64 v[8:9], v[4:5], v[6:7]
	v_add_f64 v[12:13], v[8:9], v[10:11]
	;; [unrolled: 1-line block ×5, first 2 shown]
	v_mul_f64 v[30:31], v[222:223], v[220:221]
	v_add_f64 v[28:29], v[122:123], v[124:125]
	s_waitcnt vmcnt(12)
	v_fmac_f64_e32 v[30:31], v[224:225], v[24:25]
	v_add_f64 v[28:29], v[28:29], v[30:31]
	s_waitcnt lgkmcnt(0)
	v_mul_f64 v[30:31], v[116:117], v[126:127]
	v_fmac_f64_e32 v[30:31], v[118:119], v[128:129]
	v_add_f64 v[174:175], v[28:29], v[30:31]
	ds_read_b128 v[28:31], v16 offset:1312
	v_accvgpr_write_b32 a178, v220
	buffer_load_dword v127, off, s[0:3], 0 offset:556
	buffer_load_dword v126, off, s[0:3], 0 offset:552
	;; [unrolled: 1-line block ×5, first 2 shown]
	v_accvgpr_write_b32 a179, v221
	v_fma_f64 v[220:221], v[112:113], v[34:35], -v[36:37]
	v_fma_f64 v[20:21], v[130:131], v[60:61], -v[32:33]
	buffer_load_dword v124, off, s[0:3], 0 offset:576
	buffer_load_dword v131, off, s[0:3], 0 offset:572
	;; [unrolled: 1-line block ×7, first 2 shown]
	ds_read_b128 v[32:35], v16 offset:1328
	v_accvgpr_write_b32 a181, v25
	v_mul_f64 v[2:3], v[136:137], v[42:43]
	v_mul_f64 v[36:37], v[140:141], v[38:39]
	v_accvgpr_write_b32 a180, v24
	v_fma_f64 v[24:25], v[134:135], v[58:59], -v[2:3]
	v_fma_f64 v[58:59], v[138:139], v[40:41], -v[36:37]
	ds_read_b128 v[36:39], v16 offset:1344
	s_waitcnt vmcnt(22) lgkmcnt(2)
	v_mul_f64 v[42:43], v[28:29], v[248:249]
	s_waitcnt vmcnt(20)
	v_fmac_f64_e32 v[42:43], v[30:31], v[250:251]
	v_add_f64 v[40:41], v[174:175], v[42:43]
	s_waitcnt vmcnt(18) lgkmcnt(1)
	v_mul_f64 v[42:43], v[32:33], v[252:253]
	s_waitcnt vmcnt(16)
	v_fmac_f64_e32 v[42:43], v[34:35], v[246:247]
	v_add_f64 v[40:41], v[40:41], v[42:43]
	;; [unrolled: 5-line block ×3, first 2 shown]
	ds_read_b128 v[40:43], v16 offset:1360
	buffer_load_dword v135, off, s[0:3], 0 offset:604
	buffer_load_dword v134, off, s[0:3], 0 offset:600
	;; [unrolled: 1-line block ×8, first 2 shown]
	v_fma_f64 v[112:113], v[146:147], v[50:51], -v[48:49]
	buffer_load_dword v139, off, s[0:3], 0 offset:652
	buffer_load_dword v147, off, s[0:3], 0 offset:636
	;; [unrolled: 1-line block ×8, first 2 shown]
	v_mul_f64 v[44:45], v[156:157], v[44:45]
	v_fma_f64 v[12:13], v[154:155], v[62:63], -v[44:45]
	buffer_load_dword v144, off, s[0:3], 0 offset:680
	buffer_load_dword v155, off, s[0:3], 0 offset:668
	buffer_load_dword v154, off, s[0:3], 0 offset:664
	buffer_load_dword v157, off, s[0:3], 0 offset:660
	buffer_load_dword v156, off, s[0:3], 0 offset:656
	buffer_load_dword v152, off, s[0:3], 0 offset:672
	buffer_load_dword v145, off, s[0:3], 0 offset:684
	buffer_load_dword v153, off, s[0:3], 0 offset:676
	v_mul_f64 v[6:7], v[160:161], v[68:69]
	v_fma_f64 v[8:9], v[158:159], v[70:71], -v[6:7]
	buffer_load_dword v159, off, s[0:3], 0 offset:700
	buffer_load_dword v158, off, s[0:3], 0 offset:696
	;; [unrolled: 1-line block ×4, first 2 shown]
	v_mul_f64 v[10:11], v[168:169], v[98:99]
	v_mul_f64 v[44:45], v[164:165], v[64:65]
	v_fma_f64 v[10:11], v[166:167], v[100:101], -v[10:11]
	buffer_load_dword v165, off, s[0:3], 0 offset:716
	buffer_load_dword v164, off, s[0:3], 0 offset:712
	;; [unrolled: 1-line block ×4, first 2 shown]
	v_fma_f64 v[6:7], v[162:163], v[66:67], -v[44:45]
	v_mul_f64 v[44:45], v[172:173], v[88:89]
	v_fma_f64 v[4:5], v[170:171], v[76:77], -v[44:45]
	buffer_load_dword v163, off, s[0:3], 0 offset:748
	buffer_load_dword v169, off, s[0:3], 0 offset:732
	;; [unrolled: 1-line block ×12, first 2 shown]
	v_mul_f64 v[14:15], v[180:181], v[214:215]
	ds_read_b128 v[44:47], v16 offset:1376
	v_fma_f64 v[14:15], v[178:179], v[216:217], -v[14:15]
	buffer_load_dword v178, off, s[0:3], 0 offset:776
	buffer_load_dword v180, off, s[0:3], 0 offset:768
	;; [unrolled: 1-line block ×4, first 2 shown]
	v_mul_f64 v[48:49], v[184:185], v[72:73]
	v_fma_f64 v[2:3], v[182:183], v[108:109], -v[48:49]
	ds_read_b128 v[48:51], v16 offset:1392
	ds_read_b128 v[214:217], v16 offset:1424
	v_mul_f64 v[80:81], v[204:205], v[80:81]
	ds_read_b128 v[64:67], v16 offset:1456
	v_fma_f64 v[202:203], v[202:203], v[82:83], -v[80:81]
	v_mul_f64 v[84:85], v[208:209], v[84:85]
	v_fma_f64 v[204:205], v[206:207], v[86:87], -v[84:85]
	v_fma_f64 v[206:207], v[210:211], v[94:95], -v[92:93]
	ds_read_b128 v[68:71], v16 offset:1472
	ds_read_b128 v[80:83], v16 offset:1520
	;; [unrolled: 1-line block ×4, first 2 shown]
	s_waitcnt vmcnt(58) lgkmcnt(8)
	v_mul_f64 v[52:53], v[40:41], v[126:127]
	s_waitcnt vmcnt(56)
	v_fmac_f64_e32 v[52:53], v[42:43], v[128:129]
	v_add_f64 v[18:19], v[60:61], v[52:53]
	s_waitcnt vmcnt(52) lgkmcnt(7)
	v_mul_f64 v[52:53], v[44:45], v[130:131]
	s_waitcnt vmcnt(50)
	v_fmac_f64_e32 v[52:53], v[46:47], v[132:133]
	v_add_f64 v[18:19], v[18:19], v[52:53]
	;; [unrolled: 5-line block ×3, first 2 shown]
	ds_read_b128 v[52:55], v16 offset:1408
	v_mul_f64 v[60:61], v[188:189], v[106:107]
	v_fma_f64 v[182:183], v[186:187], v[110:111], -v[60:61]
	s_waitcnt vmcnt(46) lgkmcnt(0)
	v_mul_f64 v[60:61], v[52:53], v[134:135]
	s_waitcnt vmcnt(42)
	v_mul_f64 v[22:23], v[214:215], v[140:141]
	v_fmac_f64_e32 v[60:61], v[54:55], v[136:137]
	v_add_f64 v[18:19], v[18:19], v[60:61]
	v_mul_f64 v[60:61], v[192:193], v[90:91]
	v_fma_f64 v[0:1], v[190:191], v[96:97], -v[60:61]
	ds_read_b128 v[60:63], v16 offset:1440
	s_waitcnt vmcnt(40)
	v_fmac_f64_e32 v[22:23], v[216:217], v[142:143]
	v_add_f64 v[18:19], v[18:19], v[22:23]
	s_waitcnt vmcnt(34)
	v_mul_f64 v[76:77], v[64:65], v[138:139]
	s_waitcnt vmcnt(32)
	v_fmac_f64_e32 v[76:77], v[66:67], v[148:149]
	s_waitcnt lgkmcnt(0)
	v_mul_f64 v[72:73], v[60:61], v[146:147]
	v_fmac_f64_e32 v[72:73], v[62:63], v[150:151]
	v_add_f64 v[18:19], v[18:19], v[72:73]
	v_mul_f64 v[72:73], v[200:201], v[74:75]
	v_fma_f64 v[200:201], v[198:199], v[78:79], -v[72:73]
	ds_read_b128 v[72:75], v16 offset:1488
	v_add_f64 v[18:19], v[18:19], v[76:77]
	s_waitcnt vmcnt(29)
	v_mul_f64 v[76:77], v[68:69], v[154:155]
	s_waitcnt vmcnt(27)
	v_fmac_f64_e32 v[76:77], v[70:71], v[156:157]
	v_add_f64 v[18:19], v[18:19], v[76:77]
	s_waitcnt vmcnt(25) lgkmcnt(0)
	v_mul_f64 v[76:77], v[72:73], v[144:145]
	s_waitcnt vmcnt(24)
	v_fmac_f64_e32 v[76:77], v[74:75], v[152:153]
	v_add_f64 v[18:19], v[18:19], v[76:77]
	ds_read_b128 v[76:79], v16 offset:1504
	s_waitcnt vmcnt(13)
	v_mul_f64 v[96:97], v[84:85], v[168:169]
	s_waitcnt vmcnt(11)
	v_fmac_f64_e32 v[96:97], v[86:87], v[174:175]
	v_mul_f64 v[22:23], v[196:197], v[102:103]
	v_fma_f64 v[22:23], v[194:195], v[104:105], -v[22:23]
	s_waitcnt lgkmcnt(0)
	v_mul_f64 v[88:89], v[76:77], v[158:159]
	v_fmac_f64_e32 v[88:89], v[78:79], v[160:161]
	v_add_f64 v[18:19], v[18:19], v[88:89]
	v_mul_f64 v[88:89], v[80:81], v[164:165]
	v_fmac_f64_e32 v[88:89], v[82:83], v[166:167]
	v_add_f64 v[18:19], v[18:19], v[88:89]
	ds_read_b128 v[88:91], v16 offset:1552
	v_add_f64 v[18:19], v[18:19], v[96:97]
	s_waitcnt vmcnt(10) lgkmcnt(0)
	v_mul_f64 v[96:97], v[88:89], v[162:163]
	s_waitcnt vmcnt(8)
	v_fmac_f64_e32 v[96:97], v[90:91], v[172:173]
	v_add_f64 v[18:19], v[18:19], v[96:97]
	s_waitcnt vmcnt(6)
	v_mul_f64 v[96:97], v[92:93], v[170:171]
	s_waitcnt vmcnt(4)
	v_fmac_f64_e32 v[96:97], v[94:95], v[176:177]
	v_add_f64 v[18:19], v[18:19], v[96:97]
	ds_read_b128 v[96:99], v16 offset:1584
	s_waitcnt vmcnt(1) lgkmcnt(0)
	v_mul_f64 v[100:101], v[96:97], v[178:179]
	s_waitcnt vmcnt(0)
	v_fmac_f64_e32 v[100:101], v[98:99], v[180:181]
	v_add_f64 v[104:105], v[18:19], v[100:101]
	buffer_load_dword v19, off, s[0:3], 0 offset:796
	buffer_load_dword v18, off, s[0:3], 0 offset:792
	buffer_load_dword v185, off, s[0:3], 0 offset:788
	buffer_load_dword v184, off, s[0:3], 0 offset:784
	ds_read_b128 v[100:103], v16 offset:1600
	buffer_load_dword v186, off, s[0:3], 0 offset:808
	buffer_load_dword v187, off, s[0:3], 0 offset:812
	;; [unrolled: 1-line block ×4, first 2 shown]
	s_waitcnt vmcnt(6) lgkmcnt(0)
	v_mul_f64 v[106:107], v[100:101], v[18:19]
	s_waitcnt vmcnt(4)
	v_fmac_f64_e32 v[106:107], v[102:103], v[184:185]
	v_add_f64 v[108:109], v[104:105], v[106:107]
	ds_read_b128 v[104:107], v16 offset:1616
	buffer_load_dword v191, off, s[0:3], 0 offset:828
	buffer_load_dword v190, off, s[0:3], 0 offset:824
	;; [unrolled: 1-line block ×4, first 2 shown]
	s_waitcnt vmcnt(6) lgkmcnt(0)
	v_mul_f64 v[110:111], v[104:105], v[186:187]
	s_waitcnt vmcnt(4)
	v_fmac_f64_e32 v[110:111], v[106:107], v[188:189]
	v_add_f64 v[194:195], v[108:109], v[110:111]
	ds_read_b128 v[108:111], v16 offset:1632
	s_waitcnt vmcnt(2) lgkmcnt(0)
	v_mul_f64 v[196:197], v[108:109], v[190:191]
	s_waitcnt vmcnt(0)
	v_fmac_f64_e32 v[196:197], v[110:111], v[192:193]
	v_add_f64 v[194:195], v[194:195], v[196:197]
	buffer_load_dword v196, off, s[0:3], 0 offset:840
	buffer_load_dword v197, off, s[0:3], 0 offset:844
	;; [unrolled: 1-line block ×4, first 2 shown]
	ds_read_b128 v[210:213], v16 offset:1648
	s_waitcnt vmcnt(2) lgkmcnt(0)
	v_mul_f64 v[208:209], v[210:211], v[196:197]
	s_waitcnt vmcnt(0)
	v_fmac_f64_e32 v[208:209], v[212:213], v[198:199]
	v_add_f64 v[194:195], v[194:195], v[208:209]
	v_add_f64 v[208:209], v[218:219], 0
	;; [unrolled: 1-line block ×20, first 2 shown]
	buffer_load_dword v0, off, s[0:3], 0 offset:16
	buffer_load_dword v1, off, s[0:3], 0 offset:20
	;; [unrolled: 1-line block ×4, first 2 shown]
	v_accvgpr_read_b32 v4, a156
	v_add_f64 v[208:209], v[2:3], v[202:203]
	v_accvgpr_read_b32 v5, a157
	v_accvgpr_read_b32 v6, a158
	v_add_f64 v[2:3], v[208:209], v[204:205]
	v_mul_f64 v[4:5], v[244:245], v[4:5]
	v_accvgpr_read_b32 v7, a159
	v_add_f64 v[2:3], v[2:3], v[206:207]
	v_fma_f64 v[4:5], v[242:243], v[6:7], -v[4:5]
	v_add_f64 v[2:3], v[2:3], v[4:5]
	v_accvgpr_read_b32 v4, a160
	v_accvgpr_read_b32 v5, a161
	v_accvgpr_read_b32 v6, a162
	v_mul_f64 v[4:5], v[240:241], v[4:5]
	v_accvgpr_read_b32 v7, a163
	v_fma_f64 v[4:5], v[238:239], v[6:7], -v[4:5]
	v_add_f64 v[2:3], v[2:3], v[4:5]
	v_accvgpr_read_b32 v4, a164
	v_accvgpr_read_b32 v5, a165
	v_accvgpr_read_b32 v6, a166
	v_mul_f64 v[4:5], v[236:237], v[4:5]
	v_accvgpr_read_b32 v7, a167
	;; [unrolled: 7-line block ×5, first 2 shown]
	v_fma_f64 v[4:5], v[222:223], v[6:7], -v[4:5]
	v_accvgpr_read_b32 v6, a176
	v_add_f64 v[2:3], v[2:3], v[4:5]
	v_mul_f64 v[4:5], v[118:119], v[26:27]
	v_accvgpr_read_b32 v7, a177
	v_fma_f64 v[4:5], v[116:117], v[6:7], -v[4:5]
	v_add_f64 v[2:3], v[2:3], v[4:5]
	v_mul_f64 v[4:5], v[30:31], v[248:249]
	v_fma_f64 v[4:5], v[28:29], v[250:251], -v[4:5]
	v_add_f64 v[2:3], v[2:3], v[4:5]
	v_mul_f64 v[4:5], v[34:35], v[252:253]
	;; [unrolled: 3-line block ×22, first 2 shown]
	v_fma_f64 v[4:5], v[210:211], v[198:199], -v[4:5]
	v_add_f64 v[2:3], v[2:3], v[4:5]
	s_waitcnt vmcnt(2)
	v_add_f64 v[0:1], v[0:1], -v[2:3]
	s_waitcnt vmcnt(0)
	v_add_f64 v[2:3], v[200:201], -v[194:195]
	buffer_store_dword v1, off, s[0:3], 0 offset:20
	buffer_store_dword v0, off, s[0:3], 0 offset:16
	;; [unrolled: 1-line block ×4, first 2 shown]
	s_cbranch_vccz .LBB51_429
; %bb.326:
	v_pk_mov_b32 v[0:1], s[10:11], s[10:11] op_sel:[0,1]
	flat_load_dword v0, v[0:1] offset:200
	s_waitcnt vmcnt(0) lgkmcnt(0)
	v_add_u32_e32 v0, -1, v0
	v_cmp_ne_u32_e32 vcc, 50, v0
	s_and_saveexec_b64 s[4:5], vcc
	s_cbranch_execz .LBB51_328
; %bb.327:
	v_mov_b32_e32 v1, 16
	v_accvgpr_read_b32 v9, a105
	v_lshl_add_u32 v0, v0, 4, v1
	buffer_load_dword v1, v9, s[0:3], 0 offen offset:4
	buffer_load_dword v2, v9, s[0:3], 0 offen offset:8
	buffer_load_dword v3, v9, s[0:3], 0 offen offset:12
	buffer_load_dword v4, v0, s[0:3], 0 offen
	buffer_load_dword v5, v0, s[0:3], 0 offen offset:4
	buffer_load_dword v6, v0, s[0:3], 0 offen offset:8
	buffer_load_dword v7, v0, s[0:3], 0 offen offset:12
	buffer_load_dword v8, v9, s[0:3], 0 offen
	s_waitcnt vmcnt(4)
	buffer_store_dword v4, v9, s[0:3], 0 offen
	s_waitcnt vmcnt(4)
	buffer_store_dword v5, v9, s[0:3], 0 offen offset:4
	s_waitcnt vmcnt(4)
	buffer_store_dword v6, v9, s[0:3], 0 offen offset:8
	s_waitcnt vmcnt(4)
	buffer_store_dword v7, v9, s[0:3], 0 offen offset:12
	buffer_store_dword v3, v0, s[0:3], 0 offen offset:12
	buffer_store_dword v2, v0, s[0:3], 0 offen offset:8
	buffer_store_dword v1, v0, s[0:3], 0 offen offset:4
	s_waitcnt vmcnt(7)
	buffer_store_dword v8, v0, s[0:3], 0 offen
.LBB51_328:
	s_or_b64 exec, exec, s[4:5]
	v_pk_mov_b32 v[0:1], s[10:11], s[10:11] op_sel:[0,1]
	flat_load_dword v0, v[0:1] offset:196
	s_waitcnt vmcnt(0) lgkmcnt(0)
	v_add_u32_e32 v0, -1, v0
	v_cmp_ne_u32_e32 vcc, 49, v0
	s_and_saveexec_b64 s[4:5], vcc
	s_cbranch_execz .LBB51_330
; %bb.329:
	v_mov_b32_e32 v1, 16
	v_accvgpr_read_b32 v9, a106
	v_lshl_add_u32 v0, v0, 4, v1
	buffer_load_dword v1, v9, s[0:3], 0 offen offset:4
	buffer_load_dword v2, v9, s[0:3], 0 offen offset:8
	buffer_load_dword v3, v9, s[0:3], 0 offen offset:12
	buffer_load_dword v4, v0, s[0:3], 0 offen
	buffer_load_dword v5, v0, s[0:3], 0 offen offset:4
	buffer_load_dword v6, v0, s[0:3], 0 offen offset:8
	buffer_load_dword v7, v0, s[0:3], 0 offen offset:12
	buffer_load_dword v8, v9, s[0:3], 0 offen
	s_waitcnt vmcnt(4)
	buffer_store_dword v4, v9, s[0:3], 0 offen
	s_waitcnt vmcnt(4)
	buffer_store_dword v5, v9, s[0:3], 0 offen offset:4
	s_waitcnt vmcnt(4)
	buffer_store_dword v6, v9, s[0:3], 0 offen offset:8
	s_waitcnt vmcnt(4)
	buffer_store_dword v7, v9, s[0:3], 0 offen offset:12
	buffer_store_dword v3, v0, s[0:3], 0 offen offset:12
	buffer_store_dword v2, v0, s[0:3], 0 offen offset:8
	buffer_store_dword v1, v0, s[0:3], 0 offen offset:4
	s_waitcnt vmcnt(7)
	buffer_store_dword v8, v0, s[0:3], 0 offen
.LBB51_330:
	s_or_b64 exec, exec, s[4:5]
	;; [unrolled: 34-line block ×50, first 2 shown]
	v_pk_mov_b32 v[0:1], s[10:11], s[10:11] op_sel:[0,1]
	flat_load_dword v0, v[0:1]
	s_waitcnt vmcnt(0) lgkmcnt(0)
	v_add_u32_e32 v0, -1, v0
	v_cmp_ne_u32_e32 vcc, 0, v0
	s_and_saveexec_b64 s[4:5], vcc
	s_cbranch_execz .LBB51_428
; %bb.427:
	v_mov_b32_e32 v1, 16
	v_lshl_add_u32 v0, v0, 4, v1
	buffer_load_dword v1, v0, s[0:3], 0 offen
	buffer_load_dword v2, v0, s[0:3], 0 offen offset:4
	buffer_load_dword v3, v0, s[0:3], 0 offen offset:8
	;; [unrolled: 1-line block ×3, first 2 shown]
	buffer_load_dword v5, off, s[0:3], 0 offset:28
	buffer_load_dword v6, off, s[0:3], 0 offset:24
	buffer_load_dword v7, off, s[0:3], 0 offset:20
	buffer_load_dword v8, off, s[0:3], 0 offset:16
	s_waitcnt vmcnt(7)
	buffer_store_dword v1, off, s[0:3], 0 offset:16
	s_waitcnt vmcnt(7)
	buffer_store_dword v2, off, s[0:3], 0 offset:20
	;; [unrolled: 2-line block ×4, first 2 shown]
	s_waitcnt vmcnt(7)
	buffer_store_dword v5, v0, s[0:3], 0 offen offset:12
	s_waitcnt vmcnt(7)
	buffer_store_dword v6, v0, s[0:3], 0 offen offset:8
	;; [unrolled: 2-line block ×3, first 2 shown]
	s_waitcnt vmcnt(7)
	buffer_store_dword v8, v0, s[0:3], 0 offen
.LBB51_428:
	s_or_b64 exec, exec, s[4:5]
.LBB51_429:
	buffer_load_dword v0, off, s[0:3], 0 offset:16
	buffer_load_dword v1, off, s[0:3], 0 offset:20
	;; [unrolled: 1-line block ×4, first 2 shown]
	v_accvgpr_read_b32 v4, a92
	v_accvgpr_read_b32 v5, a93
	s_waitcnt vmcnt(0)
	global_store_dwordx4 v[4:5], v[0:3], off
	s_nop 0
	v_accvgpr_read_b32 v3, a154
	buffer_load_dword v0, v3, s[0:3], 0 offen
	buffer_load_dword v1, v3, s[0:3], 0 offen offset:4
	buffer_load_dword v2, v3, s[0:3], 0 offen offset:8
	s_nop 0
	buffer_load_dword v3, v3, s[0:3], 0 offen offset:12
	v_accvgpr_read_b32 v4, a88
	v_accvgpr_read_b32 v5, a89
	s_waitcnt vmcnt(0)
	global_store_dwordx4 v[4:5], v[0:3], off
	s_nop 0
	v_accvgpr_read_b32 v3, a153
	buffer_load_dword v0, v3, s[0:3], 0 offen
	buffer_load_dword v1, v3, s[0:3], 0 offen offset:4
	buffer_load_dword v2, v3, s[0:3], 0 offen offset:8
	s_nop 0
	buffer_load_dword v3, v3, s[0:3], 0 offen offset:12
	;; [unrolled: 11-line block ×10, first 2 shown]
	v_accvgpr_read_b32 v4, a34
	v_accvgpr_read_b32 v5, a35
	s_waitcnt vmcnt(0)
	global_store_dwordx4 v[4:5], v[0:3], off
	v_accvgpr_read_b32 v4, a144
	buffer_load_dword v0, v4, s[0:3], 0 offen
	buffer_load_dword v1, v4, s[0:3], 0 offen offset:4
	buffer_load_dword v2, v4, s[0:3], 0 offen offset:8
	buffer_load_dword v3, v4, s[0:3], 0 offen offset:12
	v_accvgpr_read_b32 v4, a102
	v_accvgpr_read_b32 v5, a103
	s_waitcnt vmcnt(0)
	global_store_dwordx4 v[4:5], v[0:3], off
	v_accvgpr_read_b32 v4, a143
	buffer_load_dword v0, v4, s[0:3], 0 offen
	buffer_load_dword v1, v4, s[0:3], 0 offen offset:4
	buffer_load_dword v2, v4, s[0:3], 0 offen offset:8
	buffer_load_dword v3, v4, s[0:3], 0 offen offset:12
	;; [unrolled: 9-line block ×41, first 2 shown]
	v_accvgpr_read_b32 v5, a1
	v_accvgpr_read_b32 v4, a0
	s_waitcnt vmcnt(0)
	global_store_dwordx4 v[4:5], v[0:3], off
	s_endpgm
	.section	.rodata,"a",@progbits
	.p2align	6, 0x0
	.amdhsa_kernel _ZN9rocsolver6v33100L18getri_kernel_smallILi52E19rocblas_complex_numIdEPS3_EEvT1_iilPiilS6_bb
		.amdhsa_group_segment_fixed_size 1672
		.amdhsa_private_segment_fixed_size 864
		.amdhsa_kernarg_size 60
		.amdhsa_user_sgpr_count 8
		.amdhsa_user_sgpr_private_segment_buffer 1
		.amdhsa_user_sgpr_dispatch_ptr 0
		.amdhsa_user_sgpr_queue_ptr 0
		.amdhsa_user_sgpr_kernarg_segment_ptr 1
		.amdhsa_user_sgpr_dispatch_id 0
		.amdhsa_user_sgpr_flat_scratch_init 1
		.amdhsa_user_sgpr_kernarg_preload_length 0
		.amdhsa_user_sgpr_kernarg_preload_offset 0
		.amdhsa_user_sgpr_private_segment_size 0
		.amdhsa_uses_dynamic_stack 0
		.amdhsa_system_sgpr_private_segment_wavefront_offset 1
		.amdhsa_system_sgpr_workgroup_id_x 1
		.amdhsa_system_sgpr_workgroup_id_y 0
		.amdhsa_system_sgpr_workgroup_id_z 0
		.amdhsa_system_sgpr_workgroup_info 0
		.amdhsa_system_vgpr_workitem_id 0
		.amdhsa_next_free_vgpr 438
		.amdhsa_next_free_sgpr 23
		.amdhsa_accum_offset 256
		.amdhsa_reserve_vcc 1
		.amdhsa_reserve_flat_scratch 1
		.amdhsa_float_round_mode_32 0
		.amdhsa_float_round_mode_16_64 0
		.amdhsa_float_denorm_mode_32 3
		.amdhsa_float_denorm_mode_16_64 3
		.amdhsa_dx10_clamp 1
		.amdhsa_ieee_mode 1
		.amdhsa_fp16_overflow 0
		.amdhsa_tg_split 0
		.amdhsa_exception_fp_ieee_invalid_op 0
		.amdhsa_exception_fp_denorm_src 0
		.amdhsa_exception_fp_ieee_div_zero 0
		.amdhsa_exception_fp_ieee_overflow 0
		.amdhsa_exception_fp_ieee_underflow 0
		.amdhsa_exception_fp_ieee_inexact 0
		.amdhsa_exception_int_div_zero 0
	.end_amdhsa_kernel
	.section	.text._ZN9rocsolver6v33100L18getri_kernel_smallILi52E19rocblas_complex_numIdEPS3_EEvT1_iilPiilS6_bb,"axG",@progbits,_ZN9rocsolver6v33100L18getri_kernel_smallILi52E19rocblas_complex_numIdEPS3_EEvT1_iilPiilS6_bb,comdat
.Lfunc_end51:
	.size	_ZN9rocsolver6v33100L18getri_kernel_smallILi52E19rocblas_complex_numIdEPS3_EEvT1_iilPiilS6_bb, .Lfunc_end51-_ZN9rocsolver6v33100L18getri_kernel_smallILi52E19rocblas_complex_numIdEPS3_EEvT1_iilPiilS6_bb
                                        ; -- End function
	.section	.AMDGPU.csdata,"",@progbits
; Kernel info:
; codeLenInByte = 170468
; NumSgprs: 29
; NumVgprs: 256
; NumAgprs: 182
; TotalNumVgprs: 438
; ScratchSize: 864
; MemoryBound: 0
; FloatMode: 240
; IeeeMode: 1
; LDSByteSize: 1672 bytes/workgroup (compile time only)
; SGPRBlocks: 3
; VGPRBlocks: 54
; NumSGPRsForWavesPerEU: 29
; NumVGPRsForWavesPerEU: 438
; AccumOffset: 256
; Occupancy: 1
; WaveLimiterHint : 1
; COMPUTE_PGM_RSRC2:SCRATCH_EN: 1
; COMPUTE_PGM_RSRC2:USER_SGPR: 8
; COMPUTE_PGM_RSRC2:TRAP_HANDLER: 0
; COMPUTE_PGM_RSRC2:TGID_X_EN: 1
; COMPUTE_PGM_RSRC2:TGID_Y_EN: 0
; COMPUTE_PGM_RSRC2:TGID_Z_EN: 0
; COMPUTE_PGM_RSRC2:TIDIG_COMP_CNT: 0
; COMPUTE_PGM_RSRC3_GFX90A:ACCUM_OFFSET: 63
; COMPUTE_PGM_RSRC3_GFX90A:TG_SPLIT: 0
	.section	.text._ZN9rocsolver6v33100L18getri_kernel_smallILi53E19rocblas_complex_numIdEPS3_EEvT1_iilPiilS6_bb,"axG",@progbits,_ZN9rocsolver6v33100L18getri_kernel_smallILi53E19rocblas_complex_numIdEPS3_EEvT1_iilPiilS6_bb,comdat
	.globl	_ZN9rocsolver6v33100L18getri_kernel_smallILi53E19rocblas_complex_numIdEPS3_EEvT1_iilPiilS6_bb ; -- Begin function _ZN9rocsolver6v33100L18getri_kernel_smallILi53E19rocblas_complex_numIdEPS3_EEvT1_iilPiilS6_bb
	.p2align	8
	.type	_ZN9rocsolver6v33100L18getri_kernel_smallILi53E19rocblas_complex_numIdEPS3_EEvT1_iilPiilS6_bb,@function
_ZN9rocsolver6v33100L18getri_kernel_smallILi53E19rocblas_complex_numIdEPS3_EEvT1_iilPiilS6_bb: ; @_ZN9rocsolver6v33100L18getri_kernel_smallILi53E19rocblas_complex_numIdEPS3_EEvT1_iilPiilS6_bb
; %bb.0:
	s_add_u32 flat_scratch_lo, s6, s9
	s_addc_u32 flat_scratch_hi, s7, 0
	s_add_u32 s0, s0, s9
	v_mov_b32_e32 v255, v0
	s_addc_u32 s1, s1, 0
	v_cmp_gt_u32_e32 vcc, 53, v255
	s_and_saveexec_b64 s[6:7], vcc
	s_cbranch_execz .LBB52_226
; %bb.1:
	s_load_dword s22, s[4:5], 0x38
	s_load_dwordx4 s[16:19], s[4:5], 0x10
	s_load_dwordx4 s[12:15], s[4:5], 0x28
                                        ; implicit-def: $sgpr10_sgpr11
	s_waitcnt lgkmcnt(0)
	s_bitcmp1_b32 s22, 8
	s_cselect_b64 s[20:21], -1, 0
	s_ashr_i32 s9, s8, 31
	s_bfe_u32 s6, s22, 0x10008
	s_cmp_eq_u32 s6, 0
	s_cbranch_scc1 .LBB52_3
; %bb.2:
	s_load_dword s6, s[4:5], 0x20
	s_mul_i32 s7, s8, s13
	s_mul_hi_u32 s10, s8, s12
	s_mul_i32 s11, s9, s12
	s_add_i32 s10, s10, s7
	s_add_i32 s11, s10, s11
	s_mul_i32 s10, s8, s12
	s_waitcnt lgkmcnt(0)
	s_ashr_i32 s7, s6, 31
	s_lshl_b64 s[10:11], s[10:11], 2
	s_add_u32 s10, s18, s10
	s_addc_u32 s11, s19, s11
	s_lshl_b64 s[6:7], s[6:7], 2
	s_add_u32 s10, s10, s6
	s_addc_u32 s11, s11, s7
.LBB52_3:
	s_load_dwordx4 s[4:7], s[4:5], 0x0
	s_mul_i32 s12, s8, s17
	s_mul_hi_u32 s13, s8, s16
	s_add_i32 s17, s13, s12
	v_lshlrev_b32_e32 v1, 4, v255
	s_waitcnt lgkmcnt(0)
	s_ashr_i32 s13, s6, 31
	s_mov_b32 s12, s6
	s_mul_i32 s6, s9, s16
	s_add_i32 s17, s17, s6
	s_mul_i32 s16, s8, s16
	s_lshl_b64 s[16:17], s[16:17], 4
	s_add_u32 s6, s4, s16
	s_addc_u32 s16, s5, s17
	s_lshl_b64 s[4:5], s[12:13], 4
	s_add_u32 s4, s6, s4
	s_addc_u32 s5, s16, s5
	v_mov_b32_e32 v0, s5
	v_add_co_u32_e32 v6, vcc, s4, v1
	global_load_dwordx4 v[2:5], v1, s[4:5]
	s_ashr_i32 s13, s7, 31
	s_mov_b32 s12, s7
	v_addc_co_u32_e32 v7, vcc, 0, v0, vcc
	s_lshl_b64 s[12:13], s[12:13], 4
	v_mov_b32_e32 v0, s13
	v_add_co_u32_e32 v10, vcc, s12, v6
	v_accvgpr_write_b32 a0, v6
	s_add_i32 s6, s7, s7
	v_accvgpr_write_b32 a1, v7
	v_addc_co_u32_e32 v11, vcc, v7, v0, vcc
	v_add_u32_e32 v6, s6, v255
	v_accvgpr_write_b32 a2, v10
	v_ashrrev_i32_e32 v7, 31, v6
	v_accvgpr_write_b32 a3, v11
	global_load_dwordx4 v[10:13], v[10:11], off
	v_lshlrev_b64 v[8:9], 4, v[6:7]
	v_mov_b32_e32 v0, s5
	v_add_co_u32_e32 v8, vcc, s4, v8
	v_add_u32_e32 v6, s7, v6
	v_addc_co_u32_e32 v9, vcc, v0, v9, vcc
	v_accvgpr_write_b32 a4, v8
	v_ashrrev_i32_e32 v7, 31, v6
	v_accvgpr_write_b32 a5, v9
	global_load_dwordx4 v[14:17], v[8:9], off
	v_lshlrev_b64 v[8:9], 4, v[6:7]
	v_add_u32_e32 v6, s7, v6
	v_add_co_u32_e32 v18, vcc, s4, v8
	v_ashrrev_i32_e32 v7, 31, v6
	v_addc_co_u32_e32 v19, vcc, v0, v9, vcc
	v_add_u32_e32 v8, s7, v6
	v_lshlrev_b64 v[6:7], 4, v[6:7]
	v_ashrrev_i32_e32 v9, 31, v8
	v_add_co_u32_e32 v22, vcc, s4, v6
	v_add_u32_e32 v26, s7, v8
	v_addc_co_u32_e32 v23, vcc, v0, v7, vcc
	v_lshlrev_b64 v[6:7], 4, v[8:9]
	v_mov_b32_e32 v28, s5
	v_ashrrev_i32_e32 v27, 31, v26
	v_accvgpr_write_b32 a6, v18
	v_add_co_u32_e32 v32, vcc, s4, v6
	v_add_u32_e32 v8, s7, v26
	v_accvgpr_write_b32 a7, v19
	global_load_dwordx4 v[18:21], v[18:19], off
	v_addc_co_u32_e32 v33, vcc, v28, v7, vcc
	v_lshlrev_b64 v[6:7], 4, v[26:27]
	v_mov_b32_e32 v29, s5
	v_ashrrev_i32_e32 v9, 31, v8
	v_add_co_u32_e32 v30, vcc, s4, v6
	v_addc_co_u32_e32 v31, vcc, v29, v7, vcc
	v_lshlrev_b64 v[6:7], 4, v[8:9]
	v_accvgpr_write_b32 a10, v22
	v_add_co_u32_e32 v34, vcc, s4, v6
	v_add_u32_e32 v6, s7, v8
	v_accvgpr_write_b32 a11, v23
	global_load_dwordx4 v[22:25], v[22:23], off
	v_addc_co_u32_e32 v35, vcc, v0, v7, vcc
	v_ashrrev_i32_e32 v7, 31, v6
	v_lshlrev_b64 v[8:9], 4, v[6:7]
	v_add_co_u32_e32 v8, vcc, s4, v8
	v_addc_co_u32_e32 v9, vcc, v0, v9, vcc
	v_add_u32_e32 v6, s7, v6
	global_load_dwordx4 v[26:29], v[32:33], off
	v_accvgpr_write_b32 a17, v9
	v_ashrrev_i32_e32 v7, 31, v6
	v_accvgpr_write_b32 a16, v8
	global_load_dwordx4 v[38:41], v[8:9], off
	v_lshlrev_b64 v[8:9], 4, v[6:7]
	v_add_co_u32_e32 v42, vcc, s4, v8
	v_accvgpr_write_b32 a12, v32
	v_accvgpr_write_b32 a8, v30
	v_addc_co_u32_e32 v43, vcc, v0, v9, vcc
	v_accvgpr_write_b32 a18, v42
	v_accvgpr_write_b32 a13, v33
	;; [unrolled: 1-line block ×4, first 2 shown]
	global_load_dwordx4 v[42:45], v[42:43], off
	v_accvgpr_write_b32 a14, v34
	global_load_dwordx4 v[30:33], v[30:31], off
	v_accvgpr_write_b32 a15, v35
	global_load_dwordx4 v[34:37], v[34:35], off
	v_add_u32_e32 v6, s7, v6
	v_ashrrev_i32_e32 v7, 31, v6
	v_lshlrev_b64 v[8:9], 4, v[6:7]
	v_add_co_u32_e32 v8, vcc, s4, v8
	v_addc_co_u32_e32 v9, vcc, v0, v9, vcc
	v_add_u32_e32 v6, s7, v6
	v_accvgpr_write_b32 a21, v9
	global_load_dwordx4 v[46:49], v[8:9], off
	v_ashrrev_i32_e32 v7, 31, v6
	v_accvgpr_write_b32 a20, v8
	v_lshlrev_b64 v[8:9], 4, v[6:7]
	v_add_co_u32_e32 v8, vcc, s4, v8
	v_addc_co_u32_e32 v9, vcc, v0, v9, vcc
	global_load_dwordx4 v[50:53], v[8:9], off
	s_waitcnt vmcnt(11)
	buffer_store_dword v5, off, s[0:3], 0 offset:28
	buffer_store_dword v4, off, s[0:3], 0 offset:24
	;; [unrolled: 1-line block ×4, first 2 shown]
	s_waitcnt vmcnt(14)
	buffer_store_dword v13, off, s[0:3], 0 offset:44
	v_add_u32_e32 v2, s7, v6
	v_ashrrev_i32_e32 v3, 31, v2
	v_lshlrev_b64 v[4:5], 4, v[2:3]
	v_add_co_u32_e32 v4, vcc, s4, v4
	v_addc_co_u32_e32 v5, vcc, v0, v5, vcc
	v_add_u32_e32 v2, s7, v2
	v_accvgpr_write_b32 a23, v9
	v_accvgpr_write_b32 a25, v5
	v_ashrrev_i32_e32 v3, 31, v2
	v_accvgpr_write_b32 a22, v8
	v_accvgpr_write_b32 a24, v4
	global_load_dwordx4 v[6:9], v[4:5], off
	v_lshlrev_b64 v[4:5], 4, v[2:3]
	buffer_store_dword v12, off, s[0:3], 0 offset:40
	buffer_store_dword v11, off, s[0:3], 0 offset:36
	buffer_store_dword v10, off, s[0:3], 0 offset:32
	s_waitcnt vmcnt(18)
	buffer_store_dword v17, off, s[0:3], 0 offset:60
	buffer_store_dword v16, off, s[0:3], 0 offset:56
	buffer_store_dword v15, off, s[0:3], 0 offset:52
	buffer_store_dword v14, off, s[0:3], 0 offset:48
	s_waitcnt vmcnt(21)
	buffer_store_dword v21, off, s[0:3], 0 offset:76
	;; [unrolled: 5-line block ×6, first 2 shown]
	buffer_store_dword v36, off, s[0:3], 0 offset:136
	buffer_store_dword v35, off, s[0:3], 0 offset:132
	;; [unrolled: 1-line block ×11, first 2 shown]
	s_waitcnt vmcnt(42)
	buffer_store_dword v46, off, s[0:3], 0 offset:176
	buffer_store_dword v47, off, s[0:3], 0 offset:180
	;; [unrolled: 1-line block ×4, first 2 shown]
	s_waitcnt vmcnt(45)
	buffer_store_dword v50, off, s[0:3], 0 offset:192
	buffer_store_dword v51, off, s[0:3], 0 offset:196
	;; [unrolled: 1-line block ×4, first 2 shown]
	v_add_co_u32_e32 v10, vcc, s4, v4
	v_addc_co_u32_e32 v11, vcc, v0, v5, vcc
	v_add_u32_e32 v2, s7, v2
	v_ashrrev_i32_e32 v3, 31, v2
	v_accvgpr_write_b32 a27, v11
	v_lshlrev_b64 v[4:5], 4, v[2:3]
	v_accvgpr_write_b32 a26, v10
	global_load_dwordx4 v[10:13], v[10:11], off
	v_add_co_u32_e32 v4, vcc, s4, v4
	v_addc_co_u32_e32 v5, vcc, v0, v5, vcc
	v_add_u32_e32 v2, s7, v2
	v_accvgpr_write_b32 a29, v5
	v_ashrrev_i32_e32 v3, 31, v2
	v_accvgpr_write_b32 a28, v4
	global_load_dwordx4 v[14:17], v[4:5], off
	v_lshlrev_b64 v[4:5], 4, v[2:3]
	v_add_co_u32_e32 v18, vcc, s4, v4
	v_addc_co_u32_e32 v19, vcc, v0, v5, vcc
	v_add_u32_e32 v2, s7, v2
	v_ashrrev_i32_e32 v3, 31, v2
	v_accvgpr_write_b32 a31, v19
	v_lshlrev_b64 v[4:5], 4, v[2:3]
	v_accvgpr_write_b32 a30, v18
	global_load_dwordx4 v[18:21], v[18:19], off
	v_add_co_u32_e32 v4, vcc, s4, v4
	v_addc_co_u32_e32 v5, vcc, v0, v5, vcc
	global_load_dwordx4 v[22:25], v[4:5], off
	v_add_u32_e32 v2, s7, v2
	v_accvgpr_write_b32 a33, v5
	v_ashrrev_i32_e32 v3, 31, v2
	v_accvgpr_write_b32 a32, v4
	v_lshlrev_b64 v[4:5], 4, v[2:3]
	v_add_co_u32_e32 v26, vcc, s4, v4
	v_addc_co_u32_e32 v27, vcc, v0, v5, vcc
	v_add_u32_e32 v2, s7, v2
	v_ashrrev_i32_e32 v3, 31, v2
	v_accvgpr_write_b32 a35, v27
	v_lshlrev_b64 v[4:5], 4, v[2:3]
	v_accvgpr_write_b32 a34, v26
	global_load_dwordx4 v[26:29], v[26:27], off
	v_add_co_u32_e32 v4, vcc, s4, v4
	v_addc_co_u32_e32 v5, vcc, v0, v5, vcc
	global_load_dwordx4 v[30:33], v[4:5], off
	v_add_u32_e32 v2, s7, v2
	v_accvgpr_write_b32 a37, v5
	v_ashrrev_i32_e32 v3, 31, v2
	v_accvgpr_write_b32 a36, v4
	v_lshlrev_b64 v[4:5], 4, v[2:3]
	v_add_co_u32_e32 v34, vcc, s4, v4
	v_addc_co_u32_e32 v35, vcc, v0, v5, vcc
	v_add_u32_e32 v2, s7, v2
	v_accvgpr_write_b32 a39, v35
	v_ashrrev_i32_e32 v3, 31, v2
	v_accvgpr_write_b32 a38, v34
	global_load_dwordx4 v[34:37], v[34:35], off
	v_lshlrev_b64 v[4:5], 4, v[2:3]
	v_add_co_u32_e32 v4, vcc, s4, v4
	v_addc_co_u32_e32 v5, vcc, v0, v5, vcc
	global_load_dwordx4 v[38:41], v[4:5], off
	v_add_u32_e32 v2, s7, v2
	v_accvgpr_write_b32 a41, v5
	v_ashrrev_i32_e32 v3, 31, v2
	v_accvgpr_write_b32 a40, v4
	v_lshlrev_b64 v[4:5], 4, v[2:3]
	v_add_co_u32_e32 v42, vcc, s4, v4
	v_addc_co_u32_e32 v43, vcc, v0, v5, vcc
	v_add_u32_e32 v2, s7, v2
	v_accvgpr_write_b32 a42, v42
	v_ashrrev_i32_e32 v3, 31, v2
	v_accvgpr_write_b32 a43, v43
	global_load_dwordx4 v[42:45], v[42:43], off
	v_lshlrev_b64 v[4:5], 4, v[2:3]
	;; [unrolled: 16-line block ×6, first 2 shown]
	v_add_co_u32_e32 v4, vcc, s4, v4
	v_addc_co_u32_e32 v5, vcc, v0, v5, vcc
	global_load_dwordx4 v[78:81], v[4:5], off
	v_add_u32_e32 v2, s7, v2
	v_accvgpr_write_b32 a61, v5
	v_ashrrev_i32_e32 v3, 31, v2
	v_accvgpr_write_b32 a60, v4
	v_lshlrev_b64 v[4:5], 4, v[2:3]
	v_add_co_u32_e32 v4, vcc, s4, v4
	v_add_u32_e32 v86, s7, v2
	v_addc_co_u32_e32 v5, vcc, v0, v5, vcc
	v_ashrrev_i32_e32 v87, 31, v86
	v_lshlrev_b64 v[2:3], 4, v[86:87]
	global_load_dwordx4 v[82:85], v[4:5], off
	v_add_co_u32_e32 v2, vcc, s4, v2
	v_addc_co_u32_e32 v3, vcc, v0, v3, vcc
	v_accvgpr_write_b32 a63, v5
	v_accvgpr_write_b32 a65, v3
	;; [unrolled: 1-line block ×4, first 2 shown]
	global_load_dwordx4 v[2:5], v[2:3], off
	s_bitcmp0_b32 s22, 0
	s_waitcnt vmcnt(62)
	buffer_store_dword v9, off, s[0:3], 0 offset:220
	buffer_store_dword v8, off, s[0:3], 0 offset:216
	buffer_store_dword v7, off, s[0:3], 0 offset:212
	buffer_store_dword v6, off, s[0:3], 0 offset:208
	s_waitcnt vmcnt(23)
	buffer_store_dword v13, off, s[0:3], 0 offset:236
	buffer_store_dword v12, off, s[0:3], 0 offset:232
	buffer_store_dword v11, off, s[0:3], 0 offset:228
	buffer_store_dword v10, off, s[0:3], 0 offset:224
	;; [unrolled: 5-line block ×16, first 2 shown]
	buffer_store_dword v73, off, s[0:3], 0 offset:476
	buffer_store_dword v72, off, s[0:3], 0 offset:472
	;; [unrolled: 1-line block ×12, first 2 shown]
	s_waitcnt vmcnt(62)
	buffer_store_dword v85, off, s[0:3], 0 offset:524
	buffer_store_dword v84, off, s[0:3], 0 offset:520
	;; [unrolled: 1-line block ×5, first 2 shown]
	v_add_u32_e32 v6, s7, v86
	v_ashrrev_i32_e32 v7, 31, v6
	v_lshlrev_b64 v[8:9], 4, v[6:7]
	v_add_u32_e32 v14, s7, v6
	v_add_co_u32_e32 v8, vcc, s4, v8
	v_ashrrev_i32_e32 v15, 31, v14
	v_addc_co_u32_e32 v9, vcc, v0, v9, vcc
	v_lshlrev_b64 v[6:7], 4, v[14:15]
	v_add_co_u32_e32 v10, vcc, s4, v6
	v_accvgpr_write_b32 a69, v9
	v_addc_co_u32_e32 v11, vcc, v0, v7, vcc
	v_accvgpr_write_b32 a68, v8
	global_load_dwordx4 v[6:9], v[8:9], off
	v_add_u32_e32 v14, s7, v14
	v_accvgpr_write_b32 a71, v11
	v_ashrrev_i32_e32 v15, 31, v14
	v_accvgpr_write_b32 a70, v10
	global_load_dwordx4 v[10:13], v[10:11], off
	v_lshlrev_b64 v[16:17], 4, v[14:15]
	v_add_u32_e32 v22, s7, v14
	v_add_co_u32_e32 v16, vcc, s4, v16
	v_ashrrev_i32_e32 v23, 31, v22
	v_addc_co_u32_e32 v17, vcc, v0, v17, vcc
	v_lshlrev_b64 v[14:15], 4, v[22:23]
	v_add_co_u32_e32 v18, vcc, s4, v14
	v_accvgpr_write_b32 a73, v17
	v_addc_co_u32_e32 v19, vcc, v0, v15, vcc
	v_accvgpr_write_b32 a72, v16
	global_load_dwordx4 v[14:17], v[16:17], off
	v_add_u32_e32 v22, s7, v22
	v_accvgpr_write_b32 a75, v19
	v_ashrrev_i32_e32 v23, 31, v22
	v_accvgpr_write_b32 a74, v18
	global_load_dwordx4 v[18:21], v[18:19], off
	;; [unrolled: 16-line block ×9, first 2 shown]
	v_lshlrev_b64 v[80:81], 4, v[78:79]
	v_add_co_u32_e32 v80, vcc, s4, v80
	v_addc_co_u32_e32 v81, vcc, v0, v81, vcc
	v_add_u32_e32 v78, s7, v78
	v_ashrrev_i32_e32 v79, 31, v78
	v_accvgpr_write_b32 a105, v81
	v_lshlrev_b64 v[82:83], 4, v[78:79]
	v_accvgpr_write_b32 a104, v80
	global_load_dwordx4 v[78:81], v[80:81], off
	v_add_co_u32_e32 v82, vcc, s4, v82
	v_addc_co_u32_e32 v83, vcc, v0, v83, vcc
	v_accvgpr_write_b32 a66, v82
	v_accvgpr_write_b32 a67, v83
	global_load_dwordx4 v[82:85], v[82:83], off
	v_mov_b32_e32 v0, 16
	buffer_store_dword v4, off, s[0:3], 0 offset:536
	buffer_store_dword v3, off, s[0:3], 0 offset:532
	buffer_store_dword v2, off, s[0:3], 0 offset:528
	s_waitcnt vmcnt(22)
	buffer_store_dword v9, off, s[0:3], 0 offset:556
	buffer_store_dword v8, off, s[0:3], 0 offset:552
	buffer_store_dword v7, off, s[0:3], 0 offset:548
	buffer_store_dword v6, off, s[0:3], 0 offset:544
	s_waitcnt vmcnt(25)
	buffer_store_dword v13, off, s[0:3], 0 offset:572
	;; [unrolled: 5-line block ×15, first 2 shown]
	buffer_store_dword v64, off, s[0:3], 0 offset:776
	buffer_store_dword v63, off, s[0:3], 0 offset:772
	;; [unrolled: 1-line block ×11, first 2 shown]
	s_waitcnt vmcnt(62)
	buffer_store_dword v77, off, s[0:3], 0 offset:828
	buffer_store_dword v76, off, s[0:3], 0 offset:824
	;; [unrolled: 1-line block ×12, first 2 shown]
	v_add_u32_e32 v2, 16, v0
	v_accvgpr_write_b32 a157, v2
	v_add_u32_e32 v2, 32, v0
	v_accvgpr_write_b32 a156, v2
	;; [unrolled: 2-line block ×50, first 2 shown]
	v_add_u32_e32 v2, 0x330, v0
	v_add_u32_e32 v0, 0x340, v0
	v_accvgpr_write_b32 a107, v2
	v_accvgpr_write_b32 a106, v0
	s_mov_b64 s[6:7], -1
	s_cbranch_scc1 .LBB52_224
; %bb.4:
	v_cmp_eq_u32_e64 s[4:5], 0, v255
	s_and_saveexec_b64 s[6:7], s[4:5]
	s_cbranch_execz .LBB52_6
; %bb.5:
	v_mov_b32_e32 v0, 0
	ds_write_b32 v0, v0 offset:1696
.LBB52_6:
	s_or_b64 exec, exec, s[6:7]
	v_mov_b32_e32 v0, 16
	v_lshl_add_u32 v12, v255, 4, v0
	s_waitcnt lgkmcnt(0)
	; wave barrier
	s_waitcnt lgkmcnt(0)
	buffer_load_dword v2, v12, s[0:3], 0 offen
	buffer_load_dword v3, v12, s[0:3], 0 offen offset:4
	buffer_load_dword v4, v12, s[0:3], 0 offen offset:8
	;; [unrolled: 1-line block ×3, first 2 shown]
	s_waitcnt vmcnt(2)
	v_cmp_eq_f64_e32 vcc, 0, v[2:3]
	s_waitcnt vmcnt(0)
	v_cmp_eq_f64_e64 s[6:7], 0, v[4:5]
	s_and_b64 s[6:7], vcc, s[6:7]
	s_and_saveexec_b64 s[12:13], s[6:7]
	s_cbranch_execz .LBB52_10
; %bb.7:
	v_mov_b32_e32 v2, 0
	ds_read_b32 v0, v2 offset:1696
	v_add_u32_e32 v3, 1, v255
	s_waitcnt lgkmcnt(0)
	v_readfirstlane_b32 s6, v0
	s_cmp_eq_u32 s6, 0
	s_cselect_b64 s[16:17], -1, 0
	v_cmp_gt_i32_e32 vcc, s6, v3
	s_or_b64 s[16:17], s[16:17], vcc
	s_and_b64 exec, exec, s[16:17]
	s_cbranch_execz .LBB52_10
; %bb.8:
	s_mov_b64 s[16:17], 0
	v_mov_b32_e32 v4, s6
.LBB52_9:                               ; =>This Inner Loop Header: Depth=1
	ds_cmpst_rtn_b32 v4, v2, v4, v3 offset:1696
	s_waitcnt lgkmcnt(0)
	v_cmp_ne_u32_e32 vcc, 0, v4
	v_cmp_le_i32_e64 s[6:7], v4, v3
	s_and_b64 s[6:7], vcc, s[6:7]
	s_and_b64 s[6:7], exec, s[6:7]
	s_or_b64 s[16:17], s[6:7], s[16:17]
	s_andn2_b64 exec, exec, s[16:17]
	s_cbranch_execnz .LBB52_9
.LBB52_10:
	s_or_b64 exec, exec, s[12:13]
	v_mov_b32_e32 v3, 0
	s_waitcnt lgkmcnt(0)
	; wave barrier
	ds_read_b32 v2, v3 offset:1696
	s_and_saveexec_b64 s[6:7], s[4:5]
	s_cbranch_execz .LBB52_12
; %bb.11:
	s_lshl_b64 s[12:13], s[8:9], 2
	s_add_u32 s12, s14, s12
	s_addc_u32 s13, s15, s13
	s_waitcnt lgkmcnt(0)
	global_store_dword v3, v2, s[12:13]
.LBB52_12:
	s_or_b64 exec, exec, s[6:7]
	s_waitcnt lgkmcnt(0)
	v_cmp_ne_u32_e32 vcc, 0, v2
	s_mov_b64 s[6:7], 0
	s_cbranch_vccnz .LBB52_224
; %bb.13:
	buffer_load_dword v7, v12, s[0:3], 0 offen offset:4
	buffer_load_dword v6, v12, s[0:3], 0 offen
	buffer_load_dword v9, v12, s[0:3], 0 offen offset:12
	buffer_load_dword v8, v12, s[0:3], 0 offen offset:8
                                        ; implicit-def: $vgpr10_vgpr11
	s_waitcnt vmcnt(3)
	v_xor_b32_e32 v0, 0x80000000, v7
	s_waitcnt vmcnt(2)
	v_cmp_gt_f64_e32 vcc, 0, v[6:7]
	s_waitcnt vmcnt(1)
	v_xor_b32_e32 v4, 0x80000000, v9
	v_cndmask_b32_e32 v3, v7, v0, vcc
	s_waitcnt vmcnt(0)
	v_cmp_gt_f64_e32 vcc, 0, v[8:9]
	v_mov_b32_e32 v2, v6
	v_cndmask_b32_e32 v5, v9, v4, vcc
	v_mov_b32_e32 v4, v8
	v_cmp_ngt_f64_e32 vcc, v[2:3], v[4:5]
                                        ; implicit-def: $vgpr4_vgpr5
	s_and_saveexec_b64 s[6:7], vcc
	s_xor_b64 s[6:7], exec, s[6:7]
	s_cbranch_execz .LBB52_15
; %bb.14:
	v_div_scale_f64 v[2:3], s[12:13], v[8:9], v[8:9], v[6:7]
	v_rcp_f64_e32 v[4:5], v[2:3]
	v_div_scale_f64 v[10:11], vcc, v[6:7], v[8:9], v[6:7]
	v_fma_f64 v[14:15], -v[2:3], v[4:5], 1.0
	v_fmac_f64_e32 v[4:5], v[4:5], v[14:15]
	v_fma_f64 v[14:15], -v[2:3], v[4:5], 1.0
	v_fmac_f64_e32 v[4:5], v[4:5], v[14:15]
	v_mul_f64 v[14:15], v[10:11], v[4:5]
	v_fma_f64 v[2:3], -v[2:3], v[14:15], v[10:11]
	v_div_fmas_f64 v[2:3], v[2:3], v[4:5], v[14:15]
	v_div_fixup_f64 v[2:3], v[2:3], v[8:9], v[6:7]
	v_fmac_f64_e32 v[8:9], v[6:7], v[2:3]
	v_div_scale_f64 v[4:5], s[12:13], v[8:9], v[8:9], 1.0
	v_rcp_f64_e32 v[6:7], v[4:5]
	v_fma_f64 v[10:11], -v[4:5], v[6:7], 1.0
	v_fmac_f64_e32 v[6:7], v[6:7], v[10:11]
	v_fma_f64 v[10:11], -v[4:5], v[6:7], 1.0
	v_fmac_f64_e32 v[6:7], v[6:7], v[10:11]
	v_div_scale_f64 v[10:11], vcc, 1.0, v[8:9], 1.0
	v_mul_f64 v[14:15], v[10:11], v[6:7]
	v_fma_f64 v[4:5], -v[4:5], v[14:15], v[10:11]
	s_nop 1
	v_div_fmas_f64 v[4:5], v[4:5], v[6:7], v[14:15]
	v_div_fixup_f64 v[4:5], v[4:5], v[8:9], 1.0
	v_mul_f64 v[10:11], v[2:3], v[4:5]
	v_xor_b32_e32 v5, 0x80000000, v5
	v_xor_b32_e32 v3, 0x80000000, v11
	v_mov_b32_e32 v2, v10
                                        ; implicit-def: $vgpr6_vgpr7
                                        ; implicit-def: $vgpr8_vgpr9
.LBB52_15:
	s_andn2_saveexec_b64 s[6:7], s[6:7]
	s_cbranch_execz .LBB52_17
; %bb.16:
	v_div_scale_f64 v[2:3], s[12:13], v[6:7], v[6:7], v[8:9]
	v_rcp_f64_e32 v[4:5], v[2:3]
	v_div_scale_f64 v[10:11], vcc, v[8:9], v[6:7], v[8:9]
	v_fma_f64 v[14:15], -v[2:3], v[4:5], 1.0
	v_fmac_f64_e32 v[4:5], v[4:5], v[14:15]
	v_fma_f64 v[14:15], -v[2:3], v[4:5], 1.0
	v_fmac_f64_e32 v[4:5], v[4:5], v[14:15]
	v_mul_f64 v[14:15], v[10:11], v[4:5]
	v_fma_f64 v[2:3], -v[2:3], v[14:15], v[10:11]
	v_div_fmas_f64 v[2:3], v[2:3], v[4:5], v[14:15]
	v_div_fixup_f64 v[4:5], v[2:3], v[6:7], v[8:9]
	v_fmac_f64_e32 v[6:7], v[8:9], v[4:5]
	v_div_scale_f64 v[2:3], s[12:13], v[6:7], v[6:7], 1.0
	v_rcp_f64_e32 v[8:9], v[2:3]
	v_fma_f64 v[10:11], -v[2:3], v[8:9], 1.0
	v_fmac_f64_e32 v[8:9], v[8:9], v[10:11]
	v_fma_f64 v[10:11], -v[2:3], v[8:9], 1.0
	v_fmac_f64_e32 v[8:9], v[8:9], v[10:11]
	v_div_scale_f64 v[10:11], vcc, 1.0, v[6:7], 1.0
	v_mul_f64 v[14:15], v[10:11], v[8:9]
	v_fma_f64 v[2:3], -v[2:3], v[14:15], v[10:11]
	s_nop 1
	v_div_fmas_f64 v[2:3], v[2:3], v[8:9], v[14:15]
	v_div_fixup_f64 v[10:11], v[2:3], v[6:7], 1.0
	v_xor_b32_e32 v3, 0x80000000, v11
	v_mov_b32_e32 v2, v10
	v_mul_f64 v[4:5], v[4:5], -v[10:11]
.LBB52_17:
	s_or_b64 exec, exec, s[6:7]
	buffer_store_dword v11, v12, s[0:3], 0 offen offset:4
	buffer_store_dword v10, v12, s[0:3], 0 offen
	buffer_store_dword v5, v12, s[0:3], 0 offen offset:12
	buffer_store_dword v4, v12, s[0:3], 0 offen offset:8
	v_accvgpr_read_b32 v0, a157
	buffer_load_dword v11, v0, s[0:3], 0 offen offset:12
	buffer_load_dword v10, v0, s[0:3], 0 offen offset:8
	;; [unrolled: 1-line block ×3, first 2 shown]
	buffer_load_dword v8, v0, s[0:3], 0 offen
	v_xor_b32_e32 v5, 0x80000000, v5
	v_add_u32_e32 v6, 0x350, v1
	ds_write_b128 v1, v[2:5]
	s_waitcnt vmcnt(0)
	ds_write_b128 v1, v[8:11] offset:848
	s_waitcnt lgkmcnt(0)
	; wave barrier
	s_waitcnt lgkmcnt(0)
	s_and_saveexec_b64 s[6:7], s[4:5]
	s_cbranch_execz .LBB52_19
; %bb.18:
	buffer_load_dword v14, v12, s[0:3], 0 offen offset:8
	buffer_load_dword v15, v12, s[0:3], 0 offen offset:12
	buffer_load_dword v16, v12, s[0:3], 0 offen
	buffer_load_dword v17, v12, s[0:3], 0 offen offset:4
	ds_read_b128 v[2:5], v6
	v_mov_b32_e32 v0, 0
	ds_read_b128 v[8:11], v0 offset:16
	s_waitcnt vmcnt(2) lgkmcnt(1)
	v_mul_f64 v[18:19], v[4:5], v[14:15]
	v_mul_f64 v[14:15], v[2:3], v[14:15]
	s_waitcnt vmcnt(0)
	v_fmac_f64_e32 v[14:15], v[4:5], v[16:17]
	v_fma_f64 v[2:3], v[2:3], v[16:17], -v[18:19]
	v_add_f64 v[4:5], v[14:15], 0
	v_add_f64 v[2:3], v[2:3], 0
	s_waitcnt lgkmcnt(0)
	v_mul_f64 v[14:15], v[4:5], v[10:11]
	v_mul_f64 v[10:11], v[2:3], v[10:11]
	v_fma_f64 v[2:3], v[2:3], v[8:9], -v[14:15]
	v_fmac_f64_e32 v[10:11], v[4:5], v[8:9]
	buffer_store_dword v2, off, s[0:3], 0 offset:32
	buffer_store_dword v3, off, s[0:3], 0 offset:36
	;; [unrolled: 1-line block ×4, first 2 shown]
.LBB52_19:
	s_or_b64 exec, exec, s[6:7]
	v_accvgpr_read_b32 v0, a156
	s_waitcnt lgkmcnt(0)
	; wave barrier
	buffer_load_dword v2, v0, s[0:3], 0 offen
	buffer_load_dword v3, v0, s[0:3], 0 offen offset:4
	buffer_load_dword v4, v0, s[0:3], 0 offen offset:8
	;; [unrolled: 1-line block ×3, first 2 shown]
	v_cmp_gt_u32_e32 vcc, 2, v255
	s_waitcnt vmcnt(0)
	ds_write_b128 v6, v[2:5]
	s_waitcnt lgkmcnt(0)
	; wave barrier
	s_waitcnt lgkmcnt(0)
	s_and_saveexec_b64 s[6:7], vcc
	s_cbranch_execz .LBB52_23
; %bb.20:
	buffer_load_dword v8, v12, s[0:3], 0 offen offset:8
	buffer_load_dword v9, v12, s[0:3], 0 offen offset:12
	buffer_load_dword v10, v12, s[0:3], 0 offen
	buffer_load_dword v11, v12, s[0:3], 0 offen offset:4
	ds_read_b128 v[2:5], v6
	s_waitcnt vmcnt(2) lgkmcnt(0)
	v_mul_f64 v[12:13], v[4:5], v[8:9]
	v_mul_f64 v[8:9], v[2:3], v[8:9]
	s_waitcnt vmcnt(0)
	v_fma_f64 v[2:3], v[2:3], v[10:11], -v[12:13]
	v_fmac_f64_e32 v[8:9], v[4:5], v[10:11]
	v_add_f64 v[4:5], v[2:3], 0
	v_add_f64 v[2:3], v[8:9], 0
	s_and_saveexec_b64 s[12:13], s[4:5]
	s_cbranch_execz .LBB52_22
; %bb.21:
	buffer_load_dword v12, off, s[0:3], 0 offset:40
	buffer_load_dword v13, off, s[0:3], 0 offset:44
	;; [unrolled: 1-line block ×4, first 2 shown]
	v_mov_b32_e32 v0, 0
	ds_read_b128 v[8:11], v0 offset:864
	s_waitcnt vmcnt(2) lgkmcnt(0)
	v_mul_f64 v[16:17], v[8:9], v[12:13]
	v_mul_f64 v[12:13], v[10:11], v[12:13]
	s_waitcnt vmcnt(0)
	v_fmac_f64_e32 v[16:17], v[10:11], v[14:15]
	v_fma_f64 v[8:9], v[8:9], v[14:15], -v[12:13]
	v_add_f64 v[2:3], v[2:3], v[16:17]
	v_add_f64 v[4:5], v[4:5], v[8:9]
.LBB52_22:
	s_or_b64 exec, exec, s[12:13]
	v_mov_b32_e32 v0, 0
	ds_read_b128 v[8:11], v0 offset:32
	s_waitcnt lgkmcnt(0)
	v_mul_f64 v[12:13], v[2:3], v[10:11]
	v_mul_f64 v[10:11], v[4:5], v[10:11]
	v_fma_f64 v[4:5], v[4:5], v[8:9], -v[12:13]
	v_fmac_f64_e32 v[10:11], v[2:3], v[8:9]
	buffer_store_dword v5, off, s[0:3], 0 offset:52
	buffer_store_dword v4, off, s[0:3], 0 offset:48
	;; [unrolled: 1-line block ×4, first 2 shown]
.LBB52_23:
	s_or_b64 exec, exec, s[6:7]
	v_accvgpr_read_b32 v0, a155
	s_waitcnt lgkmcnt(0)
	; wave barrier
	buffer_load_dword v2, v0, s[0:3], 0 offen
	buffer_load_dword v3, v0, s[0:3], 0 offen offset:4
	buffer_load_dword v4, v0, s[0:3], 0 offen offset:8
	;; [unrolled: 1-line block ×3, first 2 shown]
	v_cmp_gt_u32_e32 vcc, 3, v255
	v_add_u32_e32 v7, -1, v255
	s_waitcnt vmcnt(0)
	ds_write_b128 v6, v[2:5]
	s_waitcnt lgkmcnt(0)
	; wave barrier
	s_waitcnt lgkmcnt(0)
	s_and_saveexec_b64 s[4:5], vcc
	s_cbranch_execz .LBB52_27
; %bb.24:
	v_pk_mov_b32 v[2:3], 0, 0
	v_add_u32_e32 v8, -1, v255
	v_add_u32_e32 v9, 0x350, v1
	v_add_u32_e32 v10, 16, v1
	s_mov_b64 s[6:7], 0
	v_pk_mov_b32 v[4:5], v[2:3], v[2:3] op_sel:[0,1]
.LBB52_25:                              ; =>This Inner Loop Header: Depth=1
	buffer_load_dword v16, v10, s[0:3], 0 offen offset:8
	buffer_load_dword v17, v10, s[0:3], 0 offen offset:12
	buffer_load_dword v18, v10, s[0:3], 0 offen
	buffer_load_dword v19, v10, s[0:3], 0 offen offset:4
	ds_read_b128 v[12:15], v9
	v_add_u32_e32 v8, 1, v8
	v_cmp_lt_u32_e32 vcc, 1, v8
	v_add_u32_e32 v9, 16, v9
	v_add_u32_e32 v10, 16, v10
	s_or_b64 s[6:7], vcc, s[6:7]
	s_waitcnt vmcnt(2) lgkmcnt(0)
	v_mul_f64 v[20:21], v[14:15], v[16:17]
	v_mul_f64 v[16:17], v[12:13], v[16:17]
	s_waitcnt vmcnt(0)
	v_fma_f64 v[12:13], v[12:13], v[18:19], -v[20:21]
	v_fmac_f64_e32 v[16:17], v[14:15], v[18:19]
	v_add_f64 v[4:5], v[4:5], v[12:13]
	v_add_f64 v[2:3], v[2:3], v[16:17]
	s_andn2_b64 exec, exec, s[6:7]
	s_cbranch_execnz .LBB52_25
; %bb.26:
	s_or_b64 exec, exec, s[6:7]
	v_mov_b32_e32 v0, 0
	ds_read_b128 v[8:11], v0 offset:48
	s_waitcnt lgkmcnt(0)
	v_mul_f64 v[12:13], v[2:3], v[10:11]
	v_mul_f64 v[10:11], v[4:5], v[10:11]
	v_fma_f64 v[4:5], v[4:5], v[8:9], -v[12:13]
	v_fmac_f64_e32 v[10:11], v[2:3], v[8:9]
	buffer_store_dword v5, off, s[0:3], 0 offset:68
	buffer_store_dword v4, off, s[0:3], 0 offset:64
	buffer_store_dword v11, off, s[0:3], 0 offset:76
	buffer_store_dword v10, off, s[0:3], 0 offset:72
.LBB52_27:
	s_or_b64 exec, exec, s[4:5]
	v_accvgpr_read_b32 v0, a154
	s_waitcnt lgkmcnt(0)
	; wave barrier
	buffer_load_dword v2, v0, s[0:3], 0 offen
	buffer_load_dword v3, v0, s[0:3], 0 offen offset:4
	buffer_load_dword v4, v0, s[0:3], 0 offen offset:8
	buffer_load_dword v5, v0, s[0:3], 0 offen offset:12
	v_cmp_gt_u32_e32 vcc, 4, v255
	s_waitcnt vmcnt(0)
	ds_write_b128 v6, v[2:5]
	s_waitcnt lgkmcnt(0)
	; wave barrier
	s_waitcnt lgkmcnt(0)
	s_and_saveexec_b64 s[4:5], vcc
	s_cbranch_execz .LBB52_31
; %bb.28:
	v_pk_mov_b32 v[2:3], 0, 0
	v_add_u32_e32 v8, -1, v255
	v_add_u32_e32 v9, 0x350, v1
	v_add_u32_e32 v10, 16, v1
	s_mov_b64 s[6:7], 0
	v_pk_mov_b32 v[4:5], v[2:3], v[2:3] op_sel:[0,1]
.LBB52_29:                              ; =>This Inner Loop Header: Depth=1
	buffer_load_dword v16, v10, s[0:3], 0 offen offset:8
	buffer_load_dword v17, v10, s[0:3], 0 offen offset:12
	buffer_load_dword v18, v10, s[0:3], 0 offen
	buffer_load_dword v19, v10, s[0:3], 0 offen offset:4
	ds_read_b128 v[12:15], v9
	v_add_u32_e32 v8, 1, v8
	v_cmp_lt_u32_e32 vcc, 2, v8
	v_add_u32_e32 v9, 16, v9
	v_add_u32_e32 v10, 16, v10
	s_or_b64 s[6:7], vcc, s[6:7]
	s_waitcnt vmcnt(2) lgkmcnt(0)
	v_mul_f64 v[20:21], v[14:15], v[16:17]
	v_mul_f64 v[16:17], v[12:13], v[16:17]
	s_waitcnt vmcnt(0)
	v_fma_f64 v[12:13], v[12:13], v[18:19], -v[20:21]
	v_fmac_f64_e32 v[16:17], v[14:15], v[18:19]
	v_add_f64 v[4:5], v[4:5], v[12:13]
	v_add_f64 v[2:3], v[2:3], v[16:17]
	s_andn2_b64 exec, exec, s[6:7]
	s_cbranch_execnz .LBB52_29
; %bb.30:
	s_or_b64 exec, exec, s[6:7]
	v_mov_b32_e32 v0, 0
	ds_read_b128 v[8:11], v0 offset:64
	s_waitcnt lgkmcnt(0)
	v_mul_f64 v[12:13], v[2:3], v[10:11]
	v_mul_f64 v[10:11], v[4:5], v[10:11]
	v_fma_f64 v[4:5], v[4:5], v[8:9], -v[12:13]
	v_fmac_f64_e32 v[10:11], v[2:3], v[8:9]
	buffer_store_dword v5, off, s[0:3], 0 offset:84
	buffer_store_dword v4, off, s[0:3], 0 offset:80
	buffer_store_dword v11, off, s[0:3], 0 offset:92
	buffer_store_dword v10, off, s[0:3], 0 offset:88
.LBB52_31:
	s_or_b64 exec, exec, s[4:5]
	v_accvgpr_read_b32 v0, a153
	s_waitcnt lgkmcnt(0)
	; wave barrier
	buffer_load_dword v2, v0, s[0:3], 0 offen
	buffer_load_dword v3, v0, s[0:3], 0 offen offset:4
	buffer_load_dword v4, v0, s[0:3], 0 offen offset:8
	buffer_load_dword v5, v0, s[0:3], 0 offen offset:12
	v_cmp_gt_u32_e32 vcc, 5, v255
	s_waitcnt vmcnt(0)
	ds_write_b128 v6, v[2:5]
	s_waitcnt lgkmcnt(0)
	; wave barrier
	s_waitcnt lgkmcnt(0)
	s_and_saveexec_b64 s[4:5], vcc
	s_cbranch_execz .LBB52_35
; %bb.32:
	v_pk_mov_b32 v[2:3], 0, 0
	v_add_u32_e32 v8, -1, v255
	v_add_u32_e32 v9, 0x350, v1
	v_add_u32_e32 v10, 16, v1
	s_mov_b64 s[6:7], 0
	v_pk_mov_b32 v[4:5], v[2:3], v[2:3] op_sel:[0,1]
.LBB52_33:                              ; =>This Inner Loop Header: Depth=1
	buffer_load_dword v16, v10, s[0:3], 0 offen offset:8
	buffer_load_dword v17, v10, s[0:3], 0 offen offset:12
	buffer_load_dword v18, v10, s[0:3], 0 offen
	buffer_load_dword v19, v10, s[0:3], 0 offen offset:4
	ds_read_b128 v[12:15], v9
	v_add_u32_e32 v8, 1, v8
	v_cmp_lt_u32_e32 vcc, 3, v8
	v_add_u32_e32 v9, 16, v9
	v_add_u32_e32 v10, 16, v10
	s_or_b64 s[6:7], vcc, s[6:7]
	s_waitcnt vmcnt(2) lgkmcnt(0)
	v_mul_f64 v[20:21], v[14:15], v[16:17]
	v_mul_f64 v[16:17], v[12:13], v[16:17]
	s_waitcnt vmcnt(0)
	v_fma_f64 v[12:13], v[12:13], v[18:19], -v[20:21]
	v_fmac_f64_e32 v[16:17], v[14:15], v[18:19]
	v_add_f64 v[4:5], v[4:5], v[12:13]
	v_add_f64 v[2:3], v[2:3], v[16:17]
	s_andn2_b64 exec, exec, s[6:7]
	s_cbranch_execnz .LBB52_33
; %bb.34:
	s_or_b64 exec, exec, s[6:7]
	v_mov_b32_e32 v0, 0
	ds_read_b128 v[8:11], v0 offset:80
	s_waitcnt lgkmcnt(0)
	v_mul_f64 v[12:13], v[2:3], v[10:11]
	v_mul_f64 v[10:11], v[4:5], v[10:11]
	v_fma_f64 v[4:5], v[4:5], v[8:9], -v[12:13]
	v_fmac_f64_e32 v[10:11], v[2:3], v[8:9]
	buffer_store_dword v5, off, s[0:3], 0 offset:100
	buffer_store_dword v4, off, s[0:3], 0 offset:96
	buffer_store_dword v11, off, s[0:3], 0 offset:108
	buffer_store_dword v10, off, s[0:3], 0 offset:104
.LBB52_35:
	s_or_b64 exec, exec, s[4:5]
	v_accvgpr_read_b32 v0, a152
	s_waitcnt lgkmcnt(0)
	; wave barrier
	buffer_load_dword v2, v0, s[0:3], 0 offen
	buffer_load_dword v3, v0, s[0:3], 0 offen offset:4
	buffer_load_dword v4, v0, s[0:3], 0 offen offset:8
	buffer_load_dword v5, v0, s[0:3], 0 offen offset:12
	v_cmp_gt_u32_e32 vcc, 6, v255
	s_waitcnt vmcnt(0)
	ds_write_b128 v6, v[2:5]
	s_waitcnt lgkmcnt(0)
	; wave barrier
	s_waitcnt lgkmcnt(0)
	s_and_saveexec_b64 s[4:5], vcc
	s_cbranch_execz .LBB52_39
; %bb.36:
	v_pk_mov_b32 v[2:3], 0, 0
	v_add_u32_e32 v8, -1, v255
	v_add_u32_e32 v9, 0x350, v1
	v_add_u32_e32 v10, 16, v1
	s_mov_b64 s[6:7], 0
	v_pk_mov_b32 v[4:5], v[2:3], v[2:3] op_sel:[0,1]
.LBB52_37:                              ; =>This Inner Loop Header: Depth=1
	buffer_load_dword v16, v10, s[0:3], 0 offen offset:8
	buffer_load_dword v17, v10, s[0:3], 0 offen offset:12
	buffer_load_dword v18, v10, s[0:3], 0 offen
	buffer_load_dword v19, v10, s[0:3], 0 offen offset:4
	ds_read_b128 v[12:15], v9
	v_add_u32_e32 v8, 1, v8
	v_cmp_lt_u32_e32 vcc, 4, v8
	v_add_u32_e32 v9, 16, v9
	v_add_u32_e32 v10, 16, v10
	s_or_b64 s[6:7], vcc, s[6:7]
	s_waitcnt vmcnt(2) lgkmcnt(0)
	v_mul_f64 v[20:21], v[14:15], v[16:17]
	v_mul_f64 v[16:17], v[12:13], v[16:17]
	s_waitcnt vmcnt(0)
	v_fma_f64 v[12:13], v[12:13], v[18:19], -v[20:21]
	v_fmac_f64_e32 v[16:17], v[14:15], v[18:19]
	v_add_f64 v[4:5], v[4:5], v[12:13]
	v_add_f64 v[2:3], v[2:3], v[16:17]
	s_andn2_b64 exec, exec, s[6:7]
	s_cbranch_execnz .LBB52_37
; %bb.38:
	s_or_b64 exec, exec, s[6:7]
	v_mov_b32_e32 v0, 0
	ds_read_b128 v[8:11], v0 offset:96
	s_waitcnt lgkmcnt(0)
	v_mul_f64 v[12:13], v[2:3], v[10:11]
	v_mul_f64 v[10:11], v[4:5], v[10:11]
	v_fma_f64 v[4:5], v[4:5], v[8:9], -v[12:13]
	v_fmac_f64_e32 v[10:11], v[2:3], v[8:9]
	buffer_store_dword v5, off, s[0:3], 0 offset:116
	buffer_store_dword v4, off, s[0:3], 0 offset:112
	buffer_store_dword v11, off, s[0:3], 0 offset:124
	buffer_store_dword v10, off, s[0:3], 0 offset:120
.LBB52_39:
	s_or_b64 exec, exec, s[4:5]
	v_accvgpr_read_b32 v0, a151
	s_waitcnt lgkmcnt(0)
	; wave barrier
	buffer_load_dword v2, v0, s[0:3], 0 offen
	buffer_load_dword v3, v0, s[0:3], 0 offen offset:4
	buffer_load_dword v4, v0, s[0:3], 0 offen offset:8
	buffer_load_dword v5, v0, s[0:3], 0 offen offset:12
	v_cmp_gt_u32_e32 vcc, 7, v255
	s_waitcnt vmcnt(0)
	ds_write_b128 v6, v[2:5]
	s_waitcnt lgkmcnt(0)
	; wave barrier
	s_waitcnt lgkmcnt(0)
	s_and_saveexec_b64 s[4:5], vcc
	s_cbranch_execz .LBB52_43
; %bb.40:
	v_pk_mov_b32 v[2:3], 0, 0
	v_add_u32_e32 v8, -1, v255
	v_add_u32_e32 v9, 0x350, v1
	v_add_u32_e32 v10, 16, v1
	s_mov_b64 s[6:7], 0
	v_pk_mov_b32 v[4:5], v[2:3], v[2:3] op_sel:[0,1]
.LBB52_41:                              ; =>This Inner Loop Header: Depth=1
	buffer_load_dword v16, v10, s[0:3], 0 offen offset:8
	buffer_load_dword v17, v10, s[0:3], 0 offen offset:12
	buffer_load_dword v18, v10, s[0:3], 0 offen
	buffer_load_dword v19, v10, s[0:3], 0 offen offset:4
	ds_read_b128 v[12:15], v9
	v_add_u32_e32 v8, 1, v8
	v_cmp_lt_u32_e32 vcc, 5, v8
	v_add_u32_e32 v9, 16, v9
	v_add_u32_e32 v10, 16, v10
	s_or_b64 s[6:7], vcc, s[6:7]
	s_waitcnt vmcnt(2) lgkmcnt(0)
	v_mul_f64 v[20:21], v[14:15], v[16:17]
	v_mul_f64 v[16:17], v[12:13], v[16:17]
	s_waitcnt vmcnt(0)
	v_fma_f64 v[12:13], v[12:13], v[18:19], -v[20:21]
	v_fmac_f64_e32 v[16:17], v[14:15], v[18:19]
	v_add_f64 v[4:5], v[4:5], v[12:13]
	v_add_f64 v[2:3], v[2:3], v[16:17]
	s_andn2_b64 exec, exec, s[6:7]
	s_cbranch_execnz .LBB52_41
; %bb.42:
	s_or_b64 exec, exec, s[6:7]
	v_mov_b32_e32 v0, 0
	ds_read_b128 v[8:11], v0 offset:112
	s_waitcnt lgkmcnt(0)
	v_mul_f64 v[12:13], v[2:3], v[10:11]
	v_mul_f64 v[10:11], v[4:5], v[10:11]
	v_fma_f64 v[4:5], v[4:5], v[8:9], -v[12:13]
	v_fmac_f64_e32 v[10:11], v[2:3], v[8:9]
	buffer_store_dword v5, off, s[0:3], 0 offset:132
	buffer_store_dword v4, off, s[0:3], 0 offset:128
	buffer_store_dword v11, off, s[0:3], 0 offset:140
	buffer_store_dword v10, off, s[0:3], 0 offset:136
.LBB52_43:
	s_or_b64 exec, exec, s[4:5]
	v_accvgpr_read_b32 v0, a150
	s_waitcnt lgkmcnt(0)
	; wave barrier
	buffer_load_dword v2, v0, s[0:3], 0 offen
	buffer_load_dword v3, v0, s[0:3], 0 offen offset:4
	buffer_load_dword v4, v0, s[0:3], 0 offen offset:8
	buffer_load_dword v5, v0, s[0:3], 0 offen offset:12
	v_cmp_gt_u32_e32 vcc, 8, v255
	s_waitcnt vmcnt(0)
	ds_write_b128 v6, v[2:5]
	s_waitcnt lgkmcnt(0)
	; wave barrier
	s_waitcnt lgkmcnt(0)
	s_and_saveexec_b64 s[4:5], vcc
	s_cbranch_execz .LBB52_47
; %bb.44:
	v_pk_mov_b32 v[2:3], 0, 0
	v_add_u32_e32 v8, -1, v255
	v_add_u32_e32 v9, 0x350, v1
	v_add_u32_e32 v10, 16, v1
	s_mov_b64 s[6:7], 0
	v_pk_mov_b32 v[4:5], v[2:3], v[2:3] op_sel:[0,1]
.LBB52_45:                              ; =>This Inner Loop Header: Depth=1
	buffer_load_dword v16, v10, s[0:3], 0 offen offset:8
	buffer_load_dword v17, v10, s[0:3], 0 offen offset:12
	buffer_load_dword v18, v10, s[0:3], 0 offen
	buffer_load_dword v19, v10, s[0:3], 0 offen offset:4
	ds_read_b128 v[12:15], v9
	v_add_u32_e32 v8, 1, v8
	v_cmp_lt_u32_e32 vcc, 6, v8
	v_add_u32_e32 v9, 16, v9
	v_add_u32_e32 v10, 16, v10
	s_or_b64 s[6:7], vcc, s[6:7]
	s_waitcnt vmcnt(2) lgkmcnt(0)
	v_mul_f64 v[20:21], v[14:15], v[16:17]
	v_mul_f64 v[16:17], v[12:13], v[16:17]
	s_waitcnt vmcnt(0)
	v_fma_f64 v[12:13], v[12:13], v[18:19], -v[20:21]
	v_fmac_f64_e32 v[16:17], v[14:15], v[18:19]
	v_add_f64 v[4:5], v[4:5], v[12:13]
	v_add_f64 v[2:3], v[2:3], v[16:17]
	s_andn2_b64 exec, exec, s[6:7]
	s_cbranch_execnz .LBB52_45
; %bb.46:
	s_or_b64 exec, exec, s[6:7]
	v_mov_b32_e32 v0, 0
	ds_read_b128 v[8:11], v0 offset:128
	s_waitcnt lgkmcnt(0)
	v_mul_f64 v[12:13], v[2:3], v[10:11]
	v_mul_f64 v[10:11], v[4:5], v[10:11]
	v_fma_f64 v[4:5], v[4:5], v[8:9], -v[12:13]
	v_fmac_f64_e32 v[10:11], v[2:3], v[8:9]
	buffer_store_dword v5, off, s[0:3], 0 offset:148
	buffer_store_dword v4, off, s[0:3], 0 offset:144
	buffer_store_dword v11, off, s[0:3], 0 offset:156
	buffer_store_dword v10, off, s[0:3], 0 offset:152
.LBB52_47:
	s_or_b64 exec, exec, s[4:5]
	v_accvgpr_read_b32 v0, a149
	s_waitcnt lgkmcnt(0)
	; wave barrier
	buffer_load_dword v2, v0, s[0:3], 0 offen
	buffer_load_dword v3, v0, s[0:3], 0 offen offset:4
	buffer_load_dword v4, v0, s[0:3], 0 offen offset:8
	buffer_load_dword v5, v0, s[0:3], 0 offen offset:12
	v_cmp_gt_u32_e32 vcc, 9, v255
	s_waitcnt vmcnt(0)
	ds_write_b128 v6, v[2:5]
	s_waitcnt lgkmcnt(0)
	; wave barrier
	s_waitcnt lgkmcnt(0)
	s_and_saveexec_b64 s[4:5], vcc
	s_cbranch_execz .LBB52_51
; %bb.48:
	v_pk_mov_b32 v[2:3], 0, 0
	v_add_u32_e32 v8, -1, v255
	v_add_u32_e32 v9, 0x350, v1
	v_add_u32_e32 v10, 16, v1
	s_mov_b64 s[6:7], 0
	v_pk_mov_b32 v[4:5], v[2:3], v[2:3] op_sel:[0,1]
.LBB52_49:                              ; =>This Inner Loop Header: Depth=1
	buffer_load_dword v16, v10, s[0:3], 0 offen offset:8
	buffer_load_dword v17, v10, s[0:3], 0 offen offset:12
	buffer_load_dword v18, v10, s[0:3], 0 offen
	buffer_load_dword v19, v10, s[0:3], 0 offen offset:4
	ds_read_b128 v[12:15], v9
	v_add_u32_e32 v8, 1, v8
	v_cmp_lt_u32_e32 vcc, 7, v8
	v_add_u32_e32 v9, 16, v9
	v_add_u32_e32 v10, 16, v10
	s_or_b64 s[6:7], vcc, s[6:7]
	s_waitcnt vmcnt(2) lgkmcnt(0)
	v_mul_f64 v[20:21], v[14:15], v[16:17]
	v_mul_f64 v[16:17], v[12:13], v[16:17]
	s_waitcnt vmcnt(0)
	v_fma_f64 v[12:13], v[12:13], v[18:19], -v[20:21]
	v_fmac_f64_e32 v[16:17], v[14:15], v[18:19]
	v_add_f64 v[4:5], v[4:5], v[12:13]
	v_add_f64 v[2:3], v[2:3], v[16:17]
	s_andn2_b64 exec, exec, s[6:7]
	s_cbranch_execnz .LBB52_49
; %bb.50:
	s_or_b64 exec, exec, s[6:7]
	v_mov_b32_e32 v0, 0
	ds_read_b128 v[8:11], v0 offset:144
	s_waitcnt lgkmcnt(0)
	v_mul_f64 v[12:13], v[2:3], v[10:11]
	v_mul_f64 v[10:11], v[4:5], v[10:11]
	v_fma_f64 v[4:5], v[4:5], v[8:9], -v[12:13]
	v_fmac_f64_e32 v[10:11], v[2:3], v[8:9]
	buffer_store_dword v5, off, s[0:3], 0 offset:164
	buffer_store_dword v4, off, s[0:3], 0 offset:160
	buffer_store_dword v11, off, s[0:3], 0 offset:172
	buffer_store_dword v10, off, s[0:3], 0 offset:168
.LBB52_51:
	s_or_b64 exec, exec, s[4:5]
	v_accvgpr_read_b32 v0, a148
	s_waitcnt lgkmcnt(0)
	; wave barrier
	buffer_load_dword v2, v0, s[0:3], 0 offen
	buffer_load_dword v3, v0, s[0:3], 0 offen offset:4
	buffer_load_dword v4, v0, s[0:3], 0 offen offset:8
	buffer_load_dword v5, v0, s[0:3], 0 offen offset:12
	v_cmp_gt_u32_e32 vcc, 10, v255
	s_waitcnt vmcnt(0)
	ds_write_b128 v6, v[2:5]
	s_waitcnt lgkmcnt(0)
	; wave barrier
	s_waitcnt lgkmcnt(0)
	s_and_saveexec_b64 s[4:5], vcc
	s_cbranch_execz .LBB52_55
; %bb.52:
	v_pk_mov_b32 v[2:3], 0, 0
	v_add_u32_e32 v8, -1, v255
	v_add_u32_e32 v9, 0x350, v1
	v_add_u32_e32 v10, 16, v1
	s_mov_b64 s[6:7], 0
	v_pk_mov_b32 v[4:5], v[2:3], v[2:3] op_sel:[0,1]
.LBB52_53:                              ; =>This Inner Loop Header: Depth=1
	buffer_load_dword v16, v10, s[0:3], 0 offen offset:8
	buffer_load_dword v17, v10, s[0:3], 0 offen offset:12
	buffer_load_dword v18, v10, s[0:3], 0 offen
	buffer_load_dword v19, v10, s[0:3], 0 offen offset:4
	ds_read_b128 v[12:15], v9
	v_add_u32_e32 v8, 1, v8
	v_cmp_lt_u32_e32 vcc, 8, v8
	v_add_u32_e32 v9, 16, v9
	v_add_u32_e32 v10, 16, v10
	s_or_b64 s[6:7], vcc, s[6:7]
	s_waitcnt vmcnt(2) lgkmcnt(0)
	v_mul_f64 v[20:21], v[14:15], v[16:17]
	v_mul_f64 v[16:17], v[12:13], v[16:17]
	s_waitcnt vmcnt(0)
	v_fma_f64 v[12:13], v[12:13], v[18:19], -v[20:21]
	v_fmac_f64_e32 v[16:17], v[14:15], v[18:19]
	v_add_f64 v[4:5], v[4:5], v[12:13]
	v_add_f64 v[2:3], v[2:3], v[16:17]
	s_andn2_b64 exec, exec, s[6:7]
	s_cbranch_execnz .LBB52_53
; %bb.54:
	s_or_b64 exec, exec, s[6:7]
	v_mov_b32_e32 v0, 0
	ds_read_b128 v[8:11], v0 offset:160
	s_waitcnt lgkmcnt(0)
	v_mul_f64 v[12:13], v[2:3], v[10:11]
	v_mul_f64 v[10:11], v[4:5], v[10:11]
	v_fma_f64 v[4:5], v[4:5], v[8:9], -v[12:13]
	v_fmac_f64_e32 v[10:11], v[2:3], v[8:9]
	buffer_store_dword v5, off, s[0:3], 0 offset:180
	buffer_store_dword v4, off, s[0:3], 0 offset:176
	buffer_store_dword v11, off, s[0:3], 0 offset:188
	buffer_store_dword v10, off, s[0:3], 0 offset:184
.LBB52_55:
	s_or_b64 exec, exec, s[4:5]
	v_accvgpr_read_b32 v0, a147
	s_waitcnt lgkmcnt(0)
	; wave barrier
	buffer_load_dword v2, v0, s[0:3], 0 offen
	buffer_load_dword v3, v0, s[0:3], 0 offen offset:4
	buffer_load_dword v4, v0, s[0:3], 0 offen offset:8
	buffer_load_dword v5, v0, s[0:3], 0 offen offset:12
	v_cmp_gt_u32_e32 vcc, 11, v255
	s_waitcnt vmcnt(0)
	ds_write_b128 v6, v[2:5]
	s_waitcnt lgkmcnt(0)
	; wave barrier
	s_waitcnt lgkmcnt(0)
	s_and_saveexec_b64 s[4:5], vcc
	s_cbranch_execz .LBB52_59
; %bb.56:
	v_pk_mov_b32 v[2:3], 0, 0
	v_add_u32_e32 v8, -1, v255
	v_add_u32_e32 v9, 0x350, v1
	v_add_u32_e32 v10, 16, v1
	s_mov_b64 s[6:7], 0
	v_pk_mov_b32 v[4:5], v[2:3], v[2:3] op_sel:[0,1]
.LBB52_57:                              ; =>This Inner Loop Header: Depth=1
	buffer_load_dword v16, v10, s[0:3], 0 offen offset:8
	buffer_load_dword v17, v10, s[0:3], 0 offen offset:12
	buffer_load_dword v18, v10, s[0:3], 0 offen
	buffer_load_dword v19, v10, s[0:3], 0 offen offset:4
	ds_read_b128 v[12:15], v9
	v_add_u32_e32 v8, 1, v8
	v_cmp_lt_u32_e32 vcc, 9, v8
	v_add_u32_e32 v9, 16, v9
	v_add_u32_e32 v10, 16, v10
	s_or_b64 s[6:7], vcc, s[6:7]
	s_waitcnt vmcnt(2) lgkmcnt(0)
	v_mul_f64 v[20:21], v[14:15], v[16:17]
	v_mul_f64 v[16:17], v[12:13], v[16:17]
	s_waitcnt vmcnt(0)
	v_fma_f64 v[12:13], v[12:13], v[18:19], -v[20:21]
	v_fmac_f64_e32 v[16:17], v[14:15], v[18:19]
	v_add_f64 v[4:5], v[4:5], v[12:13]
	v_add_f64 v[2:3], v[2:3], v[16:17]
	s_andn2_b64 exec, exec, s[6:7]
	s_cbranch_execnz .LBB52_57
; %bb.58:
	s_or_b64 exec, exec, s[6:7]
	v_mov_b32_e32 v0, 0
	ds_read_b128 v[8:11], v0 offset:176
	s_waitcnt lgkmcnt(0)
	v_mul_f64 v[12:13], v[2:3], v[10:11]
	v_mul_f64 v[10:11], v[4:5], v[10:11]
	v_fma_f64 v[4:5], v[4:5], v[8:9], -v[12:13]
	v_fmac_f64_e32 v[10:11], v[2:3], v[8:9]
	buffer_store_dword v5, off, s[0:3], 0 offset:196
	buffer_store_dword v4, off, s[0:3], 0 offset:192
	buffer_store_dword v11, off, s[0:3], 0 offset:204
	buffer_store_dword v10, off, s[0:3], 0 offset:200
.LBB52_59:
	s_or_b64 exec, exec, s[4:5]
	v_accvgpr_read_b32 v0, a146
	s_waitcnt lgkmcnt(0)
	; wave barrier
	buffer_load_dword v2, v0, s[0:3], 0 offen
	buffer_load_dword v3, v0, s[0:3], 0 offen offset:4
	buffer_load_dword v4, v0, s[0:3], 0 offen offset:8
	buffer_load_dword v5, v0, s[0:3], 0 offen offset:12
	v_cmp_gt_u32_e32 vcc, 12, v255
	s_waitcnt vmcnt(0)
	ds_write_b128 v6, v[2:5]
	s_waitcnt lgkmcnt(0)
	; wave barrier
	s_waitcnt lgkmcnt(0)
	s_and_saveexec_b64 s[4:5], vcc
	s_cbranch_execz .LBB52_63
; %bb.60:
	v_pk_mov_b32 v[2:3], 0, 0
	v_add_u32_e32 v8, -1, v255
	v_add_u32_e32 v9, 0x350, v1
	v_add_u32_e32 v10, 16, v1
	s_mov_b64 s[6:7], 0
	v_pk_mov_b32 v[4:5], v[2:3], v[2:3] op_sel:[0,1]
.LBB52_61:                              ; =>This Inner Loop Header: Depth=1
	buffer_load_dword v16, v10, s[0:3], 0 offen offset:8
	buffer_load_dword v17, v10, s[0:3], 0 offen offset:12
	buffer_load_dword v18, v10, s[0:3], 0 offen
	buffer_load_dword v19, v10, s[0:3], 0 offen offset:4
	ds_read_b128 v[12:15], v9
	v_add_u32_e32 v8, 1, v8
	v_cmp_lt_u32_e32 vcc, 10, v8
	v_add_u32_e32 v9, 16, v9
	v_add_u32_e32 v10, 16, v10
	s_or_b64 s[6:7], vcc, s[6:7]
	s_waitcnt vmcnt(2) lgkmcnt(0)
	v_mul_f64 v[20:21], v[14:15], v[16:17]
	v_mul_f64 v[16:17], v[12:13], v[16:17]
	s_waitcnt vmcnt(0)
	v_fma_f64 v[12:13], v[12:13], v[18:19], -v[20:21]
	v_fmac_f64_e32 v[16:17], v[14:15], v[18:19]
	v_add_f64 v[4:5], v[4:5], v[12:13]
	v_add_f64 v[2:3], v[2:3], v[16:17]
	s_andn2_b64 exec, exec, s[6:7]
	s_cbranch_execnz .LBB52_61
; %bb.62:
	s_or_b64 exec, exec, s[6:7]
	v_mov_b32_e32 v0, 0
	ds_read_b128 v[8:11], v0 offset:192
	s_waitcnt lgkmcnt(0)
	v_mul_f64 v[12:13], v[2:3], v[10:11]
	v_mul_f64 v[10:11], v[4:5], v[10:11]
	v_fma_f64 v[4:5], v[4:5], v[8:9], -v[12:13]
	v_fmac_f64_e32 v[10:11], v[2:3], v[8:9]
	buffer_store_dword v5, off, s[0:3], 0 offset:212
	buffer_store_dword v4, off, s[0:3], 0 offset:208
	buffer_store_dword v11, off, s[0:3], 0 offset:220
	buffer_store_dword v10, off, s[0:3], 0 offset:216
.LBB52_63:
	s_or_b64 exec, exec, s[4:5]
	v_accvgpr_read_b32 v0, a145
	s_waitcnt lgkmcnt(0)
	; wave barrier
	buffer_load_dword v2, v0, s[0:3], 0 offen
	buffer_load_dword v3, v0, s[0:3], 0 offen offset:4
	buffer_load_dword v4, v0, s[0:3], 0 offen offset:8
	buffer_load_dword v5, v0, s[0:3], 0 offen offset:12
	v_cmp_gt_u32_e32 vcc, 13, v255
	s_waitcnt vmcnt(0)
	ds_write_b128 v6, v[2:5]
	s_waitcnt lgkmcnt(0)
	; wave barrier
	s_waitcnt lgkmcnt(0)
	s_and_saveexec_b64 s[4:5], vcc
	s_cbranch_execz .LBB52_67
; %bb.64:
	v_pk_mov_b32 v[2:3], 0, 0
	v_add_u32_e32 v8, -1, v255
	v_add_u32_e32 v9, 0x350, v1
	v_add_u32_e32 v10, 16, v1
	s_mov_b64 s[6:7], 0
	v_pk_mov_b32 v[4:5], v[2:3], v[2:3] op_sel:[0,1]
.LBB52_65:                              ; =>This Inner Loop Header: Depth=1
	buffer_load_dword v16, v10, s[0:3], 0 offen offset:8
	buffer_load_dword v17, v10, s[0:3], 0 offen offset:12
	buffer_load_dword v18, v10, s[0:3], 0 offen
	buffer_load_dword v19, v10, s[0:3], 0 offen offset:4
	ds_read_b128 v[12:15], v9
	v_add_u32_e32 v8, 1, v8
	v_cmp_lt_u32_e32 vcc, 11, v8
	v_add_u32_e32 v9, 16, v9
	v_add_u32_e32 v10, 16, v10
	s_or_b64 s[6:7], vcc, s[6:7]
	s_waitcnt vmcnt(2) lgkmcnt(0)
	v_mul_f64 v[20:21], v[14:15], v[16:17]
	v_mul_f64 v[16:17], v[12:13], v[16:17]
	s_waitcnt vmcnt(0)
	v_fma_f64 v[12:13], v[12:13], v[18:19], -v[20:21]
	v_fmac_f64_e32 v[16:17], v[14:15], v[18:19]
	v_add_f64 v[4:5], v[4:5], v[12:13]
	v_add_f64 v[2:3], v[2:3], v[16:17]
	s_andn2_b64 exec, exec, s[6:7]
	s_cbranch_execnz .LBB52_65
; %bb.66:
	s_or_b64 exec, exec, s[6:7]
	v_mov_b32_e32 v0, 0
	ds_read_b128 v[8:11], v0 offset:208
	s_waitcnt lgkmcnt(0)
	v_mul_f64 v[12:13], v[2:3], v[10:11]
	v_mul_f64 v[10:11], v[4:5], v[10:11]
	v_fma_f64 v[4:5], v[4:5], v[8:9], -v[12:13]
	v_fmac_f64_e32 v[10:11], v[2:3], v[8:9]
	buffer_store_dword v5, off, s[0:3], 0 offset:228
	buffer_store_dword v4, off, s[0:3], 0 offset:224
	buffer_store_dword v11, off, s[0:3], 0 offset:236
	buffer_store_dword v10, off, s[0:3], 0 offset:232
.LBB52_67:
	s_or_b64 exec, exec, s[4:5]
	v_accvgpr_read_b32 v0, a144
	s_waitcnt lgkmcnt(0)
	; wave barrier
	buffer_load_dword v2, v0, s[0:3], 0 offen
	buffer_load_dword v3, v0, s[0:3], 0 offen offset:4
	buffer_load_dword v4, v0, s[0:3], 0 offen offset:8
	buffer_load_dword v5, v0, s[0:3], 0 offen offset:12
	v_cmp_gt_u32_e32 vcc, 14, v255
	s_waitcnt vmcnt(0)
	ds_write_b128 v6, v[2:5]
	s_waitcnt lgkmcnt(0)
	; wave barrier
	s_waitcnt lgkmcnt(0)
	s_and_saveexec_b64 s[4:5], vcc
	s_cbranch_execz .LBB52_71
; %bb.68:
	v_pk_mov_b32 v[2:3], 0, 0
	v_add_u32_e32 v8, -1, v255
	v_add_u32_e32 v9, 0x350, v1
	v_add_u32_e32 v10, 16, v1
	s_mov_b64 s[6:7], 0
	v_pk_mov_b32 v[4:5], v[2:3], v[2:3] op_sel:[0,1]
.LBB52_69:                              ; =>This Inner Loop Header: Depth=1
	buffer_load_dword v16, v10, s[0:3], 0 offen offset:8
	buffer_load_dword v17, v10, s[0:3], 0 offen offset:12
	buffer_load_dword v18, v10, s[0:3], 0 offen
	buffer_load_dword v19, v10, s[0:3], 0 offen offset:4
	ds_read_b128 v[12:15], v9
	v_add_u32_e32 v8, 1, v8
	v_cmp_lt_u32_e32 vcc, 12, v8
	v_add_u32_e32 v9, 16, v9
	v_add_u32_e32 v10, 16, v10
	s_or_b64 s[6:7], vcc, s[6:7]
	s_waitcnt vmcnt(2) lgkmcnt(0)
	v_mul_f64 v[20:21], v[14:15], v[16:17]
	v_mul_f64 v[16:17], v[12:13], v[16:17]
	s_waitcnt vmcnt(0)
	v_fma_f64 v[12:13], v[12:13], v[18:19], -v[20:21]
	v_fmac_f64_e32 v[16:17], v[14:15], v[18:19]
	v_add_f64 v[4:5], v[4:5], v[12:13]
	v_add_f64 v[2:3], v[2:3], v[16:17]
	s_andn2_b64 exec, exec, s[6:7]
	s_cbranch_execnz .LBB52_69
; %bb.70:
	s_or_b64 exec, exec, s[6:7]
	v_mov_b32_e32 v0, 0
	ds_read_b128 v[8:11], v0 offset:224
	s_waitcnt lgkmcnt(0)
	v_mul_f64 v[12:13], v[2:3], v[10:11]
	v_mul_f64 v[10:11], v[4:5], v[10:11]
	v_fma_f64 v[4:5], v[4:5], v[8:9], -v[12:13]
	v_fmac_f64_e32 v[10:11], v[2:3], v[8:9]
	buffer_store_dword v5, off, s[0:3], 0 offset:244
	buffer_store_dword v4, off, s[0:3], 0 offset:240
	buffer_store_dword v11, off, s[0:3], 0 offset:252
	buffer_store_dword v10, off, s[0:3], 0 offset:248
.LBB52_71:
	s_or_b64 exec, exec, s[4:5]
	v_accvgpr_read_b32 v0, a143
	s_waitcnt lgkmcnt(0)
	; wave barrier
	buffer_load_dword v2, v0, s[0:3], 0 offen
	buffer_load_dword v3, v0, s[0:3], 0 offen offset:4
	buffer_load_dword v4, v0, s[0:3], 0 offen offset:8
	buffer_load_dword v5, v0, s[0:3], 0 offen offset:12
	v_cmp_gt_u32_e32 vcc, 15, v255
	s_waitcnt vmcnt(0)
	ds_write_b128 v6, v[2:5]
	s_waitcnt lgkmcnt(0)
	; wave barrier
	s_waitcnt lgkmcnt(0)
	s_and_saveexec_b64 s[4:5], vcc
	s_cbranch_execz .LBB52_75
; %bb.72:
	v_pk_mov_b32 v[2:3], 0, 0
	v_add_u32_e32 v8, -1, v255
	v_add_u32_e32 v9, 0x350, v1
	v_add_u32_e32 v10, 16, v1
	s_mov_b64 s[6:7], 0
	v_pk_mov_b32 v[4:5], v[2:3], v[2:3] op_sel:[0,1]
.LBB52_73:                              ; =>This Inner Loop Header: Depth=1
	buffer_load_dword v16, v10, s[0:3], 0 offen offset:8
	buffer_load_dword v17, v10, s[0:3], 0 offen offset:12
	buffer_load_dword v18, v10, s[0:3], 0 offen
	buffer_load_dword v19, v10, s[0:3], 0 offen offset:4
	ds_read_b128 v[12:15], v9
	v_add_u32_e32 v8, 1, v8
	v_cmp_lt_u32_e32 vcc, 13, v8
	v_add_u32_e32 v9, 16, v9
	v_add_u32_e32 v10, 16, v10
	s_or_b64 s[6:7], vcc, s[6:7]
	s_waitcnt vmcnt(2) lgkmcnt(0)
	v_mul_f64 v[20:21], v[14:15], v[16:17]
	v_mul_f64 v[16:17], v[12:13], v[16:17]
	s_waitcnt vmcnt(0)
	v_fma_f64 v[12:13], v[12:13], v[18:19], -v[20:21]
	v_fmac_f64_e32 v[16:17], v[14:15], v[18:19]
	v_add_f64 v[4:5], v[4:5], v[12:13]
	v_add_f64 v[2:3], v[2:3], v[16:17]
	s_andn2_b64 exec, exec, s[6:7]
	s_cbranch_execnz .LBB52_73
; %bb.74:
	s_or_b64 exec, exec, s[6:7]
	v_mov_b32_e32 v0, 0
	ds_read_b128 v[8:11], v0 offset:240
	s_waitcnt lgkmcnt(0)
	v_mul_f64 v[12:13], v[2:3], v[10:11]
	v_mul_f64 v[10:11], v[4:5], v[10:11]
	v_fma_f64 v[4:5], v[4:5], v[8:9], -v[12:13]
	v_fmac_f64_e32 v[10:11], v[2:3], v[8:9]
	buffer_store_dword v5, off, s[0:3], 0 offset:260
	buffer_store_dword v4, off, s[0:3], 0 offset:256
	buffer_store_dword v11, off, s[0:3], 0 offset:268
	buffer_store_dword v10, off, s[0:3], 0 offset:264
.LBB52_75:
	s_or_b64 exec, exec, s[4:5]
	v_accvgpr_read_b32 v0, a142
	s_waitcnt lgkmcnt(0)
	; wave barrier
	buffer_load_dword v2, v0, s[0:3], 0 offen
	buffer_load_dword v3, v0, s[0:3], 0 offen offset:4
	buffer_load_dword v4, v0, s[0:3], 0 offen offset:8
	buffer_load_dword v5, v0, s[0:3], 0 offen offset:12
	v_cmp_gt_u32_e32 vcc, 16, v255
	s_waitcnt vmcnt(0)
	ds_write_b128 v6, v[2:5]
	s_waitcnt lgkmcnt(0)
	; wave barrier
	s_waitcnt lgkmcnt(0)
	s_and_saveexec_b64 s[4:5], vcc
	s_cbranch_execz .LBB52_79
; %bb.76:
	v_pk_mov_b32 v[2:3], 0, 0
	v_add_u32_e32 v8, -1, v255
	v_add_u32_e32 v9, 0x350, v1
	v_add_u32_e32 v10, 16, v1
	s_mov_b64 s[6:7], 0
	v_pk_mov_b32 v[4:5], v[2:3], v[2:3] op_sel:[0,1]
.LBB52_77:                              ; =>This Inner Loop Header: Depth=1
	buffer_load_dword v16, v10, s[0:3], 0 offen offset:8
	buffer_load_dword v17, v10, s[0:3], 0 offen offset:12
	buffer_load_dword v18, v10, s[0:3], 0 offen
	buffer_load_dword v19, v10, s[0:3], 0 offen offset:4
	ds_read_b128 v[12:15], v9
	v_add_u32_e32 v8, 1, v8
	v_cmp_lt_u32_e32 vcc, 14, v8
	v_add_u32_e32 v9, 16, v9
	v_add_u32_e32 v10, 16, v10
	s_or_b64 s[6:7], vcc, s[6:7]
	s_waitcnt vmcnt(2) lgkmcnt(0)
	v_mul_f64 v[20:21], v[14:15], v[16:17]
	v_mul_f64 v[16:17], v[12:13], v[16:17]
	s_waitcnt vmcnt(0)
	v_fma_f64 v[12:13], v[12:13], v[18:19], -v[20:21]
	v_fmac_f64_e32 v[16:17], v[14:15], v[18:19]
	v_add_f64 v[4:5], v[4:5], v[12:13]
	v_add_f64 v[2:3], v[2:3], v[16:17]
	s_andn2_b64 exec, exec, s[6:7]
	s_cbranch_execnz .LBB52_77
; %bb.78:
	s_or_b64 exec, exec, s[6:7]
	v_mov_b32_e32 v0, 0
	ds_read_b128 v[8:11], v0 offset:256
	s_waitcnt lgkmcnt(0)
	v_mul_f64 v[12:13], v[2:3], v[10:11]
	v_mul_f64 v[10:11], v[4:5], v[10:11]
	v_fma_f64 v[4:5], v[4:5], v[8:9], -v[12:13]
	v_fmac_f64_e32 v[10:11], v[2:3], v[8:9]
	buffer_store_dword v5, off, s[0:3], 0 offset:276
	buffer_store_dword v4, off, s[0:3], 0 offset:272
	buffer_store_dword v11, off, s[0:3], 0 offset:284
	buffer_store_dword v10, off, s[0:3], 0 offset:280
.LBB52_79:
	s_or_b64 exec, exec, s[4:5]
	v_accvgpr_read_b32 v0, a141
	s_waitcnt lgkmcnt(0)
	; wave barrier
	buffer_load_dword v2, v0, s[0:3], 0 offen
	buffer_load_dword v3, v0, s[0:3], 0 offen offset:4
	buffer_load_dword v4, v0, s[0:3], 0 offen offset:8
	buffer_load_dword v5, v0, s[0:3], 0 offen offset:12
	v_cmp_gt_u32_e32 vcc, 17, v255
	s_waitcnt vmcnt(0)
	ds_write_b128 v6, v[2:5]
	s_waitcnt lgkmcnt(0)
	; wave barrier
	s_waitcnt lgkmcnt(0)
	s_and_saveexec_b64 s[4:5], vcc
	s_cbranch_execz .LBB52_83
; %bb.80:
	v_pk_mov_b32 v[2:3], 0, 0
	v_add_u32_e32 v8, -1, v255
	v_add_u32_e32 v9, 0x350, v1
	v_add_u32_e32 v10, 16, v1
	s_mov_b64 s[6:7], 0
	v_pk_mov_b32 v[4:5], v[2:3], v[2:3] op_sel:[0,1]
.LBB52_81:                              ; =>This Inner Loop Header: Depth=1
	buffer_load_dword v16, v10, s[0:3], 0 offen offset:8
	buffer_load_dword v17, v10, s[0:3], 0 offen offset:12
	buffer_load_dword v18, v10, s[0:3], 0 offen
	buffer_load_dword v19, v10, s[0:3], 0 offen offset:4
	ds_read_b128 v[12:15], v9
	v_add_u32_e32 v8, 1, v8
	v_cmp_lt_u32_e32 vcc, 15, v8
	v_add_u32_e32 v9, 16, v9
	v_add_u32_e32 v10, 16, v10
	s_or_b64 s[6:7], vcc, s[6:7]
	s_waitcnt vmcnt(2) lgkmcnt(0)
	v_mul_f64 v[20:21], v[14:15], v[16:17]
	v_mul_f64 v[16:17], v[12:13], v[16:17]
	s_waitcnt vmcnt(0)
	v_fma_f64 v[12:13], v[12:13], v[18:19], -v[20:21]
	v_fmac_f64_e32 v[16:17], v[14:15], v[18:19]
	v_add_f64 v[4:5], v[4:5], v[12:13]
	v_add_f64 v[2:3], v[2:3], v[16:17]
	s_andn2_b64 exec, exec, s[6:7]
	s_cbranch_execnz .LBB52_81
; %bb.82:
	s_or_b64 exec, exec, s[6:7]
	v_mov_b32_e32 v0, 0
	ds_read_b128 v[8:11], v0 offset:272
	s_waitcnt lgkmcnt(0)
	v_mul_f64 v[12:13], v[2:3], v[10:11]
	v_mul_f64 v[10:11], v[4:5], v[10:11]
	v_fma_f64 v[4:5], v[4:5], v[8:9], -v[12:13]
	v_fmac_f64_e32 v[10:11], v[2:3], v[8:9]
	buffer_store_dword v5, off, s[0:3], 0 offset:292
	buffer_store_dword v4, off, s[0:3], 0 offset:288
	buffer_store_dword v11, off, s[0:3], 0 offset:300
	buffer_store_dword v10, off, s[0:3], 0 offset:296
.LBB52_83:
	s_or_b64 exec, exec, s[4:5]
	v_accvgpr_read_b32 v0, a140
	s_waitcnt lgkmcnt(0)
	; wave barrier
	buffer_load_dword v2, v0, s[0:3], 0 offen
	buffer_load_dword v3, v0, s[0:3], 0 offen offset:4
	buffer_load_dword v4, v0, s[0:3], 0 offen offset:8
	buffer_load_dword v5, v0, s[0:3], 0 offen offset:12
	v_cmp_gt_u32_e32 vcc, 18, v255
	s_waitcnt vmcnt(0)
	ds_write_b128 v6, v[2:5]
	s_waitcnt lgkmcnt(0)
	; wave barrier
	s_waitcnt lgkmcnt(0)
	s_and_saveexec_b64 s[4:5], vcc
	s_cbranch_execz .LBB52_87
; %bb.84:
	v_pk_mov_b32 v[2:3], 0, 0
	v_add_u32_e32 v8, -1, v255
	v_add_u32_e32 v9, 0x350, v1
	v_add_u32_e32 v10, 16, v1
	s_mov_b64 s[6:7], 0
	v_pk_mov_b32 v[4:5], v[2:3], v[2:3] op_sel:[0,1]
.LBB52_85:                              ; =>This Inner Loop Header: Depth=1
	buffer_load_dword v16, v10, s[0:3], 0 offen offset:8
	buffer_load_dword v17, v10, s[0:3], 0 offen offset:12
	buffer_load_dword v18, v10, s[0:3], 0 offen
	buffer_load_dword v19, v10, s[0:3], 0 offen offset:4
	ds_read_b128 v[12:15], v9
	v_add_u32_e32 v8, 1, v8
	v_cmp_lt_u32_e32 vcc, 16, v8
	v_add_u32_e32 v9, 16, v9
	v_add_u32_e32 v10, 16, v10
	s_or_b64 s[6:7], vcc, s[6:7]
	s_waitcnt vmcnt(2) lgkmcnt(0)
	v_mul_f64 v[20:21], v[14:15], v[16:17]
	v_mul_f64 v[16:17], v[12:13], v[16:17]
	s_waitcnt vmcnt(0)
	v_fma_f64 v[12:13], v[12:13], v[18:19], -v[20:21]
	v_fmac_f64_e32 v[16:17], v[14:15], v[18:19]
	v_add_f64 v[4:5], v[4:5], v[12:13]
	v_add_f64 v[2:3], v[2:3], v[16:17]
	s_andn2_b64 exec, exec, s[6:7]
	s_cbranch_execnz .LBB52_85
; %bb.86:
	s_or_b64 exec, exec, s[6:7]
	v_mov_b32_e32 v0, 0
	ds_read_b128 v[8:11], v0 offset:288
	s_waitcnt lgkmcnt(0)
	v_mul_f64 v[12:13], v[2:3], v[10:11]
	v_mul_f64 v[10:11], v[4:5], v[10:11]
	v_fma_f64 v[4:5], v[4:5], v[8:9], -v[12:13]
	v_fmac_f64_e32 v[10:11], v[2:3], v[8:9]
	buffer_store_dword v5, off, s[0:3], 0 offset:308
	buffer_store_dword v4, off, s[0:3], 0 offset:304
	buffer_store_dword v11, off, s[0:3], 0 offset:316
	buffer_store_dword v10, off, s[0:3], 0 offset:312
.LBB52_87:
	s_or_b64 exec, exec, s[4:5]
	v_accvgpr_read_b32 v0, a139
	s_waitcnt lgkmcnt(0)
	; wave barrier
	buffer_load_dword v2, v0, s[0:3], 0 offen
	buffer_load_dword v3, v0, s[0:3], 0 offen offset:4
	buffer_load_dword v4, v0, s[0:3], 0 offen offset:8
	buffer_load_dword v5, v0, s[0:3], 0 offen offset:12
	v_cmp_gt_u32_e32 vcc, 19, v255
	s_waitcnt vmcnt(0)
	ds_write_b128 v6, v[2:5]
	s_waitcnt lgkmcnt(0)
	; wave barrier
	s_waitcnt lgkmcnt(0)
	s_and_saveexec_b64 s[4:5], vcc
	s_cbranch_execz .LBB52_91
; %bb.88:
	v_pk_mov_b32 v[2:3], 0, 0
	v_add_u32_e32 v8, -1, v255
	v_add_u32_e32 v9, 0x350, v1
	v_add_u32_e32 v10, 16, v1
	s_mov_b64 s[6:7], 0
	v_pk_mov_b32 v[4:5], v[2:3], v[2:3] op_sel:[0,1]
.LBB52_89:                              ; =>This Inner Loop Header: Depth=1
	buffer_load_dword v16, v10, s[0:3], 0 offen offset:8
	buffer_load_dword v17, v10, s[0:3], 0 offen offset:12
	buffer_load_dword v18, v10, s[0:3], 0 offen
	buffer_load_dword v19, v10, s[0:3], 0 offen offset:4
	ds_read_b128 v[12:15], v9
	v_add_u32_e32 v8, 1, v8
	v_cmp_lt_u32_e32 vcc, 17, v8
	v_add_u32_e32 v9, 16, v9
	v_add_u32_e32 v10, 16, v10
	s_or_b64 s[6:7], vcc, s[6:7]
	s_waitcnt vmcnt(2) lgkmcnt(0)
	v_mul_f64 v[20:21], v[14:15], v[16:17]
	v_mul_f64 v[16:17], v[12:13], v[16:17]
	s_waitcnt vmcnt(0)
	v_fma_f64 v[12:13], v[12:13], v[18:19], -v[20:21]
	v_fmac_f64_e32 v[16:17], v[14:15], v[18:19]
	v_add_f64 v[4:5], v[4:5], v[12:13]
	v_add_f64 v[2:3], v[2:3], v[16:17]
	s_andn2_b64 exec, exec, s[6:7]
	s_cbranch_execnz .LBB52_89
; %bb.90:
	s_or_b64 exec, exec, s[6:7]
	v_mov_b32_e32 v0, 0
	ds_read_b128 v[8:11], v0 offset:304
	s_waitcnt lgkmcnt(0)
	v_mul_f64 v[12:13], v[2:3], v[10:11]
	v_mul_f64 v[10:11], v[4:5], v[10:11]
	v_fma_f64 v[4:5], v[4:5], v[8:9], -v[12:13]
	v_fmac_f64_e32 v[10:11], v[2:3], v[8:9]
	buffer_store_dword v5, off, s[0:3], 0 offset:324
	buffer_store_dword v4, off, s[0:3], 0 offset:320
	buffer_store_dword v11, off, s[0:3], 0 offset:332
	buffer_store_dword v10, off, s[0:3], 0 offset:328
.LBB52_91:
	s_or_b64 exec, exec, s[4:5]
	v_accvgpr_read_b32 v0, a138
	s_waitcnt lgkmcnt(0)
	; wave barrier
	buffer_load_dword v2, v0, s[0:3], 0 offen
	buffer_load_dword v3, v0, s[0:3], 0 offen offset:4
	buffer_load_dword v4, v0, s[0:3], 0 offen offset:8
	buffer_load_dword v5, v0, s[0:3], 0 offen offset:12
	v_cmp_gt_u32_e32 vcc, 20, v255
	s_waitcnt vmcnt(0)
	ds_write_b128 v6, v[2:5]
	s_waitcnt lgkmcnt(0)
	; wave barrier
	s_waitcnt lgkmcnt(0)
	s_and_saveexec_b64 s[4:5], vcc
	s_cbranch_execz .LBB52_95
; %bb.92:
	v_pk_mov_b32 v[2:3], 0, 0
	v_add_u32_e32 v8, -1, v255
	v_add_u32_e32 v9, 0x350, v1
	v_add_u32_e32 v10, 16, v1
	s_mov_b64 s[6:7], 0
	v_pk_mov_b32 v[4:5], v[2:3], v[2:3] op_sel:[0,1]
.LBB52_93:                              ; =>This Inner Loop Header: Depth=1
	buffer_load_dword v16, v10, s[0:3], 0 offen offset:8
	buffer_load_dword v17, v10, s[0:3], 0 offen offset:12
	buffer_load_dword v18, v10, s[0:3], 0 offen
	buffer_load_dword v19, v10, s[0:3], 0 offen offset:4
	ds_read_b128 v[12:15], v9
	v_add_u32_e32 v8, 1, v8
	v_cmp_lt_u32_e32 vcc, 18, v8
	v_add_u32_e32 v9, 16, v9
	v_add_u32_e32 v10, 16, v10
	s_or_b64 s[6:7], vcc, s[6:7]
	s_waitcnt vmcnt(2) lgkmcnt(0)
	v_mul_f64 v[20:21], v[14:15], v[16:17]
	v_mul_f64 v[16:17], v[12:13], v[16:17]
	s_waitcnt vmcnt(0)
	v_fma_f64 v[12:13], v[12:13], v[18:19], -v[20:21]
	v_fmac_f64_e32 v[16:17], v[14:15], v[18:19]
	v_add_f64 v[4:5], v[4:5], v[12:13]
	v_add_f64 v[2:3], v[2:3], v[16:17]
	s_andn2_b64 exec, exec, s[6:7]
	s_cbranch_execnz .LBB52_93
; %bb.94:
	s_or_b64 exec, exec, s[6:7]
	v_mov_b32_e32 v0, 0
	ds_read_b128 v[8:11], v0 offset:320
	s_waitcnt lgkmcnt(0)
	v_mul_f64 v[12:13], v[2:3], v[10:11]
	v_mul_f64 v[10:11], v[4:5], v[10:11]
	v_fma_f64 v[4:5], v[4:5], v[8:9], -v[12:13]
	v_fmac_f64_e32 v[10:11], v[2:3], v[8:9]
	buffer_store_dword v5, off, s[0:3], 0 offset:340
	buffer_store_dword v4, off, s[0:3], 0 offset:336
	buffer_store_dword v11, off, s[0:3], 0 offset:348
	buffer_store_dword v10, off, s[0:3], 0 offset:344
.LBB52_95:
	s_or_b64 exec, exec, s[4:5]
	v_accvgpr_read_b32 v0, a137
	s_waitcnt lgkmcnt(0)
	; wave barrier
	buffer_load_dword v2, v0, s[0:3], 0 offen
	buffer_load_dword v3, v0, s[0:3], 0 offen offset:4
	buffer_load_dword v4, v0, s[0:3], 0 offen offset:8
	buffer_load_dword v5, v0, s[0:3], 0 offen offset:12
	v_cmp_gt_u32_e32 vcc, 21, v255
	s_waitcnt vmcnt(0)
	ds_write_b128 v6, v[2:5]
	s_waitcnt lgkmcnt(0)
	; wave barrier
	s_waitcnt lgkmcnt(0)
	s_and_saveexec_b64 s[4:5], vcc
	s_cbranch_execz .LBB52_99
; %bb.96:
	v_pk_mov_b32 v[2:3], 0, 0
	v_add_u32_e32 v8, -1, v255
	v_add_u32_e32 v9, 0x350, v1
	v_add_u32_e32 v10, 16, v1
	s_mov_b64 s[6:7], 0
	v_pk_mov_b32 v[4:5], v[2:3], v[2:3] op_sel:[0,1]
.LBB52_97:                              ; =>This Inner Loop Header: Depth=1
	buffer_load_dword v16, v10, s[0:3], 0 offen offset:8
	buffer_load_dword v17, v10, s[0:3], 0 offen offset:12
	buffer_load_dword v18, v10, s[0:3], 0 offen
	buffer_load_dword v19, v10, s[0:3], 0 offen offset:4
	ds_read_b128 v[12:15], v9
	v_add_u32_e32 v8, 1, v8
	v_cmp_lt_u32_e32 vcc, 19, v8
	v_add_u32_e32 v9, 16, v9
	v_add_u32_e32 v10, 16, v10
	s_or_b64 s[6:7], vcc, s[6:7]
	s_waitcnt vmcnt(2) lgkmcnt(0)
	v_mul_f64 v[20:21], v[14:15], v[16:17]
	v_mul_f64 v[16:17], v[12:13], v[16:17]
	s_waitcnt vmcnt(0)
	v_fma_f64 v[12:13], v[12:13], v[18:19], -v[20:21]
	v_fmac_f64_e32 v[16:17], v[14:15], v[18:19]
	v_add_f64 v[4:5], v[4:5], v[12:13]
	v_add_f64 v[2:3], v[2:3], v[16:17]
	s_andn2_b64 exec, exec, s[6:7]
	s_cbranch_execnz .LBB52_97
; %bb.98:
	s_or_b64 exec, exec, s[6:7]
	v_mov_b32_e32 v0, 0
	ds_read_b128 v[8:11], v0 offset:336
	s_waitcnt lgkmcnt(0)
	v_mul_f64 v[12:13], v[2:3], v[10:11]
	v_mul_f64 v[10:11], v[4:5], v[10:11]
	v_fma_f64 v[4:5], v[4:5], v[8:9], -v[12:13]
	v_fmac_f64_e32 v[10:11], v[2:3], v[8:9]
	buffer_store_dword v5, off, s[0:3], 0 offset:356
	buffer_store_dword v4, off, s[0:3], 0 offset:352
	buffer_store_dword v11, off, s[0:3], 0 offset:364
	buffer_store_dword v10, off, s[0:3], 0 offset:360
.LBB52_99:
	s_or_b64 exec, exec, s[4:5]
	v_accvgpr_read_b32 v0, a136
	s_waitcnt lgkmcnt(0)
	; wave barrier
	buffer_load_dword v2, v0, s[0:3], 0 offen
	buffer_load_dword v3, v0, s[0:3], 0 offen offset:4
	buffer_load_dword v4, v0, s[0:3], 0 offen offset:8
	buffer_load_dword v5, v0, s[0:3], 0 offen offset:12
	v_cmp_gt_u32_e32 vcc, 22, v255
	s_waitcnt vmcnt(0)
	ds_write_b128 v6, v[2:5]
	s_waitcnt lgkmcnt(0)
	; wave barrier
	s_waitcnt lgkmcnt(0)
	s_and_saveexec_b64 s[4:5], vcc
	s_cbranch_execz .LBB52_103
; %bb.100:
	v_pk_mov_b32 v[2:3], 0, 0
	v_add_u32_e32 v8, -1, v255
	v_add_u32_e32 v9, 0x350, v1
	v_add_u32_e32 v10, 16, v1
	s_mov_b64 s[6:7], 0
	v_pk_mov_b32 v[4:5], v[2:3], v[2:3] op_sel:[0,1]
.LBB52_101:                             ; =>This Inner Loop Header: Depth=1
	buffer_load_dword v16, v10, s[0:3], 0 offen offset:8
	buffer_load_dword v17, v10, s[0:3], 0 offen offset:12
	buffer_load_dword v18, v10, s[0:3], 0 offen
	buffer_load_dword v19, v10, s[0:3], 0 offen offset:4
	ds_read_b128 v[12:15], v9
	v_add_u32_e32 v8, 1, v8
	v_cmp_lt_u32_e32 vcc, 20, v8
	v_add_u32_e32 v9, 16, v9
	v_add_u32_e32 v10, 16, v10
	s_or_b64 s[6:7], vcc, s[6:7]
	s_waitcnt vmcnt(2) lgkmcnt(0)
	v_mul_f64 v[20:21], v[14:15], v[16:17]
	v_mul_f64 v[16:17], v[12:13], v[16:17]
	s_waitcnt vmcnt(0)
	v_fma_f64 v[12:13], v[12:13], v[18:19], -v[20:21]
	v_fmac_f64_e32 v[16:17], v[14:15], v[18:19]
	v_add_f64 v[4:5], v[4:5], v[12:13]
	v_add_f64 v[2:3], v[2:3], v[16:17]
	s_andn2_b64 exec, exec, s[6:7]
	s_cbranch_execnz .LBB52_101
; %bb.102:
	s_or_b64 exec, exec, s[6:7]
	v_mov_b32_e32 v0, 0
	ds_read_b128 v[8:11], v0 offset:352
	s_waitcnt lgkmcnt(0)
	v_mul_f64 v[12:13], v[2:3], v[10:11]
	v_mul_f64 v[10:11], v[4:5], v[10:11]
	v_fma_f64 v[4:5], v[4:5], v[8:9], -v[12:13]
	v_fmac_f64_e32 v[10:11], v[2:3], v[8:9]
	buffer_store_dword v5, off, s[0:3], 0 offset:372
	buffer_store_dword v4, off, s[0:3], 0 offset:368
	buffer_store_dword v11, off, s[0:3], 0 offset:380
	buffer_store_dword v10, off, s[0:3], 0 offset:376
.LBB52_103:
	s_or_b64 exec, exec, s[4:5]
	v_accvgpr_read_b32 v0, a135
	s_waitcnt lgkmcnt(0)
	; wave barrier
	buffer_load_dword v2, v0, s[0:3], 0 offen
	buffer_load_dword v3, v0, s[0:3], 0 offen offset:4
	buffer_load_dword v4, v0, s[0:3], 0 offen offset:8
	buffer_load_dword v5, v0, s[0:3], 0 offen offset:12
	v_cmp_gt_u32_e32 vcc, 23, v255
	s_waitcnt vmcnt(0)
	ds_write_b128 v6, v[2:5]
	s_waitcnt lgkmcnt(0)
	; wave barrier
	s_waitcnt lgkmcnt(0)
	s_and_saveexec_b64 s[4:5], vcc
	s_cbranch_execz .LBB52_107
; %bb.104:
	v_pk_mov_b32 v[2:3], 0, 0
	v_add_u32_e32 v8, -1, v255
	v_add_u32_e32 v9, 0x350, v1
	v_add_u32_e32 v10, 16, v1
	s_mov_b64 s[6:7], 0
	v_pk_mov_b32 v[4:5], v[2:3], v[2:3] op_sel:[0,1]
.LBB52_105:                             ; =>This Inner Loop Header: Depth=1
	buffer_load_dword v16, v10, s[0:3], 0 offen offset:8
	buffer_load_dword v17, v10, s[0:3], 0 offen offset:12
	buffer_load_dword v18, v10, s[0:3], 0 offen
	buffer_load_dword v19, v10, s[0:3], 0 offen offset:4
	ds_read_b128 v[12:15], v9
	v_add_u32_e32 v8, 1, v8
	v_cmp_lt_u32_e32 vcc, 21, v8
	v_add_u32_e32 v9, 16, v9
	v_add_u32_e32 v10, 16, v10
	s_or_b64 s[6:7], vcc, s[6:7]
	s_waitcnt vmcnt(2) lgkmcnt(0)
	v_mul_f64 v[20:21], v[14:15], v[16:17]
	v_mul_f64 v[16:17], v[12:13], v[16:17]
	s_waitcnt vmcnt(0)
	v_fma_f64 v[12:13], v[12:13], v[18:19], -v[20:21]
	v_fmac_f64_e32 v[16:17], v[14:15], v[18:19]
	v_add_f64 v[4:5], v[4:5], v[12:13]
	v_add_f64 v[2:3], v[2:3], v[16:17]
	s_andn2_b64 exec, exec, s[6:7]
	s_cbranch_execnz .LBB52_105
; %bb.106:
	s_or_b64 exec, exec, s[6:7]
	v_mov_b32_e32 v0, 0
	ds_read_b128 v[8:11], v0 offset:368
	s_waitcnt lgkmcnt(0)
	v_mul_f64 v[12:13], v[2:3], v[10:11]
	v_mul_f64 v[10:11], v[4:5], v[10:11]
	v_fma_f64 v[4:5], v[4:5], v[8:9], -v[12:13]
	v_fmac_f64_e32 v[10:11], v[2:3], v[8:9]
	buffer_store_dword v5, off, s[0:3], 0 offset:388
	buffer_store_dword v4, off, s[0:3], 0 offset:384
	buffer_store_dword v11, off, s[0:3], 0 offset:396
	buffer_store_dword v10, off, s[0:3], 0 offset:392
.LBB52_107:
	s_or_b64 exec, exec, s[4:5]
	v_accvgpr_read_b32 v0, a134
	s_waitcnt lgkmcnt(0)
	; wave barrier
	buffer_load_dword v2, v0, s[0:3], 0 offen
	buffer_load_dword v3, v0, s[0:3], 0 offen offset:4
	buffer_load_dword v4, v0, s[0:3], 0 offen offset:8
	buffer_load_dword v5, v0, s[0:3], 0 offen offset:12
	v_cmp_gt_u32_e32 vcc, 24, v255
	;; [unrolled: 58-line block ×29, first 2 shown]
	s_waitcnt vmcnt(0)
	ds_write_b128 v6, v[2:5]
	s_waitcnt lgkmcnt(0)
	; wave barrier
	s_waitcnt lgkmcnt(0)
	s_and_saveexec_b64 s[4:5], vcc
	s_cbranch_execz .LBB52_219
; %bb.216:
	v_pk_mov_b32 v[2:3], 0, 0
	v_add_u32_e32 v8, -1, v255
	v_add_u32_e32 v9, 0x350, v1
	v_add_u32_e32 v10, 16, v1
	s_mov_b64 s[6:7], 0
	v_pk_mov_b32 v[4:5], v[2:3], v[2:3] op_sel:[0,1]
.LBB52_217:                             ; =>This Inner Loop Header: Depth=1
	buffer_load_dword v16, v10, s[0:3], 0 offen offset:8
	buffer_load_dword v17, v10, s[0:3], 0 offen offset:12
	buffer_load_dword v18, v10, s[0:3], 0 offen
	buffer_load_dword v19, v10, s[0:3], 0 offen offset:4
	ds_read_b128 v[12:15], v9
	v_add_u32_e32 v8, 1, v8
	v_cmp_lt_u32_e32 vcc, 49, v8
	v_add_u32_e32 v9, 16, v9
	v_add_u32_e32 v10, 16, v10
	s_or_b64 s[6:7], vcc, s[6:7]
	s_waitcnt vmcnt(2) lgkmcnt(0)
	v_mul_f64 v[20:21], v[14:15], v[16:17]
	v_mul_f64 v[16:17], v[12:13], v[16:17]
	s_waitcnt vmcnt(0)
	v_fma_f64 v[12:13], v[12:13], v[18:19], -v[20:21]
	v_fmac_f64_e32 v[16:17], v[14:15], v[18:19]
	v_add_f64 v[4:5], v[4:5], v[12:13]
	v_add_f64 v[2:3], v[2:3], v[16:17]
	s_andn2_b64 exec, exec, s[6:7]
	s_cbranch_execnz .LBB52_217
; %bb.218:
	s_or_b64 exec, exec, s[6:7]
	v_mov_b32_e32 v0, 0
	ds_read_b128 v[8:11], v0 offset:816
	s_waitcnt lgkmcnt(0)
	v_mul_f64 v[12:13], v[2:3], v[10:11]
	v_mul_f64 v[10:11], v[4:5], v[10:11]
	v_fma_f64 v[4:5], v[4:5], v[8:9], -v[12:13]
	v_fmac_f64_e32 v[10:11], v[2:3], v[8:9]
	buffer_store_dword v5, off, s[0:3], 0 offset:836
	buffer_store_dword v4, off, s[0:3], 0 offset:832
	;; [unrolled: 1-line block ×4, first 2 shown]
.LBB52_219:
	s_or_b64 exec, exec, s[4:5]
	v_accvgpr_read_b32 v0, a106
	s_waitcnt lgkmcnt(0)
	; wave barrier
	buffer_load_dword v2, v0, s[0:3], 0 offen
	buffer_load_dword v3, v0, s[0:3], 0 offen offset:4
	buffer_load_dword v4, v0, s[0:3], 0 offen offset:8
	;; [unrolled: 1-line block ×3, first 2 shown]
	v_cmp_ne_u32_e32 vcc, 52, v255
	s_waitcnt vmcnt(0)
	ds_write_b128 v6, v[2:5]
	s_waitcnt lgkmcnt(0)
	; wave barrier
	s_waitcnt lgkmcnt(0)
	s_and_saveexec_b64 s[4:5], vcc
	s_cbranch_execz .LBB52_223
; %bb.220:
	v_pk_mov_b32 v[2:3], 0, 0
	v_add_u32_e32 v6, 0x350, v1
	v_add_u32_e32 v1, 16, v1
	s_mov_b64 s[6:7], 0
	v_pk_mov_b32 v[4:5], v[2:3], v[2:3] op_sel:[0,1]
.LBB52_221:                             ; =>This Inner Loop Header: Depth=1
	buffer_load_dword v12, v1, s[0:3], 0 offen offset:8
	buffer_load_dword v13, v1, s[0:3], 0 offen offset:12
	buffer_load_dword v14, v1, s[0:3], 0 offen
	buffer_load_dword v15, v1, s[0:3], 0 offen offset:4
	ds_read_b128 v[8:11], v6
	v_add_u32_e32 v7, 1, v7
	v_cmp_lt_u32_e32 vcc, 50, v7
	v_add_u32_e32 v6, 16, v6
	v_add_u32_e32 v1, 16, v1
	s_or_b64 s[6:7], vcc, s[6:7]
	s_waitcnt vmcnt(2) lgkmcnt(0)
	v_mul_f64 v[16:17], v[10:11], v[12:13]
	v_mul_f64 v[12:13], v[8:9], v[12:13]
	s_waitcnt vmcnt(0)
	v_fma_f64 v[8:9], v[8:9], v[14:15], -v[16:17]
	v_fmac_f64_e32 v[12:13], v[10:11], v[14:15]
	v_add_f64 v[4:5], v[4:5], v[8:9]
	v_add_f64 v[2:3], v[2:3], v[12:13]
	s_andn2_b64 exec, exec, s[6:7]
	s_cbranch_execnz .LBB52_221
; %bb.222:
	s_or_b64 exec, exec, s[6:7]
	v_mov_b32_e32 v0, 0
	ds_read_b128 v[6:9], v0 offset:832
	s_waitcnt lgkmcnt(0)
	v_mul_f64 v[0:1], v[2:3], v[8:9]
	v_mul_f64 v[8:9], v[4:5], v[8:9]
	v_fma_f64 v[0:1], v[4:5], v[6:7], -v[0:1]
	v_fmac_f64_e32 v[8:9], v[2:3], v[6:7]
	buffer_store_dword v1, off, s[0:3], 0 offset:852
	buffer_store_dword v0, off, s[0:3], 0 offset:848
	;; [unrolled: 1-line block ×4, first 2 shown]
.LBB52_223:
	s_or_b64 exec, exec, s[4:5]
	s_mov_b64 s[6:7], -1
	s_waitcnt lgkmcnt(0)
	; wave barrier
.LBB52_224:
	s_and_b64 vcc, exec, s[6:7]
	s_cbranch_vccz .LBB52_226
; %bb.225:
	s_lshl_b64 s[4:5], s[8:9], 2
	s_add_u32 s4, s14, s4
	s_addc_u32 s5, s15, s5
	v_mov_b32_e32 v0, 0
	global_load_dword v0, v0, s[4:5]
	s_waitcnt vmcnt(0)
	v_cmp_ne_u32_e32 vcc, 0, v0
	s_cbranch_vccz .LBB52_227
.LBB52_226:
	s_endpgm
.LBB52_227:
	v_mov_b32_e32 v0, 0x350
	v_lshl_add_u32 v0, v255, 4, v0
	v_accvgpr_write_b32 a159, v0
	v_cmp_eq_u32_e32 vcc, 52, v255
	s_and_saveexec_b64 s[4:5], vcc
	s_cbranch_execz .LBB52_229
; %bb.228:
	v_accvgpr_read_b32 v0, a107
	buffer_load_dword v2, v0, s[0:3], 0 offen
	buffer_load_dword v3, v0, s[0:3], 0 offen offset:4
	buffer_load_dword v4, v0, s[0:3], 0 offen offset:8
	;; [unrolled: 1-line block ×3, first 2 shown]
	v_mov_b32_e32 v0, 0
	v_accvgpr_read_b32 v1, a159
	buffer_store_dword v0, off, s[0:3], 0 offset:832
	buffer_store_dword v0, off, s[0:3], 0 offset:836
	buffer_store_dword v0, off, s[0:3], 0 offset:840
	buffer_store_dword v0, off, s[0:3], 0 offset:844
	s_waitcnt vmcnt(4)
	ds_write_b128 v1, v[2:5]
.LBB52_229:
	s_or_b64 exec, exec, s[4:5]
	s_waitcnt lgkmcnt(0)
	; wave barrier
	s_waitcnt lgkmcnt(0)
	buffer_load_dword v0, off, s[0:3], 0 offset:856
	buffer_load_dword v1, off, s[0:3], 0 offset:860
	;; [unrolled: 1-line block ×8, first 2 shown]
	v_mov_b32_e32 v2, 0
	ds_read_b128 v[4:7], v2 offset:1680
	v_cmp_lt_u32_e32 vcc, 50, v255
	s_waitcnt vmcnt(6) lgkmcnt(0)
	v_mul_f64 v[14:15], v[4:5], v[0:1]
	v_mul_f64 v[0:1], v[6:7], v[0:1]
	s_waitcnt vmcnt(4)
	v_fma_f64 v[0:1], v[4:5], v[8:9], -v[0:1]
	v_fmac_f64_e32 v[14:15], v[6:7], v[8:9]
	v_add_f64 v[0:1], v[0:1], 0
	v_add_f64 v[4:5], v[14:15], 0
	s_waitcnt vmcnt(2)
	v_add_f64 v[0:1], v[10:11], -v[0:1]
	s_waitcnt vmcnt(0)
	v_add_f64 v[4:5], v[12:13], -v[4:5]
	buffer_store_dword v0, off, s[0:3], 0 offset:832
	buffer_store_dword v1, off, s[0:3], 0 offset:836
	;; [unrolled: 1-line block ×4, first 2 shown]
	s_and_saveexec_b64 s[4:5], vcc
	s_cbranch_execz .LBB52_231
; %bb.230:
	v_accvgpr_read_b32 v0, a108
	buffer_load_dword v4, v0, s[0:3], 0 offen
	buffer_load_dword v5, v0, s[0:3], 0 offen offset:4
	buffer_load_dword v6, v0, s[0:3], 0 offen offset:8
	;; [unrolled: 1-line block ×3, first 2 shown]
	v_accvgpr_read_b32 v0, a159
	buffer_store_dword v2, off, s[0:3], 0 offset:816
	buffer_store_dword v2, off, s[0:3], 0 offset:820
	buffer_store_dword v2, off, s[0:3], 0 offset:824
	buffer_store_dword v2, off, s[0:3], 0 offset:828
	s_waitcnt vmcnt(4)
	ds_write_b128 v0, v[4:7]
.LBB52_231:
	s_or_b64 exec, exec, s[4:5]
	s_waitcnt lgkmcnt(0)
	; wave barrier
	s_waitcnt lgkmcnt(0)
	buffer_load_dword v0, off, s[0:3], 0 offset:840
	buffer_load_dword v1, off, s[0:3], 0 offset:844
	;; [unrolled: 1-line block ×12, first 2 shown]
	ds_read_b128 v[4:7], v2 offset:1664
	ds_read_b128 v[8:11], v2 offset:1680
	v_cmp_lt_u32_e32 vcc, 49, v255
	s_waitcnt vmcnt(10) lgkmcnt(1)
	v_mul_f64 v[2:3], v[4:5], v[0:1]
	v_mul_f64 v[0:1], v[6:7], v[0:1]
	s_waitcnt vmcnt(8) lgkmcnt(0)
	v_mul_f64 v[22:23], v[8:9], v[12:13]
	v_mul_f64 v[12:13], v[10:11], v[12:13]
	s_waitcnt vmcnt(6)
	v_fma_f64 v[0:1], v[4:5], v[14:15], -v[0:1]
	v_fmac_f64_e32 v[2:3], v[6:7], v[14:15]
	s_waitcnt vmcnt(4)
	v_fma_f64 v[4:5], v[8:9], v[16:17], -v[12:13]
	v_add_f64 v[0:1], v[0:1], 0
	v_fmac_f64_e32 v[22:23], v[10:11], v[16:17]
	v_add_f64 v[2:3], v[2:3], 0
	v_add_f64 v[0:1], v[0:1], v[4:5]
	v_add_f64 v[2:3], v[2:3], v[22:23]
	s_waitcnt vmcnt(2)
	v_add_f64 v[0:1], v[18:19], -v[0:1]
	s_waitcnt vmcnt(0)
	v_add_f64 v[2:3], v[20:21], -v[2:3]
	buffer_store_dword v0, off, s[0:3], 0 offset:816
	buffer_store_dword v1, off, s[0:3], 0 offset:820
	;; [unrolled: 1-line block ×4, first 2 shown]
	s_and_saveexec_b64 s[4:5], vcc
	s_cbranch_execz .LBB52_233
; %bb.232:
	v_accvgpr_read_b32 v0, a109
	buffer_load_dword v2, v0, s[0:3], 0 offen
	buffer_load_dword v3, v0, s[0:3], 0 offen offset:4
	buffer_load_dword v4, v0, s[0:3], 0 offen offset:8
	;; [unrolled: 1-line block ×3, first 2 shown]
	v_mov_b32_e32 v0, 0
	v_accvgpr_read_b32 v1, a159
	buffer_store_dword v0, off, s[0:3], 0 offset:800
	buffer_store_dword v0, off, s[0:3], 0 offset:804
	;; [unrolled: 1-line block ×4, first 2 shown]
	s_waitcnt vmcnt(4)
	ds_write_b128 v1, v[2:5]
.LBB52_233:
	s_or_b64 exec, exec, s[4:5]
	s_waitcnt lgkmcnt(0)
	; wave barrier
	s_waitcnt lgkmcnt(0)
	buffer_load_dword v0, off, s[0:3], 0 offset:824
	buffer_load_dword v1, off, s[0:3], 0 offset:828
	buffer_load_dword v16, off, s[0:3], 0 offset:840
	buffer_load_dword v17, off, s[0:3], 0 offset:844
	buffer_load_dword v18, off, s[0:3], 0 offset:856
	buffer_load_dword v19, off, s[0:3], 0 offset:860
	buffer_load_dword v20, off, s[0:3], 0 offset:816
	buffer_load_dword v21, off, s[0:3], 0 offset:820
	buffer_load_dword v22, off, s[0:3], 0 offset:832
	buffer_load_dword v23, off, s[0:3], 0 offset:836
	buffer_load_dword v24, off, s[0:3], 0 offset:848
	buffer_load_dword v25, off, s[0:3], 0 offset:852
	buffer_load_dword v26, off, s[0:3], 0 offset:800
	buffer_load_dword v27, off, s[0:3], 0 offset:804
	buffer_load_dword v28, off, s[0:3], 0 offset:808
	buffer_load_dword v29, off, s[0:3], 0 offset:812
	v_mov_b32_e32 v2, 0
	ds_read_b128 v[4:7], v2 offset:1648
	ds_read_b128 v[8:11], v2 offset:1664
	ds_read_b128 v[12:15], v2 offset:1680
	v_cmp_lt_u32_e32 vcc, 48, v255
	s_waitcnt vmcnt(14) lgkmcnt(2)
	v_mul_f64 v[30:31], v[4:5], v[0:1]
	v_mul_f64 v[0:1], v[6:7], v[0:1]
	s_waitcnt vmcnt(12) lgkmcnt(1)
	v_mul_f64 v[32:33], v[8:9], v[16:17]
	v_mul_f64 v[16:17], v[10:11], v[16:17]
	;; [unrolled: 3-line block ×3, first 2 shown]
	s_waitcnt vmcnt(8)
	v_fma_f64 v[0:1], v[4:5], v[20:21], -v[0:1]
	v_fmac_f64_e32 v[30:31], v[6:7], v[20:21]
	s_waitcnt vmcnt(6)
	v_fma_f64 v[4:5], v[8:9], v[22:23], -v[16:17]
	v_add_f64 v[0:1], v[0:1], 0
	v_fmac_f64_e32 v[32:33], v[10:11], v[22:23]
	s_waitcnt vmcnt(4)
	v_fma_f64 v[6:7], v[12:13], v[24:25], -v[18:19]
	v_add_f64 v[8:9], v[30:31], 0
	v_add_f64 v[0:1], v[0:1], v[4:5]
	v_fmac_f64_e32 v[34:35], v[14:15], v[24:25]
	v_add_f64 v[8:9], v[8:9], v[32:33]
	v_add_f64 v[0:1], v[0:1], v[6:7]
	;; [unrolled: 1-line block ×3, first 2 shown]
	s_waitcnt vmcnt(2)
	v_add_f64 v[0:1], v[26:27], -v[0:1]
	s_waitcnt vmcnt(0)
	v_add_f64 v[4:5], v[28:29], -v[4:5]
	buffer_store_dword v0, off, s[0:3], 0 offset:800
	buffer_store_dword v1, off, s[0:3], 0 offset:804
	;; [unrolled: 1-line block ×4, first 2 shown]
	s_and_saveexec_b64 s[4:5], vcc
	s_cbranch_execz .LBB52_235
; %bb.234:
	v_accvgpr_read_b32 v0, a110
	buffer_load_dword v4, v0, s[0:3], 0 offen
	buffer_load_dword v5, v0, s[0:3], 0 offen offset:4
	buffer_load_dword v6, v0, s[0:3], 0 offen offset:8
	;; [unrolled: 1-line block ×3, first 2 shown]
	v_accvgpr_read_b32 v0, a159
	buffer_store_dword v2, off, s[0:3], 0 offset:784
	buffer_store_dword v2, off, s[0:3], 0 offset:788
	;; [unrolled: 1-line block ×4, first 2 shown]
	s_waitcnt vmcnt(4)
	ds_write_b128 v0, v[4:7]
.LBB52_235:
	s_or_b64 exec, exec, s[4:5]
	s_waitcnt lgkmcnt(0)
	; wave barrier
	s_waitcnt lgkmcnt(0)
	buffer_load_dword v0, off, s[0:3], 0 offset:808
	buffer_load_dword v1, off, s[0:3], 0 offset:812
	;; [unrolled: 1-line block ×20, first 2 shown]
	ds_read_b128 v[4:7], v2 offset:1632
	ds_read_b128 v[8:11], v2 offset:1648
	;; [unrolled: 1-line block ×4, first 2 shown]
	v_cmp_lt_u32_e32 vcc, 47, v255
	s_waitcnt vmcnt(18) lgkmcnt(3)
	v_mul_f64 v[2:3], v[4:5], v[0:1]
	v_mul_f64 v[0:1], v[6:7], v[0:1]
	s_waitcnt vmcnt(16) lgkmcnt(2)
	v_mul_f64 v[38:39], v[8:9], v[20:21]
	v_mul_f64 v[20:21], v[10:11], v[20:21]
	;; [unrolled: 3-line block ×4, first 2 shown]
	s_waitcnt vmcnt(10)
	v_fma_f64 v[0:1], v[4:5], v[26:27], -v[0:1]
	v_fmac_f64_e32 v[2:3], v[6:7], v[26:27]
	s_waitcnt vmcnt(8)
	v_fma_f64 v[4:5], v[8:9], v[28:29], -v[20:21]
	v_add_f64 v[0:1], v[0:1], 0
	v_fmac_f64_e32 v[38:39], v[10:11], v[28:29]
	s_waitcnt vmcnt(6)
	v_fma_f64 v[6:7], v[12:13], v[30:31], -v[22:23]
	v_add_f64 v[2:3], v[2:3], 0
	v_add_f64 v[0:1], v[0:1], v[4:5]
	v_fmac_f64_e32 v[40:41], v[14:15], v[30:31]
	s_waitcnt vmcnt(4)
	v_fma_f64 v[8:9], v[16:17], v[32:33], -v[24:25]
	v_add_f64 v[2:3], v[2:3], v[38:39]
	v_add_f64 v[0:1], v[0:1], v[6:7]
	v_fmac_f64_e32 v[42:43], v[18:19], v[32:33]
	v_add_f64 v[2:3], v[2:3], v[40:41]
	v_add_f64 v[0:1], v[0:1], v[8:9]
	;; [unrolled: 1-line block ×3, first 2 shown]
	s_waitcnt vmcnt(2)
	v_add_f64 v[0:1], v[34:35], -v[0:1]
	s_waitcnt vmcnt(0)
	v_add_f64 v[2:3], v[36:37], -v[2:3]
	buffer_store_dword v0, off, s[0:3], 0 offset:784
	buffer_store_dword v1, off, s[0:3], 0 offset:788
	;; [unrolled: 1-line block ×4, first 2 shown]
	s_and_saveexec_b64 s[4:5], vcc
	s_cbranch_execz .LBB52_237
; %bb.236:
	v_accvgpr_read_b32 v0, a111
	buffer_load_dword v2, v0, s[0:3], 0 offen
	buffer_load_dword v3, v0, s[0:3], 0 offen offset:4
	buffer_load_dword v4, v0, s[0:3], 0 offen offset:8
	;; [unrolled: 1-line block ×3, first 2 shown]
	v_mov_b32_e32 v0, 0
	v_accvgpr_read_b32 v1, a159
	buffer_store_dword v0, off, s[0:3], 0 offset:768
	buffer_store_dword v0, off, s[0:3], 0 offset:772
	;; [unrolled: 1-line block ×4, first 2 shown]
	s_waitcnt vmcnt(4)
	ds_write_b128 v1, v[2:5]
.LBB52_237:
	s_or_b64 exec, exec, s[4:5]
	s_waitcnt lgkmcnt(0)
	; wave barrier
	s_waitcnt lgkmcnt(0)
	buffer_load_dword v0, off, s[0:3], 0 offset:792
	buffer_load_dword v1, off, s[0:3], 0 offset:796
	;; [unrolled: 1-line block ×24, first 2 shown]
	v_mov_b32_e32 v2, 0
	ds_read_b128 v[4:7], v2 offset:1616
	ds_read_b128 v[8:11], v2 offset:1632
	;; [unrolled: 1-line block ×5, first 2 shown]
	v_cmp_lt_u32_e32 vcc, 46, v255
	s_waitcnt vmcnt(22) lgkmcnt(4)
	v_mul_f64 v[46:47], v[4:5], v[0:1]
	v_mul_f64 v[0:1], v[6:7], v[0:1]
	s_waitcnt vmcnt(20) lgkmcnt(3)
	v_mul_f64 v[48:49], v[8:9], v[24:25]
	v_mul_f64 v[24:25], v[10:11], v[24:25]
	;; [unrolled: 3-line block ×4, first 2 shown]
	s_waitcnt vmcnt(13) lgkmcnt(0)
	v_mul_f64 v[54:55], v[20:21], v[28:29]
	s_waitcnt vmcnt(11)
	v_fma_f64 v[0:1], v[4:5], v[34:35], -v[0:1]
	v_fmac_f64_e32 v[46:47], v[6:7], v[34:35]
	s_waitcnt vmcnt(9)
	v_fma_f64 v[4:5], v[8:9], v[36:37], -v[24:25]
	v_add_f64 v[0:1], v[0:1], 0
	v_fmac_f64_e32 v[48:49], v[10:11], v[36:37]
	s_waitcnt vmcnt(7)
	v_fma_f64 v[6:7], v[12:13], v[38:39], -v[26:27]
	v_add_f64 v[12:13], v[46:47], 0
	v_add_f64 v[0:1], v[0:1], v[4:5]
	v_mul_f64 v[28:29], v[22:23], v[28:29]
	v_fmac_f64_e32 v[50:51], v[14:15], v[38:39]
	s_waitcnt vmcnt(5)
	v_fma_f64 v[8:9], v[16:17], v[40:41], -v[32:33]
	v_add_f64 v[12:13], v[12:13], v[48:49]
	v_add_f64 v[0:1], v[0:1], v[6:7]
	v_fmac_f64_e32 v[52:53], v[18:19], v[40:41]
	s_waitcnt vmcnt(4)
	v_fma_f64 v[10:11], v[20:21], v[30:31], -v[28:29]
	v_add_f64 v[4:5], v[12:13], v[50:51]
	v_add_f64 v[0:1], v[0:1], v[8:9]
	v_fmac_f64_e32 v[54:55], v[22:23], v[30:31]
	v_add_f64 v[4:5], v[4:5], v[52:53]
	v_add_f64 v[0:1], v[0:1], v[10:11]
	;; [unrolled: 1-line block ×3, first 2 shown]
	s_waitcnt vmcnt(2)
	v_add_f64 v[0:1], v[42:43], -v[0:1]
	s_waitcnt vmcnt(0)
	v_add_f64 v[4:5], v[44:45], -v[4:5]
	buffer_store_dword v1, off, s[0:3], 0 offset:772
	buffer_store_dword v0, off, s[0:3], 0 offset:768
	;; [unrolled: 1-line block ×4, first 2 shown]
	s_and_saveexec_b64 s[4:5], vcc
	s_cbranch_execz .LBB52_239
; %bb.238:
	v_accvgpr_read_b32 v0, a112
	buffer_load_dword v4, v0, s[0:3], 0 offen
	buffer_load_dword v5, v0, s[0:3], 0 offen offset:4
	buffer_load_dword v6, v0, s[0:3], 0 offen offset:8
	buffer_load_dword v7, v0, s[0:3], 0 offen offset:12
	v_accvgpr_read_b32 v0, a159
	buffer_store_dword v2, off, s[0:3], 0 offset:752
	buffer_store_dword v2, off, s[0:3], 0 offset:756
	;; [unrolled: 1-line block ×4, first 2 shown]
	s_waitcnt vmcnt(4)
	ds_write_b128 v0, v[4:7]
.LBB52_239:
	s_or_b64 exec, exec, s[4:5]
	s_waitcnt lgkmcnt(0)
	; wave barrier
	s_waitcnt lgkmcnt(0)
	buffer_load_dword v0, off, s[0:3], 0 offset:776
	buffer_load_dword v1, off, s[0:3], 0 offset:780
	;; [unrolled: 1-line block ×28, first 2 shown]
	ds_read_b128 v[4:7], v2 offset:1600
	ds_read_b128 v[8:11], v2 offset:1616
	;; [unrolled: 1-line block ×6, first 2 shown]
	v_cmp_lt_u32_e32 vcc, 45, v255
	s_waitcnt vmcnt(26) lgkmcnt(5)
	v_mul_f64 v[2:3], v[4:5], v[0:1]
	v_mul_f64 v[0:1], v[6:7], v[0:1]
	s_waitcnt vmcnt(24) lgkmcnt(4)
	v_mul_f64 v[54:55], v[8:9], v[28:29]
	v_mul_f64 v[28:29], v[10:11], v[28:29]
	;; [unrolled: 3-line block ×4, first 2 shown]
	s_waitcnt vmcnt(17)
	v_mul_f64 v[58:59], v[16:17], v[36:37]
	v_mul_f64 v[36:37], v[18:19], v[36:37]
	s_waitcnt vmcnt(15) lgkmcnt(0)
	v_mul_f64 v[62:63], v[24:25], v[38:39]
	v_mul_f64 v[38:39], v[26:27], v[38:39]
	s_waitcnt vmcnt(14)
	v_fmac_f64_e32 v[60:61], v[22:23], v[34:35]
	s_waitcnt vmcnt(12)
	v_fma_f64 v[0:1], v[4:5], v[40:41], -v[0:1]
	v_fmac_f64_e32 v[2:3], v[6:7], v[40:41]
	s_waitcnt vmcnt(10)
	v_fma_f64 v[4:5], v[8:9], v[42:43], -v[28:29]
	v_add_f64 v[0:1], v[0:1], 0
	v_fmac_f64_e32 v[54:55], v[10:11], v[42:43]
	s_waitcnt vmcnt(8)
	v_fma_f64 v[6:7], v[12:13], v[44:45], -v[30:31]
	v_add_f64 v[2:3], v[2:3], 0
	v_add_f64 v[0:1], v[0:1], v[4:5]
	v_fmac_f64_e32 v[56:57], v[14:15], v[44:45]
	s_waitcnt vmcnt(6)
	v_fma_f64 v[8:9], v[16:17], v[46:47], -v[36:37]
	v_add_f64 v[2:3], v[2:3], v[54:55]
	v_add_f64 v[0:1], v[0:1], v[6:7]
	v_fmac_f64_e32 v[58:59], v[18:19], v[46:47]
	v_fma_f64 v[10:11], v[20:21], v[34:35], -v[32:33]
	v_add_f64 v[2:3], v[2:3], v[56:57]
	v_add_f64 v[0:1], v[0:1], v[8:9]
	s_waitcnt vmcnt(4)
	v_fma_f64 v[12:13], v[24:25], v[48:49], -v[38:39]
	v_add_f64 v[2:3], v[2:3], v[58:59]
	v_add_f64 v[0:1], v[0:1], v[10:11]
	v_fmac_f64_e32 v[62:63], v[26:27], v[48:49]
	v_add_f64 v[2:3], v[2:3], v[60:61]
	v_add_f64 v[0:1], v[0:1], v[12:13]
	;; [unrolled: 1-line block ×3, first 2 shown]
	s_waitcnt vmcnt(2)
	v_add_f64 v[0:1], v[50:51], -v[0:1]
	s_waitcnt vmcnt(0)
	v_add_f64 v[2:3], v[52:53], -v[2:3]
	buffer_store_dword v1, off, s[0:3], 0 offset:756
	buffer_store_dword v0, off, s[0:3], 0 offset:752
	;; [unrolled: 1-line block ×4, first 2 shown]
	s_and_saveexec_b64 s[4:5], vcc
	s_cbranch_execz .LBB52_241
; %bb.240:
	v_accvgpr_read_b32 v0, a113
	buffer_load_dword v2, v0, s[0:3], 0 offen
	buffer_load_dword v3, v0, s[0:3], 0 offen offset:4
	buffer_load_dword v4, v0, s[0:3], 0 offen offset:8
	buffer_load_dword v5, v0, s[0:3], 0 offen offset:12
	v_mov_b32_e32 v0, 0
	v_accvgpr_read_b32 v1, a159
	buffer_store_dword v0, off, s[0:3], 0 offset:736
	buffer_store_dword v0, off, s[0:3], 0 offset:740
	;; [unrolled: 1-line block ×4, first 2 shown]
	s_waitcnt vmcnt(4)
	ds_write_b128 v1, v[2:5]
.LBB52_241:
	s_or_b64 exec, exec, s[4:5]
	s_waitcnt lgkmcnt(0)
	; wave barrier
	s_waitcnt lgkmcnt(0)
	buffer_load_dword v0, off, s[0:3], 0 offset:760
	buffer_load_dword v1, off, s[0:3], 0 offset:764
	;; [unrolled: 1-line block ×32, first 2 shown]
	v_mov_b32_e32 v2, 0
	ds_read_b128 v[4:7], v2 offset:1584
	ds_read_b128 v[8:11], v2 offset:1600
	;; [unrolled: 1-line block ×7, first 2 shown]
	v_cmp_lt_u32_e32 vcc, 44, v255
	s_waitcnt vmcnt(30) lgkmcnt(6)
	v_mul_f64 v[62:63], v[4:5], v[0:1]
	v_mul_f64 v[0:1], v[6:7], v[0:1]
	s_waitcnt vmcnt(28) lgkmcnt(5)
	v_mul_f64 v[64:65], v[8:9], v[32:33]
	v_mul_f64 v[32:33], v[10:11], v[32:33]
	;; [unrolled: 3-line block ×4, first 2 shown]
	s_waitcnt vmcnt(21)
	v_mul_f64 v[68:69], v[16:17], v[40:41]
	v_mul_f64 v[40:41], v[18:19], v[40:41]
	s_waitcnt vmcnt(17) lgkmcnt(1)
	v_mul_f64 v[72:73], v[24:25], v[46:47]
	v_mul_f64 v[46:47], v[26:27], v[46:47]
	s_waitcnt vmcnt(16) lgkmcnt(0)
	v_mul_f64 v[74:75], v[28:29], v[42:43]
	v_mul_f64 v[42:43], v[30:31], v[42:43]
	s_waitcnt vmcnt(13)
	v_fma_f64 v[0:1], v[4:5], v[48:49], -v[0:1]
	v_fmac_f64_e32 v[62:63], v[6:7], v[48:49]
	s_waitcnt vmcnt(11)
	v_fma_f64 v[4:5], v[8:9], v[50:51], -v[32:33]
	v_add_f64 v[0:1], v[0:1], 0
	v_fmac_f64_e32 v[64:65], v[10:11], v[50:51]
	s_waitcnt vmcnt(9)
	v_fma_f64 v[6:7], v[12:13], v[52:53], -v[34:35]
	s_waitcnt vmcnt(7)
	v_fma_f64 v[8:9], v[16:17], v[54:55], -v[40:41]
	v_add_f64 v[16:17], v[62:63], 0
	v_add_f64 v[0:1], v[0:1], v[4:5]
	v_fmac_f64_e32 v[66:67], v[14:15], v[52:53]
	v_add_f64 v[16:17], v[16:17], v[64:65]
	v_add_f64 v[0:1], v[0:1], v[6:7]
	v_fmac_f64_e32 v[68:69], v[18:19], v[54:55]
	v_fma_f64 v[10:11], v[20:21], v[38:39], -v[36:37]
	v_add_f64 v[4:5], v[16:17], v[66:67]
	v_add_f64 v[0:1], v[0:1], v[8:9]
	v_fmac_f64_e32 v[70:71], v[22:23], v[38:39]
	s_waitcnt vmcnt(5)
	v_fma_f64 v[12:13], v[24:25], v[56:57], -v[46:47]
	v_add_f64 v[4:5], v[4:5], v[68:69]
	v_add_f64 v[0:1], v[0:1], v[10:11]
	v_fmac_f64_e32 v[72:73], v[26:27], v[56:57]
	s_waitcnt vmcnt(4)
	v_fma_f64 v[14:15], v[28:29], v[44:45], -v[42:43]
	v_add_f64 v[4:5], v[4:5], v[70:71]
	v_add_f64 v[0:1], v[0:1], v[12:13]
	v_fmac_f64_e32 v[74:75], v[30:31], v[44:45]
	v_add_f64 v[4:5], v[4:5], v[72:73]
	v_add_f64 v[0:1], v[0:1], v[14:15]
	;; [unrolled: 1-line block ×3, first 2 shown]
	s_waitcnt vmcnt(2)
	v_add_f64 v[0:1], v[58:59], -v[0:1]
	s_waitcnt vmcnt(0)
	v_add_f64 v[4:5], v[60:61], -v[4:5]
	buffer_store_dword v1, off, s[0:3], 0 offset:740
	buffer_store_dword v0, off, s[0:3], 0 offset:736
	;; [unrolled: 1-line block ×4, first 2 shown]
	s_and_saveexec_b64 s[4:5], vcc
	s_cbranch_execz .LBB52_243
; %bb.242:
	v_accvgpr_read_b32 v0, a114
	buffer_load_dword v4, v0, s[0:3], 0 offen
	buffer_load_dword v5, v0, s[0:3], 0 offen offset:4
	buffer_load_dword v6, v0, s[0:3], 0 offen offset:8
	;; [unrolled: 1-line block ×3, first 2 shown]
	v_accvgpr_read_b32 v0, a159
	buffer_store_dword v2, off, s[0:3], 0 offset:720
	buffer_store_dword v2, off, s[0:3], 0 offset:724
	;; [unrolled: 1-line block ×4, first 2 shown]
	s_waitcnt vmcnt(4)
	ds_write_b128 v0, v[4:7]
.LBB52_243:
	s_or_b64 exec, exec, s[4:5]
	s_waitcnt lgkmcnt(0)
	; wave barrier
	s_waitcnt lgkmcnt(0)
	buffer_load_dword v0, off, s[0:3], 0 offset:744
	buffer_load_dword v1, off, s[0:3], 0 offset:748
	;; [unrolled: 1-line block ×36, first 2 shown]
	ds_read_b128 v[4:7], v2 offset:1568
	ds_read_b128 v[8:11], v2 offset:1584
	;; [unrolled: 1-line block ×8, first 2 shown]
	v_cmp_lt_u32_e32 vcc, 43, v255
	s_waitcnt vmcnt(34) lgkmcnt(7)
	v_mul_f64 v[2:3], v[4:5], v[0:1]
	v_mul_f64 v[0:1], v[6:7], v[0:1]
	s_waitcnt vmcnt(32) lgkmcnt(6)
	v_mul_f64 v[70:71], v[8:9], v[36:37]
	v_mul_f64 v[36:37], v[10:11], v[36:37]
	;; [unrolled: 3-line block ×4, first 2 shown]
	s_waitcnt vmcnt(25)
	v_mul_f64 v[74:75], v[16:17], v[44:45]
	v_mul_f64 v[44:45], v[18:19], v[44:45]
	s_waitcnt vmcnt(23) lgkmcnt(1)
	v_mul_f64 v[80:81], v[28:29], v[46:47]
	v_mul_f64 v[46:47], v[30:31], v[46:47]
	s_waitcnt vmcnt(20)
	v_mul_f64 v[78:79], v[24:25], v[50:51]
	v_mul_f64 v[50:51], v[26:27], v[50:51]
	s_waitcnt vmcnt(18) lgkmcnt(0)
	v_mul_f64 v[82:83], v[32:33], v[52:53]
	s_waitcnt vmcnt(17)
	v_fmac_f64_e32 v[76:77], v[22:23], v[42:43]
	s_waitcnt vmcnt(16)
	v_fmac_f64_e32 v[80:81], v[30:31], v[48:49]
	s_waitcnt vmcnt(14)
	v_fma_f64 v[0:1], v[4:5], v[54:55], -v[0:1]
	v_fmac_f64_e32 v[2:3], v[6:7], v[54:55]
	s_waitcnt vmcnt(12)
	v_fma_f64 v[4:5], v[8:9], v[56:57], -v[36:37]
	v_add_f64 v[0:1], v[0:1], 0
	v_fmac_f64_e32 v[70:71], v[10:11], v[56:57]
	s_waitcnt vmcnt(10)
	v_fma_f64 v[6:7], v[12:13], v[58:59], -v[38:39]
	v_add_f64 v[2:3], v[2:3], 0
	v_add_f64 v[0:1], v[0:1], v[4:5]
	v_fmac_f64_e32 v[72:73], v[14:15], v[58:59]
	s_waitcnt vmcnt(8)
	v_fma_f64 v[8:9], v[16:17], v[60:61], -v[44:45]
	v_add_f64 v[2:3], v[2:3], v[70:71]
	v_add_f64 v[0:1], v[0:1], v[6:7]
	v_fmac_f64_e32 v[74:75], v[18:19], v[60:61]
	v_fma_f64 v[10:11], v[20:21], v[42:43], -v[40:41]
	v_add_f64 v[2:3], v[2:3], v[72:73]
	v_add_f64 v[0:1], v[0:1], v[8:9]
	s_waitcnt vmcnt(6)
	v_fma_f64 v[12:13], v[24:25], v[62:63], -v[50:51]
	v_add_f64 v[2:3], v[2:3], v[74:75]
	v_add_f64 v[0:1], v[0:1], v[10:11]
	v_fmac_f64_e32 v[78:79], v[26:27], v[62:63]
	v_fma_f64 v[14:15], v[28:29], v[48:49], -v[46:47]
	v_add_f64 v[2:3], v[2:3], v[76:77]
	v_add_f64 v[0:1], v[0:1], v[12:13]
	v_mul_f64 v[4:5], v[34:35], v[52:53]
	v_add_f64 v[2:3], v[2:3], v[78:79]
	v_add_f64 v[0:1], v[0:1], v[14:15]
	s_waitcnt vmcnt(4)
	v_fma_f64 v[4:5], v[32:33], v[64:65], -v[4:5]
	v_fmac_f64_e32 v[82:83], v[34:35], v[64:65]
	v_add_f64 v[2:3], v[2:3], v[80:81]
	v_add_f64 v[0:1], v[0:1], v[4:5]
	;; [unrolled: 1-line block ×3, first 2 shown]
	s_waitcnt vmcnt(2)
	v_add_f64 v[0:1], v[66:67], -v[0:1]
	s_waitcnt vmcnt(0)
	v_add_f64 v[2:3], v[68:69], -v[2:3]
	buffer_store_dword v1, off, s[0:3], 0 offset:724
	buffer_store_dword v0, off, s[0:3], 0 offset:720
	;; [unrolled: 1-line block ×4, first 2 shown]
	s_and_saveexec_b64 s[4:5], vcc
	s_cbranch_execz .LBB52_245
; %bb.244:
	v_accvgpr_read_b32 v0, a115
	buffer_load_dword v2, v0, s[0:3], 0 offen
	buffer_load_dword v3, v0, s[0:3], 0 offen offset:4
	buffer_load_dword v4, v0, s[0:3], 0 offen offset:8
	;; [unrolled: 1-line block ×3, first 2 shown]
	v_mov_b32_e32 v0, 0
	v_accvgpr_read_b32 v1, a159
	buffer_store_dword v0, off, s[0:3], 0 offset:704
	buffer_store_dword v0, off, s[0:3], 0 offset:708
	;; [unrolled: 1-line block ×4, first 2 shown]
	s_waitcnt vmcnt(4)
	ds_write_b128 v1, v[2:5]
.LBB52_245:
	s_or_b64 exec, exec, s[4:5]
	v_mov_b32_e32 v82, 0
	s_waitcnt lgkmcnt(0)
	; wave barrier
	s_waitcnt lgkmcnt(0)
	ds_read_b128 v[18:21], v82 offset:1552
	ds_read_b128 v[14:17], v82 offset:1568
	ds_read_b128 v[10:13], v82 offset:1584
	ds_read_b128 v[2:5], v82 offset:1600
	buffer_load_dword v40, off, s[0:3], 0 offset:704
	buffer_load_dword v41, off, s[0:3], 0 offset:708
	;; [unrolled: 1-line block ×20, first 2 shown]
	v_cmp_lt_u32_e32 vcc, 42, v255
	s_waitcnt vmcnt(12) lgkmcnt(3)
	v_mul_f64 v[0:1], v[18:19], v[56:57]
	v_fmac_f64_e32 v[0:1], v[20:21], v[44:45]
	v_add_f64 v[0:1], v[0:1], 0
	v_mul_f64 v[20:21], v[20:21], v[56:57]
	s_waitcnt vmcnt(8) lgkmcnt(2)
	v_mul_f64 v[6:7], v[14:15], v[54:55]
	v_fmac_f64_e32 v[6:7], v[16:17], v[50:51]
	v_add_f64 v[0:1], v[0:1], v[6:7]
	v_fma_f64 v[18:19], v[18:19], v[44:45], -v[20:21]
	s_waitcnt vmcnt(4) lgkmcnt(1)
	v_mul_f64 v[6:7], v[10:11], v[52:53]
	v_fmac_f64_e32 v[6:7], v[12:13], v[48:49]
	v_add_f64 v[0:1], v[0:1], v[6:7]
	s_waitcnt vmcnt(0) lgkmcnt(0)
	v_mul_f64 v[6:7], v[2:3], v[58:59]
	v_fmac_f64_e32 v[6:7], v[4:5], v[46:47]
	v_add_f64 v[0:1], v[0:1], v[6:7]
	ds_read_b128 v[6:9], v82 offset:1616
	buffer_load_dword v43, off, s[0:3], 0 offset:788
	buffer_load_dword v42, off, s[0:3], 0 offset:784
	;; [unrolled: 1-line block ×4, first 2 shown]
	v_mul_f64 v[16:17], v[16:17], v[54:55]
	v_add_f64 v[18:19], v[18:19], 0
	v_fma_f64 v[14:15], v[14:15], v[50:51], -v[16:17]
	v_mul_f64 v[12:13], v[12:13], v[52:53]
	v_add_f64 v[14:15], v[18:19], v[14:15]
	v_fma_f64 v[10:11], v[10:11], v[48:49], -v[12:13]
	;; [unrolled: 3-line block ×3, first 2 shown]
	v_add_f64 v[2:3], v[10:11], v[2:3]
	s_waitcnt vmcnt(0) lgkmcnt(0)
	v_mul_f64 v[22:23], v[6:7], v[60:61]
	v_fmac_f64_e32 v[22:23], v[8:9], v[42:43]
	v_add_f64 v[0:1], v[0:1], v[22:23]
	ds_read_b128 v[22:25], v82 offset:1632
	buffer_load_dword v63, off, s[0:3], 0 offset:804
	buffer_load_dword v62, off, s[0:3], 0 offset:800
	buffer_load_dword v65, off, s[0:3], 0 offset:812
	buffer_load_dword v64, off, s[0:3], 0 offset:808
	v_mul_f64 v[4:5], v[8:9], v[60:61]
	v_fma_f64 v[4:5], v[6:7], v[42:43], -v[4:5]
	v_add_f64 v[2:3], v[2:3], v[4:5]
	s_waitcnt vmcnt(0) lgkmcnt(0)
	v_mul_f64 v[26:27], v[22:23], v[64:65]
	v_fmac_f64_e32 v[26:27], v[24:25], v[62:63]
	v_add_f64 v[0:1], v[0:1], v[26:27]
	ds_read_b128 v[26:29], v82 offset:1648
	buffer_load_dword v67, off, s[0:3], 0 offset:820
	buffer_load_dword v66, off, s[0:3], 0 offset:816
	buffer_load_dword v69, off, s[0:3], 0 offset:828
	buffer_load_dword v68, off, s[0:3], 0 offset:824
	v_mul_f64 v[4:5], v[24:25], v[64:65]
	v_fma_f64 v[4:5], v[22:23], v[62:63], -v[4:5]
	;; [unrolled: 12-line block ×4, first 2 shown]
	v_add_f64 v[2:3], v[2:3], v[4:5]
	s_waitcnt vmcnt(0) lgkmcnt(0)
	v_mul_f64 v[4:5], v[36:37], v[76:77]
	v_mul_f64 v[78:79], v[34:35], v[76:77]
	v_fma_f64 v[4:5], v[34:35], v[74:75], -v[4:5]
	v_fmac_f64_e32 v[78:79], v[36:37], v[74:75]
	v_add_f64 v[2:3], v[2:3], v[4:5]
	v_add_f64 v[0:1], v[0:1], v[78:79]
	v_add_f64 v[2:3], v[40:41], -v[2:3]
	v_add_f64 v[0:1], v[38:39], -v[0:1]
	buffer_store_dword v3, off, s[0:3], 0 offset:708
	buffer_store_dword v2, off, s[0:3], 0 offset:704
	;; [unrolled: 1-line block ×4, first 2 shown]
	s_and_saveexec_b64 s[4:5], vcc
	s_cbranch_execz .LBB52_247
; %bb.246:
	v_accvgpr_read_b32 v0, a116
	buffer_load_dword v2, v0, s[0:3], 0 offen
	buffer_load_dword v3, v0, s[0:3], 0 offen offset:4
	buffer_load_dword v4, v0, s[0:3], 0 offen offset:8
	;; [unrolled: 1-line block ×3, first 2 shown]
	v_accvgpr_read_b32 v0, a159
	buffer_store_dword v82, off, s[0:3], 0 offset:688
	buffer_store_dword v82, off, s[0:3], 0 offset:692
	;; [unrolled: 1-line block ×4, first 2 shown]
	s_waitcnt vmcnt(4)
	ds_write_b128 v0, v[2:5]
.LBB52_247:
	s_or_b64 exec, exec, s[4:5]
	s_waitcnt lgkmcnt(0)
	; wave barrier
	s_waitcnt lgkmcnt(0)
	ds_read_b128 v[18:21], v82 offset:1536
	ds_read_b128 v[10:13], v82 offset:1552
	;; [unrolled: 1-line block ×4, first 2 shown]
	buffer_load_dword v44, off, s[0:3], 0 offset:688
	buffer_load_dword v45, off, s[0:3], 0 offset:692
	;; [unrolled: 1-line block ×20, first 2 shown]
	v_cmp_lt_u32_e32 vcc, 41, v255
	s_waitcnt vmcnt(12) lgkmcnt(3)
	v_mul_f64 v[0:1], v[18:19], v[62:63]
	v_fmac_f64_e32 v[0:1], v[20:21], v[58:59]
	v_add_f64 v[0:1], v[0:1], 0
	v_mul_f64 v[20:21], v[20:21], v[62:63]
	s_waitcnt vmcnt(8) lgkmcnt(2)
	v_mul_f64 v[14:15], v[10:11], v[60:61]
	v_fmac_f64_e32 v[14:15], v[12:13], v[56:57]
	v_add_f64 v[0:1], v[0:1], v[14:15]
	v_fma_f64 v[18:19], v[18:19], v[58:59], -v[20:21]
	s_waitcnt vmcnt(4) lgkmcnt(1)
	v_mul_f64 v[14:15], v[6:7], v[48:49]
	v_fmac_f64_e32 v[14:15], v[8:9], v[46:47]
	v_add_f64 v[0:1], v[0:1], v[14:15]
	s_waitcnt vmcnt(0) lgkmcnt(0)
	v_mul_f64 v[14:15], v[2:3], v[52:53]
	v_fmac_f64_e32 v[14:15], v[4:5], v[50:51]
	v_add_f64 v[0:1], v[0:1], v[14:15]
	ds_read_b128 v[14:17], v82 offset:1600
	buffer_load_dword v55, off, s[0:3], 0 offset:772
	buffer_load_dword v54, off, s[0:3], 0 offset:768
	;; [unrolled: 1-line block ×4, first 2 shown]
	v_mul_f64 v[12:13], v[12:13], v[60:61]
	v_add_f64 v[18:19], v[18:19], 0
	v_fma_f64 v[10:11], v[10:11], v[56:57], -v[12:13]
	v_mul_f64 v[8:9], v[8:9], v[48:49]
	v_add_f64 v[10:11], v[18:19], v[10:11]
	v_fma_f64 v[6:7], v[6:7], v[46:47], -v[8:9]
	;; [unrolled: 3-line block ×3, first 2 shown]
	v_add_f64 v[2:3], v[6:7], v[2:3]
	s_waitcnt vmcnt(0) lgkmcnt(0)
	v_mul_f64 v[22:23], v[14:15], v[64:65]
	v_fmac_f64_e32 v[22:23], v[16:17], v[54:55]
	v_add_f64 v[0:1], v[0:1], v[22:23]
	ds_read_b128 v[22:25], v82 offset:1616
	buffer_load_dword v67, off, s[0:3], 0 offset:788
	buffer_load_dword v66, off, s[0:3], 0 offset:784
	buffer_load_dword v69, off, s[0:3], 0 offset:796
	buffer_load_dword v68, off, s[0:3], 0 offset:792
	v_mul_f64 v[4:5], v[16:17], v[64:65]
	v_fma_f64 v[4:5], v[14:15], v[54:55], -v[4:5]
	v_add_f64 v[2:3], v[2:3], v[4:5]
	s_waitcnt vmcnt(0) lgkmcnt(0)
	v_mul_f64 v[26:27], v[22:23], v[68:69]
	v_fmac_f64_e32 v[26:27], v[24:25], v[66:67]
	v_add_f64 v[0:1], v[0:1], v[26:27]
	ds_read_b128 v[26:29], v82 offset:1632
	buffer_load_dword v71, off, s[0:3], 0 offset:804
	buffer_load_dword v70, off, s[0:3], 0 offset:800
	buffer_load_dword v73, off, s[0:3], 0 offset:812
	buffer_load_dword v72, off, s[0:3], 0 offset:808
	v_mul_f64 v[4:5], v[24:25], v[68:69]
	v_fma_f64 v[4:5], v[22:23], v[66:67], -v[4:5]
	v_add_f64 v[2:3], v[2:3], v[4:5]
	s_waitcnt vmcnt(0) lgkmcnt(0)
	v_mul_f64 v[30:31], v[26:27], v[72:73]
	v_fmac_f64_e32 v[30:31], v[28:29], v[70:71]
	v_add_f64 v[0:1], v[0:1], v[30:31]
	ds_read_b128 v[30:33], v82 offset:1648
	buffer_load_dword v75, off, s[0:3], 0 offset:820
	buffer_load_dword v74, off, s[0:3], 0 offset:816
	buffer_load_dword v77, off, s[0:3], 0 offset:828
	buffer_load_dword v76, off, s[0:3], 0 offset:824
	v_mul_f64 v[4:5], v[28:29], v[72:73]
	v_fma_f64 v[4:5], v[26:27], v[70:71], -v[4:5]
	v_add_f64 v[2:3], v[2:3], v[4:5]
	s_waitcnt vmcnt(0) lgkmcnt(0)
	v_mul_f64 v[34:35], v[30:31], v[76:77]
	v_fmac_f64_e32 v[34:35], v[32:33], v[74:75]
	v_add_f64 v[0:1], v[0:1], v[34:35]
	ds_read_b128 v[34:37], v82 offset:1664
	buffer_load_dword v79, off, s[0:3], 0 offset:836
	buffer_load_dword v78, off, s[0:3], 0 offset:832
	buffer_load_dword v81, off, s[0:3], 0 offset:844
	buffer_load_dword v80, off, s[0:3], 0 offset:840
	v_mul_f64 v[4:5], v[32:33], v[76:77]
	v_fma_f64 v[4:5], v[30:31], v[74:75], -v[4:5]
	v_add_f64 v[2:3], v[2:3], v[4:5]
	s_waitcnt vmcnt(0) lgkmcnt(0)
	v_mul_f64 v[38:39], v[34:35], v[80:81]
	v_fmac_f64_e32 v[38:39], v[36:37], v[78:79]
	v_add_f64 v[0:1], v[0:1], v[38:39]
	ds_read_b128 v[38:41], v82 offset:1680
	buffer_load_dword v83, off, s[0:3], 0 offset:852
	buffer_load_dword v82, off, s[0:3], 0 offset:848
	buffer_load_dword v85, off, s[0:3], 0 offset:860
	buffer_load_dword v84, off, s[0:3], 0 offset:856
	v_mul_f64 v[4:5], v[36:37], v[80:81]
	v_fma_f64 v[4:5], v[34:35], v[78:79], -v[4:5]
	v_add_f64 v[2:3], v[2:3], v[4:5]
	s_waitcnt vmcnt(0) lgkmcnt(0)
	v_mul_f64 v[4:5], v[40:41], v[84:85]
	v_mul_f64 v[86:87], v[38:39], v[84:85]
	v_fma_f64 v[4:5], v[38:39], v[82:83], -v[4:5]
	v_fmac_f64_e32 v[86:87], v[40:41], v[82:83]
	v_add_f64 v[2:3], v[2:3], v[4:5]
	v_add_f64 v[0:1], v[0:1], v[86:87]
	v_add_f64 v[2:3], v[44:45], -v[2:3]
	v_add_f64 v[0:1], v[42:43], -v[0:1]
	buffer_store_dword v3, off, s[0:3], 0 offset:692
	buffer_store_dword v2, off, s[0:3], 0 offset:688
	;; [unrolled: 1-line block ×4, first 2 shown]
	s_and_saveexec_b64 s[4:5], vcc
	s_cbranch_execz .LBB52_249
; %bb.248:
	v_accvgpr_read_b32 v0, a117
	buffer_load_dword v2, v0, s[0:3], 0 offen
	buffer_load_dword v3, v0, s[0:3], 0 offen offset:4
	buffer_load_dword v4, v0, s[0:3], 0 offen offset:8
	;; [unrolled: 1-line block ×3, first 2 shown]
	v_mov_b32_e32 v0, 0
	v_accvgpr_read_b32 v1, a159
	buffer_store_dword v0, off, s[0:3], 0 offset:672
	buffer_store_dword v0, off, s[0:3], 0 offset:676
	;; [unrolled: 1-line block ×4, first 2 shown]
	s_waitcnt vmcnt(4)
	ds_write_b128 v1, v[2:5]
.LBB52_249:
	s_or_b64 exec, exec, s[4:5]
	v_mov_b32_e32 v96, 0
	s_waitcnt lgkmcnt(0)
	; wave barrier
	s_waitcnt lgkmcnt(0)
	ds_read_b128 v[14:17], v96 offset:1520
	ds_read_b128 v[10:13], v96 offset:1536
	;; [unrolled: 1-line block ×4, first 2 shown]
	buffer_load_dword v48, off, s[0:3], 0 offset:672
	buffer_load_dword v49, off, s[0:3], 0 offset:676
	buffer_load_dword v46, off, s[0:3], 0 offset:680
	buffer_load_dword v47, off, s[0:3], 0 offset:684
	buffer_load_dword v50, off, s[0:3], 0 offset:688
	buffer_load_dword v51, off, s[0:3], 0 offset:692
	buffer_load_dword v56, off, s[0:3], 0 offset:696
	buffer_load_dword v57, off, s[0:3], 0 offset:700
	buffer_load_dword v52, off, s[0:3], 0 offset:704
	buffer_load_dword v53, off, s[0:3], 0 offset:708
	buffer_load_dword v58, off, s[0:3], 0 offset:712
	buffer_load_dword v59, off, s[0:3], 0 offset:716
	buffer_load_dword v54, off, s[0:3], 0 offset:720
	buffer_load_dword v55, off, s[0:3], 0 offset:724
	buffer_load_dword v60, off, s[0:3], 0 offset:728
	buffer_load_dword v61, off, s[0:3], 0 offset:732
	buffer_load_dword v63, off, s[0:3], 0 offset:740
	buffer_load_dword v62, off, s[0:3], 0 offset:736
	buffer_load_dword v65, off, s[0:3], 0 offset:748
	buffer_load_dword v64, off, s[0:3], 0 offset:744
	v_cmp_lt_u32_e32 vcc, 40, v255
	s_waitcnt vmcnt(12) lgkmcnt(3)
	v_mul_f64 v[0:1], v[14:15], v[56:57]
	v_fmac_f64_e32 v[0:1], v[16:17], v[50:51]
	v_add_f64 v[0:1], v[0:1], 0
	v_mul_f64 v[16:17], v[16:17], v[56:57]
	s_waitcnt vmcnt(8) lgkmcnt(2)
	v_mul_f64 v[18:19], v[10:11], v[58:59]
	v_fmac_f64_e32 v[18:19], v[12:13], v[52:53]
	v_add_f64 v[0:1], v[0:1], v[18:19]
	v_fma_f64 v[14:15], v[14:15], v[50:51], -v[16:17]
	s_waitcnt vmcnt(4) lgkmcnt(1)
	v_mul_f64 v[18:19], v[6:7], v[60:61]
	v_fmac_f64_e32 v[18:19], v[8:9], v[54:55]
	v_add_f64 v[0:1], v[0:1], v[18:19]
	s_waitcnt vmcnt(0) lgkmcnt(0)
	v_mul_f64 v[18:19], v[2:3], v[64:65]
	v_fmac_f64_e32 v[18:19], v[4:5], v[62:63]
	v_add_f64 v[0:1], v[0:1], v[18:19]
	ds_read_b128 v[18:21], v96 offset:1584
	buffer_load_dword v67, off, s[0:3], 0 offset:756
	buffer_load_dword v66, off, s[0:3], 0 offset:752
	;; [unrolled: 1-line block ×4, first 2 shown]
	v_mul_f64 v[12:13], v[12:13], v[58:59]
	v_add_f64 v[14:15], v[14:15], 0
	v_fma_f64 v[10:11], v[10:11], v[52:53], -v[12:13]
	v_mul_f64 v[8:9], v[8:9], v[60:61]
	v_add_f64 v[10:11], v[14:15], v[10:11]
	v_fma_f64 v[6:7], v[6:7], v[54:55], -v[8:9]
	;; [unrolled: 3-line block ×3, first 2 shown]
	v_add_f64 v[2:3], v[6:7], v[2:3]
	s_waitcnt vmcnt(0) lgkmcnt(0)
	v_mul_f64 v[22:23], v[18:19], v[68:69]
	v_fmac_f64_e32 v[22:23], v[20:21], v[66:67]
	v_add_f64 v[0:1], v[0:1], v[22:23]
	ds_read_b128 v[22:25], v96 offset:1600
	buffer_load_dword v71, off, s[0:3], 0 offset:772
	buffer_load_dword v70, off, s[0:3], 0 offset:768
	buffer_load_dword v73, off, s[0:3], 0 offset:780
	buffer_load_dword v72, off, s[0:3], 0 offset:776
	v_mul_f64 v[4:5], v[20:21], v[68:69]
	v_fma_f64 v[4:5], v[18:19], v[66:67], -v[4:5]
	v_add_f64 v[2:3], v[2:3], v[4:5]
	s_waitcnt vmcnt(0) lgkmcnt(0)
	v_mul_f64 v[26:27], v[22:23], v[72:73]
	v_fmac_f64_e32 v[26:27], v[24:25], v[70:71]
	v_add_f64 v[0:1], v[0:1], v[26:27]
	ds_read_b128 v[26:29], v96 offset:1616
	buffer_load_dword v75, off, s[0:3], 0 offset:788
	buffer_load_dword v74, off, s[0:3], 0 offset:784
	buffer_load_dword v77, off, s[0:3], 0 offset:796
	buffer_load_dword v76, off, s[0:3], 0 offset:792
	v_mul_f64 v[4:5], v[24:25], v[72:73]
	v_fma_f64 v[4:5], v[22:23], v[70:71], -v[4:5]
	;; [unrolled: 12-line block ×6, first 2 shown]
	v_add_f64 v[2:3], v[2:3], v[4:5]
	s_waitcnt vmcnt(0) lgkmcnt(0)
	v_mul_f64 v[4:5], v[44:45], v[92:93]
	v_mul_f64 v[0:1], v[42:43], v[92:93]
	v_fma_f64 v[4:5], v[42:43], v[90:91], -v[4:5]
	v_fmac_f64_e32 v[0:1], v[44:45], v[90:91]
	v_add_f64 v[2:3], v[2:3], v[4:5]
	v_add_f64 v[0:1], v[94:95], v[0:1]
	v_add_f64 v[2:3], v[48:49], -v[2:3]
	v_add_f64 v[0:1], v[46:47], -v[0:1]
	buffer_store_dword v3, off, s[0:3], 0 offset:676
	buffer_store_dword v2, off, s[0:3], 0 offset:672
	;; [unrolled: 1-line block ×4, first 2 shown]
	s_and_saveexec_b64 s[4:5], vcc
	s_cbranch_execz .LBB52_251
; %bb.250:
	v_accvgpr_read_b32 v0, a118
	buffer_load_dword v2, v0, s[0:3], 0 offen
	buffer_load_dword v3, v0, s[0:3], 0 offen offset:4
	buffer_load_dword v4, v0, s[0:3], 0 offen offset:8
	buffer_load_dword v5, v0, s[0:3], 0 offen offset:12
	v_accvgpr_read_b32 v0, a159
	buffer_store_dword v96, off, s[0:3], 0 offset:656
	buffer_store_dword v96, off, s[0:3], 0 offset:660
	;; [unrolled: 1-line block ×4, first 2 shown]
	s_waitcnt vmcnt(4)
	ds_write_b128 v0, v[2:5]
.LBB52_251:
	s_or_b64 exec, exec, s[4:5]
	s_waitcnt lgkmcnt(0)
	; wave barrier
	s_waitcnt lgkmcnt(0)
	ds_read_b128 v[14:17], v96 offset:1504
	ds_read_b128 v[10:13], v96 offset:1520
	;; [unrolled: 1-line block ×4, first 2 shown]
	buffer_load_dword v48, off, s[0:3], 0 offset:656
	buffer_load_dword v49, off, s[0:3], 0 offset:660
	;; [unrolled: 1-line block ×20, first 2 shown]
	v_cmp_lt_u32_e32 vcc, 39, v255
	s_waitcnt vmcnt(12) lgkmcnt(3)
	v_mul_f64 v[0:1], v[14:15], v[56:57]
	v_fmac_f64_e32 v[0:1], v[16:17], v[50:51]
	v_add_f64 v[0:1], v[0:1], 0
	v_mul_f64 v[16:17], v[16:17], v[56:57]
	s_waitcnt vmcnt(8) lgkmcnt(2)
	v_mul_f64 v[18:19], v[10:11], v[58:59]
	v_fmac_f64_e32 v[18:19], v[12:13], v[52:53]
	v_add_f64 v[0:1], v[0:1], v[18:19]
	v_fma_f64 v[14:15], v[14:15], v[50:51], -v[16:17]
	s_waitcnt vmcnt(4) lgkmcnt(1)
	v_mul_f64 v[18:19], v[6:7], v[60:61]
	v_fmac_f64_e32 v[18:19], v[8:9], v[54:55]
	v_add_f64 v[0:1], v[0:1], v[18:19]
	s_waitcnt vmcnt(0) lgkmcnt(0)
	v_mul_f64 v[18:19], v[2:3], v[64:65]
	v_fmac_f64_e32 v[18:19], v[4:5], v[62:63]
	v_add_f64 v[0:1], v[0:1], v[18:19]
	ds_read_b128 v[18:21], v96 offset:1568
	buffer_load_dword v67, off, s[0:3], 0 offset:740
	buffer_load_dword v66, off, s[0:3], 0 offset:736
	;; [unrolled: 1-line block ×4, first 2 shown]
	v_mul_f64 v[12:13], v[12:13], v[58:59]
	v_add_f64 v[14:15], v[14:15], 0
	v_fma_f64 v[10:11], v[10:11], v[52:53], -v[12:13]
	v_mul_f64 v[8:9], v[8:9], v[60:61]
	v_add_f64 v[10:11], v[14:15], v[10:11]
	v_fma_f64 v[6:7], v[6:7], v[54:55], -v[8:9]
	;; [unrolled: 3-line block ×3, first 2 shown]
	v_add_f64 v[2:3], v[6:7], v[2:3]
	s_waitcnt vmcnt(0) lgkmcnt(0)
	v_mul_f64 v[22:23], v[18:19], v[68:69]
	v_fmac_f64_e32 v[22:23], v[20:21], v[66:67]
	v_add_f64 v[0:1], v[0:1], v[22:23]
	ds_read_b128 v[22:25], v96 offset:1584
	buffer_load_dword v71, off, s[0:3], 0 offset:756
	buffer_load_dword v70, off, s[0:3], 0 offset:752
	buffer_load_dword v73, off, s[0:3], 0 offset:764
	buffer_load_dword v72, off, s[0:3], 0 offset:760
	v_mul_f64 v[4:5], v[20:21], v[68:69]
	v_fma_f64 v[4:5], v[18:19], v[66:67], -v[4:5]
	v_add_f64 v[2:3], v[2:3], v[4:5]
	s_waitcnt vmcnt(0) lgkmcnt(0)
	v_mul_f64 v[26:27], v[22:23], v[72:73]
	v_fmac_f64_e32 v[26:27], v[24:25], v[70:71]
	v_add_f64 v[0:1], v[0:1], v[26:27]
	ds_read_b128 v[26:29], v96 offset:1600
	buffer_load_dword v75, off, s[0:3], 0 offset:772
	buffer_load_dword v74, off, s[0:3], 0 offset:768
	buffer_load_dword v77, off, s[0:3], 0 offset:780
	buffer_load_dword v76, off, s[0:3], 0 offset:776
	v_mul_f64 v[4:5], v[24:25], v[72:73]
	v_fma_f64 v[4:5], v[22:23], v[70:71], -v[4:5]
	;; [unrolled: 12-line block ×7, first 2 shown]
	v_add_f64 v[2:3], v[2:3], v[4:5]
	s_waitcnt vmcnt(0) lgkmcnt(0)
	v_mul_f64 v[4:5], v[96:97], v[100:101]
	v_mul_f64 v[102:103], v[94:95], v[100:101]
	v_fma_f64 v[4:5], v[94:95], v[98:99], -v[4:5]
	v_fmac_f64_e32 v[102:103], v[96:97], v[98:99]
	v_add_f64 v[2:3], v[2:3], v[4:5]
	v_add_f64 v[0:1], v[0:1], v[102:103]
	v_add_f64 v[2:3], v[48:49], -v[2:3]
	v_add_f64 v[0:1], v[46:47], -v[0:1]
	buffer_store_dword v3, off, s[0:3], 0 offset:660
	buffer_store_dword v2, off, s[0:3], 0 offset:656
	;; [unrolled: 1-line block ×4, first 2 shown]
	s_and_saveexec_b64 s[4:5], vcc
	s_cbranch_execz .LBB52_253
; %bb.252:
	v_accvgpr_read_b32 v0, a119
	buffer_load_dword v2, v0, s[0:3], 0 offen
	buffer_load_dword v3, v0, s[0:3], 0 offen offset:4
	buffer_load_dword v4, v0, s[0:3], 0 offen offset:8
	;; [unrolled: 1-line block ×3, first 2 shown]
	v_mov_b32_e32 v0, 0
	v_accvgpr_read_b32 v1, a159
	buffer_store_dword v0, off, s[0:3], 0 offset:640
	buffer_store_dword v0, off, s[0:3], 0 offset:644
	;; [unrolled: 1-line block ×4, first 2 shown]
	s_waitcnt vmcnt(4)
	ds_write_b128 v1, v[2:5]
.LBB52_253:
	s_or_b64 exec, exec, s[4:5]
	s_waitcnt lgkmcnt(0)
	; wave barrier
	s_waitcnt lgkmcnt(0)
	buffer_load_dword v2, off, s[0:3], 0 offset:656
	buffer_load_dword v3, off, s[0:3], 0 offset:660
	;; [unrolled: 1-line block ×56, first 2 shown]
	v_mov_b32_e32 v30, 0
	ds_read_b128 v[32:35], v30 offset:1488
	ds_read_b128 v[36:39], v30 offset:1504
	;; [unrolled: 1-line block ×9, first 2 shown]
	v_cmp_lt_u32_e32 vcc, 38, v255
	s_waitcnt vmcnt(52) lgkmcnt(8)
	v_mul_f64 v[64:65], v[32:33], v[6:7]
	v_fmac_f64_e32 v[64:65], v[34:35], v[2:3]
	v_add_f64 v[64:65], v[64:65], 0
	v_mul_f64 v[6:7], v[34:35], v[6:7]
	s_waitcnt vmcnt(48) lgkmcnt(7)
	v_mul_f64 v[66:67], v[36:37], v[8:9]
	v_fmac_f64_e32 v[66:67], v[38:39], v[4:5]
	s_waitcnt vmcnt(46) lgkmcnt(6)
	v_mul_f64 v[68:69], v[40:41], v[10:11]
	v_add_f64 v[64:65], v[64:65], v[66:67]
	s_waitcnt vmcnt(44) lgkmcnt(5)
	v_mul_f64 v[70:71], v[44:45], v[12:13]
	v_fma_f64 v[2:3], v[32:33], v[2:3], -v[6:7]
	v_mul_f64 v[6:7], v[38:39], v[8:9]
	v_add_f64 v[2:3], v[2:3], 0
	v_fma_f64 v[4:5], v[36:37], v[4:5], -v[6:7]
	s_waitcnt vmcnt(39) lgkmcnt(3)
	v_mul_f64 v[74:75], v[52:53], v[18:19]
	v_add_f64 v[2:3], v[2:3], v[4:5]
	s_waitcnt vmcnt(37)
	v_mul_f64 v[72:73], v[48:49], v[20:21]
	v_mul_f64 v[4:5], v[42:43], v[10:11]
	s_waitcnt vmcnt(35)
	v_fmac_f64_e32 v[72:73], v[50:51], v[22:23]
	s_waitcnt lgkmcnt(2)
	v_mul_f64 v[76:77], v[56:57], v[14:15]
	s_waitcnt vmcnt(33)
	v_fmac_f64_e32 v[68:69], v[42:43], v[28:29]
	v_add_f64 v[64:65], v[64:65], v[68:69]
	s_waitcnt vmcnt(31)
	v_fmac_f64_e32 v[70:71], v[46:47], v[26:27]
	v_add_f64 v[64:65], v[64:65], v[70:71]
	s_waitcnt vmcnt(29)
	v_fmac_f64_e32 v[74:75], v[54:55], v[24:25]
	v_add_f64 v[64:65], v[64:65], v[72:73]
	v_fma_f64 v[4:5], v[40:41], v[28:29], -v[4:5]
	s_waitcnt vmcnt(28)
	v_fmac_f64_e32 v[76:77], v[58:59], v[16:17]
	v_add_f64 v[64:65], v[64:65], v[74:75]
	v_add_f64 v[2:3], v[2:3], v[4:5]
	v_mul_f64 v[4:5], v[46:47], v[12:13]
	v_add_f64 v[68:69], v[64:65], v[76:77]
	ds_read_b128 v[64:67], v30 offset:1616
	s_waitcnt vmcnt(24) lgkmcnt(2)
	v_mul_f64 v[70:71], v[60:61], v[86:87]
	v_fma_f64 v[4:5], v[44:45], v[26:27], -v[4:5]
	s_waitcnt vmcnt(22)
	v_fmac_f64_e32 v[70:71], v[62:63], v[88:89]
	v_add_f64 v[2:3], v[2:3], v[4:5]
	v_mul_f64 v[4:5], v[50:51], v[20:21]
	v_add_f64 v[72:73], v[68:69], v[70:71]
	ds_read_b128 v[68:71], v30 offset:1632
	v_fma_f64 v[4:5], v[48:49], v[22:23], -v[4:5]
	v_add_f64 v[2:3], v[2:3], v[4:5]
	v_mul_f64 v[4:5], v[54:55], v[18:19]
	v_fma_f64 v[4:5], v[52:53], v[24:25], -v[4:5]
	s_waitcnt vmcnt(21) lgkmcnt(1)
	v_mul_f64 v[74:75], v[64:65], v[0:1]
	v_add_f64 v[2:3], v[2:3], v[4:5]
	v_mul_f64 v[4:5], v[58:59], v[14:15]
	s_waitcnt vmcnt(20)
	v_fmac_f64_e32 v[74:75], v[66:67], v[84:85]
	v_fma_f64 v[4:5], v[56:57], v[16:17], -v[4:5]
	v_add_f64 v[76:77], v[72:73], v[74:75]
	ds_read_b128 v[72:75], v30 offset:1648
	s_waitcnt vmcnt(16) lgkmcnt(1)
	v_mul_f64 v[78:79], v[68:69], v[94:95]
	v_add_f64 v[2:3], v[2:3], v[4:5]
	v_mul_f64 v[4:5], v[62:63], v[86:87]
	s_waitcnt vmcnt(14)
	v_fmac_f64_e32 v[78:79], v[70:71], v[96:97]
	v_fma_f64 v[4:5], v[60:61], v[88:89], -v[4:5]
	v_mul_f64 v[0:1], v[66:67], v[0:1]
	v_add_f64 v[110:111], v[76:77], v[78:79]
	ds_read_b128 v[76:79], v30 offset:1664
	v_add_f64 v[2:3], v[2:3], v[4:5]
	v_fma_f64 v[0:1], v[64:65], v[84:85], -v[0:1]
	v_add_f64 v[0:1], v[2:3], v[0:1]
	v_mul_f64 v[2:3], v[70:71], v[94:95]
	v_fma_f64 v[2:3], v[68:69], v[96:97], -v[2:3]
	v_add_f64 v[0:1], v[0:1], v[2:3]
	s_waitcnt vmcnt(13) lgkmcnt(1)
	v_mul_f64 v[2:3], v[74:75], v[90:91]
	v_mul_f64 v[112:113], v[72:73], v[90:91]
	s_waitcnt vmcnt(12)
	v_fma_f64 v[2:3], v[72:73], v[92:93], -v[2:3]
	v_fmac_f64_e32 v[112:113], v[74:75], v[92:93]
	v_add_f64 v[0:1], v[0:1], v[2:3]
	s_waitcnt vmcnt(8) lgkmcnt(0)
	v_mul_f64 v[2:3], v[78:79], v[102:103]
	v_add_f64 v[110:111], v[110:111], v[112:113]
	v_mul_f64 v[112:113], v[76:77], v[102:103]
	s_waitcnt vmcnt(6)
	v_fma_f64 v[2:3], v[76:77], v[104:105], -v[2:3]
	v_fmac_f64_e32 v[112:113], v[78:79], v[104:105]
	v_add_f64 v[0:1], v[0:1], v[2:3]
	s_waitcnt vmcnt(5)
	v_mul_f64 v[2:3], v[82:83], v[98:99]
	v_add_f64 v[110:111], v[110:111], v[112:113]
	v_mul_f64 v[112:113], v[80:81], v[98:99]
	s_waitcnt vmcnt(4)
	v_fma_f64 v[2:3], v[80:81], v[100:101], -v[2:3]
	v_fmac_f64_e32 v[112:113], v[82:83], v[100:101]
	v_add_f64 v[0:1], v[0:1], v[2:3]
	v_add_f64 v[110:111], v[110:111], v[112:113]
	s_waitcnt vmcnt(2)
	v_add_f64 v[0:1], v[106:107], -v[0:1]
	s_waitcnt vmcnt(0)
	v_add_f64 v[2:3], v[108:109], -v[110:111]
	buffer_store_dword v1, off, s[0:3], 0 offset:644
	buffer_store_dword v0, off, s[0:3], 0 offset:640
	;; [unrolled: 1-line block ×4, first 2 shown]
	s_and_saveexec_b64 s[4:5], vcc
	s_cbranch_execz .LBB52_255
; %bb.254:
	v_accvgpr_read_b32 v0, a120
	buffer_load_dword v2, v0, s[0:3], 0 offen
	buffer_load_dword v3, v0, s[0:3], 0 offen offset:4
	buffer_load_dword v4, v0, s[0:3], 0 offen offset:8
	;; [unrolled: 1-line block ×3, first 2 shown]
	v_accvgpr_read_b32 v0, a159
	buffer_store_dword v30, off, s[0:3], 0 offset:624
	buffer_store_dword v30, off, s[0:3], 0 offset:628
	;; [unrolled: 1-line block ×4, first 2 shown]
	s_waitcnt vmcnt(4)
	ds_write_b128 v0, v[2:5]
.LBB52_255:
	s_or_b64 exec, exec, s[4:5]
	s_waitcnt lgkmcnt(0)
	; wave barrier
	s_waitcnt lgkmcnt(0)
	buffer_load_dword v2, off, s[0:3], 0 offset:640
	buffer_load_dword v3, off, s[0:3], 0 offset:644
	;; [unrolled: 1-line block ×60, first 2 shown]
	ds_read_b128 v[32:35], v30 offset:1472
	ds_read_b128 v[36:39], v30 offset:1488
	;; [unrolled: 1-line block ×8, first 2 shown]
	v_cmp_lt_u32_e32 vcc, 37, v255
	ds_read_b128 v[84:87], v30 offset:1680
	s_waitcnt vmcnt(56) lgkmcnt(8)
	v_mul_f64 v[64:65], v[32:33], v[6:7]
	v_fmac_f64_e32 v[64:65], v[34:35], v[2:3]
	v_add_f64 v[64:65], v[64:65], 0
	v_mul_f64 v[6:7], v[34:35], v[6:7]
	s_waitcnt vmcnt(52) lgkmcnt(7)
	v_mul_f64 v[66:67], v[36:37], v[8:9]
	v_fmac_f64_e32 v[66:67], v[38:39], v[4:5]
	s_waitcnt vmcnt(50) lgkmcnt(6)
	v_mul_f64 v[68:69], v[40:41], v[10:11]
	v_add_f64 v[64:65], v[64:65], v[66:67]
	s_waitcnt vmcnt(48) lgkmcnt(4)
	v_mul_f64 v[72:73], v[48:49], v[12:13]
	v_fma_f64 v[2:3], v[32:33], v[2:3], -v[6:7]
	s_waitcnt vmcnt(46)
	v_fmac_f64_e32 v[72:73], v[50:51], v[14:15]
	v_mul_f64 v[6:7], v[38:39], v[8:9]
	s_waitcnt vmcnt(44)
	v_mul_f64 v[70:71], v[44:45], v[16:17]
	v_add_f64 v[2:3], v[2:3], 0
	v_fma_f64 v[4:5], v[36:37], v[4:5], -v[6:7]
	v_add_f64 v[2:3], v[2:3], v[4:5]
	s_waitcnt vmcnt(40) lgkmcnt(3)
	v_mul_f64 v[74:75], v[52:53], v[22:23]
	v_mul_f64 v[4:5], v[42:43], v[10:11]
	s_waitcnt vmcnt(38)
	v_fmac_f64_e32 v[68:69], v[42:43], v[28:29]
	v_add_f64 v[64:65], v[64:65], v[68:69]
	s_waitcnt vmcnt(36)
	v_fmac_f64_e32 v[70:71], v[46:47], v[26:27]
	v_add_f64 v[64:65], v[64:65], v[70:71]
	;; [unrolled: 3-line block ×3, first 2 shown]
	s_waitcnt vmcnt(33) lgkmcnt(2)
	v_mul_f64 v[66:67], v[56:57], v[18:19]
	v_add_f64 v[64:65], v[64:65], v[74:75]
	s_waitcnt vmcnt(32)
	v_fmac_f64_e32 v[66:67], v[58:59], v[20:21]
	v_add_f64 v[68:69], v[64:65], v[66:67]
	ds_read_b128 v[64:67], v30 offset:1600
	v_fma_f64 v[4:5], v[40:41], v[28:29], -v[4:5]
	v_add_f64 v[2:3], v[2:3], v[4:5]
	v_mul_f64 v[4:5], v[46:47], v[16:17]
	s_waitcnt vmcnt(28) lgkmcnt(2)
	v_mul_f64 v[70:71], v[60:61], v[90:91]
	v_fma_f64 v[4:5], v[44:45], v[26:27], -v[4:5]
	s_waitcnt vmcnt(26)
	v_fmac_f64_e32 v[70:71], v[62:63], v[92:93]
	v_add_f64 v[2:3], v[2:3], v[4:5]
	v_mul_f64 v[4:5], v[50:51], v[12:13]
	v_add_f64 v[72:73], v[68:69], v[70:71]
	ds_read_b128 v[68:71], v30 offset:1616
	s_waitcnt vmcnt(25) lgkmcnt(1)
	v_mul_f64 v[74:75], v[64:65], v[0:1]
	v_fma_f64 v[4:5], v[48:49], v[14:15], -v[4:5]
	s_waitcnt vmcnt(24)
	v_fmac_f64_e32 v[74:75], v[66:67], v[88:89]
	v_add_f64 v[2:3], v[2:3], v[4:5]
	v_mul_f64 v[4:5], v[54:55], v[22:23]
	v_add_f64 v[76:77], v[72:73], v[74:75]
	ds_read_b128 v[72:75], v30 offset:1632
	v_fma_f64 v[4:5], v[52:53], v[24:25], -v[4:5]
	v_add_f64 v[2:3], v[2:3], v[4:5]
	v_mul_f64 v[4:5], v[58:59], v[18:19]
	v_fma_f64 v[4:5], v[56:57], v[20:21], -v[4:5]
	s_waitcnt vmcnt(20) lgkmcnt(1)
	v_mul_f64 v[78:79], v[68:69], v[98:99]
	v_add_f64 v[2:3], v[2:3], v[4:5]
	v_mul_f64 v[4:5], v[62:63], v[90:91]
	s_waitcnt vmcnt(18)
	v_fmac_f64_e32 v[78:79], v[70:71], v[100:101]
	v_fma_f64 v[4:5], v[60:61], v[92:93], -v[4:5]
	v_mul_f64 v[0:1], v[66:67], v[0:1]
	v_add_f64 v[80:81], v[76:77], v[78:79]
	ds_read_b128 v[76:79], v30 offset:1648
	s_waitcnt vmcnt(17) lgkmcnt(1)
	v_mul_f64 v[82:83], v[72:73], v[94:95]
	v_add_f64 v[2:3], v[2:3], v[4:5]
	v_fma_f64 v[0:1], v[64:65], v[88:89], -v[0:1]
	s_waitcnt vmcnt(16)
	v_fmac_f64_e32 v[82:83], v[74:75], v[96:97]
	v_add_f64 v[0:1], v[2:3], v[0:1]
	v_mul_f64 v[2:3], v[70:71], v[98:99]
	v_add_f64 v[118:119], v[80:81], v[82:83]
	ds_read_b128 v[80:83], v30 offset:1664
	v_fma_f64 v[2:3], v[68:69], v[100:101], -v[2:3]
	v_add_f64 v[0:1], v[0:1], v[2:3]
	v_mul_f64 v[2:3], v[74:75], v[94:95]
	v_fma_f64 v[2:3], v[72:73], v[96:97], -v[2:3]
	v_add_f64 v[0:1], v[0:1], v[2:3]
	s_waitcnt vmcnt(12) lgkmcnt(1)
	v_mul_f64 v[2:3], v[78:79], v[106:107]
	v_mul_f64 v[120:121], v[76:77], v[106:107]
	s_waitcnt vmcnt(10)
	v_fma_f64 v[2:3], v[76:77], v[108:109], -v[2:3]
	v_fmac_f64_e32 v[120:121], v[78:79], v[108:109]
	v_add_f64 v[0:1], v[0:1], v[2:3]
	s_waitcnt vmcnt(9) lgkmcnt(0)
	v_mul_f64 v[2:3], v[82:83], v[102:103]
	v_add_f64 v[30:31], v[118:119], v[120:121]
	v_mul_f64 v[118:119], v[80:81], v[102:103]
	s_waitcnt vmcnt(8)
	v_fma_f64 v[2:3], v[80:81], v[104:105], -v[2:3]
	v_fmac_f64_e32 v[118:119], v[82:83], v[104:105]
	v_add_f64 v[0:1], v[0:1], v[2:3]
	s_waitcnt vmcnt(6)
	v_mul_f64 v[2:3], v[86:87], v[110:111]
	v_add_f64 v[30:31], v[30:31], v[118:119]
	v_mul_f64 v[118:119], v[84:85], v[110:111]
	s_waitcnt vmcnt(4)
	v_fma_f64 v[2:3], v[84:85], v[112:113], -v[2:3]
	v_fmac_f64_e32 v[118:119], v[86:87], v[112:113]
	v_add_f64 v[0:1], v[0:1], v[2:3]
	v_add_f64 v[30:31], v[30:31], v[118:119]
	s_waitcnt vmcnt(2)
	v_add_f64 v[0:1], v[114:115], -v[0:1]
	s_waitcnt vmcnt(0)
	v_add_f64 v[2:3], v[116:117], -v[30:31]
	buffer_store_dword v1, off, s[0:3], 0 offset:628
	buffer_store_dword v0, off, s[0:3], 0 offset:624
	;; [unrolled: 1-line block ×4, first 2 shown]
	s_and_saveexec_b64 s[4:5], vcc
	s_cbranch_execz .LBB52_257
; %bb.256:
	v_accvgpr_read_b32 v0, a121
	buffer_load_dword v2, v0, s[0:3], 0 offen
	buffer_load_dword v3, v0, s[0:3], 0 offen offset:4
	buffer_load_dword v4, v0, s[0:3], 0 offen offset:8
	;; [unrolled: 1-line block ×3, first 2 shown]
	v_mov_b32_e32 v0, 0
	v_accvgpr_read_b32 v1, a159
	buffer_store_dword v0, off, s[0:3], 0 offset:608
	buffer_store_dword v0, off, s[0:3], 0 offset:612
	;; [unrolled: 1-line block ×4, first 2 shown]
	s_waitcnt vmcnt(4)
	ds_write_b128 v1, v[2:5]
.LBB52_257:
	s_or_b64 exec, exec, s[4:5]
	s_waitcnt lgkmcnt(0)
	; wave barrier
	s_waitcnt lgkmcnt(0)
	buffer_load_dword v2, off, s[0:3], 0 offset:624
	buffer_load_dword v3, off, s[0:3], 0 offset:628
	;; [unrolled: 1-line block ×64, first 2 shown]
	v_mov_b32_e32 v46, 0
	ds_read_b128 v[38:41], v46 offset:1456
	ds_read_b128 v[42:45], v46 offset:1472
	;; [unrolled: 1-line block ×7, first 2 shown]
	v_cmp_lt_u32_e32 vcc, 36, v255
	s_waitcnt vmcnt(60) lgkmcnt(6)
	v_mul_f64 v[64:65], v[38:39], v[4:5]
	v_fmac_f64_e32 v[64:65], v[40:41], v[2:3]
	s_waitcnt vmcnt(58) lgkmcnt(5)
	v_mul_f64 v[66:67], v[42:43], v[6:7]
	v_add_f64 v[64:65], v[64:65], 0
	s_waitcnt vmcnt(56) lgkmcnt(4)
	v_mul_f64 v[68:69], v[48:49], v[8:9]
	v_mul_f64 v[4:5], v[40:41], v[4:5]
	s_waitcnt vmcnt(54) lgkmcnt(2)
	v_mul_f64 v[72:73], v[56:57], v[10:11]
	v_fma_f64 v[2:3], v[38:39], v[2:3], -v[4:5]
	v_mul_f64 v[4:5], v[44:45], v[6:7]
	s_waitcnt vmcnt(51)
	v_mul_f64 v[70:71], v[52:53], v[14:15]
	v_add_f64 v[2:3], v[2:3], 0
	s_waitcnt vmcnt(49)
	v_fmac_f64_e32 v[66:67], v[44:45], v[20:21]
	v_add_f64 v[64:65], v[64:65], v[66:67]
	s_waitcnt vmcnt(47)
	v_fmac_f64_e32 v[68:69], v[50:51], v[18:19]
	;; [unrolled: 3-line block ×4, first 2 shown]
	v_add_f64 v[68:69], v[64:65], v[72:73]
	ds_read_b128 v[64:67], v46 offset:1552
	s_waitcnt vmcnt(40) lgkmcnt(2)
	v_mul_f64 v[70:71], v[60:61], v[26:27]
	v_fma_f64 v[4:5], v[42:43], v[20:21], -v[4:5]
	s_waitcnt vmcnt(38)
	v_fmac_f64_e32 v[70:71], v[62:63], v[28:29]
	v_add_f64 v[72:73], v[68:69], v[70:71]
	ds_read_b128 v[68:71], v46 offset:1568
	s_waitcnt vmcnt(37) lgkmcnt(1)
	v_mul_f64 v[74:75], v[64:65], v[22:23]
	s_waitcnt vmcnt(36)
	v_fmac_f64_e32 v[74:75], v[66:67], v[24:25]
	v_add_f64 v[76:77], v[72:73], v[74:75]
	ds_read_b128 v[72:75], v46 offset:1584
	s_waitcnt vmcnt(32) lgkmcnt(1)
	v_mul_f64 v[78:79], v[68:69], v[34:35]
	v_add_f64 v[2:3], v[2:3], v[4:5]
	v_mul_f64 v[4:5], v[50:51], v[8:9]
	s_waitcnt vmcnt(30)
	v_fmac_f64_e32 v[78:79], v[70:71], v[36:37]
	v_fma_f64 v[4:5], v[48:49], v[18:19], -v[4:5]
	v_add_f64 v[80:81], v[76:77], v[78:79]
	ds_read_b128 v[76:79], v46 offset:1600
	v_add_f64 v[2:3], v[2:3], v[4:5]
	v_mul_f64 v[4:5], v[54:55], v[14:15]
	v_fma_f64 v[4:5], v[52:53], v[16:17], -v[4:5]
	v_add_f64 v[2:3], v[2:3], v[4:5]
	v_mul_f64 v[4:5], v[58:59], v[10:11]
	s_waitcnt vmcnt(29) lgkmcnt(1)
	v_mul_f64 v[82:83], v[72:73], v[30:31]
	v_fma_f64 v[4:5], v[56:57], v[12:13], -v[4:5]
	s_waitcnt vmcnt(28)
	v_fmac_f64_e32 v[82:83], v[74:75], v[32:33]
	v_add_f64 v[2:3], v[2:3], v[4:5]
	v_mul_f64 v[4:5], v[62:63], v[26:27]
	v_add_f64 v[84:85], v[80:81], v[82:83]
	ds_read_b128 v[80:83], v46 offset:1616
	s_waitcnt vmcnt(24) lgkmcnt(1)
	v_mul_f64 v[86:87], v[76:77], v[102:103]
	v_fma_f64 v[4:5], v[60:61], v[28:29], -v[4:5]
	s_waitcnt vmcnt(22)
	v_fmac_f64_e32 v[86:87], v[78:79], v[104:105]
	v_add_f64 v[2:3], v[2:3], v[4:5]
	v_mul_f64 v[4:5], v[66:67], v[22:23]
	v_add_f64 v[88:89], v[84:85], v[86:87]
	ds_read_b128 v[84:87], v46 offset:1632
	v_fma_f64 v[4:5], v[64:65], v[24:25], -v[4:5]
	v_add_f64 v[2:3], v[2:3], v[4:5]
	v_mul_f64 v[4:5], v[70:71], v[34:35]
	v_fma_f64 v[4:5], v[68:69], v[36:37], -v[4:5]
	s_waitcnt vmcnt(21) lgkmcnt(1)
	v_mul_f64 v[90:91], v[80:81], v[0:1]
	v_add_f64 v[2:3], v[2:3], v[4:5]
	v_mul_f64 v[4:5], v[74:75], v[30:31]
	s_waitcnt vmcnt(20)
	v_fmac_f64_e32 v[90:91], v[82:83], v[100:101]
	v_fma_f64 v[4:5], v[72:73], v[32:33], -v[4:5]
	v_add_f64 v[92:93], v[88:89], v[90:91]
	ds_read_b128 v[88:91], v46 offset:1648
	s_waitcnt vmcnt(16) lgkmcnt(1)
	v_mul_f64 v[94:95], v[84:85], v[110:111]
	v_add_f64 v[2:3], v[2:3], v[4:5]
	v_mul_f64 v[4:5], v[78:79], v[102:103]
	s_waitcnt vmcnt(14)
	v_fmac_f64_e32 v[94:95], v[86:87], v[112:113]
	v_fma_f64 v[4:5], v[76:77], v[104:105], -v[4:5]
	v_mul_f64 v[0:1], v[82:83], v[0:1]
	v_add_f64 v[126:127], v[92:93], v[94:95]
	ds_read_b128 v[92:95], v46 offset:1664
	v_add_f64 v[2:3], v[2:3], v[4:5]
	v_fma_f64 v[0:1], v[80:81], v[100:101], -v[0:1]
	v_add_f64 v[0:1], v[2:3], v[0:1]
	v_mul_f64 v[2:3], v[86:87], v[110:111]
	v_fma_f64 v[2:3], v[84:85], v[112:113], -v[2:3]
	v_add_f64 v[0:1], v[0:1], v[2:3]
	s_waitcnt vmcnt(13) lgkmcnt(1)
	v_mul_f64 v[2:3], v[90:91], v[106:107]
	v_mul_f64 v[128:129], v[88:89], v[106:107]
	s_waitcnt vmcnt(12)
	v_fma_f64 v[2:3], v[88:89], v[108:109], -v[2:3]
	v_fmac_f64_e32 v[128:129], v[90:91], v[108:109]
	v_add_f64 v[0:1], v[0:1], v[2:3]
	s_waitcnt vmcnt(8) lgkmcnt(0)
	v_mul_f64 v[2:3], v[94:95], v[118:119]
	v_add_f64 v[126:127], v[126:127], v[128:129]
	v_mul_f64 v[128:129], v[92:93], v[118:119]
	s_waitcnt vmcnt(6)
	v_fma_f64 v[2:3], v[92:93], v[120:121], -v[2:3]
	v_fmac_f64_e32 v[128:129], v[94:95], v[120:121]
	v_add_f64 v[0:1], v[0:1], v[2:3]
	s_waitcnt vmcnt(5)
	v_mul_f64 v[2:3], v[98:99], v[114:115]
	v_add_f64 v[126:127], v[126:127], v[128:129]
	v_mul_f64 v[128:129], v[96:97], v[114:115]
	s_waitcnt vmcnt(4)
	v_fma_f64 v[2:3], v[96:97], v[116:117], -v[2:3]
	v_fmac_f64_e32 v[128:129], v[98:99], v[116:117]
	v_add_f64 v[0:1], v[0:1], v[2:3]
	v_add_f64 v[126:127], v[126:127], v[128:129]
	s_waitcnt vmcnt(2)
	v_add_f64 v[0:1], v[122:123], -v[0:1]
	s_waitcnt vmcnt(0)
	v_add_f64 v[2:3], v[124:125], -v[126:127]
	buffer_store_dword v1, off, s[0:3], 0 offset:612
	buffer_store_dword v0, off, s[0:3], 0 offset:608
	;; [unrolled: 1-line block ×4, first 2 shown]
	s_and_saveexec_b64 s[4:5], vcc
	s_cbranch_execz .LBB52_259
; %bb.258:
	v_accvgpr_read_b32 v0, a122
	buffer_load_dword v2, v0, s[0:3], 0 offen
	buffer_load_dword v3, v0, s[0:3], 0 offen offset:4
	buffer_load_dword v4, v0, s[0:3], 0 offen offset:8
	;; [unrolled: 1-line block ×3, first 2 shown]
	v_accvgpr_read_b32 v0, a159
	buffer_store_dword v46, off, s[0:3], 0 offset:592
	buffer_store_dword v46, off, s[0:3], 0 offset:596
	;; [unrolled: 1-line block ×4, first 2 shown]
	s_waitcnt vmcnt(4)
	ds_write_b128 v0, v[2:5]
.LBB52_259:
	s_or_b64 exec, exec, s[4:5]
	s_waitcnt lgkmcnt(0)
	; wave barrier
	s_waitcnt lgkmcnt(0)
	buffer_load_dword v2, off, s[0:3], 0 offset:608
	buffer_load_dword v3, off, s[0:3], 0 offset:612
	;; [unrolled: 1-line block ×64, first 2 shown]
	ds_read_b128 v[48:51], v46 offset:1440
	ds_read_b128 v[52:55], v46 offset:1456
	;; [unrolled: 1-line block ×4, first 2 shown]
	buffer_load_dword v130, off, s[0:3], 0 offset:592
	buffer_load_dword v131, off, s[0:3], 0 offset:596
	;; [unrolled: 1-line block ×4, first 2 shown]
	v_cmp_lt_u32_e32 vcc, 35, v255
	ds_read_b128 v[108:111], v46 offset:1680
	s_waitcnt vmcnt(62) lgkmcnt(4)
	v_mul_f64 v[64:65], v[48:49], v[4:5]
	v_fmac_f64_e32 v[64:65], v[50:51], v[2:3]
	v_add_f64 v[64:65], v[64:65], 0
	s_waitcnt lgkmcnt(2)
	v_mul_f64 v[68:69], v[56:57], v[6:7]
	v_mul_f64 v[4:5], v[50:51], v[4:5]
	v_fma_f64 v[2:3], v[48:49], v[2:3], -v[4:5]
	s_waitcnt vmcnt(58) lgkmcnt(1)
	v_mul_f64 v[70:71], v[60:61], v[12:13]
	v_add_f64 v[2:3], v[2:3], 0
	s_waitcnt vmcnt(56)
	v_mul_f64 v[66:67], v[52:53], v[18:19]
	v_mul_f64 v[4:5], v[54:55], v[18:19]
	s_waitcnt vmcnt(53)
	v_fmac_f64_e32 v[68:69], v[58:59], v[16:17]
	s_waitcnt vmcnt(52)
	v_fmac_f64_e32 v[66:67], v[54:55], v[20:21]
	v_add_f64 v[72:73], v[64:65], v[66:67]
	ds_read_b128 v[64:67], v46 offset:1504
	v_add_f64 v[68:69], v[72:73], v[68:69]
	s_waitcnt vmcnt(50)
	v_fmac_f64_e32 v[70:71], v[62:63], v[14:15]
	v_add_f64 v[72:73], v[68:69], v[70:71]
	ds_read_b128 v[68:71], v46 offset:1520
	s_waitcnt vmcnt(49) lgkmcnt(1)
	v_mul_f64 v[74:75], v[64:65], v[8:9]
	s_waitcnt vmcnt(48)
	v_fmac_f64_e32 v[74:75], v[66:67], v[10:11]
	v_add_f64 v[76:77], v[72:73], v[74:75]
	ds_read_b128 v[72:75], v46 offset:1536
	s_waitcnt vmcnt(44) lgkmcnt(1)
	v_mul_f64 v[78:79], v[68:69], v[26:27]
	;; [unrolled: 6-line block ×3, first 2 shown]
	s_waitcnt vmcnt(40)
	v_fmac_f64_e32 v[82:83], v[74:75], v[24:25]
	v_add_f64 v[84:85], v[80:81], v[82:83]
	ds_read_b128 v[80:83], v46 offset:1568
	v_fma_f64 v[4:5], v[52:53], v[20:21], -v[4:5]
	s_waitcnt vmcnt(36) lgkmcnt(1)
	v_mul_f64 v[86:87], v[76:77], v[34:35]
	v_add_f64 v[2:3], v[2:3], v[4:5]
	v_mul_f64 v[4:5], v[58:59], v[6:7]
	s_waitcnt vmcnt(34)
	v_fmac_f64_e32 v[86:87], v[78:79], v[36:37]
	v_fma_f64 v[4:5], v[56:57], v[16:17], -v[4:5]
	v_add_f64 v[88:89], v[84:85], v[86:87]
	ds_read_b128 v[84:87], v46 offset:1584
	s_waitcnt vmcnt(33) lgkmcnt(1)
	v_mul_f64 v[90:91], v[80:81], v[30:31]
	v_add_f64 v[2:3], v[2:3], v[4:5]
	v_mul_f64 v[4:5], v[62:63], v[12:13]
	s_waitcnt vmcnt(32)
	v_fmac_f64_e32 v[90:91], v[82:83], v[32:33]
	v_fma_f64 v[4:5], v[60:61], v[14:15], -v[4:5]
	v_add_f64 v[92:93], v[88:89], v[90:91]
	ds_read_b128 v[88:91], v46 offset:1600
	v_add_f64 v[2:3], v[2:3], v[4:5]
	v_mul_f64 v[4:5], v[66:67], v[8:9]
	v_fma_f64 v[4:5], v[64:65], v[10:11], -v[4:5]
	v_add_f64 v[2:3], v[2:3], v[4:5]
	v_mul_f64 v[4:5], v[70:71], v[26:27]
	s_waitcnt vmcnt(28) lgkmcnt(1)
	v_mul_f64 v[94:95], v[84:85], v[42:43]
	v_fma_f64 v[4:5], v[68:69], v[28:29], -v[4:5]
	s_waitcnt vmcnt(26)
	v_fmac_f64_e32 v[94:95], v[86:87], v[44:45]
	v_add_f64 v[2:3], v[2:3], v[4:5]
	v_mul_f64 v[4:5], v[74:75], v[22:23]
	v_add_f64 v[96:97], v[92:93], v[94:95]
	ds_read_b128 v[92:95], v46 offset:1616
	s_waitcnt vmcnt(25) lgkmcnt(1)
	v_mul_f64 v[98:99], v[88:89], v[38:39]
	v_fma_f64 v[4:5], v[72:73], v[24:25], -v[4:5]
	s_waitcnt vmcnt(24)
	v_fmac_f64_e32 v[98:99], v[90:91], v[40:41]
	v_add_f64 v[2:3], v[2:3], v[4:5]
	v_mul_f64 v[4:5], v[78:79], v[34:35]
	v_add_f64 v[100:101], v[96:97], v[98:99]
	ds_read_b128 v[96:99], v46 offset:1632
	v_fma_f64 v[4:5], v[76:77], v[36:37], -v[4:5]
	v_add_f64 v[2:3], v[2:3], v[4:5]
	v_mul_f64 v[4:5], v[82:83], v[30:31]
	v_fma_f64 v[4:5], v[80:81], v[32:33], -v[4:5]
	s_waitcnt vmcnt(20) lgkmcnt(1)
	v_mul_f64 v[102:103], v[92:93], v[114:115]
	v_add_f64 v[2:3], v[2:3], v[4:5]
	v_mul_f64 v[4:5], v[86:87], v[42:43]
	s_waitcnt vmcnt(18)
	v_fmac_f64_e32 v[102:103], v[94:95], v[116:117]
	v_fma_f64 v[4:5], v[84:85], v[44:45], -v[4:5]
	v_add_f64 v[104:105], v[100:101], v[102:103]
	ds_read_b128 v[100:103], v46 offset:1648
	s_waitcnt vmcnt(17) lgkmcnt(1)
	v_mul_f64 v[106:107], v[96:97], v[0:1]
	v_add_f64 v[2:3], v[2:3], v[4:5]
	v_mul_f64 v[4:5], v[90:91], v[38:39]
	s_waitcnt vmcnt(16)
	v_fmac_f64_e32 v[106:107], v[98:99], v[112:113]
	v_fma_f64 v[4:5], v[88:89], v[40:41], -v[4:5]
	v_add_f64 v[134:135], v[104:105], v[106:107]
	ds_read_b128 v[104:107], v46 offset:1664
	v_add_f64 v[2:3], v[2:3], v[4:5]
	v_mul_f64 v[4:5], v[94:95], v[114:115]
	v_fma_f64 v[4:5], v[92:93], v[116:117], -v[4:5]
	v_mul_f64 v[0:1], v[98:99], v[0:1]
	v_add_f64 v[2:3], v[2:3], v[4:5]
	v_fma_f64 v[0:1], v[96:97], v[112:113], -v[0:1]
	v_add_f64 v[0:1], v[2:3], v[0:1]
	s_waitcnt vmcnt(12) lgkmcnt(1)
	v_mul_f64 v[2:3], v[102:103], v[122:123]
	v_mul_f64 v[136:137], v[100:101], v[122:123]
	s_waitcnt vmcnt(10)
	v_fma_f64 v[2:3], v[100:101], v[124:125], -v[2:3]
	v_fmac_f64_e32 v[136:137], v[102:103], v[124:125]
	v_add_f64 v[0:1], v[0:1], v[2:3]
	s_waitcnt vmcnt(9) lgkmcnt(0)
	v_mul_f64 v[2:3], v[106:107], v[118:119]
	v_add_f64 v[46:47], v[134:135], v[136:137]
	v_mul_f64 v[134:135], v[104:105], v[118:119]
	s_waitcnt vmcnt(8)
	v_fma_f64 v[2:3], v[104:105], v[120:121], -v[2:3]
	v_fmac_f64_e32 v[134:135], v[106:107], v[120:121]
	v_add_f64 v[0:1], v[0:1], v[2:3]
	s_waitcnt vmcnt(6)
	v_mul_f64 v[2:3], v[110:111], v[126:127]
	v_add_f64 v[46:47], v[46:47], v[134:135]
	v_mul_f64 v[134:135], v[108:109], v[126:127]
	s_waitcnt vmcnt(4)
	v_fma_f64 v[2:3], v[108:109], v[128:129], -v[2:3]
	v_fmac_f64_e32 v[134:135], v[110:111], v[128:129]
	v_add_f64 v[0:1], v[0:1], v[2:3]
	v_add_f64 v[46:47], v[46:47], v[134:135]
	s_waitcnt vmcnt(2)
	v_add_f64 v[0:1], v[130:131], -v[0:1]
	s_waitcnt vmcnt(0)
	v_add_f64 v[2:3], v[132:133], -v[46:47]
	buffer_store_dword v1, off, s[0:3], 0 offset:596
	buffer_store_dword v0, off, s[0:3], 0 offset:592
	;; [unrolled: 1-line block ×4, first 2 shown]
	s_and_saveexec_b64 s[4:5], vcc
	s_cbranch_execz .LBB52_261
; %bb.260:
	v_accvgpr_read_b32 v0, a123
	buffer_load_dword v2, v0, s[0:3], 0 offen
	buffer_load_dword v3, v0, s[0:3], 0 offen offset:4
	buffer_load_dword v4, v0, s[0:3], 0 offen offset:8
	;; [unrolled: 1-line block ×3, first 2 shown]
	v_mov_b32_e32 v0, 0
	v_accvgpr_read_b32 v1, a159
	buffer_store_dword v0, off, s[0:3], 0 offset:576
	buffer_store_dword v0, off, s[0:3], 0 offset:580
	;; [unrolled: 1-line block ×4, first 2 shown]
	s_waitcnt vmcnt(4)
	ds_write_b128 v1, v[2:5]
.LBB52_261:
	s_or_b64 exec, exec, s[4:5]
	s_waitcnt lgkmcnt(0)
	; wave barrier
	s_waitcnt lgkmcnt(0)
	buffer_load_dword v2, off, s[0:3], 0 offset:592
	buffer_load_dword v3, off, s[0:3], 0 offset:596
	;; [unrolled: 1-line block ×68, first 2 shown]
	v_mov_b32_e32 v52, 0
	buffer_load_dword v138, off, s[0:3], 0 offset:576
	buffer_load_dword v139, off, s[0:3], 0 offset:580
	;; [unrolled: 1-line block ×3, first 2 shown]
	ds_read_b128 v[46:49], v52 offset:1424
	ds_read_b128 v[54:57], v52 offset:1440
	buffer_load_dword v141, off, s[0:3], 0 offset:588
	ds_read_b128 v[58:61], v52 offset:1456
	ds_read_b128 v[62:65], v52 offset:1472
	;; [unrolled: 1-line block ×3, first 2 shown]
	v_cmp_lt_u32_e32 vcc, 34, v255
	s_waitcnt vmcnt(62) lgkmcnt(4)
	v_mul_f64 v[66:67], v[46:47], v[6:7]
	v_fmac_f64_e32 v[66:67], v[48:49], v[2:3]
	v_add_f64 v[66:67], v[66:67], 0
	v_mul_f64 v[6:7], v[48:49], v[6:7]
	s_waitcnt lgkmcnt(3)
	v_mul_f64 v[68:69], v[54:55], v[10:11]
	v_fmac_f64_e32 v[68:69], v[56:57], v[4:5]
	v_add_f64 v[66:67], v[66:67], v[68:69]
	v_fma_f64 v[2:3], v[46:47], v[2:3], -v[6:7]
	s_waitcnt vmcnt(60) lgkmcnt(2)
	v_mul_f64 v[68:69], v[58:59], v[12:13]
	v_fmac_f64_e32 v[68:69], v[60:61], v[8:9]
	v_add_f64 v[70:71], v[66:67], v[68:69]
	ds_read_b128 v[66:69], v52 offset:1488
	s_waitcnt vmcnt(56) lgkmcnt(2)
	v_mul_f64 v[72:73], v[62:63], v[18:19]
	v_mul_f64 v[6:7], v[56:57], v[10:11]
	s_waitcnt vmcnt(54)
	v_fmac_f64_e32 v[72:73], v[64:65], v[20:21]
	v_add_f64 v[74:75], v[70:71], v[72:73]
	ds_read_b128 v[70:73], v52 offset:1504
	s_waitcnt vmcnt(53) lgkmcnt(1)
	v_mul_f64 v[76:77], v[66:67], v[14:15]
	s_waitcnt vmcnt(52)
	v_fmac_f64_e32 v[76:77], v[68:69], v[16:17]
	v_add_f64 v[78:79], v[74:75], v[76:77]
	ds_read_b128 v[74:77], v52 offset:1520
	s_waitcnt vmcnt(48) lgkmcnt(1)
	;; [unrolled: 6-line block ×4, first 2 shown]
	v_mul_f64 v[88:89], v[78:79], v[34:35]
	s_waitcnt vmcnt(38)
	v_fmac_f64_e32 v[88:89], v[80:81], v[36:37]
	v_add_f64 v[90:91], v[86:87], v[88:89]
	ds_read_b128 v[86:89], v52 offset:1568
	v_add_f64 v[2:3], v[2:3], 0
	v_fma_f64 v[4:5], v[54:55], v[4:5], -v[6:7]
	v_add_f64 v[2:3], v[2:3], v[4:5]
	v_mul_f64 v[4:5], v[60:61], v[12:13]
	v_fma_f64 v[4:5], v[58:59], v[8:9], -v[4:5]
	s_waitcnt vmcnt(37) lgkmcnt(1)
	v_mul_f64 v[92:93], v[82:83], v[30:31]
	v_add_f64 v[2:3], v[2:3], v[4:5]
	v_mul_f64 v[4:5], v[64:65], v[18:19]
	s_waitcnt vmcnt(36)
	v_fmac_f64_e32 v[92:93], v[84:85], v[32:33]
	v_fma_f64 v[4:5], v[62:63], v[20:21], -v[4:5]
	v_add_f64 v[94:95], v[90:91], v[92:93]
	ds_read_b128 v[90:93], v52 offset:1584
	s_waitcnt vmcnt(32) lgkmcnt(1)
	v_mul_f64 v[96:97], v[86:87], v[42:43]
	v_add_f64 v[2:3], v[2:3], v[4:5]
	v_mul_f64 v[4:5], v[68:69], v[14:15]
	s_waitcnt vmcnt(30)
	v_fmac_f64_e32 v[96:97], v[88:89], v[44:45]
	v_fma_f64 v[4:5], v[66:67], v[16:17], -v[4:5]
	v_add_f64 v[98:99], v[94:95], v[96:97]
	ds_read_b128 v[94:97], v52 offset:1600
	v_add_f64 v[2:3], v[2:3], v[4:5]
	v_mul_f64 v[4:5], v[72:73], v[26:27]
	v_fma_f64 v[4:5], v[70:71], v[28:29], -v[4:5]
	v_add_f64 v[2:3], v[2:3], v[4:5]
	v_mul_f64 v[4:5], v[76:77], v[22:23]
	s_waitcnt vmcnt(29) lgkmcnt(1)
	v_mul_f64 v[100:101], v[90:91], v[38:39]
	v_fma_f64 v[4:5], v[74:75], v[24:25], -v[4:5]
	s_waitcnt vmcnt(28)
	v_fmac_f64_e32 v[100:101], v[92:93], v[40:41]
	v_add_f64 v[2:3], v[2:3], v[4:5]
	v_mul_f64 v[4:5], v[80:81], v[34:35]
	v_add_f64 v[102:103], v[98:99], v[100:101]
	ds_read_b128 v[98:101], v52 offset:1616
	s_waitcnt vmcnt(24) lgkmcnt(1)
	v_mul_f64 v[104:105], v[94:95], v[118:119]
	v_fma_f64 v[4:5], v[78:79], v[36:37], -v[4:5]
	s_waitcnt vmcnt(22)
	v_fmac_f64_e32 v[104:105], v[96:97], v[120:121]
	v_add_f64 v[2:3], v[2:3], v[4:5]
	v_mul_f64 v[4:5], v[84:85], v[30:31]
	v_add_f64 v[106:107], v[102:103], v[104:105]
	ds_read_b128 v[102:105], v52 offset:1632
	v_fma_f64 v[4:5], v[82:83], v[32:33], -v[4:5]
	v_add_f64 v[2:3], v[2:3], v[4:5]
	v_mul_f64 v[4:5], v[88:89], v[42:43]
	v_fma_f64 v[4:5], v[86:87], v[44:45], -v[4:5]
	s_waitcnt vmcnt(21) lgkmcnt(1)
	v_mul_f64 v[108:109], v[98:99], v[0:1]
	v_add_f64 v[2:3], v[2:3], v[4:5]
	v_mul_f64 v[4:5], v[92:93], v[38:39]
	s_waitcnt vmcnt(20)
	v_fmac_f64_e32 v[108:109], v[100:101], v[50:51]
	v_fma_f64 v[4:5], v[90:91], v[40:41], -v[4:5]
	v_add_f64 v[110:111], v[106:107], v[108:109]
	ds_read_b128 v[106:109], v52 offset:1648
	s_waitcnt vmcnt(16) lgkmcnt(1)
	v_mul_f64 v[112:113], v[102:103], v[126:127]
	v_add_f64 v[2:3], v[2:3], v[4:5]
	v_mul_f64 v[4:5], v[96:97], v[118:119]
	s_waitcnt vmcnt(14)
	v_fmac_f64_e32 v[112:113], v[104:105], v[128:129]
	v_fma_f64 v[4:5], v[94:95], v[120:121], -v[4:5]
	v_mul_f64 v[0:1], v[100:101], v[0:1]
	v_add_f64 v[142:143], v[110:111], v[112:113]
	ds_read_b128 v[110:113], v52 offset:1664
	v_add_f64 v[2:3], v[2:3], v[4:5]
	v_fma_f64 v[0:1], v[98:99], v[50:51], -v[0:1]
	v_add_f64 v[0:1], v[2:3], v[0:1]
	v_mul_f64 v[2:3], v[104:105], v[126:127]
	v_fma_f64 v[2:3], v[102:103], v[128:129], -v[2:3]
	v_add_f64 v[0:1], v[0:1], v[2:3]
	s_waitcnt vmcnt(13) lgkmcnt(1)
	v_mul_f64 v[2:3], v[108:109], v[122:123]
	v_mul_f64 v[144:145], v[106:107], v[122:123]
	s_waitcnt vmcnt(12)
	v_fma_f64 v[2:3], v[106:107], v[124:125], -v[2:3]
	v_fmac_f64_e32 v[144:145], v[108:109], v[124:125]
	v_add_f64 v[0:1], v[0:1], v[2:3]
	s_waitcnt vmcnt(8) lgkmcnt(0)
	v_mul_f64 v[2:3], v[112:113], v[134:135]
	v_add_f64 v[142:143], v[142:143], v[144:145]
	v_mul_f64 v[144:145], v[110:111], v[134:135]
	s_waitcnt vmcnt(6)
	v_fma_f64 v[2:3], v[110:111], v[136:137], -v[2:3]
	v_fmac_f64_e32 v[144:145], v[112:113], v[136:137]
	v_add_f64 v[0:1], v[0:1], v[2:3]
	s_waitcnt vmcnt(5)
	v_mul_f64 v[2:3], v[116:117], v[130:131]
	v_add_f64 v[142:143], v[142:143], v[144:145]
	v_mul_f64 v[144:145], v[114:115], v[130:131]
	s_waitcnt vmcnt(4)
	v_fma_f64 v[2:3], v[114:115], v[132:133], -v[2:3]
	v_fmac_f64_e32 v[144:145], v[116:117], v[132:133]
	v_add_f64 v[0:1], v[0:1], v[2:3]
	v_add_f64 v[142:143], v[142:143], v[144:145]
	s_waitcnt vmcnt(2)
	v_add_f64 v[0:1], v[138:139], -v[0:1]
	s_waitcnt vmcnt(0)
	v_add_f64 v[2:3], v[140:141], -v[142:143]
	buffer_store_dword v1, off, s[0:3], 0 offset:580
	buffer_store_dword v0, off, s[0:3], 0 offset:576
	;; [unrolled: 1-line block ×4, first 2 shown]
	s_and_saveexec_b64 s[4:5], vcc
	s_cbranch_execz .LBB52_263
; %bb.262:
	v_accvgpr_read_b32 v0, a124
	buffer_load_dword v2, v0, s[0:3], 0 offen
	buffer_load_dword v3, v0, s[0:3], 0 offen offset:4
	buffer_load_dword v4, v0, s[0:3], 0 offen offset:8
	;; [unrolled: 1-line block ×3, first 2 shown]
	v_accvgpr_read_b32 v0, a159
	buffer_store_dword v52, off, s[0:3], 0 offset:560
	buffer_store_dword v52, off, s[0:3], 0 offset:564
	;; [unrolled: 1-line block ×4, first 2 shown]
	s_waitcnt vmcnt(4)
	ds_write_b128 v0, v[2:5]
.LBB52_263:
	s_or_b64 exec, exec, s[4:5]
	s_waitcnt lgkmcnt(0)
	; wave barrier
	s_waitcnt lgkmcnt(0)
	buffer_load_dword v2, off, s[0:3], 0 offset:576
	buffer_load_dword v3, off, s[0:3], 0 offset:580
	;; [unrolled: 1-line block ×72, first 2 shown]
	ds_read_b128 v[54:57], v52 offset:1408
	buffer_load_dword v146, off, s[0:3], 0 offset:560
	buffer_load_dword v147, off, s[0:3], 0 offset:564
	;; [unrolled: 1-line block ×4, first 2 shown]
	ds_read_b128 v[58:61], v52 offset:1424
	ds_read_b128 v[62:65], v52 offset:1440
	ds_read_b128 v[66:69], v52 offset:1456
	v_cmp_lt_u32_e32 vcc, 33, v255
	ds_read_b128 v[124:127], v52 offset:1680
	s_waitcnt vmcnt(62) lgkmcnt(4)
	v_mul_f64 v[70:71], v[54:55], v[8:9]
	v_fmac_f64_e32 v[70:71], v[56:57], v[2:3]
	v_add_f64 v[70:71], v[70:71], 0
	v_mul_f64 v[8:9], v[56:57], v[8:9]
	s_waitcnt lgkmcnt(3)
	v_mul_f64 v[72:73], v[58:59], v[10:11]
	v_fmac_f64_e32 v[72:73], v[60:61], v[4:5]
	v_add_f64 v[70:71], v[70:71], v[72:73]
	v_fma_f64 v[2:3], v[54:55], v[2:3], -v[8:9]
	s_waitcnt lgkmcnt(2)
	v_mul_f64 v[72:73], v[62:63], v[12:13]
	v_fmac_f64_e32 v[72:73], v[64:65], v[6:7]
	v_add_f64 v[74:75], v[70:71], v[72:73]
	ds_read_b128 v[70:73], v52 offset:1472
	s_waitcnt vmcnt(60) lgkmcnt(2)
	v_mul_f64 v[76:77], v[66:67], v[18:19]
	v_mul_f64 v[8:9], v[60:61], v[10:11]
	s_waitcnt vmcnt(58)
	v_fmac_f64_e32 v[76:77], v[68:69], v[20:21]
	v_add_f64 v[78:79], v[74:75], v[76:77]
	ds_read_b128 v[74:77], v52 offset:1488
	s_waitcnt vmcnt(57) lgkmcnt(1)
	v_mul_f64 v[80:81], v[70:71], v[14:15]
	s_waitcnt vmcnt(56)
	v_fmac_f64_e32 v[80:81], v[72:73], v[16:17]
	v_add_f64 v[82:83], v[78:79], v[80:81]
	ds_read_b128 v[78:81], v52 offset:1504
	s_waitcnt vmcnt(52) lgkmcnt(1)
	;; [unrolled: 6-line block ×4, first 2 shown]
	v_mul_f64 v[92:93], v[82:83], v[34:35]
	s_waitcnt vmcnt(42)
	v_fmac_f64_e32 v[92:93], v[84:85], v[36:37]
	v_add_f64 v[2:3], v[2:3], 0
	v_fma_f64 v[4:5], v[58:59], v[4:5], -v[8:9]
	v_add_f64 v[94:95], v[90:91], v[92:93]
	ds_read_b128 v[90:93], v52 offset:1552
	s_waitcnt vmcnt(41) lgkmcnt(1)
	v_mul_f64 v[96:97], v[86:87], v[30:31]
	v_add_f64 v[2:3], v[2:3], v[4:5]
	v_mul_f64 v[4:5], v[64:65], v[12:13]
	s_waitcnt vmcnt(40)
	v_fmac_f64_e32 v[96:97], v[88:89], v[32:33]
	v_fma_f64 v[4:5], v[62:63], v[6:7], -v[4:5]
	v_add_f64 v[98:99], v[94:95], v[96:97]
	ds_read_b128 v[94:97], v52 offset:1568
	v_add_f64 v[2:3], v[2:3], v[4:5]
	v_mul_f64 v[4:5], v[68:69], v[18:19]
	v_fma_f64 v[4:5], v[66:67], v[20:21], -v[4:5]
	v_add_f64 v[2:3], v[2:3], v[4:5]
	v_mul_f64 v[4:5], v[72:73], v[14:15]
	s_waitcnt vmcnt(36) lgkmcnt(1)
	v_mul_f64 v[100:101], v[90:91], v[42:43]
	v_fma_f64 v[4:5], v[70:71], v[16:17], -v[4:5]
	s_waitcnt vmcnt(34)
	v_fmac_f64_e32 v[100:101], v[92:93], v[44:45]
	v_add_f64 v[2:3], v[2:3], v[4:5]
	v_mul_f64 v[4:5], v[76:77], v[26:27]
	v_add_f64 v[102:103], v[98:99], v[100:101]
	ds_read_b128 v[98:101], v52 offset:1584
	s_waitcnt vmcnt(33) lgkmcnt(1)
	v_mul_f64 v[104:105], v[94:95], v[38:39]
	v_fma_f64 v[4:5], v[74:75], v[28:29], -v[4:5]
	s_waitcnt vmcnt(32)
	v_fmac_f64_e32 v[104:105], v[96:97], v[40:41]
	v_add_f64 v[2:3], v[2:3], v[4:5]
	v_mul_f64 v[4:5], v[80:81], v[22:23]
	v_add_f64 v[106:107], v[102:103], v[104:105]
	ds_read_b128 v[102:105], v52 offset:1600
	v_fma_f64 v[4:5], v[78:79], v[24:25], -v[4:5]
	v_add_f64 v[2:3], v[2:3], v[4:5]
	v_mul_f64 v[4:5], v[84:85], v[34:35]
	v_fma_f64 v[4:5], v[82:83], v[36:37], -v[4:5]
	s_waitcnt vmcnt(28) lgkmcnt(1)
	v_mul_f64 v[108:109], v[98:99], v[50:51]
	v_add_f64 v[2:3], v[2:3], v[4:5]
	v_mul_f64 v[4:5], v[88:89], v[30:31]
	s_waitcnt vmcnt(26)
	v_fmac_f64_e32 v[108:109], v[100:101], v[0:1]
	v_fma_f64 v[4:5], v[86:87], v[32:33], -v[4:5]
	v_add_f64 v[110:111], v[106:107], v[108:109]
	ds_read_b128 v[106:109], v52 offset:1616
	s_waitcnt vmcnt(25) lgkmcnt(1)
	v_mul_f64 v[112:113], v[102:103], v[46:47]
	v_add_f64 v[2:3], v[2:3], v[4:5]
	v_mul_f64 v[4:5], v[92:93], v[42:43]
	s_waitcnt vmcnt(24)
	v_fmac_f64_e32 v[112:113], v[104:105], v[48:49]
	v_fma_f64 v[4:5], v[90:91], v[44:45], -v[4:5]
	v_add_f64 v[114:115], v[110:111], v[112:113]
	ds_read_b128 v[110:113], v52 offset:1632
	v_add_f64 v[2:3], v[2:3], v[4:5]
	v_mul_f64 v[4:5], v[96:97], v[38:39]
	v_fma_f64 v[4:5], v[94:95], v[40:41], -v[4:5]
	v_add_f64 v[2:3], v[2:3], v[4:5]
	v_mul_f64 v[4:5], v[100:101], v[50:51]
	s_waitcnt vmcnt(20) lgkmcnt(1)
	v_mul_f64 v[116:117], v[106:107], v[130:131]
	v_fma_f64 v[0:1], v[98:99], v[0:1], -v[4:5]
	s_waitcnt vmcnt(18)
	v_fmac_f64_e32 v[116:117], v[108:109], v[132:133]
	v_add_f64 v[0:1], v[2:3], v[0:1]
	v_mul_f64 v[2:3], v[104:105], v[46:47]
	v_add_f64 v[120:121], v[114:115], v[116:117]
	ds_read_b128 v[114:117], v52 offset:1648
	s_waitcnt vmcnt(17) lgkmcnt(1)
	v_mul_f64 v[122:123], v[110:111], v[118:119]
	v_fma_f64 v[2:3], v[102:103], v[48:49], -v[2:3]
	s_waitcnt vmcnt(16)
	v_fmac_f64_e32 v[122:123], v[112:113], v[128:129]
	v_add_f64 v[0:1], v[0:1], v[2:3]
	v_mul_f64 v[2:3], v[108:109], v[130:131]
	v_add_f64 v[150:151], v[120:121], v[122:123]
	ds_read_b128 v[120:123], v52 offset:1664
	v_fma_f64 v[2:3], v[106:107], v[132:133], -v[2:3]
	v_add_f64 v[0:1], v[0:1], v[2:3]
	v_mul_f64 v[2:3], v[112:113], v[118:119]
	v_fma_f64 v[2:3], v[110:111], v[128:129], -v[2:3]
	v_add_f64 v[0:1], v[0:1], v[2:3]
	s_waitcnt vmcnt(12) lgkmcnt(1)
	v_mul_f64 v[2:3], v[116:117], v[138:139]
	v_mul_f64 v[152:153], v[114:115], v[138:139]
	s_waitcnt vmcnt(10)
	v_fma_f64 v[2:3], v[114:115], v[140:141], -v[2:3]
	v_fmac_f64_e32 v[152:153], v[116:117], v[140:141]
	v_add_f64 v[0:1], v[0:1], v[2:3]
	s_waitcnt vmcnt(9) lgkmcnt(0)
	v_mul_f64 v[2:3], v[122:123], v[134:135]
	v_add_f64 v[52:53], v[150:151], v[152:153]
	v_mul_f64 v[150:151], v[120:121], v[134:135]
	s_waitcnt vmcnt(8)
	v_fma_f64 v[2:3], v[120:121], v[136:137], -v[2:3]
	v_fmac_f64_e32 v[150:151], v[122:123], v[136:137]
	v_add_f64 v[0:1], v[0:1], v[2:3]
	s_waitcnt vmcnt(6)
	v_mul_f64 v[2:3], v[126:127], v[142:143]
	v_add_f64 v[52:53], v[52:53], v[150:151]
	v_mul_f64 v[150:151], v[124:125], v[142:143]
	s_waitcnt vmcnt(4)
	v_fma_f64 v[2:3], v[124:125], v[144:145], -v[2:3]
	v_fmac_f64_e32 v[150:151], v[126:127], v[144:145]
	v_add_f64 v[0:1], v[0:1], v[2:3]
	v_add_f64 v[52:53], v[52:53], v[150:151]
	s_waitcnt vmcnt(2)
	v_add_f64 v[0:1], v[146:147], -v[0:1]
	s_waitcnt vmcnt(0)
	v_add_f64 v[2:3], v[148:149], -v[52:53]
	buffer_store_dword v1, off, s[0:3], 0 offset:564
	buffer_store_dword v0, off, s[0:3], 0 offset:560
	;; [unrolled: 1-line block ×4, first 2 shown]
	s_and_saveexec_b64 s[4:5], vcc
	s_cbranch_execz .LBB52_265
; %bb.264:
	v_accvgpr_read_b32 v0, a125
	buffer_load_dword v2, v0, s[0:3], 0 offen
	buffer_load_dword v3, v0, s[0:3], 0 offen offset:4
	buffer_load_dword v4, v0, s[0:3], 0 offen offset:8
	buffer_load_dword v5, v0, s[0:3], 0 offen offset:12
	v_mov_b32_e32 v0, 0
	v_accvgpr_read_b32 v1, a159
	buffer_store_dword v0, off, s[0:3], 0 offset:544
	buffer_store_dword v0, off, s[0:3], 0 offset:548
	;; [unrolled: 1-line block ×4, first 2 shown]
	s_waitcnt vmcnt(4)
	ds_write_b128 v1, v[2:5]
.LBB52_265:
	s_or_b64 exec, exec, s[4:5]
	s_waitcnt lgkmcnt(0)
	; wave barrier
	s_waitcnt lgkmcnt(0)
	buffer_load_dword v2, off, s[0:3], 0 offset:560
	buffer_load_dword v3, off, s[0:3], 0 offset:564
	;; [unrolled: 1-line block ×76, first 2 shown]
	v_mov_b32_e32 v54, 0
	ds_read_b128 v[56:59], v54 offset:1392
	buffer_load_dword v154, off, s[0:3], 0 offset:544
	buffer_load_dword v155, off, s[0:3], 0 offset:548
	;; [unrolled: 1-line block ×4, first 2 shown]
	ds_read_b128 v[60:63], v54 offset:1408
	ds_read_b128 v[64:67], v54 offset:1424
	ds_read_b128 v[68:71], v54 offset:1440
	ds_read_b128 v[132:135], v54 offset:1680
	v_cmp_lt_u32_e32 vcc, 32, v255
	s_waitcnt vmcnt(62) lgkmcnt(4)
	v_mul_f64 v[72:73], v[56:57], v[8:9]
	v_fmac_f64_e32 v[72:73], v[58:59], v[2:3]
	v_add_f64 v[72:73], v[72:73], 0
	v_mul_f64 v[8:9], v[58:59], v[8:9]
	s_waitcnt lgkmcnt(3)
	v_mul_f64 v[74:75], v[60:61], v[10:11]
	v_fmac_f64_e32 v[74:75], v[62:63], v[4:5]
	v_add_f64 v[72:73], v[72:73], v[74:75]
	v_fma_f64 v[2:3], v[56:57], v[2:3], -v[8:9]
	s_waitcnt lgkmcnt(2)
	v_mul_f64 v[74:75], v[64:65], v[12:13]
	v_fmac_f64_e32 v[74:75], v[66:67], v[6:7]
	v_add_f64 v[76:77], v[72:73], v[74:75]
	ds_read_b128 v[72:75], v54 offset:1456
	s_waitcnt lgkmcnt(2)
	v_mul_f64 v[78:79], v[68:69], v[18:19]
	v_mul_f64 v[8:9], v[62:63], v[10:11]
	v_fmac_f64_e32 v[78:79], v[70:71], v[20:21]
	v_add_f64 v[80:81], v[76:77], v[78:79]
	ds_read_b128 v[76:79], v54 offset:1472
	s_waitcnt vmcnt(61) lgkmcnt(1)
	v_mul_f64 v[82:83], v[72:73], v[14:15]
	s_waitcnt vmcnt(60)
	v_fmac_f64_e32 v[82:83], v[74:75], v[16:17]
	v_add_f64 v[84:85], v[80:81], v[82:83]
	ds_read_b128 v[80:83], v54 offset:1488
	s_waitcnt vmcnt(56) lgkmcnt(1)
	v_mul_f64 v[86:87], v[76:77], v[26:27]
	s_waitcnt vmcnt(54)
	;; [unrolled: 6-line block ×4, first 2 shown]
	v_fmac_f64_e32 v[94:95], v[86:87], v[36:37]
	v_add_f64 v[96:97], v[92:93], v[94:95]
	ds_read_b128 v[92:95], v54 offset:1536
	s_waitcnt vmcnt(45) lgkmcnt(1)
	v_mul_f64 v[98:99], v[88:89], v[30:31]
	v_add_f64 v[2:3], v[2:3], 0
	v_fma_f64 v[4:5], v[60:61], v[4:5], -v[8:9]
	s_waitcnt vmcnt(44)
	v_fmac_f64_e32 v[98:99], v[90:91], v[32:33]
	v_add_f64 v[2:3], v[2:3], v[4:5]
	v_mul_f64 v[4:5], v[66:67], v[12:13]
	v_add_f64 v[100:101], v[96:97], v[98:99]
	ds_read_b128 v[96:99], v54 offset:1552
	s_waitcnt vmcnt(40) lgkmcnt(1)
	v_mul_f64 v[102:103], v[92:93], v[42:43]
	v_fma_f64 v[4:5], v[64:65], v[6:7], -v[4:5]
	s_waitcnt vmcnt(38)
	v_fmac_f64_e32 v[102:103], v[94:95], v[44:45]
	v_add_f64 v[2:3], v[2:3], v[4:5]
	v_mul_f64 v[4:5], v[70:71], v[18:19]
	v_add_f64 v[104:105], v[100:101], v[102:103]
	ds_read_b128 v[100:103], v54 offset:1568
	v_fma_f64 v[4:5], v[68:69], v[20:21], -v[4:5]
	v_add_f64 v[2:3], v[2:3], v[4:5]
	v_mul_f64 v[4:5], v[74:75], v[14:15]
	v_fma_f64 v[4:5], v[72:73], v[16:17], -v[4:5]
	s_waitcnt vmcnt(37) lgkmcnt(1)
	v_mul_f64 v[106:107], v[96:97], v[38:39]
	v_add_f64 v[2:3], v[2:3], v[4:5]
	v_mul_f64 v[4:5], v[78:79], v[26:27]
	s_waitcnt vmcnt(36)
	v_fmac_f64_e32 v[106:107], v[98:99], v[40:41]
	v_fma_f64 v[4:5], v[76:77], v[28:29], -v[4:5]
	v_add_f64 v[108:109], v[104:105], v[106:107]
	ds_read_b128 v[104:107], v54 offset:1584
	s_waitcnt vmcnt(32) lgkmcnt(1)
	v_mul_f64 v[110:111], v[100:101], v[50:51]
	v_add_f64 v[2:3], v[2:3], v[4:5]
	v_mul_f64 v[4:5], v[82:83], v[22:23]
	s_waitcnt vmcnt(30)
	v_fmac_f64_e32 v[110:111], v[102:103], v[52:53]
	v_fma_f64 v[4:5], v[80:81], v[24:25], -v[4:5]
	v_add_f64 v[112:113], v[108:109], v[110:111]
	ds_read_b128 v[108:111], v54 offset:1600
	v_add_f64 v[2:3], v[2:3], v[4:5]
	v_mul_f64 v[4:5], v[86:87], v[34:35]
	v_fma_f64 v[4:5], v[84:85], v[36:37], -v[4:5]
	v_add_f64 v[2:3], v[2:3], v[4:5]
	v_mul_f64 v[4:5], v[90:91], v[30:31]
	s_waitcnt vmcnt(29) lgkmcnt(1)
	v_mul_f64 v[114:115], v[104:105], v[46:47]
	v_fma_f64 v[4:5], v[88:89], v[32:33], -v[4:5]
	s_waitcnt vmcnt(28)
	v_fmac_f64_e32 v[114:115], v[106:107], v[48:49]
	v_add_f64 v[2:3], v[2:3], v[4:5]
	v_mul_f64 v[4:5], v[94:95], v[42:43]
	v_add_f64 v[120:121], v[112:113], v[114:115]
	ds_read_b128 v[112:115], v54 offset:1616
	s_waitcnt vmcnt(24) lgkmcnt(1)
	v_mul_f64 v[122:123], v[108:109], v[118:119]
	v_fma_f64 v[4:5], v[92:93], v[44:45], -v[4:5]
	s_waitcnt vmcnt(22)
	v_fmac_f64_e32 v[122:123], v[110:111], v[136:137]
	v_add_f64 v[2:3], v[2:3], v[4:5]
	v_mul_f64 v[4:5], v[98:99], v[38:39]
	v_add_f64 v[124:125], v[120:121], v[122:123]
	ds_read_b128 v[120:123], v54 offset:1632
	v_fma_f64 v[4:5], v[96:97], v[40:41], -v[4:5]
	v_add_f64 v[2:3], v[2:3], v[4:5]
	v_mul_f64 v[4:5], v[102:103], v[50:51]
	v_fma_f64 v[4:5], v[100:101], v[52:53], -v[4:5]
	s_waitcnt vmcnt(21) lgkmcnt(1)
	v_mul_f64 v[126:127], v[112:113], v[0:1]
	v_add_f64 v[2:3], v[2:3], v[4:5]
	v_mul_f64 v[4:5], v[106:107], v[46:47]
	s_waitcnt vmcnt(20)
	v_fmac_f64_e32 v[126:127], v[114:115], v[116:117]
	v_fma_f64 v[4:5], v[104:105], v[48:49], -v[4:5]
	v_add_f64 v[128:129], v[124:125], v[126:127]
	ds_read_b128 v[124:127], v54 offset:1648
	s_waitcnt vmcnt(16) lgkmcnt(1)
	v_mul_f64 v[130:131], v[120:121], v[142:143]
	v_add_f64 v[2:3], v[2:3], v[4:5]
	v_mul_f64 v[4:5], v[110:111], v[118:119]
	s_waitcnt vmcnt(14)
	v_fmac_f64_e32 v[130:131], v[122:123], v[144:145]
	v_fma_f64 v[4:5], v[108:109], v[136:137], -v[4:5]
	v_mul_f64 v[0:1], v[114:115], v[0:1]
	v_add_f64 v[158:159], v[128:129], v[130:131]
	ds_read_b128 v[128:131], v54 offset:1664
	v_add_f64 v[2:3], v[2:3], v[4:5]
	v_fma_f64 v[0:1], v[112:113], v[116:117], -v[0:1]
	v_add_f64 v[0:1], v[2:3], v[0:1]
	v_mul_f64 v[2:3], v[122:123], v[142:143]
	v_fma_f64 v[2:3], v[120:121], v[144:145], -v[2:3]
	v_add_f64 v[0:1], v[0:1], v[2:3]
	s_waitcnt vmcnt(13) lgkmcnt(1)
	v_mul_f64 v[2:3], v[126:127], v[138:139]
	v_mul_f64 v[160:161], v[124:125], v[138:139]
	s_waitcnt vmcnt(12)
	v_fma_f64 v[2:3], v[124:125], v[140:141], -v[2:3]
	v_fmac_f64_e32 v[160:161], v[126:127], v[140:141]
	v_add_f64 v[0:1], v[0:1], v[2:3]
	s_waitcnt vmcnt(8) lgkmcnt(0)
	v_mul_f64 v[2:3], v[130:131], v[150:151]
	v_add_f64 v[158:159], v[158:159], v[160:161]
	v_mul_f64 v[160:161], v[128:129], v[150:151]
	s_waitcnt vmcnt(6)
	v_fma_f64 v[2:3], v[128:129], v[152:153], -v[2:3]
	v_fmac_f64_e32 v[160:161], v[130:131], v[152:153]
	v_add_f64 v[0:1], v[0:1], v[2:3]
	s_waitcnt vmcnt(5)
	v_mul_f64 v[2:3], v[134:135], v[146:147]
	v_add_f64 v[158:159], v[158:159], v[160:161]
	v_mul_f64 v[160:161], v[132:133], v[146:147]
	s_waitcnt vmcnt(4)
	v_fma_f64 v[2:3], v[132:133], v[148:149], -v[2:3]
	v_fmac_f64_e32 v[160:161], v[134:135], v[148:149]
	v_add_f64 v[0:1], v[0:1], v[2:3]
	v_add_f64 v[158:159], v[158:159], v[160:161]
	s_waitcnt vmcnt(2)
	v_add_f64 v[0:1], v[154:155], -v[0:1]
	s_waitcnt vmcnt(0)
	v_add_f64 v[2:3], v[156:157], -v[158:159]
	buffer_store_dword v1, off, s[0:3], 0 offset:548
	buffer_store_dword v0, off, s[0:3], 0 offset:544
	;; [unrolled: 1-line block ×4, first 2 shown]
	s_and_saveexec_b64 s[4:5], vcc
	s_cbranch_execz .LBB52_267
; %bb.266:
	v_accvgpr_read_b32 v0, a126
	buffer_load_dword v2, v0, s[0:3], 0 offen
	buffer_load_dword v3, v0, s[0:3], 0 offen offset:4
	buffer_load_dword v4, v0, s[0:3], 0 offen offset:8
	;; [unrolled: 1-line block ×3, first 2 shown]
	v_accvgpr_read_b32 v0, a159
	buffer_store_dword v54, off, s[0:3], 0 offset:528
	buffer_store_dword v54, off, s[0:3], 0 offset:532
	buffer_store_dword v54, off, s[0:3], 0 offset:536
	buffer_store_dword v54, off, s[0:3], 0 offset:540
	s_waitcnt vmcnt(4)
	ds_write_b128 v0, v[2:5]
.LBB52_267:
	s_or_b64 exec, exec, s[4:5]
	s_waitcnt lgkmcnt(0)
	; wave barrier
	s_waitcnt lgkmcnt(0)
	buffer_load_dword v2, off, s[0:3], 0 offset:544
	buffer_load_dword v3, off, s[0:3], 0 offset:548
	;; [unrolled: 1-line block ×76, first 2 shown]
	ds_read_b128 v[56:59], v54 offset:1376
	buffer_load_dword v159, off, s[0:3], 0 offset:860
	buffer_load_dword v158, off, s[0:3], 0 offset:856
	;; [unrolled: 1-line block ×8, first 2 shown]
	ds_read_b128 v[60:63], v54 offset:1392
	ds_read_b128 v[64:67], v54 offset:1408
	;; [unrolled: 1-line block ×3, first 2 shown]
	v_cmp_lt_u32_e32 vcc, 31, v255
	ds_read_b128 v[136:139], v54 offset:1680
	s_waitcnt vmcnt(62) lgkmcnt(4)
	v_mul_f64 v[72:73], v[56:57], v[8:9]
	v_fmac_f64_e32 v[72:73], v[58:59], v[2:3]
	v_add_f64 v[72:73], v[72:73], 0
	v_mul_f64 v[8:9], v[58:59], v[8:9]
	s_waitcnt lgkmcnt(3)
	v_mul_f64 v[74:75], v[60:61], v[10:11]
	v_fmac_f64_e32 v[74:75], v[62:63], v[4:5]
	v_add_f64 v[72:73], v[72:73], v[74:75]
	v_fma_f64 v[2:3], v[56:57], v[2:3], -v[8:9]
	s_waitcnt lgkmcnt(2)
	v_mul_f64 v[74:75], v[64:65], v[12:13]
	v_fmac_f64_e32 v[74:75], v[66:67], v[6:7]
	v_add_f64 v[76:77], v[72:73], v[74:75]
	ds_read_b128 v[72:75], v54 offset:1440
	v_mul_f64 v[8:9], v[62:63], v[10:11]
	v_add_f64 v[2:3], v[2:3], 0
	s_waitcnt lgkmcnt(2)
	v_mul_f64 v[78:79], v[68:69], v[18:19]
	v_fma_f64 v[4:5], v[60:61], v[4:5], -v[8:9]
	v_fmac_f64_e32 v[78:79], v[70:71], v[20:21]
	v_add_f64 v[80:81], v[76:77], v[78:79]
	ds_read_b128 v[76:79], v54 offset:1456
	s_waitcnt lgkmcnt(1)
	v_mul_f64 v[82:83], v[72:73], v[14:15]
	v_fmac_f64_e32 v[82:83], v[74:75], v[16:17]
	v_add_f64 v[84:85], v[80:81], v[82:83]
	ds_read_b128 v[80:83], v54 offset:1472
	s_waitcnt vmcnt(58) lgkmcnt(1)
	v_mul_f64 v[86:87], v[76:77], v[26:27]
	s_waitcnt vmcnt(56)
	v_fmac_f64_e32 v[86:87], v[78:79], v[28:29]
	v_add_f64 v[88:89], v[84:85], v[86:87]
	ds_read_b128 v[84:87], v54 offset:1488
	s_waitcnt lgkmcnt(1)
	v_mul_f64 v[90:91], v[80:81], v[22:23]
	v_fmac_f64_e32 v[90:91], v[82:83], v[24:25]
	v_add_f64 v[92:93], v[88:89], v[90:91]
	ds_read_b128 v[88:91], v54 offset:1504
	s_waitcnt vmcnt(50) lgkmcnt(1)
	v_mul_f64 v[94:95], v[84:85], v[34:35]
	s_waitcnt vmcnt(48)
	v_fmac_f64_e32 v[94:95], v[86:87], v[36:37]
	v_add_f64 v[96:97], v[92:93], v[94:95]
	ds_read_b128 v[92:95], v54 offset:1520
	s_waitcnt lgkmcnt(1)
	v_mul_f64 v[98:99], v[88:89], v[30:31]
	v_fmac_f64_e32 v[98:99], v[90:91], v[32:33]
	v_add_f64 v[100:101], v[96:97], v[98:99]
	ds_read_b128 v[96:99], v54 offset:1536
	v_add_f64 v[2:3], v[2:3], v[4:5]
	v_mul_f64 v[4:5], v[66:67], v[12:13]
	s_waitcnt vmcnt(42) lgkmcnt(1)
	v_mul_f64 v[102:103], v[92:93], v[42:43]
	v_fma_f64 v[4:5], v[64:65], v[6:7], -v[4:5]
	s_waitcnt vmcnt(40)
	v_fmac_f64_e32 v[102:103], v[94:95], v[44:45]
	v_add_f64 v[2:3], v[2:3], v[4:5]
	v_mul_f64 v[4:5], v[70:71], v[18:19]
	v_add_f64 v[104:105], v[100:101], v[102:103]
	ds_read_b128 v[100:103], v54 offset:1552
	s_waitcnt lgkmcnt(1)
	v_mul_f64 v[106:107], v[96:97], v[38:39]
	v_fma_f64 v[4:5], v[68:69], v[20:21], -v[4:5]
	v_fmac_f64_e32 v[106:107], v[98:99], v[40:41]
	v_add_f64 v[2:3], v[2:3], v[4:5]
	v_mul_f64 v[4:5], v[74:75], v[14:15]
	v_add_f64 v[108:109], v[104:105], v[106:107]
	ds_read_b128 v[104:107], v54 offset:1568
	v_fma_f64 v[4:5], v[72:73], v[16:17], -v[4:5]
	v_add_f64 v[2:3], v[2:3], v[4:5]
	v_mul_f64 v[4:5], v[78:79], v[26:27]
	v_fma_f64 v[4:5], v[76:77], v[28:29], -v[4:5]
	s_waitcnt vmcnt(34) lgkmcnt(1)
	v_mul_f64 v[110:111], v[100:101], v[50:51]
	v_add_f64 v[2:3], v[2:3], v[4:5]
	v_mul_f64 v[4:5], v[82:83], v[22:23]
	s_waitcnt vmcnt(32)
	v_fmac_f64_e32 v[110:111], v[102:103], v[52:53]
	v_fma_f64 v[4:5], v[80:81], v[24:25], -v[4:5]
	v_add_f64 v[112:113], v[108:109], v[110:111]
	ds_read_b128 v[108:111], v54 offset:1584
	s_waitcnt lgkmcnt(1)
	v_mul_f64 v[114:115], v[104:105], v[46:47]
	v_add_f64 v[2:3], v[2:3], v[4:5]
	v_mul_f64 v[4:5], v[86:87], v[34:35]
	v_fmac_f64_e32 v[114:115], v[106:107], v[48:49]
	v_fma_f64 v[4:5], v[84:85], v[36:37], -v[4:5]
	v_add_f64 v[120:121], v[112:113], v[114:115]
	ds_read_b128 v[112:115], v54 offset:1600
	v_add_f64 v[2:3], v[2:3], v[4:5]
	v_mul_f64 v[4:5], v[90:91], v[30:31]
	v_fma_f64 v[4:5], v[88:89], v[32:33], -v[4:5]
	v_add_f64 v[2:3], v[2:3], v[4:5]
	v_mul_f64 v[4:5], v[94:95], v[42:43]
	s_waitcnt vmcnt(26) lgkmcnt(1)
	v_mul_f64 v[122:123], v[108:109], v[118:119]
	v_fma_f64 v[4:5], v[92:93], v[44:45], -v[4:5]
	s_waitcnt vmcnt(24)
	v_fmac_f64_e32 v[122:123], v[110:111], v[140:141]
	v_add_f64 v[2:3], v[2:3], v[4:5]
	v_mul_f64 v[4:5], v[98:99], v[38:39]
	v_add_f64 v[124:125], v[120:121], v[122:123]
	ds_read_b128 v[120:123], v54 offset:1616
	s_waitcnt lgkmcnt(1)
	v_mul_f64 v[126:127], v[112:113], v[0:1]
	v_fma_f64 v[4:5], v[96:97], v[40:41], -v[4:5]
	v_fmac_f64_e32 v[126:127], v[114:115], v[116:117]
	v_add_f64 v[2:3], v[2:3], v[4:5]
	v_mul_f64 v[4:5], v[102:103], v[50:51]
	v_add_f64 v[128:129], v[124:125], v[126:127]
	ds_read_b128 v[124:127], v54 offset:1632
	v_fma_f64 v[4:5], v[100:101], v[52:53], -v[4:5]
	v_add_f64 v[2:3], v[2:3], v[4:5]
	v_mul_f64 v[4:5], v[106:107], v[46:47]
	v_fma_f64 v[4:5], v[104:105], v[48:49], -v[4:5]
	s_waitcnt vmcnt(18) lgkmcnt(1)
	v_mul_f64 v[130:131], v[120:121], v[146:147]
	v_add_f64 v[2:3], v[2:3], v[4:5]
	v_mul_f64 v[4:5], v[110:111], v[118:119]
	s_waitcnt vmcnt(16)
	v_fmac_f64_e32 v[130:131], v[122:123], v[148:149]
	v_fma_f64 v[4:5], v[108:109], v[140:141], -v[4:5]
	v_mul_f64 v[0:1], v[114:115], v[0:1]
	v_add_f64 v[132:133], v[128:129], v[130:131]
	ds_read_b128 v[128:131], v54 offset:1648
	s_waitcnt lgkmcnt(1)
	v_mul_f64 v[134:135], v[124:125], v[142:143]
	v_add_f64 v[2:3], v[2:3], v[4:5]
	v_fma_f64 v[0:1], v[112:113], v[116:117], -v[0:1]
	v_fmac_f64_e32 v[134:135], v[126:127], v[144:145]
	v_add_f64 v[0:1], v[2:3], v[0:1]
	v_mul_f64 v[2:3], v[122:123], v[146:147]
	v_add_f64 v[166:167], v[132:133], v[134:135]
	ds_read_b128 v[132:135], v54 offset:1664
	v_fma_f64 v[2:3], v[120:121], v[148:149], -v[2:3]
	v_add_f64 v[0:1], v[0:1], v[2:3]
	v_mul_f64 v[2:3], v[126:127], v[142:143]
	v_fma_f64 v[2:3], v[124:125], v[144:145], -v[2:3]
	v_add_f64 v[0:1], v[0:1], v[2:3]
	s_waitcnt vmcnt(10) lgkmcnt(1)
	v_mul_f64 v[2:3], v[130:131], v[154:155]
	v_mul_f64 v[168:169], v[128:129], v[154:155]
	s_waitcnt vmcnt(8)
	v_fma_f64 v[2:3], v[128:129], v[156:157], -v[2:3]
	v_fmac_f64_e32 v[168:169], v[130:131], v[156:157]
	v_add_f64 v[0:1], v[0:1], v[2:3]
	s_waitcnt lgkmcnt(0)
	v_mul_f64 v[2:3], v[134:135], v[150:151]
	v_add_f64 v[54:55], v[166:167], v[168:169]
	v_mul_f64 v[166:167], v[132:133], v[150:151]
	v_fma_f64 v[2:3], v[132:133], v[152:153], -v[2:3]
	v_fmac_f64_e32 v[166:167], v[134:135], v[152:153]
	v_add_f64 v[0:1], v[0:1], v[2:3]
	s_waitcnt vmcnt(6)
	v_mul_f64 v[2:3], v[138:139], v[158:159]
	v_add_f64 v[54:55], v[54:55], v[166:167]
	v_mul_f64 v[166:167], v[136:137], v[158:159]
	s_waitcnt vmcnt(4)
	v_fma_f64 v[2:3], v[136:137], v[160:161], -v[2:3]
	v_fmac_f64_e32 v[166:167], v[138:139], v[160:161]
	v_add_f64 v[0:1], v[0:1], v[2:3]
	v_add_f64 v[54:55], v[54:55], v[166:167]
	s_waitcnt vmcnt(2)
	v_add_f64 v[0:1], v[162:163], -v[0:1]
	s_waitcnt vmcnt(0)
	v_add_f64 v[2:3], v[164:165], -v[54:55]
	buffer_store_dword v1, off, s[0:3], 0 offset:532
	buffer_store_dword v0, off, s[0:3], 0 offset:528
	;; [unrolled: 1-line block ×4, first 2 shown]
	s_and_saveexec_b64 s[4:5], vcc
	s_cbranch_execz .LBB52_269
; %bb.268:
	v_accvgpr_read_b32 v0, a127
	buffer_load_dword v2, v0, s[0:3], 0 offen
	buffer_load_dword v3, v0, s[0:3], 0 offen offset:4
	buffer_load_dword v4, v0, s[0:3], 0 offen offset:8
	;; [unrolled: 1-line block ×3, first 2 shown]
	v_mov_b32_e32 v0, 0
	v_accvgpr_read_b32 v1, a159
	buffer_store_dword v0, off, s[0:3], 0 offset:512
	buffer_store_dword v0, off, s[0:3], 0 offset:516
	;; [unrolled: 1-line block ×4, first 2 shown]
	s_waitcnt vmcnt(4)
	ds_write_b128 v1, v[2:5]
.LBB52_269:
	s_or_b64 exec, exec, s[4:5]
	s_waitcnt lgkmcnt(0)
	; wave barrier
	s_waitcnt lgkmcnt(0)
	buffer_load_dword v4, off, s[0:3], 0 offset:512
	buffer_load_dword v5, off, s[0:3], 0 offset:516
	;; [unrolled: 1-line block ×84, first 2 shown]
	v_mov_b32_e32 v86, 0
	ds_read_b128 v[66:69], v86 offset:1360
	buffer_load_dword v171, off, s[0:3], 0 offset:860
	buffer_load_dword v170, off, s[0:3], 0 offset:856
	;; [unrolled: 1-line block ×4, first 2 shown]
	ds_read_b128 v[70:73], v86 offset:1376
	ds_read_b128 v[74:77], v86 offset:1392
	;; [unrolled: 1-line block ×4, first 2 shown]
	v_cmp_lt_u32_e32 vcc, 30, v255
	s_waitcnt vmcnt(62) lgkmcnt(4)
	v_mul_f64 v[82:83], v[66:67], v[12:13]
	v_fmac_f64_e32 v[82:83], v[68:69], v[6:7]
	s_waitcnt lgkmcnt(3)
	v_mul_f64 v[84:85], v[70:71], v[14:15]
	v_add_f64 v[82:83], v[82:83], 0
	v_fmac_f64_e32 v[84:85], v[72:73], v[8:9]
	v_add_f64 v[82:83], v[82:83], v[84:85]
	s_waitcnt lgkmcnt(2)
	v_mul_f64 v[84:85], v[74:75], v[16:17]
	v_fmac_f64_e32 v[84:85], v[76:77], v[10:11]
	v_add_f64 v[88:89], v[82:83], v[84:85]
	ds_read_b128 v[82:85], v86 offset:1424
	v_mul_f64 v[12:13], v[68:69], v[12:13]
	s_waitcnt lgkmcnt(2)
	v_mul_f64 v[90:91], v[78:79], v[22:23]
	v_fma_f64 v[6:7], v[66:67], v[6:7], -v[12:13]
	v_fmac_f64_e32 v[90:91], v[80:81], v[24:25]
	v_add_f64 v[92:93], v[88:89], v[90:91]
	ds_read_b128 v[88:91], v86 offset:1440
	s_waitcnt lgkmcnt(1)
	v_mul_f64 v[94:95], v[82:83], v[18:19]
	v_fmac_f64_e32 v[94:95], v[84:85], v[20:21]
	v_add_f64 v[96:97], v[92:93], v[94:95]
	ds_read_b128 v[92:95], v86 offset:1456
	s_waitcnt vmcnt(58) lgkmcnt(1)
	v_mul_f64 v[98:99], v[88:89], v[30:31]
	s_waitcnt vmcnt(56)
	v_fmac_f64_e32 v[98:99], v[90:91], v[32:33]
	v_add_f64 v[100:101], v[96:97], v[98:99]
	ds_read_b128 v[96:99], v86 offset:1472
	s_waitcnt lgkmcnt(1)
	v_mul_f64 v[102:103], v[92:93], v[26:27]
	v_fmac_f64_e32 v[102:103], v[94:95], v[28:29]
	v_add_f64 v[104:105], v[100:101], v[102:103]
	ds_read_b128 v[100:103], v86 offset:1488
	s_waitcnt vmcnt(50) lgkmcnt(1)
	v_mul_f64 v[106:107], v[96:97], v[38:39]
	s_waitcnt vmcnt(48)
	v_fmac_f64_e32 v[106:107], v[98:99], v[40:41]
	v_add_f64 v[108:109], v[104:105], v[106:107]
	ds_read_b128 v[104:107], v86 offset:1504
	s_waitcnt lgkmcnt(1)
	v_mul_f64 v[110:111], v[100:101], v[34:35]
	v_fmac_f64_e32 v[110:111], v[102:103], v[36:37]
	v_add_f64 v[112:113], v[108:109], v[110:111]
	ds_read_b128 v[108:111], v86 offset:1520
	s_waitcnt vmcnt(42) lgkmcnt(1)
	v_mul_f64 v[114:115], v[104:105], v[46:47]
	v_mul_f64 v[12:13], v[72:73], v[14:15]
	s_waitcnt vmcnt(40)
	v_fmac_f64_e32 v[114:115], v[106:107], v[48:49]
	v_add_f64 v[6:7], v[6:7], 0
	v_fma_f64 v[8:9], v[70:71], v[8:9], -v[12:13]
	v_add_f64 v[120:121], v[112:113], v[114:115]
	ds_read_b128 v[112:115], v86 offset:1536
	v_add_f64 v[6:7], v[6:7], v[8:9]
	v_mul_f64 v[8:9], v[76:77], v[16:17]
	v_fma_f64 v[8:9], v[74:75], v[10:11], -v[8:9]
	v_add_f64 v[6:7], v[6:7], v[8:9]
	v_mul_f64 v[8:9], v[80:81], v[22:23]
	s_waitcnt lgkmcnt(1)
	v_mul_f64 v[122:123], v[108:109], v[42:43]
	v_fma_f64 v[8:9], v[78:79], v[24:25], -v[8:9]
	v_fmac_f64_e32 v[122:123], v[110:111], v[44:45]
	v_add_f64 v[6:7], v[6:7], v[8:9]
	v_mul_f64 v[8:9], v[84:85], v[18:19]
	v_add_f64 v[124:125], v[120:121], v[122:123]
	ds_read_b128 v[120:123], v86 offset:1552
	s_waitcnt vmcnt(34) lgkmcnt(1)
	v_mul_f64 v[126:127], v[112:113], v[54:55]
	v_fma_f64 v[8:9], v[82:83], v[20:21], -v[8:9]
	s_waitcnt vmcnt(32)
	v_fmac_f64_e32 v[126:127], v[114:115], v[56:57]
	v_add_f64 v[6:7], v[6:7], v[8:9]
	v_mul_f64 v[8:9], v[90:91], v[30:31]
	v_add_f64 v[128:129], v[124:125], v[126:127]
	ds_read_b128 v[124:127], v86 offset:1568
	v_fma_f64 v[8:9], v[88:89], v[32:33], -v[8:9]
	v_add_f64 v[6:7], v[6:7], v[8:9]
	v_mul_f64 v[8:9], v[94:95], v[26:27]
	v_fma_f64 v[8:9], v[92:93], v[28:29], -v[8:9]
	s_waitcnt lgkmcnt(1)
	v_mul_f64 v[130:131], v[120:121], v[50:51]
	v_add_f64 v[6:7], v[6:7], v[8:9]
	v_mul_f64 v[8:9], v[98:99], v[38:39]
	v_fmac_f64_e32 v[130:131], v[122:123], v[52:53]
	v_fma_f64 v[8:9], v[96:97], v[40:41], -v[8:9]
	v_add_f64 v[132:133], v[128:129], v[130:131]
	ds_read_b128 v[128:131], v86 offset:1584
	s_waitcnt vmcnt(26) lgkmcnt(1)
	v_mul_f64 v[134:135], v[124:125], v[62:63]
	v_add_f64 v[6:7], v[6:7], v[8:9]
	v_mul_f64 v[8:9], v[102:103], v[34:35]
	s_waitcnt vmcnt(24)
	v_fmac_f64_e32 v[134:135], v[126:127], v[64:65]
	v_fma_f64 v[8:9], v[100:101], v[36:37], -v[8:9]
	v_add_f64 v[136:137], v[132:133], v[134:135]
	ds_read_b128 v[132:135], v86 offset:1600
	v_add_f64 v[6:7], v[6:7], v[8:9]
	v_mul_f64 v[8:9], v[106:107], v[46:47]
	v_fma_f64 v[8:9], v[104:105], v[48:49], -v[8:9]
	v_add_f64 v[6:7], v[6:7], v[8:9]
	v_mul_f64 v[8:9], v[110:111], v[42:43]
	s_waitcnt lgkmcnt(1)
	v_mul_f64 v[138:139], v[128:129], v[58:59]
	v_fma_f64 v[8:9], v[108:109], v[44:45], -v[8:9]
	v_fmac_f64_e32 v[138:139], v[130:131], v[60:61]
	v_add_f64 v[6:7], v[6:7], v[8:9]
	v_mul_f64 v[8:9], v[114:115], v[54:55]
	v_add_f64 v[140:141], v[136:137], v[138:139]
	ds_read_b128 v[136:139], v86 offset:1616
	s_waitcnt vmcnt(18) lgkmcnt(1)
	v_mul_f64 v[142:143], v[132:133], v[118:119]
	v_fma_f64 v[8:9], v[112:113], v[56:57], -v[8:9]
	s_waitcnt vmcnt(16)
	v_fmac_f64_e32 v[142:143], v[134:135], v[156:157]
	v_add_f64 v[6:7], v[6:7], v[8:9]
	v_mul_f64 v[8:9], v[122:123], v[50:51]
	v_add_f64 v[144:145], v[140:141], v[142:143]
	ds_read_b128 v[140:143], v86 offset:1632
	v_fma_f64 v[8:9], v[120:121], v[52:53], -v[8:9]
	v_add_f64 v[6:7], v[6:7], v[8:9]
	v_mul_f64 v[8:9], v[126:127], v[62:63]
	v_fma_f64 v[8:9], v[124:125], v[64:65], -v[8:9]
	s_waitcnt lgkmcnt(1)
	v_mul_f64 v[146:147], v[136:137], v[0:1]
	v_add_f64 v[6:7], v[6:7], v[8:9]
	v_mul_f64 v[8:9], v[130:131], v[58:59]
	v_fmac_f64_e32 v[146:147], v[138:139], v[116:117]
	v_fma_f64 v[8:9], v[128:129], v[60:61], -v[8:9]
	v_add_f64 v[148:149], v[144:145], v[146:147]
	ds_read_b128 v[144:147], v86 offset:1648
	s_waitcnt vmcnt(10) lgkmcnt(1)
	v_mul_f64 v[150:151], v[140:141], v[162:163]
	v_add_f64 v[6:7], v[6:7], v[8:9]
	v_mul_f64 v[8:9], v[134:135], v[118:119]
	s_waitcnt vmcnt(8)
	v_fmac_f64_e32 v[150:151], v[142:143], v[164:165]
	v_fma_f64 v[8:9], v[132:133], v[156:157], -v[8:9]
	v_mul_f64 v[0:1], v[138:139], v[0:1]
	v_add_f64 v[174:175], v[148:149], v[150:151]
	ds_read_b128 v[148:151], v86 offset:1664
	v_add_f64 v[6:7], v[6:7], v[8:9]
	v_fma_f64 v[0:1], v[136:137], v[116:117], -v[0:1]
	v_add_f64 v[0:1], v[6:7], v[0:1]
	v_mul_f64 v[6:7], v[142:143], v[162:163]
	v_fma_f64 v[6:7], v[140:141], v[164:165], -v[6:7]
	v_add_f64 v[0:1], v[0:1], v[6:7]
	s_waitcnt lgkmcnt(1)
	v_mul_f64 v[6:7], v[146:147], v[158:159]
	v_mul_f64 v[176:177], v[144:145], v[158:159]
	v_fma_f64 v[6:7], v[144:145], v[160:161], -v[6:7]
	v_fmac_f64_e32 v[176:177], v[146:147], v[160:161]
	v_add_f64 v[0:1], v[0:1], v[6:7]
	s_waitcnt vmcnt(6) lgkmcnt(0)
	v_mul_f64 v[6:7], v[150:151], v[166:167]
	v_add_f64 v[174:175], v[174:175], v[176:177]
	v_mul_f64 v[176:177], v[148:149], v[166:167]
	s_waitcnt vmcnt(4)
	v_fma_f64 v[6:7], v[148:149], v[168:169], -v[6:7]
	v_fmac_f64_e32 v[176:177], v[150:151], v[168:169]
	v_add_f64 v[0:1], v[0:1], v[6:7]
	s_waitcnt vmcnt(2)
	v_mul_f64 v[6:7], v[154:155], v[170:171]
	v_add_f64 v[174:175], v[174:175], v[176:177]
	v_mul_f64 v[176:177], v[152:153], v[170:171]
	s_waitcnt vmcnt(0)
	v_fma_f64 v[6:7], v[152:153], v[172:173], -v[6:7]
	v_fmac_f64_e32 v[176:177], v[154:155], v[172:173]
	v_add_f64 v[0:1], v[0:1], v[6:7]
	v_add_f64 v[174:175], v[174:175], v[176:177]
	v_add_f64 v[0:1], v[4:5], -v[0:1]
	v_add_f64 v[2:3], v[2:3], -v[174:175]
	buffer_store_dword v1, off, s[0:3], 0 offset:516
	buffer_store_dword v0, off, s[0:3], 0 offset:512
	;; [unrolled: 1-line block ×4, first 2 shown]
	s_and_saveexec_b64 s[4:5], vcc
	s_cbranch_execz .LBB52_271
; %bb.270:
	v_accvgpr_read_b32 v0, a128
	buffer_load_dword v2, v0, s[0:3], 0 offen
	buffer_load_dword v3, v0, s[0:3], 0 offen offset:4
	buffer_load_dword v4, v0, s[0:3], 0 offen offset:8
	;; [unrolled: 1-line block ×3, first 2 shown]
	v_accvgpr_read_b32 v0, a159
	buffer_store_dword v86, off, s[0:3], 0 offset:496
	buffer_store_dword v86, off, s[0:3], 0 offset:500
	;; [unrolled: 1-line block ×4, first 2 shown]
	s_waitcnt vmcnt(4)
	ds_write_b128 v0, v[2:5]
.LBB52_271:
	s_or_b64 exec, exec, s[4:5]
	s_waitcnt lgkmcnt(0)
	; wave barrier
	s_waitcnt lgkmcnt(0)
	ds_read_b128 v[14:17], v86 offset:1344
	ds_read_b128 v[10:13], v86 offset:1360
	;; [unrolled: 1-line block ×4, first 2 shown]
	buffer_load_dword v20, off, s[0:3], 0 offset:496
	buffer_load_dword v21, off, s[0:3], 0 offset:500
	;; [unrolled: 1-line block ×92, first 2 shown]
	s_waitcnt vmcnt(62) lgkmcnt(3)
	v_mul_f64 v[88:89], v[14:15], v[28:29]
	v_fmac_f64_e32 v[88:89], v[16:17], v[22:23]
	s_waitcnt lgkmcnt(2)
	v_mul_f64 v[90:91], v[10:11], v[30:31]
	v_add_f64 v[88:89], v[88:89], 0
	v_fmac_f64_e32 v[90:91], v[12:13], v[24:25]
	v_add_f64 v[88:89], v[88:89], v[90:91]
	s_waitcnt lgkmcnt(1)
	v_mul_f64 v[90:91], v[6:7], v[32:33]
	v_fmac_f64_e32 v[90:91], v[8:9], v[26:27]
	v_add_f64 v[92:93], v[88:89], v[90:91]
	ds_read_b128 v[88:91], v86 offset:1408
	v_mul_f64 v[16:17], v[16:17], v[28:29]
	v_fma_f64 v[14:15], v[14:15], v[22:23], -v[16:17]
	s_waitcnt lgkmcnt(1)
	v_mul_f64 v[94:95], v[2:3], v[38:39]
	v_mul_f64 v[12:13], v[12:13], v[30:31]
	v_fmac_f64_e32 v[94:95], v[4:5], v[40:41]
	v_add_f64 v[96:97], v[92:93], v[94:95]
	ds_read_b128 v[92:95], v86 offset:1424
	s_waitcnt lgkmcnt(1)
	v_mul_f64 v[98:99], v[88:89], v[34:35]
	v_fmac_f64_e32 v[98:99], v[90:91], v[36:37]
	v_add_f64 v[100:101], v[96:97], v[98:99]
	ds_read_b128 v[96:99], v86 offset:1440
	s_waitcnt lgkmcnt(1)
	v_mul_f64 v[102:103], v[92:93], v[46:47]
	s_waitcnt vmcnt(60)
	v_fmac_f64_e32 v[102:103], v[94:95], v[48:49]
	v_add_f64 v[104:105], v[100:101], v[102:103]
	ds_read_b128 v[100:103], v86 offset:1456
	s_waitcnt lgkmcnt(1)
	v_mul_f64 v[106:107], v[96:97], v[42:43]
	v_fmac_f64_e32 v[106:107], v[98:99], v[44:45]
	v_add_f64 v[108:109], v[104:105], v[106:107]
	ds_read_b128 v[104:107], v86 offset:1472
	s_waitcnt vmcnt(54) lgkmcnt(1)
	v_mul_f64 v[110:111], v[100:101], v[54:55]
	s_waitcnt vmcnt(52)
	v_fmac_f64_e32 v[110:111], v[102:103], v[56:57]
	v_add_f64 v[112:113], v[108:109], v[110:111]
	ds_read_b128 v[108:111], v86 offset:1488
	s_waitcnt lgkmcnt(1)
	v_mul_f64 v[114:115], v[104:105], v[50:51]
	v_fmac_f64_e32 v[114:115], v[106:107], v[52:53]
	v_add_f64 v[120:121], v[112:113], v[114:115]
	ds_read_b128 v[112:115], v86 offset:1504
	s_waitcnt vmcnt(46) lgkmcnt(1)
	v_mul_f64 v[122:123], v[108:109], v[62:63]
	s_waitcnt vmcnt(44)
	v_fmac_f64_e32 v[122:123], v[110:111], v[64:65]
	v_add_f64 v[124:125], v[120:121], v[122:123]
	ds_read_b128 v[120:123], v86 offset:1520
	s_waitcnt lgkmcnt(1)
	v_mul_f64 v[126:127], v[112:113], v[58:59]
	v_fmac_f64_e32 v[126:127], v[114:115], v[60:61]
	v_add_f64 v[128:129], v[124:125], v[126:127]
	ds_read_b128 v[124:127], v86 offset:1536
	v_add_f64 v[14:15], v[14:15], 0
	v_fma_f64 v[10:11], v[10:11], v[24:25], -v[12:13]
	v_mul_f64 v[8:9], v[8:9], v[32:33]
	v_add_f64 v[10:11], v[14:15], v[10:11]
	v_fma_f64 v[6:7], v[6:7], v[26:27], -v[8:9]
	v_mul_f64 v[4:5], v[4:5], v[38:39]
	;; [unrolled: 3-line block ×3, first 2 shown]
	s_waitcnt vmcnt(38) lgkmcnt(1)
	v_mul_f64 v[130:131], v[120:121], v[70:71]
	v_add_f64 v[2:3], v[6:7], v[2:3]
	v_fma_f64 v[4:5], v[88:89], v[36:37], -v[4:5]
	s_waitcnt vmcnt(36)
	v_fmac_f64_e32 v[130:131], v[122:123], v[72:73]
	v_add_f64 v[2:3], v[2:3], v[4:5]
	v_mul_f64 v[4:5], v[94:95], v[46:47]
	v_add_f64 v[132:133], v[128:129], v[130:131]
	ds_read_b128 v[128:131], v86 offset:1552
	s_waitcnt lgkmcnt(1)
	v_mul_f64 v[134:135], v[124:125], v[66:67]
	v_fma_f64 v[4:5], v[92:93], v[48:49], -v[4:5]
	v_fmac_f64_e32 v[134:135], v[126:127], v[68:69]
	v_add_f64 v[2:3], v[2:3], v[4:5]
	v_mul_f64 v[4:5], v[98:99], v[42:43]
	v_add_f64 v[136:137], v[132:133], v[134:135]
	ds_read_b128 v[132:135], v86 offset:1568
	v_fma_f64 v[4:5], v[96:97], v[44:45], -v[4:5]
	v_add_f64 v[2:3], v[2:3], v[4:5]
	v_mul_f64 v[4:5], v[102:103], v[54:55]
	v_fma_f64 v[4:5], v[100:101], v[56:57], -v[4:5]
	s_waitcnt vmcnt(30) lgkmcnt(1)
	v_mul_f64 v[138:139], v[128:129], v[78:79]
	v_add_f64 v[2:3], v[2:3], v[4:5]
	v_mul_f64 v[4:5], v[106:107], v[50:51]
	s_waitcnt vmcnt(28)
	v_fmac_f64_e32 v[138:139], v[130:131], v[80:81]
	v_fma_f64 v[4:5], v[104:105], v[52:53], -v[4:5]
	v_add_f64 v[140:141], v[136:137], v[138:139]
	ds_read_b128 v[136:139], v86 offset:1584
	s_waitcnt lgkmcnt(1)
	v_mul_f64 v[142:143], v[132:133], v[74:75]
	v_add_f64 v[2:3], v[2:3], v[4:5]
	v_mul_f64 v[4:5], v[110:111], v[62:63]
	v_fmac_f64_e32 v[142:143], v[134:135], v[76:77]
	v_fma_f64 v[4:5], v[108:109], v[64:65], -v[4:5]
	v_add_f64 v[144:145], v[140:141], v[142:143]
	ds_read_b128 v[140:143], v86 offset:1600
	v_add_f64 v[2:3], v[2:3], v[4:5]
	v_mul_f64 v[4:5], v[114:115], v[58:59]
	v_fma_f64 v[4:5], v[112:113], v[60:61], -v[4:5]
	v_add_f64 v[2:3], v[2:3], v[4:5]
	v_mul_f64 v[4:5], v[122:123], v[70:71]
	s_waitcnt vmcnt(22) lgkmcnt(1)
	v_mul_f64 v[146:147], v[136:137], v[0:1]
	v_fma_f64 v[4:5], v[120:121], v[72:73], -v[4:5]
	s_waitcnt vmcnt(20)
	v_fmac_f64_e32 v[146:147], v[138:139], v[116:117]
	v_add_f64 v[2:3], v[2:3], v[4:5]
	v_mul_f64 v[4:5], v[126:127], v[66:67]
	v_add_f64 v[148:149], v[144:145], v[146:147]
	ds_read_b128 v[144:147], v86 offset:1616
	s_waitcnt lgkmcnt(1)
	v_mul_f64 v[150:151], v[140:141], v[82:83]
	v_fma_f64 v[4:5], v[124:125], v[68:69], -v[4:5]
	v_fmac_f64_e32 v[150:151], v[142:143], v[84:85]
	v_add_f64 v[2:3], v[2:3], v[4:5]
	v_mul_f64 v[4:5], v[130:131], v[78:79]
	v_add_f64 v[152:153], v[148:149], v[150:151]
	ds_read_b128 v[148:151], v86 offset:1632
	v_fma_f64 v[4:5], v[128:129], v[80:81], -v[4:5]
	v_add_f64 v[2:3], v[2:3], v[4:5]
	v_mul_f64 v[4:5], v[134:135], v[74:75]
	v_fma_f64 v[4:5], v[132:133], v[76:77], -v[4:5]
	v_mul_f64 v[0:1], v[138:139], v[0:1]
	s_waitcnt vmcnt(14) lgkmcnt(1)
	v_mul_f64 v[154:155], v[144:145], v[166:167]
	v_add_f64 v[2:3], v[2:3], v[4:5]
	v_fma_f64 v[0:1], v[136:137], v[116:117], -v[0:1]
	s_waitcnt vmcnt(12)
	v_fmac_f64_e32 v[154:155], v[146:147], v[168:169]
	v_add_f64 v[0:1], v[2:3], v[0:1]
	v_mul_f64 v[2:3], v[142:143], v[82:83]
	v_add_f64 v[156:157], v[152:153], v[154:155]
	ds_read_b128 v[152:155], v86 offset:1648
	s_waitcnt lgkmcnt(1)
	v_mul_f64 v[158:159], v[148:149], v[118:119]
	v_fma_f64 v[2:3], v[140:141], v[84:85], -v[2:3]
	v_fmac_f64_e32 v[158:159], v[150:151], v[164:165]
	v_add_f64 v[0:1], v[0:1], v[2:3]
	v_mul_f64 v[2:3], v[146:147], v[166:167]
	v_add_f64 v[182:183], v[156:157], v[158:159]
	ds_read_b128 v[156:159], v86 offset:1664
	ds_read_b128 v[160:163], v86 offset:1680
	v_fma_f64 v[2:3], v[144:145], v[168:169], -v[2:3]
	v_add_f64 v[0:1], v[0:1], v[2:3]
	v_mul_f64 v[2:3], v[150:151], v[118:119]
	v_fma_f64 v[2:3], v[148:149], v[164:165], -v[2:3]
	v_add_f64 v[0:1], v[0:1], v[2:3]
	s_waitcnt vmcnt(6) lgkmcnt(2)
	v_mul_f64 v[2:3], v[154:155], v[174:175]
	v_mul_f64 v[184:185], v[152:153], v[174:175]
	s_waitcnt vmcnt(4)
	v_fma_f64 v[2:3], v[152:153], v[176:177], -v[2:3]
	v_fmac_f64_e32 v[184:185], v[154:155], v[176:177]
	v_add_f64 v[0:1], v[0:1], v[2:3]
	s_waitcnt lgkmcnt(1)
	v_mul_f64 v[2:3], v[158:159], v[170:171]
	v_add_f64 v[86:87], v[182:183], v[184:185]
	v_mul_f64 v[182:183], v[156:157], v[170:171]
	v_fma_f64 v[2:3], v[156:157], v[172:173], -v[2:3]
	v_fmac_f64_e32 v[182:183], v[158:159], v[172:173]
	v_add_f64 v[0:1], v[0:1], v[2:3]
	s_waitcnt vmcnt(2) lgkmcnt(0)
	v_mul_f64 v[2:3], v[162:163], v[178:179]
	v_add_f64 v[86:87], v[86:87], v[182:183]
	v_mul_f64 v[182:183], v[160:161], v[178:179]
	s_waitcnt vmcnt(0)
	v_fma_f64 v[2:3], v[160:161], v[180:181], -v[2:3]
	v_fmac_f64_e32 v[182:183], v[162:163], v[180:181]
	v_add_f64 v[0:1], v[0:1], v[2:3]
	v_add_f64 v[86:87], v[86:87], v[182:183]
	v_add_f64 v[0:1], v[20:21], -v[0:1]
	v_cmp_lt_u32_e32 vcc, 29, v255
	v_add_f64 v[2:3], v[18:19], -v[86:87]
	buffer_store_dword v1, off, s[0:3], 0 offset:500
	buffer_store_dword v0, off, s[0:3], 0 offset:496
	;; [unrolled: 1-line block ×4, first 2 shown]
	s_and_saveexec_b64 s[4:5], vcc
	s_cbranch_execz .LBB52_273
; %bb.272:
	v_accvgpr_read_b32 v0, a129
	buffer_load_dword v2, v0, s[0:3], 0 offen
	buffer_load_dword v3, v0, s[0:3], 0 offen offset:4
	buffer_load_dword v4, v0, s[0:3], 0 offen offset:8
	;; [unrolled: 1-line block ×3, first 2 shown]
	v_mov_b32_e32 v0, 0
	v_accvgpr_read_b32 v1, a159
	buffer_store_dword v0, off, s[0:3], 0 offset:480
	buffer_store_dword v0, off, s[0:3], 0 offset:484
	buffer_store_dword v0, off, s[0:3], 0 offset:488
	buffer_store_dword v0, off, s[0:3], 0 offset:492
	s_waitcnt vmcnt(4)
	ds_write_b128 v1, v[2:5]
.LBB52_273:
	s_or_b64 exec, exec, s[4:5]
	s_waitcnt lgkmcnt(0)
	; wave barrier
	s_waitcnt lgkmcnt(0)
	buffer_load_dword v9, off, s[0:3], 0 offset:508
	buffer_load_dword v6, off, s[0:3], 0 offset:520
	;; [unrolled: 1-line block ×64, first 2 shown]
	v_mov_b32_e32 v98, 0
	ds_read_b128 v[74:77], v98 offset:1328
	ds_read_b128 v[78:81], v98 offset:1344
	buffer_load_dword v67, off, s[0:3], 0 offset:764
	buffer_load_dword v66, off, s[0:3], 0 offset:760
	;; [unrolled: 1-line block ×8, first 2 shown]
	ds_read_b128 v[82:85], v98 offset:1360
	ds_read_b128 v[86:89], v98 offset:1376
	buffer_load_dword v117, off, s[0:3], 0 offset:796
	buffer_load_dword v116, off, s[0:3], 0 offset:792
	;; [unrolled: 1-line block ×24, first 2 shown]
	ds_read_b128 v[168:171], v98 offset:1680
	v_cmp_lt_u32_e32 vcc, 28, v255
	s_waitcnt vmcnt(62) lgkmcnt(1)
	v_mul_f64 v[94:95], v[86:87], v[22:23]
	v_fmac_f64_e32 v[94:95], v[88:89], v[24:25]
	v_mul_f64 v[90:91], v[78:79], v[6:7]
	v_mul_f64 v[0:1], v[74:75], v[8:9]
	;; [unrolled: 1-line block ×3, first 2 shown]
	v_fmac_f64_e32 v[0:1], v[76:77], v[10:11]
	v_add_f64 v[0:1], v[0:1], 0
	v_fma_f64 v[8:9], v[74:75], v[10:11], -v[8:9]
	v_mul_f64 v[6:7], v[80:81], v[6:7]
	v_add_f64 v[8:9], v[8:9], 0
	v_fmac_f64_e32 v[90:91], v[80:81], v[14:15]
	v_add_f64 v[0:1], v[0:1], v[90:91]
	v_mul_f64 v[90:91], v[82:83], v[16:17]
	v_fmac_f64_e32 v[90:91], v[84:85], v[12:13]
	v_add_f64 v[0:1], v[0:1], v[90:91]
	ds_read_b128 v[90:93], v98 offset:1392
	v_add_f64 v[0:1], v[0:1], v[94:95]
	ds_read_b128 v[94:97], v98 offset:1408
	v_fma_f64 v[6:7], v[78:79], v[14:15], -v[6:7]
	v_add_f64 v[6:7], v[8:9], v[6:7]
	s_waitcnt lgkmcnt(1)
	v_mul_f64 v[100:101], v[90:91], v[18:19]
	v_fmac_f64_e32 v[100:101], v[92:93], v[20:21]
	v_add_f64 v[0:1], v[0:1], v[100:101]
	ds_read_b128 v[100:103], v98 offset:1424
	s_waitcnt lgkmcnt(1)
	v_mul_f64 v[104:105], v[94:95], v[30:31]
	v_fmac_f64_e32 v[104:105], v[96:97], v[32:33]
	v_add_f64 v[0:1], v[0:1], v[104:105]
	ds_read_b128 v[104:107], v98 offset:1440
	;; [unrolled: 5-line block ×3, first 2 shown]
	s_waitcnt vmcnt(58) lgkmcnt(1)
	v_mul_f64 v[112:113], v[104:105], v[38:39]
	s_waitcnt vmcnt(56)
	v_fmac_f64_e32 v[112:113], v[106:107], v[40:41]
	v_add_f64 v[0:1], v[0:1], v[112:113]
	ds_read_b128 v[112:115], v98 offset:1472
	s_waitcnt lgkmcnt(1)
	v_mul_f64 v[120:121], v[108:109], v[34:35]
	v_fmac_f64_e32 v[120:121], v[110:111], v[36:37]
	v_add_f64 v[0:1], v[0:1], v[120:121]
	ds_read_b128 v[120:123], v98 offset:1488
	s_waitcnt vmcnt(50) lgkmcnt(1)
	v_mul_f64 v[124:125], v[112:113], v[46:47]
	s_waitcnt vmcnt(48)
	v_fmac_f64_e32 v[124:125], v[114:115], v[48:49]
	v_add_f64 v[0:1], v[0:1], v[124:125]
	ds_read_b128 v[124:127], v98 offset:1504
	v_mul_f64 v[8:9], v[84:85], v[16:17]
	s_waitcnt lgkmcnt(1)
	v_mul_f64 v[128:129], v[120:121], v[42:43]
	v_fma_f64 v[8:9], v[82:83], v[12:13], -v[8:9]
	v_fmac_f64_e32 v[128:129], v[122:123], v[44:45]
	v_add_f64 v[6:7], v[6:7], v[8:9]
	v_mul_f64 v[8:9], v[88:89], v[22:23]
	v_add_f64 v[0:1], v[0:1], v[128:129]
	ds_read_b128 v[128:131], v98 offset:1520
	s_waitcnt vmcnt(42) lgkmcnt(1)
	v_mul_f64 v[132:133], v[124:125], v[54:55]
	v_fma_f64 v[8:9], v[86:87], v[24:25], -v[8:9]
	s_waitcnt vmcnt(40)
	v_fmac_f64_e32 v[132:133], v[126:127], v[56:57]
	v_add_f64 v[6:7], v[6:7], v[8:9]
	v_mul_f64 v[8:9], v[92:93], v[18:19]
	v_add_f64 v[0:1], v[0:1], v[132:133]
	ds_read_b128 v[132:135], v98 offset:1536
	v_fma_f64 v[8:9], v[90:91], v[20:21], -v[8:9]
	v_add_f64 v[6:7], v[6:7], v[8:9]
	v_mul_f64 v[8:9], v[96:97], v[30:31]
	v_fma_f64 v[8:9], v[94:95], v[32:33], -v[8:9]
	s_waitcnt lgkmcnt(1)
	v_mul_f64 v[136:137], v[128:129], v[50:51]
	v_add_f64 v[6:7], v[6:7], v[8:9]
	v_mul_f64 v[8:9], v[102:103], v[26:27]
	v_fmac_f64_e32 v[136:137], v[130:131], v[52:53]
	v_fma_f64 v[8:9], v[100:101], v[28:29], -v[8:9]
	v_add_f64 v[0:1], v[0:1], v[136:137]
	ds_read_b128 v[136:139], v98 offset:1552
	s_waitcnt vmcnt(34) lgkmcnt(1)
	v_mul_f64 v[140:141], v[132:133], v[62:63]
	v_add_f64 v[6:7], v[6:7], v[8:9]
	v_mul_f64 v[8:9], v[106:107], v[38:39]
	s_waitcnt vmcnt(32)
	v_fmac_f64_e32 v[140:141], v[134:135], v[64:65]
	v_fma_f64 v[8:9], v[104:105], v[40:41], -v[8:9]
	v_add_f64 v[0:1], v[0:1], v[140:141]
	ds_read_b128 v[140:143], v98 offset:1568
	v_add_f64 v[6:7], v[6:7], v[8:9]
	v_mul_f64 v[8:9], v[110:111], v[34:35]
	v_fma_f64 v[8:9], v[108:109], v[36:37], -v[8:9]
	v_add_f64 v[6:7], v[6:7], v[8:9]
	v_mul_f64 v[8:9], v[114:115], v[46:47]
	s_waitcnt lgkmcnt(1)
	v_mul_f64 v[144:145], v[136:137], v[58:59]
	v_fma_f64 v[8:9], v[112:113], v[48:49], -v[8:9]
	v_fmac_f64_e32 v[144:145], v[138:139], v[60:61]
	v_add_f64 v[6:7], v[6:7], v[8:9]
	v_mul_f64 v[8:9], v[122:123], v[42:43]
	v_add_f64 v[0:1], v[0:1], v[144:145]
	ds_read_b128 v[144:147], v98 offset:1584
	s_waitcnt vmcnt(26) lgkmcnt(1)
	v_mul_f64 v[148:149], v[140:141], v[70:71]
	v_fma_f64 v[8:9], v[120:121], v[44:45], -v[8:9]
	s_waitcnt vmcnt(24)
	v_fmac_f64_e32 v[148:149], v[142:143], v[72:73]
	v_add_f64 v[6:7], v[6:7], v[8:9]
	v_mul_f64 v[8:9], v[126:127], v[54:55]
	v_add_f64 v[0:1], v[0:1], v[148:149]
	ds_read_b128 v[148:151], v98 offset:1600
	v_fma_f64 v[8:9], v[124:125], v[56:57], -v[8:9]
	v_add_f64 v[6:7], v[6:7], v[8:9]
	v_mul_f64 v[8:9], v[130:131], v[50:51]
	v_fma_f64 v[8:9], v[128:129], v[52:53], -v[8:9]
	s_waitcnt lgkmcnt(1)
	v_mul_f64 v[152:153], v[144:145], v[66:67]
	v_add_f64 v[6:7], v[6:7], v[8:9]
	v_mul_f64 v[8:9], v[134:135], v[62:63]
	v_fmac_f64_e32 v[152:153], v[146:147], v[68:69]
	v_fma_f64 v[8:9], v[132:133], v[64:65], -v[8:9]
	v_add_f64 v[0:1], v[0:1], v[152:153]
	ds_read_b128 v[152:155], v98 offset:1616
	s_waitcnt vmcnt(18) lgkmcnt(1)
	v_mul_f64 v[156:157], v[148:149], v[172:173]
	v_add_f64 v[6:7], v[6:7], v[8:9]
	v_mul_f64 v[8:9], v[138:139], v[58:59]
	s_waitcnt vmcnt(16)
	v_fmac_f64_e32 v[156:157], v[150:151], v[174:175]
	v_fma_f64 v[8:9], v[136:137], v[60:61], -v[8:9]
	v_add_f64 v[0:1], v[0:1], v[156:157]
	ds_read_b128 v[156:159], v98 offset:1632
	v_add_f64 v[6:7], v[6:7], v[8:9]
	v_mul_f64 v[8:9], v[142:143], v[70:71]
	v_fma_f64 v[8:9], v[140:141], v[72:73], -v[8:9]
	v_add_f64 v[6:7], v[6:7], v[8:9]
	v_mul_f64 v[8:9], v[146:147], v[66:67]
	s_waitcnt lgkmcnt(1)
	v_mul_f64 v[160:161], v[152:153], v[116:117]
	v_fma_f64 v[8:9], v[144:145], v[68:69], -v[8:9]
	v_fmac_f64_e32 v[160:161], v[154:155], v[118:119]
	v_add_f64 v[6:7], v[6:7], v[8:9]
	v_mul_f64 v[8:9], v[150:151], v[172:173]
	v_add_f64 v[0:1], v[0:1], v[160:161]
	ds_read_b128 v[160:163], v98 offset:1648
	s_waitcnt vmcnt(10) lgkmcnt(1)
	v_mul_f64 v[164:165], v[156:157], v[180:181]
	v_fma_f64 v[8:9], v[148:149], v[174:175], -v[8:9]
	s_waitcnt vmcnt(8)
	v_fmac_f64_e32 v[164:165], v[158:159], v[182:183]
	v_add_f64 v[6:7], v[6:7], v[8:9]
	v_mul_f64 v[8:9], v[154:155], v[116:117]
	v_add_f64 v[0:1], v[0:1], v[164:165]
	ds_read_b128 v[164:167], v98 offset:1664
	v_fma_f64 v[8:9], v[152:153], v[118:119], -v[8:9]
	v_add_f64 v[6:7], v[6:7], v[8:9]
	v_mul_f64 v[8:9], v[158:159], v[180:181]
	v_fma_f64 v[8:9], v[156:157], v[182:183], -v[8:9]
	v_add_f64 v[6:7], v[6:7], v[8:9]
	s_waitcnt lgkmcnt(1)
	v_mul_f64 v[8:9], v[162:163], v[176:177]
	v_mul_f64 v[192:193], v[160:161], v[176:177]
	v_fma_f64 v[8:9], v[160:161], v[178:179], -v[8:9]
	v_fmac_f64_e32 v[192:193], v[162:163], v[178:179]
	v_add_f64 v[6:7], v[6:7], v[8:9]
	s_waitcnt vmcnt(2) lgkmcnt(0)
	v_mul_f64 v[8:9], v[166:167], v[188:189]
	v_add_f64 v[0:1], v[0:1], v[192:193]
	v_mul_f64 v[192:193], v[164:165], v[188:189]
	s_waitcnt vmcnt(0)
	v_fma_f64 v[8:9], v[164:165], v[190:191], -v[8:9]
	v_fmac_f64_e32 v[192:193], v[166:167], v[190:191]
	v_add_f64 v[6:7], v[6:7], v[8:9]
	v_mul_f64 v[8:9], v[170:171], v[184:185]
	v_add_f64 v[0:1], v[0:1], v[192:193]
	v_mul_f64 v[192:193], v[168:169], v[184:185]
	v_fma_f64 v[8:9], v[168:169], v[186:187], -v[8:9]
	v_fmac_f64_e32 v[192:193], v[170:171], v[186:187]
	v_add_f64 v[6:7], v[6:7], v[8:9]
	v_add_f64 v[0:1], v[0:1], v[192:193]
	v_add_f64 v[4:5], v[4:5], -v[6:7]
	v_add_f64 v[0:1], v[2:3], -v[0:1]
	buffer_store_dword v5, off, s[0:3], 0 offset:484
	buffer_store_dword v4, off, s[0:3], 0 offset:480
	;; [unrolled: 1-line block ×4, first 2 shown]
	s_and_saveexec_b64 s[4:5], vcc
	s_cbranch_execz .LBB52_275
; %bb.274:
	v_accvgpr_read_b32 v0, a130
	buffer_load_dword v2, v0, s[0:3], 0 offen
	buffer_load_dword v3, v0, s[0:3], 0 offen offset:4
	buffer_load_dword v4, v0, s[0:3], 0 offen offset:8
	;; [unrolled: 1-line block ×3, first 2 shown]
	v_accvgpr_read_b32 v0, a159
	buffer_store_dword v98, off, s[0:3], 0 offset:464
	buffer_store_dword v98, off, s[0:3], 0 offset:468
	;; [unrolled: 1-line block ×4, first 2 shown]
	s_waitcnt vmcnt(4)
	ds_write_b128 v0, v[2:5]
.LBB52_275:
	s_or_b64 exec, exec, s[4:5]
	s_waitcnt lgkmcnt(0)
	; wave barrier
	s_waitcnt lgkmcnt(0)
	buffer_load_dword v22, off, s[0:3], 0 offset:480
	buffer_load_dword v23, off, s[0:3], 0 offset:484
	;; [unrolled: 1-line block ×16, first 2 shown]
	ds_read_b128 v[2:5], v98 offset:1312
	ds_read_b128 v[6:9], v98 offset:1328
	;; [unrolled: 1-line block ×4, first 2 shown]
	buffer_load_dword v35, off, s[0:3], 0 offset:556
	buffer_load_dword v34, off, s[0:3], 0 offset:552
	;; [unrolled: 1-line block ×48, first 2 shown]
	v_cmp_lt_u32_e32 vcc, 27, v255
	s_waitcnt vmcnt(42) lgkmcnt(0)
	v_mul_f64 v[104:105], v[14:15], v[38:39]
	s_waitcnt vmcnt(40)
	v_fmac_f64_e32 v[104:105], v[16:17], v[40:41]
	v_mul_f64 v[0:1], v[2:3], v[24:25]
	v_fmac_f64_e32 v[0:1], v[4:5], v[22:23]
	v_add_f64 v[0:1], v[0:1], 0
	v_mul_f64 v[4:5], v[4:5], v[24:25]
	v_mul_f64 v[82:83], v[6:7], v[32:33]
	v_fma_f64 v[2:3], v[2:3], v[22:23], -v[4:5]
	v_mul_f64 v[100:101], v[10:11], v[26:27]
	v_fmac_f64_e32 v[100:101], v[12:13], v[30:31]
	v_fmac_f64_e32 v[82:83], v[8:9], v[28:29]
	v_add_f64 v[0:1], v[0:1], v[82:83]
	buffer_load_dword v83, off, s[0:3], 0 offset:748
	buffer_load_dword v82, off, s[0:3], 0 offset:744
	;; [unrolled: 1-line block ×32, first 2 shown]
	v_add_f64 v[0:1], v[0:1], v[100:101]
	ds_read_b128 v[100:103], v98 offset:1376
	buffer_load_dword v197, off, s[0:3], 0 offset:860
	buffer_load_dword v196, off, s[0:3], 0 offset:856
	;; [unrolled: 1-line block ×4, first 2 shown]
	v_add_f64 v[0:1], v[0:1], v[104:105]
	ds_read_b128 v[104:107], v98 offset:1392
	v_mul_f64 v[4:5], v[8:9], v[32:33]
	s_waitcnt lgkmcnt(1)
	v_mul_f64 v[108:109], v[100:101], v[34:35]
	v_fmac_f64_e32 v[108:109], v[102:103], v[36:37]
	v_add_f64 v[0:1], v[0:1], v[108:109]
	ds_read_b128 v[108:111], v98 offset:1408
	s_waitcnt vmcnt(62) lgkmcnt(1)
	v_mul_f64 v[112:113], v[104:105], v[46:47]
	v_fmac_f64_e32 v[112:113], v[106:107], v[48:49]
	v_add_f64 v[0:1], v[0:1], v[112:113]
	ds_read_b128 v[112:115], v98 offset:1424
	s_waitcnt lgkmcnt(1)
	v_mul_f64 v[120:121], v[108:109], v[42:43]
	v_fmac_f64_e32 v[120:121], v[110:111], v[44:45]
	v_add_f64 v[0:1], v[0:1], v[120:121]
	ds_read_b128 v[120:123], v98 offset:1440
	s_waitcnt lgkmcnt(1)
	v_mul_f64 v[124:125], v[112:113], v[54:55]
	s_waitcnt vmcnt(60)
	v_fmac_f64_e32 v[124:125], v[114:115], v[56:57]
	v_add_f64 v[0:1], v[0:1], v[124:125]
	ds_read_b128 v[124:127], v98 offset:1456
	s_waitcnt lgkmcnt(1)
	v_mul_f64 v[128:129], v[120:121], v[50:51]
	v_fmac_f64_e32 v[128:129], v[122:123], v[52:53]
	v_add_f64 v[0:1], v[0:1], v[128:129]
	ds_read_b128 v[128:131], v98 offset:1472
	s_waitcnt vmcnt(54) lgkmcnt(1)
	v_mul_f64 v[132:133], v[124:125], v[62:63]
	s_waitcnt vmcnt(52)
	v_fmac_f64_e32 v[132:133], v[126:127], v[64:65]
	v_add_f64 v[0:1], v[0:1], v[132:133]
	ds_read_b128 v[132:135], v98 offset:1488
	s_waitcnt lgkmcnt(1)
	v_mul_f64 v[136:137], v[128:129], v[58:59]
	v_fmac_f64_e32 v[136:137], v[130:131], v[60:61]
	v_add_f64 v[2:3], v[2:3], 0
	v_fma_f64 v[4:5], v[6:7], v[28:29], -v[4:5]
	v_add_f64 v[0:1], v[0:1], v[136:137]
	ds_read_b128 v[136:139], v98 offset:1504
	v_add_f64 v[2:3], v[2:3], v[4:5]
	v_mul_f64 v[4:5], v[12:13], v[26:27]
	v_fma_f64 v[4:5], v[10:11], v[30:31], -v[4:5]
	v_add_f64 v[2:3], v[2:3], v[4:5]
	v_mul_f64 v[4:5], v[16:17], v[38:39]
	s_waitcnt vmcnt(46) lgkmcnt(1)
	v_mul_f64 v[140:141], v[132:133], v[70:71]
	v_fma_f64 v[4:5], v[14:15], v[40:41], -v[4:5]
	s_waitcnt vmcnt(44)
	v_fmac_f64_e32 v[140:141], v[134:135], v[72:73]
	v_add_f64 v[2:3], v[2:3], v[4:5]
	v_mul_f64 v[4:5], v[102:103], v[34:35]
	v_add_f64 v[0:1], v[0:1], v[140:141]
	ds_read_b128 v[140:143], v98 offset:1520
	s_waitcnt lgkmcnt(1)
	v_mul_f64 v[144:145], v[136:137], v[66:67]
	v_fma_f64 v[4:5], v[100:101], v[36:37], -v[4:5]
	v_fmac_f64_e32 v[144:145], v[138:139], v[68:69]
	v_add_f64 v[2:3], v[2:3], v[4:5]
	v_mul_f64 v[4:5], v[106:107], v[46:47]
	v_add_f64 v[0:1], v[0:1], v[144:145]
	ds_read_b128 v[144:147], v98 offset:1536
	v_fma_f64 v[4:5], v[104:105], v[48:49], -v[4:5]
	v_add_f64 v[2:3], v[2:3], v[4:5]
	v_mul_f64 v[4:5], v[110:111], v[42:43]
	v_fma_f64 v[4:5], v[108:109], v[44:45], -v[4:5]
	s_waitcnt vmcnt(38) lgkmcnt(1)
	v_mul_f64 v[148:149], v[140:141], v[78:79]
	v_add_f64 v[2:3], v[2:3], v[4:5]
	v_mul_f64 v[4:5], v[114:115], v[54:55]
	s_waitcnt vmcnt(36)
	v_fmac_f64_e32 v[148:149], v[142:143], v[80:81]
	v_fma_f64 v[4:5], v[112:113], v[56:57], -v[4:5]
	v_add_f64 v[0:1], v[0:1], v[148:149]
	ds_read_b128 v[148:151], v98 offset:1552
	s_waitcnt lgkmcnt(1)
	v_mul_f64 v[152:153], v[144:145], v[74:75]
	v_add_f64 v[2:3], v[2:3], v[4:5]
	v_mul_f64 v[4:5], v[122:123], v[50:51]
	v_fmac_f64_e32 v[152:153], v[146:147], v[76:77]
	v_fma_f64 v[4:5], v[120:121], v[52:53], -v[4:5]
	v_add_f64 v[0:1], v[0:1], v[152:153]
	ds_read_b128 v[152:155], v98 offset:1568
	v_add_f64 v[2:3], v[2:3], v[4:5]
	v_mul_f64 v[4:5], v[126:127], v[62:63]
	v_fma_f64 v[4:5], v[124:125], v[64:65], -v[4:5]
	v_add_f64 v[2:3], v[2:3], v[4:5]
	v_mul_f64 v[4:5], v[130:131], v[58:59]
	s_waitcnt vmcnt(30) lgkmcnt(1)
	v_mul_f64 v[156:157], v[148:149], v[86:87]
	v_fma_f64 v[4:5], v[128:129], v[60:61], -v[4:5]
	s_waitcnt vmcnt(28)
	v_fmac_f64_e32 v[156:157], v[150:151], v[88:89]
	v_add_f64 v[2:3], v[2:3], v[4:5]
	v_mul_f64 v[4:5], v[134:135], v[70:71]
	v_add_f64 v[0:1], v[0:1], v[156:157]
	ds_read_b128 v[156:159], v98 offset:1584
	s_waitcnt lgkmcnt(1)
	v_mul_f64 v[160:161], v[152:153], v[82:83]
	v_fma_f64 v[4:5], v[132:133], v[72:73], -v[4:5]
	v_fmac_f64_e32 v[160:161], v[154:155], v[84:85]
	v_add_f64 v[2:3], v[2:3], v[4:5]
	v_mul_f64 v[4:5], v[138:139], v[66:67]
	v_add_f64 v[0:1], v[0:1], v[160:161]
	ds_read_b128 v[160:163], v98 offset:1600
	v_fma_f64 v[4:5], v[136:137], v[68:69], -v[4:5]
	v_add_f64 v[2:3], v[2:3], v[4:5]
	v_mul_f64 v[4:5], v[142:143], v[78:79]
	v_fma_f64 v[4:5], v[140:141], v[80:81], -v[4:5]
	s_waitcnt vmcnt(22) lgkmcnt(1)
	v_mul_f64 v[164:165], v[156:157], v[94:95]
	v_add_f64 v[2:3], v[2:3], v[4:5]
	v_mul_f64 v[4:5], v[146:147], v[74:75]
	s_waitcnt vmcnt(20)
	v_fmac_f64_e32 v[164:165], v[158:159], v[96:97]
	v_fma_f64 v[4:5], v[144:145], v[76:77], -v[4:5]
	v_add_f64 v[0:1], v[0:1], v[164:165]
	ds_read_b128 v[164:167], v98 offset:1616
	s_waitcnt lgkmcnt(1)
	v_mul_f64 v[168:169], v[160:161], v[90:91]
	v_add_f64 v[2:3], v[2:3], v[4:5]
	v_mul_f64 v[4:5], v[150:151], v[86:87]
	v_fmac_f64_e32 v[168:169], v[162:163], v[92:93]
	v_fma_f64 v[4:5], v[148:149], v[88:89], -v[4:5]
	v_add_f64 v[0:1], v[0:1], v[168:169]
	ds_read_b128 v[168:171], v98 offset:1632
	v_add_f64 v[2:3], v[2:3], v[4:5]
	v_mul_f64 v[4:5], v[154:155], v[82:83]
	v_fma_f64 v[4:5], v[152:153], v[84:85], -v[4:5]
	v_add_f64 v[2:3], v[2:3], v[4:5]
	v_mul_f64 v[4:5], v[158:159], v[94:95]
	s_waitcnt vmcnt(14) lgkmcnt(1)
	v_mul_f64 v[172:173], v[164:165], v[184:185]
	v_fma_f64 v[4:5], v[156:157], v[96:97], -v[4:5]
	s_waitcnt vmcnt(12)
	v_fmac_f64_e32 v[172:173], v[166:167], v[186:187]
	v_add_f64 v[2:3], v[2:3], v[4:5]
	v_mul_f64 v[4:5], v[162:163], v[90:91]
	v_add_f64 v[0:1], v[0:1], v[172:173]
	ds_read_b128 v[172:175], v98 offset:1648
	s_waitcnt lgkmcnt(1)
	v_mul_f64 v[176:177], v[168:169], v[116:117]
	v_fma_f64 v[4:5], v[160:161], v[92:93], -v[4:5]
	v_fmac_f64_e32 v[176:177], v[170:171], v[118:119]
	v_add_f64 v[2:3], v[2:3], v[4:5]
	v_mul_f64 v[4:5], v[166:167], v[184:185]
	v_add_f64 v[0:1], v[0:1], v[176:177]
	ds_read_b128 v[176:179], v98 offset:1664
	v_fma_f64 v[4:5], v[164:165], v[186:187], -v[4:5]
	v_add_f64 v[2:3], v[2:3], v[4:5]
	v_mul_f64 v[4:5], v[170:171], v[116:117]
	ds_read_b128 v[180:183], v98 offset:1680
	v_fma_f64 v[4:5], v[168:169], v[118:119], -v[4:5]
	v_add_f64 v[2:3], v[2:3], v[4:5]
	s_waitcnt vmcnt(6) lgkmcnt(2)
	v_mul_f64 v[4:5], v[174:175], v[192:193]
	s_waitcnt vmcnt(4)
	v_fma_f64 v[4:5], v[172:173], v[194:195], -v[4:5]
	v_mul_f64 v[200:201], v[172:173], v[192:193]
	v_add_f64 v[2:3], v[2:3], v[4:5]
	s_waitcnt lgkmcnt(1)
	v_mul_f64 v[4:5], v[178:179], v[188:189]
	v_fmac_f64_e32 v[200:201], v[174:175], v[194:195]
	v_mul_f64 v[98:99], v[176:177], v[188:189]
	v_fma_f64 v[4:5], v[176:177], v[190:191], -v[4:5]
	v_add_f64 v[0:1], v[0:1], v[200:201]
	v_fmac_f64_e32 v[98:99], v[178:179], v[190:191]
	v_add_f64 v[2:3], v[2:3], v[4:5]
	s_waitcnt vmcnt(2) lgkmcnt(0)
	v_mul_f64 v[4:5], v[182:183], v[196:197]
	v_add_f64 v[0:1], v[0:1], v[98:99]
	v_mul_f64 v[98:99], v[180:181], v[196:197]
	s_waitcnt vmcnt(0)
	v_fma_f64 v[4:5], v[180:181], v[198:199], -v[4:5]
	v_fmac_f64_e32 v[98:99], v[182:183], v[198:199]
	v_add_f64 v[2:3], v[2:3], v[4:5]
	v_add_f64 v[0:1], v[0:1], v[98:99]
	v_add_f64 v[2:3], v[20:21], -v[2:3]
	v_add_f64 v[0:1], v[18:19], -v[0:1]
	buffer_store_dword v3, off, s[0:3], 0 offset:468
	buffer_store_dword v2, off, s[0:3], 0 offset:464
	;; [unrolled: 1-line block ×4, first 2 shown]
	s_and_saveexec_b64 s[4:5], vcc
	s_cbranch_execz .LBB52_277
; %bb.276:
	v_accvgpr_read_b32 v0, a131
	buffer_load_dword v2, v0, s[0:3], 0 offen
	buffer_load_dword v3, v0, s[0:3], 0 offen offset:4
	buffer_load_dword v4, v0, s[0:3], 0 offen offset:8
	;; [unrolled: 1-line block ×3, first 2 shown]
	v_mov_b32_e32 v0, 0
	v_accvgpr_read_b32 v1, a159
	buffer_store_dword v0, off, s[0:3], 0 offset:448
	buffer_store_dword v0, off, s[0:3], 0 offset:452
	;; [unrolled: 1-line block ×4, first 2 shown]
	s_waitcnt vmcnt(4)
	ds_write_b128 v1, v[2:5]
.LBB52_277:
	s_or_b64 exec, exec, s[4:5]
	s_waitcnt lgkmcnt(0)
	; wave barrier
	s_waitcnt lgkmcnt(0)
	buffer_load_dword v22, off, s[0:3], 0 offset:464
	buffer_load_dword v23, off, s[0:3], 0 offset:468
	;; [unrolled: 1-line block ×64, first 2 shown]
	v_mov_b32_e32 v114, 0
	ds_read_b128 v[18:21], v114 offset:1296
	ds_read_b128 v[14:17], v114 offset:1312
	;; [unrolled: 1-line block ×5, first 2 shown]
	v_cmp_lt_u32_e32 vcc, 26, v255
	s_waitcnt vmcnt(60) lgkmcnt(4)
	v_mul_f64 v[0:1], v[18:19], v[26:27]
	v_fmac_f64_e32 v[0:1], v[20:21], v[22:23]
	v_add_f64 v[0:1], v[0:1], 0
	v_mul_f64 v[20:21], v[20:21], v[26:27]
	s_waitcnt vmcnt(56) lgkmcnt(3)
	v_mul_f64 v[86:87], v[14:15], v[28:29]
	v_fmac_f64_e32 v[86:87], v[16:17], v[24:25]
	s_waitcnt vmcnt(54) lgkmcnt(2)
	v_mul_f64 v[88:89], v[10:11], v[30:31]
	v_add_f64 v[0:1], v[0:1], v[86:87]
	v_fma_f64 v[18:19], v[18:19], v[22:23], -v[20:21]
	v_mul_f64 v[16:17], v[16:17], v[28:29]
	s_waitcnt vmcnt(50) lgkmcnt(1)
	v_mul_f64 v[102:103], v[6:7], v[40:41]
	v_add_f64 v[18:19], v[18:19], 0
	s_waitcnt vmcnt(48)
	v_fmac_f64_e32 v[88:89], v[12:13], v[44:45]
	v_add_f64 v[0:1], v[0:1], v[88:89]
	buffer_load_dword v87, off, s[0:3], 0 offset:732
	buffer_load_dword v86, off, s[0:3], 0 offset:728
	;; [unrolled: 1-line block ×40, first 2 shown]
	s_waitcnt vmcnt(62)
	v_fmac_f64_e32 v[102:103], v[8:9], v[42:43]
	v_add_f64 v[0:1], v[0:1], v[102:103]
	ds_read_b128 v[102:105], v114 offset:1376
	s_waitcnt lgkmcnt(1)
	v_mul_f64 v[106:107], v[2:3], v[36:37]
	v_fmac_f64_e32 v[106:107], v[4:5], v[38:39]
	v_add_f64 v[0:1], v[0:1], v[106:107]
	ds_read_b128 v[106:109], v114 offset:1392
	s_waitcnt lgkmcnt(1)
	v_mul_f64 v[110:111], v[102:103], v[50:51]
	v_fmac_f64_e32 v[110:111], v[104:105], v[52:53]
	v_add_f64 v[0:1], v[0:1], v[110:111]
	ds_read_b128 v[110:113], v114 offset:1408
	s_waitcnt lgkmcnt(1)
	v_mul_f64 v[120:121], v[106:107], v[46:47]
	v_fmac_f64_e32 v[120:121], v[108:109], v[48:49]
	v_add_f64 v[0:1], v[0:1], v[120:121]
	ds_read_b128 v[120:123], v114 offset:1424
	s_waitcnt lgkmcnt(1)
	v_mul_f64 v[124:125], v[110:111], v[58:59]
	v_fmac_f64_e32 v[124:125], v[112:113], v[60:61]
	v_add_f64 v[0:1], v[0:1], v[124:125]
	ds_read_b128 v[124:127], v114 offset:1440
	s_waitcnt lgkmcnt(1)
	v_mul_f64 v[128:129], v[120:121], v[54:55]
	v_fmac_f64_e32 v[128:129], v[122:123], v[56:57]
	v_add_f64 v[0:1], v[0:1], v[128:129]
	ds_read_b128 v[128:131], v114 offset:1456
	s_waitcnt vmcnt(58) lgkmcnt(1)
	v_mul_f64 v[132:133], v[124:125], v[66:67]
	s_waitcnt vmcnt(56)
	v_fmac_f64_e32 v[132:133], v[126:127], v[68:69]
	v_add_f64 v[0:1], v[0:1], v[132:133]
	ds_read_b128 v[132:135], v114 offset:1472
	s_waitcnt lgkmcnt(1)
	v_mul_f64 v[136:137], v[128:129], v[62:63]
	v_fmac_f64_e32 v[136:137], v[130:131], v[64:65]
	v_add_f64 v[0:1], v[0:1], v[136:137]
	ds_read_b128 v[136:139], v114 offset:1488
	s_waitcnt vmcnt(50) lgkmcnt(1)
	v_mul_f64 v[140:141], v[132:133], v[74:75]
	s_waitcnt vmcnt(48)
	v_fmac_f64_e32 v[140:141], v[134:135], v[76:77]
	v_add_f64 v[0:1], v[0:1], v[140:141]
	ds_read_b128 v[140:143], v114 offset:1504
	v_fma_f64 v[14:15], v[14:15], v[24:25], -v[16:17]
	v_mul_f64 v[12:13], v[12:13], v[30:31]
	v_add_f64 v[14:15], v[18:19], v[14:15]
	v_fma_f64 v[10:11], v[10:11], v[44:45], -v[12:13]
	v_mul_f64 v[8:9], v[8:9], v[40:41]
	s_waitcnt lgkmcnt(1)
	v_mul_f64 v[144:145], v[136:137], v[70:71]
	v_add_f64 v[10:11], v[14:15], v[10:11]
	v_fma_f64 v[6:7], v[6:7], v[42:43], -v[8:9]
	v_mul_f64 v[4:5], v[4:5], v[36:37]
	v_fmac_f64_e32 v[144:145], v[138:139], v[72:73]
	v_add_f64 v[6:7], v[10:11], v[6:7]
	v_fma_f64 v[2:3], v[2:3], v[38:39], -v[4:5]
	v_mul_f64 v[4:5], v[104:105], v[50:51]
	v_add_f64 v[0:1], v[0:1], v[144:145]
	ds_read_b128 v[144:147], v114 offset:1520
	s_waitcnt vmcnt(42) lgkmcnt(1)
	v_mul_f64 v[148:149], v[140:141], v[82:83]
	v_add_f64 v[2:3], v[6:7], v[2:3]
	v_fma_f64 v[4:5], v[102:103], v[52:53], -v[4:5]
	s_waitcnt vmcnt(40)
	v_fmac_f64_e32 v[148:149], v[142:143], v[84:85]
	v_add_f64 v[2:3], v[2:3], v[4:5]
	v_mul_f64 v[4:5], v[108:109], v[46:47]
	v_add_f64 v[0:1], v[0:1], v[148:149]
	ds_read_b128 v[148:151], v114 offset:1536
	v_fma_f64 v[4:5], v[106:107], v[48:49], -v[4:5]
	v_add_f64 v[2:3], v[2:3], v[4:5]
	v_mul_f64 v[4:5], v[112:113], v[58:59]
	v_fma_f64 v[4:5], v[110:111], v[60:61], -v[4:5]
	s_waitcnt lgkmcnt(1)
	v_mul_f64 v[152:153], v[144:145], v[78:79]
	v_add_f64 v[2:3], v[2:3], v[4:5]
	v_mul_f64 v[4:5], v[122:123], v[54:55]
	v_fmac_f64_e32 v[152:153], v[146:147], v[80:81]
	v_fma_f64 v[4:5], v[120:121], v[56:57], -v[4:5]
	v_add_f64 v[0:1], v[0:1], v[152:153]
	ds_read_b128 v[152:155], v114 offset:1552
	s_waitcnt vmcnt(34) lgkmcnt(1)
	v_mul_f64 v[156:157], v[148:149], v[90:91]
	v_add_f64 v[2:3], v[2:3], v[4:5]
	v_mul_f64 v[4:5], v[126:127], v[66:67]
	s_waitcnt vmcnt(32)
	v_fmac_f64_e32 v[156:157], v[150:151], v[92:93]
	v_fma_f64 v[4:5], v[124:125], v[68:69], -v[4:5]
	v_add_f64 v[0:1], v[0:1], v[156:157]
	ds_read_b128 v[156:159], v114 offset:1568
	v_add_f64 v[2:3], v[2:3], v[4:5]
	v_mul_f64 v[4:5], v[130:131], v[62:63]
	v_fma_f64 v[4:5], v[128:129], v[64:65], -v[4:5]
	v_add_f64 v[2:3], v[2:3], v[4:5]
	v_mul_f64 v[4:5], v[134:135], v[74:75]
	s_waitcnt lgkmcnt(1)
	v_mul_f64 v[160:161], v[152:153], v[86:87]
	v_fma_f64 v[4:5], v[132:133], v[76:77], -v[4:5]
	v_fmac_f64_e32 v[160:161], v[154:155], v[88:89]
	v_add_f64 v[2:3], v[2:3], v[4:5]
	v_mul_f64 v[4:5], v[138:139], v[70:71]
	v_add_f64 v[0:1], v[0:1], v[160:161]
	ds_read_b128 v[160:163], v114 offset:1584
	s_waitcnt vmcnt(26) lgkmcnt(1)
	v_mul_f64 v[164:165], v[156:157], v[98:99]
	v_fma_f64 v[4:5], v[136:137], v[72:73], -v[4:5]
	s_waitcnt vmcnt(24)
	v_fmac_f64_e32 v[164:165], v[158:159], v[100:101]
	v_add_f64 v[2:3], v[2:3], v[4:5]
	v_mul_f64 v[4:5], v[142:143], v[82:83]
	v_add_f64 v[0:1], v[0:1], v[164:165]
	ds_read_b128 v[164:167], v114 offset:1600
	v_fma_f64 v[4:5], v[140:141], v[84:85], -v[4:5]
	v_add_f64 v[2:3], v[2:3], v[4:5]
	v_mul_f64 v[4:5], v[146:147], v[78:79]
	v_fma_f64 v[4:5], v[144:145], v[80:81], -v[4:5]
	s_waitcnt lgkmcnt(1)
	v_mul_f64 v[168:169], v[160:161], v[94:95]
	v_add_f64 v[2:3], v[2:3], v[4:5]
	v_mul_f64 v[4:5], v[150:151], v[90:91]
	v_fmac_f64_e32 v[168:169], v[162:163], v[96:97]
	v_fma_f64 v[4:5], v[148:149], v[92:93], -v[4:5]
	v_add_f64 v[0:1], v[0:1], v[168:169]
	ds_read_b128 v[168:171], v114 offset:1616
	s_waitcnt vmcnt(18) lgkmcnt(1)
	v_mul_f64 v[172:173], v[164:165], v[188:189]
	v_add_f64 v[2:3], v[2:3], v[4:5]
	v_mul_f64 v[4:5], v[154:155], v[86:87]
	s_waitcnt vmcnt(16)
	v_fmac_f64_e32 v[172:173], v[166:167], v[190:191]
	v_fma_f64 v[4:5], v[152:153], v[88:89], -v[4:5]
	v_add_f64 v[0:1], v[0:1], v[172:173]
	ds_read_b128 v[172:175], v114 offset:1632
	v_add_f64 v[2:3], v[2:3], v[4:5]
	v_mul_f64 v[4:5], v[158:159], v[98:99]
	v_fma_f64 v[4:5], v[156:157], v[100:101], -v[4:5]
	v_add_f64 v[2:3], v[2:3], v[4:5]
	v_mul_f64 v[4:5], v[162:163], v[94:95]
	s_waitcnt lgkmcnt(1)
	v_mul_f64 v[176:177], v[168:169], v[116:117]
	v_fma_f64 v[4:5], v[160:161], v[96:97], -v[4:5]
	v_fmac_f64_e32 v[176:177], v[170:171], v[118:119]
	v_add_f64 v[2:3], v[2:3], v[4:5]
	v_mul_f64 v[4:5], v[166:167], v[188:189]
	v_add_f64 v[0:1], v[0:1], v[176:177]
	ds_read_b128 v[176:179], v114 offset:1648
	s_waitcnt vmcnt(10) lgkmcnt(1)
	v_mul_f64 v[180:181], v[172:173], v[196:197]
	v_fma_f64 v[4:5], v[164:165], v[190:191], -v[4:5]
	s_waitcnt vmcnt(8)
	v_fmac_f64_e32 v[180:181], v[174:175], v[198:199]
	v_add_f64 v[2:3], v[2:3], v[4:5]
	v_mul_f64 v[4:5], v[170:171], v[116:117]
	v_add_f64 v[0:1], v[0:1], v[180:181]
	ds_read_b128 v[180:183], v114 offset:1664
	ds_read_b128 v[184:187], v114 offset:1680
	v_fma_f64 v[4:5], v[168:169], v[118:119], -v[4:5]
	v_add_f64 v[2:3], v[2:3], v[4:5]
	v_mul_f64 v[4:5], v[174:175], v[196:197]
	v_fma_f64 v[4:5], v[172:173], v[198:199], -v[4:5]
	v_add_f64 v[2:3], v[2:3], v[4:5]
	s_waitcnt lgkmcnt(2)
	v_mul_f64 v[4:5], v[178:179], v[192:193]
	v_mul_f64 v[208:209], v[176:177], v[192:193]
	v_fma_f64 v[4:5], v[176:177], v[194:195], -v[4:5]
	v_fmac_f64_e32 v[208:209], v[178:179], v[194:195]
	v_add_f64 v[2:3], v[2:3], v[4:5]
	s_waitcnt vmcnt(2) lgkmcnt(1)
	v_mul_f64 v[4:5], v[182:183], v[204:205]
	v_add_f64 v[0:1], v[0:1], v[208:209]
	v_mul_f64 v[208:209], v[180:181], v[204:205]
	s_waitcnt vmcnt(0)
	v_fma_f64 v[4:5], v[180:181], v[206:207], -v[4:5]
	v_fmac_f64_e32 v[208:209], v[182:183], v[206:207]
	v_add_f64 v[2:3], v[2:3], v[4:5]
	s_waitcnt lgkmcnt(0)
	v_mul_f64 v[4:5], v[186:187], v[200:201]
	v_add_f64 v[0:1], v[0:1], v[208:209]
	v_mul_f64 v[208:209], v[184:185], v[200:201]
	v_fma_f64 v[4:5], v[184:185], v[202:203], -v[4:5]
	v_fmac_f64_e32 v[208:209], v[186:187], v[202:203]
	v_add_f64 v[2:3], v[2:3], v[4:5]
	v_add_f64 v[0:1], v[0:1], v[208:209]
	v_add_f64 v[2:3], v[34:35], -v[2:3]
	v_add_f64 v[0:1], v[32:33], -v[0:1]
	buffer_store_dword v3, off, s[0:3], 0 offset:452
	buffer_store_dword v2, off, s[0:3], 0 offset:448
	;; [unrolled: 1-line block ×4, first 2 shown]
	s_and_saveexec_b64 s[4:5], vcc
	s_cbranch_execz .LBB52_279
; %bb.278:
	v_accvgpr_read_b32 v0, a132
	buffer_load_dword v2, v0, s[0:3], 0 offen
	buffer_load_dword v3, v0, s[0:3], 0 offen offset:4
	buffer_load_dword v4, v0, s[0:3], 0 offen offset:8
	buffer_load_dword v5, v0, s[0:3], 0 offen offset:12
	v_accvgpr_read_b32 v0, a159
	buffer_store_dword v114, off, s[0:3], 0 offset:432
	buffer_store_dword v114, off, s[0:3], 0 offset:436
	;; [unrolled: 1-line block ×4, first 2 shown]
	s_waitcnt vmcnt(4)
	ds_write_b128 v0, v[2:5]
.LBB52_279:
	s_or_b64 exec, exec, s[4:5]
	s_waitcnt lgkmcnt(0)
	; wave barrier
	s_waitcnt lgkmcnt(0)
	buffer_load_dword v26, off, s[0:3], 0 offset:448
	buffer_load_dword v27, off, s[0:3], 0 offset:452
	;; [unrolled: 1-line block ×24, first 2 shown]
	ds_read_b128 v[22:25], v114 offset:1280
	ds_read_b128 v[18:21], v114 offset:1296
	;; [unrolled: 1-line block ×6, first 2 shown]
	buffer_load_dword v51, off, s[0:3], 0 offset:556
	buffer_load_dword v50, off, s[0:3], 0 offset:552
	;; [unrolled: 1-line block ×40, first 2 shown]
	v_cmp_lt_u32_e32 vcc, 25, v255
	s_waitcnt vmcnt(60) lgkmcnt(5)
	v_mul_f64 v[0:1], v[22:23], v[28:29]
	v_fmac_f64_e32 v[0:1], v[24:25], v[26:27]
	s_waitcnt vmcnt(58) lgkmcnt(4)
	v_mul_f64 v[90:91], v[18:19], v[30:31]
	v_add_f64 v[0:1], v[0:1], 0
	s_waitcnt vmcnt(56) lgkmcnt(3)
	v_mul_f64 v[92:93], v[10:11], v[32:33]
	v_mul_f64 v[24:25], v[24:25], v[28:29]
	v_fma_f64 v[22:23], v[22:23], v[26:27], -v[24:25]
	s_waitcnt vmcnt(54) lgkmcnt(1)
	v_mul_f64 v[116:117], v[2:3], v[38:39]
	v_add_f64 v[22:23], v[22:23], 0
	s_waitcnt vmcnt(51)
	v_mul_f64 v[94:95], v[6:7], v[42:43]
	s_waitcnt vmcnt(49)
	v_fmac_f64_e32 v[90:91], v[20:21], v[48:49]
	v_add_f64 v[0:1], v[0:1], v[90:91]
	s_waitcnt vmcnt(47)
	v_fmac_f64_e32 v[92:93], v[12:13], v[46:47]
	v_add_f64 v[0:1], v[0:1], v[92:93]
	;; [unrolled: 3-line block ×3, first 2 shown]
	buffer_load_dword v91, off, s[0:3], 0 offset:716
	buffer_load_dword v90, off, s[0:3], 0 offset:712
	;; [unrolled: 1-line block ×40, first 2 shown]
	ds_read_b128 v[120:123], v114 offset:1376
	buffer_load_dword v211, off, s[0:3], 0 offset:860
	buffer_load_dword v210, off, s[0:3], 0 offset:856
	;; [unrolled: 1-line block ×4, first 2 shown]
	v_mul_f64 v[20:21], v[20:21], v[30:31]
	v_fma_f64 v[18:19], v[18:19], v[48:49], -v[20:21]
	v_mul_f64 v[12:13], v[12:13], v[32:33]
	s_waitcnt vmcnt(62)
	v_fmac_f64_e32 v[116:117], v[4:5], v[40:41]
	ds_read_b128 v[124:127], v114 offset:1392
	ds_read_b128 v[128:131], v114 offset:1408
	v_add_f64 v[18:19], v[22:23], v[18:19]
	v_fma_f64 v[10:11], v[10:11], v[46:47], -v[12:13]
	v_mul_f64 v[8:9], v[8:9], v[42:43]
	v_add_f64 v[0:1], v[0:1], v[116:117]
	s_waitcnt lgkmcnt(3)
	v_mul_f64 v[116:117], v[14:15], v[54:55]
	v_add_f64 v[10:11], v[18:19], v[10:11]
	v_fma_f64 v[6:7], v[6:7], v[44:45], -v[8:9]
	v_mul_f64 v[4:5], v[4:5], v[38:39]
	v_fmac_f64_e32 v[116:117], v[16:17], v[56:57]
	v_add_f64 v[6:7], v[10:11], v[6:7]
	v_fma_f64 v[2:3], v[2:3], v[40:41], -v[4:5]
	v_mul_f64 v[4:5], v[16:17], v[54:55]
	v_add_f64 v[0:1], v[0:1], v[116:117]
	s_waitcnt lgkmcnt(2)
	v_mul_f64 v[116:117], v[120:121], v[50:51]
	v_add_f64 v[2:3], v[6:7], v[2:3]
	v_fma_f64 v[4:5], v[14:15], v[56:57], -v[4:5]
	v_fmac_f64_e32 v[116:117], v[122:123], v[52:53]
	ds_read_b128 v[132:135], v114 offset:1424
	ds_read_b128 v[136:139], v114 offset:1440
	v_add_f64 v[2:3], v[2:3], v[4:5]
	v_mul_f64 v[4:5], v[122:123], v[50:51]
	v_add_f64 v[0:1], v[0:1], v[116:117]
	s_waitcnt lgkmcnt(3)
	v_mul_f64 v[116:117], v[124:125], v[62:63]
	v_fma_f64 v[4:5], v[120:121], v[52:53], -v[4:5]
	v_fmac_f64_e32 v[116:117], v[126:127], v[64:65]
	v_add_f64 v[2:3], v[2:3], v[4:5]
	v_mul_f64 v[4:5], v[126:127], v[62:63]
	v_add_f64 v[0:1], v[0:1], v[116:117]
	s_waitcnt lgkmcnt(2)
	v_mul_f64 v[116:117], v[128:129], v[58:59]
	v_fma_f64 v[4:5], v[124:125], v[64:65], -v[4:5]
	v_fmac_f64_e32 v[116:117], v[130:131], v[60:61]
	ds_read_b128 v[140:143], v114 offset:1456
	ds_read_b128 v[144:147], v114 offset:1472
	v_add_f64 v[2:3], v[2:3], v[4:5]
	v_mul_f64 v[4:5], v[130:131], v[58:59]
	v_add_f64 v[0:1], v[0:1], v[116:117]
	s_waitcnt lgkmcnt(3)
	v_mul_f64 v[116:117], v[132:133], v[70:71]
	v_fma_f64 v[4:5], v[128:129], v[60:61], -v[4:5]
	s_waitcnt vmcnt(60)
	v_fmac_f64_e32 v[116:117], v[134:135], v[72:73]
	v_add_f64 v[2:3], v[2:3], v[4:5]
	v_mul_f64 v[4:5], v[134:135], v[70:71]
	v_add_f64 v[0:1], v[0:1], v[116:117]
	s_waitcnt lgkmcnt(2)
	v_mul_f64 v[116:117], v[136:137], v[66:67]
	v_fma_f64 v[4:5], v[132:133], v[72:73], -v[4:5]
	v_fmac_f64_e32 v[116:117], v[138:139], v[68:69]
	ds_read_b128 v[148:151], v114 offset:1488
	ds_read_b128 v[152:155], v114 offset:1504
	v_add_f64 v[2:3], v[2:3], v[4:5]
	v_mul_f64 v[4:5], v[138:139], v[66:67]
	v_add_f64 v[0:1], v[0:1], v[116:117]
	s_waitcnt vmcnt(54) lgkmcnt(3)
	v_mul_f64 v[116:117], v[140:141], v[78:79]
	v_fma_f64 v[4:5], v[136:137], v[68:69], -v[4:5]
	s_waitcnt vmcnt(52)
	v_fmac_f64_e32 v[116:117], v[142:143], v[80:81]
	v_add_f64 v[2:3], v[2:3], v[4:5]
	v_mul_f64 v[4:5], v[142:143], v[78:79]
	v_add_f64 v[0:1], v[0:1], v[116:117]
	s_waitcnt lgkmcnt(2)
	v_mul_f64 v[116:117], v[144:145], v[74:75]
	v_fma_f64 v[4:5], v[140:141], v[80:81], -v[4:5]
	v_fmac_f64_e32 v[116:117], v[146:147], v[76:77]
	ds_read_b128 v[156:159], v114 offset:1520
	ds_read_b128 v[160:163], v114 offset:1536
	v_add_f64 v[2:3], v[2:3], v[4:5]
	v_mul_f64 v[4:5], v[146:147], v[74:75]
	v_add_f64 v[0:1], v[0:1], v[116:117]
	s_waitcnt vmcnt(46) lgkmcnt(3)
	;; [unrolled: 17-line block ×5, first 2 shown]
	v_mul_f64 v[116:117], v[172:173], v[110:111]
	v_fma_f64 v[4:5], v[168:169], v[100:101], -v[4:5]
	s_waitcnt vmcnt(20)
	v_fmac_f64_e32 v[116:117], v[174:175], v[112:113]
	v_add_f64 v[2:3], v[2:3], v[4:5]
	v_mul_f64 v[4:5], v[174:175], v[110:111]
	v_add_f64 v[0:1], v[0:1], v[116:117]
	s_waitcnt lgkmcnt(2)
	v_mul_f64 v[116:117], v[176:177], v[106:107]
	v_fma_f64 v[4:5], v[172:173], v[112:113], -v[4:5]
	v_fmac_f64_e32 v[116:117], v[178:179], v[108:109]
	v_add_f64 v[2:3], v[2:3], v[4:5]
	v_mul_f64 v[4:5], v[178:179], v[106:107]
	v_add_f64 v[0:1], v[0:1], v[116:117]
	s_waitcnt vmcnt(14) lgkmcnt(1)
	v_mul_f64 v[116:117], v[180:181], v[198:199]
	ds_read_b128 v[188:191], v114 offset:1648
	ds_read_b128 v[192:195], v114 offset:1664
	v_fma_f64 v[4:5], v[176:177], v[108:109], -v[4:5]
	s_waitcnt vmcnt(12)
	v_fmac_f64_e32 v[116:117], v[182:183], v[200:201]
	v_add_f64 v[2:3], v[2:3], v[4:5]
	v_mul_f64 v[4:5], v[182:183], v[198:199]
	v_add_f64 v[0:1], v[0:1], v[116:117]
	s_waitcnt lgkmcnt(2)
	v_mul_f64 v[116:117], v[184:185], v[118:119]
	v_fma_f64 v[4:5], v[180:181], v[200:201], -v[4:5]
	v_fmac_f64_e32 v[116:117], v[186:187], v[196:197]
	v_add_f64 v[2:3], v[2:3], v[4:5]
	v_mul_f64 v[4:5], v[186:187], v[118:119]
	v_add_f64 v[0:1], v[0:1], v[116:117]
	ds_read_b128 v[114:117], v114 offset:1680
	v_fma_f64 v[4:5], v[184:185], v[196:197], -v[4:5]
	v_add_f64 v[2:3], v[2:3], v[4:5]
	s_waitcnt vmcnt(6) lgkmcnt(2)
	v_mul_f64 v[4:5], v[190:191], v[206:207]
	v_mul_f64 v[214:215], v[188:189], v[206:207]
	s_waitcnt vmcnt(4)
	v_fma_f64 v[4:5], v[188:189], v[208:209], -v[4:5]
	v_fmac_f64_e32 v[214:215], v[190:191], v[208:209]
	v_add_f64 v[2:3], v[2:3], v[4:5]
	s_waitcnt lgkmcnt(1)
	v_mul_f64 v[4:5], v[194:195], v[202:203]
	v_add_f64 v[0:1], v[0:1], v[214:215]
	v_mul_f64 v[214:215], v[192:193], v[202:203]
	v_fma_f64 v[4:5], v[192:193], v[204:205], -v[4:5]
	v_fmac_f64_e32 v[214:215], v[194:195], v[204:205]
	v_add_f64 v[2:3], v[2:3], v[4:5]
	s_waitcnt vmcnt(2) lgkmcnt(0)
	v_mul_f64 v[4:5], v[116:117], v[210:211]
	v_add_f64 v[0:1], v[0:1], v[214:215]
	v_mul_f64 v[214:215], v[114:115], v[210:211]
	s_waitcnt vmcnt(0)
	v_fma_f64 v[4:5], v[114:115], v[212:213], -v[4:5]
	v_fmac_f64_e32 v[214:215], v[116:117], v[212:213]
	v_add_f64 v[2:3], v[2:3], v[4:5]
	v_add_f64 v[0:1], v[0:1], v[214:215]
	v_add_f64 v[2:3], v[36:37], -v[2:3]
	v_add_f64 v[0:1], v[34:35], -v[0:1]
	buffer_store_dword v3, off, s[0:3], 0 offset:436
	buffer_store_dword v2, off, s[0:3], 0 offset:432
	;; [unrolled: 1-line block ×4, first 2 shown]
	s_and_saveexec_b64 s[4:5], vcc
	s_cbranch_execz .LBB52_281
; %bb.280:
	v_accvgpr_read_b32 v0, a133
	buffer_load_dword v2, v0, s[0:3], 0 offen
	buffer_load_dword v3, v0, s[0:3], 0 offen offset:4
	buffer_load_dword v4, v0, s[0:3], 0 offen offset:8
	;; [unrolled: 1-line block ×3, first 2 shown]
	v_mov_b32_e32 v0, 0
	v_accvgpr_read_b32 v1, a159
	buffer_store_dword v0, off, s[0:3], 0 offset:416
	buffer_store_dword v0, off, s[0:3], 0 offset:420
	;; [unrolled: 1-line block ×4, first 2 shown]
	s_waitcnt vmcnt(4)
	ds_write_b128 v1, v[2:5]
.LBB52_281:
	s_or_b64 exec, exec, s[4:5]
	s_waitcnt lgkmcnt(0)
	; wave barrier
	s_waitcnt lgkmcnt(0)
	buffer_load_dword v30, off, s[0:3], 0 offset:432
	buffer_load_dword v31, off, s[0:3], 0 offset:436
	;; [unrolled: 1-line block ×56, first 2 shown]
	v_mov_b32_e32 v136, 0
	ds_read_b128 v[26:29], v136 offset:1264
	ds_read_b128 v[22:25], v136 offset:1280
	;; [unrolled: 1-line block ×7, first 2 shown]
	v_cmp_lt_u32_e32 vcc, 24, v255
	s_waitcnt vmcnt(52) lgkmcnt(6)
	v_mul_f64 v[0:1], v[26:27], v[34:35]
	v_fmac_f64_e32 v[0:1], v[28:29], v[30:31]
	v_add_f64 v[0:1], v[0:1], 0
	v_mul_f64 v[28:29], v[28:29], v[34:35]
	s_waitcnt vmcnt(48) lgkmcnt(5)
	v_mul_f64 v[86:87], v[22:23], v[36:37]
	v_fmac_f64_e32 v[86:87], v[24:25], v[32:33]
	s_waitcnt vmcnt(46) lgkmcnt(4)
	v_mul_f64 v[88:89], v[18:19], v[38:39]
	v_add_f64 v[0:1], v[0:1], v[86:87]
	s_waitcnt vmcnt(44) lgkmcnt(2)
	v_mul_f64 v[92:93], v[10:11], v[40:41]
	v_fma_f64 v[26:27], v[26:27], v[30:31], -v[28:29]
	s_waitcnt vmcnt(42)
	v_fmac_f64_e32 v[92:93], v[12:13], v[42:43]
	v_mul_f64 v[24:25], v[24:25], v[36:37]
	s_waitcnt vmcnt(40)
	v_mul_f64 v[90:91], v[14:15], v[48:49]
	v_add_f64 v[26:27], v[26:27], 0
	v_fma_f64 v[22:23], v[22:23], v[32:33], -v[24:25]
	v_add_f64 v[22:23], v[26:27], v[22:23]
	s_waitcnt vmcnt(36) lgkmcnt(1)
	v_mul_f64 v[110:111], v[6:7], v[54:55]
	v_mul_f64 v[12:13], v[12:13], v[40:41]
	s_waitcnt vmcnt(34)
	v_fmac_f64_e32 v[88:89], v[20:21], v[60:61]
	v_add_f64 v[0:1], v[0:1], v[88:89]
	s_waitcnt vmcnt(32)
	v_fmac_f64_e32 v[90:91], v[16:17], v[58:59]
	v_add_f64 v[0:1], v[0:1], v[90:91]
	v_add_f64 v[116:117], v[0:1], v[92:93]
	buffer_load_dword v87, off, s[0:3], 0 offset:668
	buffer_load_dword v86, off, s[0:3], 0 offset:664
	;; [unrolled: 1-line block ×56, first 2 shown]
	ds_read_b128 v[126:129], v136 offset:1376
	ds_read_b128 v[130:133], v136 offset:1392
	v_mul_f64 v[20:21], v[20:21], v[38:39]
	v_fma_f64 v[18:19], v[18:19], v[60:61], -v[20:21]
	v_mul_f64 v[16:17], v[16:17], v[48:49]
	s_waitcnt vmcnt(62)
	v_fmac_f64_e32 v[110:111], v[8:9], v[56:57]
	v_add_f64 v[18:19], v[22:23], v[18:19]
	v_fma_f64 v[14:15], v[14:15], v[58:59], -v[16:17]
	v_add_f64 v[110:111], v[116:117], v[110:111]
	s_waitcnt lgkmcnt(2)
	v_mul_f64 v[116:117], v[2:3], v[50:51]
	v_add_f64 v[14:15], v[18:19], v[14:15]
	v_fma_f64 v[10:11], v[10:11], v[42:43], -v[12:13]
	v_mul_f64 v[8:9], v[8:9], v[54:55]
	v_fmac_f64_e32 v[116:117], v[4:5], v[52:53]
	ds_read_b128 v[138:141], v136 offset:1408
	ds_read_b128 v[142:145], v136 offset:1424
	v_add_f64 v[10:11], v[14:15], v[10:11]
	v_fma_f64 v[6:7], v[6:7], v[56:57], -v[8:9]
	v_mul_f64 v[4:5], v[4:5], v[50:51]
	v_add_f64 v[110:111], v[110:111], v[116:117]
	s_waitcnt lgkmcnt(3)
	v_mul_f64 v[116:117], v[126:127], v[66:67]
	v_add_f64 v[6:7], v[10:11], v[6:7]
	v_fma_f64 v[2:3], v[2:3], v[52:53], -v[4:5]
	v_mul_f64 v[4:5], v[128:129], v[66:67]
	v_fmac_f64_e32 v[116:117], v[128:129], v[68:69]
	v_add_f64 v[2:3], v[6:7], v[2:3]
	v_fma_f64 v[4:5], v[126:127], v[68:69], -v[4:5]
	v_add_f64 v[110:111], v[110:111], v[116:117]
	s_waitcnt lgkmcnt(2)
	v_mul_f64 v[116:117], v[130:131], v[62:63]
	v_add_f64 v[2:3], v[2:3], v[4:5]
	v_mul_f64 v[4:5], v[132:133], v[62:63]
	v_fmac_f64_e32 v[116:117], v[132:133], v[64:65]
	ds_read_b128 v[146:149], v136 offset:1440
	ds_read_b128 v[150:153], v136 offset:1456
	v_fma_f64 v[4:5], v[130:131], v[64:65], -v[4:5]
	v_add_f64 v[110:111], v[110:111], v[116:117]
	s_waitcnt lgkmcnt(3)
	v_mul_f64 v[116:117], v[138:139], v[74:75]
	v_add_f64 v[2:3], v[2:3], v[4:5]
	v_mul_f64 v[4:5], v[140:141], v[74:75]
	v_fmac_f64_e32 v[116:117], v[140:141], v[76:77]
	v_fma_f64 v[4:5], v[138:139], v[76:77], -v[4:5]
	v_add_f64 v[110:111], v[110:111], v[116:117]
	s_waitcnt lgkmcnt(2)
	v_mul_f64 v[116:117], v[142:143], v[70:71]
	v_add_f64 v[2:3], v[2:3], v[4:5]
	v_mul_f64 v[4:5], v[144:145], v[70:71]
	v_fmac_f64_e32 v[116:117], v[144:145], v[72:73]
	ds_read_b128 v[154:157], v136 offset:1472
	ds_read_b128 v[158:161], v136 offset:1488
	v_fma_f64 v[4:5], v[142:143], v[72:73], -v[4:5]
	v_add_f64 v[110:111], v[110:111], v[116:117]
	s_waitcnt vmcnt(58) lgkmcnt(3)
	v_mul_f64 v[116:117], v[146:147], v[82:83]
	v_add_f64 v[2:3], v[2:3], v[4:5]
	v_mul_f64 v[4:5], v[148:149], v[82:83]
	s_waitcnt vmcnt(56)
	v_fmac_f64_e32 v[116:117], v[148:149], v[84:85]
	v_fma_f64 v[4:5], v[146:147], v[84:85], -v[4:5]
	v_add_f64 v[110:111], v[110:111], v[116:117]
	s_waitcnt lgkmcnt(2)
	v_mul_f64 v[116:117], v[150:151], v[78:79]
	v_add_f64 v[2:3], v[2:3], v[4:5]
	v_mul_f64 v[4:5], v[152:153], v[78:79]
	v_fmac_f64_e32 v[116:117], v[152:153], v[80:81]
	ds_read_b128 v[162:165], v136 offset:1504
	ds_read_b128 v[166:169], v136 offset:1520
	v_fma_f64 v[4:5], v[150:151], v[80:81], -v[4:5]
	v_add_f64 v[110:111], v[110:111], v[116:117]
	s_waitcnt vmcnt(50) lgkmcnt(3)
	v_mul_f64 v[116:117], v[154:155], v[90:91]
	v_add_f64 v[2:3], v[2:3], v[4:5]
	v_mul_f64 v[4:5], v[156:157], v[90:91]
	s_waitcnt vmcnt(48)
	;; [unrolled: 17-line block ×7, first 2 shown]
	v_fma_f64 v[2:3], v[194:195], v[216:217], -v[2:3]
	v_fmac_f64_e32 v[116:117], v[196:197], v[216:217]
	v_add_f64 v[0:1], v[0:1], v[2:3]
	s_waitcnt lgkmcnt(2)
	v_mul_f64 v[2:3], v[200:201], v[210:211]
	v_add_f64 v[110:111], v[110:111], v[116:117]
	v_mul_f64 v[116:117], v[198:199], v[210:211]
	v_fma_f64 v[2:3], v[198:199], v[212:213], -v[2:3]
	v_fmac_f64_e32 v[116:117], v[200:201], v[212:213]
	v_add_f64 v[0:1], v[0:1], v[2:3]
	s_waitcnt vmcnt(2) lgkmcnt(1)
	v_mul_f64 v[2:3], v[204:205], v[222:223]
	v_add_f64 v[110:111], v[110:111], v[116:117]
	v_mul_f64 v[116:117], v[202:203], v[222:223]
	s_waitcnt vmcnt(0)
	v_fma_f64 v[2:3], v[202:203], v[224:225], -v[2:3]
	v_fmac_f64_e32 v[116:117], v[204:205], v[224:225]
	v_add_f64 v[0:1], v[0:1], v[2:3]
	s_waitcnt lgkmcnt(0)
	v_mul_f64 v[2:3], v[208:209], v[218:219]
	v_add_f64 v[110:111], v[110:111], v[116:117]
	v_mul_f64 v[116:117], v[206:207], v[218:219]
	v_fma_f64 v[2:3], v[206:207], v[220:221], -v[2:3]
	v_fmac_f64_e32 v[116:117], v[208:209], v[220:221]
	v_add_f64 v[0:1], v[0:1], v[2:3]
	v_add_f64 v[110:111], v[110:111], v[116:117]
	v_add_f64 v[0:1], v[46:47], -v[0:1]
	v_add_f64 v[2:3], v[44:45], -v[110:111]
	buffer_store_dword v1, off, s[0:3], 0 offset:420
	buffer_store_dword v0, off, s[0:3], 0 offset:416
	;; [unrolled: 1-line block ×4, first 2 shown]
	s_and_saveexec_b64 s[4:5], vcc
	s_cbranch_execz .LBB52_283
; %bb.282:
	v_accvgpr_read_b32 v0, a134
	buffer_load_dword v2, v0, s[0:3], 0 offen
	buffer_load_dword v3, v0, s[0:3], 0 offen offset:4
	buffer_load_dword v4, v0, s[0:3], 0 offen offset:8
	;; [unrolled: 1-line block ×3, first 2 shown]
	v_accvgpr_read_b32 v0, a159
	buffer_store_dword v136, off, s[0:3], 0 offset:400
	buffer_store_dword v136, off, s[0:3], 0 offset:404
	;; [unrolled: 1-line block ×4, first 2 shown]
	s_waitcnt vmcnt(4)
	ds_write_b128 v0, v[2:5]
.LBB52_283:
	s_or_b64 exec, exec, s[4:5]
	s_waitcnt lgkmcnt(0)
	; wave barrier
	s_waitcnt lgkmcnt(0)
	buffer_load_dword v34, off, s[0:3], 0 offset:416
	buffer_load_dword v35, off, s[0:3], 0 offset:420
	;; [unrolled: 1-line block ×32, first 2 shown]
	ds_read_b128 v[30:33], v136 offset:1248
	ds_read_b128 v[26:29], v136 offset:1264
	;; [unrolled: 1-line block ×8, first 2 shown]
	buffer_load_dword v67, off, s[0:3], 0 offset:556
	buffer_load_dword v66, off, s[0:3], 0 offset:552
	;; [unrolled: 1-line block ×24, first 2 shown]
	v_cmp_lt_u32_e32 vcc, 23, v255
	s_waitcnt vmcnt(52) lgkmcnt(7)
	v_mul_f64 v[0:1], v[30:31], v[38:39]
	v_fmac_f64_e32 v[0:1], v[32:33], v[34:35]
	v_add_f64 v[0:1], v[0:1], 0
	v_mul_f64 v[32:33], v[32:33], v[38:39]
	s_waitcnt vmcnt(48) lgkmcnt(6)
	v_mul_f64 v[90:91], v[26:27], v[40:41]
	v_fmac_f64_e32 v[90:91], v[28:29], v[36:37]
	s_waitcnt vmcnt(46) lgkmcnt(5)
	v_mul_f64 v[92:93], v[22:23], v[42:43]
	v_add_f64 v[0:1], v[0:1], v[90:91]
	s_waitcnt vmcnt(44) lgkmcnt(4)
	v_mul_f64 v[94:95], v[18:19], v[48:49]
	v_fma_f64 v[30:31], v[30:31], v[34:35], -v[32:33]
	s_waitcnt vmcnt(42) lgkmcnt(1)
	v_mul_f64 v[124:125], v[2:3], v[50:51]
	v_mul_f64 v[28:29], v[28:29], v[40:41]
	s_waitcnt vmcnt(18) lgkmcnt(0)
	v_mul_f64 v[140:141], v[14:15], v[70:71]
	v_mul_f64 v[98:99], v[6:7], v[54:55]
	s_waitcnt vmcnt(16)
	v_fmac_f64_e32 v[140:141], v[16:17], v[72:73]
	v_mul_f64 v[96:97], v[10:11], v[56:57]
	v_add_f64 v[30:31], v[30:31], 0
	v_fmac_f64_e32 v[96:97], v[12:13], v[58:59]
	v_fma_f64 v[26:27], v[26:27], v[36:37], -v[28:29]
	v_fmac_f64_e32 v[92:93], v[24:25], v[64:65]
	v_add_f64 v[0:1], v[0:1], v[92:93]
	v_fmac_f64_e32 v[94:95], v[20:21], v[62:63]
	v_add_f64 v[0:1], v[0:1], v[94:95]
	;; [unrolled: 2-line block ×3, first 2 shown]
	v_add_f64 v[126:127], v[0:1], v[98:99]
	buffer_load_dword v91, off, s[0:3], 0 offset:652
	buffer_load_dword v90, off, s[0:3], 0 offset:648
	;; [unrolled: 1-line block ×56, first 2 shown]
	v_fmac_f64_e32 v[124:125], v[4:5], v[52:53]
	v_add_f64 v[138:139], v[126:127], v[124:125]
	ds_read_b128 v[124:127], v136 offset:1376
	buffer_load_dword v227, off, s[0:3], 0 offset:860
	buffer_load_dword v226, off, s[0:3], 0 offset:856
	;; [unrolled: 1-line block ×4, first 2 shown]
	v_add_f64 v[142:143], v[138:139], v[140:141]
	ds_read_b128 v[138:141], v136 offset:1392
	v_mul_f64 v[24:25], v[24:25], v[42:43]
	s_waitcnt lgkmcnt(1)
	v_mul_f64 v[144:145], v[124:125], v[66:67]
	v_fmac_f64_e32 v[144:145], v[126:127], v[68:69]
	v_add_f64 v[146:147], v[142:143], v[144:145]
	ds_read_b128 v[142:145], v136 offset:1408
	s_waitcnt vmcnt(62) lgkmcnt(1)
	v_mul_f64 v[148:149], v[138:139], v[78:79]
	v_fmac_f64_e32 v[148:149], v[140:141], v[80:81]
	v_add_f64 v[150:151], v[146:147], v[148:149]
	ds_read_b128 v[146:149], v136 offset:1424
	s_waitcnt lgkmcnt(1)
	v_mul_f64 v[152:153], v[142:143], v[74:75]
	v_fmac_f64_e32 v[152:153], v[144:145], v[76:77]
	v_add_f64 v[154:155], v[150:151], v[152:153]
	ds_read_b128 v[150:153], v136 offset:1440
	s_waitcnt lgkmcnt(1)
	v_mul_f64 v[156:157], v[146:147], v[86:87]
	s_waitcnt vmcnt(60)
	v_fmac_f64_e32 v[156:157], v[148:149], v[88:89]
	v_add_f64 v[158:159], v[154:155], v[156:157]
	ds_read_b128 v[154:157], v136 offset:1456
	s_waitcnt lgkmcnt(1)
	v_mul_f64 v[160:161], v[150:151], v[82:83]
	v_fmac_f64_e32 v[160:161], v[152:153], v[84:85]
	v_add_f64 v[162:163], v[158:159], v[160:161]
	ds_read_b128 v[158:161], v136 offset:1472
	v_add_f64 v[26:27], v[30:31], v[26:27]
	v_fma_f64 v[22:23], v[22:23], v[64:65], -v[24:25]
	s_waitcnt vmcnt(54) lgkmcnt(1)
	v_mul_f64 v[164:165], v[154:155], v[94:95]
	v_mul_f64 v[20:21], v[20:21], v[48:49]
	s_waitcnt vmcnt(52)
	v_fmac_f64_e32 v[164:165], v[156:157], v[96:97]
	v_add_f64 v[166:167], v[162:163], v[164:165]
	ds_read_b128 v[162:165], v136 offset:1488
	s_waitcnt lgkmcnt(1)
	v_mul_f64 v[168:169], v[158:159], v[90:91]
	v_fmac_f64_e32 v[168:169], v[160:161], v[92:93]
	v_add_f64 v[170:171], v[166:167], v[168:169]
	ds_read_b128 v[166:169], v136 offset:1504
	v_add_f64 v[22:23], v[26:27], v[22:23]
	v_fma_f64 v[18:19], v[18:19], v[62:63], -v[20:21]
	v_mul_f64 v[12:13], v[12:13], v[56:57]
	v_add_f64 v[18:19], v[22:23], v[18:19]
	v_fma_f64 v[10:11], v[10:11], v[58:59], -v[12:13]
	v_mul_f64 v[8:9], v[8:9], v[54:55]
	;; [unrolled: 3-line block ×3, first 2 shown]
	s_waitcnt vmcnt(46) lgkmcnt(1)
	v_mul_f64 v[172:173], v[162:163], v[102:103]
	v_add_f64 v[6:7], v[10:11], v[6:7]
	v_fma_f64 v[2:3], v[2:3], v[52:53], -v[4:5]
	v_mul_f64 v[4:5], v[16:17], v[70:71]
	s_waitcnt vmcnt(44)
	v_fmac_f64_e32 v[172:173], v[164:165], v[104:105]
	v_add_f64 v[2:3], v[6:7], v[2:3]
	v_fma_f64 v[4:5], v[14:15], v[72:73], -v[4:5]
	v_add_f64 v[174:175], v[170:171], v[172:173]
	ds_read_b128 v[170:173], v136 offset:1520
	s_waitcnt lgkmcnt(1)
	v_mul_f64 v[176:177], v[166:167], v[98:99]
	v_add_f64 v[2:3], v[2:3], v[4:5]
	v_mul_f64 v[4:5], v[126:127], v[66:67]
	v_fmac_f64_e32 v[176:177], v[168:169], v[100:101]
	v_fma_f64 v[4:5], v[124:125], v[68:69], -v[4:5]
	v_add_f64 v[178:179], v[174:175], v[176:177]
	ds_read_b128 v[174:177], v136 offset:1536
	v_add_f64 v[2:3], v[2:3], v[4:5]
	v_mul_f64 v[4:5], v[140:141], v[78:79]
	v_fma_f64 v[4:5], v[138:139], v[80:81], -v[4:5]
	v_add_f64 v[2:3], v[2:3], v[4:5]
	v_mul_f64 v[4:5], v[144:145], v[74:75]
	s_waitcnt vmcnt(38) lgkmcnt(1)
	v_mul_f64 v[180:181], v[170:171], v[110:111]
	v_fma_f64 v[4:5], v[142:143], v[76:77], -v[4:5]
	s_waitcnt vmcnt(36)
	v_fmac_f64_e32 v[180:181], v[172:173], v[112:113]
	v_add_f64 v[2:3], v[2:3], v[4:5]
	v_mul_f64 v[4:5], v[148:149], v[86:87]
	v_add_f64 v[182:183], v[178:179], v[180:181]
	ds_read_b128 v[178:181], v136 offset:1552
	s_waitcnt lgkmcnt(1)
	v_mul_f64 v[184:185], v[174:175], v[106:107]
	v_fma_f64 v[4:5], v[146:147], v[88:89], -v[4:5]
	v_fmac_f64_e32 v[184:185], v[176:177], v[108:109]
	v_add_f64 v[2:3], v[2:3], v[4:5]
	v_mul_f64 v[4:5], v[152:153], v[82:83]
	v_add_f64 v[186:187], v[182:183], v[184:185]
	ds_read_b128 v[182:185], v136 offset:1568
	v_fma_f64 v[4:5], v[150:151], v[84:85], -v[4:5]
	v_add_f64 v[2:3], v[2:3], v[4:5]
	v_mul_f64 v[4:5], v[156:157], v[94:95]
	v_fma_f64 v[4:5], v[154:155], v[96:97], -v[4:5]
	s_waitcnt vmcnt(30) lgkmcnt(1)
	v_mul_f64 v[188:189], v[178:179], v[120:121]
	v_add_f64 v[2:3], v[2:3], v[4:5]
	v_mul_f64 v[4:5], v[160:161], v[90:91]
	s_waitcnt vmcnt(28)
	v_fmac_f64_e32 v[188:189], v[180:181], v[122:123]
	v_fma_f64 v[4:5], v[158:159], v[92:93], -v[4:5]
	v_add_f64 v[190:191], v[186:187], v[188:189]
	ds_read_b128 v[186:189], v136 offset:1584
	s_waitcnt lgkmcnt(1)
	v_mul_f64 v[192:193], v[182:183], v[114:115]
	v_add_f64 v[2:3], v[2:3], v[4:5]
	v_mul_f64 v[4:5], v[164:165], v[102:103]
	v_fmac_f64_e32 v[192:193], v[184:185], v[116:117]
	v_fma_f64 v[4:5], v[162:163], v[104:105], -v[4:5]
	v_add_f64 v[194:195], v[190:191], v[192:193]
	ds_read_b128 v[190:193], v136 offset:1600
	v_add_f64 v[2:3], v[2:3], v[4:5]
	v_mul_f64 v[4:5], v[168:169], v[98:99]
	v_fma_f64 v[4:5], v[166:167], v[100:101], -v[4:5]
	v_add_f64 v[2:3], v[2:3], v[4:5]
	v_mul_f64 v[4:5], v[172:173], v[110:111]
	s_waitcnt vmcnt(22) lgkmcnt(1)
	v_mul_f64 v[196:197], v[186:187], v[132:133]
	v_fma_f64 v[4:5], v[170:171], v[112:113], -v[4:5]
	s_waitcnt vmcnt(20)
	v_fmac_f64_e32 v[196:197], v[188:189], v[134:135]
	v_add_f64 v[2:3], v[2:3], v[4:5]
	v_mul_f64 v[4:5], v[176:177], v[106:107]
	v_add_f64 v[198:199], v[194:195], v[196:197]
	ds_read_b128 v[194:197], v136 offset:1616
	s_waitcnt lgkmcnt(1)
	v_mul_f64 v[200:201], v[190:191], v[128:129]
	v_fma_f64 v[4:5], v[174:175], v[108:109], -v[4:5]
	v_fmac_f64_e32 v[200:201], v[192:193], v[130:131]
	v_add_f64 v[2:3], v[2:3], v[4:5]
	v_mul_f64 v[4:5], v[180:181], v[120:121]
	v_add_f64 v[202:203], v[198:199], v[200:201]
	ds_read_b128 v[198:201], v136 offset:1632
	v_fma_f64 v[4:5], v[178:179], v[122:123], -v[4:5]
	v_add_f64 v[2:3], v[2:3], v[4:5]
	v_mul_f64 v[4:5], v[184:185], v[114:115]
	v_fma_f64 v[4:5], v[182:183], v[116:117], -v[4:5]
	s_waitcnt vmcnt(14) lgkmcnt(1)
	v_mul_f64 v[204:205], v[194:195], v[214:215]
	v_add_f64 v[2:3], v[2:3], v[4:5]
	v_mul_f64 v[4:5], v[188:189], v[132:133]
	s_waitcnt vmcnt(12)
	v_fmac_f64_e32 v[204:205], v[196:197], v[216:217]
	v_fma_f64 v[4:5], v[186:187], v[134:135], -v[4:5]
	v_add_f64 v[206:207], v[202:203], v[204:205]
	ds_read_b128 v[202:205], v136 offset:1648
	s_waitcnt lgkmcnt(1)
	v_mul_f64 v[208:209], v[198:199], v[0:1]
	v_add_f64 v[2:3], v[2:3], v[4:5]
	v_mul_f64 v[4:5], v[192:193], v[128:129]
	v_fmac_f64_e32 v[208:209], v[200:201], v[118:119]
	v_fma_f64 v[4:5], v[190:191], v[130:131], -v[4:5]
	v_add_f64 v[230:231], v[206:207], v[208:209]
	ds_read_b128 v[206:209], v136 offset:1664
	v_add_f64 v[2:3], v[2:3], v[4:5]
	v_mul_f64 v[4:5], v[196:197], v[214:215]
	v_fma_f64 v[4:5], v[194:195], v[216:217], -v[4:5]
	v_mul_f64 v[0:1], v[200:201], v[0:1]
	ds_read_b128 v[210:213], v136 offset:1680
	v_add_f64 v[2:3], v[2:3], v[4:5]
	v_fma_f64 v[0:1], v[198:199], v[118:119], -v[0:1]
	v_add_f64 v[0:1], v[2:3], v[0:1]
	s_waitcnt vmcnt(6) lgkmcnt(2)
	v_mul_f64 v[2:3], v[204:205], v[222:223]
	v_mul_f64 v[232:233], v[202:203], v[222:223]
	s_waitcnt vmcnt(4)
	v_fma_f64 v[2:3], v[202:203], v[224:225], -v[2:3]
	v_fmac_f64_e32 v[232:233], v[204:205], v[224:225]
	v_add_f64 v[0:1], v[0:1], v[2:3]
	s_waitcnt lgkmcnt(1)
	v_mul_f64 v[2:3], v[208:209], v[218:219]
	v_add_f64 v[136:137], v[230:231], v[232:233]
	v_mul_f64 v[230:231], v[206:207], v[218:219]
	v_fma_f64 v[2:3], v[206:207], v[220:221], -v[2:3]
	v_fmac_f64_e32 v[230:231], v[208:209], v[220:221]
	v_add_f64 v[0:1], v[0:1], v[2:3]
	s_waitcnt vmcnt(2) lgkmcnt(0)
	v_mul_f64 v[2:3], v[212:213], v[226:227]
	v_add_f64 v[136:137], v[136:137], v[230:231]
	v_mul_f64 v[230:231], v[210:211], v[226:227]
	s_waitcnt vmcnt(0)
	v_fma_f64 v[2:3], v[210:211], v[228:229], -v[2:3]
	v_fmac_f64_e32 v[230:231], v[212:213], v[228:229]
	v_add_f64 v[0:1], v[0:1], v[2:3]
	v_add_f64 v[136:137], v[136:137], v[230:231]
	v_add_f64 v[0:1], v[46:47], -v[0:1]
	v_add_f64 v[2:3], v[44:45], -v[136:137]
	buffer_store_dword v1, off, s[0:3], 0 offset:404
	buffer_store_dword v0, off, s[0:3], 0 offset:400
	buffer_store_dword v3, off, s[0:3], 0 offset:412
	buffer_store_dword v2, off, s[0:3], 0 offset:408
	s_and_saveexec_b64 s[4:5], vcc
	s_cbranch_execz .LBB52_285
; %bb.284:
	v_accvgpr_read_b32 v0, a135
	buffer_load_dword v2, v0, s[0:3], 0 offen
	buffer_load_dword v3, v0, s[0:3], 0 offen offset:4
	buffer_load_dword v4, v0, s[0:3], 0 offen offset:8
	buffer_load_dword v5, v0, s[0:3], 0 offen offset:12
	v_mov_b32_e32 v0, 0
	v_accvgpr_read_b32 v1, a159
	buffer_store_dword v0, off, s[0:3], 0 offset:384
	buffer_store_dword v0, off, s[0:3], 0 offset:388
	;; [unrolled: 1-line block ×4, first 2 shown]
	s_waitcnt vmcnt(4)
	ds_write_b128 v1, v[2:5]
.LBB52_285:
	s_or_b64 exec, exec, s[4:5]
	s_waitcnt lgkmcnt(0)
	; wave barrier
	s_waitcnt lgkmcnt(0)
	buffer_load_dword v38, off, s[0:3], 0 offset:400
	buffer_load_dword v39, off, s[0:3], 0 offset:404
	;; [unrolled: 1-line block ×48, first 2 shown]
	v_mov_b32_e32 v152, 0
	ds_read_b128 v[34:37], v152 offset:1232
	ds_read_b128 v[30:33], v152 offset:1248
	;; [unrolled: 1-line block ×9, first 2 shown]
	v_cmp_lt_u32_e32 vcc, 22, v255
	s_waitcnt vmcnt(44) lgkmcnt(8)
	v_mul_f64 v[0:1], v[34:35], v[42:43]
	v_fmac_f64_e32 v[0:1], v[36:37], v[38:39]
	v_add_f64 v[0:1], v[0:1], 0
	v_mul_f64 v[36:37], v[36:37], v[42:43]
	s_waitcnt vmcnt(40) lgkmcnt(7)
	v_mul_f64 v[86:87], v[30:31], v[44:45]
	v_fmac_f64_e32 v[86:87], v[32:33], v[40:41]
	s_waitcnt vmcnt(38) lgkmcnt(6)
	v_mul_f64 v[88:89], v[26:27], v[46:47]
	v_add_f64 v[0:1], v[0:1], v[86:87]
	s_waitcnt vmcnt(36) lgkmcnt(4)
	v_mul_f64 v[92:93], v[18:19], v[48:49]
	v_fma_f64 v[34:35], v[34:35], v[38:39], -v[36:37]
	s_waitcnt vmcnt(34)
	v_fmac_f64_e32 v[92:93], v[20:21], v[50:51]
	v_mul_f64 v[32:33], v[32:33], v[44:45]
	s_waitcnt vmcnt(32)
	v_mul_f64 v[90:91], v[22:23], v[52:53]
	v_add_f64 v[34:35], v[34:35], 0
	s_waitcnt vmcnt(30) lgkmcnt(2)
	v_mul_f64 v[96:97], v[10:11], v[54:55]
	v_fma_f64 v[30:31], v[30:31], v[40:41], -v[32:33]
	s_waitcnt vmcnt(28)
	v_fmac_f64_e32 v[96:97], v[12:13], v[56:57]
	v_add_f64 v[30:31], v[34:35], v[30:31]
	s_waitcnt vmcnt(26)
	v_mul_f64 v[94:95], v[14:15], v[58:59]
	v_mul_f64 v[20:21], v[20:21], v[48:49]
	v_fma_f64 v[18:19], v[18:19], v[50:51], -v[20:21]
	v_mul_f64 v[12:13], v[12:13], v[54:55]
	s_waitcnt vmcnt(22) lgkmcnt(1)
	v_mul_f64 v[110:111], v[6:7], v[68:69]
	v_fma_f64 v[10:11], v[10:11], v[56:57], -v[12:13]
	s_waitcnt vmcnt(20)
	v_fmac_f64_e32 v[88:89], v[28:29], v[76:77]
	v_add_f64 v[0:1], v[0:1], v[88:89]
	s_waitcnt vmcnt(18)
	v_fmac_f64_e32 v[90:91], v[24:25], v[74:75]
	v_add_f64 v[0:1], v[0:1], v[90:91]
	;; [unrolled: 3-line block ×3, first 2 shown]
	v_add_f64 v[0:1], v[0:1], v[94:95]
	v_add_f64 v[112:113], v[0:1], v[96:97]
	buffer_load_dword v87, off, s[0:3], 0 offset:604
	buffer_load_dword v86, off, s[0:3], 0 offset:600
	;; [unrolled: 1-line block ×72, first 2 shown]
	s_waitcnt vmcnt(62)
	v_fmac_f64_e32 v[110:111], v[8:9], v[70:71]
	v_add_f64 v[144:145], v[112:113], v[110:111]
	ds_read_b128 v[110:113], v152 offset:1376
	s_waitcnt lgkmcnt(1)
	v_mul_f64 v[146:147], v[2:3], v[64:65]
	v_fmac_f64_e32 v[146:147], v[4:5], v[66:67]
	v_add_f64 v[148:149], v[144:145], v[146:147]
	ds_read_b128 v[144:147], v152 offset:1392
	s_waitcnt lgkmcnt(1)
	v_mul_f64 v[150:151], v[110:111], v[82:83]
	;; [unrolled: 5-line block ×5, first 2 shown]
	v_fmac_f64_e32 v[164:165], v[156:157], v[88:89]
	v_add_f64 v[166:167], v[162:163], v[164:165]
	ds_read_b128 v[162:165], v152 offset:1456
	s_waitcnt vmcnt(58) lgkmcnt(1)
	v_mul_f64 v[168:169], v[158:159], v[98:99]
	s_waitcnt vmcnt(56)
	v_fmac_f64_e32 v[168:169], v[160:161], v[100:101]
	v_add_f64 v[170:171], v[166:167], v[168:169]
	ds_read_b128 v[166:169], v152 offset:1472
	s_waitcnt lgkmcnt(1)
	v_mul_f64 v[172:173], v[162:163], v[94:95]
	v_fmac_f64_e32 v[172:173], v[164:165], v[96:97]
	v_add_f64 v[174:175], v[170:171], v[172:173]
	ds_read_b128 v[170:173], v152 offset:1488
	s_waitcnt vmcnt(50) lgkmcnt(1)
	v_mul_f64 v[176:177], v[166:167], v[106:107]
	v_mul_f64 v[28:29], v[28:29], v[46:47]
	s_waitcnt vmcnt(48)
	v_fmac_f64_e32 v[176:177], v[168:169], v[108:109]
	v_fma_f64 v[26:27], v[26:27], v[76:77], -v[28:29]
	v_mul_f64 v[24:25], v[24:25], v[52:53]
	v_add_f64 v[178:179], v[174:175], v[176:177]
	ds_read_b128 v[174:177], v152 offset:1504
	v_add_f64 v[26:27], v[30:31], v[26:27]
	v_fma_f64 v[22:23], v[22:23], v[74:75], -v[24:25]
	v_add_f64 v[22:23], v[26:27], v[22:23]
	v_mul_f64 v[16:17], v[16:17], v[58:59]
	v_add_f64 v[18:19], v[22:23], v[18:19]
	v_fma_f64 v[14:15], v[14:15], v[72:73], -v[16:17]
	s_waitcnt lgkmcnt(1)
	v_mul_f64 v[180:181], v[170:171], v[102:103]
	v_add_f64 v[14:15], v[18:19], v[14:15]
	v_mul_f64 v[8:9], v[8:9], v[68:69]
	v_fmac_f64_e32 v[180:181], v[172:173], v[104:105]
	v_add_f64 v[10:11], v[14:15], v[10:11]
	v_fma_f64 v[6:7], v[6:7], v[70:71], -v[8:9]
	v_mul_f64 v[4:5], v[4:5], v[64:65]
	v_add_f64 v[182:183], v[178:179], v[180:181]
	ds_read_b128 v[178:181], v152 offset:1520
	s_waitcnt vmcnt(42) lgkmcnt(1)
	v_mul_f64 v[184:185], v[174:175], v[120:121]
	v_add_f64 v[6:7], v[10:11], v[6:7]
	v_fma_f64 v[2:3], v[2:3], v[66:67], -v[4:5]
	v_mul_f64 v[4:5], v[112:113], v[82:83]
	s_waitcnt vmcnt(40)
	v_fmac_f64_e32 v[184:185], v[176:177], v[122:123]
	v_add_f64 v[2:3], v[6:7], v[2:3]
	v_fma_f64 v[4:5], v[110:111], v[84:85], -v[4:5]
	v_add_f64 v[186:187], v[182:183], v[184:185]
	ds_read_b128 v[182:185], v152 offset:1536
	v_add_f64 v[2:3], v[2:3], v[4:5]
	v_mul_f64 v[4:5], v[146:147], v[78:79]
	v_fma_f64 v[4:5], v[144:145], v[80:81], -v[4:5]
	v_add_f64 v[2:3], v[2:3], v[4:5]
	v_mul_f64 v[4:5], v[150:151], v[90:91]
	s_waitcnt lgkmcnt(1)
	v_mul_f64 v[188:189], v[178:179], v[114:115]
	v_fma_f64 v[4:5], v[148:149], v[92:93], -v[4:5]
	v_fmac_f64_e32 v[188:189], v[180:181], v[116:117]
	v_add_f64 v[2:3], v[2:3], v[4:5]
	v_mul_f64 v[4:5], v[156:157], v[86:87]
	v_add_f64 v[190:191], v[186:187], v[188:189]
	ds_read_b128 v[186:189], v152 offset:1552
	s_waitcnt vmcnt(34) lgkmcnt(1)
	v_mul_f64 v[192:193], v[182:183], v[128:129]
	v_fma_f64 v[4:5], v[154:155], v[88:89], -v[4:5]
	s_waitcnt vmcnt(32)
	v_fmac_f64_e32 v[192:193], v[184:185], v[130:131]
	v_add_f64 v[2:3], v[2:3], v[4:5]
	v_mul_f64 v[4:5], v[160:161], v[98:99]
	v_add_f64 v[194:195], v[190:191], v[192:193]
	ds_read_b128 v[190:193], v152 offset:1568
	v_fma_f64 v[4:5], v[158:159], v[100:101], -v[4:5]
	v_add_f64 v[2:3], v[2:3], v[4:5]
	v_mul_f64 v[4:5], v[164:165], v[94:95]
	v_fma_f64 v[4:5], v[162:163], v[96:97], -v[4:5]
	s_waitcnt lgkmcnt(1)
	v_mul_f64 v[196:197], v[186:187], v[124:125]
	v_add_f64 v[2:3], v[2:3], v[4:5]
	v_mul_f64 v[4:5], v[168:169], v[106:107]
	v_fmac_f64_e32 v[196:197], v[188:189], v[126:127]
	v_fma_f64 v[4:5], v[166:167], v[108:109], -v[4:5]
	v_add_f64 v[198:199], v[194:195], v[196:197]
	ds_read_b128 v[194:197], v152 offset:1584
	s_waitcnt vmcnt(26) lgkmcnt(1)
	v_mul_f64 v[200:201], v[190:191], v[136:137]
	v_add_f64 v[2:3], v[2:3], v[4:5]
	v_mul_f64 v[4:5], v[172:173], v[102:103]
	s_waitcnt vmcnt(24)
	v_fmac_f64_e32 v[200:201], v[192:193], v[138:139]
	v_fma_f64 v[4:5], v[170:171], v[104:105], -v[4:5]
	v_add_f64 v[202:203], v[198:199], v[200:201]
	ds_read_b128 v[198:201], v152 offset:1600
	v_add_f64 v[2:3], v[2:3], v[4:5]
	v_mul_f64 v[4:5], v[176:177], v[120:121]
	v_fma_f64 v[4:5], v[174:175], v[122:123], -v[4:5]
	v_add_f64 v[2:3], v[2:3], v[4:5]
	v_mul_f64 v[4:5], v[180:181], v[114:115]
	s_waitcnt lgkmcnt(1)
	v_mul_f64 v[204:205], v[194:195], v[132:133]
	v_fma_f64 v[4:5], v[178:179], v[116:117], -v[4:5]
	v_fmac_f64_e32 v[204:205], v[196:197], v[134:135]
	v_add_f64 v[2:3], v[2:3], v[4:5]
	v_mul_f64 v[4:5], v[184:185], v[128:129]
	v_add_f64 v[206:207], v[202:203], v[204:205]
	ds_read_b128 v[202:205], v152 offset:1616
	s_waitcnt vmcnt(18) lgkmcnt(1)
	v_mul_f64 v[208:209], v[198:199], v[0:1]
	v_fma_f64 v[4:5], v[182:183], v[130:131], -v[4:5]
	s_waitcnt vmcnt(16)
	v_fmac_f64_e32 v[208:209], v[200:201], v[118:119]
	v_add_f64 v[2:3], v[2:3], v[4:5]
	v_mul_f64 v[4:5], v[188:189], v[124:125]
	v_add_f64 v[210:211], v[206:207], v[208:209]
	ds_read_b128 v[206:209], v152 offset:1632
	v_fma_f64 v[4:5], v[186:187], v[126:127], -v[4:5]
	v_add_f64 v[2:3], v[2:3], v[4:5]
	v_mul_f64 v[4:5], v[192:193], v[136:137]
	v_fma_f64 v[4:5], v[190:191], v[138:139], -v[4:5]
	s_waitcnt lgkmcnt(1)
	v_mul_f64 v[212:213], v[202:203], v[140:141]
	v_add_f64 v[2:3], v[2:3], v[4:5]
	v_mul_f64 v[4:5], v[196:197], v[132:133]
	v_fmac_f64_e32 v[212:213], v[204:205], v[142:143]
	v_fma_f64 v[4:5], v[194:195], v[134:135], -v[4:5]
	v_mul_f64 v[0:1], v[200:201], v[0:1]
	v_add_f64 v[224:225], v[210:211], v[212:213]
	ds_read_b128 v[210:213], v152 offset:1648
	s_waitcnt vmcnt(10) lgkmcnt(1)
	v_mul_f64 v[226:227], v[206:207], v[218:219]
	v_add_f64 v[2:3], v[2:3], v[4:5]
	v_fma_f64 v[0:1], v[198:199], v[118:119], -v[0:1]
	s_waitcnt vmcnt(8)
	v_fmac_f64_e32 v[226:227], v[208:209], v[220:221]
	v_add_f64 v[0:1], v[2:3], v[0:1]
	v_mul_f64 v[2:3], v[204:205], v[140:141]
	v_add_f64 v[238:239], v[224:225], v[226:227]
	ds_read_b128 v[224:227], v152 offset:1664
	ds_read_b128 v[228:231], v152 offset:1680
	v_fma_f64 v[2:3], v[202:203], v[142:143], -v[2:3]
	v_add_f64 v[0:1], v[0:1], v[2:3]
	v_mul_f64 v[2:3], v[208:209], v[218:219]
	v_fma_f64 v[2:3], v[206:207], v[220:221], -v[2:3]
	v_add_f64 v[0:1], v[0:1], v[2:3]
	s_waitcnt lgkmcnt(2)
	v_mul_f64 v[2:3], v[212:213], v[214:215]
	v_mul_f64 v[240:241], v[210:211], v[214:215]
	v_fma_f64 v[2:3], v[210:211], v[216:217], -v[2:3]
	v_fmac_f64_e32 v[240:241], v[212:213], v[216:217]
	v_add_f64 v[0:1], v[0:1], v[2:3]
	s_waitcnt vmcnt(2) lgkmcnt(1)
	v_mul_f64 v[2:3], v[226:227], v[234:235]
	v_add_f64 v[238:239], v[238:239], v[240:241]
	v_mul_f64 v[240:241], v[224:225], v[234:235]
	s_waitcnt vmcnt(0)
	v_fma_f64 v[2:3], v[224:225], v[236:237], -v[2:3]
	v_fmac_f64_e32 v[240:241], v[226:227], v[236:237]
	v_add_f64 v[0:1], v[0:1], v[2:3]
	s_waitcnt lgkmcnt(0)
	v_mul_f64 v[2:3], v[230:231], v[222:223]
	v_add_f64 v[238:239], v[238:239], v[240:241]
	v_mul_f64 v[240:241], v[228:229], v[222:223]
	v_fma_f64 v[2:3], v[228:229], v[232:233], -v[2:3]
	v_fmac_f64_e32 v[240:241], v[230:231], v[232:233]
	v_add_f64 v[0:1], v[0:1], v[2:3]
	v_add_f64 v[238:239], v[238:239], v[240:241]
	v_add_f64 v[0:1], v[62:63], -v[0:1]
	v_add_f64 v[2:3], v[60:61], -v[238:239]
	buffer_store_dword v1, off, s[0:3], 0 offset:388
	buffer_store_dword v0, off, s[0:3], 0 offset:384
	;; [unrolled: 1-line block ×4, first 2 shown]
	s_and_saveexec_b64 s[4:5], vcc
	s_cbranch_execz .LBB52_287
; %bb.286:
	v_accvgpr_read_b32 v0, a136
	buffer_load_dword v2, v0, s[0:3], 0 offen
	buffer_load_dword v3, v0, s[0:3], 0 offen offset:4
	buffer_load_dword v4, v0, s[0:3], 0 offen offset:8
	;; [unrolled: 1-line block ×3, first 2 shown]
	v_accvgpr_read_b32 v0, a159
	buffer_store_dword v152, off, s[0:3], 0 offset:368
	buffer_store_dword v152, off, s[0:3], 0 offset:372
	;; [unrolled: 1-line block ×4, first 2 shown]
	s_waitcnt vmcnt(4)
	ds_write_b128 v0, v[2:5]
.LBB52_287:
	s_or_b64 exec, exec, s[4:5]
	s_waitcnt lgkmcnt(0)
	; wave barrier
	s_waitcnt lgkmcnt(0)
	buffer_load_dword v48, off, s[0:3], 0 offset:384
	buffer_load_dword v49, off, s[0:3], 0 offset:388
	;; [unrolled: 1-line block ×40, first 2 shown]
	ds_read_b128 v[38:41], v152 offset:1216
	ds_read_b128 v[34:37], v152 offset:1232
	;; [unrolled: 1-line block ×10, first 2 shown]
	buffer_load_dword v83, off, s[0:3], 0 offset:556
	buffer_load_dword v82, off, s[0:3], 0 offset:552
	;; [unrolled: 1-line block ×8, first 2 shown]
	v_cmp_lt_u32_e32 vcc, 21, v255
	s_waitcnt vmcnt(44) lgkmcnt(9)
	v_mul_f64 v[0:1], v[38:39], v[50:51]
	v_fmac_f64_e32 v[0:1], v[40:41], v[48:49]
	v_add_f64 v[0:1], v[0:1], 0
	v_mul_f64 v[40:41], v[40:41], v[50:51]
	s_waitcnt vmcnt(40) lgkmcnt(8)
	v_mul_f64 v[90:91], v[34:35], v[44:45]
	v_fmac_f64_e32 v[90:91], v[36:37], v[42:43]
	s_waitcnt vmcnt(38) lgkmcnt(7)
	v_mul_f64 v[92:93], v[30:31], v[46:47]
	v_add_f64 v[0:1], v[0:1], v[90:91]
	s_waitcnt vmcnt(36) lgkmcnt(5)
	v_mul_f64 v[96:97], v[22:23], v[52:53]
	v_mul_f64 v[36:37], v[36:37], v[44:45]
	s_waitcnt vmcnt(34)
	v_fmac_f64_e32 v[96:97], v[24:25], v[54:55]
	v_fma_f64 v[34:35], v[34:35], v[42:43], -v[36:37]
	s_waitcnt vmcnt(32)
	v_mul_f64 v[94:95], v[26:27], v[56:57]
	v_mul_f64 v[24:25], v[24:25], v[52:53]
	s_waitcnt vmcnt(30) lgkmcnt(4)
	v_mul_f64 v[98:99], v[18:19], v[62:63]
	v_fma_f64 v[22:23], v[22:23], v[54:55], -v[24:25]
	s_waitcnt vmcnt(28) lgkmcnt(1)
	v_mul_f64 v[124:125], v[2:3], v[64:65]
	s_waitcnt vmcnt(25)
	v_mul_f64 v[102:103], v[6:7], v[68:69]
	s_waitcnt vmcnt(23)
	;; [unrolled: 2-line block ×3, first 2 shown]
	v_fmac_f64_e32 v[100:101], v[12:13], v[72:73]
	v_mul_f64 v[12:13], v[12:13], v[70:71]
	s_waitcnt vmcnt(19)
	v_fmac_f64_e32 v[92:93], v[32:33], v[80:81]
	v_add_f64 v[0:1], v[0:1], v[92:93]
	s_waitcnt vmcnt(17)
	v_fmac_f64_e32 v[94:95], v[28:29], v[78:79]
	v_add_f64 v[0:1], v[0:1], v[94:95]
	s_waitcnt vmcnt(15)
	v_fmac_f64_e32 v[98:99], v[20:21], v[76:77]
	v_add_f64 v[0:1], v[0:1], v[96:97]
	v_add_f64 v[0:1], v[0:1], v[98:99]
	s_waitcnt vmcnt(13)
	v_fmac_f64_e32 v[102:103], v[8:9], v[74:75]
	v_add_f64 v[0:1], v[0:1], v[100:101]
	v_add_f64 v[126:127], v[0:1], v[102:103]
	buffer_load_dword v91, off, s[0:3], 0 offset:588
	buffer_load_dword v90, off, s[0:3], 0 offset:584
	;; [unrolled: 1-line block ×72, first 2 shown]
	s_waitcnt vmcnt(62)
	v_fmac_f64_e32 v[124:125], v[4:5], v[66:67]
	v_add_f64 v[154:155], v[126:127], v[124:125]
	ds_read_b128 v[124:127], v152 offset:1376
	buffer_load_dword v235, off, s[0:3], 0 offset:860
	buffer_load_dword v234, off, s[0:3], 0 offset:856
	;; [unrolled: 1-line block ×4, first 2 shown]
	s_waitcnt lgkmcnt(1)
	v_mul_f64 v[156:157], v[14:15], v[86:87]
	v_fmac_f64_e32 v[156:157], v[16:17], v[88:89]
	v_add_f64 v[158:159], v[154:155], v[156:157]
	ds_read_b128 v[154:157], v152 offset:1392
	s_waitcnt lgkmcnt(1)
	v_mul_f64 v[160:161], v[124:125], v[82:83]
	v_fmac_f64_e32 v[160:161], v[126:127], v[84:85]
	v_add_f64 v[162:163], v[158:159], v[160:161]
	ds_read_b128 v[158:161], v152 offset:1408
	v_mul_f64 v[32:33], v[32:33], v[46:47]
	s_waitcnt lgkmcnt(1)
	v_mul_f64 v[164:165], v[154:155], v[94:95]
	v_fma_f64 v[30:31], v[30:31], v[80:81], -v[32:33]
	v_fmac_f64_e32 v[164:165], v[156:157], v[96:97]
	v_add_f64 v[166:167], v[162:163], v[164:165]
	ds_read_b128 v[162:165], v152 offset:1424
	s_waitcnt lgkmcnt(1)
	v_mul_f64 v[168:169], v[158:159], v[90:91]
	v_fmac_f64_e32 v[168:169], v[160:161], v[92:93]
	v_add_f64 v[170:171], v[166:167], v[168:169]
	ds_read_b128 v[166:169], v152 offset:1440
	s_waitcnt vmcnt(62) lgkmcnt(1)
	v_mul_f64 v[172:173], v[162:163], v[102:103]
	s_waitcnt vmcnt(60)
	v_fmac_f64_e32 v[172:173], v[164:165], v[104:105]
	v_add_f64 v[174:175], v[170:171], v[172:173]
	ds_read_b128 v[170:173], v152 offset:1456
	s_waitcnt lgkmcnt(1)
	v_mul_f64 v[176:177], v[166:167], v[98:99]
	v_fmac_f64_e32 v[176:177], v[168:169], v[100:101]
	v_add_f64 v[178:179], v[174:175], v[176:177]
	ds_read_b128 v[174:177], v152 offset:1472
	s_waitcnt vmcnt(54) lgkmcnt(1)
	v_mul_f64 v[180:181], v[170:171], v[110:111]
	s_waitcnt vmcnt(52)
	;; [unrolled: 11-line block ×7, first 2 shown]
	v_fmac_f64_e32 v[230:231], v[212:213], v[216:217]
	v_add_f64 v[238:239], v[228:229], v[230:231]
	ds_read_b128 v[228:231], v152 offset:1648
	s_waitcnt lgkmcnt(1)
	v_mul_f64 v[240:241], v[224:225], v[0:1]
	v_fmac_f64_e32 v[240:241], v[226:227], v[118:119]
	v_add_f64 v[238:239], v[238:239], v[240:241]
	v_fma_f64 v[240:241], v[38:39], v[48:49], -v[40:41]
	ds_read_b128 v[38:41], v152 offset:1664
	ds_read_b128 v[48:51], v152 offset:1680
	s_waitcnt vmcnt(6) lgkmcnt(2)
	v_mul_f64 v[242:243], v[228:229], v[222:223]
	s_waitcnt vmcnt(4)
	v_fmac_f64_e32 v[242:243], v[230:231], v[232:233]
	v_add_f64 v[152:153], v[238:239], v[242:243]
	s_waitcnt lgkmcnt(1)
	v_mul_f64 v[238:239], v[38:39], v[218:219]
	v_fmac_f64_e32 v[238:239], v[40:41], v[220:221]
	v_add_f64 v[152:153], v[152:153], v[238:239]
	s_waitcnt vmcnt(2) lgkmcnt(0)
	v_mul_f64 v[238:239], v[48:49], v[234:235]
	s_waitcnt vmcnt(0)
	v_fmac_f64_e32 v[238:239], v[50:51], v[236:237]
	v_add_f64 v[152:153], v[152:153], v[238:239]
	v_add_f64 v[238:239], v[240:241], 0
	;; [unrolled: 1-line block ×3, first 2 shown]
	v_mul_f64 v[28:29], v[28:29], v[56:57]
	v_add_f64 v[30:31], v[34:35], v[30:31]
	v_fma_f64 v[26:27], v[26:27], v[78:79], -v[28:29]
	v_add_f64 v[26:27], v[30:31], v[26:27]
	v_mul_f64 v[20:21], v[20:21], v[62:63]
	v_add_f64 v[22:23], v[26:27], v[22:23]
	v_fma_f64 v[18:19], v[18:19], v[76:77], -v[20:21]
	v_add_f64 v[18:19], v[22:23], v[18:19]
	v_fma_f64 v[10:11], v[10:11], v[72:73], -v[12:13]
	v_mul_f64 v[8:9], v[8:9], v[68:69]
	v_add_f64 v[10:11], v[18:19], v[10:11]
	v_fma_f64 v[6:7], v[6:7], v[74:75], -v[8:9]
	v_mul_f64 v[4:5], v[4:5], v[64:65]
	;; [unrolled: 3-line block ×3, first 2 shown]
	v_add_f64 v[2:3], v[6:7], v[2:3]
	v_fma_f64 v[4:5], v[14:15], v[88:89], -v[4:5]
	v_add_f64 v[2:3], v[2:3], v[4:5]
	v_mul_f64 v[4:5], v[126:127], v[82:83]
	v_fma_f64 v[4:5], v[124:125], v[84:85], -v[4:5]
	v_add_f64 v[2:3], v[2:3], v[4:5]
	v_mul_f64 v[4:5], v[156:157], v[94:95]
	;; [unrolled: 3-line block ×16, first 2 shown]
	v_fma_f64 v[4:5], v[210:211], v[216:217], -v[4:5]
	v_mul_f64 v[0:1], v[226:227], v[0:1]
	v_add_f64 v[2:3], v[2:3], v[4:5]
	v_fma_f64 v[0:1], v[224:225], v[118:119], -v[0:1]
	v_add_f64 v[0:1], v[2:3], v[0:1]
	v_mul_f64 v[2:3], v[230:231], v[222:223]
	v_fma_f64 v[2:3], v[228:229], v[232:233], -v[2:3]
	v_add_f64 v[0:1], v[0:1], v[2:3]
	v_mul_f64 v[2:3], v[40:41], v[218:219]
	;; [unrolled: 3-line block ×3, first 2 shown]
	v_fma_f64 v[2:3], v[48:49], v[236:237], -v[2:3]
	v_add_f64 v[0:1], v[0:1], v[2:3]
	v_add_f64 v[0:1], v[60:61], -v[0:1]
	v_add_f64 v[2:3], v[58:59], -v[152:153]
	buffer_store_dword v1, off, s[0:3], 0 offset:372
	buffer_store_dword v0, off, s[0:3], 0 offset:368
	;; [unrolled: 1-line block ×4, first 2 shown]
	s_and_saveexec_b64 s[4:5], vcc
	s_cbranch_execz .LBB52_289
; %bb.288:
	v_accvgpr_read_b32 v0, a137
	buffer_load_dword v2, v0, s[0:3], 0 offen
	buffer_load_dword v3, v0, s[0:3], 0 offen offset:4
	buffer_load_dword v4, v0, s[0:3], 0 offen offset:8
	;; [unrolled: 1-line block ×3, first 2 shown]
	v_mov_b32_e32 v0, 0
	v_accvgpr_read_b32 v1, a159
	buffer_store_dword v0, off, s[0:3], 0 offset:352
	buffer_store_dword v0, off, s[0:3], 0 offset:356
	;; [unrolled: 1-line block ×4, first 2 shown]
	s_waitcnt vmcnt(4)
	ds_write_b128 v1, v[2:5]
.LBB52_289:
	s_or_b64 exec, exec, s[4:5]
	s_waitcnt lgkmcnt(0)
	; wave barrier
	s_waitcnt lgkmcnt(0)
	buffer_load_dword v106, off, s[0:3], 0 offset:368
	buffer_load_dword v107, off, s[0:3], 0 offset:372
	;; [unrolled: 1-line block ×49, first 2 shown]
	v_mov_b32_e32 v254, 0
	ds_read_b128 v[110:113], v254 offset:1200
	ds_read_b128 v[250:253], v254 offset:1216
	;; [unrolled: 1-line block ×10, first 2 shown]
	buffer_load_dword v160, off, s[0:3], 0 offset:560
	buffer_load_dword v175, off, s[0:3], 0 offset:556
	;; [unrolled: 1-line block ×69, first 2 shown]
	v_accvgpr_write_b32 a158, v255
	v_cmp_lt_u32_e32 vcc, 20, v255
	s_waitcnt vmcnt(62) lgkmcnt(9)
	v_mul_f64 v[0:1], v[110:111], v[108:109]
	v_fmac_f64_e32 v[0:1], v[112:113], v[106:107]
	v_add_f64 v[0:1], v[0:1], 0
	v_mul_f64 v[108:109], v[112:113], v[108:109]
	s_waitcnt lgkmcnt(8)
	v_mul_f64 v[34:35], v[250:251], v[116:117]
	v_fmac_f64_e32 v[34:35], v[252:253], v[114:115]
	s_waitcnt lgkmcnt(7)
	v_mul_f64 v[36:37], v[30:31], v[120:121]
	v_add_f64 v[0:1], v[0:1], v[34:35]
	s_waitcnt lgkmcnt(5)
	v_mul_f64 v[40:41], v[22:23], v[122:123]
	v_mul_f64 v[116:117], v[252:253], v[116:117]
	v_fmac_f64_e32 v[40:41], v[24:25], v[124:125]
	v_fma_f64 v[248:249], v[110:111], v[106:107], -v[108:109]
	v_mul_f64 v[38:39], v[26:27], v[126:127]
	v_fma_f64 v[250:251], v[250:251], v[114:115], -v[116:117]
	s_waitcnt lgkmcnt(3)
	v_mul_f64 v[44:45], v[14:15], v[128:129]
	v_mul_f64 v[24:25], v[24:25], v[122:123]
	v_fmac_f64_e32 v[44:45], v[16:17], v[130:131]
	v_fma_f64 v[22:23], v[22:23], v[124:125], -v[24:25]
	v_mul_f64 v[42:43], v[18:19], v[132:133]
	v_mul_f64 v[16:17], v[16:17], v[128:129]
	s_waitcnt lgkmcnt(1)
	v_mul_f64 v[48:49], v[6:7], v[134:135]
	v_fma_f64 v[14:15], v[14:15], v[130:131], -v[16:17]
	v_fmac_f64_e32 v[48:49], v[8:9], v[136:137]
	v_mul_f64 v[8:9], v[8:9], v[134:135]
	v_mul_f64 v[46:47], v[10:11], v[142:143]
	v_fma_f64 v[6:7], v[6:7], v[136:137], -v[8:9]
	s_waitcnt lgkmcnt(0)
	v_mul_f64 v[50:51], v[2:3], v[138:139]
	v_fmac_f64_e32 v[36:37], v[32:33], v[154:155]
	v_add_f64 v[0:1], v[0:1], v[36:37]
	v_fmac_f64_e32 v[38:39], v[28:29], v[152:153]
	v_add_f64 v[0:1], v[0:1], v[38:39]
	v_add_f64 v[0:1], v[0:1], v[40:41]
	ds_read_b128 v[38:41], v254 offset:1360
	ds_read_b128 v[34:37], v254 offset:1376
	buffer_load_dword v231, off, s[0:3], 0 offset:860
	buffer_load_dword v230, off, s[0:3], 0 offset:856
	buffer_load_dword v235, off, s[0:3], 0 offset:852
	buffer_load_dword v234, off, s[0:3], 0 offset:848
	buffer_load_dword v243, off, s[0:3], 0 offset:844
	buffer_load_dword v242, off, s[0:3], 0 offset:840
	buffer_load_dword v245, off, s[0:3], 0 offset:836
	buffer_load_dword v244, off, s[0:3], 0 offset:832
	v_fmac_f64_e32 v[42:43], v[20:21], v[150:151]
	v_add_f64 v[0:1], v[0:1], v[42:43]
	v_fmac_f64_e32 v[46:47], v[12:13], v[148:149]
	v_add_f64 v[0:1], v[0:1], v[44:45]
	v_add_f64 v[0:1], v[0:1], v[46:47]
	v_fmac_f64_e32 v[50:51], v[4:5], v[146:147]
	v_add_f64 v[0:1], v[0:1], v[48:49]
	s_waitcnt lgkmcnt(1)
	v_mul_f64 v[42:43], v[38:39], v[144:145]
	v_add_f64 v[0:1], v[0:1], v[50:51]
	v_fmac_f64_e32 v[42:43], v[40:41], v[156:157]
	v_add_f64 v[0:1], v[0:1], v[42:43]
	ds_read_b128 v[42:45], v254 offset:1392
	s_waitcnt lgkmcnt(1)
	v_mul_f64 v[46:47], v[34:35], v[174:175]
	v_fmac_f64_e32 v[46:47], v[36:37], v[178:179]
	v_add_f64 v[0:1], v[0:1], v[46:47]
	ds_read_b128 v[46:49], v254 offset:1408
	s_waitcnt lgkmcnt(1)
	v_mul_f64 v[50:51], v[42:43], v[158:159]
	v_fmac_f64_e32 v[50:51], v[44:45], v[160:161]
	v_add_f64 v[0:1], v[0:1], v[50:51]
	ds_read_b128 v[50:53], v254 offset:1424
	s_waitcnt vmcnt(62) lgkmcnt(1)
	v_mul_f64 v[54:55], v[46:47], v[182:183]
	v_fmac_f64_e32 v[54:55], v[48:49], v[186:187]
	v_add_f64 v[0:1], v[0:1], v[54:55]
	ds_read_b128 v[54:57], v254 offset:1440
	s_waitcnt lgkmcnt(1)
	v_mul_f64 v[58:59], v[50:51], v[162:163]
	v_fmac_f64_e32 v[58:59], v[52:53], v[164:165]
	v_add_f64 v[0:1], v[0:1], v[58:59]
	ds_read_b128 v[58:61], v254 offset:1456
	s_waitcnt vmcnt(58) lgkmcnt(1)
	v_mul_f64 v[62:63], v[54:55], v[190:191]
	s_waitcnt vmcnt(56)
	v_fmac_f64_e32 v[62:63], v[56:57], v[194:195]
	v_add_f64 v[0:1], v[0:1], v[62:63]
	ds_read_b128 v[62:65], v254 offset:1472
	s_waitcnt lgkmcnt(1)
	v_mul_f64 v[66:67], v[58:59], v[166:167]
	v_fmac_f64_e32 v[66:67], v[60:61], v[168:169]
	v_add_f64 v[0:1], v[0:1], v[66:67]
	ds_read_b128 v[66:69], v254 offset:1488
	s_waitcnt vmcnt(50) lgkmcnt(1)
	v_mul_f64 v[70:71], v[62:63], v[198:199]
	s_waitcnt vmcnt(48)
	;; [unrolled: 11-line block ×5, first 2 shown]
	v_fmac_f64_e32 v[94:95], v[88:89], v[228:229]
	v_add_f64 v[0:1], v[0:1], v[94:95]
	ds_read_b128 v[94:97], v254 offset:1600
	s_waitcnt lgkmcnt(1)
	v_mul_f64 v[98:99], v[90:91], v[192:193]
	v_fmac_f64_e32 v[98:99], v[92:93], v[196:197]
	v_add_f64 v[0:1], v[0:1], v[98:99]
	ds_read_b128 v[98:101], v254 offset:1616
	ds_read_b128 v[102:105], v254 offset:1632
	;; [unrolled: 1-line block ×5, first 2 shown]
	buffer_load_dword v252, off, s[0:3], 0 offset:360
	buffer_load_dword v253, off, s[0:3], 0 offset:364
	s_waitcnt vmcnt(20) lgkmcnt(5)
	v_mul_f64 v[118:119], v[94:95], v[232:233]
	s_waitcnt vmcnt(18)
	v_fmac_f64_e32 v[118:119], v[96:97], v[236:237]
	v_add_f64 v[0:1], v[0:1], v[118:119]
	s_waitcnt lgkmcnt(4)
	v_mul_f64 v[118:119], v[98:99], v[200:201]
	v_fmac_f64_e32 v[118:119], v[100:101], v[204:205]
	v_add_f64 v[0:1], v[0:1], v[118:119]
	s_waitcnt vmcnt(12) lgkmcnt(3)
	v_mul_f64 v[118:119], v[102:103], v[238:239]
	s_waitcnt vmcnt(10)
	v_fmac_f64_e32 v[118:119], v[104:105], v[240:241]
	v_add_f64 v[0:1], v[0:1], v[118:119]
	s_waitcnt lgkmcnt(2)
	v_mul_f64 v[118:119], v[110:111], v[208:209]
	v_fmac_f64_e32 v[118:119], v[112:113], v[212:213]
	v_add_f64 v[0:1], v[0:1], v[118:119]
	s_waitcnt vmcnt(4) lgkmcnt(1)
	v_mul_f64 v[118:119], v[106:107], v[242:243]
	s_waitcnt vmcnt(2)
	v_fmac_f64_e32 v[118:119], v[108:109], v[244:245]
	v_add_f64 v[0:1], v[0:1], v[118:119]
	s_waitcnt lgkmcnt(0)
	v_mul_f64 v[118:119], v[114:115], v[230:231]
	v_fmac_f64_e32 v[118:119], v[116:117], v[234:235]
	v_add_f64 v[246:247], v[0:1], v[118:119]
	v_add_f64 v[0:1], v[248:249], 0
	v_mul_f64 v[32:33], v[32:33], v[120:121]
	v_add_f64 v[0:1], v[0:1], v[250:251]
	v_fma_f64 v[30:31], v[30:31], v[154:155], -v[32:33]
	v_mul_f64 v[28:29], v[28:29], v[126:127]
	v_add_f64 v[0:1], v[0:1], v[30:31]
	v_fma_f64 v[26:27], v[26:27], v[152:153], -v[28:29]
	v_add_f64 v[0:1], v[0:1], v[26:27]
	v_mul_f64 v[20:21], v[20:21], v[132:133]
	v_add_f64 v[0:1], v[0:1], v[22:23]
	v_fma_f64 v[18:19], v[18:19], v[150:151], -v[20:21]
	v_add_f64 v[0:1], v[0:1], v[18:19]
	;; [unrolled: 4-line block ×4, first 2 shown]
	v_mul_f64 v[2:3], v[40:41], v[144:145]
	v_fma_f64 v[2:3], v[38:39], v[156:157], -v[2:3]
	v_add_f64 v[0:1], v[0:1], v[2:3]
	v_mul_f64 v[2:3], v[36:37], v[174:175]
	v_fma_f64 v[2:3], v[34:35], v[178:179], -v[2:3]
	v_add_f64 v[0:1], v[0:1], v[2:3]
	;; [unrolled: 3-line block ×21, first 2 shown]
	v_add_f64 v[0:1], v[140:141], -v[0:1]
	s_waitcnt vmcnt(0)
	v_add_f64 v[2:3], v[252:253], -v[246:247]
	buffer_store_dword v1, off, s[0:3], 0 offset:356
	buffer_store_dword v0, off, s[0:3], 0 offset:352
	buffer_store_dword v3, off, s[0:3], 0 offset:364
	buffer_store_dword v2, off, s[0:3], 0 offset:360
	s_and_saveexec_b64 s[4:5], vcc
	s_cbranch_execz .LBB52_291
; %bb.290:
	v_accvgpr_read_b32 v0, a138
	buffer_load_dword v2, v0, s[0:3], 0 offen
	buffer_load_dword v3, v0, s[0:3], 0 offen offset:4
	buffer_load_dword v4, v0, s[0:3], 0 offen offset:8
	;; [unrolled: 1-line block ×3, first 2 shown]
	v_accvgpr_read_b32 v0, a159
	buffer_store_dword v254, off, s[0:3], 0 offset:336
	buffer_store_dword v254, off, s[0:3], 0 offset:340
	;; [unrolled: 1-line block ×4, first 2 shown]
	s_waitcnt vmcnt(4)
	ds_write_b128 v0, v[2:5]
.LBB52_291:
	s_or_b64 exec, exec, s[4:5]
	s_waitcnt lgkmcnt(0)
	; wave barrier
	s_waitcnt lgkmcnt(0)
	buffer_load_dword v112, off, s[0:3], 0 offset:352
	buffer_load_dword v113, off, s[0:3], 0 offset:356
	;; [unrolled: 1-line block ×36, first 2 shown]
	ds_read_b128 v[102:105], v254 offset:1184
	ds_read_b128 v[106:109], v254 offset:1200
	;; [unrolled: 1-line block ×9, first 2 shown]
	buffer_load_dword v145, off, s[0:3], 0 offset:524
	buffer_load_dword v144, off, s[0:3], 0 offset:520
	;; [unrolled: 1-line block ×78, first 2 shown]
	v_accvgpr_read_b32 v220, a158
	v_cmp_lt_u32_e32 vcc, 19, v220
	s_waitcnt vmcnt(62) lgkmcnt(8)
	v_mul_f64 v[0:1], v[102:103], v[246:247]
	v_fmac_f64_e32 v[0:1], v[104:105], v[112:113]
	v_add_f64 v[0:1], v[0:1], 0
	v_mul_f64 v[104:105], v[104:105], v[246:247]
	s_waitcnt lgkmcnt(7)
	v_mul_f64 v[26:27], v[106:107], v[248:249]
	v_fmac_f64_e32 v[26:27], v[108:109], v[110:111]
	s_waitcnt lgkmcnt(6)
	v_mul_f64 v[28:29], v[114:115], v[244:245]
	v_add_f64 v[0:1], v[0:1], v[26:27]
	s_waitcnt lgkmcnt(4)
	v_mul_f64 v[32:33], v[18:19], v[120:121]
	v_fma_f64 v[246:247], v[102:103], v[112:113], -v[104:105]
	v_fmac_f64_e32 v[32:33], v[20:21], v[122:123]
	v_mul_f64 v[108:109], v[108:109], v[248:249]
	v_mul_f64 v[30:31], v[22:23], v[124:125]
	v_fma_f64 v[248:249], v[106:107], v[110:111], -v[108:109]
	s_waitcnt lgkmcnt(2)
	v_mul_f64 v[36:37], v[10:11], v[126:127]
	v_mul_f64 v[20:21], v[20:21], v[120:121]
	v_fmac_f64_e32 v[36:37], v[12:13], v[128:129]
	v_fma_f64 v[18:19], v[18:19], v[122:123], -v[20:21]
	v_mul_f64 v[34:35], v[14:15], v[132:133]
	v_mul_f64 v[12:13], v[12:13], v[126:127]
	s_waitcnt lgkmcnt(1)
	v_mul_f64 v[38:39], v[6:7], v[130:131]
	v_fma_f64 v[10:11], v[10:11], v[128:129], -v[12:13]
	v_fmac_f64_e32 v[28:29], v[116:117], v[250:251]
	v_add_f64 v[0:1], v[0:1], v[28:29]
	v_fmac_f64_e32 v[30:31], v[24:25], v[140:141]
	v_add_f64 v[0:1], v[0:1], v[30:31]
	;; [unrolled: 2-line block ×3, first 2 shown]
	v_add_f64 v[0:1], v[0:1], v[34:35]
	v_fmac_f64_e32 v[38:39], v[8:9], v[136:137]
	v_add_f64 v[0:1], v[0:1], v[36:37]
	v_add_f64 v[0:1], v[0:1], v[38:39]
	s_waitcnt lgkmcnt(0)
	v_mul_f64 v[30:31], v[2:3], v[134:135]
	v_fmac_f64_e32 v[30:31], v[4:5], v[142:143]
	ds_read_b128 v[26:29], v254 offset:1328
	v_add_f64 v[0:1], v[0:1], v[30:31]
	ds_read_b128 v[30:33], v254 offset:1344
	buffer_load_dword v231, off, s[0:3], 0 offset:788
	buffer_load_dword v230, off, s[0:3], 0 offset:784
	v_mul_f64 v[116:117], v[116:117], v[244:245]
	s_waitcnt lgkmcnt(1)
	v_mul_f64 v[34:35], v[26:27], v[148:149]
	v_fmac_f64_e32 v[34:35], v[28:29], v[150:151]
	v_add_f64 v[0:1], v[0:1], v[34:35]
	ds_read_b128 v[34:37], v254 offset:1360
	s_waitcnt lgkmcnt(1)
	v_mul_f64 v[38:39], v[30:31], v[144:145]
	v_fmac_f64_e32 v[38:39], v[32:33], v[146:147]
	v_add_f64 v[0:1], v[0:1], v[38:39]
	ds_read_b128 v[38:41], v254 offset:1376
	;; [unrolled: 5-line block ×4, first 2 shown]
	buffer_load_dword v233, off, s[0:3], 0 offset:844
	buffer_load_dword v235, off, s[0:3], 0 offset:828
	;; [unrolled: 1-line block ×12, first 2 shown]
	s_waitcnt vmcnt(62) lgkmcnt(1)
	v_mul_f64 v[50:51], v[42:43], v[176:177]
	v_fmac_f64_e32 v[50:51], v[44:45], v[180:181]
	v_add_f64 v[0:1], v[0:1], v[50:51]
	ds_read_b128 v[50:53], v254 offset:1424
	s_waitcnt lgkmcnt(1)
	v_mul_f64 v[54:55], v[46:47], v[156:157]
	v_fmac_f64_e32 v[54:55], v[48:49], v[158:159]
	v_add_f64 v[0:1], v[0:1], v[54:55]
	ds_read_b128 v[54:57], v254 offset:1440
	s_waitcnt lgkmcnt(1)
	v_mul_f64 v[58:59], v[50:51], v[184:185]
	s_waitcnt vmcnt(60)
	v_fmac_f64_e32 v[58:59], v[52:53], v[188:189]
	v_add_f64 v[0:1], v[0:1], v[58:59]
	ds_read_b128 v[58:61], v254 offset:1456
	s_waitcnt lgkmcnt(1)
	v_mul_f64 v[62:63], v[54:55], v[164:165]
	v_fmac_f64_e32 v[62:63], v[56:57], v[166:167]
	v_add_f64 v[0:1], v[0:1], v[62:63]
	ds_read_b128 v[62:65], v254 offset:1472
	s_waitcnt vmcnt(54) lgkmcnt(1)
	v_mul_f64 v[66:67], v[58:59], v[192:193]
	s_waitcnt vmcnt(52)
	v_fmac_f64_e32 v[66:67], v[60:61], v[196:197]
	v_add_f64 v[0:1], v[0:1], v[66:67]
	ds_read_b128 v[66:69], v254 offset:1488
	s_waitcnt lgkmcnt(1)
	v_mul_f64 v[70:71], v[62:63], v[168:169]
	v_fmac_f64_e32 v[70:71], v[64:65], v[170:171]
	v_add_f64 v[0:1], v[0:1], v[70:71]
	ds_read_b128 v[70:73], v254 offset:1504
	s_waitcnt vmcnt(46) lgkmcnt(1)
	;; [unrolled: 11-line block ×4, first 2 shown]
	v_mul_f64 v[90:91], v[82:83], v[212:213]
	s_waitcnt vmcnt(28)
	v_fmac_f64_e32 v[90:91], v[84:85], v[214:215]
	v_add_f64 v[0:1], v[0:1], v[90:91]
	ds_read_b128 v[90:93], v254 offset:1584
	ds_read_b128 v[94:97], v254 offset:1600
	s_waitcnt lgkmcnt(2)
	v_mul_f64 v[98:99], v[86:87], v[186:187]
	v_fmac_f64_e32 v[98:99], v[88:89], v[190:191]
	v_add_f64 v[0:1], v[0:1], v[98:99]
	s_waitcnt vmcnt(22) lgkmcnt(1)
	v_mul_f64 v[98:99], v[90:91], v[224:225]
	s_waitcnt vmcnt(20)
	v_fmac_f64_e32 v[98:99], v[92:93], v[226:227]
	v_add_f64 v[0:1], v[0:1], v[98:99]
	s_waitcnt lgkmcnt(0)
	v_mul_f64 v[98:99], v[94:95], v[194:195]
	v_fmac_f64_e32 v[98:99], v[96:97], v[198:199]
	v_add_f64 v[0:1], v[0:1], v[98:99]
	ds_read_b128 v[98:101], v254 offset:1616
	ds_read_b128 v[102:105], v254 offset:1632
	;; [unrolled: 1-line block ×3, first 2 shown]
	v_fma_f64 v[250:251], v[114:115], v[250:251], -v[116:117]
	ds_read_b128 v[114:117], v254 offset:1680
	s_waitcnt vmcnt(14) lgkmcnt(3)
	v_mul_f64 v[112:113], v[98:99], v[228:229]
	s_waitcnt lgkmcnt(2)
	v_mul_f64 v[110:111], v[102:103], v[202:203]
	s_waitcnt vmcnt(12)
	v_fmac_f64_e32 v[112:113], v[100:101], v[230:231]
	v_add_f64 v[0:1], v[0:1], v[112:113]
	v_fmac_f64_e32 v[110:111], v[104:105], v[206:207]
	v_add_f64 v[0:1], v[0:1], v[110:111]
	ds_read_b128 v[110:113], v254 offset:1664
	buffer_load_dword v254, off, s[0:3], 0 offset:336
	buffer_load_dword v255, off, s[0:3], 0 offset:340
	;; [unrolled: 1-line block ×4, first 2 shown]
	v_mul_f64 v[24:25], v[24:25], v[124:125]
	v_fma_f64 v[22:23], v[22:23], v[140:141], -v[24:25]
	v_mul_f64 v[16:17], v[16:17], v[132:133]
	s_waitcnt vmcnt(13) lgkmcnt(2)
	v_mul_f64 v[118:119], v[106:107], v[234:235]
	v_fma_f64 v[14:15], v[14:15], v[138:139], -v[16:17]
	s_waitcnt vmcnt(11)
	v_fmac_f64_e32 v[118:119], v[108:109], v[240:241]
	v_add_f64 v[0:1], v[0:1], v[118:119]
	s_waitcnt vmcnt(10) lgkmcnt(0)
	v_mul_f64 v[118:119], v[110:111], v[232:233]
	s_waitcnt vmcnt(8)
	v_fmac_f64_e32 v[118:119], v[112:113], v[238:239]
	v_add_f64 v[0:1], v[0:1], v[118:119]
	s_waitcnt vmcnt(6)
	v_mul_f64 v[118:119], v[114:115], v[236:237]
	v_mul_f64 v[8:9], v[8:9], v[130:131]
	s_waitcnt vmcnt(4)
	v_fmac_f64_e32 v[118:119], v[116:117], v[242:243]
	v_add_f64 v[244:245], v[0:1], v[118:119]
	v_add_f64 v[0:1], v[246:247], 0
	;; [unrolled: 1-line block ×8, first 2 shown]
	v_fma_f64 v[6:7], v[6:7], v[136:137], -v[8:9]
	v_mul_f64 v[4:5], v[4:5], v[134:135]
	v_add_f64 v[0:1], v[0:1], v[6:7]
	v_fma_f64 v[2:3], v[2:3], v[142:143], -v[4:5]
	v_add_f64 v[0:1], v[0:1], v[2:3]
	v_mul_f64 v[2:3], v[28:29], v[148:149]
	v_fma_f64 v[2:3], v[26:27], v[150:151], -v[2:3]
	v_add_f64 v[0:1], v[0:1], v[2:3]
	v_mul_f64 v[2:3], v[32:33], v[144:145]
	v_fma_f64 v[2:3], v[30:31], v[146:147], -v[2:3]
	v_add_f64 v[0:1], v[0:1], v[2:3]
	v_mul_f64 v[2:3], v[36:37], v[160:161]
	v_fma_f64 v[2:3], v[34:35], v[162:163], -v[2:3]
	v_add_f64 v[0:1], v[0:1], v[2:3]
	v_mul_f64 v[2:3], v[40:41], v[152:153]
	v_fma_f64 v[2:3], v[38:39], v[154:155], -v[2:3]
	v_add_f64 v[0:1], v[0:1], v[2:3]
	v_mul_f64 v[2:3], v[44:45], v[176:177]
	v_fma_f64 v[2:3], v[42:43], v[180:181], -v[2:3]
	v_add_f64 v[0:1], v[0:1], v[2:3]
	v_mul_f64 v[2:3], v[48:49], v[156:157]
	v_fma_f64 v[2:3], v[46:47], v[158:159], -v[2:3]
	v_add_f64 v[0:1], v[0:1], v[2:3]
	v_mul_f64 v[2:3], v[52:53], v[184:185]
	v_fma_f64 v[2:3], v[50:51], v[188:189], -v[2:3]
	v_add_f64 v[0:1], v[0:1], v[2:3]
	v_mul_f64 v[2:3], v[56:57], v[164:165]
	v_fma_f64 v[2:3], v[54:55], v[166:167], -v[2:3]
	v_add_f64 v[0:1], v[0:1], v[2:3]
	v_mul_f64 v[2:3], v[60:61], v[192:193]
	v_fma_f64 v[2:3], v[58:59], v[196:197], -v[2:3]
	v_add_f64 v[0:1], v[0:1], v[2:3]
	v_mul_f64 v[2:3], v[64:65], v[168:169]
	v_fma_f64 v[2:3], v[62:63], v[170:171], -v[2:3]
	v_add_f64 v[0:1], v[0:1], v[2:3]
	v_mul_f64 v[2:3], v[68:69], v[200:201]
	v_fma_f64 v[2:3], v[66:67], v[204:205], -v[2:3]
	v_add_f64 v[0:1], v[0:1], v[2:3]
	v_mul_f64 v[2:3], v[72:73], v[172:173]
	v_fma_f64 v[2:3], v[70:71], v[174:175], -v[2:3]
	v_add_f64 v[0:1], v[0:1], v[2:3]
	v_mul_f64 v[2:3], v[76:77], v[208:209]
	v_fma_f64 v[2:3], v[74:75], v[210:211], -v[2:3]
	v_add_f64 v[0:1], v[0:1], v[2:3]
	v_mul_f64 v[2:3], v[80:81], v[178:179]
	v_fma_f64 v[2:3], v[78:79], v[182:183], -v[2:3]
	v_add_f64 v[0:1], v[0:1], v[2:3]
	v_mul_f64 v[2:3], v[84:85], v[212:213]
	v_fma_f64 v[2:3], v[82:83], v[214:215], -v[2:3]
	v_add_f64 v[0:1], v[0:1], v[2:3]
	v_mul_f64 v[2:3], v[88:89], v[186:187]
	v_fma_f64 v[2:3], v[86:87], v[190:191], -v[2:3]
	v_add_f64 v[0:1], v[0:1], v[2:3]
	v_mul_f64 v[2:3], v[92:93], v[224:225]
	v_fma_f64 v[2:3], v[90:91], v[226:227], -v[2:3]
	v_add_f64 v[0:1], v[0:1], v[2:3]
	v_mul_f64 v[2:3], v[96:97], v[194:195]
	v_fma_f64 v[2:3], v[94:95], v[198:199], -v[2:3]
	v_add_f64 v[0:1], v[0:1], v[2:3]
	v_mul_f64 v[2:3], v[100:101], v[228:229]
	v_fma_f64 v[2:3], v[98:99], v[230:231], -v[2:3]
	v_add_f64 v[0:1], v[0:1], v[2:3]
	v_mul_f64 v[2:3], v[104:105], v[202:203]
	v_fma_f64 v[2:3], v[102:103], v[206:207], -v[2:3]
	v_add_f64 v[0:1], v[0:1], v[2:3]
	v_mul_f64 v[2:3], v[108:109], v[234:235]
	v_fma_f64 v[2:3], v[106:107], v[240:241], -v[2:3]
	v_add_f64 v[0:1], v[0:1], v[2:3]
	v_mul_f64 v[2:3], v[112:113], v[232:233]
	v_fma_f64 v[2:3], v[110:111], v[238:239], -v[2:3]
	v_add_f64 v[0:1], v[0:1], v[2:3]
	v_mul_f64 v[2:3], v[116:117], v[236:237]
	v_fma_f64 v[2:3], v[114:115], v[242:243], -v[2:3]
	v_add_f64 v[0:1], v[0:1], v[2:3]
	s_waitcnt vmcnt(2)
	v_add_f64 v[0:1], v[254:255], -v[0:1]
	s_waitcnt vmcnt(0)
	v_add_f64 v[2:3], v[252:253], -v[244:245]
	buffer_store_dword v1, off, s[0:3], 0 offset:340
	buffer_store_dword v0, off, s[0:3], 0 offset:336
	;; [unrolled: 1-line block ×4, first 2 shown]
	s_and_saveexec_b64 s[4:5], vcc
	s_cbranch_execz .LBB52_293
; %bb.292:
	v_accvgpr_read_b32 v0, a139
	buffer_load_dword v2, v0, s[0:3], 0 offen
	buffer_load_dword v3, v0, s[0:3], 0 offen offset:4
	buffer_load_dword v4, v0, s[0:3], 0 offen offset:8
	;; [unrolled: 1-line block ×3, first 2 shown]
	v_mov_b32_e32 v0, 0
	v_accvgpr_read_b32 v1, a159
	buffer_store_dword v0, off, s[0:3], 0 offset:320
	buffer_store_dword v0, off, s[0:3], 0 offset:324
	buffer_store_dword v0, off, s[0:3], 0 offset:328
	buffer_store_dword v0, off, s[0:3], 0 offset:332
	s_waitcnt vmcnt(4)
	ds_write_b128 v1, v[2:5]
.LBB52_293:
	s_or_b64 exec, exec, s[4:5]
	s_waitcnt lgkmcnt(0)
	; wave barrier
	s_waitcnt lgkmcnt(0)
	buffer_load_dword v94, off, s[0:3], 0 offset:336
	buffer_load_dword v95, off, s[0:3], 0 offset:340
	;; [unrolled: 1-line block ×52, first 2 shown]
	v_mov_b32_e32 v254, 0
	ds_read_b128 v[102:105], v254 offset:1168
	ds_read_b128 v[114:117], v254 offset:1184
	;; [unrolled: 1-line block ×10, first 2 shown]
	v_cmp_lt_u32_e32 vcc, 18, v220
	s_waitcnt vmcnt(48) lgkmcnt(9)
	v_mul_f64 v[0:1], v[102:103], v[96:97]
	v_fmac_f64_e32 v[0:1], v[104:105], v[94:95]
	v_add_f64 v[0:1], v[0:1], 0
	v_mul_f64 v[96:97], v[104:105], v[96:97]
	s_waitcnt vmcnt(44) lgkmcnt(8)
	v_mul_f64 v[26:27], v[114:115], v[100:101]
	v_fmac_f64_e32 v[26:27], v[116:117], v[98:99]
	s_waitcnt vmcnt(42) lgkmcnt(7)
	v_mul_f64 v[28:29], v[244:245], v[106:107]
	v_add_f64 v[0:1], v[0:1], v[26:27]
	s_waitcnt vmcnt(40) lgkmcnt(5)
	v_mul_f64 v[32:33], v[22:23], v[122:123]
	v_fma_f64 v[118:119], v[102:103], v[94:95], -v[96:97]
	s_waitcnt vmcnt(38)
	v_fmac_f64_e32 v[32:33], v[24:25], v[126:127]
	v_mul_f64 v[100:101], v[116:117], v[100:101]
	s_waitcnt vmcnt(36)
	v_mul_f64 v[30:31], v[250:251], v[110:111]
	v_fma_f64 v[216:217], v[114:115], v[98:99], -v[100:101]
	s_waitcnt vmcnt(34) lgkmcnt(3)
	v_mul_f64 v[36:37], v[14:15], v[120:121]
	v_mul_f64 v[106:107], v[246:247], v[106:107]
	s_waitcnt vmcnt(32)
	v_fmac_f64_e32 v[36:37], v[16:17], v[124:125]
	v_mul_f64 v[110:111], v[252:253], v[110:111]
	s_waitcnt vmcnt(30)
	v_mul_f64 v[34:35], v[18:19], v[132:133]
	v_mul_f64 v[24:25], v[24:25], v[122:123]
	v_fma_f64 v[22:23], v[22:23], v[126:127], -v[24:25]
	s_waitcnt vmcnt(27) lgkmcnt(2)
	v_mul_f64 v[38:39], v[10:11], v[130:131]
	s_waitcnt vmcnt(26) lgkmcnt(1)
	v_mul_f64 v[40:41], v[6:7], v[128:129]
	v_mul_f64 v[16:17], v[16:17], v[120:121]
	s_waitcnt vmcnt(24)
	v_fmac_f64_e32 v[28:29], v[246:247], v[108:109]
	v_add_f64 v[0:1], v[0:1], v[28:29]
	s_waitcnt vmcnt(22)
	v_fmac_f64_e32 v[30:31], v[252:253], v[112:113]
	v_add_f64 v[0:1], v[0:1], v[30:31]
	v_add_f64 v[0:1], v[0:1], v[32:33]
	ds_read_b128 v[26:29], v254 offset:1328
	ds_read_b128 v[30:33], v254 offset:1344
	buffer_load_dword v157, off, s[0:3], 0 offset:572
	buffer_load_dword v156, off, s[0:3], 0 offset:568
	;; [unrolled: 1-line block ×56, first 2 shown]
	s_waitcnt vmcnt(62)
	v_fmac_f64_e32 v[34:35], v[20:21], v[136:137]
	v_add_f64 v[0:1], v[0:1], v[34:35]
	v_fmac_f64_e32 v[38:39], v[12:13], v[134:135]
	v_add_f64 v[0:1], v[0:1], v[36:37]
	v_add_f64 v[0:1], v[0:1], v[38:39]
	v_fmac_f64_e32 v[40:41], v[8:9], v[140:141]
	s_waitcnt lgkmcnt(2)
	v_mul_f64 v[34:35], v[2:3], v[144:145]
	v_add_f64 v[0:1], v[0:1], v[40:41]
	v_fmac_f64_e32 v[34:35], v[4:5], v[146:147]
	v_add_f64 v[0:1], v[0:1], v[34:35]
	s_waitcnt lgkmcnt(1)
	v_mul_f64 v[34:35], v[26:27], v[138:139]
	v_fmac_f64_e32 v[34:35], v[28:29], v[142:143]
	v_add_f64 v[0:1], v[0:1], v[34:35]
	s_waitcnt lgkmcnt(0)
	v_mul_f64 v[34:35], v[30:31], v[148:149]
	s_waitcnt vmcnt(60)
	v_fmac_f64_e32 v[34:35], v[32:33], v[152:153]
	v_add_f64 v[0:1], v[0:1], v[34:35]
	ds_read_b128 v[34:37], v254 offset:1360
	buffer_load_dword v201, off, s[0:3], 0 offset:796
	buffer_load_dword v200, off, s[0:3], 0 offset:792
	;; [unrolled: 1-line block ×16, first 2 shown]
	ds_read_b128 v[38:41], v254 offset:1376
	buffer_load_dword v231, off, s[0:3], 0 offset:860
	buffer_load_dword v230, off, s[0:3], 0 offset:856
	;; [unrolled: 1-line block ×8, first 2 shown]
	ds_read_b128 v[98:101], v254 offset:1616
	s_waitcnt vmcnt(62) lgkmcnt(2)
	v_mul_f64 v[42:43], v[34:35], v[150:151]
	v_fmac_f64_e32 v[42:43], v[36:37], v[154:155]
	v_add_f64 v[0:1], v[0:1], v[42:43]
	ds_read_b128 v[42:45], v254 offset:1392
	v_fma_f64 v[248:249], v[244:245], v[108:109], -v[106:107]
	ds_read_b128 v[106:109], v254 offset:1648
	v_fma_f64 v[246:247], v[250:251], v[112:113], -v[110:111]
	v_mul_f64 v[20:21], v[20:21], v[132:133]
	s_waitcnt lgkmcnt(3)
	v_mul_f64 v[46:47], v[38:39], v[172:173]
	v_fma_f64 v[18:19], v[18:19], v[136:137], -v[20:21]
	v_fmac_f64_e32 v[46:47], v[40:41], v[176:177]
	v_add_f64 v[0:1], v[0:1], v[46:47]
	ds_read_b128 v[46:49], v254 offset:1408
	s_waitcnt lgkmcnt(2)
	v_mul_f64 v[50:51], v[42:43], v[156:157]
	v_fmac_f64_e32 v[50:51], v[44:45], v[158:159]
	v_add_f64 v[0:1], v[0:1], v[50:51]
	ds_read_b128 v[50:53], v254 offset:1424
	s_waitcnt lgkmcnt(1)
	v_mul_f64 v[54:55], v[46:47], v[180:181]
	;; [unrolled: 5-line block ×3, first 2 shown]
	v_fmac_f64_e32 v[58:59], v[52:53], v[162:163]
	v_add_f64 v[0:1], v[0:1], v[58:59]
	ds_read_b128 v[58:61], v254 offset:1456
	s_waitcnt vmcnt(58) lgkmcnt(1)
	v_mul_f64 v[62:63], v[54:55], v[188:189]
	s_waitcnt vmcnt(56)
	v_fmac_f64_e32 v[62:63], v[56:57], v[192:193]
	v_add_f64 v[0:1], v[0:1], v[62:63]
	ds_read_b128 v[62:65], v254 offset:1472
	s_waitcnt lgkmcnt(1)
	v_mul_f64 v[66:67], v[58:59], v[164:165]
	v_fmac_f64_e32 v[66:67], v[60:61], v[166:167]
	v_add_f64 v[0:1], v[0:1], v[66:67]
	ds_read_b128 v[66:69], v254 offset:1488
	s_waitcnt vmcnt(50) lgkmcnt(1)
	v_mul_f64 v[70:71], v[62:63], v[196:197]
	s_waitcnt vmcnt(48)
	v_fmac_f64_e32 v[70:71], v[64:65], v[198:199]
	v_add_f64 v[0:1], v[0:1], v[70:71]
	ds_read_b128 v[70:73], v254 offset:1504
	s_waitcnt lgkmcnt(1)
	v_mul_f64 v[74:75], v[66:67], v[168:169]
	;; [unrolled: 11-line block ×3, first 2 shown]
	v_fmac_f64_e32 v[82:83], v[76:77], v[178:179]
	v_add_f64 v[0:1], v[0:1], v[82:83]
	ds_read_b128 v[82:85], v254 offset:1552
	ds_read_b128 v[86:89], v254 offset:1568
	s_waitcnt vmcnt(34) lgkmcnt(2)
	v_mul_f64 v[90:91], v[78:79], v[210:211]
	s_waitcnt vmcnt(32)
	v_fmac_f64_e32 v[90:91], v[80:81], v[224:225]
	v_add_f64 v[0:1], v[0:1], v[90:91]
	s_waitcnt lgkmcnt(1)
	v_mul_f64 v[90:91], v[82:83], v[182:183]
	v_fmac_f64_e32 v[90:91], v[84:85], v[186:187]
	v_add_f64 v[0:1], v[0:1], v[90:91]
	s_waitcnt vmcnt(27) lgkmcnt(0)
	v_mul_f64 v[90:91], v[86:87], v[214:215]
	s_waitcnt vmcnt(25)
	v_fmac_f64_e32 v[90:91], v[88:89], v[226:227]
	v_add_f64 v[0:1], v[0:1], v[90:91]
	ds_read_b128 v[90:93], v254 offset:1584
	ds_read_b128 v[94:97], v254 offset:1600
	v_fma_f64 v[14:15], v[14:15], v[124:125], -v[16:17]
	v_mul_f64 v[12:13], v[12:13], v[130:131]
	v_fma_f64 v[10:11], v[10:11], v[134:135], -v[12:13]
	s_waitcnt lgkmcnt(1)
	v_mul_f64 v[102:103], v[90:91], v[190:191]
	s_waitcnt vmcnt(24)
	v_fmac_f64_e32 v[102:103], v[92:93], v[194:195]
	v_add_f64 v[0:1], v[0:1], v[102:103]
	s_waitcnt vmcnt(18) lgkmcnt(0)
	v_mul_f64 v[102:103], v[94:95], v[228:229]
	s_waitcnt vmcnt(16)
	v_fmac_f64_e32 v[102:103], v[96:97], v[232:233]
	v_add_f64 v[0:1], v[0:1], v[102:103]
	v_mul_f64 v[102:103], v[98:99], v[200:201]
	v_fmac_f64_e32 v[102:103], v[100:101], v[204:205]
	v_add_f64 v[0:1], v[0:1], v[102:103]
	ds_read_b128 v[102:105], v254 offset:1632
	ds_read_b128 v[110:113], v254 offset:1664
	v_mul_f64 v[8:9], v[8:9], v[128:129]
	v_fma_f64 v[6:7], v[6:7], v[140:141], -v[8:9]
	v_mul_f64 v[4:5], v[4:5], v[144:145]
	s_waitcnt vmcnt(10) lgkmcnt(1)
	v_mul_f64 v[114:115], v[102:103], v[236:237]
	s_waitcnt vmcnt(8)
	v_fmac_f64_e32 v[114:115], v[104:105], v[238:239]
	v_add_f64 v[0:1], v[0:1], v[114:115]
	v_mul_f64 v[114:115], v[106:107], v[208:209]
	v_fmac_f64_e32 v[114:115], v[108:109], v[212:213]
	v_add_f64 v[0:1], v[0:1], v[114:115]
	s_waitcnt vmcnt(2) lgkmcnt(0)
	v_mul_f64 v[114:115], v[110:111], v[240:241]
	s_waitcnt vmcnt(0)
	v_fmac_f64_e32 v[114:115], v[112:113], v[242:243]
	v_add_f64 v[0:1], v[0:1], v[114:115]
	ds_read_b128 v[114:117], v254 offset:1680
	buffer_load_dword v252, off, s[0:3], 0 offset:320
	buffer_load_dword v253, off, s[0:3], 0 offset:324
	v_fma_f64 v[2:3], v[2:3], v[146:147], -v[4:5]
	s_waitcnt lgkmcnt(0)
	v_mul_f64 v[218:219], v[114:115], v[230:231]
	v_fmac_f64_e32 v[218:219], v[116:117], v[234:235]
	v_add_f64 v[244:245], v[0:1], v[218:219]
	v_add_f64 v[0:1], v[118:119], 0
	;; [unrolled: 1-line block ×4, first 2 shown]
	buffer_load_dword v248, off, s[0:3], 0 offset:328
	buffer_load_dword v249, off, s[0:3], 0 offset:332
	v_add_f64 v[0:1], v[0:1], v[246:247]
	v_add_f64 v[0:1], v[0:1], v[22:23]
	;; [unrolled: 1-line block ×7, first 2 shown]
	v_mul_f64 v[2:3], v[28:29], v[138:139]
	v_fma_f64 v[2:3], v[26:27], v[142:143], -v[2:3]
	v_add_f64 v[0:1], v[0:1], v[2:3]
	v_mul_f64 v[2:3], v[32:33], v[148:149]
	v_fma_f64 v[2:3], v[30:31], v[152:153], -v[2:3]
	v_add_f64 v[0:1], v[0:1], v[2:3]
	;; [unrolled: 3-line block ×23, first 2 shown]
	s_waitcnt vmcnt(2)
	v_add_f64 v[0:1], v[252:253], -v[0:1]
	s_waitcnt vmcnt(0)
	v_add_f64 v[2:3], v[248:249], -v[244:245]
	buffer_store_dword v1, off, s[0:3], 0 offset:324
	buffer_store_dword v0, off, s[0:3], 0 offset:320
	;; [unrolled: 1-line block ×4, first 2 shown]
	s_and_saveexec_b64 s[4:5], vcc
	s_cbranch_execz .LBB52_295
; %bb.294:
	v_accvgpr_read_b32 v0, a140
	buffer_load_dword v2, v0, s[0:3], 0 offen
	buffer_load_dword v3, v0, s[0:3], 0 offen offset:4
	buffer_load_dword v4, v0, s[0:3], 0 offen offset:8
	;; [unrolled: 1-line block ×3, first 2 shown]
	v_accvgpr_read_b32 v0, a159
	buffer_store_dword v254, off, s[0:3], 0 offset:304
	buffer_store_dword v254, off, s[0:3], 0 offset:308
	buffer_store_dword v254, off, s[0:3], 0 offset:312
	buffer_store_dword v254, off, s[0:3], 0 offset:316
	s_waitcnt vmcnt(4)
	ds_write_b128 v0, v[2:5]
.LBB52_295:
	s_or_b64 exec, exec, s[4:5]
	s_waitcnt lgkmcnt(0)
	; wave barrier
	s_waitcnt lgkmcnt(0)
	buffer_load_dword v86, off, s[0:3], 0 offset:320
	buffer_load_dword v87, off, s[0:3], 0 offset:324
	;; [unrolled: 1-line block ×42, first 2 shown]
	ds_read_b128 v[94:97], v254 offset:1152
	ds_read_b128 v[106:109], v254 offset:1168
	;; [unrolled: 1-line block ×10, first 2 shown]
	buffer_load_dword v147, off, s[0:3], 0 offset:468
	buffer_load_dword v146, off, s[0:3], 0 offset:464
	ds_read_b128 v[6:9], v254 offset:1312
	buffer_load_dword v143, off, s[0:3], 0 offset:524
	buffer_load_dword v142, off, s[0:3], 0 offset:520
	;; [unrolled: 1-line block ×80, first 2 shown]
	s_waitcnt vmcnt(62) lgkmcnt(10)
	v_mul_f64 v[0:1], v[94:95], v[88:89]
	v_fmac_f64_e32 v[0:1], v[96:97], v[86:87]
	v_add_f64 v[0:1], v[0:1], 0
	v_mul_f64 v[88:89], v[96:97], v[88:89]
	s_waitcnt lgkmcnt(9)
	v_mul_f64 v[26:27], v[106:107], v[92:93]
	v_fmac_f64_e32 v[26:27], v[108:109], v[90:91]
	s_waitcnt lgkmcnt(8)
	v_mul_f64 v[28:29], v[114:115], v[98:99]
	v_add_f64 v[0:1], v[0:1], v[26:27]
	s_waitcnt lgkmcnt(6)
	v_mul_f64 v[32:33], v[248:249], v[110:111]
	v_fma_f64 v[118:119], v[94:95], v[86:87], -v[88:89]
	v_fmac_f64_e32 v[32:33], v[250:251], v[112:113]
	v_mul_f64 v[92:93], v[108:109], v[92:93]
	v_mul_f64 v[30:31], v[244:245], v[102:103]
	v_fma_f64 v[216:217], v[106:107], v[90:91], -v[92:93]
	s_waitcnt lgkmcnt(4)
	v_mul_f64 v[36:37], v[18:19], v[120:121]
	v_mul_f64 v[98:99], v[116:117], v[98:99]
	v_fmac_f64_e32 v[36:37], v[20:21], v[122:123]
	v_mul_f64 v[102:103], v[246:247], v[102:103]
	v_mul_f64 v[34:35], v[22:23], v[124:125]
	;; [unrolled: 1-line block ×3, first 2 shown]
	s_waitcnt lgkmcnt(2)
	v_mul_f64 v[40:41], v[10:11], v[126:127]
	v_fma_f64 v[248:249], v[248:249], v[112:113], -v[110:111]
	v_mul_f64 v[20:21], v[20:21], v[120:121]
	v_mul_f64 v[38:39], v[14:15], v[132:133]
	v_fma_f64 v[18:19], v[18:19], v[122:123], -v[20:21]
	s_waitcnt lgkmcnt(1)
	v_mul_f64 v[42:43], v[2:3], v[130:131]
	v_fmac_f64_e32 v[28:29], v[116:117], v[100:101]
	v_add_f64 v[0:1], v[0:1], v[28:29]
	v_fmac_f64_e32 v[30:31], v[246:247], v[104:105]
	v_add_f64 v[0:1], v[0:1], v[30:31]
	;; [unrolled: 2-line block ×3, first 2 shown]
	v_add_f64 v[0:1], v[0:1], v[34:35]
	ds_read_b128 v[26:29], v254 offset:1328
	v_fmac_f64_e32 v[38:39], v[16:17], v[134:135]
	v_add_f64 v[0:1], v[0:1], v[36:37]
	v_fmac_f64_e32 v[40:41], v[12:13], v[128:129]
	v_add_f64 v[0:1], v[0:1], v[38:39]
	v_add_f64 v[0:1], v[0:1], v[40:41]
	v_fmac_f64_e32 v[42:43], v[4:5], v[146:147]
	s_waitcnt lgkmcnt(1)
	v_mul_f64 v[30:31], v[6:7], v[138:139]
	v_add_f64 v[0:1], v[0:1], v[42:43]
	v_fmac_f64_e32 v[30:31], v[8:9], v[140:141]
	v_add_f64 v[0:1], v[0:1], v[30:31]
	ds_read_b128 v[30:33], v254 offset:1344
	s_waitcnt lgkmcnt(1)
	v_mul_f64 v[34:35], v[26:27], v[148:149]
	v_fmac_f64_e32 v[34:35], v[28:29], v[164:165]
	v_add_f64 v[0:1], v[0:1], v[34:35]
	ds_read_b128 v[34:37], v254 offset:1360
	s_waitcnt lgkmcnt(1)
	v_mul_f64 v[38:39], v[30:31], v[142:143]
	;; [unrolled: 5-line block ×4, first 2 shown]
	v_fmac_f64_e32 v[46:47], v[40:41], v[152:153]
	v_add_f64 v[0:1], v[0:1], v[46:47]
	ds_read_b128 v[46:49], v254 offset:1408
	s_waitcnt vmcnt(58) lgkmcnt(1)
	v_mul_f64 v[50:51], v[42:43], v[176:177]
	s_waitcnt vmcnt(56)
	v_fmac_f64_e32 v[50:51], v[44:45], v[180:181]
	v_add_f64 v[0:1], v[0:1], v[50:51]
	ds_read_b128 v[50:53], v254 offset:1424
	buffer_load_dword v232, off, s[0:3], 0 offset:840
	buffer_load_dword v237, off, s[0:3], 0 offset:828
	;; [unrolled: 1-line block ×8, first 2 shown]
	s_waitcnt lgkmcnt(1)
	v_mul_f64 v[54:55], v[46:47], v[154:155]
	v_fmac_f64_e32 v[54:55], v[48:49], v[156:157]
	v_add_f64 v[0:1], v[0:1], v[54:55]
	ds_read_b128 v[54:57], v254 offset:1440
	buffer_load_dword v241, off, s[0:3], 0 offset:860
	buffer_load_dword v240, off, s[0:3], 0 offset:856
	;; [unrolled: 1-line block ×4, first 2 shown]
	s_waitcnt vmcnt(62) lgkmcnt(1)
	v_mul_f64 v[58:59], v[50:51], v[184:185]
	s_waitcnt vmcnt(60)
	v_fmac_f64_e32 v[58:59], v[52:53], v[188:189]
	v_add_f64 v[0:1], v[0:1], v[58:59]
	ds_read_b128 v[58:61], v254 offset:1456
	s_waitcnt lgkmcnt(1)
	v_mul_f64 v[62:63], v[54:55], v[158:159]
	v_fmac_f64_e32 v[62:63], v[56:57], v[160:161]
	v_add_f64 v[0:1], v[0:1], v[62:63]
	ds_read_b128 v[62:65], v254 offset:1472
	s_waitcnt vmcnt(54) lgkmcnt(1)
	v_mul_f64 v[66:67], v[58:59], v[192:193]
	s_waitcnt vmcnt(52)
	v_fmac_f64_e32 v[66:67], v[60:61], v[196:197]
	v_add_f64 v[0:1], v[0:1], v[66:67]
	ds_read_b128 v[66:69], v254 offset:1488
	s_waitcnt lgkmcnt(1)
	v_mul_f64 v[70:71], v[62:63], v[162:163]
	v_fmac_f64_e32 v[70:71], v[64:65], v[166:167]
	v_add_f64 v[0:1], v[0:1], v[70:71]
	ds_read_b128 v[70:73], v254 offset:1504
	s_waitcnt vmcnt(46) lgkmcnt(1)
	v_mul_f64 v[74:75], v[66:67], v[200:201]
	s_waitcnt vmcnt(44)
	v_fmac_f64_e32 v[74:75], v[68:69], v[204:205]
	v_add_f64 v[0:1], v[0:1], v[74:75]
	ds_read_b128 v[74:77], v254 offset:1520
	ds_read_b128 v[78:81], v254 offset:1536
	s_waitcnt lgkmcnt(2)
	v_mul_f64 v[82:83], v[70:71], v[170:171]
	v_fmac_f64_e32 v[82:83], v[72:73], v[174:175]
	v_add_f64 v[0:1], v[0:1], v[82:83]
	s_waitcnt vmcnt(38) lgkmcnt(1)
	v_mul_f64 v[82:83], v[74:75], v[208:209]
	s_waitcnt vmcnt(36)
	v_fmac_f64_e32 v[82:83], v[76:77], v[210:211]
	v_add_f64 v[0:1], v[0:1], v[82:83]
	s_waitcnt lgkmcnt(0)
	v_mul_f64 v[82:83], v[78:79], v[178:179]
	v_fmac_f64_e32 v[82:83], v[80:81], v[182:183]
	v_add_f64 v[0:1], v[0:1], v[82:83]
	ds_read_b128 v[82:85], v254 offset:1552
	ds_read_b128 v[86:89], v254 offset:1568
	ds_read_b128 v[90:93], v254 offset:1584
	v_fma_f64 v[218:219], v[114:115], v[100:101], -v[98:99]
	ds_read_b128 v[98:101], v254 offset:1616
	s_waitcnt vmcnt(30) lgkmcnt(3)
	v_mul_f64 v[94:95], v[82:83], v[212:213]
	s_waitcnt vmcnt(28)
	v_fmac_f64_e32 v[94:95], v[84:85], v[214:215]
	v_add_f64 v[0:1], v[0:1], v[94:95]
	s_waitcnt lgkmcnt(2)
	v_mul_f64 v[94:95], v[86:87], v[186:187]
	v_fmac_f64_e32 v[94:95], v[88:89], v[190:191]
	v_add_f64 v[0:1], v[0:1], v[94:95]
	ds_read_b128 v[94:97], v254 offset:1600
	s_waitcnt vmcnt(22) lgkmcnt(2)
	v_mul_f64 v[106:107], v[90:91], v[224:225]
	s_waitcnt vmcnt(20)
	v_fmac_f64_e32 v[106:107], v[92:93], v[226:227]
	v_add_f64 v[0:1], v[0:1], v[106:107]
	v_fma_f64 v[246:247], v[244:245], v[104:105], -v[102:103]
	s_waitcnt lgkmcnt(0)
	v_mul_f64 v[106:107], v[94:95], v[194:195]
	v_fmac_f64_e32 v[106:107], v[96:97], v[198:199]
	v_add_f64 v[0:1], v[0:1], v[106:107]
	ds_read_b128 v[106:109], v254 offset:1632
	ds_read_b128 v[102:105], v254 offset:1648
	;; [unrolled: 1-line block ×3, first 2 shown]
	s_waitcnt vmcnt(14)
	v_mul_f64 v[114:115], v[98:99], v[228:229]
	s_waitcnt vmcnt(12)
	v_fmac_f64_e32 v[114:115], v[100:101], v[230:231]
	v_add_f64 v[0:1], v[0:1], v[114:115]
	s_waitcnt lgkmcnt(2)
	v_mul_f64 v[114:115], v[106:107], v[202:203]
	v_fmac_f64_e32 v[114:115], v[108:109], v[206:207]
	v_add_f64 v[0:1], v[0:1], v[114:115]
	v_mul_f64 v[24:25], v[24:25], v[124:125]
	v_fma_f64 v[22:23], v[22:23], v[136:137], -v[24:25]
	v_mul_f64 v[16:17], v[16:17], v[132:133]
	v_fma_f64 v[14:15], v[14:15], v[134:135], -v[16:17]
	v_mul_f64 v[12:13], v[12:13], v[126:127]
	v_fma_f64 v[10:11], v[10:11], v[128:129], -v[12:13]
	v_mul_f64 v[4:5], v[4:5], v[130:131]
	v_fma_f64 v[2:3], v[2:3], v[146:147], -v[4:5]
	s_waitcnt vmcnt(9) lgkmcnt(1)
	v_mul_f64 v[114:115], v[102:103], v[236:237]
	s_waitcnt vmcnt(7)
	v_fmac_f64_e32 v[114:115], v[104:105], v[238:239]
	v_add_f64 v[0:1], v[0:1], v[114:115]
	s_waitcnt vmcnt(5) lgkmcnt(0)
	v_mul_f64 v[114:115], v[110:111], v[232:233]
	s_waitcnt vmcnt(4)
	v_fmac_f64_e32 v[114:115], v[112:113], v[234:235]
	v_add_f64 v[0:1], v[0:1], v[114:115]
	ds_read_b128 v[114:117], v254 offset:1680
	buffer_load_dword v254, off, s[0:3], 0 offset:304
	buffer_load_dword v255, off, s[0:3], 0 offset:308
	;; [unrolled: 1-line block ×4, first 2 shown]
	s_waitcnt vmcnt(6) lgkmcnt(0)
	v_mul_f64 v[220:221], v[114:115], v[240:241]
	s_waitcnt vmcnt(4)
	v_fmac_f64_e32 v[220:221], v[116:117], v[242:243]
	v_add_f64 v[244:245], v[0:1], v[220:221]
	v_add_f64 v[0:1], v[118:119], 0
	;; [unrolled: 1-line block ×11, first 2 shown]
	v_mul_f64 v[2:3], v[8:9], v[138:139]
	v_fma_f64 v[2:3], v[6:7], v[140:141], -v[2:3]
	v_add_f64 v[0:1], v[0:1], v[2:3]
	v_mul_f64 v[2:3], v[28:29], v[148:149]
	v_fma_f64 v[2:3], v[26:27], v[164:165], -v[2:3]
	v_add_f64 v[0:1], v[0:1], v[2:3]
	;; [unrolled: 3-line block ×24, first 2 shown]
	s_waitcnt vmcnt(2)
	v_add_f64 v[0:1], v[254:255], -v[0:1]
	v_accvgpr_read_b32 v255, a158
	v_cmp_lt_u32_e32 vcc, 17, v255
	s_waitcnt vmcnt(0)
	v_add_f64 v[2:3], v[252:253], -v[244:245]
	buffer_store_dword v1, off, s[0:3], 0 offset:308
	buffer_store_dword v0, off, s[0:3], 0 offset:304
	;; [unrolled: 1-line block ×4, first 2 shown]
	s_and_saveexec_b64 s[4:5], vcc
	s_cbranch_execz .LBB52_297
; %bb.296:
	v_accvgpr_read_b32 v0, a141
	buffer_load_dword v2, v0, s[0:3], 0 offen
	buffer_load_dword v3, v0, s[0:3], 0 offen offset:4
	buffer_load_dword v4, v0, s[0:3], 0 offen offset:8
	;; [unrolled: 1-line block ×3, first 2 shown]
	v_mov_b32_e32 v0, 0
	v_accvgpr_read_b32 v1, a159
	buffer_store_dword v0, off, s[0:3], 0 offset:288
	buffer_store_dword v0, off, s[0:3], 0 offset:292
	buffer_store_dword v0, off, s[0:3], 0 offset:296
	buffer_store_dword v0, off, s[0:3], 0 offset:300
	s_waitcnt vmcnt(4)
	ds_write_b128 v1, v[2:5]
.LBB52_297:
	s_or_b64 exec, exec, s[4:5]
	s_waitcnt lgkmcnt(0)
	; wave barrier
	s_waitcnt lgkmcnt(0)
	buffer_load_dword v82, off, s[0:3], 0 offset:304
	buffer_load_dword v83, off, s[0:3], 0 offset:308
	;; [unrolled: 1-line block ×54, first 2 shown]
	v_mov_b32_e32 v254, 0
	ds_read_b128 v[90:93], v254 offset:1136
	ds_read_b128 v[106:109], v254 offset:1152
	ds_read_b128 v[114:117], v254 offset:1168
	ds_read_b128 v[242:245], v254 offset:1184
	ds_read_b128 v[246:249], v254 offset:1200
	ds_read_b128 v[250:253], v254 offset:1216
	ds_read_b128 v[10:13], v254 offset:1232
	ds_read_b128 v[6:9], v254 offset:1248
	ds_read_b128 v[2:5], v254 offset:1264
	buffer_load_dword v151, off, s[0:3], 0 offset:532
	buffer_load_dword v150, off, s[0:3], 0 offset:528
	;; [unrolled: 1-line block ×62, first 2 shown]
	v_cmp_lt_u32_e32 vcc, 16, v255
	s_waitcnt vmcnt(62) lgkmcnt(8)
	v_mul_f64 v[0:1], v[90:91], v[84:85]
	v_fmac_f64_e32 v[0:1], v[92:93], v[82:83]
	v_add_f64 v[0:1], v[0:1], 0
	v_mul_f64 v[84:85], v[92:93], v[84:85]
	s_waitcnt lgkmcnt(7)
	v_mul_f64 v[14:15], v[106:107], v[88:89]
	v_fmac_f64_e32 v[14:15], v[108:109], v[86:87]
	s_waitcnt lgkmcnt(6)
	v_mul_f64 v[16:17], v[114:115], v[94:95]
	v_add_f64 v[0:1], v[0:1], v[14:15]
	s_waitcnt lgkmcnt(4)
	v_mul_f64 v[20:21], v[246:247], v[102:103]
	v_fma_f64 v[118:119], v[90:91], v[82:83], -v[84:85]
	v_fmac_f64_e32 v[20:21], v[248:249], v[104:105]
	v_mul_f64 v[88:89], v[108:109], v[88:89]
	v_mul_f64 v[18:19], v[242:243], v[98:99]
	v_fma_f64 v[216:217], v[106:107], v[86:87], -v[88:89]
	s_waitcnt lgkmcnt(2)
	v_mul_f64 v[24:25], v[10:11], v[120:121]
	v_mul_f64 v[94:95], v[116:117], v[94:95]
	v_fmac_f64_e32 v[24:25], v[12:13], v[122:123]
	v_mul_f64 v[98:99], v[244:245], v[98:99]
	v_mul_f64 v[22:23], v[250:251], v[110:111]
	v_mul_f64 v[102:103], v[248:249], v[102:103]
	s_waitcnt lgkmcnt(1)
	v_mul_f64 v[26:27], v[6:7], v[124:125]
	v_mul_f64 v[110:111], v[252:253], v[110:111]
	v_fmac_f64_e32 v[16:17], v[116:117], v[96:97]
	v_add_f64 v[0:1], v[0:1], v[16:17]
	v_fmac_f64_e32 v[18:19], v[244:245], v[100:101]
	v_add_f64 v[0:1], v[0:1], v[18:19]
	ds_read_b128 v[14:17], v254 offset:1280
	v_fmac_f64_e32 v[22:23], v[252:253], v[112:113]
	v_add_f64 v[0:1], v[0:1], v[20:21]
	v_add_f64 v[0:1], v[0:1], v[22:23]
	v_fmac_f64_e32 v[26:27], v[8:9], v[128:129]
	v_add_f64 v[0:1], v[0:1], v[24:25]
	s_waitcnt lgkmcnt(1)
	v_mul_f64 v[18:19], v[2:3], v[126:127]
	v_add_f64 v[0:1], v[0:1], v[26:27]
	v_fmac_f64_e32 v[18:19], v[4:5], v[130:131]
	v_add_f64 v[0:1], v[0:1], v[18:19]
	ds_read_b128 v[18:21], v254 offset:1296
	s_waitcnt lgkmcnt(1)
	v_mul_f64 v[22:23], v[14:15], v[136:137]
	v_fmac_f64_e32 v[22:23], v[16:17], v[138:139]
	v_add_f64 v[0:1], v[0:1], v[22:23]
	ds_read_b128 v[22:25], v254 offset:1312
	s_waitcnt lgkmcnt(1)
	v_mul_f64 v[26:27], v[18:19], v[132:133]
	;; [unrolled: 5-line block ×4, first 2 shown]
	v_fmac_f64_e32 v[34:35], v[28:29], v[142:143]
	v_add_f64 v[0:1], v[0:1], v[34:35]
	ds_read_b128 v[34:37], v254 offset:1360
	s_waitcnt vmcnt(58) lgkmcnt(1)
	v_mul_f64 v[38:39], v[30:31], v[164:165]
	s_waitcnt vmcnt(56)
	v_fmac_f64_e32 v[38:39], v[32:33], v[168:169]
	v_add_f64 v[0:1], v[0:1], v[38:39]
	ds_read_b128 v[38:41], v254 offset:1376
	s_waitcnt lgkmcnt(1)
	v_mul_f64 v[42:43], v[34:35], v[144:145]
	v_fmac_f64_e32 v[42:43], v[36:37], v[150:151]
	v_add_f64 v[0:1], v[0:1], v[42:43]
	ds_read_b128 v[42:45], v254 offset:1392
	s_waitcnt vmcnt(50) lgkmcnt(1)
	v_mul_f64 v[46:47], v[38:39], v[172:173]
	s_waitcnt vmcnt(48)
	v_fmac_f64_e32 v[46:47], v[40:41], v[176:177]
	v_add_f64 v[0:1], v[0:1], v[46:47]
	ds_read_b128 v[46:49], v254 offset:1408
	buffer_load_dword v213, off, s[0:3], 0 offset:780
	buffer_load_dword v212, off, s[0:3], 0 offset:776
	;; [unrolled: 1-line block ×8, first 2 shown]
	s_waitcnt lgkmcnt(1)
	v_mul_f64 v[50:51], v[42:43], v[152:153]
	v_fmac_f64_e32 v[50:51], v[44:45], v[154:155]
	v_add_f64 v[0:1], v[0:1], v[50:51]
	ds_read_b128 v[50:53], v254 offset:1424
	s_waitcnt vmcnt(50) lgkmcnt(1)
	v_mul_f64 v[54:55], v[46:47], v[180:181]
	s_waitcnt vmcnt(48)
	v_fmac_f64_e32 v[54:55], v[48:49], v[184:185]
	buffer_load_dword v225, off, s[0:3], 0 offset:828
	buffer_load_dword v231, off, s[0:3], 0 offset:812
	;; [unrolled: 1-line block ×12, first 2 shown]
	v_add_f64 v[0:1], v[0:1], v[54:55]
	ds_read_b128 v[54:57], v254 offset:1440
	s_waitcnt lgkmcnt(1)
	v_mul_f64 v[58:59], v[50:51], v[156:157]
	v_fmac_f64_e32 v[58:59], v[52:53], v[158:159]
	v_add_f64 v[0:1], v[0:1], v[58:59]
	ds_read_b128 v[58:61], v254 offset:1456
	s_waitcnt vmcnt(54) lgkmcnt(1)
	v_mul_f64 v[62:63], v[54:55], v[188:189]
	s_waitcnt vmcnt(52)
	v_fmac_f64_e32 v[62:63], v[56:57], v[192:193]
	v_add_f64 v[0:1], v[0:1], v[62:63]
	ds_read_b128 v[62:65], v254 offset:1472
	s_waitcnt lgkmcnt(1)
	v_mul_f64 v[66:67], v[58:59], v[160:161]
	v_fmac_f64_e32 v[66:67], v[60:61], v[162:163]
	v_add_f64 v[0:1], v[0:1], v[66:67]
	ds_read_b128 v[66:69], v254 offset:1488
	s_waitcnt vmcnt(46) lgkmcnt(1)
	v_mul_f64 v[70:71], v[62:63], v[196:197]
	s_waitcnt vmcnt(44)
	v_fmac_f64_e32 v[70:71], v[64:65], v[198:199]
	v_add_f64 v[0:1], v[0:1], v[70:71]
	ds_read_b128 v[70:73], v254 offset:1504
	ds_read_b128 v[74:77], v254 offset:1520
	s_waitcnt lgkmcnt(2)
	v_mul_f64 v[78:79], v[66:67], v[166:167]
	v_fmac_f64_e32 v[78:79], v[68:69], v[170:171]
	v_add_f64 v[0:1], v[0:1], v[78:79]
	s_waitcnt vmcnt(38) lgkmcnt(1)
	v_mul_f64 v[78:79], v[70:71], v[200:201]
	s_waitcnt vmcnt(36)
	v_fmac_f64_e32 v[78:79], v[72:73], v[202:203]
	v_add_f64 v[0:1], v[0:1], v[78:79]
	s_waitcnt lgkmcnt(0)
	v_mul_f64 v[78:79], v[74:75], v[174:175]
	v_fmac_f64_e32 v[78:79], v[76:77], v[178:179]
	v_add_f64 v[0:1], v[0:1], v[78:79]
	ds_read_b128 v[78:81], v254 offset:1536
	ds_read_b128 v[82:85], v254 offset:1552
	;; [unrolled: 1-line block ×3, first 2 shown]
	v_fma_f64 v[218:219], v[114:115], v[96:97], -v[94:95]
	ds_read_b128 v[94:97], v254 offset:1600
	s_waitcnt vmcnt(30) lgkmcnt(3)
	v_mul_f64 v[90:91], v[78:79], v[204:205]
	s_waitcnt vmcnt(28)
	v_fmac_f64_e32 v[90:91], v[80:81], v[206:207]
	v_add_f64 v[0:1], v[0:1], v[90:91]
	s_waitcnt lgkmcnt(2)
	v_mul_f64 v[90:91], v[82:83], v[182:183]
	v_fmac_f64_e32 v[90:91], v[84:85], v[186:187]
	v_add_f64 v[0:1], v[0:1], v[90:91]
	s_waitcnt vmcnt(22) lgkmcnt(1)
	v_mul_f64 v[90:91], v[86:87], v[208:209]
	s_waitcnt vmcnt(20)
	v_fmac_f64_e32 v[90:91], v[88:89], v[210:211]
	v_add_f64 v[0:1], v[0:1], v[90:91]
	ds_read_b128 v[90:93], v254 offset:1584
	v_fma_f64 v[220:221], v[242:243], v[100:101], -v[98:99]
	ds_read_b128 v[98:101], v254 offset:1616
	buffer_load_dword v240, off, s[0:3], 0 offset:856
	v_fma_f64 v[222:223], v[246:247], v[104:105], -v[102:103]
	s_waitcnt lgkmcnt(1)
	v_mul_f64 v[106:107], v[90:91], v[190:191]
	v_fmac_f64_e32 v[106:107], v[92:93], v[194:195]
	v_add_f64 v[0:1], v[0:1], v[106:107]
	ds_read_b128 v[102:105], v254 offset:1632
	v_fma_f64 v[250:251], v[250:251], v[112:113], -v[110:111]
	ds_read_b128 v[110:113], v254 offset:1664
	v_mul_f64 v[12:13], v[12:13], v[120:121]
	v_fma_f64 v[10:11], v[10:11], v[122:123], -v[12:13]
	v_mul_f64 v[8:9], v[8:9], v[124:125]
	v_fma_f64 v[6:7], v[6:7], v[128:129], -v[8:9]
	;; [unrolled: 2-line block ×3, first 2 shown]
	s_waitcnt vmcnt(19)
	v_mul_f64 v[106:107], v[94:95], v[212:213]
	s_waitcnt vmcnt(17)
	v_fmac_f64_e32 v[106:107], v[96:97], v[214:215]
	v_add_f64 v[0:1], v[0:1], v[106:107]
	s_waitcnt vmcnt(15) lgkmcnt(2)
	v_mul_f64 v[106:107], v[98:99], v[226:227]
	s_waitcnt vmcnt(13)
	v_fmac_f64_e32 v[106:107], v[100:101], v[228:229]
	v_add_f64 v[0:1], v[0:1], v[106:107]
	ds_read_b128 v[106:109], v254 offset:1648
	buffer_load_dword v244, off, s[0:3], 0 offset:848
	buffer_load_dword v241, off, s[0:3], 0 offset:860
	;; [unrolled: 1-line block ×3, first 2 shown]
	s_waitcnt vmcnt(13) lgkmcnt(2)
	v_mul_f64 v[114:115], v[102:103], v[230:231]
	s_waitcnt vmcnt(11)
	v_fmac_f64_e32 v[114:115], v[104:105], v[236:237]
	v_add_f64 v[0:1], v[0:1], v[114:115]
	s_waitcnt vmcnt(10) lgkmcnt(0)
	v_mul_f64 v[114:115], v[106:107], v[224:225]
	s_waitcnt vmcnt(8)
	v_fmac_f64_e32 v[114:115], v[108:109], v[234:235]
	v_add_f64 v[0:1], v[0:1], v[114:115]
	s_waitcnt vmcnt(6)
	v_mul_f64 v[114:115], v[110:111], v[232:233]
	s_waitcnt vmcnt(4)
	v_fmac_f64_e32 v[114:115], v[112:113], v[238:239]
	v_add_f64 v[0:1], v[0:1], v[114:115]
	ds_read_b128 v[114:117], v254 offset:1680
	buffer_load_dword v248, off, s[0:3], 0 offset:288
	buffer_load_dword v249, off, s[0:3], 0 offset:292
	;; [unrolled: 1-line block ×4, first 2 shown]
	s_waitcnt vmcnt(5) lgkmcnt(0)
	v_mul_f64 v[242:243], v[114:115], v[240:241]
	s_waitcnt vmcnt(4)
	v_fmac_f64_e32 v[242:243], v[116:117], v[244:245]
	v_add_f64 v[242:243], v[0:1], v[242:243]
	v_add_f64 v[0:1], v[118:119], 0
	;; [unrolled: 1-line block ×10, first 2 shown]
	v_mul_f64 v[2:3], v[16:17], v[136:137]
	v_fma_f64 v[2:3], v[14:15], v[138:139], -v[2:3]
	v_add_f64 v[0:1], v[0:1], v[2:3]
	v_mul_f64 v[2:3], v[20:21], v[132:133]
	v_fma_f64 v[2:3], v[18:19], v[134:135], -v[2:3]
	v_add_f64 v[0:1], v[0:1], v[2:3]
	;; [unrolled: 3-line block ×26, first 2 shown]
	s_waitcnt vmcnt(2)
	v_add_f64 v[0:1], v[248:249], -v[0:1]
	s_waitcnt vmcnt(0)
	v_add_f64 v[2:3], v[246:247], -v[242:243]
	buffer_store_dword v1, off, s[0:3], 0 offset:292
	buffer_store_dword v0, off, s[0:3], 0 offset:288
	;; [unrolled: 1-line block ×4, first 2 shown]
	s_and_saveexec_b64 s[4:5], vcc
	s_cbranch_execz .LBB52_299
; %bb.298:
	v_accvgpr_read_b32 v0, a142
	buffer_load_dword v2, v0, s[0:3], 0 offen
	buffer_load_dword v3, v0, s[0:3], 0 offen offset:4
	buffer_load_dword v4, v0, s[0:3], 0 offen offset:8
	;; [unrolled: 1-line block ×3, first 2 shown]
	v_accvgpr_read_b32 v0, a159
	buffer_store_dword v254, off, s[0:3], 0 offset:272
	buffer_store_dword v254, off, s[0:3], 0 offset:276
	;; [unrolled: 1-line block ×4, first 2 shown]
	s_waitcnt vmcnt(4)
	ds_write_b128 v0, v[2:5]
.LBB52_299:
	s_or_b64 exec, exec, s[4:5]
	s_waitcnt lgkmcnt(0)
	; wave barrier
	s_waitcnt lgkmcnt(0)
	buffer_load_dword v84, off, s[0:3], 0 offset:288
	buffer_load_dword v85, off, s[0:3], 0 offset:292
	;; [unrolled: 1-line block ×34, first 2 shown]
	ds_read_b128 v[74:77], v254 offset:1120
	ds_read_b128 v[78:81], v254 offset:1136
	;; [unrolled: 1-line block ×8, first 2 shown]
	buffer_load_dword v127, off, s[0:3], 0 offset:404
	buffer_load_dword v126, off, s[0:3], 0 offset:400
	ds_read_b128 v[6:9], v254 offset:1248
	buffer_load_dword v129, off, s[0:3], 0 offset:460
	buffer_load_dword v128, off, s[0:3], 0 offset:456
	buffer_load_dword v131, off, s[0:3], 0 offset:452
	buffer_load_dword v130, off, s[0:3], 0 offset:448
	buffer_load_dword v133, off, s[0:3], 0 offset:444
	buffer_load_dword v132, off, s[0:3], 0 offset:440
	buffer_load_dword v135, off, s[0:3], 0 offset:436
	buffer_load_dword v134, off, s[0:3], 0 offset:432
	buffer_load_dword v137, off, s[0:3], 0 offset:492
	buffer_load_dword v136, off, s[0:3], 0 offset:488
	buffer_load_dword v139, off, s[0:3], 0 offset:484
	buffer_load_dword v138, off, s[0:3], 0 offset:480
	buffer_load_dword v145, off, s[0:3], 0 offset:476
	buffer_load_dword v144, off, s[0:3], 0 offset:472
	buffer_load_dword v147, off, s[0:3], 0 offset:468
	buffer_load_dword v146, off, s[0:3], 0 offset:464
	buffer_load_dword v141, off, s[0:3], 0 offset:524
	buffer_load_dword v140, off, s[0:3], 0 offset:520
	buffer_load_dword v143, off, s[0:3], 0 offset:516
	buffer_load_dword v142, off, s[0:3], 0 offset:512
	buffer_load_dword v161, off, s[0:3], 0 offset:508
	buffer_load_dword v160, off, s[0:3], 0 offset:504
	buffer_load_dword v165, off, s[0:3], 0 offset:500
	buffer_load_dword v164, off, s[0:3], 0 offset:496
	buffer_load_dword v149, off, s[0:3], 0 offset:556
	buffer_load_dword v148, off, s[0:3], 0 offset:552
	buffer_load_dword v151, off, s[0:3], 0 offset:548
	buffer_load_dword v150, off, s[0:3], 0 offset:544
	buffer_load_dword v169, off, s[0:3], 0 offset:540
	buffer_load_dword v168, off, s[0:3], 0 offset:536
	buffer_load_dword v173, off, s[0:3], 0 offset:532
	buffer_load_dword v172, off, s[0:3], 0 offset:528
	buffer_load_dword v153, off, s[0:3], 0 offset:588
	buffer_load_dword v152, off, s[0:3], 0 offset:584
	buffer_load_dword v155, off, s[0:3], 0 offset:580
	buffer_load_dword v154, off, s[0:3], 0 offset:576
	buffer_load_dword v177, off, s[0:3], 0 offset:572
	buffer_load_dword v176, off, s[0:3], 0 offset:568
	buffer_load_dword v181, off, s[0:3], 0 offset:564
	buffer_load_dword v180, off, s[0:3], 0 offset:560
	buffer_load_dword v157, off, s[0:3], 0 offset:620
	buffer_load_dword v156, off, s[0:3], 0 offset:616
	buffer_load_dword v159, off, s[0:3], 0 offset:612
	buffer_load_dword v158, off, s[0:3], 0 offset:608
	buffer_load_dword v185, off, s[0:3], 0 offset:604
	buffer_load_dword v184, off, s[0:3], 0 offset:600
	buffer_load_dword v189, off, s[0:3], 0 offset:596
	buffer_load_dword v188, off, s[0:3], 0 offset:592
	buffer_load_dword v163, off, s[0:3], 0 offset:652
	buffer_load_dword v162, off, s[0:3], 0 offset:648
	buffer_load_dword v167, off, s[0:3], 0 offset:644
	buffer_load_dword v166, off, s[0:3], 0 offset:640
	buffer_load_dword v193, off, s[0:3], 0 offset:636
	buffer_load_dword v192, off, s[0:3], 0 offset:632
	buffer_load_dword v195, off, s[0:3], 0 offset:628
	buffer_load_dword v194, off, s[0:3], 0 offset:624
	buffer_load_dword v171, off, s[0:3], 0 offset:684
	buffer_load_dword v170, off, s[0:3], 0 offset:680
	buffer_load_dword v175, off, s[0:3], 0 offset:676
	buffer_load_dword v174, off, s[0:3], 0 offset:672
	buffer_load_dword v197, off, s[0:3], 0 offset:668
	buffer_load_dword v196, off, s[0:3], 0 offset:664
	buffer_load_dword v199, off, s[0:3], 0 offset:660
	buffer_load_dword v198, off, s[0:3], 0 offset:656
	buffer_load_dword v179, off, s[0:3], 0 offset:716
	buffer_load_dword v178, off, s[0:3], 0 offset:712
	buffer_load_dword v183, off, s[0:3], 0 offset:708
	buffer_load_dword v182, off, s[0:3], 0 offset:704
	buffer_load_dword v201, off, s[0:3], 0 offset:700
	buffer_load_dword v200, off, s[0:3], 0 offset:696
	buffer_load_dword v203, off, s[0:3], 0 offset:692
	buffer_load_dword v202, off, s[0:3], 0 offset:688
	buffer_load_dword v187, off, s[0:3], 0 offset:748
	buffer_load_dword v186, off, s[0:3], 0 offset:744
	buffer_load_dword v191, off, s[0:3], 0 offset:740
	buffer_load_dword v190, off, s[0:3], 0 offset:736
	buffer_load_dword v205, off, s[0:3], 0 offset:732
	buffer_load_dword v204, off, s[0:3], 0 offset:728
	buffer_load_dword v207, off, s[0:3], 0 offset:724
	buffer_load_dword v206, off, s[0:3], 0 offset:720
	s_waitcnt vmcnt(62) lgkmcnt(8)
	v_mul_f64 v[0:1], v[74:75], v[106:107]
	v_fmac_f64_e32 v[0:1], v[76:77], v[84:85]
	v_add_f64 v[0:1], v[0:1], 0
	v_mul_f64 v[76:77], v[76:77], v[106:107]
	s_waitcnt lgkmcnt(7)
	v_mul_f64 v[10:11], v[78:79], v[96:97]
	v_fmac_f64_e32 v[10:11], v[80:81], v[82:83]
	s_waitcnt lgkmcnt(6)
	v_mul_f64 v[12:13], v[86:87], v[94:95]
	v_add_f64 v[0:1], v[0:1], v[10:11]
	s_waitcnt lgkmcnt(4)
	v_mul_f64 v[16:17], v[98:99], v[108:109]
	v_fma_f64 v[118:119], v[74:75], v[84:85], -v[76:77]
	v_fmac_f64_e32 v[16:17], v[100:101], v[114:115]
	v_mul_f64 v[80:81], v[80:81], v[96:97]
	v_mul_f64 v[14:15], v[90:91], v[116:117]
	v_fma_f64 v[216:217], v[78:79], v[82:83], -v[80:81]
	s_waitcnt lgkmcnt(2)
	v_mul_f64 v[20:21], v[110:111], v[240:241]
	v_mul_f64 v[100:101], v[100:101], v[108:109]
	v_fma_f64 v[222:223], v[98:99], v[114:115], -v[100:101]
	v_mul_f64 v[18:19], v[102:103], v[244:245]
	s_waitcnt lgkmcnt(1)
	v_mul_f64 v[22:23], v[2:3], v[120:121]
	v_fmac_f64_e32 v[12:13], v[88:89], v[250:251]
	v_add_f64 v[0:1], v[0:1], v[12:13]
	v_fmac_f64_e32 v[14:15], v[92:93], v[248:249]
	v_add_f64 v[0:1], v[0:1], v[14:15]
	;; [unrolled: 2-line block ×4, first 2 shown]
	v_add_f64 v[0:1], v[0:1], v[20:21]
	s_waitcnt lgkmcnt(0)
	v_mul_f64 v[14:15], v[6:7], v[122:123]
	ds_read_b128 v[10:13], v254 offset:1264
	v_fmac_f64_e32 v[22:23], v[4:5], v[126:127]
	v_add_f64 v[0:1], v[0:1], v[22:23]
	v_fmac_f64_e32 v[14:15], v[8:9], v[124:125]
	v_add_f64 v[0:1], v[0:1], v[14:15]
	ds_read_b128 v[14:17], v254 offset:1280
	s_waitcnt lgkmcnt(1)
	v_mul_f64 v[18:19], v[10:11], v[132:133]
	v_fmac_f64_e32 v[18:19], v[12:13], v[134:135]
	v_add_f64 v[0:1], v[0:1], v[18:19]
	ds_read_b128 v[18:21], v254 offset:1296
	s_waitcnt lgkmcnt(1)
	v_mul_f64 v[22:23], v[14:15], v[128:129]
	;; [unrolled: 5-line block ×4, first 2 shown]
	v_fmac_f64_e32 v[30:31], v[24:25], v[138:139]
	v_add_f64 v[0:1], v[0:1], v[30:31]
	ds_read_b128 v[30:33], v254 offset:1344
	s_waitcnt vmcnt(58) lgkmcnt(1)
	v_mul_f64 v[34:35], v[26:27], v[160:161]
	s_waitcnt vmcnt(56)
	v_fmac_f64_e32 v[34:35], v[28:29], v[164:165]
	v_add_f64 v[0:1], v[0:1], v[34:35]
	ds_read_b128 v[34:37], v254 offset:1360
	s_waitcnt lgkmcnt(1)
	v_mul_f64 v[38:39], v[30:31], v[140:141]
	v_fmac_f64_e32 v[38:39], v[32:33], v[142:143]
	v_add_f64 v[0:1], v[0:1], v[38:39]
	ds_read_b128 v[38:41], v254 offset:1376
	s_waitcnt vmcnt(50) lgkmcnt(1)
	v_mul_f64 v[42:43], v[34:35], v[168:169]
	s_waitcnt vmcnt(48)
	v_fmac_f64_e32 v[42:43], v[36:37], v[172:173]
	v_add_f64 v[0:1], v[0:1], v[42:43]
	ds_read_b128 v[42:45], v254 offset:1392
	s_waitcnt lgkmcnt(1)
	v_mul_f64 v[46:47], v[38:39], v[148:149]
	v_fmac_f64_e32 v[46:47], v[40:41], v[150:151]
	v_add_f64 v[0:1], v[0:1], v[46:47]
	ds_read_b128 v[46:49], v254 offset:1408
	buffer_load_dword v209, off, s[0:3], 0 offset:780
	buffer_load_dword v211, off, s[0:3], 0 offset:764
	;; [unrolled: 1-line block ×12, first 2 shown]
	s_waitcnt vmcnt(54) lgkmcnt(1)
	v_mul_f64 v[50:51], v[42:43], v[176:177]
	s_waitcnt vmcnt(52)
	v_fmac_f64_e32 v[50:51], v[44:45], v[180:181]
	v_add_f64 v[0:1], v[0:1], v[50:51]
	ds_read_b128 v[50:53], v254 offset:1424
	s_waitcnt lgkmcnt(1)
	v_mul_f64 v[54:55], v[46:47], v[152:153]
	v_fmac_f64_e32 v[54:55], v[48:49], v[154:155]
	buffer_load_dword v231, off, s[0:3], 0 offset:812
	buffer_load_dword v230, off, s[0:3], 0 offset:808
	;; [unrolled: 1-line block ×12, first 2 shown]
	v_add_f64 v[0:1], v[0:1], v[54:55]
	ds_read_b128 v[54:57], v254 offset:1440
	s_waitcnt vmcnt(58) lgkmcnt(1)
	v_mul_f64 v[58:59], v[50:51], v[184:185]
	s_waitcnt vmcnt(56)
	v_fmac_f64_e32 v[58:59], v[52:53], v[188:189]
	v_add_f64 v[0:1], v[0:1], v[58:59]
	ds_read_b128 v[58:61], v254 offset:1456
	s_waitcnt lgkmcnt(1)
	v_mul_f64 v[62:63], v[54:55], v[156:157]
	v_fmac_f64_e32 v[62:63], v[56:57], v[158:159]
	v_add_f64 v[0:1], v[0:1], v[62:63]
	ds_read_b128 v[62:65], v254 offset:1472
	ds_read_b128 v[66:69], v254 offset:1488
	s_waitcnt vmcnt(50) lgkmcnt(2)
	v_mul_f64 v[70:71], v[58:59], v[192:193]
	s_waitcnt vmcnt(48)
	v_fmac_f64_e32 v[70:71], v[60:61], v[194:195]
	v_add_f64 v[0:1], v[0:1], v[70:71]
	s_waitcnt lgkmcnt(1)
	v_mul_f64 v[70:71], v[62:63], v[162:163]
	v_fmac_f64_e32 v[70:71], v[64:65], v[166:167]
	v_add_f64 v[0:1], v[0:1], v[70:71]
	s_waitcnt vmcnt(42) lgkmcnt(0)
	v_mul_f64 v[70:71], v[66:67], v[196:197]
	s_waitcnt vmcnt(40)
	v_fmac_f64_e32 v[70:71], v[68:69], v[198:199]
	v_add_f64 v[0:1], v[0:1], v[70:71]
	ds_read_b128 v[70:73], v254 offset:1504
	ds_read_b128 v[74:77], v254 offset:1520
	;; [unrolled: 1-line block ×3, first 2 shown]
	v_mul_f64 v[88:89], v[88:89], v[94:95]
	v_fma_f64 v[218:219], v[86:87], v[250:251], -v[88:89]
	ds_read_b128 v[86:89], v254 offset:1568
	s_waitcnt lgkmcnt(3)
	v_mul_f64 v[84:85], v[70:71], v[170:171]
	v_fmac_f64_e32 v[84:85], v[72:73], v[174:175]
	s_waitcnt vmcnt(34) lgkmcnt(2)
	v_mul_f64 v[82:83], v[74:75], v[200:201]
	v_add_f64 v[0:1], v[0:1], v[84:85]
	s_waitcnt vmcnt(32)
	v_fmac_f64_e32 v[82:83], v[76:77], v[202:203]
	v_add_f64 v[0:1], v[0:1], v[82:83]
	s_waitcnt lgkmcnt(1)
	v_mul_f64 v[82:83], v[78:79], v[178:179]
	v_fmac_f64_e32 v[82:83], v[80:81], v[182:183]
	v_add_f64 v[0:1], v[0:1], v[82:83]
	ds_read_b128 v[82:85], v254 offset:1552
	v_mul_f64 v[92:93], v[92:93], v[116:117]
	v_fma_f64 v[220:221], v[90:91], v[248:249], -v[92:93]
	ds_read_b128 v[90:93], v254 offset:1584
	ds_read_b128 v[98:101], v254 offset:1616
	s_waitcnt vmcnt(26) lgkmcnt(2)
	v_mul_f64 v[94:95], v[82:83], v[204:205]
	s_waitcnt vmcnt(24)
	v_fmac_f64_e32 v[94:95], v[84:85], v[206:207]
	v_add_f64 v[0:1], v[0:1], v[94:95]
	v_mul_f64 v[94:95], v[86:87], v[186:187]
	v_fmac_f64_e32 v[94:95], v[88:89], v[190:191]
	v_add_f64 v[0:1], v[0:1], v[94:95]
	ds_read_b128 v[94:97], v254 offset:1600
	v_mul_f64 v[104:105], v[104:105], v[244:245]
	v_mul_f64 v[112:113], v[112:113], v[240:241]
	v_fma_f64 v[250:251], v[102:103], v[246:247], -v[104:105]
	v_fma_f64 v[252:253], v[110:111], v[242:243], -v[112:113]
	ds_read_b128 v[110:113], v254 offset:1664
	v_mul_f64 v[4:5], v[4:5], v[120:121]
	v_fma_f64 v[2:3], v[2:3], v[126:127], -v[4:5]
	ds_read_b128 v[102:105], v254 offset:1648
	s_waitcnt vmcnt(21) lgkmcnt(4)
	v_mul_f64 v[106:107], v[90:91], v[210:211]
	s_waitcnt vmcnt(19)
	v_fmac_f64_e32 v[106:107], v[92:93], v[224:225]
	v_add_f64 v[0:1], v[0:1], v[106:107]
	s_waitcnt vmcnt(18) lgkmcnt(2)
	v_mul_f64 v[106:107], v[94:95], v[208:209]
	s_waitcnt vmcnt(16)
	v_fmac_f64_e32 v[106:107], v[96:97], v[214:215]
	v_add_f64 v[0:1], v[0:1], v[106:107]
	ds_read_b128 v[106:109], v254 offset:1632
	buffer_load_dword v243, off, s[0:3], 0 offset:860
	buffer_load_dword v242, off, s[0:3], 0 offset:856
	;; [unrolled: 1-line block ×4, first 2 shown]
	s_waitcnt vmcnt(18)
	v_mul_f64 v[114:115], v[98:99], v[212:213]
	s_waitcnt vmcnt(16)
	v_fmac_f64_e32 v[114:115], v[100:101], v[226:227]
	v_add_f64 v[0:1], v[0:1], v[114:115]
	s_waitcnt vmcnt(14) lgkmcnt(0)
	v_mul_f64 v[114:115], v[106:107], v[230:231]
	s_waitcnt vmcnt(12)
	v_fmac_f64_e32 v[114:115], v[108:109], v[232:233]
	v_add_f64 v[0:1], v[0:1], v[114:115]
	s_waitcnt vmcnt(9)
	v_mul_f64 v[114:115], v[102:103], v[236:237]
	s_waitcnt vmcnt(7)
	v_fmac_f64_e32 v[114:115], v[104:105], v[238:239]
	v_add_f64 v[0:1], v[0:1], v[114:115]
	s_waitcnt vmcnt(5)
	v_mul_f64 v[114:115], v[110:111], v[228:229]
	s_waitcnt vmcnt(4)
	v_fmac_f64_e32 v[114:115], v[112:113], v[234:235]
	v_add_f64 v[0:1], v[0:1], v[114:115]
	ds_read_b128 v[114:117], v254 offset:1680
	buffer_load_dword v248, off, s[0:3], 0 offset:272
	buffer_load_dword v249, off, s[0:3], 0 offset:276
	;; [unrolled: 1-line block ×4, first 2 shown]
	s_waitcnt vmcnt(6) lgkmcnt(0)
	v_mul_f64 v[240:241], v[114:115], v[242:243]
	s_waitcnt vmcnt(4)
	v_fmac_f64_e32 v[240:241], v[116:117], v[244:245]
	v_add_f64 v[240:241], v[0:1], v[240:241]
	v_add_f64 v[0:1], v[118:119], 0
	v_add_f64 v[0:1], v[0:1], v[216:217]
	v_add_f64 v[0:1], v[0:1], v[218:219]
	v_add_f64 v[0:1], v[0:1], v[220:221]
	v_add_f64 v[254:255], v[0:1], v[222:223]
	v_add_f64 v[0:1], v[254:255], v[250:251]
	v_add_f64 v[0:1], v[0:1], v[252:253]
	v_add_f64 v[0:1], v[0:1], v[2:3]
	v_mul_f64 v[2:3], v[8:9], v[122:123]
	v_fma_f64 v[2:3], v[6:7], v[124:125], -v[2:3]
	v_add_f64 v[0:1], v[0:1], v[2:3]
	v_mul_f64 v[2:3], v[12:13], v[132:133]
	v_fma_f64 v[2:3], v[10:11], v[134:135], -v[2:3]
	v_add_f64 v[0:1], v[0:1], v[2:3]
	;; [unrolled: 3-line block ×28, first 2 shown]
	v_accvgpr_read_b32 v255, a158
	s_waitcnt vmcnt(2)
	v_add_f64 v[0:1], v[248:249], -v[0:1]
	v_cmp_lt_u32_e32 vcc, 15, v255
	s_waitcnt vmcnt(0)
	v_add_f64 v[2:3], v[246:247], -v[240:241]
	buffer_store_dword v1, off, s[0:3], 0 offset:276
	buffer_store_dword v0, off, s[0:3], 0 offset:272
	;; [unrolled: 1-line block ×4, first 2 shown]
	s_and_saveexec_b64 s[4:5], vcc
	s_cbranch_execz .LBB52_301
; %bb.300:
	v_accvgpr_read_b32 v0, a143
	buffer_load_dword v2, v0, s[0:3], 0 offen
	buffer_load_dword v3, v0, s[0:3], 0 offen offset:4
	buffer_load_dword v4, v0, s[0:3], 0 offen offset:8
	;; [unrolled: 1-line block ×3, first 2 shown]
	v_mov_b32_e32 v0, 0
	v_accvgpr_read_b32 v1, a159
	buffer_store_dword v0, off, s[0:3], 0 offset:256
	buffer_store_dword v0, off, s[0:3], 0 offset:260
	;; [unrolled: 1-line block ×4, first 2 shown]
	s_waitcnt vmcnt(4)
	ds_write_b128 v1, v[2:5]
.LBB52_301:
	s_or_b64 exec, exec, s[4:5]
	s_waitcnt lgkmcnt(0)
	; wave barrier
	s_waitcnt lgkmcnt(0)
	buffer_load_dword v66, off, s[0:3], 0 offset:272
	buffer_load_dword v67, off, s[0:3], 0 offset:276
	;; [unrolled: 1-line block ×55, first 2 shown]
	v_mov_b32_e32 v254, 0
	ds_read_b128 v[74:77], v254 offset:1104
	ds_read_b128 v[86:89], v254 offset:1120
	ds_read_b128 v[98:101], v254 offset:1136
	ds_read_b128 v[110:113], v254 offset:1152
	ds_read_b128 v[114:117], v254 offset:1168
	ds_read_b128 v[240:243], v254 offset:1184
	ds_read_b128 v[244:247], v254 offset:1200
	ds_read_b128 v[248:251], v254 offset:1216
	ds_read_b128 v[2:5], v254 offset:1232
	buffer_load_dword v138, off, s[0:3], 0 offset:496
	buffer_load_dword v157, off, s[0:3], 0 offset:492
	;; [unrolled: 1-line block ×61, first 2 shown]
	v_cmp_lt_u32_e32 vcc, 14, v255
	s_waitcnt vmcnt(62) lgkmcnt(8)
	v_mul_f64 v[0:1], v[74:75], v[68:69]
	v_fmac_f64_e32 v[0:1], v[76:77], v[66:67]
	v_add_f64 v[0:1], v[0:1], 0
	v_mul_f64 v[68:69], v[76:77], v[68:69]
	s_waitcnt lgkmcnt(7)
	v_mul_f64 v[6:7], v[86:87], v[72:73]
	v_fmac_f64_e32 v[6:7], v[88:89], v[70:71]
	s_waitcnt lgkmcnt(6)
	v_mul_f64 v[8:9], v[98:99], v[78:79]
	v_add_f64 v[0:1], v[0:1], v[6:7]
	s_waitcnt lgkmcnt(4)
	v_mul_f64 v[12:13], v[114:115], v[90:91]
	v_fma_f64 v[118:119], v[74:75], v[66:67], -v[68:69]
	v_fmac_f64_e32 v[12:13], v[116:117], v[92:93]
	v_mul_f64 v[72:73], v[88:89], v[72:73]
	v_mul_f64 v[10:11], v[110:111], v[82:83]
	v_fma_f64 v[216:217], v[86:87], v[70:71], -v[72:73]
	s_waitcnt lgkmcnt(2)
	v_mul_f64 v[16:17], v[244:245], v[102:103]
	v_mul_f64 v[78:79], v[100:101], v[78:79]
	;; [unrolled: 1-line block ×5, first 2 shown]
	s_waitcnt lgkmcnt(1)
	v_mul_f64 v[18:19], v[248:249], v[106:107]
	v_fmac_f64_e32 v[18:19], v[250:251], v[108:109]
	v_fmac_f64_e32 v[8:9], v[100:101], v[80:81]
	v_add_f64 v[0:1], v[0:1], v[8:9]
	v_fmac_f64_e32 v[10:11], v[112:113], v[84:85]
	v_add_f64 v[0:1], v[0:1], v[10:11]
	v_fmac_f64_e32 v[14:15], v[242:243], v[96:97]
	v_add_f64 v[0:1], v[0:1], v[12:13]
	ds_read_b128 v[6:9], v254 offset:1248
	v_fmac_f64_e32 v[16:17], v[246:247], v[104:105]
	v_add_f64 v[0:1], v[0:1], v[14:15]
	v_add_f64 v[0:1], v[0:1], v[16:17]
	s_waitcnt lgkmcnt(1)
	v_mul_f64 v[10:11], v[2:3], v[120:121]
	v_add_f64 v[0:1], v[0:1], v[18:19]
	v_fmac_f64_e32 v[10:11], v[4:5], v[122:123]
	v_add_f64 v[0:1], v[0:1], v[10:11]
	ds_read_b128 v[10:13], v254 offset:1264
	s_waitcnt lgkmcnt(1)
	v_mul_f64 v[14:15], v[6:7], v[128:129]
	v_fmac_f64_e32 v[14:15], v[8:9], v[130:131]
	v_add_f64 v[0:1], v[0:1], v[14:15]
	ds_read_b128 v[14:17], v254 offset:1280
	s_waitcnt lgkmcnt(1)
	v_mul_f64 v[18:19], v[10:11], v[124:125]
	;; [unrolled: 5-line block ×4, first 2 shown]
	v_fmac_f64_e32 v[26:27], v[20:21], v[134:135]
	v_add_f64 v[0:1], v[0:1], v[26:27]
	ds_read_b128 v[26:29], v254 offset:1328
	s_waitcnt vmcnt(58) lgkmcnt(1)
	v_mul_f64 v[30:31], v[22:23], v[156:157]
	s_waitcnt vmcnt(56)
	v_fmac_f64_e32 v[30:31], v[24:25], v[160:161]
	v_add_f64 v[0:1], v[0:1], v[30:31]
	ds_read_b128 v[30:33], v254 offset:1344
	s_waitcnt lgkmcnt(1)
	v_mul_f64 v[34:35], v[26:27], v[136:137]
	v_fmac_f64_e32 v[34:35], v[28:29], v[138:139]
	v_add_f64 v[0:1], v[0:1], v[34:35]
	ds_read_b128 v[34:37], v254 offset:1360
	s_waitcnt vmcnt(50) lgkmcnt(1)
	v_mul_f64 v[38:39], v[30:31], v[164:165]
	s_waitcnt vmcnt(48)
	v_fmac_f64_e32 v[38:39], v[32:33], v[168:169]
	v_add_f64 v[0:1], v[0:1], v[38:39]
	ds_read_b128 v[38:41], v254 offset:1376
	s_waitcnt lgkmcnt(1)
	v_mul_f64 v[42:43], v[34:35], v[144:145]
	v_fmac_f64_e32 v[42:43], v[36:37], v[146:147]
	v_add_f64 v[0:1], v[0:1], v[42:43]
	ds_read_b128 v[42:45], v254 offset:1392
	s_waitcnt vmcnt(42) lgkmcnt(1)
	v_mul_f64 v[46:47], v[38:39], v[172:173]
	s_waitcnt vmcnt(40)
	v_fmac_f64_e32 v[46:47], v[40:41], v[176:177]
	v_add_f64 v[0:1], v[0:1], v[46:47]
	ds_read_b128 v[46:49], v254 offset:1408
	buffer_load_dword v205, off, s[0:3], 0 offset:748
	buffer_load_dword v204, off, s[0:3], 0 offset:744
	;; [unrolled: 1-line block ×4, first 2 shown]
	s_waitcnt lgkmcnt(1)
	v_mul_f64 v[50:51], v[42:43], v[148:149]
	v_fmac_f64_e32 v[50:51], v[44:45], v[150:151]
	v_add_f64 v[0:1], v[0:1], v[50:51]
	ds_read_b128 v[50:53], v254 offset:1424
	buffer_load_dword v209, off, s[0:3], 0 offset:764
	buffer_load_dword v208, off, s[0:3], 0 offset:760
	;; [unrolled: 1-line block ×8, first 2 shown]
	s_waitcnt vmcnt(46) lgkmcnt(1)
	v_mul_f64 v[54:55], v[46:47], v[180:181]
	s_waitcnt vmcnt(44)
	v_fmac_f64_e32 v[54:55], v[48:49], v[184:185]
	v_add_f64 v[0:1], v[0:1], v[54:55]
	ds_read_b128 v[54:57], v254 offset:1440
	buffer_load_dword v227, off, s[0:3], 0 offset:796
	buffer_load_dword v226, off, s[0:3], 0 offset:792
	;; [unrolled: 1-line block ×12, first 2 shown]
	s_waitcnt lgkmcnt(1)
	v_mul_f64 v[58:59], v[50:51], v[152:153]
	v_fmac_f64_e32 v[58:59], v[52:53], v[154:155]
	v_add_f64 v[0:1], v[0:1], v[58:59]
	ds_read_b128 v[58:61], v254 offset:1456
	s_waitcnt vmcnt(50) lgkmcnt(1)
	v_mul_f64 v[62:63], v[54:55], v[188:189]
	s_waitcnt vmcnt(48)
	v_fmac_f64_e32 v[62:63], v[56:57], v[190:191]
	v_add_f64 v[0:1], v[0:1], v[62:63]
	buffer_load_dword v237, off, s[0:3], 0 offset:844
	buffer_load_dword v236, off, s[0:3], 0 offset:840
	;; [unrolled: 1-line block ×4, first 2 shown]
	s_waitcnt lgkmcnt(0)
	v_mul_f64 v[62:63], v[58:59], v[158:159]
	v_fmac_f64_e32 v[62:63], v[60:61], v[162:163]
	v_add_f64 v[0:1], v[0:1], v[62:63]
	ds_read_b128 v[62:65], v254 offset:1472
	ds_read_b128 v[66:69], v254 offset:1488
	;; [unrolled: 1-line block ×3, first 2 shown]
	v_fma_f64 v[218:219], v[98:99], v[80:81], -v[78:79]
	ds_read_b128 v[78:81], v254 offset:1536
	s_waitcnt vmcnt(46) lgkmcnt(3)
	v_mul_f64 v[74:75], v[62:63], v[192:193]
	s_waitcnt vmcnt(44)
	v_fmac_f64_e32 v[74:75], v[64:65], v[194:195]
	v_add_f64 v[0:1], v[0:1], v[74:75]
	s_waitcnt lgkmcnt(2)
	v_mul_f64 v[74:75], v[66:67], v[166:167]
	v_fmac_f64_e32 v[74:75], v[68:69], v[170:171]
	v_add_f64 v[0:1], v[0:1], v[74:75]
	ds_read_b128 v[74:77], v254 offset:1520
	s_waitcnt vmcnt(38) lgkmcnt(2)
	v_mul_f64 v[86:87], v[70:71], v[196:197]
	s_waitcnt vmcnt(36)
	v_fmac_f64_e32 v[86:87], v[72:73], v[198:199]
	v_fma_f64 v[220:221], v[110:111], v[84:85], -v[82:83]
	ds_read_b128 v[82:85], v254 offset:1552
	v_add_f64 v[0:1], v[0:1], v[86:87]
	s_waitcnt lgkmcnt(1)
	v_mul_f64 v[86:87], v[74:75], v[174:175]
	v_fmac_f64_e32 v[86:87], v[76:77], v[178:179]
	v_add_f64 v[0:1], v[0:1], v[86:87]
	s_waitcnt vmcnt(30)
	v_mul_f64 v[86:87], v[78:79], v[200:201]
	s_waitcnt vmcnt(28)
	v_fmac_f64_e32 v[86:87], v[80:81], v[202:203]
	v_add_f64 v[0:1], v[0:1], v[86:87]
	s_waitcnt lgkmcnt(0)
	v_mul_f64 v[86:87], v[82:83], v[182:183]
	v_fmac_f64_e32 v[86:87], v[84:85], v[186:187]
	v_add_f64 v[0:1], v[0:1], v[86:87]
	ds_read_b128 v[86:89], v254 offset:1568
	v_fma_f64 v[222:223], v[114:115], v[92:93], -v[90:91]
	ds_read_b128 v[90:93], v254 offset:1584
	v_mul_f64 v[94:95], v[242:243], v[94:95]
	v_fma_f64 v[252:253], v[240:241], v[96:97], -v[94:95]
	ds_read_b128 v[94:97], v254 offset:1600
	v_mul_f64 v[102:103], v[246:247], v[102:103]
	;; [unrolled: 3-line block ×3, first 2 shown]
	v_fma_f64 v[250:251], v[248:249], v[108:109], -v[106:107]
	v_mul_f64 v[4:5], v[4:5], v[120:121]
	v_fma_f64 v[2:3], v[2:3], v[122:123], -v[4:5]
	ds_read_b128 v[106:109], v254 offset:1648
	s_waitcnt vmcnt(26) lgkmcnt(4)
	v_mul_f64 v[98:99], v[86:87], v[204:205]
	s_waitcnt vmcnt(24)
	v_fmac_f64_e32 v[98:99], v[88:89], v[206:207]
	v_add_f64 v[0:1], v[0:1], v[98:99]
	s_waitcnt vmcnt(22) lgkmcnt(3)
	v_mul_f64 v[98:99], v[90:91], v[208:209]
	s_waitcnt vmcnt(20)
	v_fmac_f64_e32 v[98:99], v[92:93], v[212:213]
	v_add_f64 v[0:1], v[0:1], v[98:99]
	;; [unrolled: 5-line block ×3, first 2 shown]
	ds_read_b128 v[98:101], v254 offset:1616
	s_waitcnt vmcnt(14) lgkmcnt(0)
	v_mul_f64 v[110:111], v[98:99], v[226:227]
	s_waitcnt vmcnt(12)
	v_fmac_f64_e32 v[110:111], v[100:101], v[228:229]
	v_add_f64 v[0:1], v[0:1], v[110:111]
	s_waitcnt vmcnt(9)
	v_mul_f64 v[110:111], v[102:103], v[232:233]
	s_waitcnt vmcnt(7)
	v_fmac_f64_e32 v[110:111], v[104:105], v[234:235]
	v_add_f64 v[0:1], v[0:1], v[110:111]
	s_waitcnt vmcnt(5)
	v_mul_f64 v[110:111], v[106:107], v[224:225]
	s_waitcnt vmcnt(4)
	v_fmac_f64_e32 v[110:111], v[108:109], v[230:231]
	v_add_f64 v[0:1], v[0:1], v[110:111]
	ds_read_b128 v[110:113], v254 offset:1664
	buffer_load_dword v242, off, s[0:3], 0 offset:856
	buffer_load_dword v243, off, s[0:3], 0 offset:860
	;; [unrolled: 1-line block ×4, first 2 shown]
	s_waitcnt vmcnt(6) lgkmcnt(0)
	v_mul_f64 v[114:115], v[110:111], v[236:237]
	s_waitcnt vmcnt(4)
	v_fmac_f64_e32 v[114:115], v[112:113], v[238:239]
	v_add_f64 v[0:1], v[0:1], v[114:115]
	ds_read_b128 v[114:117], v254 offset:1680
	buffer_load_dword v248, off, s[0:3], 0 offset:256
	buffer_load_dword v249, off, s[0:3], 0 offset:260
	s_waitcnt vmcnt(4) lgkmcnt(0)
	v_mul_f64 v[240:241], v[114:115], v[242:243]
	s_waitcnt vmcnt(2)
	v_fmac_f64_e32 v[240:241], v[116:117], v[244:245]
	v_add_f64 v[240:241], v[0:1], v[240:241]
	v_add_f64 v[0:1], v[118:119], 0
	;; [unrolled: 1-line block ×8, first 2 shown]
	buffer_load_dword v246, off, s[0:3], 0 offset:264
	buffer_load_dword v247, off, s[0:3], 0 offset:268
	v_add_f64 v[0:1], v[252:253], v[250:251]
	v_add_f64 v[0:1], v[0:1], v[2:3]
	v_mul_f64 v[2:3], v[8:9], v[128:129]
	v_fma_f64 v[2:3], v[6:7], v[130:131], -v[2:3]
	v_add_f64 v[0:1], v[0:1], v[2:3]
	v_mul_f64 v[2:3], v[12:13], v[124:125]
	v_fma_f64 v[2:3], v[10:11], v[126:127], -v[2:3]
	;; [unrolled: 3-line block ×28, first 2 shown]
	v_add_f64 v[0:1], v[0:1], v[2:3]
	s_waitcnt vmcnt(2)
	v_add_f64 v[0:1], v[248:249], -v[0:1]
	s_waitcnt vmcnt(0)
	v_add_f64 v[2:3], v[246:247], -v[240:241]
	buffer_store_dword v1, off, s[0:3], 0 offset:260
	buffer_store_dword v0, off, s[0:3], 0 offset:256
	;; [unrolled: 1-line block ×4, first 2 shown]
	s_and_saveexec_b64 s[4:5], vcc
	s_cbranch_execz .LBB52_303
; %bb.302:
	v_accvgpr_read_b32 v0, a144
	buffer_load_dword v2, v0, s[0:3], 0 offen
	buffer_load_dword v3, v0, s[0:3], 0 offen offset:4
	buffer_load_dword v4, v0, s[0:3], 0 offen offset:8
	buffer_load_dword v5, v0, s[0:3], 0 offen offset:12
	v_accvgpr_read_b32 v0, a159
	buffer_store_dword v254, off, s[0:3], 0 offset:240
	buffer_store_dword v254, off, s[0:3], 0 offset:244
	;; [unrolled: 1-line block ×4, first 2 shown]
	s_waitcnt vmcnt(4)
	ds_write_b128 v0, v[2:5]
.LBB52_303:
	s_or_b64 exec, exec, s[4:5]
	s_waitcnt lgkmcnt(0)
	; wave barrier
	s_waitcnt lgkmcnt(0)
	buffer_load_dword v66, off, s[0:3], 0 offset:256
	buffer_load_dword v67, off, s[0:3], 0 offset:260
	buffer_load_dword v68, off, s[0:3], 0 offset:264
	buffer_load_dword v69, off, s[0:3], 0 offset:268
	buffer_load_dword v62, off, s[0:3], 0 offset:272
	buffer_load_dword v63, off, s[0:3], 0 offset:276
	buffer_load_dword v64, off, s[0:3], 0 offset:280
	buffer_load_dword v65, off, s[0:3], 0 offset:284
	buffer_load_dword v70, off, s[0:3], 0 offset:296
	buffer_load_dword v71, off, s[0:3], 0 offset:300
	buffer_load_dword v83, off, s[0:3], 0 offset:332
	buffer_load_dword v82, off, s[0:3], 0 offset:328
	buffer_load_dword v85, off, s[0:3], 0 offset:324
	buffer_load_dword v84, off, s[0:3], 0 offset:320
	buffer_load_dword v75, off, s[0:3], 0 offset:316
	buffer_load_dword v74, off, s[0:3], 0 offset:312
	buffer_load_dword v95, off, s[0:3], 0 offset:364
	buffer_load_dword v94, off, s[0:3], 0 offset:360
	buffer_load_dword v97, off, s[0:3], 0 offset:356
	buffer_load_dword v96, off, s[0:3], 0 offset:352
	buffer_load_dword v87, off, s[0:3], 0 offset:348
	buffer_load_dword v86, off, s[0:3], 0 offset:344
	buffer_load_dword v107, off, s[0:3], 0 offset:396
	buffer_load_dword v106, off, s[0:3], 0 offset:392
	buffer_load_dword v108, off, s[0:3], 0 offset:384
	buffer_load_dword v99, off, s[0:3], 0 offset:380
	buffer_load_dword v98, off, s[0:3], 0 offset:376
	buffer_load_dword v5, off, s[0:3], 0 offset:412
	buffer_load_dword v4, off, s[0:3], 0 offset:408
	buffer_load_dword v72, off, s[0:3], 0 offset:288
	buffer_load_dword v73, off, s[0:3], 0 offset:292
	buffer_load_dword v77, off, s[0:3], 0 offset:308
	buffer_load_dword v76, off, s[0:3], 0 offset:304
	buffer_load_dword v89, off, s[0:3], 0 offset:340
	buffer_load_dword v88, off, s[0:3], 0 offset:336
	buffer_load_dword v101, off, s[0:3], 0 offset:372
	buffer_load_dword v100, off, s[0:3], 0 offset:368
	buffer_load_dword v109, off, s[0:3], 0 offset:388
	buffer_load_dword v0, off, s[0:3], 0 offset:424
	buffer_load_dword v124, off, s[0:3], 0 offset:416
	buffer_load_dword v125, off, s[0:3], 0 offset:420
	buffer_load_dword v1, off, s[0:3], 0 offset:428
	ds_read_b128 v[78:81], v254 offset:1088
	ds_read_b128 v[90:93], v254 offset:1104
	;; [unrolled: 1-line block ×10, first 2 shown]
	buffer_load_dword v131, off, s[0:3], 0 offset:404
	buffer_load_dword v130, off, s[0:3], 0 offset:400
	ds_read_b128 v[6:9], v254 offset:1248
	buffer_load_dword v127, off, s[0:3], 0 offset:460
	buffer_load_dword v126, off, s[0:3], 0 offset:456
	;; [unrolled: 1-line block ×80, first 2 shown]
	s_waitcnt vmcnt(62) lgkmcnt(9)
	v_mul_f64 v[10:11], v[90:91], v[64:65]
	v_fmac_f64_e32 v[10:11], v[92:93], v[62:63]
	s_waitcnt lgkmcnt(8)
	v_mul_f64 v[12:13], v[102:103], v[70:71]
	v_mul_f64 v[64:65], v[92:93], v[64:65]
	s_waitcnt lgkmcnt(6)
	v_mul_f64 v[16:17], v[114:115], v[82:83]
	v_fma_f64 v[220:221], v[90:91], v[62:63], -v[64:65]
	v_fmac_f64_e32 v[16:17], v[116:117], v[84:85]
	v_mul_f64 v[70:71], v[104:105], v[70:71]
	v_mul_f64 v[14:15], v[110:111], v[74:75]
	;; [unrolled: 1-line block ×3, first 2 shown]
	s_waitcnt lgkmcnt(4)
	v_mul_f64 v[20:21], v[244:245], v[94:95]
	v_mul_f64 v[82:83], v[116:117], v[82:83]
	v_fmac_f64_e32 v[20:21], v[246:247], v[96:97]
	v_mul_f64 v[94:95], v[246:247], v[94:95]
	v_mul_f64 v[18:19], v[240:241], v[86:87]
	;; [unrolled: 1-line block ×3, first 2 shown]
	s_waitcnt lgkmcnt(2)
	v_mul_f64 v[24:25], v[216:217], v[106:107]
	v_fma_f64 v[246:247], v[244:245], v[96:97], -v[94:95]
	v_mul_f64 v[22:23], v[248:249], v[98:99]
	v_mul_f64 v[98:99], v[250:251], v[98:99]
	s_waitcnt lgkmcnt(1)
	v_mul_f64 v[26:27], v[120:121], v[4:5]
	v_fmac_f64_e32 v[12:13], v[104:105], v[72:73]
	v_fma_f64 v[222:223], v[102:103], v[72:73], -v[70:71]
	v_fmac_f64_e32 v[14:15], v[112:113], v[76:77]
	v_fma_f64 v[252:253], v[110:111], v[76:77], -v[74:75]
	;; [unrolled: 2-line block ×3, first 2 shown]
	v_fmac_f64_e32 v[22:23], v[250:251], v[100:101]
	v_fmac_f64_e32 v[24:25], v[218:219], v[108:109]
	v_fma_f64 v[250:251], v[248:249], v[100:101], -v[98:99]
	v_pk_mov_b32 v[2:3], v[0:1], v[0:1] op_sel:[0,1]
	v_mul_f64 v[0:1], v[78:79], v[68:69]
	v_fmac_f64_e32 v[0:1], v[80:81], v[66:67]
	v_add_f64 v[0:1], v[0:1], 0
	v_add_f64 v[0:1], v[0:1], v[10:11]
	;; [unrolled: 1-line block ×9, first 2 shown]
	v_fmac_f64_e32 v[26:27], v[122:123], v[130:131]
	ds_read_b128 v[10:13], v254 offset:1264
	s_waitcnt lgkmcnt(1)
	v_mul_f64 v[14:15], v[6:7], v[2:3]
	v_add_f64 v[0:1], v[0:1], v[26:27]
	v_fmac_f64_e32 v[14:15], v[8:9], v[124:125]
	v_add_f64 v[0:1], v[0:1], v[14:15]
	ds_read_b128 v[14:17], v254 offset:1280
	s_waitcnt lgkmcnt(1)
	v_mul_f64 v[18:19], v[10:11], v[132:133]
	v_fmac_f64_e32 v[18:19], v[12:13], v[148:149]
	v_add_f64 v[0:1], v[0:1], v[18:19]
	ds_read_b128 v[18:21], v254 offset:1296
	s_waitcnt lgkmcnt(1)
	v_mul_f64 v[22:23], v[14:15], v[126:127]
	;; [unrolled: 5-line block ×4, first 2 shown]
	v_fmac_f64_e32 v[30:31], v[24:25], v[136:137]
	v_add_f64 v[0:1], v[0:1], v[30:31]
	ds_read_b128 v[30:33], v254 offset:1344
	s_waitcnt vmcnt(58) lgkmcnt(1)
	v_mul_f64 v[34:35], v[26:27], v[160:161]
	s_waitcnt vmcnt(56)
	v_fmac_f64_e32 v[34:35], v[28:29], v[164:165]
	v_add_f64 v[0:1], v[0:1], v[34:35]
	ds_read_b128 v[34:37], v254 offset:1360
	s_waitcnt lgkmcnt(1)
	v_mul_f64 v[38:39], v[30:31], v[138:139]
	v_fmac_f64_e32 v[38:39], v[32:33], v[140:141]
	v_add_f64 v[0:1], v[0:1], v[38:39]
	ds_read_b128 v[38:41], v254 offset:1376
	s_waitcnt vmcnt(50) lgkmcnt(1)
	v_mul_f64 v[42:43], v[34:35], v[168:169]
	s_waitcnt vmcnt(48)
	v_fmac_f64_e32 v[42:43], v[36:37], v[172:173]
	v_add_f64 v[0:1], v[0:1], v[42:43]
	ds_read_b128 v[42:45], v254 offset:1392
	s_waitcnt lgkmcnt(1)
	v_mul_f64 v[46:47], v[38:39], v[142:143]
	;; [unrolled: 11-line block ×3, first 2 shown]
	buffer_load_dword v209, off, s[0:3], 0 offset:764
	buffer_load_dword v208, off, s[0:3], 0 offset:760
	buffer_load_dword v211, off, s[0:3], 0 offset:756
	buffer_load_dword v210, off, s[0:3], 0 offset:752
	v_fmac_f64_e32 v[54:55], v[48:49], v[150:151]
	v_add_f64 v[0:1], v[0:1], v[54:55]
	ds_read_b128 v[54:57], v254 offset:1440
	buffer_load_dword v214, off, s[0:3], 0 offset:776
	buffer_load_dword v224, off, s[0:3], 0 offset:768
	;; [unrolled: 1-line block ×16, first 2 shown]
	s_waitcnt vmcnt(54) lgkmcnt(1)
	v_mul_f64 v[58:59], v[50:51], v[184:185]
	s_waitcnt vmcnt(52)
	v_fmac_f64_e32 v[58:59], v[52:53], v[188:189]
	v_add_f64 v[0:1], v[0:1], v[58:59]
	ds_read_b128 v[58:61], v254 offset:1456
	buffer_load_dword v236, off, s[0:3], 0 offset:840
	buffer_load_dword v238, off, s[0:3], 0 offset:832
	;; [unrolled: 1-line block ×4, first 2 shown]
	v_mul_f64 v[68:69], v[80:81], v[68:69]
	ds_read_b128 v[62:65], v254 offset:1472
	ds_read_b128 v[70:73], v254 offset:1504
	v_fma_f64 v[118:119], v[78:79], v[66:67], -v[68:69]
	s_waitcnt lgkmcnt(3)
	v_mul_f64 v[66:67], v[54:55], v[154:155]
	v_fmac_f64_e32 v[66:67], v[56:57], v[158:159]
	v_add_f64 v[0:1], v[0:1], v[66:67]
	s_waitcnt vmcnt(50) lgkmcnt(2)
	v_mul_f64 v[66:67], v[58:59], v[192:193]
	s_waitcnt vmcnt(48)
	v_fmac_f64_e32 v[66:67], v[60:61], v[194:195]
	v_add_f64 v[0:1], v[0:1], v[66:67]
	s_waitcnt lgkmcnt(1)
	v_mul_f64 v[66:67], v[62:63], v[162:163]
	v_fmac_f64_e32 v[66:67], v[64:65], v[166:167]
	v_add_f64 v[0:1], v[0:1], v[66:67]
	ds_read_b128 v[66:69], v254 offset:1488
	ds_read_b128 v[74:77], v254 offset:1520
	v_accvgpr_write_b32 a161, v3
	v_accvgpr_write_b32 a160, v2
	v_fma_f64 v[2:3], v[114:115], v[84:85], -v[82:83]
	s_waitcnt vmcnt(42) lgkmcnt(1)
	v_mul_f64 v[78:79], v[66:67], v[196:197]
	s_waitcnt vmcnt(40)
	v_fmac_f64_e32 v[78:79], v[68:69], v[198:199]
	v_add_f64 v[0:1], v[0:1], v[78:79]
	v_mul_f64 v[78:79], v[70:71], v[170:171]
	v_fmac_f64_e32 v[78:79], v[72:73], v[174:175]
	v_add_f64 v[0:1], v[0:1], v[78:79]
	ds_read_b128 v[78:81], v254 offset:1536
	ds_read_b128 v[82:85], v254 offset:1552
	s_waitcnt vmcnt(34) lgkmcnt(2)
	v_mul_f64 v[90:91], v[74:75], v[200:201]
	s_waitcnt vmcnt(32)
	v_fmac_f64_e32 v[90:91], v[76:77], v[202:203]
	ds_read_b128 v[86:89], v254 offset:1568
	ds_read_b128 v[94:97], v254 offset:1600
	v_add_f64 v[0:1], v[0:1], v[90:91]
	s_waitcnt lgkmcnt(3)
	v_mul_f64 v[90:91], v[78:79], v[178:179]
	v_fmac_f64_e32 v[90:91], v[80:81], v[182:183]
	v_add_f64 v[0:1], v[0:1], v[90:91]
	s_waitcnt vmcnt(26) lgkmcnt(2)
	v_mul_f64 v[90:91], v[82:83], v[204:205]
	s_waitcnt vmcnt(24)
	v_fmac_f64_e32 v[90:91], v[84:85], v[206:207]
	v_add_f64 v[0:1], v[0:1], v[90:91]
	s_waitcnt lgkmcnt(1)
	v_mul_f64 v[90:91], v[86:87], v[186:187]
	v_fmac_f64_e32 v[90:91], v[88:89], v[190:191]
	v_add_f64 v[0:1], v[0:1], v[90:91]
	ds_read_b128 v[90:93], v254 offset:1584
	ds_read_b128 v[98:101], v254 offset:1616
	v_add_f64 v[118:119], v[118:119], 0
	v_add_f64 v[118:119], v[118:119], v[220:221]
	;; [unrolled: 1-line block ×6, first 2 shown]
	s_waitcnt vmcnt(13) lgkmcnt(0)
	v_mul_f64 v[112:113], v[98:99], v[226:227]
	v_mul_f64 v[102:103], v[90:91], v[208:209]
	s_waitcnt vmcnt(11)
	v_fmac_f64_e32 v[112:113], v[100:101], v[232:233]
	v_fmac_f64_e32 v[102:103], v[92:93], v[210:211]
	v_add_f64 v[0:1], v[0:1], v[102:103]
	v_mul_f64 v[102:103], v[94:95], v[214:215]
	v_fmac_f64_e32 v[102:103], v[96:97], v[224:225]
	v_add_f64 v[110:111], v[0:1], v[102:103]
	ds_read_b128 v[102:105], v254 offset:1632
	v_mul_f64 v[0:1], v[218:219], v[106:107]
	v_fma_f64 v[0:1], v[216:217], v[108:109], -v[0:1]
	ds_read_b128 v[106:109], v254 offset:1648
	v_add_f64 v[110:111], v[110:111], v[112:113]
	s_waitcnt vmcnt(10) lgkmcnt(1)
	v_mul_f64 v[112:113], v[102:103], v[212:213]
	s_waitcnt vmcnt(8)
	v_fmac_f64_e32 v[112:113], v[104:105], v[230:231]
	v_add_f64 v[110:111], v[110:111], v[112:113]
	s_waitcnt vmcnt(6) lgkmcnt(0)
	v_mul_f64 v[112:113], v[106:107], v[228:229]
	s_waitcnt vmcnt(4)
	v_fmac_f64_e32 v[112:113], v[108:109], v[234:235]
	v_add_f64 v[114:115], v[110:111], v[112:113]
	ds_read_b128 v[110:113], v254 offset:1664
	buffer_load_dword v243, off, s[0:3], 0 offset:860
	buffer_load_dword v242, off, s[0:3], 0 offset:856
	;; [unrolled: 1-line block ×4, first 2 shown]
	s_waitcnt vmcnt(5) lgkmcnt(0)
	v_mul_f64 v[116:117], v[110:111], v[236:237]
	s_waitcnt vmcnt(4)
	v_fmac_f64_e32 v[116:117], v[112:113], v[238:239]
	v_add_f64 v[216:217], v[114:115], v[116:117]
	ds_read_b128 v[114:117], v254 offset:1680
	v_add_f64 v[254:255], v[2:3], v[246:247]
	buffer_load_dword v248, off, s[0:3], 0 offset:240
	buffer_load_dword v249, off, s[0:3], 0 offset:244
	;; [unrolled: 1-line block ×4, first 2 shown]
	v_add_f64 v[2:3], v[254:255], v[250:251]
	v_add_f64 v[0:1], v[2:3], v[0:1]
	v_mul_f64 v[2:3], v[122:123], v[4:5]
	v_fma_f64 v[2:3], v[120:121], v[130:131], -v[2:3]
	v_add_f64 v[0:1], v[0:1], v[2:3]
	v_accvgpr_read_b32 v2, a160
	v_accvgpr_read_b32 v3, a161
	v_mul_f64 v[2:3], v[8:9], v[2:3]
	v_fma_f64 v[2:3], v[6:7], v[124:125], -v[2:3]
	v_add_f64 v[0:1], v[0:1], v[2:3]
	v_mul_f64 v[2:3], v[12:13], v[132:133]
	v_fma_f64 v[2:3], v[10:11], v[148:149], -v[2:3]
	v_add_f64 v[0:1], v[0:1], v[2:3]
	;; [unrolled: 3-line block ×27, first 2 shown]
	s_waitcnt vmcnt(6) lgkmcnt(0)
	v_mul_f64 v[2:3], v[116:117], v[242:243]
	v_mul_f64 v[218:219], v[114:115], v[242:243]
	s_waitcnt vmcnt(4)
	v_fma_f64 v[2:3], v[114:115], v[244:245], -v[2:3]
	v_fmac_f64_e32 v[218:219], v[116:117], v[244:245]
	v_add_f64 v[0:1], v[0:1], v[2:3]
	v_accvgpr_read_b32 v255, a158
	v_add_f64 v[216:217], v[216:217], v[218:219]
	s_waitcnt vmcnt(2)
	v_add_f64 v[0:1], v[248:249], -v[0:1]
	v_cmp_lt_u32_e32 vcc, 13, v255
	s_waitcnt vmcnt(0)
	v_add_f64 v[2:3], v[246:247], -v[216:217]
	buffer_store_dword v1, off, s[0:3], 0 offset:244
	buffer_store_dword v0, off, s[0:3], 0 offset:240
	;; [unrolled: 1-line block ×4, first 2 shown]
	s_and_saveexec_b64 s[4:5], vcc
	s_cbranch_execz .LBB52_305
; %bb.304:
	v_accvgpr_read_b32 v0, a145
	buffer_load_dword v2, v0, s[0:3], 0 offen
	buffer_load_dword v3, v0, s[0:3], 0 offen offset:4
	buffer_load_dword v4, v0, s[0:3], 0 offen offset:8
	;; [unrolled: 1-line block ×3, first 2 shown]
	v_mov_b32_e32 v0, 0
	v_accvgpr_read_b32 v1, a159
	buffer_store_dword v0, off, s[0:3], 0 offset:224
	buffer_store_dword v0, off, s[0:3], 0 offset:228
	;; [unrolled: 1-line block ×4, first 2 shown]
	s_waitcnt vmcnt(4)
	ds_write_b128 v1, v[2:5]
.LBB52_305:
	s_or_b64 exec, exec, s[4:5]
	s_waitcnt lgkmcnt(0)
	; wave barrier
	s_waitcnt lgkmcnt(0)
	buffer_load_dword v54, off, s[0:3], 0 offset:240
	buffer_load_dword v55, off, s[0:3], 0 offset:244
	;; [unrolled: 1-line block ×49, first 2 shown]
	v_mov_b32_e32 v254, 0
	ds_read_b128 v[62:65], v254 offset:1072
	ds_read_b128 v[74:77], v254 offset:1088
	;; [unrolled: 1-line block ×11, first 2 shown]
	buffer_load_dword v128, off, s[0:3], 0 offset:424
	buffer_load_dword v145, off, s[0:3], 0 offset:420
	;; [unrolled: 1-line block ×75, first 2 shown]
	v_cmp_lt_u32_e32 vcc, 12, v255
	s_waitcnt vmcnt(62) lgkmcnt(9)
	v_mul_f64 v[6:7], v[74:75], v[60:61]
	v_fmac_f64_e32 v[6:7], v[76:77], v[58:59]
	s_waitcnt lgkmcnt(8)
	v_mul_f64 v[8:9], v[86:87], v[66:67]
	v_mul_f64 v[60:61], v[76:77], v[60:61]
	s_waitcnt lgkmcnt(6)
	v_mul_f64 v[12:13], v[110:111], v[78:79]
	v_fma_f64 v[220:221], v[74:75], v[58:59], -v[60:61]
	v_fmac_f64_e32 v[12:13], v[112:113], v[80:81]
	v_mul_f64 v[66:67], v[88:89], v[66:67]
	v_mul_f64 v[10:11], v[98:99], v[70:71]
	;; [unrolled: 1-line block ×3, first 2 shown]
	s_waitcnt lgkmcnt(4)
	v_mul_f64 v[16:17], v[216:217], v[90:91]
	v_mul_f64 v[78:79], v[112:113], v[78:79]
	v_fmac_f64_e32 v[16:17], v[218:219], v[92:93]
	v_fma_f64 v[252:253], v[110:111], v[80:81], -v[78:79]
	v_mul_f64 v[14:15], v[114:115], v[82:83]
	v_mul_f64 v[82:83], v[116:117], v[82:83]
	s_waitcnt lgkmcnt(2)
	v_mul_f64 v[20:21], v[240:241], v[102:103]
	v_mul_f64 v[90:91], v[218:219], v[90:91]
	v_fma_f64 v[216:217], v[216:217], v[92:93], -v[90:91]
	v_mul_f64 v[18:19], v[236:237], v[94:95]
	v_mul_f64 v[94:95], v[238:239], v[94:95]
	s_waitcnt lgkmcnt(1)
	v_mul_f64 v[22:23], v[244:245], v[106:107]
	v_mul_f64 v[102:103], v[242:243], v[102:103]
	v_fmac_f64_e32 v[8:9], v[88:89], v[68:69]
	v_fma_f64 v[222:223], v[86:87], v[68:69], -v[66:67]
	v_fmac_f64_e32 v[10:11], v[100:101], v[72:73]
	v_fma_f64 v[248:249], v[98:99], v[72:73], -v[70:71]
	;; [unrolled: 2-line block ×3, first 2 shown]
	v_fmac_f64_e32 v[18:19], v[238:239], v[96:97]
	v_fmac_f64_e32 v[20:21], v[242:243], v[104:105]
	;; [unrolled: 1-line block ×3, first 2 shown]
	v_fma_f64 v[218:219], v[236:237], v[96:97], -v[94:95]
	v_pk_mov_b32 v[2:3], v[0:1], v[0:1] op_sel:[0,1]
	v_mul_f64 v[0:1], v[62:63], v[56:57]
	v_fmac_f64_e32 v[0:1], v[64:65], v[54:55]
	v_add_f64 v[0:1], v[0:1], 0
	v_add_f64 v[0:1], v[0:1], v[6:7]
	;; [unrolled: 1-line block ×9, first 2 shown]
	ds_read_b128 v[6:9], v254 offset:1248
	s_waitcnt lgkmcnt(1)
	v_mul_f64 v[10:11], v[120:121], v[4:5]
	v_add_f64 v[0:1], v[0:1], v[22:23]
	v_fmac_f64_e32 v[10:11], v[122:123], v[2:3]
	v_add_f64 v[0:1], v[0:1], v[10:11]
	ds_read_b128 v[10:13], v254 offset:1264
	s_waitcnt lgkmcnt(1)
	v_mul_f64 v[14:15], v[6:7], v[128:129]
	v_fmac_f64_e32 v[14:15], v[8:9], v[144:145]
	v_add_f64 v[0:1], v[0:1], v[14:15]
	ds_read_b128 v[14:17], v254 offset:1280
	s_waitcnt lgkmcnt(1)
	v_mul_f64 v[18:19], v[10:11], v[124:125]
	;; [unrolled: 5-line block ×4, first 2 shown]
	v_fmac_f64_e32 v[26:27], v[20:21], v[132:133]
	v_add_f64 v[0:1], v[0:1], v[26:27]
	ds_read_b128 v[26:29], v254 offset:1328
	s_waitcnt vmcnt(58) lgkmcnt(1)
	v_mul_f64 v[30:31], v[22:23], v[156:157]
	s_waitcnt vmcnt(56)
	v_fmac_f64_e32 v[30:31], v[24:25], v[160:161]
	v_add_f64 v[0:1], v[0:1], v[30:31]
	ds_read_b128 v[30:33], v254 offset:1344
	s_waitcnt lgkmcnt(1)
	v_mul_f64 v[34:35], v[26:27], v[134:135]
	v_fmac_f64_e32 v[34:35], v[28:29], v[136:137]
	v_add_f64 v[0:1], v[0:1], v[34:35]
	ds_read_b128 v[34:37], v254 offset:1360
	s_waitcnt vmcnt(50) lgkmcnt(1)
	v_mul_f64 v[38:39], v[30:31], v[164:165]
	s_waitcnt vmcnt(48)
	v_fmac_f64_e32 v[38:39], v[32:33], v[168:169]
	v_add_f64 v[0:1], v[0:1], v[38:39]
	ds_read_b128 v[38:41], v254 offset:1376
	s_waitcnt lgkmcnt(1)
	v_mul_f64 v[42:43], v[34:35], v[138:139]
	;; [unrolled: 11-line block ×3, first 2 shown]
	buffer_load_dword v205, off, s[0:3], 0 offset:748
	buffer_load_dword v204, off, s[0:3], 0 offset:744
	;; [unrolled: 1-line block ×4, first 2 shown]
	v_fmac_f64_e32 v[50:51], v[44:45], v[146:147]
	v_add_f64 v[0:1], v[0:1], v[50:51]
	ds_read_b128 v[50:53], v254 offset:1424
	buffer_load_dword v208, off, s[0:3], 0 offset:760
	buffer_load_dword v210, off, s[0:3], 0 offset:752
	;; [unrolled: 1-line block ×20, first 2 shown]
	s_waitcnt vmcnt(58) lgkmcnt(1)
	v_mul_f64 v[118:119], v[46:47], v[180:181]
	s_waitcnt vmcnt(56)
	v_fmac_f64_e32 v[118:119], v[48:49], v[184:185]
	v_mul_f64 v[56:57], v[64:65], v[56:57]
	v_add_f64 v[0:1], v[0:1], v[118:119]
	v_fma_f64 v[118:119], v[62:63], v[54:55], -v[56:57]
	ds_read_b128 v[54:57], v254 offset:1440
	ds_read_b128 v[58:61], v254 offset:1456
	s_waitcnt lgkmcnt(2)
	v_mul_f64 v[62:63], v[50:51], v[150:151]
	v_fmac_f64_e32 v[62:63], v[52:53], v[154:155]
	v_add_f64 v[0:1], v[0:1], v[62:63]
	s_waitcnt vmcnt(50) lgkmcnt(1)
	v_mul_f64 v[62:63], v[54:55], v[188:189]
	s_waitcnt vmcnt(48)
	v_fmac_f64_e32 v[62:63], v[56:57], v[190:191]
	v_add_f64 v[0:1], v[0:1], v[62:63]
	s_waitcnt lgkmcnt(0)
	v_mul_f64 v[62:63], v[58:59], v[158:159]
	v_fmac_f64_e32 v[62:63], v[60:61], v[162:163]
	v_add_f64 v[0:1], v[0:1], v[62:63]
	ds_read_b128 v[62:65], v254 offset:1472
	ds_read_b128 v[66:69], v254 offset:1488
	;; [unrolled: 1-line block ×5, first 2 shown]
	s_waitcnt vmcnt(42) lgkmcnt(4)
	v_mul_f64 v[74:75], v[62:63], v[192:193]
	s_waitcnt vmcnt(40)
	v_fmac_f64_e32 v[74:75], v[64:65], v[194:195]
	v_add_f64 v[0:1], v[0:1], v[74:75]
	s_waitcnt lgkmcnt(3)
	v_mul_f64 v[74:75], v[66:67], v[166:167]
	v_fmac_f64_e32 v[74:75], v[68:69], v[170:171]
	v_add_f64 v[0:1], v[0:1], v[74:75]
	ds_read_b128 v[74:77], v254 offset:1520
	s_waitcnt vmcnt(34) lgkmcnt(3)
	v_mul_f64 v[86:87], v[70:71], v[196:197]
	s_waitcnt vmcnt(32)
	v_fmac_f64_e32 v[86:87], v[72:73], v[198:199]
	v_add_f64 v[0:1], v[0:1], v[86:87]
	ds_read_b128 v[90:93], v254 offset:1584
	s_waitcnt lgkmcnt(1)
	v_mul_f64 v[86:87], v[74:75], v[174:175]
	v_fmac_f64_e32 v[86:87], v[76:77], v[178:179]
	v_add_f64 v[0:1], v[0:1], v[86:87]
	s_waitcnt vmcnt(26)
	v_mul_f64 v[86:87], v[78:79], v[200:201]
	s_waitcnt vmcnt(24)
	v_fmac_f64_e32 v[86:87], v[80:81], v[202:203]
	v_add_f64 v[0:1], v[0:1], v[86:87]
	v_mul_f64 v[86:87], v[82:83], v[182:183]
	v_fmac_f64_e32 v[86:87], v[84:85], v[186:187]
	v_add_f64 v[0:1], v[0:1], v[86:87]
	ds_read_b128 v[86:89], v254 offset:1568
	ds_read_b128 v[94:97], v254 offset:1600
	v_accvgpr_write_b32 a161, v3
	v_accvgpr_write_b32 a160, v2
	v_fma_f64 v[2:3], v[240:241], v[104:105], -v[102:103]
	ds_read_b128 v[102:105], v254 offset:1632
	v_add_f64 v[118:119], v[118:119], 0
	v_add_f64 v[118:119], v[118:119], v[220:221]
	;; [unrolled: 1-line block ×9, first 2 shown]
	v_mul_f64 v[2:3], v[122:123], v[4:5]
	v_accvgpr_read_b32 v4, a160
	v_accvgpr_read_b32 v5, a161
	v_fma_f64 v[2:3], v[120:121], v[4:5], -v[2:3]
	s_waitcnt vmcnt(22) lgkmcnt(2)
	v_mul_f64 v[98:99], v[86:87], v[204:205]
	s_waitcnt vmcnt(20)
	v_fmac_f64_e32 v[98:99], v[88:89], v[206:207]
	v_add_f64 v[0:1], v[0:1], v[98:99]
	s_waitcnt vmcnt(17)
	v_mul_f64 v[98:99], v[90:91], v[208:209]
	s_waitcnt vmcnt(16)
	v_fmac_f64_e32 v[98:99], v[92:93], v[210:211]
	v_add_f64 v[0:1], v[0:1], v[98:99]
	ds_read_b128 v[98:101], v254 offset:1616
	s_waitcnt vmcnt(14) lgkmcnt(2)
	v_mul_f64 v[110:111], v[94:95], v[214:215]
	s_waitcnt vmcnt(12)
	v_fmac_f64_e32 v[110:111], v[96:97], v[226:227]
	v_add_f64 v[110:111], v[0:1], v[110:111]
	v_mul_f64 v[0:1], v[246:247], v[106:107]
	v_fma_f64 v[0:1], v[244:245], v[108:109], -v[0:1]
	ds_read_b128 v[106:109], v254 offset:1648
	buffer_load_dword v237, off, s[0:3], 0 offset:844
	buffer_load_dword v236, off, s[0:3], 0 offset:840
	;; [unrolled: 1-line block ×4, first 2 shown]
	s_waitcnt vmcnt(14) lgkmcnt(1)
	v_mul_f64 v[112:113], v[98:99], v[224:225]
	s_waitcnt vmcnt(12)
	v_fmac_f64_e32 v[112:113], v[100:101], v[228:229]
	v_add_f64 v[110:111], v[110:111], v[112:113]
	s_waitcnt vmcnt(9)
	v_mul_f64 v[112:113], v[102:103], v[232:233]
	s_waitcnt vmcnt(7)
	v_fmac_f64_e32 v[112:113], v[104:105], v[234:235]
	v_add_f64 v[110:111], v[110:111], v[112:113]
	s_waitcnt vmcnt(5) lgkmcnt(0)
	v_mul_f64 v[112:113], v[106:107], v[212:213]
	s_waitcnt vmcnt(4)
	v_fmac_f64_e32 v[112:113], v[108:109], v[230:231]
	v_add_f64 v[114:115], v[110:111], v[112:113]
	ds_read_b128 v[110:113], v254 offset:1664
	buffer_load_dword v242, off, s[0:3], 0 offset:856
	buffer_load_dword v243, off, s[0:3], 0 offset:860
	;; [unrolled: 1-line block ×4, first 2 shown]
	v_add_f64 v[0:1], v[252:253], v[0:1]
	v_add_f64 v[0:1], v[0:1], v[2:3]
	v_mul_f64 v[2:3], v[8:9], v[128:129]
	v_fma_f64 v[2:3], v[6:7], v[144:145], -v[2:3]
	v_add_f64 v[0:1], v[0:1], v[2:3]
	v_mul_f64 v[2:3], v[12:13], v[124:125]
	v_fma_f64 v[2:3], v[10:11], v[126:127], -v[2:3]
	;; [unrolled: 3-line block ×21, first 2 shown]
	v_add_f64 v[0:1], v[0:1], v[2:3]
	v_mul_f64 v[2:3], v[92:93], v[208:209]
	s_waitcnt vmcnt(6) lgkmcnt(0)
	v_mul_f64 v[116:117], v[110:111], v[236:237]
	v_fma_f64 v[2:3], v[90:91], v[210:211], -v[2:3]
	s_waitcnt vmcnt(4)
	v_fmac_f64_e32 v[116:117], v[112:113], v[238:239]
	v_add_f64 v[240:241], v[114:115], v[116:117]
	ds_read_b128 v[114:117], v254 offset:1680
	buffer_load_dword v248, off, s[0:3], 0 offset:224
	buffer_load_dword v249, off, s[0:3], 0 offset:228
	v_add_f64 v[0:1], v[0:1], v[2:3]
	v_mul_f64 v[2:3], v[96:97], v[214:215]
	v_fma_f64 v[2:3], v[94:95], v[226:227], -v[2:3]
	v_add_f64 v[0:1], v[0:1], v[2:3]
	v_mul_f64 v[2:3], v[100:101], v[224:225]
	s_waitcnt vmcnt(4) lgkmcnt(0)
	v_mul_f64 v[246:247], v[114:115], v[242:243]
	v_fma_f64 v[2:3], v[98:99], v[228:229], -v[2:3]
	s_waitcnt vmcnt(2)
	v_fmac_f64_e32 v[246:247], v[116:117], v[244:245]
	v_add_f64 v[240:241], v[240:241], v[246:247]
	buffer_load_dword v246, off, s[0:3], 0 offset:232
	buffer_load_dword v247, off, s[0:3], 0 offset:236
	v_add_f64 v[0:1], v[0:1], v[2:3]
	v_mul_f64 v[2:3], v[104:105], v[232:233]
	v_fma_f64 v[2:3], v[102:103], v[234:235], -v[2:3]
	v_add_f64 v[0:1], v[0:1], v[2:3]
	v_mul_f64 v[2:3], v[108:109], v[212:213]
	v_fma_f64 v[2:3], v[106:107], v[230:231], -v[2:3]
	;; [unrolled: 3-line block ×4, first 2 shown]
	v_add_f64 v[0:1], v[0:1], v[2:3]
	s_waitcnt vmcnt(2)
	v_add_f64 v[0:1], v[248:249], -v[0:1]
	s_waitcnt vmcnt(0)
	v_add_f64 v[2:3], v[246:247], -v[240:241]
	buffer_store_dword v1, off, s[0:3], 0 offset:228
	buffer_store_dword v0, off, s[0:3], 0 offset:224
	;; [unrolled: 1-line block ×4, first 2 shown]
	s_and_saveexec_b64 s[4:5], vcc
	s_cbranch_execz .LBB52_307
; %bb.306:
	v_accvgpr_read_b32 v0, a146
	buffer_load_dword v2, v0, s[0:3], 0 offen
	buffer_load_dword v3, v0, s[0:3], 0 offen offset:4
	buffer_load_dword v4, v0, s[0:3], 0 offen offset:8
	;; [unrolled: 1-line block ×3, first 2 shown]
	v_accvgpr_read_b32 v0, a159
	buffer_store_dword v254, off, s[0:3], 0 offset:208
	buffer_store_dword v254, off, s[0:3], 0 offset:212
	;; [unrolled: 1-line block ×4, first 2 shown]
	s_waitcnt vmcnt(4)
	ds_write_b128 v0, v[2:5]
.LBB52_307:
	s_or_b64 exec, exec, s[4:5]
	s_waitcnt lgkmcnt(0)
	; wave barrier
	s_waitcnt lgkmcnt(0)
	buffer_load_dword v56, off, s[0:3], 0 offset:224
	buffer_load_dword v57, off, s[0:3], 0 offset:228
	;; [unrolled: 1-line block ×42, first 2 shown]
	ds_read_b128 v[78:81], v254 offset:1056
	ds_read_b128 v[90:93], v254 offset:1072
	;; [unrolled: 1-line block ×10, first 2 shown]
	buffer_load_dword v1, off, s[0:3], 0 offset:372
	buffer_load_dword v0, off, s[0:3], 0 offset:368
	ds_read_b128 v[106:109], v254 offset:1216
	buffer_load_dword v3, off, s[0:3], 0 offset:428
	buffer_load_dword v2, off, s[0:3], 0 offset:424
	s_waitcnt vmcnt(38) lgkmcnt(9)
	v_mul_f64 v[4:5], v[90:91], v[62:63]
	v_fmac_f64_e32 v[4:5], v[92:93], v[54:55]
	s_waitcnt vmcnt(36) lgkmcnt(8)
	v_mul_f64 v[6:7], v[114:115], v[58:59]
	v_mul_f64 v[58:59], v[116:117], v[58:59]
	s_waitcnt vmcnt(34) lgkmcnt(6)
	v_mul_f64 v[10:11], v[236:237], v[70:71]
	v_mul_f64 v[70:71], v[238:239], v[70:71]
	s_waitcnt vmcnt(32)
	v_fmac_f64_e32 v[10:11], v[238:239], v[72:73]
	s_waitcnt vmcnt(30)
	v_mul_f64 v[8:9], v[216:217], v[64:65]
	s_waitcnt vmcnt(28) lgkmcnt(4)
	v_mul_f64 v[14:15], v[244:245], v[82:83]
	v_mul_f64 v[82:83], v[246:247], v[82:83]
	s_waitcnt vmcnt(26)
	v_fmac_f64_e32 v[14:15], v[246:247], v[84:85]
	v_fma_f64 v[246:247], v[244:245], v[84:85], -v[82:83]
	s_waitcnt vmcnt(24)
	v_mul_f64 v[12:13], v[240:241], v[74:75]
	v_mul_f64 v[74:75], v[242:243], v[74:75]
	s_waitcnt vmcnt(22) lgkmcnt(2)
	v_mul_f64 v[18:19], v[220:221], v[94:95]
	v_mul_f64 v[94:95], v[222:223], v[94:95]
	s_waitcnt vmcnt(19)
	v_mul_f64 v[16:17], v[248:249], v[86:87]
	v_mul_f64 v[86:87], v[250:251], v[86:87]
	s_waitcnt vmcnt(17) lgkmcnt(1)
	v_mul_f64 v[20:21], v[98:99], v[102:103]
	s_waitcnt vmcnt(15)
	v_fmac_f64_e32 v[6:7], v[116:117], v[68:69]
	s_waitcnt vmcnt(13)
	v_fmac_f64_e32 v[8:9], v[218:219], v[66:67]
	;; [unrolled: 2-line block ×3, first 2 shown]
	v_fma_f64 v[240:241], v[240:241], v[76:77], -v[74:75]
	s_waitcnt vmcnt(9)
	v_fmac_f64_e32 v[16:17], v[250:251], v[88:89]
	s_waitcnt vmcnt(8)
	v_fmac_f64_e32 v[18:19], v[222:223], v[96:97]
	v_fma_f64 v[248:249], v[248:249], v[88:89], -v[86:87]
	v_fma_f64 v[220:221], v[220:221], v[96:97], -v[94:95]
	s_waitcnt vmcnt(2)
	v_fmac_f64_e32 v[20:21], v[100:101], v[0:1]
	v_mul_f64 v[100:101], v[100:101], v[102:103]
	s_waitcnt vmcnt(0)
	v_pk_mov_b32 v[22:23], v[2:3], v[2:3] op_sel:[0,1]
	buffer_load_dword v3, off, s[0:3], 0 offset:420
	buffer_load_dword v2, off, s[0:3], 0 offset:416
	;; [unrolled: 1-line block ×78, first 2 shown]
	ds_read_b128 v[120:123], v254 offset:1232
	v_accvgpr_write_b32 a161, v23
	v_accvgpr_write_b32 a160, v22
	v_fma_f64 v[250:251], v[98:99], v[0:1], -v[100:101]
	s_waitcnt vmcnt(62)
	v_pk_mov_b32 v[24:25], v[2:3], v[2:3] op_sel:[0,1]
	v_mul_f64 v[2:3], v[78:79], v[60:61]
	v_fmac_f64_e32 v[2:3], v[80:81], v[56:57]
	v_add_f64 v[2:3], v[2:3], 0
	v_add_f64 v[2:3], v[2:3], v[4:5]
	;; [unrolled: 1-line block ×9, first 2 shown]
	s_waitcnt lgkmcnt(1)
	v_mul_f64 v[8:9], v[106:107], v[110:111]
	v_add_f64 v[6:7], v[2:3], v[20:21]
	v_fmac_f64_e32 v[8:9], v[108:109], v[112:113]
	v_add_f64 v[10:11], v[6:7], v[8:9]
	ds_read_b128 v[6:9], v254 offset:1248
	s_waitcnt lgkmcnt(1)
	v_mul_f64 v[12:13], v[120:121], v[124:125]
	v_fmac_f64_e32 v[12:13], v[122:123], v[140:141]
	v_add_f64 v[14:15], v[10:11], v[12:13]
	ds_read_b128 v[10:13], v254 offset:1264
	s_waitcnt lgkmcnt(1)
	v_mul_f64 v[16:17], v[6:7], v[22:23]
	;; [unrolled: 5-line block ×3, first 2 shown]
	v_fmac_f64_e32 v[20:21], v[12:13], v[148:149]
	v_add_f64 v[22:23], v[18:19], v[20:21]
	ds_read_b128 v[18:21], v254 offset:1296
	v_accvgpr_write_b32 a163, v25
	v_accvgpr_write_b32 a162, v24
	s_waitcnt lgkmcnt(1)
	v_mul_f64 v[24:25], v[14:15], v[126:127]
	v_fmac_f64_e32 v[24:25], v[16:17], v[128:129]
	v_add_f64 v[26:27], v[22:23], v[24:25]
	ds_read_b128 v[22:25], v254 offset:1312
	s_waitcnt vmcnt(58) lgkmcnt(1)
	v_mul_f64 v[28:29], v[18:19], v[152:153]
	s_waitcnt vmcnt(56)
	v_fmac_f64_e32 v[28:29], v[20:21], v[156:157]
	v_add_f64 v[30:31], v[26:27], v[28:29]
	ds_read_b128 v[26:29], v254 offset:1328
	s_waitcnt lgkmcnt(1)
	v_mul_f64 v[32:33], v[22:23], v[130:131]
	v_fmac_f64_e32 v[32:33], v[24:25], v[132:133]
	v_add_f64 v[34:35], v[30:31], v[32:33]
	ds_read_b128 v[30:33], v254 offset:1344
	s_waitcnt vmcnt(50) lgkmcnt(1)
	v_mul_f64 v[36:37], v[26:27], v[160:161]
	s_waitcnt vmcnt(48)
	v_fmac_f64_e32 v[36:37], v[28:29], v[164:165]
	v_add_f64 v[38:39], v[34:35], v[36:37]
	ds_read_b128 v[34:37], v254 offset:1360
	;; [unrolled: 11-line block ×4, first 2 shown]
	buffer_load_dword v200, off, s[0:3], 0 offset:744
	buffer_load_dword v205, off, s[0:3], 0 offset:732
	;; [unrolled: 1-line block ×28, first 2 shown]
	s_waitcnt lgkmcnt(1)
	v_mul_f64 v[118:119], v[46:47], v[146:147]
	v_fmac_f64_e32 v[118:119], v[48:49], v[150:151]
	v_mul_f64 v[60:61], v[80:81], v[60:61]
	v_add_f64 v[104:105], v[104:105], v[118:119]
	s_waitcnt vmcnt(54) lgkmcnt(0)
	v_mul_f64 v[118:119], v[50:51], v[184:185]
	v_fma_f64 v[252:253], v[78:79], v[56:57], -v[60:61]
	v_mul_f64 v[56:57], v[92:93], v[62:63]
	v_fma_f64 v[2:3], v[90:91], v[54:55], -v[56:57]
	s_waitcnt vmcnt(52)
	v_fmac_f64_e32 v[118:119], v[52:53], v[186:187]
	ds_read_b128 v[54:57], v254 offset:1440
	v_add_f64 v[4:5], v[104:105], v[118:119]
	v_fma_f64 v[118:119], v[114:115], v[68:69], -v[58:59]
	ds_read_b128 v[58:61], v254 offset:1456
	v_mul_f64 v[62:63], v[218:219], v[64:65]
	v_fma_f64 v[216:217], v[216:217], v[66:67], -v[62:63]
	ds_read_b128 v[62:65], v254 offset:1472
	s_waitcnt lgkmcnt(2)
	v_mul_f64 v[68:69], v[54:55], v[154:155]
	v_fmac_f64_e32 v[68:69], v[56:57], v[158:159]
	s_waitcnt vmcnt(46) lgkmcnt(1)
	v_mul_f64 v[66:67], v[58:59], v[188:189]
	v_add_f64 v[4:5], v[4:5], v[68:69]
	s_waitcnt vmcnt(44)
	v_fmac_f64_e32 v[66:67], v[60:61], v[190:191]
	v_add_f64 v[4:5], v[4:5], v[66:67]
	v_fma_f64 v[218:219], v[236:237], v[72:73], -v[70:71]
	ds_read_b128 v[70:73], v254 offset:1504
	s_waitcnt lgkmcnt(1)
	v_mul_f64 v[66:67], v[62:63], v[162:163]
	v_fmac_f64_e32 v[66:67], v[64:65], v[166:167]
	v_add_f64 v[4:5], v[4:5], v[66:67]
	ds_read_b128 v[66:69], v254 offset:1488
	ds_read_b128 v[74:77], v254 offset:1520
	;; [unrolled: 1-line block ×5, first 2 shown]
	s_waitcnt vmcnt(38) lgkmcnt(4)
	v_mul_f64 v[78:79], v[66:67], v[192:193]
	s_waitcnt vmcnt(36)
	v_fmac_f64_e32 v[78:79], v[68:69], v[194:195]
	v_add_f64 v[4:5], v[4:5], v[78:79]
	v_mul_f64 v[78:79], v[70:71], v[170:171]
	v_fmac_f64_e32 v[78:79], v[72:73], v[174:175]
	v_add_f64 v[4:5], v[4:5], v[78:79]
	s_waitcnt vmcnt(30) lgkmcnt(3)
	v_mul_f64 v[78:79], v[74:75], v[196:197]
	s_waitcnt vmcnt(28)
	v_fmac_f64_e32 v[78:79], v[76:77], v[198:199]
	v_add_f64 v[4:5], v[4:5], v[78:79]
	ds_read_b128 v[78:81], v254 offset:1536
	ds_read_b128 v[98:101], v254 offset:1616
	s_waitcnt lgkmcnt(1)
	v_mul_f64 v[90:91], v[78:79], v[178:179]
	v_fmac_f64_e32 v[90:91], v[80:81], v[182:183]
	v_add_f64 v[4:5], v[4:5], v[90:91]
	s_waitcnt vmcnt(25)
	v_mul_f64 v[90:91], v[82:83], v[204:205]
	s_waitcnt vmcnt(23)
	v_fmac_f64_e32 v[90:91], v[84:85], v[206:207]
	v_add_f64 v[4:5], v[4:5], v[90:91]
	s_waitcnt vmcnt(21)
	v_mul_f64 v[90:91], v[86:87], v[200:201]
	s_waitcnt vmcnt(20)
	v_fmac_f64_e32 v[90:91], v[88:89], v[202:203]
	v_add_f64 v[4:5], v[4:5], v[90:91]
	ds_read_b128 v[90:93], v254 offset:1584
	s_waitcnt vmcnt(18) lgkmcnt(0)
	v_mul_f64 v[104:105], v[90:91], v[208:209]
	s_waitcnt vmcnt(16)
	v_fmac_f64_e32 v[104:105], v[92:93], v[210:211]
	v_add_f64 v[0:1], v[4:5], v[104:105]
	s_waitcnt vmcnt(14)
	v_mul_f64 v[4:5], v[94:95], v[214:215]
	s_waitcnt vmcnt(12)
	v_fmac_f64_e32 v[4:5], v[96:97], v[224:225]
	ds_read_b128 v[102:105], v254 offset:1632
	v_add_f64 v[4:5], v[0:1], v[4:5]
	v_mul_f64 v[0:1], v[108:109], v[110:111]
	v_fma_f64 v[0:1], v[106:107], v[112:113], -v[0:1]
	ds_read_b128 v[106:109], v254 offset:1648
	buffer_load_dword v236, off, s[0:3], 0 offset:840
	buffer_load_dword v237, off, s[0:3], 0 offset:844
	;; [unrolled: 1-line block ×4, first 2 shown]
	s_waitcnt vmcnt(13)
	v_mul_f64 v[110:111], v[98:99], v[228:229]
	s_waitcnt vmcnt(11)
	v_fmac_f64_e32 v[110:111], v[100:101], v[232:233]
	v_add_f64 v[4:5], v[4:5], v[110:111]
	s_waitcnt vmcnt(9) lgkmcnt(1)
	v_mul_f64 v[110:111], v[102:103], v[212:213]
	s_waitcnt vmcnt(8)
	v_fmac_f64_e32 v[110:111], v[104:105], v[226:227]
	v_add_f64 v[4:5], v[4:5], v[110:111]
	s_waitcnt vmcnt(6) lgkmcnt(0)
	v_mul_f64 v[110:111], v[106:107], v[230:231]
	s_waitcnt vmcnt(4)
	v_fmac_f64_e32 v[110:111], v[108:109], v[234:235]
	v_add_f64 v[4:5], v[4:5], v[110:111]
	ds_read_b128 v[110:113], v254 offset:1664
	buffer_load_dword v243, off, s[0:3], 0 offset:860
	buffer_load_dword v242, off, s[0:3], 0 offset:856
	;; [unrolled: 1-line block ×4, first 2 shown]
	s_waitcnt vmcnt(6) lgkmcnt(0)
	v_mul_f64 v[114:115], v[110:111], v[236:237]
	s_waitcnt vmcnt(4)
	v_fmac_f64_e32 v[114:115], v[112:113], v[238:239]
	v_add_f64 v[4:5], v[4:5], v[114:115]
	ds_read_b128 v[114:117], v254 offset:1680
	s_waitcnt vmcnt(2) lgkmcnt(0)
	v_mul_f64 v[222:223], v[114:115], v[242:243]
	s_waitcnt vmcnt(0)
	v_fmac_f64_e32 v[222:223], v[116:117], v[244:245]
	v_add_f64 v[4:5], v[4:5], v[222:223]
	v_add_f64 v[222:223], v[252:253], 0
	;; [unrolled: 1-line block ×9, first 2 shown]
	buffer_load_dword v248, off, s[0:3], 0 offset:208
	buffer_load_dword v249, off, s[0:3], 0 offset:212
	;; [unrolled: 1-line block ×4, first 2 shown]
	v_add_f64 v[254:255], v[2:3], v[220:221]
	v_add_f64 v[2:3], v[254:255], v[250:251]
	;; [unrolled: 1-line block ×3, first 2 shown]
	v_mul_f64 v[2:3], v[122:123], v[124:125]
	v_fma_f64 v[2:3], v[120:121], v[140:141], -v[2:3]
	v_add_f64 v[0:1], v[0:1], v[2:3]
	v_accvgpr_read_b32 v2, a160
	v_accvgpr_read_b32 v3, a161
	v_mul_f64 v[2:3], v[8:9], v[2:3]
	v_accvgpr_read_b32 v8, a162
	v_accvgpr_read_b32 v9, a163
	v_fma_f64 v[2:3], v[6:7], v[8:9], -v[2:3]
	v_add_f64 v[0:1], v[0:1], v[2:3]
	v_mul_f64 v[2:3], v[12:13], v[144:145]
	v_fma_f64 v[2:3], v[10:11], v[148:149], -v[2:3]
	v_add_f64 v[0:1], v[0:1], v[2:3]
	v_mul_f64 v[2:3], v[16:17], v[126:127]
	;; [unrolled: 3-line block ×27, first 2 shown]
	v_fma_f64 v[2:3], v[114:115], v[244:245], -v[2:3]
	v_add_f64 v[0:1], v[0:1], v[2:3]
	v_accvgpr_read_b32 v255, a158
	s_waitcnt vmcnt(2)
	v_add_f64 v[0:1], v[248:249], -v[0:1]
	v_cmp_lt_u32_e32 vcc, 11, v255
	s_waitcnt vmcnt(0)
	v_add_f64 v[2:3], v[246:247], -v[4:5]
	buffer_store_dword v1, off, s[0:3], 0 offset:212
	buffer_store_dword v0, off, s[0:3], 0 offset:208
	;; [unrolled: 1-line block ×4, first 2 shown]
	s_and_saveexec_b64 s[4:5], vcc
	s_cbranch_execz .LBB52_309
; %bb.308:
	v_accvgpr_read_b32 v0, a147
	buffer_load_dword v2, v0, s[0:3], 0 offen
	buffer_load_dword v3, v0, s[0:3], 0 offen offset:4
	buffer_load_dword v4, v0, s[0:3], 0 offen offset:8
	;; [unrolled: 1-line block ×3, first 2 shown]
	v_mov_b32_e32 v0, 0
	v_accvgpr_read_b32 v1, a159
	buffer_store_dword v0, off, s[0:3], 0 offset:192
	buffer_store_dword v0, off, s[0:3], 0 offset:196
	;; [unrolled: 1-line block ×4, first 2 shown]
	s_waitcnt vmcnt(4)
	ds_write_b128 v1, v[2:5]
.LBB52_309:
	s_or_b64 exec, exec, s[4:5]
	s_waitcnt lgkmcnt(0)
	; wave barrier
	s_waitcnt lgkmcnt(0)
	buffer_load_dword v54, off, s[0:3], 0 offset:208
	buffer_load_dword v55, off, s[0:3], 0 offset:212
	;; [unrolled: 1-line block ×46, first 2 shown]
	v_mov_b32_e32 v254, 0
	v_cmp_lt_u32_e32 vcc, 10, v255
	s_waitcnt vmcnt(0)
	v_pk_mov_b32 v[20:21], v[0:1], v[0:1] op_sel:[0,1]
	buffer_load_dword v1, off, s[0:3], 0 offset:404
	buffer_load_dword v0, off, s[0:3], 0 offset:400
	;; [unrolled: 1-line block ×3, first 2 shown]
	ds_read_b128 v[94:97], v254 offset:1040
	ds_read_b128 v[108:111], v254 offset:1056
	;; [unrolled: 1-line block ×11, first 2 shown]
	s_waitcnt lgkmcnt(9)
	v_mul_f64 v[2:3], v[108:109], v[62:63]
	s_waitcnt lgkmcnt(8)
	v_mul_f64 v[4:5], v[112:113], v[60:61]
	v_fmac_f64_e32 v[2:3], v[110:111], v[58:59]
	s_waitcnt lgkmcnt(7)
	v_mul_f64 v[6:7], v[216:217], v[68:69]
	v_fmac_f64_e32 v[4:5], v[114:115], v[84:85]
	;; [unrolled: 3-line block ×3, first 2 shown]
	v_fmac_f64_e32 v[8:9], v[222:223], v[66:67]
	s_waitcnt lgkmcnt(5)
	v_mul_f64 v[10:11], v[236:237], v[70:71]
	s_waitcnt lgkmcnt(4)
	v_mul_f64 v[12:13], v[240:241], v[74:75]
	v_fmac_f64_e32 v[10:11], v[238:239], v[72:73]
	s_waitcnt lgkmcnt(3)
	v_mul_f64 v[14:15], v[244:245], v[78:79]
	v_fmac_f64_e32 v[12:13], v[242:243], v[76:77]
	;; [unrolled: 3-line block ×4, first 2 shown]
	v_fmac_f64_e32 v[18:19], v[118:119], v[92:93]
	v_accvgpr_write_b32 a161, v21
	v_accvgpr_write_b32 a160, v20
	v_mul_f64 v[62:63], v[110:111], v[62:63]
	v_fma_f64 v[62:63], v[108:109], v[58:59], -v[62:63]
	v_mul_f64 v[58:59], v[114:115], v[60:61]
	v_fma_f64 v[108:109], v[112:113], v[84:85], -v[58:59]
	;; [unrolled: 2-line block ×8, first 2 shown]
	s_waitcnt vmcnt(1)
	v_pk_mov_b32 v[22:23], v[0:1], v[0:1] op_sel:[0,1]
	v_mul_f64 v[0:1], v[94:95], v[56:57]
	v_fmac_f64_e32 v[0:1], v[96:97], v[54:55]
	v_add_f64 v[0:1], v[0:1], 0
	v_add_f64 v[0:1], v[0:1], v[2:3]
	;; [unrolled: 1-line block ×5, first 2 shown]
	buffer_load_dword v106, off, s[0:3], 0 offset:392
	buffer_load_dword v253, off, s[0:3], 0 offset:388
	;; [unrolled: 1-line block ×75, first 2 shown]
	ds_read_b128 v[232:235], v254 offset:1216
	ds_read_b128 v[120:123], v254 offset:1232
	v_add_f64 v[0:1], v[0:1], v[10:11]
	v_add_f64 v[0:1], v[0:1], v[12:13]
	;; [unrolled: 1-line block ×5, first 2 shown]
	s_waitcnt lgkmcnt(0)
	v_mul_f64 v[10:11], v[120:121], v[20:21]
	ds_read_b128 v[124:127], v254 offset:1248
	v_fmac_f64_e32 v[10:11], v[122:123], v[22:23]
	v_accvgpr_write_b32 a163, v23
	v_accvgpr_write_b32 a162, v22
	v_mul_f64 v[56:57], v[96:97], v[56:57]
	s_waitcnt vmcnt(62)
	v_mul_f64 v[6:7], v[232:233], v[106:107]
	v_fmac_f64_e32 v[6:7], v[234:235], v[252:253]
	v_pk_mov_b32 v[4:5], v[2:3], v[2:3] op_sel:[0,1]
	v_mul_f64 v[2:3], v[98:99], v[102:103]
	v_fmac_f64_e32 v[2:3], v[100:101], v[104:105]
	v_add_f64 v[0:1], v[0:1], v[2:3]
	v_add_f64 v[0:1], v[0:1], v[6:7]
	;; [unrolled: 1-line block ×3, first 2 shown]
	ds_read_b128 v[10:13], v254 offset:1264
	s_waitcnt lgkmcnt(1)
	v_mul_f64 v[14:15], v[124:125], v[140:141]
	v_fmac_f64_e32 v[14:15], v[126:127], v[144:145]
	v_add_f64 v[0:1], v[0:1], v[14:15]
	ds_read_b128 v[14:17], v254 offset:1280
	s_waitcnt lgkmcnt(1)
	v_mul_f64 v[18:19], v[10:11], v[8:9]
	v_fmac_f64_e32 v[18:19], v[12:13], v[4:5]
	v_add_f64 v[0:1], v[0:1], v[18:19]
	ds_read_b128 v[18:21], v254 offset:1296
	s_waitcnt vmcnt(58) lgkmcnt(1)
	v_mul_f64 v[22:23], v[14:15], v[148:149]
	s_waitcnt vmcnt(56)
	v_fmac_f64_e32 v[22:23], v[16:17], v[152:153]
	v_add_f64 v[0:1], v[0:1], v[22:23]
	ds_read_b128 v[22:25], v254 offset:1312
	s_waitcnt lgkmcnt(1)
	v_mul_f64 v[26:27], v[18:19], v[128:129]
	v_fmac_f64_e32 v[26:27], v[20:21], v[130:131]
	v_add_f64 v[0:1], v[0:1], v[26:27]
	ds_read_b128 v[26:29], v254 offset:1328
	s_waitcnt vmcnt(50) lgkmcnt(1)
	v_mul_f64 v[30:31], v[22:23], v[156:157]
	s_waitcnt vmcnt(48)
	;; [unrolled: 11-line block ×4, first 2 shown]
	v_fmac_f64_e32 v[46:47], v[40:41], v[176:177]
	v_add_f64 v[0:1], v[0:1], v[46:47]
	ds_read_b128 v[46:49], v254 offset:1408
	s_waitcnt lgkmcnt(1)
	v_mul_f64 v[50:51], v[42:43], v[142:143]
	v_fmac_f64_e32 v[50:51], v[44:45], v[146:147]
	v_add_f64 v[0:1], v[0:1], v[50:51]
	ds_read_b128 v[50:53], v254 offset:1424
	buffer_load_dword v197, off, s[0:3], 0 offset:716
	buffer_load_dword v196, off, s[0:3], 0 offset:712
	;; [unrolled: 1-line block ×8, first 2 shown]
	s_waitcnt vmcnt(34) lgkmcnt(1)
	v_mul_f64 v[200:201], v[46:47], v[180:181]
	s_waitcnt vmcnt(32)
	v_fmac_f64_e32 v[200:201], v[48:49], v[182:183]
	v_add_f64 v[0:1], v[0:1], v[200:201]
	buffer_load_dword v201, off, s[0:3], 0 offset:764
	buffer_load_dword v207, off, s[0:3], 0 offset:748
	;; [unrolled: 1-line block ×8, first 2 shown]
	v_fma_f64 v[6:7], v[94:95], v[54:55], -v[56:57]
	ds_read_b128 v[54:57], v254 offset:1440
	buffer_load_dword v213, off, s[0:3], 0 offset:780
	buffer_load_dword v212, off, s[0:3], 0 offset:776
	;; [unrolled: 1-line block ×4, first 2 shown]
	v_accvgpr_write_b32 a165, v5
	v_accvgpr_write_b32 a164, v4
	s_waitcnt lgkmcnt(1)
	v_mul_f64 v[4:5], v[50:51], v[150:151]
	buffer_load_dword v224, off, s[0:3], 0 offset:792
	buffer_load_dword v226, off, s[0:3], 0 offset:784
	;; [unrolled: 1-line block ×8, first 2 shown]
	v_fmac_f64_e32 v[4:5], v[52:53], v[154:155]
	v_add_f64 v[0:1], v[0:1], v[4:5]
	v_mul_f64 v[4:5], v[218:219], v[68:69]
	v_fma_f64 v[4:5], v[216:217], v[82:83], -v[4:5]
	buffer_load_dword v216, off, s[0:3], 0 offset:824
	buffer_load_dword v218, off, s[0:3], 0 offset:816
	;; [unrolled: 1-line block ×4, first 2 shown]
	s_waitcnt vmcnt(50) lgkmcnt(0)
	v_mul_f64 v[58:59], v[54:55], v[184:185]
	s_waitcnt vmcnt(48)
	v_fmac_f64_e32 v[58:59], v[56:57], v[186:187]
	v_add_f64 v[0:1], v[0:1], v[58:59]
	ds_read_b128 v[58:61], v254 offset:1456
	ds_read_b128 v[220:223], v254 offset:1472
	;; [unrolled: 1-line block ×5, first 2 shown]
	s_waitcnt lgkmcnt(4)
	v_mul_f64 v[82:83], v[58:59], v[158:159]
	v_fmac_f64_e32 v[82:83], v[60:61], v[162:163]
	s_waitcnt vmcnt(42) lgkmcnt(3)
	v_mul_f64 v[70:71], v[220:221], v[188:189]
	v_add_f64 v[0:1], v[0:1], v[82:83]
	s_waitcnt vmcnt(40)
	v_fmac_f64_e32 v[70:71], v[222:223], v[190:191]
	v_add_f64 v[0:1], v[0:1], v[70:71]
	s_waitcnt lgkmcnt(2)
	v_mul_f64 v[70:71], v[66:67], v[166:167]
	v_fmac_f64_e32 v[70:71], v[68:69], v[170:171]
	v_add_f64 v[0:1], v[0:1], v[70:71]
	ds_read_b128 v[70:73], v254 offset:1504
	ds_read_b128 v[90:93], v254 offset:1584
	v_mul_f64 v[100:101], v[100:101], v[102:103]
	v_fma_f64 v[2:3], v[98:99], v[104:105], -v[100:101]
	ds_read_b128 v[98:101], v254 offset:1616
	s_waitcnt vmcnt(34) lgkmcnt(2)
	v_mul_f64 v[82:83], v[70:71], v[192:193]
	s_waitcnt vmcnt(32)
	v_fmac_f64_e32 v[82:83], v[72:73], v[194:195]
	v_add_f64 v[0:1], v[0:1], v[82:83]
	v_mul_f64 v[82:83], v[74:75], v[174:175]
	v_fmac_f64_e32 v[82:83], v[76:77], v[178:179]
	v_add_f64 v[0:1], v[0:1], v[82:83]
	v_mul_f64 v[102:103], v[234:235], v[106:107]
	v_fma_f64 v[250:251], v[232:233], v[252:253], -v[102:103]
	ds_read_b128 v[232:235], v254 offset:1648
	v_add_f64 v[6:7], v[6:7], 0
	v_add_f64 v[6:7], v[6:7], v[62:63]
	;; [unrolled: 1-line block ×10, first 2 shown]
	v_accvgpr_read_b32 v6, a162
	v_accvgpr_read_b32 v7, a163
	ds_read_b128 v[86:89], v254 offset:1568
	ds_read_b128 v[102:105], v254 offset:1632
	s_waitcnt vmcnt(30)
	v_mul_f64 v[82:83], v[78:79], v[196:197]
	s_waitcnt vmcnt(28)
	v_fmac_f64_e32 v[82:83], v[80:81], v[198:199]
	v_add_f64 v[0:1], v[0:1], v[82:83]
	ds_read_b128 v[82:85], v254 offset:1552
	s_waitcnt vmcnt(25) lgkmcnt(0)
	v_mul_f64 v[94:95], v[82:83], v[202:203]
	s_waitcnt vmcnt(24)
	v_fmac_f64_e32 v[94:95], v[84:85], v[204:205]
	v_add_f64 v[0:1], v[0:1], v[94:95]
	s_waitcnt vmcnt(21)
	v_mul_f64 v[94:95], v[86:87], v[206:207]
	s_waitcnt vmcnt(19)
	v_fmac_f64_e32 v[94:95], v[88:89], v[210:211]
	v_add_f64 v[0:1], v[0:1], v[94:95]
	s_waitcnt vmcnt(18)
	v_mul_f64 v[94:95], v[90:91], v[200:201]
	s_waitcnt vmcnt(16)
	v_fmac_f64_e32 v[94:95], v[92:93], v[208:209]
	v_add_f64 v[0:1], v[0:1], v[94:95]
	ds_read_b128 v[94:97], v254 offset:1600
	s_waitcnt vmcnt(9)
	v_mul_f64 v[106:107], v[98:99], v[224:225]
	s_waitcnt vmcnt(8)
	v_fmac_f64_e32 v[106:107], v[100:101], v[226:227]
	s_waitcnt lgkmcnt(0)
	v_mul_f64 v[110:111], v[94:95], v[212:213]
	v_fmac_f64_e32 v[110:111], v[96:97], v[214:215]
	v_add_f64 v[0:1], v[0:1], v[110:111]
	v_add_f64 v[0:1], v[0:1], v[106:107]
	s_waitcnt vmcnt(6)
	v_mul_f64 v[106:107], v[102:103], v[228:229]
	s_waitcnt vmcnt(4)
	v_fmac_f64_e32 v[106:107], v[104:105], v[230:231]
	v_add_f64 v[0:1], v[0:1], v[106:107]
	s_waitcnt vmcnt(1)
	v_mul_f64 v[106:107], v[232:233], v[216:217]
	s_waitcnt vmcnt(0)
	v_fmac_f64_e32 v[106:107], v[234:235], v[218:219]
	v_add_f64 v[106:107], v[0:1], v[106:107]
	buffer_load_dword v1, off, s[0:3], 0 offset:844
	buffer_load_dword v0, off, s[0:3], 0 offset:840
	buffer_load_dword v239, off, s[0:3], 0 offset:836
	buffer_load_dword v238, off, s[0:3], 0 offset:832
	ds_read_b128 v[110:113], v254 offset:1664
	buffer_load_dword v242, off, s[0:3], 0 offset:856
	buffer_load_dword v243, off, s[0:3], 0 offset:860
	;; [unrolled: 1-line block ×4, first 2 shown]
	s_waitcnt vmcnt(6) lgkmcnt(0)
	v_mul_f64 v[114:115], v[110:111], v[0:1]
	v_mul_f64 v[0:1], v[112:113], v[0:1]
	s_waitcnt vmcnt(4)
	v_fmac_f64_e32 v[114:115], v[112:113], v[238:239]
	v_add_f64 v[106:107], v[106:107], v[114:115]
	ds_read_b128 v[114:117], v254 offset:1680
	buffer_load_dword v248, off, s[0:3], 0 offset:192
	buffer_load_dword v249, off, s[0:3], 0 offset:196
	;; [unrolled: 1-line block ×4, first 2 shown]
	v_fma_f64 v[0:1], v[110:111], v[238:239], -v[0:1]
	s_waitcnt vmcnt(6) lgkmcnt(0)
	v_mul_f64 v[252:253], v[114:115], v[242:243]
	s_waitcnt vmcnt(4)
	v_fmac_f64_e32 v[252:253], v[116:117], v[244:245]
	v_add_f64 v[106:107], v[106:107], v[252:253]
	v_add_f64 v[252:253], v[4:5], v[2:3]
	v_accvgpr_read_b32 v4, a160
	v_accvgpr_read_b32 v5, a161
	v_mul_f64 v[4:5], v[122:123], v[4:5]
	v_add_f64 v[2:3], v[252:253], v[250:251]
	v_fma_f64 v[4:5], v[120:121], v[6:7], -v[4:5]
	v_add_f64 v[2:3], v[2:3], v[4:5]
	v_mul_f64 v[4:5], v[126:127], v[140:141]
	v_fma_f64 v[4:5], v[124:125], v[144:145], -v[4:5]
	v_accvgpr_read_b32 v6, a164
	v_add_f64 v[2:3], v[2:3], v[4:5]
	v_mul_f64 v[4:5], v[12:13], v[8:9]
	v_accvgpr_read_b32 v7, a165
	v_fma_f64 v[4:5], v[10:11], v[6:7], -v[4:5]
	v_add_f64 v[2:3], v[2:3], v[4:5]
	v_mul_f64 v[4:5], v[16:17], v[148:149]
	v_fma_f64 v[4:5], v[14:15], v[152:153], -v[4:5]
	v_add_f64 v[2:3], v[2:3], v[4:5]
	v_mul_f64 v[4:5], v[20:21], v[128:129]
	;; [unrolled: 3-line block ×24, first 2 shown]
	v_fma_f64 v[4:5], v[232:233], v[218:219], -v[4:5]
	v_add_f64 v[2:3], v[2:3], v[4:5]
	v_add_f64 v[0:1], v[2:3], v[0:1]
	v_mul_f64 v[2:3], v[116:117], v[242:243]
	v_fma_f64 v[2:3], v[114:115], v[244:245], -v[2:3]
	v_add_f64 v[0:1], v[0:1], v[2:3]
	s_waitcnt vmcnt(2)
	v_add_f64 v[0:1], v[248:249], -v[0:1]
	s_waitcnt vmcnt(0)
	v_add_f64 v[2:3], v[246:247], -v[106:107]
	buffer_store_dword v1, off, s[0:3], 0 offset:196
	buffer_store_dword v0, off, s[0:3], 0 offset:192
	;; [unrolled: 1-line block ×4, first 2 shown]
	s_and_saveexec_b64 s[4:5], vcc
	s_cbranch_execz .LBB52_311
; %bb.310:
	v_accvgpr_read_b32 v0, a148
	buffer_load_dword v2, v0, s[0:3], 0 offen
	buffer_load_dword v3, v0, s[0:3], 0 offen offset:4
	buffer_load_dword v4, v0, s[0:3], 0 offen offset:8
	;; [unrolled: 1-line block ×3, first 2 shown]
	v_accvgpr_read_b32 v0, a159
	buffer_store_dword v254, off, s[0:3], 0 offset:176
	buffer_store_dword v254, off, s[0:3], 0 offset:180
	buffer_store_dword v254, off, s[0:3], 0 offset:184
	buffer_store_dword v254, off, s[0:3], 0 offset:188
	s_waitcnt vmcnt(4)
	ds_write_b128 v0, v[2:5]
.LBB52_311:
	s_or_b64 exec, exec, s[4:5]
	s_waitcnt lgkmcnt(0)
	; wave barrier
	s_waitcnt lgkmcnt(0)
	buffer_load_dword v58, off, s[0:3], 0 offset:192
	buffer_load_dword v59, off, s[0:3], 0 offset:196
	;; [unrolled: 1-line block ×42, first 2 shown]
	ds_read_b128 v[110:113], v254 offset:1024
	ds_read_b128 v[114:117], v254 offset:1040
	;; [unrolled: 1-line block ×10, first 2 shown]
	buffer_load_dword v1, off, s[0:3], 0 offset:340
	buffer_load_dword v0, off, s[0:3], 0 offset:336
	ds_read_b128 v[90:93], v254 offset:1184
	buffer_load_dword v105, off, s[0:3], 0 offset:396
	buffer_load_dword v104, off, s[0:3], 0 offset:392
	;; [unrolled: 1-line block ×6, first 2 shown]
	s_waitcnt vmcnt(46) lgkmcnt(10)
	v_mul_f64 v[2:3], v[110:111], v[60:61]
	v_fmac_f64_e32 v[2:3], v[112:113], v[58:59]
	v_add_f64 v[2:3], v[2:3], 0
	v_mul_f64 v[60:61], v[112:113], v[60:61]
	s_waitcnt vmcnt(42) lgkmcnt(9)
	v_mul_f64 v[4:5], v[114:115], v[62:63]
	v_fmac_f64_e32 v[4:5], v[116:117], v[56:57]
	v_add_f64 v[2:3], v[2:3], v[4:5]
	buffer_load_dword v233, off, s[0:3], 0 offset:372
	buffer_load_dword v232, off, s[0:3], 0 offset:368
	;; [unrolled: 1-line block ×4, first 2 shown]
	s_waitcnt vmcnt(44) lgkmcnt(8)
	v_mul_f64 v[6:7], v[212:213], v[228:229]
	s_waitcnt vmcnt(42) lgkmcnt(6)
	v_mul_f64 v[10:11], v[220:221], v[64:65]
	s_waitcnt vmcnt(40)
	v_fmac_f64_e32 v[10:11], v[222:223], v[66:67]
	s_waitcnt vmcnt(38)
	v_mul_f64 v[8:9], v[216:217], v[68:69]
	s_waitcnt vmcnt(36) lgkmcnt(4)
	v_mul_f64 v[14:15], v[240:241], v[70:71]
	s_waitcnt vmcnt(34)
	v_fmac_f64_e32 v[14:15], v[242:243], v[72:73]
	s_waitcnt vmcnt(32)
	v_mul_f64 v[12:13], v[236:237], v[74:75]
	s_waitcnt vmcnt(30) lgkmcnt(2)
	v_mul_f64 v[18:19], v[248:249], v[78:79]
	v_mul_f64 v[78:79], v[250:251], v[78:79]
	s_waitcnt vmcnt(27)
	v_mul_f64 v[16:17], v[244:245], v[76:77]
	s_waitcnt vmcnt(25) lgkmcnt(1)
	v_mul_f64 v[20:21], v[82:83], v[86:87]
	s_waitcnt vmcnt(23)
	v_fmac_f64_e32 v[6:7], v[214:215], v[100:101]
	v_add_f64 v[2:3], v[2:3], v[6:7]
	s_waitcnt vmcnt(21)
	v_fmac_f64_e32 v[8:9], v[218:219], v[98:99]
	v_add_f64 v[2:3], v[2:3], v[8:9]
	;; [unrolled: 3-line block ×3, first 2 shown]
	v_add_f64 v[2:3], v[2:3], v[12:13]
	s_waitcnt vmcnt(17)
	v_fmac_f64_e32 v[16:17], v[246:247], v[88:89]
	v_add_f64 v[2:3], v[2:3], v[14:15]
	s_waitcnt vmcnt(16)
	v_fmac_f64_e32 v[18:19], v[250:251], v[80:81]
	v_add_f64 v[2:3], v[2:3], v[16:17]
	v_add_f64 v[2:3], v[2:3], v[18:19]
	v_fma_f64 v[248:249], v[248:249], v[80:81], -v[78:79]
	s_waitcnt vmcnt(10)
	v_fmac_f64_e32 v[20:21], v[84:85], v[0:1]
	v_add_f64 v[2:3], v[2:3], v[20:21]
	v_mul_f64 v[84:85], v[84:85], v[86:87]
	v_fma_f64 v[250:251], v[82:83], v[0:1], -v[84:85]
	s_waitcnt vmcnt(0)
	v_pk_mov_b32 v[18:19], v[4:5], v[4:5] op_sel:[0,1]
	buffer_load_dword v5, off, s[0:3], 0 offset:420
	buffer_load_dword v4, off, s[0:3], 0 offset:416
	v_accvgpr_write_b32 a161, v19
	v_accvgpr_write_b32 a160, v18
	s_waitcnt vmcnt(0)
	v_pk_mov_b32 v[22:23], v[4:5], v[4:5] op_sel:[0,1]
	buffer_load_dword v137, off, s[0:3], 0 offset:412
	buffer_load_dword v136, off, s[0:3], 0 offset:408
	;; [unrolled: 1-line block ×68, first 2 shown]
	ds_read_b128 v[118:121], v254 offset:1200
	ds_read_b128 v[224:227], v254 offset:1216
	;; [unrolled: 1-line block ×4, first 2 shown]
	v_accvgpr_write_b32 a163, v23
	v_accvgpr_write_b32 a162, v22
	s_waitcnt lgkmcnt(2)
	v_mul_f64 v[8:9], v[224:225], v[104:105]
	v_fmac_f64_e32 v[8:9], v[226:227], v[106:107]
	s_waitcnt lgkmcnt(0)
	v_mul_f64 v[16:17], v[192:193], v[18:19]
	v_fmac_f64_e32 v[16:17], v[194:195], v[22:23]
	s_waitcnt vmcnt(62)
	v_mul_f64 v[12:13], v[122:123], v[136:137]
	v_fmac_f64_e32 v[12:13], v[124:125], v[140:141]
	v_pk_mov_b32 v[26:27], v[4:5], v[4:5] op_sel:[0,1]
	v_mul_f64 v[4:5], v[90:91], v[96:97]
	v_fmac_f64_e32 v[4:5], v[92:93], v[102:103]
	v_add_f64 v[2:3], v[2:3], v[4:5]
	v_mul_f64 v[4:5], v[118:119], v[108:109]
	v_fmac_f64_e32 v[4:5], v[120:121], v[232:233]
	v_add_f64 v[6:7], v[2:3], v[4:5]
	v_add_f64 v[10:11], v[6:7], v[8:9]
	;; [unrolled: 1-line block ×3, first 2 shown]
	ds_read_b128 v[10:13], v254 offset:1264
	v_add_f64 v[18:19], v[14:15], v[16:17]
	ds_read_b128 v[14:17], v254 offset:1280
	v_accvgpr_write_b32 a165, v27
	v_accvgpr_write_b32 a164, v26
	s_waitcnt vmcnt(58) lgkmcnt(1)
	v_mul_f64 v[20:21], v[10:11], v[144:145]
	s_waitcnt vmcnt(56)
	v_fmac_f64_e32 v[20:21], v[12:13], v[148:149]
	v_add_f64 v[22:23], v[18:19], v[20:21]
	ds_read_b128 v[18:21], v254 offset:1296
	s_waitcnt lgkmcnt(1)
	v_mul_f64 v[24:25], v[14:15], v[26:27]
	v_fmac_f64_e32 v[24:25], v[16:17], v[252:253]
	v_add_f64 v[26:27], v[22:23], v[24:25]
	ds_read_b128 v[22:25], v254 offset:1312
	s_waitcnt vmcnt(50) lgkmcnt(1)
	v_mul_f64 v[28:29], v[18:19], v[152:153]
	s_waitcnt vmcnt(48)
	v_fmac_f64_e32 v[28:29], v[20:21], v[156:157]
	v_add_f64 v[30:31], v[26:27], v[28:29]
	ds_read_b128 v[26:29], v254 offset:1328
	s_waitcnt lgkmcnt(1)
	v_mul_f64 v[32:33], v[22:23], v[128:129]
	v_fmac_f64_e32 v[32:33], v[24:25], v[130:131]
	v_add_f64 v[34:35], v[30:31], v[32:33]
	ds_read_b128 v[30:33], v254 offset:1344
	;; [unrolled: 11-line block ×4, first 2 shown]
	s_waitcnt vmcnt(26) lgkmcnt(1)
	v_mul_f64 v[52:53], v[42:43], v[176:177]
	s_waitcnt vmcnt(24)
	v_fmac_f64_e32 v[52:53], v[44:45], v[178:179]
	v_add_f64 v[234:235], v[50:51], v[52:53]
	ds_read_b128 v[50:53], v254 offset:1424
	buffer_load_dword v9, off, s[0:3], 0 offset:700
	buffer_load_dword v8, off, s[0:3], 0 offset:696
	;; [unrolled: 1-line block ×20, first 2 shown]
	v_mul_f64 v[4:5], v[116:117], v[62:63]
	v_fma_f64 v[4:5], v[114:115], v[56:57], -v[4:5]
	v_mul_f64 v[56:57], v[214:215], v[228:229]
	v_fma_f64 v[6:7], v[110:111], v[58:59], -v[60:61]
	v_fma_f64 v[110:111], v[212:213], v[100:101], -v[56:57]
	v_mul_f64 v[56:57], v[218:219], v[68:69]
	v_fma_f64 v[112:113], v[216:217], v[98:99], -v[56:57]
	buffer_load_dword v214, off, s[0:3], 0 offset:776
	buffer_load_dword v216, off, s[0:3], 0 offset:768
	;; [unrolled: 1-line block ×12, first 2 shown]
	s_waitcnt lgkmcnt(1)
	v_mul_f64 v[54:55], v[46:47], v[146:147]
	v_fmac_f64_e32 v[54:55], v[48:49], v[150:151]
	v_add_f64 v[58:59], v[234:235], v[54:55]
	v_mul_f64 v[54:55], v[222:223], v[64:65]
	v_fma_f64 v[2:3], v[220:221], v[66:67], -v[54:55]
	buffer_load_dword v221, off, s[0:3], 0 offset:828
	buffer_load_dword v220, off, s[0:3], 0 offset:824
	;; [unrolled: 1-line block ×4, first 2 shown]
	s_waitcnt vmcnt(54) lgkmcnt(0)
	v_mul_f64 v[60:61], v[50:51], v[180:181]
	ds_read_b128 v[54:57], v254 offset:1440
	s_waitcnt vmcnt(52)
	v_fmac_f64_e32 v[60:61], v[52:53], v[182:183]
	v_add_f64 v[62:63], v[58:59], v[60:61]
	v_mul_f64 v[58:59], v[238:239], v[74:75]
	v_fma_f64 v[236:237], v[236:237], v[94:95], -v[58:59]
	ds_read_b128 v[58:61], v254 offset:1456
	s_waitcnt lgkmcnt(1)
	v_mul_f64 v[64:65], v[54:55], v[154:155]
	v_fmac_f64_e32 v[64:65], v[56:57], v[158:159]
	v_add_f64 v[74:75], v[62:63], v[64:65]
	ds_read_b128 v[62:65], v254 offset:1472
	v_mul_f64 v[66:67], v[242:243], v[70:71]
	s_waitcnt vmcnt(46) lgkmcnt(1)
	v_mul_f64 v[70:71], v[58:59], v[184:185]
	v_fma_f64 v[240:241], v[240:241], v[72:73], -v[66:67]
	ds_read_b128 v[66:69], v254 offset:1488
	s_waitcnt vmcnt(44)
	v_fmac_f64_e32 v[70:71], v[60:61], v[186:187]
	v_add_f64 v[74:75], v[74:75], v[70:71]
	v_mul_f64 v[70:71], v[246:247], v[76:77]
	v_fma_f64 v[246:247], v[244:245], v[88:89], -v[70:71]
	ds_read_b128 v[70:73], v254 offset:1504
	ds_read_b128 v[78:81], v254 offset:1536
	s_waitcnt lgkmcnt(3)
	v_mul_f64 v[94:95], v[62:63], v[162:163]
	v_fmac_f64_e32 v[94:95], v[64:65], v[166:167]
	s_waitcnt vmcnt(38) lgkmcnt(2)
	v_mul_f64 v[76:77], v[66:67], v[188:189]
	v_add_f64 v[74:75], v[74:75], v[94:95]
	s_waitcnt vmcnt(36)
	v_fmac_f64_e32 v[76:77], v[68:69], v[190:191]
	v_add_f64 v[74:75], v[74:75], v[76:77]
	s_waitcnt lgkmcnt(1)
	v_mul_f64 v[76:77], v[70:71], v[170:171]
	v_fmac_f64_e32 v[76:77], v[72:73], v[174:175]
	v_add_f64 v[88:89], v[74:75], v[76:77]
	ds_read_b128 v[74:77], v254 offset:1520
	ds_read_b128 v[82:85], v254 offset:1552
	v_mul_f64 v[92:93], v[92:93], v[96:97]
	v_fma_f64 v[238:239], v[90:91], v[102:103], -v[92:93]
	ds_read_b128 v[98:101], v254 offset:1600
	v_mul_f64 v[96:97], v[120:121], v[108:109]
	v_fma_f64 v[232:233], v[118:119], v[232:233], -v[96:97]
	v_mul_f64 v[102:103], v[226:227], v[104:105]
	v_fma_f64 v[118:119], v[224:225], v[106:107], -v[102:103]
	ds_read_b128 v[102:105], v254 offset:1632
	v_add_f64 v[6:7], v[6:7], 0
	v_add_f64 v[4:5], v[6:7], v[4:5]
	;; [unrolled: 1-line block ×10, first 2 shown]
	ds_read_b128 v[90:93], v254 offset:1584
	v_mul_f64 v[4:5], v[124:125], v[136:137]
	v_fma_f64 v[4:5], v[122:123], v[140:141], -v[4:5]
	v_accvgpr_read_b32 v6, a162
	v_accvgpr_read_b32 v7, a163
	s_waitcnt vmcnt(34) lgkmcnt(4)
	v_mul_f64 v[94:95], v[74:75], v[8:9]
	s_waitcnt vmcnt(32)
	v_fmac_f64_e32 v[94:95], v[76:77], v[126:127]
	s_waitcnt vmcnt(29)
	v_mul_f64 v[0:1], v[78:79], v[198:199]
	v_add_f64 v[88:89], v[88:89], v[94:95]
	s_waitcnt vmcnt(28)
	v_fmac_f64_e32 v[0:1], v[80:81], v[200:201]
	v_add_f64 v[0:1], v[88:89], v[0:1]
	ds_read_b128 v[86:89], v254 offset:1568
	s_waitcnt vmcnt(25) lgkmcnt(4)
	v_mul_f64 v[94:95], v[82:83], v[202:203]
	s_waitcnt vmcnt(23)
	v_fmac_f64_e32 v[94:95], v[84:85], v[208:209]
	v_add_f64 v[0:1], v[0:1], v[94:95]
	s_waitcnt vmcnt(22) lgkmcnt(0)
	v_mul_f64 v[94:95], v[86:87], v[196:197]
	s_waitcnt vmcnt(20)
	v_fmac_f64_e32 v[94:95], v[88:89], v[206:207]
	v_add_f64 v[0:1], v[0:1], v[94:95]
	s_waitcnt vmcnt(18)
	v_mul_f64 v[94:95], v[90:91], v[204:205]
	s_waitcnt vmcnt(16)
	v_fmac_f64_e32 v[94:95], v[92:93], v[210:211]
	v_add_f64 v[0:1], v[0:1], v[94:95]
	ds_read_b128 v[94:97], v254 offset:1616
	s_waitcnt vmcnt(13)
	v_mul_f64 v[106:107], v[98:99], v[214:215]
	s_waitcnt vmcnt(12)
	v_fmac_f64_e32 v[106:107], v[100:101], v[216:217]
	v_add_f64 v[0:1], v[0:1], v[106:107]
	s_waitcnt vmcnt(9) lgkmcnt(0)
	v_mul_f64 v[106:107], v[94:95], v[228:229]
	s_waitcnt vmcnt(7)
	v_fmac_f64_e32 v[106:107], v[96:97], v[230:231]
	v_add_f64 v[0:1], v[0:1], v[106:107]
	s_waitcnt vmcnt(5)
	v_mul_f64 v[106:107], v[102:103], v[212:213]
	s_waitcnt vmcnt(4)
	v_fmac_f64_e32 v[106:107], v[104:105], v[218:219]
	v_add_f64 v[0:1], v[0:1], v[106:107]
	ds_read_b128 v[106:109], v254 offset:1648
	s_waitcnt vmcnt(2) lgkmcnt(0)
	v_mul_f64 v[114:115], v[106:107], v[220:221]
	s_waitcnt vmcnt(0)
	v_fmac_f64_e32 v[114:115], v[108:109], v[234:235]
	v_add_f64 v[114:115], v[0:1], v[114:115]
	buffer_load_dword v0, off, s[0:3], 0 offset:840
	buffer_load_dword v1, off, s[0:3], 0 offset:844
	;; [unrolled: 1-line block ×4, first 2 shown]
	ds_read_b128 v[222:225], v254 offset:1664
	buffer_load_dword v243, off, s[0:3], 0 offset:860
	buffer_load_dword v242, off, s[0:3], 0 offset:856
	;; [unrolled: 1-line block ×4, first 2 shown]
	s_waitcnt vmcnt(6) lgkmcnt(0)
	v_mul_f64 v[116:117], v[222:223], v[0:1]
	v_mul_f64 v[0:1], v[224:225], v[0:1]
	s_waitcnt vmcnt(4)
	v_fmac_f64_e32 v[116:117], v[224:225], v[226:227]
	v_add_f64 v[120:121], v[114:115], v[116:117]
	ds_read_b128 v[114:117], v254 offset:1680
	buffer_load_dword v248, off, s[0:3], 0 offset:176
	buffer_load_dword v249, off, s[0:3], 0 offset:180
	;; [unrolled: 1-line block ×4, first 2 shown]
	v_fma_f64 v[0:1], v[222:223], v[226:227], -v[0:1]
	s_waitcnt vmcnt(6) lgkmcnt(0)
	v_mul_f64 v[254:255], v[114:115], v[242:243]
	s_waitcnt vmcnt(4)
	v_fmac_f64_e32 v[254:255], v[116:117], v[244:245]
	v_add_f64 v[120:121], v[120:121], v[254:255]
	v_add_f64 v[254:255], v[2:3], v[238:239]
	;; [unrolled: 1-line block ×5, first 2 shown]
	v_accvgpr_read_b32 v4, a160
	v_accvgpr_read_b32 v5, a161
	v_mul_f64 v[4:5], v[194:195], v[4:5]
	v_fma_f64 v[4:5], v[192:193], v[6:7], -v[4:5]
	v_add_f64 v[2:3], v[2:3], v[4:5]
	v_mul_f64 v[4:5], v[12:13], v[144:145]
	v_fma_f64 v[4:5], v[10:11], v[148:149], -v[4:5]
	v_add_f64 v[2:3], v[2:3], v[4:5]
	v_accvgpr_read_b32 v4, a164
	v_accvgpr_read_b32 v5, a165
	v_mul_f64 v[4:5], v[16:17], v[4:5]
	v_fma_f64 v[4:5], v[14:15], v[252:253], -v[4:5]
	v_add_f64 v[2:3], v[2:3], v[4:5]
	v_mul_f64 v[4:5], v[20:21], v[152:153]
	v_fma_f64 v[4:5], v[18:19], v[156:157], -v[4:5]
	v_add_f64 v[2:3], v[2:3], v[4:5]
	;; [unrolled: 3-line block ×24, first 2 shown]
	v_add_f64 v[0:1], v[2:3], v[0:1]
	v_mul_f64 v[2:3], v[116:117], v[242:243]
	v_fma_f64 v[2:3], v[114:115], v[244:245], -v[2:3]
	v_add_f64 v[0:1], v[0:1], v[2:3]
	v_accvgpr_read_b32 v255, a158
	s_waitcnt vmcnt(2)
	v_add_f64 v[0:1], v[248:249], -v[0:1]
	v_cmp_lt_u32_e32 vcc, 9, v255
	s_waitcnt vmcnt(0)
	v_add_f64 v[2:3], v[246:247], -v[120:121]
	buffer_store_dword v1, off, s[0:3], 0 offset:180
	buffer_store_dword v0, off, s[0:3], 0 offset:176
	;; [unrolled: 1-line block ×4, first 2 shown]
	s_and_saveexec_b64 s[4:5], vcc
	s_cbranch_execz .LBB52_313
; %bb.312:
	v_accvgpr_read_b32 v0, a149
	buffer_load_dword v2, v0, s[0:3], 0 offen
	buffer_load_dword v3, v0, s[0:3], 0 offen offset:4
	buffer_load_dword v4, v0, s[0:3], 0 offen offset:8
	;; [unrolled: 1-line block ×3, first 2 shown]
	v_mov_b32_e32 v0, 0
	v_accvgpr_read_b32 v1, a159
	buffer_store_dword v0, off, s[0:3], 0 offset:160
	buffer_store_dword v0, off, s[0:3], 0 offset:164
	;; [unrolled: 1-line block ×4, first 2 shown]
	s_waitcnt vmcnt(4)
	ds_write_b128 v1, v[2:5]
.LBB52_313:
	s_or_b64 exec, exec, s[4:5]
	s_waitcnt lgkmcnt(0)
	; wave barrier
	s_waitcnt lgkmcnt(0)
	buffer_load_dword v50, off, s[0:3], 0 offset:176
	buffer_load_dword v51, off, s[0:3], 0 offset:180
	;; [unrolled: 1-line block ×54, first 2 shown]
	v_mov_b32_e32 v254, 0
	ds_read_b128 v[102:105], v254 offset:1008
	ds_read_b128 v[106:109], v254 offset:1024
	;; [unrolled: 1-line block ×9, first 2 shown]
	v_cmp_lt_u32_e32 vcc, 8, v255
	s_waitcnt vmcnt(46) lgkmcnt(7)
	v_mul_f64 v[2:3], v[106:107], v[58:59]
	v_fmac_f64_e32 v[2:3], v[108:109], v[52:53]
	s_waitcnt vmcnt(44) lgkmcnt(6)
	v_mul_f64 v[4:5], v[110:111], v[204:205]
	s_waitcnt vmcnt(42) lgkmcnt(4)
	v_mul_f64 v[8:9], v[208:209], v[212:213]
	s_waitcnt vmcnt(40)
	v_fmac_f64_e32 v[8:9], v[210:211], v[60:61]
	s_waitcnt vmcnt(38)
	v_mul_f64 v[6:7], v[114:115], v[64:65]
	s_waitcnt vmcnt(36) lgkmcnt(2)
	v_mul_f64 v[12:13], v[220:221], v[66:67]
	v_mul_f64 v[66:67], v[222:223], v[66:67]
	s_waitcnt vmcnt(34)
	v_fmac_f64_e32 v[12:13], v[222:223], v[70:71]
	s_waitcnt vmcnt(32)
	v_mul_f64 v[10:11], v[216:217], v[76:77]
	s_waitcnt vmcnt(30) lgkmcnt(1)
	v_mul_f64 v[14:15], v[232:233], v[68:69]
	s_waitcnt vmcnt(28)
	v_fmac_f64_e32 v[4:5], v[112:113], v[82:83]
	s_waitcnt vmcnt(26)
	v_fmac_f64_e32 v[6:7], v[116:117], v[80:81]
	;; [unrolled: 2-line block ×4, first 2 shown]
	s_waitcnt vmcnt(0)
	v_pk_mov_b32 v[16:17], v[0:1], v[0:1] op_sel:[0,1]
	v_mul_f64 v[0:1], v[102:103], v[200:201]
	v_fmac_f64_e32 v[0:1], v[104:105], v[50:51]
	v_add_f64 v[0:1], v[0:1], 0
	v_add_f64 v[0:1], v[0:1], v[2:3]
	buffer_load_dword v3, off, s[0:3], 0 offset:404
	buffer_load_dword v2, off, s[0:3], 0 offset:400
	v_add_f64 v[0:1], v[0:1], v[4:5]
	v_add_f64 v[0:1], v[0:1], v[6:7]
	;; [unrolled: 1-line block ×6, first 2 shown]
	v_accvgpr_write_b32 a161, v17
	v_accvgpr_write_b32 a160, v16
	v_mul_f64 v[104:105], v[104:105], v[200:201]
	s_waitcnt vmcnt(0)
	v_pk_mov_b32 v[4:5], v[2:3], v[2:3] op_sel:[0,1]
	buffer_load_dword v181, off, s[0:3], 0 offset:396
	buffer_load_dword v180, off, s[0:3], 0 offset:392
	buffer_load_dword v63, off, s[0:3], 0 offset:388
	buffer_load_dword v62, off, s[0:3], 0 offset:384
	buffer_load_dword v3, off, s[0:3], 0 offset:444
	buffer_load_dword v2, off, s[0:3], 0 offset:440
	v_accvgpr_write_b32 a163, v5
	v_accvgpr_write_b32 a162, v4
	s_waitcnt vmcnt(0)
	v_pk_mov_b32 v[8:9], v[2:3], v[2:3] op_sel:[0,1]
	buffer_load_dword v3, off, s[0:3], 0 offset:436
	buffer_load_dword v2, off, s[0:3], 0 offset:432
	v_accvgpr_write_b32 a165, v9
	v_accvgpr_write_b32 a164, v8
	s_waitcnt vmcnt(0)
	v_pk_mov_b32 v[20:21], v[2:3], v[2:3] op_sel:[0,1]
	buffer_load_dword v141, off, s[0:3], 0 offset:428
	buffer_load_dword v140, off, s[0:3], 0 offset:424
	;; [unrolled: 1-line block ×52, first 2 shown]
	ds_read_b128 v[240:243], v254 offset:1152
	ds_read_b128 v[244:247], v254 offset:1168
	;; [unrolled: 1-line block ×7, first 2 shown]
	v_accvgpr_write_b32 a167, v21
	v_accvgpr_write_b32 a166, v20
	s_waitcnt lgkmcnt(2)
	v_mul_f64 v[6:7], v[54:55], v[180:181]
	v_fmac_f64_e32 v[6:7], v[56:57], v[62:63]
	s_waitcnt lgkmcnt(1)
	v_mul_f64 v[10:11], v[124:125], v[16:17]
	v_fmac_f64_e32 v[10:11], v[126:127], v[4:5]
	v_mul_f64 v[56:57], v[56:57], v[180:181]
	s_waitcnt vmcnt(46)
	v_pk_mov_b32 v[28:29], v[2:3], v[2:3] op_sel:[0,1]
	v_mul_f64 v[2:3], v[236:237], v[74:75]
	v_fmac_f64_e32 v[2:3], v[238:239], v[84:85]
	v_add_f64 v[0:1], v[0:1], v[2:3]
	v_mul_f64 v[2:3], v[240:241], v[90:91]
	v_fmac_f64_e32 v[2:3], v[242:243], v[92:93]
	v_add_f64 v[0:1], v[0:1], v[2:3]
	;; [unrolled: 3-line block ×5, first 2 shown]
	v_add_f64 v[0:1], v[0:1], v[6:7]
	v_add_f64 v[0:1], v[0:1], v[10:11]
	ds_read_b128 v[10:13], v254 offset:1264
	s_waitcnt lgkmcnt(1)
	v_mul_f64 v[14:15], v[128:129], v[140:141]
	v_fmac_f64_e32 v[14:15], v[130:131], v[144:145]
	v_add_f64 v[0:1], v[0:1], v[14:15]
	ds_read_b128 v[14:17], v254 offset:1280
	s_waitcnt lgkmcnt(1)
	v_mul_f64 v[18:19], v[10:11], v[8:9]
	v_fmac_f64_e32 v[18:19], v[12:13], v[20:21]
	v_add_f64 v[0:1], v[0:1], v[18:19]
	ds_read_b128 v[18:21], v254 offset:1296
	s_waitcnt vmcnt(42) lgkmcnt(1)
	v_mul_f64 v[22:23], v[14:15], v[148:149]
	s_waitcnt vmcnt(40)
	v_fmac_f64_e32 v[22:23], v[16:17], v[152:153]
	v_add_f64 v[0:1], v[0:1], v[22:23]
	ds_read_b128 v[22:25], v254 offset:1312
	s_waitcnt lgkmcnt(1)
	v_mul_f64 v[26:27], v[18:19], v[28:29]
	v_accvgpr_write_b32 a169, v29
	v_fmac_f64_e32 v[26:27], v[20:21], v[252:253]
	v_accvgpr_write_b32 a168, v28
	v_add_f64 v[0:1], v[0:1], v[26:27]
	ds_read_b128 v[26:29], v254 offset:1328
	s_waitcnt vmcnt(34) lgkmcnt(1)
	v_mul_f64 v[30:31], v[22:23], v[156:157]
	s_waitcnt vmcnt(32)
	v_fmac_f64_e32 v[30:31], v[24:25], v[160:161]
	v_add_f64 v[0:1], v[0:1], v[30:31]
	ds_read_b128 v[30:33], v254 offset:1344
	s_waitcnt lgkmcnt(1)
	v_mul_f64 v[34:35], v[26:27], v[132:133]
	v_fmac_f64_e32 v[34:35], v[28:29], v[134:135]
	v_add_f64 v[0:1], v[0:1], v[34:35]
	ds_read_b128 v[34:37], v254 offset:1360
	s_waitcnt vmcnt(26) lgkmcnt(1)
	v_mul_f64 v[38:39], v[30:31], v[164:165]
	s_waitcnt vmcnt(24)
	v_fmac_f64_e32 v[38:39], v[32:33], v[166:167]
	v_add_f64 v[0:1], v[0:1], v[38:39]
	ds_read_b128 v[38:41], v254 offset:1376
	s_waitcnt lgkmcnt(1)
	v_mul_f64 v[42:43], v[34:35], v[136:137]
	v_fmac_f64_e32 v[42:43], v[36:37], v[138:139]
	v_add_f64 v[46:47], v[0:1], v[42:43]
	ds_read_b128 v[42:45], v254 offset:1392
	buffer_load_dword v123, off, s[0:3], 0 offset:668
	buffer_load_dword v183, off, s[0:3], 0 offset:652
	;; [unrolled: 1-line block ×8, first 2 shown]
	s_waitcnt vmcnt(26) lgkmcnt(1)
	v_mul_f64 v[48:49], v[38:39], v[168:169]
	s_waitcnt vmcnt(24)
	v_fmac_f64_e32 v[48:49], v[40:41], v[170:171]
	v_add_f64 v[192:193], v[46:47], v[48:49]
	ds_read_b128 v[46:49], v254 offset:1408
	buffer_load_dword v189, off, s[0:3], 0 offset:684
	buffer_load_dword v188, off, s[0:3], 0 offset:680
	;; [unrolled: 1-line block ×4, first 2 shown]
	s_waitcnt lgkmcnt(1)
	v_mul_f64 v[194:195], v[42:43], v[142:143]
	v_fmac_f64_e32 v[194:195], v[44:45], v[146:147]
	v_add_f64 v[0:1], v[192:193], v[194:195]
	buffer_load_dword v193, off, s[0:3], 0 offset:700
	buffer_load_dword v192, off, s[0:3], 0 offset:696
	buffer_load_dword v197, off, s[0:3], 0 offset:692
	buffer_load_dword v196, off, s[0:3], 0 offset:688
	buffer_load_dword v195, off, s[0:3], 0 offset:716
	buffer_load_dword v194, off, s[0:3], 0 offset:712
	buffer_load_dword v199, off, s[0:3], 0 offset:708
	buffer_load_dword v198, off, s[0:3], 0 offset:704
	buffer_load_dword v200, off, s[0:3], 0 offset:728
	buffer_load_dword v202, off, s[0:3], 0 offset:720
	buffer_load_dword v201, off, s[0:3], 0 offset:732
	buffer_load_dword v203, off, s[0:3], 0 offset:724
	v_fma_f64 v[8:9], v[102:103], v[50:51], -v[104:105]
	v_mul_f64 v[50:51], v[108:109], v[58:59]
	v_fma_f64 v[214:215], v[106:107], v[52:53], -v[50:51]
	v_mul_f64 v[50:51], v[112:113], v[204:205]
	v_fma_f64 v[102:103], v[110:111], v[82:83], -v[50:51]
	buffer_load_dword v205, off, s[0:3], 0 offset:748
	buffer_load_dword v204, off, s[0:3], 0 offset:744
	;; [unrolled: 1-line block ×4, first 2 shown]
	v_mul_f64 v[50:51], v[116:117], v[64:65]
	v_fma_f64 v[104:105], v[114:115], v[80:81], -v[50:51]
	v_mul_f64 v[50:51], v[210:211], v[212:213]
	buffer_load_dword v211, off, s[0:3], 0 offset:764
	buffer_load_dword v210, off, s[0:3], 0 offset:760
	buffer_load_dword v213, off, s[0:3], 0 offset:756
	buffer_load_dword v212, off, s[0:3], 0 offset:752
	v_fma_f64 v[6:7], v[208:209], v[60:61], -v[50:51]
	buffer_load_dword v209, off, s[0:3], 0 offset:796
	buffer_load_dword v65, off, s[0:3], 0 offset:780
	buffer_load_dword v64, off, s[0:3], 0 offset:776
	buffer_load_dword v229, off, s[0:3], 0 offset:772
	buffer_load_dword v228, off, s[0:3], 0 offset:768
	buffer_load_dword v208, off, s[0:3], 0 offset:792
	buffer_load_dword v227, off, s[0:3], 0 offset:788
	buffer_load_dword v226, off, s[0:3], 0 offset:784
	buffer_load_dword v225, off, s[0:3], 0 offset:812
	buffer_load_dword v224, off, s[0:3], 0 offset:808
	buffer_load_dword v231, off, s[0:3], 0 offset:804
	buffer_load_dword v230, off, s[0:3], 0 offset:800
	ds_read_b128 v[50:53], v254 offset:1424
	v_mul_f64 v[60:61], v[218:219], v[76:77]
	v_fma_f64 v[4:5], v[216:217], v[78:79], -v[60:61]
	ds_read_b128 v[216:219], v254 offset:1440
	s_waitcnt vmcnt(54) lgkmcnt(2)
	v_mul_f64 v[58:59], v[46:47], v[172:173]
	s_waitcnt vmcnt(52)
	v_fmac_f64_e32 v[58:59], v[48:49], v[174:175]
	v_add_f64 v[0:1], v[0:1], v[58:59]
	s_waitcnt lgkmcnt(1)
	v_mul_f64 v[58:59], v[50:51], v[150:151]
	v_fmac_f64_e32 v[58:59], v[52:53], v[154:155]
	v_add_f64 v[0:1], v[0:1], v[58:59]
	s_waitcnt vmcnt(46) lgkmcnt(0)
	v_mul_f64 v[58:59], v[216:217], v[176:177]
	s_waitcnt vmcnt(44)
	v_fmac_f64_e32 v[58:59], v[218:219], v[178:179]
	v_add_f64 v[0:1], v[0:1], v[58:59]
	ds_read_b128 v[58:61], v254 offset:1456
	v_fma_f64 v[2:3], v[220:221], v[70:71], -v[66:67]
	ds_read_b128 v[220:223], v254 offset:1472
	v_mul_f64 v[66:67], v[234:235], v[68:69]
	v_fma_f64 v[232:233], v[232:233], v[72:73], -v[66:67]
	ds_read_b128 v[66:69], v254 offset:1488
	s_waitcnt lgkmcnt(2)
	v_mul_f64 v[70:71], v[58:59], v[158:159]
	v_fmac_f64_e32 v[70:71], v[60:61], v[162:163]
	v_add_f64 v[0:1], v[0:1], v[70:71]
	v_mul_f64 v[74:75], v[238:239], v[74:75]
	v_fma_f64 v[234:235], v[236:237], v[84:85], -v[74:75]
	ds_read_b128 v[74:77], v254 offset:1520
	v_mul_f64 v[78:79], v[242:243], v[90:91]
	v_fma_f64 v[240:241], v[240:241], v[92:93], -v[78:79]
	v_mul_f64 v[86:87], v[246:247], v[86:87]
	v_fma_f64 v[246:247], v[244:245], v[88:89], -v[86:87]
	;; [unrolled: 2-line block ×3, first 2 shown]
	v_add_f64 v[8:9], v[8:9], 0
	v_add_f64 v[8:9], v[8:9], v[214:215]
	;; [unrolled: 1-line block ×5, first 2 shown]
	ds_read_b128 v[78:81], v254 offset:1536
	v_add_f64 v[4:5], v[6:7], v[4:5]
	v_add_f64 v[2:3], v[4:5], v[2:3]
	;; [unrolled: 1-line block ×6, first 2 shown]
	v_accvgpr_read_b32 v4, a160
	v_accvgpr_read_b32 v5, a161
	;; [unrolled: 1-line block ×3, first 2 shown]
	v_mul_f64 v[4:5], v[126:127], v[4:5]
	ds_read_b128 v[86:89], v254 offset:1568
	v_accvgpr_read_b32 v7, a163
	v_fma_f64 v[4:5], v[124:125], v[6:7], -v[4:5]
	v_accvgpr_read_b32 v6, a166
	s_waitcnt vmcnt(41) lgkmcnt(4)
	v_mul_f64 v[70:71], v[220:221], v[182:183]
	v_accvgpr_read_b32 v7, a167
	s_waitcnt vmcnt(39)
	v_fmac_f64_e32 v[70:71], v[222:223], v[186:187]
	v_add_f64 v[0:1], v[0:1], v[70:71]
	s_waitcnt vmcnt(38) lgkmcnt(3)
	v_mul_f64 v[70:71], v[66:67], v[122:123]
	s_waitcnt vmcnt(36)
	v_fmac_f64_e32 v[70:71], v[68:69], v[184:185]
	v_add_f64 v[0:1], v[0:1], v[70:71]
	ds_read_b128 v[70:73], v254 offset:1504
	ds_read_b128 v[94:97], v254 offset:1600
	s_waitcnt vmcnt(34) lgkmcnt(1)
	v_mul_f64 v[82:83], v[70:71], v[188:189]
	s_waitcnt vmcnt(32)
	v_fmac_f64_e32 v[82:83], v[72:73], v[190:191]
	v_add_f64 v[0:1], v[0:1], v[82:83]
	s_waitcnt vmcnt(30)
	v_mul_f64 v[82:83], v[74:75], v[192:193]
	s_waitcnt vmcnt(28)
	v_fmac_f64_e32 v[82:83], v[76:77], v[196:197]
	v_add_f64 v[0:1], v[0:1], v[82:83]
	s_waitcnt vmcnt(26)
	v_mul_f64 v[82:83], v[78:79], v[194:195]
	s_waitcnt vmcnt(24)
	v_fmac_f64_e32 v[82:83], v[80:81], v[198:199]
	v_add_f64 v[0:1], v[0:1], v[82:83]
	ds_read_b128 v[82:85], v254 offset:1552
	s_waitcnt vmcnt(21) lgkmcnt(0)
	v_mul_f64 v[90:91], v[82:83], v[200:201]
	s_waitcnt vmcnt(20)
	v_fmac_f64_e32 v[90:91], v[84:85], v[202:203]
	v_add_f64 v[106:107], v[0:1], v[90:91]
	v_mul_f64 v[90:91], v[250:251], v[98:99]
	v_fma_f64 v[248:249], v[248:249], v[100:101], -v[90:91]
	ds_read_b128 v[90:93], v254 offset:1584
	s_waitcnt vmcnt(18)
	v_mul_f64 v[98:99], v[86:87], v[204:205]
	s_waitcnt vmcnt(16)
	v_fmac_f64_e32 v[98:99], v[88:89], v[206:207]
	v_add_f64 v[98:99], v[106:107], v[98:99]
	v_fma_f64 v[250:251], v[54:55], v[62:63], -v[56:57]
	s_waitcnt vmcnt(14) lgkmcnt(0)
	v_mul_f64 v[100:101], v[90:91], v[210:211]
	s_waitcnt vmcnt(12)
	v_fmac_f64_e32 v[100:101], v[92:93], v[212:213]
	v_add_f64 v[106:107], v[98:99], v[100:101]
	ds_read_b128 v[98:101], v254 offset:1616
	ds_read_b128 v[54:57], v254 offset:1632
	s_waitcnt vmcnt(9)
	v_mul_f64 v[62:63], v[94:95], v[64:65]
	s_waitcnt vmcnt(7)
	v_fmac_f64_e32 v[62:63], v[96:97], v[228:229]
	v_add_f64 v[62:63], v[106:107], v[62:63]
	s_waitcnt vmcnt(6) lgkmcnt(1)
	v_mul_f64 v[106:107], v[98:99], v[208:209]
	s_waitcnt vmcnt(4)
	v_fmac_f64_e32 v[106:107], v[100:101], v[226:227]
	v_add_f64 v[62:63], v[62:63], v[106:107]
	s_waitcnt vmcnt(2) lgkmcnt(0)
	v_mul_f64 v[106:107], v[54:55], v[224:225]
	buffer_load_dword v0, off, s[0:3], 0 offset:824
	s_waitcnt vmcnt(1)
	v_fmac_f64_e32 v[106:107], v[56:57], v[230:231]
	v_add_f64 v[110:111], v[62:63], v[106:107]
	buffer_load_dword v62, off, s[0:3], 0 offset:816
	buffer_load_dword v1, off, s[0:3], 0 offset:828
	;; [unrolled: 1-line block ×3, first 2 shown]
	ds_read_b128 v[106:109], v254 offset:1648
	buffer_load_dword v237, off, s[0:3], 0 offset:844
	buffer_load_dword v236, off, s[0:3], 0 offset:840
	buffer_load_dword v239, off, s[0:3], 0 offset:836
	buffer_load_dword v238, off, s[0:3], 0 offset:832
	v_add_f64 v[2:3], v[2:3], v[248:249]
	v_add_f64 v[118:119], v[2:3], v[118:119]
	;; [unrolled: 1-line block ×4, first 2 shown]
	v_mul_f64 v[4:5], v[130:131], v[140:141]
	v_fma_f64 v[4:5], v[128:129], v[144:145], -v[4:5]
	v_add_f64 v[2:3], v[2:3], v[4:5]
	v_accvgpr_read_b32 v4, a164
	v_accvgpr_read_b32 v5, a165
	v_mul_f64 v[4:5], v[12:13], v[4:5]
	v_fma_f64 v[4:5], v[10:11], v[6:7], -v[4:5]
	v_add_f64 v[2:3], v[2:3], v[4:5]
	v_mul_f64 v[4:5], v[16:17], v[148:149]
	v_fma_f64 v[4:5], v[14:15], v[152:153], -v[4:5]
	v_add_f64 v[2:3], v[2:3], v[4:5]
	v_accvgpr_read_b32 v4, a168
	v_accvgpr_read_b32 v5, a169
	v_mul_f64 v[4:5], v[20:21], v[4:5]
	v_fma_f64 v[4:5], v[18:19], v[252:253], -v[4:5]
	v_add_f64 v[2:3], v[2:3], v[4:5]
	v_mul_f64 v[4:5], v[24:25], v[156:157]
	v_fma_f64 v[4:5], v[22:23], v[160:161], -v[4:5]
	v_add_f64 v[2:3], v[2:3], v[4:5]
	;; [unrolled: 3-line block ×19, first 2 shown]
	v_mul_f64 v[4:5], v[96:97], v[64:65]
	v_fma_f64 v[4:5], v[94:95], v[228:229], -v[4:5]
	s_waitcnt vmcnt(5) lgkmcnt(0)
	v_mul_f64 v[112:113], v[106:107], v[0:1]
	s_waitcnt vmcnt(4)
	v_fmac_f64_e32 v[112:113], v[108:109], v[62:63]
	v_add_f64 v[114:115], v[110:111], v[112:113]
	ds_read_b128 v[110:113], v254 offset:1664
	buffer_load_dword v242, off, s[0:3], 0 offset:856
	buffer_load_dword v243, off, s[0:3], 0 offset:860
	;; [unrolled: 1-line block ×4, first 2 shown]
	v_add_f64 v[2:3], v[2:3], v[4:5]
	v_mul_f64 v[4:5], v[100:101], v[208:209]
	v_fma_f64 v[4:5], v[98:99], v[226:227], -v[4:5]
	s_waitcnt vmcnt(6) lgkmcnt(0)
	v_mul_f64 v[116:117], v[110:111], v[236:237]
	s_waitcnt vmcnt(4)
	v_fmac_f64_e32 v[116:117], v[112:113], v[238:239]
	v_add_f64 v[120:121], v[114:115], v[116:117]
	ds_read_b128 v[114:117], v254 offset:1680
	buffer_load_dword v248, off, s[0:3], 0 offset:160
	buffer_load_dword v249, off, s[0:3], 0 offset:164
	buffer_load_dword v246, off, s[0:3], 0 offset:168
	buffer_load_dword v247, off, s[0:3], 0 offset:172
	v_add_f64 v[2:3], v[2:3], v[4:5]
	v_mul_f64 v[4:5], v[56:57], v[224:225]
	v_fma_f64 v[4:5], v[54:55], v[230:231], -v[4:5]
	v_mul_f64 v[0:1], v[108:109], v[0:1]
	v_add_f64 v[2:3], v[2:3], v[4:5]
	v_fma_f64 v[0:1], v[106:107], v[62:63], -v[0:1]
	v_add_f64 v[0:1], v[2:3], v[0:1]
	v_mul_f64 v[2:3], v[112:113], v[236:237]
	v_fma_f64 v[2:3], v[110:111], v[238:239], -v[2:3]
	v_add_f64 v[0:1], v[0:1], v[2:3]
	s_waitcnt vmcnt(6) lgkmcnt(0)
	v_mul_f64 v[2:3], v[116:117], v[242:243]
	v_mul_f64 v[180:181], v[114:115], v[242:243]
	s_waitcnt vmcnt(4)
	v_fma_f64 v[2:3], v[114:115], v[244:245], -v[2:3]
	v_fmac_f64_e32 v[180:181], v[116:117], v[244:245]
	v_add_f64 v[0:1], v[0:1], v[2:3]
	v_add_f64 v[120:121], v[120:121], v[180:181]
	s_waitcnt vmcnt(2)
	v_add_f64 v[0:1], v[248:249], -v[0:1]
	s_waitcnt vmcnt(0)
	v_add_f64 v[2:3], v[246:247], -v[120:121]
	buffer_store_dword v1, off, s[0:3], 0 offset:164
	buffer_store_dword v0, off, s[0:3], 0 offset:160
	buffer_store_dword v3, off, s[0:3], 0 offset:172
	buffer_store_dword v2, off, s[0:3], 0 offset:168
	s_and_saveexec_b64 s[4:5], vcc
	s_cbranch_execz .LBB52_315
; %bb.314:
	v_accvgpr_read_b32 v0, a150
	buffer_load_dword v2, v0, s[0:3], 0 offen
	buffer_load_dword v3, v0, s[0:3], 0 offen offset:4
	buffer_load_dword v4, v0, s[0:3], 0 offen offset:8
	;; [unrolled: 1-line block ×3, first 2 shown]
	v_accvgpr_read_b32 v0, a159
	buffer_store_dword v254, off, s[0:3], 0 offset:144
	buffer_store_dword v254, off, s[0:3], 0 offset:148
	;; [unrolled: 1-line block ×4, first 2 shown]
	s_waitcnt vmcnt(4)
	ds_write_b128 v0, v[2:5]
.LBB52_315:
	s_or_b64 exec, exec, s[4:5]
	s_waitcnt lgkmcnt(0)
	; wave barrier
	s_waitcnt lgkmcnt(0)
	buffer_load_dword v90, off, s[0:3], 0 offset:160
	buffer_load_dword v91, off, s[0:3], 0 offset:164
	;; [unrolled: 1-line block ×36, first 2 shown]
	ds_read_b128 v[82:85], v254 offset:992
	ds_read_b128 v[78:81], v254 offset:1008
	;; [unrolled: 1-line block ×9, first 2 shown]
	buffer_load_dword v235, off, s[0:3], 0 offset:332
	buffer_load_dword v234, off, s[0:3], 0 offset:328
	;; [unrolled: 1-line block ×19, first 2 shown]
	s_waitcnt vmcnt(51) lgkmcnt(8)
	v_mul_f64 v[0:1], v[82:83], v[92:93]
	v_fmac_f64_e32 v[0:1], v[84:85], v[90:91]
	v_add_f64 v[0:1], v[0:1], 0
	s_waitcnt vmcnt(47) lgkmcnt(7)
	v_mul_f64 v[2:3], v[78:79], v[94:95]
	v_fmac_f64_e32 v[2:3], v[80:81], v[196:197]
	s_waitcnt vmcnt(45) lgkmcnt(6)
	v_mul_f64 v[4:5], v[74:75], v[88:89]
	v_add_f64 v[0:1], v[0:1], v[2:3]
	s_waitcnt vmcnt(43) lgkmcnt(4)
	v_mul_f64 v[8:9], v[62:63], v[96:97]
	v_mul_f64 v[80:81], v[80:81], v[94:95]
	s_waitcnt vmcnt(41)
	v_fmac_f64_e32 v[8:9], v[64:65], v[98:99]
	v_fma_f64 v[202:203], v[78:79], v[196:197], -v[80:81]
	s_waitcnt vmcnt(39)
	v_mul_f64 v[6:7], v[70:71], v[100:101]
	v_mul_f64 v[64:65], v[64:65], v[96:97]
	s_waitcnt vmcnt(37) lgkmcnt(2)
	v_mul_f64 v[12:13], v[54:55], v[104:105]
	v_fma_f64 v[78:79], v[62:63], v[98:99], -v[64:65]
	s_waitcnt vmcnt(35)
	v_fmac_f64_e32 v[12:13], v[56:57], v[108:109]
	v_mul_f64 v[56:57], v[56:57], v[104:105]
	s_waitcnt vmcnt(33)
	v_mul_f64 v[10:11], v[50:51], v[112:113]
	s_waitcnt vmcnt(31) lgkmcnt(1)
	v_mul_f64 v[14:15], v[58:59], v[106:107]
	s_waitcnt vmcnt(29)
	v_fmac_f64_e32 v[4:5], v[76:77], v[200:201]
	v_add_f64 v[0:1], v[0:1], v[4:5]
	s_waitcnt vmcnt(27)
	v_fmac_f64_e32 v[6:7], v[72:73], v[116:117]
	v_add_f64 v[0:1], v[0:1], v[6:7]
	;; [unrolled: 3-line block ×3, first 2 shown]
	v_add_f64 v[0:1], v[0:1], v[10:11]
	v_add_f64 v[0:1], v[0:1], v[12:13]
	buffer_load_dword v244, off, s[0:3], 0 offset:384
	buffer_load_dword v13, off, s[0:3], 0 offset:380
	;; [unrolled: 1-line block ×7, first 2 shown]
	s_waitcnt vmcnt(30)
	v_fmac_f64_e32 v[14:15], v[60:61], v[110:111]
	v_add_f64 v[0:1], v[0:1], v[14:15]
	v_mul_f64 v[76:77], v[76:77], v[88:89]
	v_fma_f64 v[74:75], v[74:75], v[200:201], -v[76:77]
	v_mul_f64 v[52:53], v[52:53], v[112:113]
	v_fma_f64 v[80:81], v[50:51], v[114:115], -v[52:53]
	v_mul_f64 v[60:61], v[60:61], v[106:107]
	v_mul_f64 v[72:73], v[72:73], v[100:101]
	v_fma_f64 v[76:77], v[70:71], v[116:117], -v[72:73]
	s_waitcnt vmcnt(0)
	v_pk_mov_b32 v[18:19], v[2:3], v[2:3] op_sel:[0,1]
	buffer_load_dword v3, off, s[0:3], 0 offset:420
	buffer_load_dword v2, off, s[0:3], 0 offset:416
	v_accvgpr_write_b32 a163, v19
	v_accvgpr_write_b32 a162, v18
	s_waitcnt vmcnt(0)
	v_pk_mov_b32 v[20:21], v[2:3], v[2:3] op_sel:[0,1]
	buffer_load_dword v3, off, s[0:3], 0 offset:412
	buffer_load_dword v2, off, s[0:3], 0 offset:408
	v_accvgpr_write_b32 a165, v21
	v_accvgpr_write_b32 a164, v20
	s_waitcnt vmcnt(0)
	v_pk_mov_b32 v[22:23], v[2:3], v[2:3] op_sel:[0,1]
	buffer_load_dword v141, off, s[0:3], 0 offset:404
	buffer_load_dword v140, off, s[0:3], 0 offset:400
	buffer_load_dword v3, off, s[0:3], 0 offset:460
	buffer_load_dword v2, off, s[0:3], 0 offset:456
	v_accvgpr_write_b32 a161, v23
	v_accvgpr_write_b32 a160, v22
	s_waitcnt vmcnt(0)
	v_pk_mov_b32 v[26:27], v[2:3], v[2:3] op_sel:[0,1]
	buffer_load_dword v3, off, s[0:3], 0 offset:452
	buffer_load_dword v2, off, s[0:3], 0 offset:448
	v_accvgpr_write_b32 a167, v27
	v_accvgpr_write_b32 a166, v26
	s_waitcnt vmcnt(0)
	v_pk_mov_b32 v[28:29], v[2:3], v[2:3] op_sel:[0,1]
	buffer_load_dword v145, off, s[0:3], 0 offset:444
	buffer_load_dword v144, off, s[0:3], 0 offset:440
	;; [unrolled: 1-line block ×6, first 2 shown]
	v_accvgpr_write_b32 a169, v29
	v_accvgpr_write_b32 a168, v28
	s_waitcnt vmcnt(0)
	v_pk_mov_b32 v[34:35], v[2:3], v[2:3] op_sel:[0,1]
	buffer_load_dword v3, off, s[0:3], 0 offset:484
	buffer_load_dword v2, off, s[0:3], 0 offset:480
	v_accvgpr_write_b32 a171, v35
	v_accvgpr_write_b32 a170, v34
	s_waitcnt vmcnt(0)
	v_pk_mov_b32 v[36:37], v[2:3], v[2:3] op_sel:[0,1]
	buffer_load_dword v153, off, s[0:3], 0 offset:476
	buffer_load_dword v152, off, s[0:3], 0 offset:472
	;; [unrolled: 1-line block ×6, first 2 shown]
	v_accvgpr_write_b32 a173, v37
	v_accvgpr_write_b32 a172, v36
	s_waitcnt vmcnt(0)
	v_pk_mov_b32 v[42:43], v[2:3], v[2:3] op_sel:[0,1]
	buffer_load_dword v3, off, s[0:3], 0 offset:516
	buffer_load_dword v2, off, s[0:3], 0 offset:512
	;; [unrolled: 1-line block ×30, first 2 shown]
	ds_read_b128 v[216:219], v254 offset:1136
	ds_read_b128 v[220:223], v254 offset:1152
	;; [unrolled: 1-line block ×7, first 2 shown]
	v_accvgpr_write_b32 a175, v43
	v_accvgpr_write_b32 a174, v42
	s_waitcnt lgkmcnt(6)
	v_mul_f64 v[70:71], v[218:219], v[238:239]
	v_fma_f64 v[96:97], v[216:217], v[240:241], -v[70:71]
	s_waitcnt lgkmcnt(0)
	v_mul_f64 v[24:25], v[122:123], v[26:27]
	v_fmac_f64_e32 v[24:25], v[124:125], v[28:29]
	s_waitcnt vmcnt(28)
	v_pk_mov_b32 v[44:45], v[2:3], v[2:3] op_sel:[0,1]
	v_mul_f64 v[2:3], v[66:67], v[102:103]
	v_fmac_f64_e32 v[2:3], v[68:69], v[232:233]
	v_add_f64 v[0:1], v[0:1], v[2:3]
	v_mul_f64 v[2:3], v[216:217], v[238:239]
	v_fmac_f64_e32 v[2:3], v[218:219], v[240:241]
	v_add_f64 v[0:1], v[0:1], v[2:3]
	;; [unrolled: 3-line block ×3, first 2 shown]
	ds_read_b128 v[0:3], v254 offset:1184
	v_mul_f64 v[6:7], v[118:119], v[250:251]
	v_fmac_f64_e32 v[6:7], v[120:121], v[252:253]
	v_add_f64 v[8:9], v[4:5], v[6:7]
	ds_read_b128 v[4:7], v254 offset:1200
	s_waitcnt lgkmcnt(1)
	v_mul_f64 v[10:11], v[0:1], v[246:247]
	v_fmac_f64_e32 v[10:11], v[2:3], v[248:249]
	v_add_f64 v[14:15], v[8:9], v[10:11]
	ds_read_b128 v[8:11], v254 offset:1216
	s_waitcnt lgkmcnt(1)
	v_mul_f64 v[16:17], v[4:5], v[12:13]
	v_fmac_f64_e32 v[16:17], v[6:7], v[86:87]
	v_add_f64 v[14:15], v[14:15], v[16:17]
	v_accvgpr_write_b32 a177, v45
	s_waitcnt lgkmcnt(0)
	v_mul_f64 v[16:17], v[8:9], v[242:243]
	v_fmac_f64_e32 v[16:17], v[10:11], v[244:245]
	v_add_f64 v[14:15], v[14:15], v[16:17]
	v_mul_f64 v[16:17], v[134:135], v[22:23]
	v_fmac_f64_e32 v[16:17], v[136:137], v[140:141]
	v_add_f64 v[14:15], v[14:15], v[16:17]
	v_mul_f64 v[16:17], v[126:127], v[18:19]
	v_fmac_f64_e32 v[16:17], v[128:129], v[20:21]
	v_mul_f64 v[20:21], v[130:131], v[144:145]
	v_add_f64 v[18:19], v[14:15], v[16:17]
	v_fmac_f64_e32 v[20:21], v[132:133], v[148:149]
	v_add_f64 v[22:23], v[18:19], v[20:21]
	ds_read_b128 v[18:21], v254 offset:1296
	v_add_f64 v[26:27], v[22:23], v[24:25]
	ds_read_b128 v[22:25], v254 offset:1312
	v_accvgpr_write_b32 a176, v44
	v_mul_f64 v[16:17], v[84:85], v[92:93]
	s_waitcnt lgkmcnt(1)
	v_mul_f64 v[28:29], v[18:19], v[152:153]
	v_fmac_f64_e32 v[28:29], v[20:21], v[156:157]
	v_add_f64 v[30:31], v[26:27], v[28:29]
	ds_read_b128 v[26:29], v254 offset:1328
	s_waitcnt lgkmcnt(1)
	v_mul_f64 v[32:33], v[22:23], v[34:35]
	v_fmac_f64_e32 v[32:33], v[24:25], v[36:37]
	v_add_f64 v[34:35], v[30:31], v[32:33]
	ds_read_b128 v[30:33], v254 offset:1344
	s_waitcnt vmcnt(26) lgkmcnt(1)
	v_mul_f64 v[36:37], v[26:27], v[160:161]
	s_waitcnt vmcnt(24)
	v_fmac_f64_e32 v[36:37], v[28:29], v[162:163]
	v_add_f64 v[38:39], v[34:35], v[36:37]
	ds_read_b128 v[34:37], v254 offset:1360
	s_waitcnt lgkmcnt(1)
	v_mul_f64 v[40:41], v[30:31], v[42:43]
	v_fmac_f64_e32 v[40:41], v[32:33], v[44:45]
	v_add_f64 v[42:43], v[38:39], v[40:41]
	ds_read_b128 v[38:41], v254 offset:1376
	s_waitcnt vmcnt(18) lgkmcnt(1)
	v_mul_f64 v[44:45], v[34:35], v[164:165]
	s_waitcnt vmcnt(16)
	v_fmac_f64_e32 v[44:45], v[36:37], v[166:167]
	v_add_f64 v[46:47], v[42:43], v[44:45]
	ds_read_b128 v[42:45], v254 offset:1392
	buffer_load_dword v177, off, s[0:3], 0 offset:636
	buffer_load_dword v176, off, s[0:3], 0 offset:632
	;; [unrolled: 1-line block ×4, first 2 shown]
	s_waitcnt lgkmcnt(1)
	v_mul_f64 v[48:49], v[38:39], v[138:139]
	v_fmac_f64_e32 v[48:49], v[40:41], v[142:143]
	v_add_f64 v[180:181], v[46:47], v[48:49]
	ds_read_b128 v[46:49], v254 offset:1408
	buffer_load_dword v183, off, s[0:3], 0 offset:652
	buffer_load_dword v182, off, s[0:3], 0 offset:648
	;; [unrolled: 1-line block ×4, first 2 shown]
	s_waitcnt vmcnt(18) lgkmcnt(1)
	v_mul_f64 v[186:187], v[42:43], v[168:169]
	s_waitcnt vmcnt(16)
	v_fmac_f64_e32 v[186:187], v[44:45], v[170:171]
	v_add_f64 v[14:15], v[180:181], v[186:187]
	buffer_load_dword v181, off, s[0:3], 0 offset:684
	buffer_load_dword v189, off, s[0:3], 0 offset:668
	;; [unrolled: 1-line block ×28, first 2 shown]
	s_waitcnt lgkmcnt(0)
	v_mul_f64 v[50:51], v[46:47], v[146:147]
	v_fmac_f64_e32 v[50:51], v[48:49], v[150:151]
	buffer_load_dword v215, off, s[0:3], 0 offset:780
	buffer_load_dword v214, off, s[0:3], 0 offset:776
	;; [unrolled: 1-line block ×12, first 2 shown]
	v_add_f64 v[14:15], v[14:15], v[50:51]
	ds_read_b128 v[50:53], v254 offset:1424
	v_fma_f64 v[16:17], v[82:83], v[90:91], -v[16:17]
	v_fma_f64 v[90:91], v[54:55], v[108:109], -v[56:57]
	ds_read_b128 v[54:57], v254 offset:1440
	v_fma_f64 v[92:93], v[58:59], v[110:111], -v[60:61]
	ds_read_b128 v[58:61], v254 offset:1456
	s_waitcnt vmcnt(50) lgkmcnt(2)
	v_mul_f64 v[62:63], v[50:51], v[172:173]
	s_waitcnt vmcnt(48)
	v_fmac_f64_e32 v[62:63], v[52:53], v[174:175]
	v_add_f64 v[14:15], v[14:15], v[62:63]
	s_waitcnt lgkmcnt(1)
	v_mul_f64 v[62:63], v[54:55], v[154:155]
	v_fmac_f64_e32 v[62:63], v[56:57], v[158:159]
	v_mul_f64 v[68:69], v[68:69], v[102:103]
	v_add_f64 v[14:15], v[14:15], v[62:63]
	v_fma_f64 v[94:95], v[66:67], v[232:233], -v[68:69]
	ds_read_b128 v[66:69], v254 offset:1488
	ds_read_b128 v[216:219], v254 offset:1520
	v_mul_f64 v[2:3], v[2:3], v[246:247]
	v_fma_f64 v[246:247], v[0:1], v[248:249], -v[2:3]
	ds_read_b128 v[0:3], v254 offset:1584
	v_mul_f64 v[6:7], v[6:7], v[12:13]
	v_fma_f64 v[12:13], v[4:5], v[86:87], -v[6:7]
	ds_read_b128 v[4:7], v254 offset:1616
	v_mul_f64 v[10:11], v[10:11], v[242:243]
	ds_read_b128 v[70:73], v254 offset:1504
	s_waitcnt vmcnt(46) lgkmcnt(5)
	v_mul_f64 v[62:63], v[58:59], v[176:177]
	s_waitcnt vmcnt(44)
	v_fmac_f64_e32 v[62:63], v[60:61], v[178:179]
	v_add_f64 v[14:15], v[14:15], v[62:63]
	ds_read_b128 v[62:65], v254 offset:1472
	s_waitcnt vmcnt(42) lgkmcnt(0)
	v_mul_f64 v[82:83], v[62:63], v[182:183]
	s_waitcnt vmcnt(40)
	v_fmac_f64_e32 v[82:83], v[64:65], v[184:185]
	v_add_f64 v[14:15], v[14:15], v[82:83]
	s_waitcnt vmcnt(37)
	v_mul_f64 v[82:83], v[66:67], v[188:189]
	s_waitcnt vmcnt(35)
	v_fmac_f64_e32 v[82:83], v[68:69], v[192:193]
	v_add_f64 v[14:15], v[14:15], v[82:83]
	s_waitcnt vmcnt(34)
	v_mul_f64 v[82:83], v[70:71], v[180:181]
	s_waitcnt vmcnt(32)
	v_fmac_f64_e32 v[82:83], v[72:73], v[190:191]
	v_add_f64 v[14:15], v[14:15], v[82:83]
	v_mul_f64 v[82:83], v[222:223], v[234:235]
	v_fma_f64 v[240:241], v[220:221], v[236:237], -v[82:83]
	ds_read_b128 v[220:223], v254 offset:1536
	s_waitcnt vmcnt(29)
	v_mul_f64 v[82:83], v[216:217], v[194:195]
	s_waitcnt vmcnt(27)
	v_fmac_f64_e32 v[82:83], v[218:219], v[198:199]
	v_add_f64 v[14:15], v[14:15], v[82:83]
	v_mul_f64 v[82:83], v[120:121], v[250:251]
	v_fma_f64 v[250:251], v[118:119], v[252:253], -v[82:83]
	ds_read_b128 v[82:85], v254 offset:1552
	ds_read_b128 v[118:121], v254 offset:1568
	s_waitcnt vmcnt(25) lgkmcnt(2)
	v_mul_f64 v[98:99], v[220:221], v[186:187]
	s_waitcnt vmcnt(24)
	v_fmac_f64_e32 v[98:99], v[222:223], v[196:197]
	v_add_f64 v[14:15], v[14:15], v[98:99]
	s_waitcnt vmcnt(21) lgkmcnt(1)
	v_mul_f64 v[98:99], v[82:83], v[88:89]
	s_waitcnt vmcnt(19)
	v_fmac_f64_e32 v[98:99], v[84:85], v[208:209]
	v_add_f64 v[14:15], v[14:15], v[98:99]
	;; [unrolled: 5-line block ×3, first 2 shown]
	ds_read_b128 v[98:101], v254 offset:1600
	s_waitcnt vmcnt(14)
	v_mul_f64 v[102:103], v[0:1], v[204:205]
	s_waitcnt vmcnt(12)
	v_fmac_f64_e32 v[102:103], v[2:3], v[210:211]
	v_add_f64 v[14:15], v[14:15], v[102:103]
	ds_read_b128 v[102:105], v254 offset:1632
	buffer_load_dword v233, off, s[0:3], 0 offset:828
	buffer_load_dword v232, off, s[0:3], 0 offset:824
	;; [unrolled: 1-line block ×4, first 2 shown]
	ds_read_b128 v[106:109], v254 offset:1648
	buffer_load_dword v236, off, s[0:3], 0 offset:840
	buffer_load_dword v237, off, s[0:3], 0 offset:844
	;; [unrolled: 1-line block ×4, first 2 shown]
	v_fma_f64 v[252:253], v[8:9], v[244:245], -v[10:11]
	ds_read_b128 v[110:113], v254 offset:1664
	buffer_load_dword v243, off, s[0:3], 0 offset:860
	buffer_load_dword v242, off, s[0:3], 0 offset:856
	;; [unrolled: 1-line block ×4, first 2 shown]
	s_waitcnt vmcnt(22) lgkmcnt(3)
	v_mul_f64 v[8:9], v[98:99], v[214:215]
	s_waitcnt vmcnt(20)
	v_fmac_f64_e32 v[8:9], v[100:101], v[224:225]
	s_waitcnt vmcnt(17)
	v_mul_f64 v[10:11], v[4:5], v[228:229]
	v_add_f64 v[8:9], v[14:15], v[8:9]
	s_waitcnt vmcnt(15)
	v_fmac_f64_e32 v[10:11], v[6:7], v[230:231]
	v_add_f64 v[8:9], v[8:9], v[10:11]
	s_waitcnt vmcnt(13) lgkmcnt(2)
	v_mul_f64 v[10:11], v[102:103], v[212:213]
	s_waitcnt vmcnt(12)
	v_fmac_f64_e32 v[10:11], v[104:105], v[226:227]
	ds_read_b128 v[114:117], v254 offset:1680
	v_add_f64 v[8:9], v[8:9], v[10:11]
	v_accvgpr_read_b32 v14, a164
	v_accvgpr_read_b32 v15, a165
	v_mul_f64 v[2:3], v[2:3], v[204:205]
	v_fma_f64 v[0:1], v[0:1], v[210:211], -v[2:3]
	v_mul_f64 v[2:3], v[100:101], v[214:215]
	v_fma_f64 v[2:3], v[98:99], v[224:225], -v[2:3]
	s_waitcnt vmcnt(10) lgkmcnt(2)
	v_mul_f64 v[10:11], v[106:107], v[232:233]
	s_waitcnt vmcnt(8)
	v_fmac_f64_e32 v[10:11], v[108:109], v[234:235]
	v_add_f64 v[8:9], v[8:9], v[10:11]
	s_waitcnt vmcnt(6) lgkmcnt(1)
	v_mul_f64 v[10:11], v[110:111], v[236:237]
	s_waitcnt vmcnt(4)
	v_fmac_f64_e32 v[10:11], v[112:113], v[238:239]
	v_add_f64 v[8:9], v[8:9], v[10:11]
	;; [unrolled: 5-line block ×3, first 2 shown]
	v_add_f64 v[10:11], v[16:17], 0
	v_add_f64 v[10:11], v[10:11], v[202:203]
	;; [unrolled: 1-line block ×13, first 2 shown]
	buffer_load_dword v248, off, s[0:3], 0 offset:144
	buffer_load_dword v249, off, s[0:3], 0 offset:148
	buffer_load_dword v246, off, s[0:3], 0 offset:152
	buffer_load_dword v247, off, s[0:3], 0 offset:156
	v_add_f64 v[10:11], v[254:255], v[12:13]
	v_accvgpr_read_b32 v12, a160
	v_accvgpr_read_b32 v13, a161
	v_mul_f64 v[12:13], v[136:137], v[12:13]
	v_add_f64 v[10:11], v[10:11], v[252:253]
	v_fma_f64 v[12:13], v[134:135], v[140:141], -v[12:13]
	v_add_f64 v[10:11], v[10:11], v[12:13]
	v_accvgpr_read_b32 v12, a162
	v_accvgpr_read_b32 v13, a163
	v_mul_f64 v[12:13], v[128:129], v[12:13]
	v_fma_f64 v[12:13], v[126:127], v[14:15], -v[12:13]
	v_add_f64 v[10:11], v[10:11], v[12:13]
	v_mul_f64 v[12:13], v[132:133], v[144:145]
	v_fma_f64 v[12:13], v[130:131], v[148:149], -v[12:13]
	v_add_f64 v[10:11], v[10:11], v[12:13]
	v_accvgpr_read_b32 v12, a166
	v_accvgpr_read_b32 v13, a167
	v_accvgpr_read_b32 v14, a168
	v_mul_f64 v[12:13], v[124:125], v[12:13]
	v_accvgpr_read_b32 v15, a169
	v_fma_f64 v[12:13], v[122:123], v[14:15], -v[12:13]
	v_add_f64 v[10:11], v[10:11], v[12:13]
	v_mul_f64 v[12:13], v[20:21], v[152:153]
	v_fma_f64 v[12:13], v[18:19], v[156:157], -v[12:13]
	v_add_f64 v[10:11], v[10:11], v[12:13]
	v_accvgpr_read_b32 v12, a170
	v_accvgpr_read_b32 v13, a171
	v_accvgpr_read_b32 v14, a172
	v_mul_f64 v[12:13], v[24:25], v[12:13]
	v_accvgpr_read_b32 v15, a173
	v_fma_f64 v[12:13], v[22:23], v[14:15], -v[12:13]
	v_add_f64 v[10:11], v[10:11], v[12:13]
	v_mul_f64 v[12:13], v[28:29], v[160:161]
	v_fma_f64 v[12:13], v[26:27], v[162:163], -v[12:13]
	v_add_f64 v[10:11], v[10:11], v[12:13]
	v_accvgpr_read_b32 v12, a174
	v_accvgpr_read_b32 v13, a175
	v_accvgpr_read_b32 v14, a176
	v_mul_f64 v[12:13], v[32:33], v[12:13]
	v_accvgpr_read_b32 v15, a177
	v_fma_f64 v[12:13], v[30:31], v[14:15], -v[12:13]
	v_add_f64 v[10:11], v[10:11], v[12:13]
	v_mul_f64 v[12:13], v[36:37], v[164:165]
	v_fma_f64 v[12:13], v[34:35], v[166:167], -v[12:13]
	v_add_f64 v[10:11], v[10:11], v[12:13]
	v_mul_f64 v[12:13], v[40:41], v[138:139]
	v_fma_f64 v[12:13], v[38:39], v[142:143], -v[12:13]
	v_add_f64 v[10:11], v[10:11], v[12:13]
	v_mul_f64 v[12:13], v[44:45], v[168:169]
	v_fma_f64 v[12:13], v[42:43], v[170:171], -v[12:13]
	v_add_f64 v[10:11], v[10:11], v[12:13]
	v_mul_f64 v[12:13], v[48:49], v[146:147]
	v_fma_f64 v[12:13], v[46:47], v[150:151], -v[12:13]
	v_add_f64 v[10:11], v[10:11], v[12:13]
	v_mul_f64 v[12:13], v[52:53], v[172:173]
	v_fma_f64 v[12:13], v[50:51], v[174:175], -v[12:13]
	v_add_f64 v[10:11], v[10:11], v[12:13]
	v_mul_f64 v[12:13], v[56:57], v[154:155]
	v_fma_f64 v[12:13], v[54:55], v[158:159], -v[12:13]
	v_add_f64 v[10:11], v[10:11], v[12:13]
	v_mul_f64 v[12:13], v[60:61], v[176:177]
	v_fma_f64 v[12:13], v[58:59], v[178:179], -v[12:13]
	v_add_f64 v[10:11], v[10:11], v[12:13]
	v_mul_f64 v[12:13], v[64:65], v[182:183]
	v_fma_f64 v[12:13], v[62:63], v[184:185], -v[12:13]
	v_add_f64 v[10:11], v[10:11], v[12:13]
	v_mul_f64 v[12:13], v[68:69], v[188:189]
	v_fma_f64 v[12:13], v[66:67], v[192:193], -v[12:13]
	v_add_f64 v[10:11], v[10:11], v[12:13]
	v_mul_f64 v[12:13], v[72:73], v[180:181]
	v_fma_f64 v[12:13], v[70:71], v[190:191], -v[12:13]
	v_add_f64 v[10:11], v[10:11], v[12:13]
	v_mul_f64 v[12:13], v[218:219], v[194:195]
	v_fma_f64 v[12:13], v[216:217], v[198:199], -v[12:13]
	v_add_f64 v[10:11], v[10:11], v[12:13]
	v_mul_f64 v[12:13], v[222:223], v[186:187]
	v_fma_f64 v[12:13], v[220:221], v[196:197], -v[12:13]
	v_add_f64 v[10:11], v[10:11], v[12:13]
	v_mul_f64 v[12:13], v[84:85], v[88:89]
	v_fma_f64 v[12:13], v[82:83], v[208:209], -v[12:13]
	v_add_f64 v[10:11], v[10:11], v[12:13]
	v_mul_f64 v[12:13], v[120:121], v[200:201]
	v_fma_f64 v[12:13], v[118:119], v[206:207], -v[12:13]
	v_add_f64 v[10:11], v[10:11], v[12:13]
	v_add_f64 v[0:1], v[10:11], v[0:1]
	;; [unrolled: 1-line block ×3, first 2 shown]
	v_mul_f64 v[2:3], v[6:7], v[228:229]
	v_fma_f64 v[2:3], v[4:5], v[230:231], -v[2:3]
	v_add_f64 v[0:1], v[0:1], v[2:3]
	v_mul_f64 v[2:3], v[104:105], v[212:213]
	v_fma_f64 v[2:3], v[102:103], v[226:227], -v[2:3]
	v_add_f64 v[0:1], v[0:1], v[2:3]
	v_mul_f64 v[2:3], v[108:109], v[232:233]
	v_fma_f64 v[2:3], v[106:107], v[234:235], -v[2:3]
	v_add_f64 v[0:1], v[0:1], v[2:3]
	v_mul_f64 v[2:3], v[112:113], v[236:237]
	v_fma_f64 v[2:3], v[110:111], v[238:239], -v[2:3]
	v_add_f64 v[0:1], v[0:1], v[2:3]
	v_mul_f64 v[2:3], v[116:117], v[242:243]
	v_fma_f64 v[2:3], v[114:115], v[244:245], -v[2:3]
	v_add_f64 v[0:1], v[0:1], v[2:3]
	v_accvgpr_read_b32 v255, a158
	s_waitcnt vmcnt(2)
	v_add_f64 v[0:1], v[248:249], -v[0:1]
	v_cmp_lt_u32_e32 vcc, 7, v255
	s_waitcnt vmcnt(0)
	v_add_f64 v[2:3], v[246:247], -v[8:9]
	buffer_store_dword v1, off, s[0:3], 0 offset:148
	buffer_store_dword v0, off, s[0:3], 0 offset:144
	;; [unrolled: 1-line block ×4, first 2 shown]
	s_and_saveexec_b64 s[4:5], vcc
	s_cbranch_execz .LBB52_317
; %bb.316:
	v_accvgpr_read_b32 v3, a151
	buffer_load_dword v0, v3, s[0:3], 0 offen
	buffer_load_dword v1, v3, s[0:3], 0 offen offset:4
	buffer_load_dword v2, v3, s[0:3], 0 offen offset:8
	s_nop 0
	buffer_load_dword v3, v3, s[0:3], 0 offen offset:12
	v_mov_b32_e32 v4, 0
	v_accvgpr_read_b32 v5, a159
	buffer_store_dword v4, off, s[0:3], 0 offset:128
	buffer_store_dword v4, off, s[0:3], 0 offset:132
	;; [unrolled: 1-line block ×4, first 2 shown]
	s_waitcnt vmcnt(4)
	ds_write_b128 v5, v[0:3]
.LBB52_317:
	s_or_b64 exec, exec, s[4:5]
	s_waitcnt lgkmcnt(0)
	; wave barrier
	s_waitcnt lgkmcnt(0)
	buffer_load_dword v56, off, s[0:3], 0 offset:144
	buffer_load_dword v57, off, s[0:3], 0 offset:148
	;; [unrolled: 1-line block ×36, first 2 shown]
	v_mov_b32_e32 v254, 0
	buffer_load_dword v87, off, s[0:3], 0 offset:316
	buffer_load_dword v86, off, s[0:3], 0 offset:312
	;; [unrolled: 1-line block ×18, first 2 shown]
	ds_read_b128 v[110:113], v254 offset:976
	ds_read_b128 v[114:117], v254 offset:992
	;; [unrolled: 1-line block ×9, first 2 shown]
	v_cmp_lt_u32_e32 vcc, 6, v255
	s_waitcnt vmcnt(50) lgkmcnt(8)
	v_mul_f64 v[0:1], v[110:111], v[58:59]
	v_fmac_f64_e32 v[0:1], v[112:113], v[56:57]
	v_add_f64 v[0:1], v[0:1], 0
	s_waitcnt vmcnt(46) lgkmcnt(7)
	v_mul_f64 v[2:3], v[114:115], v[54:55]
	v_fmac_f64_e32 v[2:3], v[116:117], v[52:53]
	s_waitcnt vmcnt(44) lgkmcnt(6)
	v_mul_f64 v[4:5], v[196:197], v[50:51]
	v_add_f64 v[0:1], v[0:1], v[2:3]
	s_waitcnt vmcnt(42) lgkmcnt(4)
	v_mul_f64 v[8:9], v[204:205], v[60:61]
	v_mul_f64 v[50:51], v[198:199], v[50:51]
	s_waitcnt vmcnt(40)
	v_fmac_f64_e32 v[8:9], v[206:207], v[62:63]
	v_mul_f64 v[54:55], v[116:117], v[54:55]
	s_waitcnt vmcnt(38)
	v_mul_f64 v[6:7], v[200:201], v[64:65]
	v_fma_f64 v[228:229], v[114:115], v[52:53], -v[54:55]
	s_waitcnt vmcnt(36) lgkmcnt(2)
	v_mul_f64 v[12:13], v[214:215], v[74:75]
	s_waitcnt vmcnt(34)
	v_fmac_f64_e32 v[12:13], v[216:217], v[72:73]
	s_waitcnt vmcnt(32)
	v_mul_f64 v[10:11], v[208:209], v[76:77]
	v_mul_f64 v[54:55], v[210:211], v[76:77]
	s_waitcnt vmcnt(30) lgkmcnt(1)
	v_mul_f64 v[14:15], v[218:219], v[68:69]
	s_waitcnt vmcnt(28)
	v_fmac_f64_e32 v[4:5], v[198:199], v[82:83]
	v_add_f64 v[0:1], v[0:1], v[4:5]
	buffer_load_dword v105, off, s[0:3], 0 offset:372
	buffer_load_dword v104, off, s[0:3], 0 offset:368
	;; [unrolled: 1-line block ×8, first 2 shown]
	s_waitcnt vmcnt(34)
	v_fmac_f64_e32 v[6:7], v[202:203], v[80:81]
	v_add_f64 v[0:1], v[0:1], v[6:7]
	s_waitcnt vmcnt(32)
	v_fmac_f64_e32 v[10:11], v[210:211], v[78:79]
	v_add_f64 v[0:1], v[0:1], v[8:9]
	v_add_f64 v[0:1], v[0:1], v[10:11]
	s_waitcnt vmcnt(30)
	v_fmac_f64_e32 v[14:15], v[220:221], v[70:71]
	v_add_f64 v[0:1], v[0:1], v[12:13]
	v_add_f64 v[0:1], v[0:1], v[14:15]
	v_fma_f64 v[230:231], v[196:197], v[82:83], -v[50:51]
	v_mul_f64 v[50:51], v[202:203], v[64:65]
	v_fma_f64 v[114:115], v[208:209], v[78:79], -v[54:55]
	v_mul_f64 v[54:55], v[216:217], v[74:75]
	v_fma_f64 v[116:117], v[214:215], v[72:73], -v[54:55]
	s_waitcnt vmcnt(0)
	v_pk_mov_b32 v[16:17], v[2:3], v[2:3] op_sel:[0,1]
	buffer_load_dword v3, off, s[0:3], 0 offset:404
	buffer_load_dword v2, off, s[0:3], 0 offset:400
	v_accvgpr_write_b32 a161, v17
	v_accvgpr_write_b32 a160, v16
	s_waitcnt vmcnt(0)
	v_pk_mov_b32 v[18:19], v[2:3], v[2:3] op_sel:[0,1]
	buffer_load_dword v107, off, s[0:3], 0 offset:396
	buffer_load_dword v106, off, s[0:3], 0 offset:392
	;; [unrolled: 1-line block ×6, first 2 shown]
	v_accvgpr_write_b32 a163, v19
	v_accvgpr_write_b32 a162, v18
	s_waitcnt vmcnt(0)
	v_pk_mov_b32 v[22:23], v[2:3], v[2:3] op_sel:[0,1]
	buffer_load_dword v3, off, s[0:3], 0 offset:436
	buffer_load_dword v2, off, s[0:3], 0 offset:432
	v_accvgpr_write_b32 a165, v23
	v_accvgpr_write_b32 a164, v22
	s_waitcnt vmcnt(0)
	v_pk_mov_b32 v[24:25], v[2:3], v[2:3] op_sel:[0,1]
	buffer_load_dword v141, off, s[0:3], 0 offset:428
	buffer_load_dword v140, off, s[0:3], 0 offset:424
	;; [unrolled: 1-line block ×6, first 2 shown]
	v_accvgpr_write_b32 a167, v25
	v_accvgpr_write_b32 a166, v24
	s_waitcnt vmcnt(0)
	v_pk_mov_b32 v[30:31], v[2:3], v[2:3] op_sel:[0,1]
	buffer_load_dword v3, off, s[0:3], 0 offset:468
	buffer_load_dword v2, off, s[0:3], 0 offset:464
	v_accvgpr_write_b32 a169, v31
	v_accvgpr_write_b32 a168, v30
	s_waitcnt vmcnt(0)
	v_pk_mov_b32 v[32:33], v[2:3], v[2:3] op_sel:[0,1]
	buffer_load_dword v149, off, s[0:3], 0 offset:460
	buffer_load_dword v148, off, s[0:3], 0 offset:456
	;; [unrolled: 1-line block ×36, first 2 shown]
	ds_read_b128 v[236:239], v254 offset:1120
	ds_read_b128 v[240:243], v254 offset:1136
	;; [unrolled: 1-line block ×8, first 2 shown]
	v_accvgpr_write_b32 a171, v33
	v_accvgpr_write_b32 a170, v32
	s_waitcnt lgkmcnt(2)
	v_mul_f64 v[8:9], v[122:123], v[94:95]
	v_fmac_f64_e32 v[8:9], v[124:125], v[104:105]
	s_waitcnt lgkmcnt(0)
	v_mul_f64 v[20:21], v[126:127], v[22:23]
	v_fmac_f64_e32 v[20:21], v[128:129], v[24:25]
	v_mul_f64 v[82:83], v[250:251], v[96:97]
	ds_read_b128 v[134:137], v254 offset:1232
	s_waitcnt lgkmcnt(0)
	v_mul_f64 v[12:13], v[134:135], v[16:17]
	v_mul_f64 v[16:17], v[130:131], v[140:141]
	v_fmac_f64_e32 v[12:13], v[136:137], v[18:19]
	v_fmac_f64_e32 v[16:17], v[132:133], v[144:145]
	s_waitcnt vmcnt(30)
	v_pk_mov_b32 v[38:39], v[2:3], v[2:3] op_sel:[0,1]
	v_mul_f64 v[2:3], v[232:233], v[66:67]
	v_fmac_f64_e32 v[2:3], v[234:235], v[84:85]
	v_add_f64 v[0:1], v[0:1], v[2:3]
	v_mul_f64 v[2:3], v[236:237], v[90:91]
	v_fmac_f64_e32 v[2:3], v[238:239], v[92:93]
	v_add_f64 v[0:1], v[0:1], v[2:3]
	;; [unrolled: 3-line block ×6, first 2 shown]
	ds_read_b128 v[0:3], v254 offset:1216
	v_add_f64 v[6:7], v[6:7], v[8:9]
	v_accvgpr_write_b32 a173, v39
	v_accvgpr_write_b32 a172, v38
	v_fma_f64 v[248:249], v[248:249], v[98:99], -v[82:83]
	s_waitcnt lgkmcnt(0)
	v_mul_f64 v[8:9], v[0:1], v[106:107]
	v_fmac_f64_e32 v[8:9], v[2:3], v[108:109]
	v_add_f64 v[10:11], v[6:7], v[8:9]
	v_add_f64 v[14:15], v[10:11], v[12:13]
	;; [unrolled: 1-line block ×3, first 2 shown]
	ds_read_b128 v[14:17], v254 offset:1280
	v_add_f64 v[22:23], v[18:19], v[20:21]
	ds_read_b128 v[18:21], v254 offset:1296
	v_mul_f64 v[8:9], v[112:113], v[58:59]
	v_fma_f64 v[10:11], v[110:111], v[56:57], -v[8:9]
	s_waitcnt lgkmcnt(1)
	v_mul_f64 v[24:25], v[14:15], v[148:149]
	v_fmac_f64_e32 v[24:25], v[16:17], v[152:153]
	v_add_f64 v[26:27], v[22:23], v[24:25]
	ds_read_b128 v[22:25], v254 offset:1312
	s_waitcnt lgkmcnt(1)
	v_mul_f64 v[28:29], v[18:19], v[30:31]
	v_fmac_f64_e32 v[28:29], v[20:21], v[32:33]
	v_add_f64 v[30:31], v[26:27], v[28:29]
	ds_read_b128 v[26:29], v254 offset:1328
	s_waitcnt vmcnt(26) lgkmcnt(1)
	v_mul_f64 v[32:33], v[22:23], v[156:157]
	s_waitcnt vmcnt(24)
	v_fmac_f64_e32 v[32:33], v[24:25], v[158:159]
	v_add_f64 v[34:35], v[30:31], v[32:33]
	ds_read_b128 v[30:33], v254 offset:1344
	s_waitcnt lgkmcnt(1)
	v_mul_f64 v[36:37], v[26:27], v[38:39]
	v_fmac_f64_e32 v[36:37], v[28:29], v[222:223]
	v_add_f64 v[38:39], v[34:35], v[36:37]
	ds_read_b128 v[34:37], v254 offset:1360
	s_waitcnt vmcnt(18) lgkmcnt(1)
	v_mul_f64 v[40:41], v[30:31], v[160:161]
	s_waitcnt vmcnt(16)
	;; [unrolled: 11-line block ×3, first 2 shown]
	v_fmac_f64_e32 v[48:49], v[40:41], v[166:167]
	v_add_f64 v[174:175], v[46:47], v[48:49]
	ds_read_b128 v[46:49], v254 offset:1408
	buffer_load_dword v173, off, s[0:3], 0 offset:620
	buffer_load_dword v172, off, s[0:3], 0 offset:616
	;; [unrolled: 1-line block ×4, first 2 shown]
	s_waitcnt lgkmcnt(1)
	v_mul_f64 v[178:179], v[42:43], v[142:143]
	v_fmac_f64_e32 v[178:179], v[44:45], v[146:147]
	v_add_f64 v[6:7], v[174:175], v[178:179]
	buffer_load_dword v179, off, s[0:3], 0 offset:636
	buffer_load_dword v178, off, s[0:3], 0 offset:632
	;; [unrolled: 1-line block ×24, first 2 shown]
	v_fma_f64 v[110:111], v[200:201], v[80:81], -v[50:51]
	v_mul_f64 v[50:51], v[206:207], v[60:61]
	v_fma_f64 v[112:113], v[204:205], v[62:63], -v[50:51]
	buffer_load_dword v201, off, s[0:3], 0 offset:732
	buffer_load_dword v200, off, s[0:3], 0 offset:728
	;; [unrolled: 1-line block ×8, first 2 shown]
	s_waitcnt vmcnt(38) lgkmcnt(0)
	v_mul_f64 v[54:55], v[46:47], v[168:169]
	ds_read_b128 v[50:53], v254 offset:1424
	s_waitcnt vmcnt(36)
	v_fmac_f64_e32 v[54:55], v[48:49], v[170:171]
	v_mul_f64 v[56:57], v[220:221], v[68:69]
	buffer_load_dword v211, off, s[0:3], 0 offset:764
	buffer_load_dword v210, off, s[0:3], 0 offset:760
	;; [unrolled: 1-line block ×12, first 2 shown]
	v_fma_f64 v[8:9], v[218:219], v[70:71], -v[56:57]
	buffer_load_dword v219, off, s[0:3], 0 offset:812
	buffer_load_dword v218, off, s[0:3], 0 offset:808
	;; [unrolled: 1-line block ×4, first 2 shown]
	v_add_f64 v[6:7], v[6:7], v[54:55]
	ds_read_b128 v[54:57], v254 offset:1440
	ds_read_b128 v[58:61], v254 offset:1456
	s_waitcnt lgkmcnt(2)
	v_mul_f64 v[12:13], v[50:51], v[150:151]
	v_fmac_f64_e32 v[12:13], v[52:53], v[154:155]
	v_add_f64 v[6:7], v[6:7], v[12:13]
	v_mul_f64 v[12:13], v[234:235], v[66:67]
	v_fma_f64 v[12:13], v[232:233], v[84:85], -v[12:13]
	v_mul_f64 v[70:71], v[242:243], v[86:87]
	v_fma_f64 v[240:241], v[240:241], v[88:89], -v[70:71]
	ds_read_b128 v[70:73], v254 offset:1504
	ds_read_b128 v[86:89], v254 offset:1568
	v_mul_f64 v[4:5], v[120:121], v[4:5]
	v_fma_f64 v[118:119], v[118:119], v[212:213], -v[4:5]
	v_mul_f64 v[2:3], v[2:3], v[106:107]
	v_fma_f64 v[250:251], v[0:1], v[108:109], -v[2:3]
	v_add_f64 v[10:11], v[10:11], 0
	v_add_f64 v[10:11], v[10:11], v[228:229]
	;; [unrolled: 1-line block ×9, first 2 shown]
	v_accvgpr_read_b32 v10, a160
	v_accvgpr_read_b32 v11, a161
	;; [unrolled: 1-line block ×3, first 2 shown]
	v_mul_f64 v[10:11], v[136:137], v[10:11]
	v_accvgpr_read_b32 v13, a163
	v_fma_f64 v[10:11], v[134:135], v[12:13], -v[10:11]
	v_accvgpr_read_b32 v12, a166
	v_accvgpr_read_b32 v13, a167
	ds_read_b128 v[82:85], v254 offset:1552
	s_waitcnt vmcnt(50) lgkmcnt(4)
	v_mul_f64 v[62:63], v[54:55], v[172:173]
	s_waitcnt vmcnt(48)
	v_fmac_f64_e32 v[62:63], v[56:57], v[176:177]
	v_add_f64 v[6:7], v[6:7], v[62:63]
	v_mul_f64 v[62:63], v[238:239], v[90:91]
	v_fma_f64 v[232:233], v[236:237], v[92:93], -v[62:63]
	ds_read_b128 v[62:65], v254 offset:1472
	s_waitcnt vmcnt(46) lgkmcnt(4)
	v_mul_f64 v[66:67], v[58:59], v[178:179]
	s_waitcnt vmcnt(44)
	v_fmac_f64_e32 v[66:67], v[60:61], v[180:181]
	v_add_f64 v[6:7], v[6:7], v[66:67]
	ds_read_b128 v[66:69], v254 offset:1488
	s_waitcnt vmcnt(41) lgkmcnt(1)
	v_mul_f64 v[74:75], v[62:63], v[184:185]
	s_waitcnt vmcnt(39)
	v_fmac_f64_e32 v[74:75], v[64:65], v[188:189]
	v_add_f64 v[6:7], v[6:7], v[74:75]
	v_mul_f64 v[74:75], v[246:247], v[100:101]
	v_fma_f64 v[246:247], v[244:245], v[102:103], -v[74:75]
	ds_read_b128 v[74:77], v254 offset:1520
	s_waitcnt vmcnt(38) lgkmcnt(1)
	v_mul_f64 v[78:79], v[66:67], v[174:175]
	s_waitcnt vmcnt(36)
	v_fmac_f64_e32 v[78:79], v[68:69], v[186:187]
	v_add_f64 v[6:7], v[6:7], v[78:79]
	s_waitcnt vmcnt(33)
	v_mul_f64 v[78:79], v[70:71], v[192:193]
	s_waitcnt vmcnt(31)
	v_fmac_f64_e32 v[78:79], v[72:73], v[194:195]
	v_add_f64 v[6:7], v[6:7], v[78:79]
	s_waitcnt vmcnt(29) lgkmcnt(0)
	v_mul_f64 v[78:79], v[74:75], v[182:183]
	s_waitcnt vmcnt(28)
	v_fmac_f64_e32 v[78:79], v[76:77], v[190:191]
	v_add_f64 v[6:7], v[6:7], v[78:79]
	ds_read_b128 v[78:81], v254 offset:1536
	ds_read_b128 v[98:101], v254 offset:1616
	v_add_f64 v[8:9], v[8:9], v[232:233]
	v_add_f64 v[8:9], v[8:9], v[240:241]
	v_add_f64 v[8:9], v[8:9], v[246:247]
	s_waitcnt vmcnt(26) lgkmcnt(1)
	v_mul_f64 v[90:91], v[78:79], v[196:197]
	s_waitcnt vmcnt(24)
	v_fmac_f64_e32 v[90:91], v[80:81], v[198:199]
	v_add_f64 v[4:5], v[6:7], v[90:91]
	s_waitcnt vmcnt(22)
	v_mul_f64 v[6:7], v[82:83], v[200:201]
	s_waitcnt vmcnt(20)
	v_fmac_f64_e32 v[6:7], v[84:85], v[204:205]
	v_add_f64 v[4:5], v[4:5], v[6:7]
	ds_read_b128 v[90:93], v254 offset:1584
	s_waitcnt vmcnt(18)
	v_mul_f64 v[6:7], v[86:87], v[202:203]
	s_waitcnt vmcnt(16)
	v_fmac_f64_e32 v[6:7], v[88:89], v[206:207]
	v_add_f64 v[4:5], v[4:5], v[6:7]
	v_mul_f64 v[6:7], v[124:125], v[94:95]
	v_fma_f64 v[124:125], v[122:123], v[104:105], -v[6:7]
	ds_read_b128 v[94:97], v254 offset:1600
	ds_read_b128 v[102:105], v254 offset:1632
	buffer_load_dword v120, off, s[0:3], 0 offset:824
	buffer_load_dword v121, off, s[0:3], 0 offset:828
	;; [unrolled: 1-line block ×4, first 2 shown]
	ds_read_b128 v[106:109], v254 offset:1648
	buffer_load_dword v237, off, s[0:3], 0 offset:844
	buffer_load_dword v236, off, s[0:3], 0 offset:840
	;; [unrolled: 1-line block ×4, first 2 shown]
	s_waitcnt vmcnt(22) lgkmcnt(3)
	v_mul_f64 v[6:7], v[90:91], v[210:211]
	s_waitcnt vmcnt(20)
	v_fmac_f64_e32 v[6:7], v[92:93], v[216:217]
	s_waitcnt vmcnt(17) lgkmcnt(2)
	v_mul_f64 v[2:3], v[94:95], v[224:225]
	v_add_f64 v[0:1], v[4:5], v[6:7]
	s_waitcnt vmcnt(15)
	v_fmac_f64_e32 v[2:3], v[96:97], v[226:227]
	v_add_f64 v[0:1], v[0:1], v[2:3]
	s_waitcnt vmcnt(13)
	v_mul_f64 v[2:3], v[98:99], v[208:209]
	s_waitcnt vmcnt(12)
	v_fmac_f64_e32 v[2:3], v[100:101], v[214:215]
	v_add_f64 v[0:1], v[0:1], v[2:3]
	s_waitcnt vmcnt(10) lgkmcnt(1)
	v_mul_f64 v[2:3], v[102:103], v[218:219]
	s_waitcnt vmcnt(8)
	v_fmac_f64_e32 v[2:3], v[104:105], v[220:221]
	v_add_f64 v[0:1], v[0:1], v[2:3]
	v_add_f64 v[8:9], v[8:9], v[248:249]
	;; [unrolled: 1-line block ×6, first 2 shown]
	v_mul_f64 v[10:11], v[132:133], v[140:141]
	v_fma_f64 v[10:11], v[130:131], v[144:145], -v[10:11]
	v_add_f64 v[8:9], v[8:9], v[10:11]
	v_accvgpr_read_b32 v10, a164
	v_accvgpr_read_b32 v11, a165
	v_mul_f64 v[10:11], v[128:129], v[10:11]
	v_fma_f64 v[10:11], v[126:127], v[12:13], -v[10:11]
	v_add_f64 v[8:9], v[8:9], v[10:11]
	v_mul_f64 v[10:11], v[16:17], v[148:149]
	v_fma_f64 v[10:11], v[14:15], v[152:153], -v[10:11]
	v_add_f64 v[8:9], v[8:9], v[10:11]
	v_accvgpr_read_b32 v10, a168
	v_accvgpr_read_b32 v11, a169
	;; [unrolled: 1-line block ×3, first 2 shown]
	v_mul_f64 v[10:11], v[20:21], v[10:11]
	v_accvgpr_read_b32 v13, a171
	v_fma_f64 v[10:11], v[18:19], v[12:13], -v[10:11]
	v_add_f64 v[8:9], v[8:9], v[10:11]
	v_mul_f64 v[10:11], v[24:25], v[156:157]
	v_fma_f64 v[10:11], v[22:23], v[158:159], -v[10:11]
	v_add_f64 v[8:9], v[8:9], v[10:11]
	v_accvgpr_read_b32 v10, a172
	v_accvgpr_read_b32 v11, a173
	v_mul_f64 v[10:11], v[28:29], v[10:11]
	v_fma_f64 v[10:11], v[26:27], v[222:223], -v[10:11]
	v_add_f64 v[8:9], v[8:9], v[10:11]
	v_mul_f64 v[10:11], v[32:33], v[160:161]
	v_fma_f64 v[10:11], v[30:31], v[162:163], -v[10:11]
	v_add_f64 v[8:9], v[8:9], v[10:11]
	v_mul_f64 v[10:11], v[36:37], v[252:253]
	v_fma_f64 v[10:11], v[34:35], v[138:139], -v[10:11]
	v_add_f64 v[8:9], v[8:9], v[10:11]
	v_mul_f64 v[10:11], v[40:41], v[164:165]
	v_fma_f64 v[10:11], v[38:39], v[166:167], -v[10:11]
	v_add_f64 v[8:9], v[8:9], v[10:11]
	v_mul_f64 v[10:11], v[44:45], v[142:143]
	v_fma_f64 v[10:11], v[42:43], v[146:147], -v[10:11]
	v_add_f64 v[8:9], v[8:9], v[10:11]
	v_mul_f64 v[10:11], v[48:49], v[168:169]
	v_fma_f64 v[10:11], v[46:47], v[170:171], -v[10:11]
	v_add_f64 v[8:9], v[8:9], v[10:11]
	v_mul_f64 v[10:11], v[52:53], v[150:151]
	v_fma_f64 v[10:11], v[50:51], v[154:155], -v[10:11]
	v_add_f64 v[8:9], v[8:9], v[10:11]
	v_mul_f64 v[10:11], v[56:57], v[172:173]
	v_fma_f64 v[10:11], v[54:55], v[176:177], -v[10:11]
	v_add_f64 v[8:9], v[8:9], v[10:11]
	v_mul_f64 v[10:11], v[60:61], v[178:179]
	v_fma_f64 v[10:11], v[58:59], v[180:181], -v[10:11]
	v_add_f64 v[8:9], v[8:9], v[10:11]
	v_mul_f64 v[10:11], v[64:65], v[184:185]
	v_fma_f64 v[10:11], v[62:63], v[188:189], -v[10:11]
	v_add_f64 v[8:9], v[8:9], v[10:11]
	v_mul_f64 v[10:11], v[68:69], v[174:175]
	v_fma_f64 v[10:11], v[66:67], v[186:187], -v[10:11]
	v_add_f64 v[8:9], v[8:9], v[10:11]
	v_mul_f64 v[10:11], v[72:73], v[192:193]
	v_fma_f64 v[10:11], v[70:71], v[194:195], -v[10:11]
	s_waitcnt vmcnt(6) lgkmcnt(0)
	v_mul_f64 v[2:3], v[106:107], v[120:121]
	v_add_f64 v[8:9], v[8:9], v[10:11]
	s_waitcnt vmcnt(4)
	v_fmac_f64_e32 v[2:3], v[108:109], v[234:235]
	v_add_f64 v[4:5], v[0:1], v[2:3]
	ds_read_b128 v[0:3], v254 offset:1664
	buffer_load_dword v242, off, s[0:3], 0 offset:856
	buffer_load_dword v243, off, s[0:3], 0 offset:860
	;; [unrolled: 1-line block ×4, first 2 shown]
	v_mul_f64 v[10:11], v[76:77], v[182:183]
	v_fma_f64 v[10:11], v[74:75], v[190:191], -v[10:11]
	v_add_f64 v[8:9], v[8:9], v[10:11]
	s_waitcnt vmcnt(6) lgkmcnt(0)
	v_mul_f64 v[6:7], v[0:1], v[236:237]
	s_waitcnt vmcnt(4)
	v_fmac_f64_e32 v[6:7], v[2:3], v[238:239]
	v_add_f64 v[122:123], v[4:5], v[6:7]
	ds_read_b128 v[4:7], v254 offset:1680
	buffer_load_dword v248, off, s[0:3], 0 offset:128
	buffer_load_dword v249, off, s[0:3], 0 offset:132
	;; [unrolled: 1-line block ×4, first 2 shown]
	v_mul_f64 v[10:11], v[80:81], v[196:197]
	v_fma_f64 v[10:11], v[78:79], v[198:199], -v[10:11]
	v_add_f64 v[8:9], v[8:9], v[10:11]
	v_mul_f64 v[10:11], v[84:85], v[200:201]
	v_fma_f64 v[10:11], v[82:83], v[204:205], -v[10:11]
	v_add_f64 v[8:9], v[8:9], v[10:11]
	;; [unrolled: 3-line block ×7, first 2 shown]
	v_mul_f64 v[10:11], v[108:109], v[120:121]
	v_fma_f64 v[10:11], v[106:107], v[234:235], -v[10:11]
	v_mul_f64 v[2:3], v[2:3], v[236:237]
	v_add_f64 v[8:9], v[8:9], v[10:11]
	v_fma_f64 v[0:1], v[0:1], v[238:239], -v[2:3]
	v_add_f64 v[0:1], v[8:9], v[0:1]
	s_waitcnt vmcnt(6) lgkmcnt(0)
	v_mul_f64 v[2:3], v[6:7], v[242:243]
	v_mul_f64 v[212:213], v[4:5], v[242:243]
	s_waitcnt vmcnt(4)
	v_fma_f64 v[2:3], v[4:5], v[244:245], -v[2:3]
	v_fmac_f64_e32 v[212:213], v[6:7], v[244:245]
	v_add_f64 v[0:1], v[0:1], v[2:3]
	v_add_f64 v[122:123], v[122:123], v[212:213]
	s_waitcnt vmcnt(2)
	v_add_f64 v[0:1], v[248:249], -v[0:1]
	s_waitcnt vmcnt(0)
	v_add_f64 v[2:3], v[246:247], -v[122:123]
	buffer_store_dword v1, off, s[0:3], 0 offset:132
	buffer_store_dword v0, off, s[0:3], 0 offset:128
	;; [unrolled: 1-line block ×4, first 2 shown]
	s_and_saveexec_b64 s[4:5], vcc
	s_cbranch_execz .LBB52_319
; %bb.318:
	v_accvgpr_read_b32 v3, a152
	buffer_load_dword v0, v3, s[0:3], 0 offen
	buffer_load_dword v1, v3, s[0:3], 0 offen offset:4
	buffer_load_dword v2, v3, s[0:3], 0 offen offset:8
	s_nop 0
	buffer_load_dword v3, v3, s[0:3], 0 offen offset:12
	v_accvgpr_read_b32 v4, a159
	buffer_store_dword v254, off, s[0:3], 0 offset:112
	buffer_store_dword v254, off, s[0:3], 0 offset:116
	;; [unrolled: 1-line block ×4, first 2 shown]
	s_waitcnt vmcnt(4)
	ds_write_b128 v4, v[0:3]
.LBB52_319:
	s_or_b64 exec, exec, s[4:5]
	s_waitcnt lgkmcnt(0)
	; wave barrier
	s_waitcnt lgkmcnt(0)
	buffer_load_dword v60, off, s[0:3], 0 offset:128
	buffer_load_dword v61, off, s[0:3], 0 offset:132
	;; [unrolled: 1-line block ×42, first 2 shown]
	ds_read_b128 v[114:117], v254 offset:960
	ds_read_b128 v[182:185], v254 offset:976
	;; [unrolled: 1-line block ×10, first 2 shown]
	buffer_load_dword v1, off, s[0:3], 0 offset:276
	buffer_load_dword v0, off, s[0:3], 0 offset:272
	ds_read_b128 v[62:65], v254 offset:1120
	buffer_load_dword v101, off, s[0:3], 0 offset:332
	buffer_load_dword v100, off, s[0:3], 0 offset:328
	;; [unrolled: 1-line block ×6, first 2 shown]
	s_waitcnt vmcnt(46) lgkmcnt(10)
	v_mul_f64 v[2:3], v[114:115], v[176:177]
	v_fmac_f64_e32 v[2:3], v[116:117], v[60:61]
	v_add_f64 v[2:3], v[2:3], 0
	s_waitcnt vmcnt(42) lgkmcnt(9)
	v_mul_f64 v[4:5], v[182:183], v[58:59]
	v_fmac_f64_e32 v[4:5], v[184:185], v[50:51]
	v_add_f64 v[2:3], v[2:3], v[4:5]
	buffer_load_dword v119, off, s[0:3], 0 offset:308
	buffer_load_dword v118, off, s[0:3], 0 offset:304
	;; [unrolled: 1-line block ×20, first 2 shown]
	s_waitcnt vmcnt(60) lgkmcnt(8)
	v_mul_f64 v[6:7], v[186:187], v[52:53]
	s_waitcnt vmcnt(58) lgkmcnt(6)
	v_mul_f64 v[10:11], v[200:201], v[68:69]
	s_waitcnt vmcnt(56)
	v_fmac_f64_e32 v[10:11], v[202:203], v[70:71]
	v_mul_f64 v[58:59], v[184:185], v[58:59]
	s_waitcnt vmcnt(54)
	v_mul_f64 v[8:9], v[194:195], v[72:73]
	v_fma_f64 v[224:225], v[182:183], v[50:51], -v[58:59]
	s_waitcnt vmcnt(52) lgkmcnt(4)
	v_mul_f64 v[14:15], v[208:209], v[74:75]
	v_mul_f64 v[50:51], v[188:189], v[52:53]
	s_waitcnt vmcnt(50)
	v_fmac_f64_e32 v[14:15], v[210:211], v[76:77]
	s_waitcnt vmcnt(48)
	v_mul_f64 v[12:13], v[204:205], v[78:79]
	s_waitcnt vmcnt(46) lgkmcnt(2)
	v_mul_f64 v[18:19], v[216:217], v[82:83]
	s_waitcnt vmcnt(43)
	v_mul_f64 v[16:17], v[212:213], v[86:87]
	s_waitcnt vmcnt(41) lgkmcnt(1)
	v_mul_f64 v[20:21], v[54:55], v[80:81]
	s_waitcnt vmcnt(39)
	v_fmac_f64_e32 v[6:7], v[188:189], v[96:97]
	v_add_f64 v[2:3], v[2:3], v[6:7]
	s_waitcnt vmcnt(37)
	v_fmac_f64_e32 v[8:9], v[196:197], v[92:93]
	v_add_f64 v[2:3], v[2:3], v[8:9]
	;; [unrolled: 3-line block ×3, first 2 shown]
	v_add_f64 v[2:3], v[2:3], v[12:13]
	s_waitcnt vmcnt(33)
	v_fmac_f64_e32 v[16:17], v[214:215], v[88:89]
	v_add_f64 v[2:3], v[2:3], v[14:15]
	s_waitcnt vmcnt(32)
	v_fmac_f64_e32 v[18:19], v[218:219], v[84:85]
	v_add_f64 v[2:3], v[2:3], v[16:17]
	v_add_f64 v[2:3], v[2:3], v[18:19]
	v_fma_f64 v[96:97], v[186:187], v[96:97], -v[50:51]
	s_waitcnt vmcnt(26)
	v_fmac_f64_e32 v[20:21], v[56:57], v[0:1]
	v_add_f64 v[2:3], v[2:3], v[20:21]
	v_mul_f64 v[50:51], v[196:197], v[72:73]
	v_mul_f64 v[56:57], v[56:57], v[80:81]
	s_waitcnt vmcnt(0)
	v_pk_mov_b32 v[18:19], v[4:5], v[4:5] op_sel:[0,1]
	buffer_load_dword v5, off, s[0:3], 0 offset:420
	buffer_load_dword v4, off, s[0:3], 0 offset:416
	v_accvgpr_write_b32 a163, v19
	v_accvgpr_write_b32 a162, v18
	s_waitcnt vmcnt(0)
	v_pk_mov_b32 v[22:23], v[4:5], v[4:5] op_sel:[0,1]
	buffer_load_dword v5, off, s[0:3], 0 offset:412
	buffer_load_dword v4, off, s[0:3], 0 offset:408
	v_accvgpr_write_b32 a165, v23
	v_accvgpr_write_b32 a164, v22
	s_waitcnt vmcnt(0)
	v_pk_mov_b32 v[14:15], v[4:5], v[4:5] op_sel:[0,1]
	buffer_load_dword v141, off, s[0:3], 0 offset:404
	buffer_load_dword v140, off, s[0:3], 0 offset:400
	buffer_load_dword v5, off, s[0:3], 0 offset:460
	buffer_load_dword v4, off, s[0:3], 0 offset:456
	v_accvgpr_write_b32 a161, v15
	v_accvgpr_write_b32 a160, v14
	s_waitcnt vmcnt(0)
	v_pk_mov_b32 v[26:27], v[4:5], v[4:5] op_sel:[0,1]
	buffer_load_dword v5, off, s[0:3], 0 offset:452
	buffer_load_dword v4, off, s[0:3], 0 offset:448
	v_accvgpr_write_b32 a167, v27
	v_accvgpr_write_b32 a166, v26
	s_waitcnt vmcnt(0)
	v_pk_mov_b32 v[28:29], v[4:5], v[4:5] op_sel:[0,1]
	buffer_load_dword v145, off, s[0:3], 0 offset:444
	buffer_load_dword v144, off, s[0:3], 0 offset:440
	buffer_load_dword v149, off, s[0:3], 0 offset:436
	buffer_load_dword v148, off, s[0:3], 0 offset:432
	buffer_load_dword v5, off, s[0:3], 0 offset:492
	buffer_load_dword v4, off, s[0:3], 0 offset:488
	v_accvgpr_write_b32 a169, v29
	v_accvgpr_write_b32 a168, v28
	s_waitcnt vmcnt(0)
	v_pk_mov_b32 v[34:35], v[4:5], v[4:5] op_sel:[0,1]
	buffer_load_dword v5, off, s[0:3], 0 offset:484
	buffer_load_dword v4, off, s[0:3], 0 offset:480
	v_accvgpr_write_b32 a171, v35
	v_accvgpr_write_b32 a170, v34
	s_waitcnt vmcnt(0)
	v_pk_mov_b32 v[36:37], v[4:5], v[4:5] op_sel:[0,1]
	buffer_load_dword v153, off, s[0:3], 0 offset:476
	buffer_load_dword v152, off, s[0:3], 0 offset:472
	;; [unrolled: 16-line block ×3, first 2 shown]
	buffer_load_dword v163, off, s[0:3], 0 offset:500
	buffer_load_dword v162, off, s[0:3], 0 offset:496
	;; [unrolled: 1-line block ×26, first 2 shown]
	ds_read_b128 v[220:223], v254 offset:1136
	ds_read_b128 v[232:235], v254 offset:1152
	;; [unrolled: 1-line block ×10, first 2 shown]
	s_waitcnt lgkmcnt(4)
	v_mul_f64 v[8:9], v[248:249], v[106:107]
	v_fmac_f64_e32 v[8:9], v[250:251], v[108:109]
	s_waitcnt lgkmcnt(3)
	v_mul_f64 v[12:13], v[136:137], v[14:15]
	v_fmac_f64_e32 v[12:13], v[138:139], v[140:141]
	s_waitcnt lgkmcnt(2)
	v_mul_f64 v[16:17], v[132:133], v[18:19]
	v_fmac_f64_e32 v[16:17], v[134:135], v[22:23]
	s_waitcnt lgkmcnt(1)
	v_mul_f64 v[20:21], v[128:129], v[144:145]
	v_fmac_f64_e32 v[20:21], v[130:131], v[148:149]
	ds_read_b128 v[120:123], v254 offset:1296
	s_waitcnt lgkmcnt(1)
	v_mul_f64 v[24:25], v[124:125], v[26:27]
	v_fmac_f64_e32 v[24:25], v[126:127], v[28:29]
	v_accvgpr_write_b32 a177, v45
	v_accvgpr_write_b32 a176, v44
	s_waitcnt vmcnt(22)
	v_pk_mov_b32 v[178:179], v[4:5], v[4:5] op_sel:[0,1]
	v_mul_f64 v[4:5], v[62:63], v[94:95]
	v_fmac_f64_e32 v[4:5], v[64:65], v[98:99]
	v_add_f64 v[2:3], v[2:3], v[4:5]
	v_mul_f64 v[4:5], v[220:221], v[104:105]
	v_fmac_f64_e32 v[4:5], v[222:223], v[118:119]
	v_add_f64 v[2:3], v[2:3], v[4:5]
	;; [unrolled: 3-line block ×6, first 2 shown]
	v_add_f64 v[10:11], v[6:7], v[8:9]
	v_add_f64 v[14:15], v[10:11], v[12:13]
	;; [unrolled: 1-line block ×5, first 2 shown]
	ds_read_b128 v[22:25], v254 offset:1312
	s_waitcnt lgkmcnt(1)
	v_mul_f64 v[28:29], v[120:121], v[152:153]
	v_fmac_f64_e32 v[28:29], v[122:123], v[156:157]
	v_add_f64 v[30:31], v[26:27], v[28:29]
	ds_read_b128 v[26:29], v254 offset:1328
	s_waitcnt lgkmcnt(1)
	v_mul_f64 v[32:33], v[22:23], v[34:35]
	v_fmac_f64_e32 v[32:33], v[24:25], v[36:37]
	v_add_f64 v[34:35], v[30:31], v[32:33]
	;; [unrolled: 5-line block ×4, first 2 shown]
	ds_read_b128 v[38:41], v254 offset:1376
	ds_read_b128 v[42:45], v254 offset:1392
	s_waitcnt vmcnt(18) lgkmcnt(2)
	v_mul_f64 v[48:49], v[34:35], v[164:165]
	s_waitcnt vmcnt(16)
	v_fmac_f64_e32 v[48:49], v[36:37], v[166:167]
	v_add_f64 v[46:47], v[46:47], v[48:49]
	s_waitcnt lgkmcnt(1)
	v_mul_f64 v[48:49], v[38:39], v[178:179]
	v_fmac_f64_e32 v[48:49], v[40:41], v[142:143]
	v_add_f64 v[46:47], v[46:47], v[48:49]
	s_waitcnt vmcnt(10) lgkmcnt(0)
	v_mul_f64 v[48:49], v[42:43], v[168:169]
	v_accvgpr_write_b32 a178, v178
	s_waitcnt vmcnt(8)
	v_fmac_f64_e32 v[48:49], v[44:45], v[170:171]
	v_accvgpr_write_b32 a179, v179
	v_add_f64 v[2:3], v[46:47], v[48:49]
	ds_read_b128 v[46:49], v254 offset:1408
	v_mul_f64 v[4:5], v[116:117], v[176:177]
	buffer_load_dword v177, off, s[0:3], 0 offset:636
	buffer_load_dword v176, off, s[0:3], 0 offset:632
	;; [unrolled: 1-line block ×16, first 2 shown]
	v_fma_f64 v[14:15], v[194:195], v[92:93], -v[50:51]
	buffer_load_dword v184, off, s[0:3], 0 offset:712
	buffer_load_dword v197, off, s[0:3], 0 offset:700
	;; [unrolled: 1-line block ×8, first 2 shown]
	v_mul_f64 v[8:9], v[202:203], v[68:69]
	v_fma_f64 v[10:11], v[200:201], v[70:71], -v[8:9]
	buffer_load_dword v201, off, s[0:3], 0 offset:732
	buffer_load_dword v200, off, s[0:3], 0 offset:728
	;; [unrolled: 1-line block ×4, first 2 shown]
	v_mul_f64 v[12:13], v[210:211], v[74:75]
	v_mul_f64 v[50:51], v[206:207], v[78:79]
	v_fma_f64 v[12:13], v[208:209], v[76:77], -v[12:13]
	buffer_load_dword v206, off, s[0:3], 0 offset:744
	buffer_load_dword v208, off, s[0:3], 0 offset:736
	;; [unrolled: 1-line block ×4, first 2 shown]
	v_fma_f64 v[8:9], v[204:205], v[90:91], -v[50:51]
	v_mul_f64 v[50:51], v[214:215], v[86:87]
	v_fma_f64 v[6:7], v[212:213], v[88:89], -v[50:51]
	buffer_load_dword v205, off, s[0:3], 0 offset:780
	buffer_load_dword v211, off, s[0:3], 0 offset:764
	;; [unrolled: 1-line block ×12, first 2 shown]
	v_mul_f64 v[16:17], v[218:219], v[82:83]
	ds_read_b128 v[50:53], v254 offset:1424
	v_fma_f64 v[16:17], v[216:217], v[84:85], -v[16:17]
	buffer_load_dword v216, off, s[0:3], 0 offset:808
	buffer_load_dword v218, off, s[0:3], 0 offset:800
	;; [unrolled: 1-line block ×4, first 2 shown]
	v_fma_f64 v[18:19], v[114:115], v[60:61], -v[4:5]
	v_fma_f64 v[4:5], v[54:55], v[0:1], -v[56:57]
	ds_read_b128 v[54:57], v254 offset:1440
	s_waitcnt lgkmcnt(2)
	v_mul_f64 v[58:59], v[46:47], v[146:147]
	v_fmac_f64_e32 v[58:59], v[48:49], v[150:151]
	v_add_f64 v[2:3], v[2:3], v[58:59]
	s_waitcnt vmcnt(50) lgkmcnt(1)
	v_mul_f64 v[58:59], v[50:51], v[172:173]
	s_waitcnt vmcnt(48)
	v_fmac_f64_e32 v[58:59], v[52:53], v[174:175]
	v_mul_f64 v[64:65], v[64:65], v[94:95]
	v_add_f64 v[2:3], v[2:3], v[58:59]
	v_fma_f64 v[94:95], v[62:63], v[98:99], -v[64:65]
	ds_read_b128 v[62:65], v254 offset:1472
	s_waitcnt lgkmcnt(1)
	v_mul_f64 v[58:59], v[54:55], v[154:155]
	v_fmac_f64_e32 v[58:59], v[56:57], v[158:159]
	v_add_f64 v[2:3], v[2:3], v[58:59]
	ds_read_b128 v[58:61], v254 offset:1456
	v_mul_f64 v[74:75], v[234:235], v[100:101]
	v_fma_f64 v[232:233], v[232:233], v[102:103], -v[74:75]
	ds_read_b128 v[74:77], v254 offset:1520
	v_mul_f64 v[86:87], v[242:243], v[110:111]
	v_fma_f64 v[0:1], v[240:241], v[112:113], -v[86:87]
	v_add_f64 v[18:19], v[18:19], 0
	v_add_f64 v[18:19], v[18:19], v[224:225]
	;; [unrolled: 1-line block ×11, first 2 shown]
	ds_read_b128 v[86:89], v254 offset:1568
	ds_read_b128 v[90:93], v254 offset:1584
	;; [unrolled: 1-line block ×3, first 2 shown]
	s_waitcnt vmcnt(46) lgkmcnt(4)
	v_mul_f64 v[70:71], v[58:59], v[176:177]
	s_waitcnt vmcnt(44)
	v_fmac_f64_e32 v[70:71], v[60:61], v[180:181]
	v_add_f64 v[2:3], v[2:3], v[70:71]
	v_mul_f64 v[70:71], v[222:223], v[104:105]
	v_fma_f64 v[118:119], v[220:221], v[118:119], -v[70:71]
	ds_read_b128 v[220:223], v254 offset:1488
	s_waitcnt vmcnt(41)
	v_mul_f64 v[70:71], v[62:63], v[178:179]
	s_waitcnt vmcnt(40)
	v_fmac_f64_e32 v[70:71], v[64:65], v[182:183]
	v_add_f64 v[2:3], v[2:3], v[70:71]
	ds_read_b128 v[70:73], v254 offset:1504
	s_waitcnt vmcnt(38) lgkmcnt(1)
	v_mul_f64 v[78:79], v[220:221], v[186:187]
	s_waitcnt vmcnt(36)
	v_fmac_f64_e32 v[78:79], v[222:223], v[190:191]
	v_add_f64 v[2:3], v[2:3], v[78:79]
	v_mul_f64 v[78:79], v[238:239], v[252:253]
	v_fma_f64 v[252:253], v[236:237], v[228:229], -v[78:79]
	ds_read_b128 v[78:81], v254 offset:1536
	s_waitcnt vmcnt(34) lgkmcnt(1)
	v_mul_f64 v[82:83], v[70:71], v[188:189]
	s_waitcnt vmcnt(32)
	v_fmac_f64_e32 v[82:83], v[72:73], v[192:193]
	v_add_f64 v[2:3], v[2:3], v[82:83]
	s_waitcnt vmcnt(29)
	v_mul_f64 v[82:83], v[74:75], v[196:197]
	s_waitcnt vmcnt(27)
	v_fmac_f64_e32 v[82:83], v[76:77], v[198:199]
	v_add_f64 v[2:3], v[2:3], v[82:83]
	s_waitcnt vmcnt(25) lgkmcnt(0)
	v_mul_f64 v[82:83], v[78:79], v[184:185]
	s_waitcnt vmcnt(24)
	v_fmac_f64_e32 v[82:83], v[80:81], v[194:195]
	v_add_f64 v[2:3], v[2:3], v[82:83]
	ds_read_b128 v[82:85], v254 offset:1552
	ds_read_b128 v[102:105], v254 offset:1632
	v_add_f64 v[4:5], v[4:5], v[118:119]
	v_add_f64 v[4:5], v[4:5], v[232:233]
	;; [unrolled: 1-line block ×3, first 2 shown]
	s_waitcnt vmcnt(22) lgkmcnt(1)
	v_mul_f64 v[20:21], v[82:83], v[200:201]
	s_waitcnt vmcnt(20)
	v_fmac_f64_e32 v[20:21], v[84:85], v[202:203]
	v_add_f64 v[20:21], v[2:3], v[20:21]
	v_mul_f64 v[2:3], v[246:247], v[230:231]
	v_fma_f64 v[2:3], v[244:245], v[66:67], -v[2:3]
	s_waitcnt vmcnt(17)
	v_mul_f64 v[66:67], v[86:87], v[206:207]
	ds_read_b128 v[228:231], v254 offset:1600
	s_waitcnt vmcnt(16)
	v_fmac_f64_e32 v[66:67], v[88:89], v[208:209]
	v_add_f64 v[20:21], v[20:21], v[66:67]
	v_mul_f64 v[66:67], v[250:251], v[106:107]
	v_fma_f64 v[250:251], v[248:249], v[108:109], -v[66:67]
	s_waitcnt vmcnt(13)
	v_mul_f64 v[66:67], v[90:91], v[210:211]
	s_waitcnt vmcnt(11)
	v_fmac_f64_e32 v[66:67], v[92:93], v[68:69]
	v_add_f64 v[20:21], v[20:21], v[66:67]
	s_waitcnt vmcnt(10) lgkmcnt(0)
	v_mul_f64 v[66:67], v[228:229], v[204:205]
	s_waitcnt vmcnt(8)
	v_fmac_f64_e32 v[66:67], v[230:231], v[214:215]
	v_add_f64 v[20:21], v[20:21], v[66:67]
	s_waitcnt vmcnt(6)
	v_mul_f64 v[66:67], v[98:99], v[212:213]
	s_waitcnt vmcnt(4)
	v_fmac_f64_e32 v[66:67], v[100:101], v[226:227]
	v_add_f64 v[20:21], v[20:21], v[66:67]
	s_waitcnt vmcnt(1)
	v_mul_f64 v[66:67], v[102:103], v[216:217]
	s_waitcnt vmcnt(0)
	v_fmac_f64_e32 v[66:67], v[104:105], v[218:219]
	v_add_f64 v[20:21], v[20:21], v[66:67]
	buffer_load_dword v67, off, s[0:3], 0 offset:828
	buffer_load_dword v66, off, s[0:3], 0 offset:824
	;; [unrolled: 1-line block ×4, first 2 shown]
	ds_read_b128 v[106:109], v254 offset:1648
	buffer_load_dword v236, off, s[0:3], 0 offset:840
	buffer_load_dword v237, off, s[0:3], 0 offset:844
	;; [unrolled: 1-line block ×4, first 2 shown]
	s_waitcnt vmcnt(6) lgkmcnt(0)
	v_mul_f64 v[110:111], v[106:107], v[66:67]
	s_waitcnt vmcnt(4)
	v_fmac_f64_e32 v[110:111], v[108:109], v[234:235]
	v_add_f64 v[20:21], v[20:21], v[110:111]
	ds_read_b128 v[110:113], v254 offset:1664
	buffer_load_dword v243, off, s[0:3], 0 offset:860
	buffer_load_dword v242, off, s[0:3], 0 offset:856
	;; [unrolled: 1-line block ×4, first 2 shown]
	s_waitcnt vmcnt(6) lgkmcnt(0)
	v_mul_f64 v[114:115], v[110:111], v[236:237]
	s_waitcnt vmcnt(4)
	v_fmac_f64_e32 v[114:115], v[112:113], v[238:239]
	v_add_f64 v[20:21], v[20:21], v[114:115]
	ds_read_b128 v[114:117], v254 offset:1680
	buffer_load_dword v248, off, s[0:3], 0 offset:112
	buffer_load_dword v249, off, s[0:3], 0 offset:116
	;; [unrolled: 1-line block ×4, first 2 shown]
	v_add_f64 v[254:255], v[4:5], v[0:1]
	v_add_f64 v[0:1], v[254:255], v[2:3]
	v_accvgpr_read_b32 v2, a160
	v_accvgpr_read_b32 v3, a161
	v_mul_f64 v[2:3], v[138:139], v[2:3]
	v_add_f64 v[0:1], v[0:1], v[250:251]
	v_fma_f64 v[2:3], v[136:137], v[140:141], -v[2:3]
	v_add_f64 v[0:1], v[0:1], v[2:3]
	v_accvgpr_read_b32 v2, a162
	v_accvgpr_read_b32 v3, a163
	v_accvgpr_read_b32 v4, a164
	v_mul_f64 v[2:3], v[134:135], v[2:3]
	v_accvgpr_read_b32 v5, a165
	v_fma_f64 v[2:3], v[132:133], v[4:5], -v[2:3]
	v_add_f64 v[0:1], v[0:1], v[2:3]
	v_mul_f64 v[2:3], v[130:131], v[144:145]
	v_fma_f64 v[2:3], v[128:129], v[148:149], -v[2:3]
	v_add_f64 v[0:1], v[0:1], v[2:3]
	v_accvgpr_read_b32 v2, a166
	v_accvgpr_read_b32 v3, a167
	v_accvgpr_read_b32 v4, a168
	v_mul_f64 v[2:3], v[126:127], v[2:3]
	v_accvgpr_read_b32 v5, a169
	v_fma_f64 v[2:3], v[124:125], v[4:5], -v[2:3]
	v_add_f64 v[0:1], v[0:1], v[2:3]
	v_mul_f64 v[2:3], v[122:123], v[152:153]
	;; [unrolled: 10-line block ×4, first 2 shown]
	v_fma_f64 v[2:3], v[34:35], v[166:167], -v[2:3]
	v_add_f64 v[0:1], v[0:1], v[2:3]
	v_accvgpr_read_b32 v2, a178
	v_accvgpr_read_b32 v3, a179
	v_mul_f64 v[2:3], v[40:41], v[2:3]
	v_fma_f64 v[2:3], v[38:39], v[142:143], -v[2:3]
	v_add_f64 v[0:1], v[0:1], v[2:3]
	v_mul_f64 v[2:3], v[44:45], v[168:169]
	v_fma_f64 v[2:3], v[42:43], v[170:171], -v[2:3]
	v_add_f64 v[0:1], v[0:1], v[2:3]
	;; [unrolled: 3-line block ×19, first 2 shown]
	s_waitcnt vmcnt(6) lgkmcnt(0)
	v_mul_f64 v[2:3], v[116:117], v[242:243]
	v_mul_f64 v[240:241], v[114:115], v[242:243]
	s_waitcnt vmcnt(4)
	v_fma_f64 v[2:3], v[114:115], v[244:245], -v[2:3]
	v_fmac_f64_e32 v[240:241], v[116:117], v[244:245]
	v_add_f64 v[0:1], v[0:1], v[2:3]
	v_accvgpr_read_b32 v255, a158
	v_add_f64 v[240:241], v[20:21], v[240:241]
	s_waitcnt vmcnt(2)
	v_add_f64 v[0:1], v[248:249], -v[0:1]
	v_cmp_lt_u32_e32 vcc, 5, v255
	s_waitcnt vmcnt(0)
	v_add_f64 v[2:3], v[246:247], -v[240:241]
	buffer_store_dword v1, off, s[0:3], 0 offset:116
	buffer_store_dword v0, off, s[0:3], 0 offset:112
	buffer_store_dword v3, off, s[0:3], 0 offset:124
	buffer_store_dword v2, off, s[0:3], 0 offset:120
	s_and_saveexec_b64 s[4:5], vcc
	s_cbranch_execz .LBB52_321
; %bb.320:
	v_accvgpr_read_b32 v3, a153
	buffer_load_dword v0, v3, s[0:3], 0 offen
	buffer_load_dword v1, v3, s[0:3], 0 offen offset:4
	buffer_load_dword v2, v3, s[0:3], 0 offen offset:8
	s_nop 0
	buffer_load_dword v3, v3, s[0:3], 0 offen offset:12
	v_mov_b32_e32 v4, 0
	v_accvgpr_read_b32 v5, a159
	buffer_store_dword v4, off, s[0:3], 0 offset:96
	buffer_store_dword v4, off, s[0:3], 0 offset:100
	;; [unrolled: 1-line block ×4, first 2 shown]
	s_waitcnt vmcnt(4)
	ds_write_b128 v5, v[0:3]
.LBB52_321:
	s_or_b64 exec, exec, s[4:5]
	s_waitcnt lgkmcnt(0)
	; wave barrier
	s_waitcnt lgkmcnt(0)
	buffer_load_dword v48, off, s[0:3], 0 offset:112
	buffer_load_dword v49, off, s[0:3], 0 offset:116
	;; [unrolled: 1-line block ×42, first 2 shown]
	v_mov_b32_e32 v254, 0
	buffer_load_dword v99, off, s[0:3], 0 offset:260
	buffer_load_dword v98, off, s[0:3], 0 offset:256
	;; [unrolled: 1-line block ×7, first 2 shown]
	ds_read_b128 v[112:115], v254 offset:944
	ds_read_b128 v[116:119], v254 offset:960
	;; [unrolled: 1-line block ×11, first 2 shown]
	v_cmp_lt_u32_e32 vcc, 4, v255
	s_waitcnt vmcnt(45) lgkmcnt(10)
	v_mul_f64 v[0:1], v[112:113], v[52:53]
	v_fmac_f64_e32 v[0:1], v[114:115], v[48:49]
	v_add_f64 v[0:1], v[0:1], 0
	v_mul_f64 v[52:53], v[114:115], v[52:53]
	s_waitcnt vmcnt(41) lgkmcnt(9)
	v_mul_f64 v[2:3], v[116:117], v[54:55]
	v_fmac_f64_e32 v[2:3], v[118:119], v[174:175]
	s_waitcnt vmcnt(39) lgkmcnt(8)
	v_mul_f64 v[4:5], v[180:181], v[46:47]
	v_add_f64 v[0:1], v[0:1], v[2:3]
	s_waitcnt vmcnt(37) lgkmcnt(6)
	v_mul_f64 v[8:9], v[190:191], v[62:63]
	v_fma_f64 v[52:53], v[112:113], v[48:49], -v[52:53]
	s_waitcnt vmcnt(35)
	v_fmac_f64_e32 v[8:9], v[192:193], v[56:57]
	v_mul_f64 v[48:49], v[118:119], v[54:55]
	s_waitcnt vmcnt(33)
	v_mul_f64 v[6:7], v[184:185], v[64:65]
	v_add_f64 v[52:53], v[52:53], 0
	s_waitcnt vmcnt(31) lgkmcnt(4)
	v_mul_f64 v[12:13], v[200:201], v[66:67]
	s_waitcnt vmcnt(29)
	v_fmac_f64_e32 v[12:13], v[202:203], v[68:69]
	s_waitcnt vmcnt(27)
	v_mul_f64 v[10:11], v[196:197], v[70:71]
	v_mul_f64 v[54:55], v[198:199], v[70:71]
	s_waitcnt vmcnt(25) lgkmcnt(2)
	v_mul_f64 v[16:17], v[214:215], v[76:77]
	s_waitcnt vmcnt(22)
	v_mul_f64 v[14:15], v[204:205], v[78:79]
	s_waitcnt vmcnt(20) lgkmcnt(1)
	v_mul_f64 v[18:19], v[218:219], v[72:73]
	s_waitcnt vmcnt(18)
	v_fmac_f64_e32 v[4:5], v[182:183], v[90:91]
	v_add_f64 v[0:1], v[0:1], v[4:5]
	s_waitcnt vmcnt(16)
	v_fmac_f64_e32 v[6:7], v[186:187], v[88:89]
	v_add_f64 v[0:1], v[0:1], v[6:7]
	s_waitcnt vmcnt(14)
	v_fmac_f64_e32 v[10:11], v[198:199], v[82:83]
	v_add_f64 v[0:1], v[0:1], v[8:9]
	v_add_f64 v[0:1], v[0:1], v[10:11]
	s_waitcnt vmcnt(12)
	v_fmac_f64_e32 v[14:15], v[206:207], v[80:81]
	v_add_f64 v[0:1], v[0:1], v[12:13]
	s_waitcnt vmcnt(11)
	v_fmac_f64_e32 v[16:17], v[216:217], v[74:75]
	v_add_f64 v[0:1], v[0:1], v[14:15]
	v_add_f64 v[6:7], v[0:1], v[16:17]
	buffer_load_dword v96, off, s[0:3], 0 offset:296
	buffer_load_dword v1, off, s[0:3], 0 offset:292
	;; [unrolled: 1-line block ×21, first 2 shown]
	s_waitcnt vmcnt(26)
	v_fmac_f64_e32 v[18:19], v[220:221], v[98:99]
	v_add_f64 v[6:7], v[6:7], v[18:19]
	s_waitcnt vmcnt(0)
	v_pk_mov_b32 v[14:15], v[4:5], v[4:5] op_sel:[0,1]
	buffer_load_dword v5, off, s[0:3], 0 offset:404
	buffer_load_dword v4, off, s[0:3], 0 offset:400
	v_accvgpr_write_b32 a161, v15
	v_accvgpr_write_b32 a160, v14
	s_waitcnt vmcnt(0)
	v_pk_mov_b32 v[16:17], v[4:5], v[4:5] op_sel:[0,1]
	buffer_load_dword v105, off, s[0:3], 0 offset:396
	buffer_load_dword v104, off, s[0:3], 0 offset:392
	buffer_load_dword v107, off, s[0:3], 0 offset:388
	buffer_load_dword v106, off, s[0:3], 0 offset:384
	buffer_load_dword v5, off, s[0:3], 0 offset:444
	buffer_load_dword v4, off, s[0:3], 0 offset:440
	v_accvgpr_write_b32 a163, v17
	v_accvgpr_write_b32 a162, v16
	s_waitcnt vmcnt(0)
	v_pk_mov_b32 v[22:23], v[4:5], v[4:5] op_sel:[0,1]
	buffer_load_dword v5, off, s[0:3], 0 offset:436
	buffer_load_dword v4, off, s[0:3], 0 offset:432
	v_accvgpr_write_b32 a165, v23
	v_accvgpr_write_b32 a164, v22
	s_waitcnt vmcnt(0)
	v_pk_mov_b32 v[24:25], v[4:5], v[4:5] op_sel:[0,1]
	buffer_load_dword v141, off, s[0:3], 0 offset:428
	buffer_load_dword v140, off, s[0:3], 0 offset:424
	buffer_load_dword v145, off, s[0:3], 0 offset:420
	buffer_load_dword v144, off, s[0:3], 0 offset:416
	buffer_load_dword v5, off, s[0:3], 0 offset:476
	buffer_load_dword v4, off, s[0:3], 0 offset:472
	v_accvgpr_write_b32 a167, v25
	v_accvgpr_write_b32 a166, v24
	s_waitcnt vmcnt(0)
	v_pk_mov_b32 v[30:31], v[4:5], v[4:5] op_sel:[0,1]
	buffer_load_dword v5, off, s[0:3], 0 offset:468
	buffer_load_dword v4, off, s[0:3], 0 offset:464
	v_accvgpr_write_b32 a169, v31
	v_accvgpr_write_b32 a168, v30
	s_waitcnt vmcnt(0)
	v_pk_mov_b32 v[32:33], v[4:5], v[4:5] op_sel:[0,1]
	buffer_load_dword v149, off, s[0:3], 0 offset:460
	buffer_load_dword v148, off, s[0:3], 0 offset:456
	buffer_load_dword v153, off, s[0:3], 0 offset:452
	buffer_load_dword v152, off, s[0:3], 0 offset:448
	buffer_load_dword v5, off, s[0:3], 0 offset:508
	buffer_load_dword v4, off, s[0:3], 0 offset:504
	v_accvgpr_write_b32 a171, v33
	v_accvgpr_write_b32 a170, v32
	s_waitcnt vmcnt(0)
	v_pk_mov_b32 v[38:39], v[4:5], v[4:5] op_sel:[0,1]
	buffer_load_dword v5, off, s[0:3], 0 offset:500
	buffer_load_dword v4, off, s[0:3], 0 offset:496
	;; [unrolled: 1-line block ×30, first 2 shown]
	ds_read_b128 v[230:233], v254 offset:1120
	ds_read_b128 v[234:237], v254 offset:1136
	ds_read_b128 v[238:241], v254 offset:1152
	ds_read_b128 v[242:245], v254 offset:1168
	ds_read_b128 v[246:249], v254 offset:1184
	ds_read_b128 v[250:253], v254 offset:1200
	ds_read_b128 v[120:123], v254 offset:1216
	ds_read_b128 v[136:139], v254 offset:1232
	ds_read_b128 v[132:135], v254 offset:1248
	ds_read_b128 v[128:131], v254 offset:1264
	ds_read_b128 v[124:127], v254 offset:1280
	v_accvgpr_write_b32 a173, v39
	s_waitcnt lgkmcnt(3)
	v_mul_f64 v[12:13], v[136:137], v[14:15]
	v_fmac_f64_e32 v[12:13], v[138:139], v[16:17]
	s_waitcnt lgkmcnt(2)
	v_mul_f64 v[16:17], v[132:133], v[140:141]
	v_fmac_f64_e32 v[16:17], v[134:135], v[144:145]
	;; [unrolled: 3-line block ×3, first 2 shown]
	v_accvgpr_write_b32 a172, v38
	s_waitcnt vmcnt(28)
	v_accvgpr_write_b32 a175, v5
	v_accvgpr_write_b32 a174, v4
	s_waitcnt vmcnt(20)
	v_pk_mov_b32 v[176:177], v[8:9], v[8:9] op_sel:[0,1]
	v_mul_f64 v[8:9], v[58:59], v[84:85]
	v_fmac_f64_e32 v[8:9], v[60:61], v[86:87]
	v_add_f64 v[6:7], v[6:7], v[8:9]
	v_mul_f64 v[8:9], v[230:231], v[96:97]
	v_fmac_f64_e32 v[8:9], v[232:233], v[0:1]
	v_add_f64 v[6:7], v[6:7], v[8:9]
	;; [unrolled: 3-line block ×8, first 2 shown]
	v_add_f64 v[14:15], v[10:11], v[12:13]
	v_add_f64 v[18:19], v[14:15], v[16:17]
	;; [unrolled: 1-line block ×3, first 2 shown]
	ds_read_b128 v[18:21], v254 offset:1296
	s_waitcnt lgkmcnt(1)
	v_mul_f64 v[24:25], v[124:125], v[148:149]
	v_fmac_f64_e32 v[24:25], v[126:127], v[152:153]
	v_add_f64 v[26:27], v[22:23], v[24:25]
	ds_read_b128 v[22:25], v254 offset:1312
	s_waitcnt lgkmcnt(1)
	v_mul_f64 v[28:29], v[18:19], v[30:31]
	v_fmac_f64_e32 v[28:29], v[20:21], v[32:33]
	v_add_f64 v[30:31], v[26:27], v[28:29]
	;; [unrolled: 5-line block ×4, first 2 shown]
	ds_read_b128 v[34:37], v254 offset:1360
	s_waitcnt vmcnt(18) lgkmcnt(1)
	v_mul_f64 v[40:41], v[30:31], v[160:161]
	s_waitcnt vmcnt(16)
	v_fmac_f64_e32 v[40:41], v[32:33], v[162:163]
	v_add_f64 v[42:43], v[38:39], v[40:41]
	v_accvgpr_write_b32 a176, v176
	s_waitcnt lgkmcnt(0)
	v_mul_f64 v[44:45], v[34:35], v[222:223]
	v_fmac_f64_e32 v[44:45], v[36:37], v[176:177]
	ds_read_b128 v[38:41], v254 offset:1376
	v_accvgpr_write_b32 a177, v177
	v_add_f64 v[4:5], v[42:43], v[44:45]
	ds_read_b128 v[42:45], v254 offset:1392
	v_fma_f64 v[14:15], v[116:117], v[174:175], -v[48:49]
	buffer_load_dword v119, off, s[0:3], 0 offset:620
	buffer_load_dword v118, off, s[0:3], 0 offset:616
	;; [unrolled: 1-line block ×8, first 2 shown]
	v_mul_f64 v[8:9], v[182:183], v[46:47]
	v_mul_f64 v[46:47], v[186:187], v[64:65]
	v_fma_f64 v[10:11], v[180:181], v[90:91], -v[8:9]
	v_fma_f64 v[88:89], v[184:185], v[88:89], -v[46:47]
	buffer_load_dword v181, off, s[0:3], 0 offset:668
	buffer_load_dword v185, off, s[0:3], 0 offset:652
	;; [unrolled: 1-line block ×8, first 2 shown]
	v_mul_f64 v[46:47], v[192:193], v[62:63]
	v_fma_f64 v[114:115], v[190:191], v[56:57], -v[46:47]
	buffer_load_dword v182, off, s[0:3], 0 offset:696
	buffer_load_dword v193, off, s[0:3], 0 offset:684
	;; [unrolled: 1-line block ×8, first 2 shown]
	ds_read_b128 v[46:49], v254 offset:1408
	v_fma_f64 v[116:117], v[196:197], v[82:83], -v[54:55]
	buffer_load_dword v197, off, s[0:3], 0 offset:716
	buffer_load_dword v196, off, s[0:3], 0 offset:712
	buffer_load_dword v199, off, s[0:3], 0 offset:708
	buffer_load_dword v198, off, s[0:3], 0 offset:704
	v_mul_f64 v[54:55], v[202:203], v[66:67]
	v_fma_f64 v[8:9], v[200:201], v[68:69], -v[54:55]
	buffer_load_dword v200, off, s[0:3], 0 offset:728
	buffer_load_dword v202, off, s[0:3], 0 offset:720
	;; [unrolled: 1-line block ×4, first 2 shown]
	v_mul_f64 v[12:13], v[206:207], v[78:79]
	v_mul_f64 v[54:55], v[216:217], v[76:77]
	buffer_load_dword v207, off, s[0:3], 0 offset:748
	buffer_load_dword v206, off, s[0:3], 0 offset:744
	;; [unrolled: 1-line block ×8, first 2 shown]
	v_fma_f64 v[12:13], v[204:205], v[80:81], -v[12:13]
	buffer_load_dword v204, off, s[0:3], 0 offset:792
	buffer_load_dword v227, off, s[0:3], 0 offset:780
	;; [unrolled: 1-line block ×8, first 2 shown]
	s_waitcnt vmcnt(58) lgkmcnt(2)
	v_mul_f64 v[112:113], v[38:39], v[164:165]
	s_waitcnt vmcnt(56)
	v_fmac_f64_e32 v[112:113], v[40:41], v[166:167]
	v_fma_f64 v[214:215], v[214:215], v[74:75], -v[54:55]
	s_waitcnt lgkmcnt(1)
	v_mul_f64 v[54:55], v[42:43], v[142:143]
	v_mul_f64 v[56:57], v[220:221], v[72:73]
	v_add_f64 v[4:5], v[4:5], v[112:113]
	v_fmac_f64_e32 v[54:55], v[44:45], v[146:147]
	v_fma_f64 v[6:7], v[218:219], v[98:99], -v[56:57]
	ds_read_b128 v[218:221], v254 offset:1424
	v_add_f64 v[4:5], v[4:5], v[54:55]
	ds_read_b128 v[54:57], v254 offset:1440
	s_waitcnt vmcnt(50) lgkmcnt(2)
	v_mul_f64 v[16:17], v[46:47], v[168:169]
	s_waitcnt vmcnt(48)
	v_fmac_f64_e32 v[16:17], v[48:49], v[170:171]
	v_add_f64 v[4:5], v[4:5], v[16:17]
	s_waitcnt lgkmcnt(1)
	v_mul_f64 v[16:17], v[218:219], v[150:151]
	v_fmac_f64_e32 v[16:17], v[220:221], v[154:155]
	v_add_f64 v[4:5], v[4:5], v[16:17]
	v_mul_f64 v[16:17], v[60:61], v[84:85]
	v_fma_f64 v[16:17], v[58:59], v[86:87], -v[16:17]
	ds_read_b128 v[58:61], v254 offset:1456
	ds_read_b128 v[66:69], v254 offset:1488
	;; [unrolled: 1-line block ×3, first 2 shown]
	v_mul_f64 v[82:83], v[244:245], v[108:109]
	v_add_f64 v[14:15], v[52:53], v[14:15]
	v_add_f64 v[10:11], v[14:15], v[10:11]
	;; [unrolled: 1-line block ×10, first 2 shown]
	v_accvgpr_read_b32 v8, a162
	v_accvgpr_read_b32 v9, a163
	s_waitcnt vmcnt(46) lgkmcnt(3)
	v_mul_f64 v[62:63], v[54:55], v[118:119]
	s_waitcnt vmcnt(44)
	v_fmac_f64_e32 v[62:63], v[56:57], v[178:179]
	v_add_f64 v[4:5], v[4:5], v[62:63]
	v_mul_f64 v[62:63], v[232:233], v[96:97]
	v_fma_f64 v[86:87], v[230:231], v[0:1], -v[62:63]
	ds_read_b128 v[62:65], v254 offset:1472
	s_waitcnt vmcnt(41) lgkmcnt(3)
	v_mul_f64 v[0:1], v[58:59], v[174:175]
	s_waitcnt vmcnt(40)
	v_fmac_f64_e32 v[0:1], v[60:61], v[176:177]
	v_add_f64 v[0:1], v[4:5], v[0:1]
	v_mul_f64 v[4:5], v[236:237], v[92:93]
	s_waitcnt vmcnt(37) lgkmcnt(0)
	v_mul_f64 v[74:75], v[62:63], v[184:185]
	s_waitcnt vmcnt(35)
	v_fmac_f64_e32 v[74:75], v[64:65], v[186:187]
	v_add_f64 v[0:1], v[0:1], v[74:75]
	v_mul_f64 v[74:75], v[240:241], v[172:173]
	v_fma_f64 v[172:173], v[238:239], v[208:209], -v[74:75]
	ds_read_b128 v[74:77], v254 offset:1520
	s_waitcnt vmcnt(34)
	v_mul_f64 v[78:79], v[66:67], v[180:181]
	s_waitcnt vmcnt(32)
	v_fmac_f64_e32 v[78:79], v[68:69], v[188:189]
	v_add_f64 v[0:1], v[0:1], v[78:79]
	s_waitcnt vmcnt(29)
	v_mul_f64 v[78:79], v[70:71], v[192:193]
	s_waitcnt vmcnt(27)
	v_fmac_f64_e32 v[78:79], v[72:73], v[194:195]
	v_add_f64 v[0:1], v[0:1], v[78:79]
	v_fma_f64 v[208:209], v[242:243], v[110:111], -v[82:83]
	ds_read_b128 v[82:85], v254 offset:1552
	s_waitcnt vmcnt(25) lgkmcnt(1)
	v_mul_f64 v[78:79], v[74:75], v[182:183]
	s_waitcnt vmcnt(24)
	v_fmac_f64_e32 v[78:79], v[76:77], v[190:191]
	v_add_f64 v[0:1], v[0:1], v[78:79]
	ds_read_b128 v[78:81], v254 offset:1536
	v_fma_f64 v[4:5], v[234:235], v[94:95], -v[4:5]
	v_mul_f64 v[94:95], v[252:253], v[100:101]
	v_fma_f64 v[252:253], v[250:251], v[102:103], -v[94:95]
	ds_read_b128 v[94:97], v254 offset:1600
	s_waitcnt vmcnt(22) lgkmcnt(1)
	v_mul_f64 v[90:91], v[78:79], v[196:197]
	s_waitcnt vmcnt(20)
	v_fmac_f64_e32 v[90:91], v[80:81], v[198:199]
	v_add_f64 v[90:91], v[0:1], v[90:91]
	v_mul_f64 v[0:1], v[248:249], v[2:3]
	v_fma_f64 v[50:51], v[246:247], v[50:51], -v[0:1]
	ds_read_b128 v[0:3], v254 offset:1568
	s_waitcnt vmcnt(17)
	v_mul_f64 v[92:93], v[82:83], v[200:201]
	s_waitcnt vmcnt(16)
	v_fmac_f64_e32 v[92:93], v[84:85], v[202:203]
	v_add_f64 v[98:99], v[90:91], v[92:93]
	ds_read_b128 v[90:93], v254 offset:1584
	s_waitcnt vmcnt(14) lgkmcnt(1)
	v_mul_f64 v[100:101], v[0:1], v[206:207]
	s_waitcnt vmcnt(12)
	v_fmac_f64_e32 v[100:101], v[2:3], v[210:211]
	v_add_f64 v[102:103], v[98:99], v[100:101]
	v_mul_f64 v[98:99], v[122:123], v[104:105]
	v_fma_f64 v[250:251], v[120:121], v[106:107], -v[98:99]
	ds_read_b128 v[98:101], v254 offset:1616
	buffer_load_dword v231, off, s[0:3], 0 offset:812
	buffer_load_dword v230, off, s[0:3], 0 offset:808
	;; [unrolled: 1-line block ×4, first 2 shown]
	s_waitcnt vmcnt(14) lgkmcnt(1)
	v_mul_f64 v[108:109], v[90:91], v[216:217]
	s_waitcnt vmcnt(12)
	v_fmac_f64_e32 v[108:109], v[92:93], v[212:213]
	s_waitcnt vmcnt(9)
	v_mul_f64 v[104:105], v[94:95], v[226:227]
	v_add_f64 v[102:103], v[102:103], v[108:109]
	s_waitcnt vmcnt(7)
	v_fmac_f64_e32 v[104:105], v[96:97], v[228:229]
	v_add_f64 v[102:103], v[102:103], v[104:105]
	s_waitcnt vmcnt(5) lgkmcnt(0)
	v_mul_f64 v[104:105], v[98:99], v[204:205]
	s_waitcnt vmcnt(4)
	v_fmac_f64_e32 v[104:105], v[100:101], v[224:225]
	v_add_f64 v[106:107], v[102:103], v[104:105]
	ds_read_b128 v[102:105], v254 offset:1632
	buffer_load_dword v234, off, s[0:3], 0 offset:824
	buffer_load_dword v235, off, s[0:3], 0 offset:828
	;; [unrolled: 1-line block ×4, first 2 shown]
	v_add_f64 v[6:7], v[6:7], v[86:87]
	v_add_f64 v[4:5], v[6:7], v[4:5]
	;; [unrolled: 1-line block ×4, first 2 shown]
	v_accvgpr_read_b32 v6, a160
	v_add_f64 v[4:5], v[4:5], v[50:51]
	v_accvgpr_read_b32 v7, a161
	v_add_f64 v[252:253], v[4:5], v[252:253]
	v_mul_f64 v[6:7], v[138:139], v[6:7]
	v_add_f64 v[4:5], v[252:253], v[250:251]
	v_fma_f64 v[6:7], v[136:137], v[8:9], -v[6:7]
	v_add_f64 v[4:5], v[4:5], v[6:7]
	v_mul_f64 v[6:7], v[134:135], v[140:141]
	v_fma_f64 v[6:7], v[132:133], v[144:145], -v[6:7]
	v_add_f64 v[4:5], v[4:5], v[6:7]
	v_accvgpr_read_b32 v6, a164
	v_accvgpr_read_b32 v7, a165
	v_accvgpr_read_b32 v8, a166
	v_mul_f64 v[6:7], v[130:131], v[6:7]
	v_accvgpr_read_b32 v9, a167
	v_fma_f64 v[6:7], v[128:129], v[8:9], -v[6:7]
	v_add_f64 v[4:5], v[4:5], v[6:7]
	v_mul_f64 v[6:7], v[126:127], v[148:149]
	v_fma_f64 v[6:7], v[124:125], v[152:153], -v[6:7]
	v_add_f64 v[4:5], v[4:5], v[6:7]
	v_accvgpr_read_b32 v6, a168
	v_accvgpr_read_b32 v7, a169
	v_accvgpr_read_b32 v8, a170
	v_mul_f64 v[6:7], v[20:21], v[6:7]
	v_accvgpr_read_b32 v9, a171
	;; [unrolled: 10-line block ×3, first 2 shown]
	v_fma_f64 v[6:7], v[26:27], v[8:9], -v[6:7]
	v_add_f64 v[4:5], v[4:5], v[6:7]
	v_mul_f64 v[6:7], v[32:33], v[160:161]
	v_fma_f64 v[6:7], v[30:31], v[162:163], -v[6:7]
	v_accvgpr_read_b32 v8, a176
	v_add_f64 v[4:5], v[4:5], v[6:7]
	v_mul_f64 v[6:7], v[36:37], v[222:223]
	v_accvgpr_read_b32 v9, a177
	v_fma_f64 v[6:7], v[34:35], v[8:9], -v[6:7]
	v_add_f64 v[4:5], v[4:5], v[6:7]
	v_mul_f64 v[6:7], v[40:41], v[164:165]
	v_fma_f64 v[6:7], v[38:39], v[166:167], -v[6:7]
	v_add_f64 v[4:5], v[4:5], v[6:7]
	v_mul_f64 v[6:7], v[44:45], v[142:143]
	;; [unrolled: 3-line block ×6, first 2 shown]
	s_waitcnt vmcnt(6) lgkmcnt(0)
	v_mul_f64 v[108:109], v[102:103], v[230:231]
	v_fma_f64 v[6:7], v[58:59], v[176:177], -v[6:7]
	s_waitcnt vmcnt(4)
	v_fmac_f64_e32 v[108:109], v[104:105], v[232:233]
	v_add_f64 v[110:111], v[106:107], v[108:109]
	ds_read_b128 v[106:109], v254 offset:1648
	buffer_load_dword v239, off, s[0:3], 0 offset:844
	buffer_load_dword v238, off, s[0:3], 0 offset:840
	;; [unrolled: 1-line block ×4, first 2 shown]
	v_add_f64 v[4:5], v[4:5], v[6:7]
	v_mul_f64 v[6:7], v[64:65], v[184:185]
	v_fma_f64 v[6:7], v[62:63], v[186:187], -v[6:7]
	v_add_f64 v[4:5], v[4:5], v[6:7]
	v_mul_f64 v[6:7], v[68:69], v[180:181]
	s_waitcnt vmcnt(6) lgkmcnt(0)
	v_mul_f64 v[112:113], v[106:107], v[234:235]
	v_fma_f64 v[6:7], v[66:67], v[188:189], -v[6:7]
	s_waitcnt vmcnt(4)
	v_fmac_f64_e32 v[112:113], v[108:109], v[236:237]
	v_add_f64 v[120:121], v[110:111], v[112:113]
	ds_read_b128 v[110:113], v254 offset:1664
	buffer_load_dword v244, off, s[0:3], 0 offset:856
	buffer_load_dword v245, off, s[0:3], 0 offset:860
	;; [unrolled: 1-line block ×4, first 2 shown]
	v_add_f64 v[4:5], v[4:5], v[6:7]
	v_mul_f64 v[6:7], v[72:73], v[192:193]
	v_fma_f64 v[6:7], v[70:71], v[194:195], -v[6:7]
	v_add_f64 v[4:5], v[4:5], v[6:7]
	v_mul_f64 v[6:7], v[76:77], v[182:183]
	v_fma_f64 v[6:7], v[74:75], v[190:191], -v[6:7]
	;; [unrolled: 3-line block ×4, first 2 shown]
	v_mul_f64 v[2:3], v[2:3], v[206:207]
	v_add_f64 v[4:5], v[4:5], v[6:7]
	v_fma_f64 v[0:1], v[0:1], v[210:211], -v[2:3]
	v_mul_f64 v[2:3], v[92:93], v[216:217]
	v_add_f64 v[0:1], v[4:5], v[0:1]
	v_fma_f64 v[2:3], v[90:91], v[212:213], -v[2:3]
	v_add_f64 v[0:1], v[0:1], v[2:3]
	v_mul_f64 v[2:3], v[96:97], v[226:227]
	v_fma_f64 v[2:3], v[94:95], v[228:229], -v[2:3]
	v_add_f64 v[0:1], v[0:1], v[2:3]
	v_mul_f64 v[2:3], v[100:101], v[204:205]
	;; [unrolled: 3-line block ×4, first 2 shown]
	v_fma_f64 v[2:3], v[106:107], v[236:237], -v[2:3]
	v_add_f64 v[0:1], v[0:1], v[2:3]
	s_waitcnt vmcnt(6) lgkmcnt(0)
	v_mul_f64 v[122:123], v[110:111], v[238:239]
	v_mul_f64 v[2:3], v[112:113], v[238:239]
	s_waitcnt vmcnt(4)
	v_fmac_f64_e32 v[122:123], v[112:113], v[240:241]
	v_add_f64 v[242:243], v[120:121], v[122:123]
	ds_read_b128 v[120:123], v254 offset:1680
	v_fma_f64 v[2:3], v[110:111], v[240:241], -v[2:3]
	v_add_f64 v[0:1], v[0:1], v[2:3]
	s_waitcnt vmcnt(2) lgkmcnt(0)
	v_mul_f64 v[248:249], v[120:121], v[244:245]
	v_mul_f64 v[2:3], v[122:123], v[244:245]
	s_waitcnt vmcnt(0)
	v_fmac_f64_e32 v[248:249], v[122:123], v[246:247]
	v_add_f64 v[242:243], v[242:243], v[248:249]
	buffer_load_dword v248, off, s[0:3], 0 offset:96
	buffer_load_dword v249, off, s[0:3], 0 offset:100
	;; [unrolled: 1-line block ×4, first 2 shown]
	v_fma_f64 v[2:3], v[120:121], v[246:247], -v[2:3]
	v_add_f64 v[0:1], v[0:1], v[2:3]
	s_waitcnt vmcnt(2)
	v_add_f64 v[0:1], v[248:249], -v[0:1]
	s_waitcnt vmcnt(0)
	v_add_f64 v[2:3], v[214:215], -v[242:243]
	buffer_store_dword v1, off, s[0:3], 0 offset:100
	buffer_store_dword v0, off, s[0:3], 0 offset:96
	;; [unrolled: 1-line block ×4, first 2 shown]
	s_and_saveexec_b64 s[4:5], vcc
	s_cbranch_execz .LBB52_323
; %bb.322:
	v_accvgpr_read_b32 v3, a154
	buffer_load_dword v0, v3, s[0:3], 0 offen
	buffer_load_dword v1, v3, s[0:3], 0 offen offset:4
	buffer_load_dword v2, v3, s[0:3], 0 offen offset:8
	s_nop 0
	buffer_load_dword v3, v3, s[0:3], 0 offen offset:12
	v_accvgpr_read_b32 v4, a159
	buffer_store_dword v254, off, s[0:3], 0 offset:80
	buffer_store_dword v254, off, s[0:3], 0 offset:84
	;; [unrolled: 1-line block ×4, first 2 shown]
	s_waitcnt vmcnt(4)
	ds_write_b128 v4, v[0:3]
.LBB52_323:
	s_or_b64 exec, exec, s[4:5]
	s_waitcnt lgkmcnt(0)
	; wave barrier
	s_waitcnt lgkmcnt(0)
	buffer_load_dword v42, off, s[0:3], 0 offset:96
	buffer_load_dword v43, off, s[0:3], 0 offset:100
	;; [unrolled: 1-line block ×42, first 2 shown]
	ds_read_b128 v[110:113], v254 offset:928
	ds_read_b128 v[114:117], v254 offset:944
	;; [unrolled: 1-line block ×10, first 2 shown]
	buffer_load_dword v1, off, s[0:3], 0 offset:244
	buffer_load_dword v0, off, s[0:3], 0 offset:240
	ds_read_b128 v[50:53], v254 offset:1088
	buffer_load_dword v89, off, s[0:3], 0 offset:300
	buffer_load_dword v88, off, s[0:3], 0 offset:296
	;; [unrolled: 1-line block ×8, first 2 shown]
	s_waitcnt vmcnt(48) lgkmcnt(10)
	v_mul_f64 v[2:3], v[110:111], v[48:49]
	v_fmac_f64_e32 v[2:3], v[112:113], v[42:43]
	v_add_f64 v[2:3], v[2:3], 0
	v_mul_f64 v[48:49], v[112:113], v[48:49]
	s_waitcnt vmcnt(44) lgkmcnt(9)
	v_mul_f64 v[4:5], v[114:115], v[54:55]
	v_fmac_f64_e32 v[4:5], v[116:117], v[44:45]
	s_waitcnt vmcnt(42) lgkmcnt(8)
	v_mul_f64 v[6:7], v[176:177], v[46:47]
	v_add_f64 v[2:3], v[2:3], v[4:5]
	s_waitcnt vmcnt(40) lgkmcnt(6)
	v_mul_f64 v[10:11], v[188:189], v[58:59]
	v_mul_f64 v[46:47], v[178:179], v[46:47]
	s_waitcnt vmcnt(38)
	v_fmac_f64_e32 v[10:11], v[190:191], v[56:57]
	s_waitcnt vmcnt(36)
	v_mul_f64 v[8:9], v[180:181], v[60:61]
	s_waitcnt vmcnt(34) lgkmcnt(4)
	v_mul_f64 v[14:15], v[196:197], v[208:209]
	s_waitcnt vmcnt(32)
	v_fmac_f64_e32 v[14:15], v[198:199], v[64:65]
	s_waitcnt vmcnt(30)
	v_mul_f64 v[12:13], v[192:193], v[66:67]
	s_waitcnt vmcnt(28) lgkmcnt(2)
	v_mul_f64 v[18:19], v[204:205], v[68:69]
	s_waitcnt vmcnt(25)
	v_mul_f64 v[16:17], v[200:201], v[74:75]
	s_waitcnt vmcnt(23) lgkmcnt(1)
	v_mul_f64 v[20:21], v[210:211], v[72:73]
	s_waitcnt vmcnt(21)
	v_fmac_f64_e32 v[6:7], v[178:179], v[82:83]
	v_add_f64 v[2:3], v[2:3], v[6:7]
	s_waitcnt vmcnt(19)
	v_fmac_f64_e32 v[8:9], v[182:183], v[80:81]
	v_add_f64 v[2:3], v[2:3], v[8:9]
	;; [unrolled: 3-line block ×3, first 2 shown]
	v_add_f64 v[2:3], v[2:3], v[12:13]
	s_waitcnt vmcnt(15)
	v_fmac_f64_e32 v[16:17], v[202:203], v[76:77]
	v_add_f64 v[2:3], v[2:3], v[14:15]
	s_waitcnt vmcnt(14)
	v_fmac_f64_e32 v[18:19], v[206:207], v[70:71]
	v_add_f64 v[2:3], v[2:3], v[16:17]
	v_add_f64 v[6:7], v[2:3], v[18:19]
	buffer_load_dword v107, off, s[0:3], 0 offset:332
	buffer_load_dword v106, off, s[0:3], 0 offset:328
	;; [unrolled: 1-line block ×26, first 2 shown]
	s_waitcnt vmcnt(34)
	v_fmac_f64_e32 v[20:21], v[212:213], v[0:1]
	v_add_f64 v[6:7], v[6:7], v[20:21]
	v_fma_f64 v[82:83], v[176:177], v[82:83], -v[46:47]
	v_mul_f64 v[46:47], v[182:183], v[60:61]
	v_fma_f64 v[80:81], v[180:181], v[80:81], -v[46:47]
	v_mul_f64 v[46:47], v[190:191], v[58:59]
	;; [unrolled: 2-line block ×3, first 2 shown]
	s_waitcnt vmcnt(0)
	v_pk_mov_b32 v[18:19], v[4:5], v[4:5] op_sel:[0,1]
	buffer_load_dword v5, off, s[0:3], 0 offset:420
	buffer_load_dword v9, off, s[0:3], 0 offset:412
	;; [unrolled: 1-line block ×3, first 2 shown]
	v_accvgpr_write_b32 a165, v19
	v_accvgpr_write_b32 a164, v18
	s_waitcnt vmcnt(0)
	v_pk_mov_b32 v[14:15], v[8:9], v[8:9] op_sel:[0,1]
	buffer_load_dword v9, off, s[0:3], 0 offset:404
	buffer_load_dword v8, off, s[0:3], 0 offset:400
	buffer_load_dword v4, off, s[0:3], 0 offset:416
	v_accvgpr_write_b32 a161, v15
	v_accvgpr_write_b32 a160, v14
	s_waitcnt vmcnt(1)
	v_pk_mov_b32 v[16:17], v[8:9], v[8:9] op_sel:[0,1]
	s_waitcnt vmcnt(0)
	v_pk_mov_b32 v[22:23], v[4:5], v[4:5] op_sel:[0,1]
	buffer_load_dword v5, off, s[0:3], 0 offset:460
	buffer_load_dword v4, off, s[0:3], 0 offset:456
	s_waitcnt lgkmcnt(0)
	v_mul_f64 v[8:9], v[50:51], v[84:85]
	v_fmac_f64_e32 v[8:9], v[52:53], v[86:87]
	v_add_f64 v[6:7], v[6:7], v[8:9]
	v_accvgpr_write_b32 a163, v17
	v_accvgpr_write_b32 a162, v16
	;; [unrolled: 1-line block ×4, first 2 shown]
	v_mul_f64 v[52:53], v[52:53], v[84:85]
	v_fma_f64 v[84:85], v[50:51], v[86:87], -v[52:53]
	s_waitcnt vmcnt(0)
	v_pk_mov_b32 v[26:27], v[4:5], v[4:5] op_sel:[0,1]
	buffer_load_dword v5, off, s[0:3], 0 offset:452
	buffer_load_dword v143, off, s[0:3], 0 offset:444
	;; [unrolled: 1-line block ×6, first 2 shown]
	v_accvgpr_write_b32 a169, v27
	v_accvgpr_write_b32 a168, v26
	s_waitcnt vmcnt(0)
	v_pk_mov_b32 v[28:29], v[4:5], v[4:5] op_sel:[0,1]
	buffer_load_dword v5, off, s[0:3], 0 offset:492
	buffer_load_dword v4, off, s[0:3], 0 offset:488
	v_accvgpr_write_b32 a171, v29
	v_accvgpr_write_b32 a170, v28
	s_waitcnt vmcnt(0)
	v_pk_mov_b32 v[34:35], v[4:5], v[4:5] op_sel:[0,1]
	buffer_load_dword v5, off, s[0:3], 0 offset:484
	buffer_load_dword v151, off, s[0:3], 0 offset:476
	;; [unrolled: 1-line block ×6, first 2 shown]
	v_accvgpr_write_b32 a173, v35
	v_accvgpr_write_b32 a172, v34
	s_waitcnt vmcnt(0)
	v_pk_mov_b32 v[36:37], v[4:5], v[4:5] op_sel:[0,1]
	buffer_load_dword v5, off, s[0:3], 0 offset:524
	buffer_load_dword v4, off, s[0:3], 0 offset:520
	v_accvgpr_write_b32 a175, v37
	v_accvgpr_write_b32 a174, v36
	s_waitcnt vmcnt(0)
	v_pk_mov_b32 v[38:39], v[4:5], v[4:5] op_sel:[0,1]
	buffer_load_dword v5, off, s[0:3], 0 offset:516
	buffer_load_dword v155, off, s[0:3], 0 offset:508
	buffer_load_dword v154, off, s[0:3], 0 offset:504
	buffer_load_dword v157, off, s[0:3], 0 offset:500
	buffer_load_dword v156, off, s[0:3], 0 offset:496
	buffer_load_dword v4, off, s[0:3], 0 offset:512
	buffer_load_dword v141, off, s[0:3], 0 offset:556
	buffer_load_dword v140, off, s[0:3], 0 offset:552
	buffer_load_dword v145, off, s[0:3], 0 offset:548
	buffer_load_dword v159, off, s[0:3], 0 offset:540
	buffer_load_dword v158, off, s[0:3], 0 offset:536
	buffer_load_dword v163, off, s[0:3], 0 offset:532
	buffer_load_dword v162, off, s[0:3], 0 offset:528
	buffer_load_dword v144, off, s[0:3], 0 offset:544
	buffer_load_dword v149, off, s[0:3], 0 offset:588
	buffer_load_dword v148, off, s[0:3], 0 offset:584
	buffer_load_dword v161, off, s[0:3], 0 offset:572
	buffer_load_dword v160, off, s[0:3], 0 offset:568
	buffer_load_dword v165, off, s[0:3], 0 offset:564
	buffer_load_dword v164, off, s[0:3], 0 offset:560
	ds_read_b128 v[214:217], v254 offset:1104
	ds_read_b128 v[218:221], v254 offset:1120
	;; [unrolled: 1-line block ×6, first 2 shown]
	s_waitcnt lgkmcnt(5)
	v_mul_f64 v[8:9], v[214:215], v[96:97]
	v_fmac_f64_e32 v[8:9], v[216:217], v[118:119]
	v_add_f64 v[6:7], v[6:7], v[8:9]
	s_waitcnt lgkmcnt(4)
	v_mul_f64 v[8:9], v[218:219], v[88:89]
	v_fmac_f64_e32 v[8:9], v[220:221], v[90:91]
	v_add_f64 v[6:7], v[6:7], v[8:9]
	;; [unrolled: 4-line block ×3, first 2 shown]
	s_waitcnt lgkmcnt(2)
	v_mul_f64 v[8:9], v[234:235], v[106:107]
	v_fmac_f64_e32 v[8:9], v[236:237], v[108:109]
	ds_read_b128 v[246:249], v254 offset:1200
	ds_read_b128 v[250:253], v254 offset:1216
	v_add_f64 v[6:7], v[6:7], v[8:9]
	s_waitcnt lgkmcnt(3)
	v_mul_f64 v[8:9], v[238:239], v[224:225]
	v_fmac_f64_e32 v[8:9], v[240:241], v[2:3]
	v_add_f64 v[6:7], v[6:7], v[8:9]
	s_waitcnt lgkmcnt(2)
	v_mul_f64 v[8:9], v[242:243], v[92:93]
	ds_read_b128 v[136:139], v254 offset:1232
	ds_read_b128 v[132:135], v254 offset:1248
	v_fmac_f64_e32 v[8:9], v[244:245], v[94:95]
	v_add_f64 v[6:7], v[6:7], v[8:9]
	s_waitcnt lgkmcnt(3)
	v_mul_f64 v[8:9], v[246:247], v[102:103]
	ds_read_b128 v[128:131], v254 offset:1264
	ds_read_b128 v[124:127], v254 offset:1280
	v_fmac_f64_e32 v[8:9], v[248:249], v[104:105]
	v_add_f64 v[6:7], v[6:7], v[8:9]
	s_waitcnt lgkmcnt(4)
	v_mul_f64 v[8:9], v[250:251], v[98:99]
	v_fmac_f64_e32 v[8:9], v[252:253], v[100:101]
	s_waitcnt lgkmcnt(3)
	v_mul_f64 v[12:13], v[136:137], v[14:15]
	v_add_f64 v[10:11], v[6:7], v[8:9]
	v_fmac_f64_e32 v[12:13], v[138:139], v[16:17]
	s_waitcnt lgkmcnt(2)
	v_mul_f64 v[16:17], v[132:133], v[18:19]
	ds_read_b128 v[120:123], v254 offset:1296
	v_add_f64 v[14:15], v[10:11], v[12:13]
	v_fmac_f64_e32 v[16:17], v[134:135], v[22:23]
	s_waitcnt lgkmcnt(2)
	v_mul_f64 v[20:21], v[128:129], v[142:143]
	v_add_f64 v[18:19], v[14:15], v[16:17]
	v_fmac_f64_e32 v[20:21], v[130:131], v[146:147]
	s_waitcnt lgkmcnt(1)
	v_mul_f64 v[24:25], v[124:125], v[26:27]
	v_add_f64 v[22:23], v[18:19], v[20:21]
	v_fmac_f64_e32 v[24:25], v[126:127], v[28:29]
	v_add_f64 v[26:27], v[22:23], v[24:25]
	ds_read_b128 v[22:25], v254 offset:1312
	s_waitcnt lgkmcnt(1)
	v_mul_f64 v[28:29], v[120:121], v[150:151]
	v_fmac_f64_e32 v[28:29], v[122:123], v[152:153]
	v_add_f64 v[30:31], v[26:27], v[28:29]
	ds_read_b128 v[26:29], v254 offset:1328
	s_waitcnt lgkmcnt(1)
	v_mul_f64 v[32:33], v[22:23], v[34:35]
	v_fmac_f64_e32 v[32:33], v[24:25], v[36:37]
	v_add_f64 v[34:35], v[30:31], v[32:33]
	ds_read_b128 v[30:33], v254 offset:1344
	v_accvgpr_write_b32 a177, v39
	v_accvgpr_write_b32 a176, v38
	v_mul_f64 v[8:9], v[116:117], v[54:55]
	v_fma_f64 v[18:19], v[110:111], v[42:43], -v[48:49]
	s_waitcnt vmcnt(17) lgkmcnt(1)
	v_mul_f64 v[36:37], v[26:27], v[154:155]
	s_waitcnt lgkmcnt(0)
	v_mul_f64 v[168:169], v[30:31], v[38:39]
	s_waitcnt vmcnt(15)
	v_fmac_f64_e32 v[36:37], v[28:29], v[156:157]
	v_add_f64 v[166:167], v[34:35], v[36:37]
	ds_read_b128 v[34:37], v254 offset:1360
	ds_read_b128 v[38:41], v254 offset:1376
	s_waitcnt vmcnt(14)
	v_fmac_f64_e32 v[168:169], v[32:33], v[4:5]
	v_add_f64 v[166:167], v[166:167], v[168:169]
	v_accvgpr_write_b32 a179, v5
	s_waitcnt vmcnt(9) lgkmcnt(1)
	v_mul_f64 v[168:169], v[34:35], v[158:159]
	s_waitcnt vmcnt(7)
	v_fmac_f64_e32 v[168:169], v[36:37], v[162:163]
	v_add_f64 v[166:167], v[166:167], v[168:169]
	s_waitcnt lgkmcnt(0)
	v_mul_f64 v[168:169], v[38:39], v[140:141]
	s_waitcnt vmcnt(6)
	v_fmac_f64_e32 v[168:169], v[40:41], v[144:145]
	v_accvgpr_write_b32 a178, v4
	v_add_f64 v[4:5], v[166:167], v[168:169]
	buffer_load_dword v169, off, s[0:3], 0 offset:580
	buffer_load_dword v168, off, s[0:3], 0 offset:576
	;; [unrolled: 1-line block ×10, first 2 shown]
	v_fma_f64 v[14:15], v[114:115], v[44:45], -v[8:9]
	ds_read_b128 v[42:45], v254 offset:1392
	buffer_load_dword v177, off, s[0:3], 0 offset:636
	buffer_load_dword v176, off, s[0:3], 0 offset:632
	;; [unrolled: 1-line block ×13, first 2 shown]
	v_fma_f64 v[10:11], v[192:193], v[78:79], -v[46:47]
	buffer_load_dword v192, off, s[0:3], 0 offset:672
	buffer_load_dword v189, off, s[0:3], 0 offset:684
	;; [unrolled: 1-line block ×3, first 2 shown]
	v_mul_f64 v[12:13], v[198:199], v[208:209]
	v_fma_f64 v[12:13], v[196:197], v[64:65], -v[12:13]
	buffer_load_dword v78, off, s[0:3], 0 offset:712
	buffer_load_dword v197, off, s[0:3], 0 offset:700
	;; [unrolled: 1-line block ×8, first 2 shown]
	v_mul_f64 v[48:49], v[202:203], v[74:75]
	v_fma_f64 v[8:9], v[200:201], v[76:77], -v[48:49]
	buffer_load_dword v201, off, s[0:3], 0 offset:732
	buffer_load_dword v200, off, s[0:3], 0 offset:728
	;; [unrolled: 1-line block ×4, first 2 shown]
	v_mul_f64 v[16:17], v[206:207], v[68:69]
	buffer_load_dword v207, off, s[0:3], 0 offset:748
	buffer_load_dword v206, off, s[0:3], 0 offset:744
	;; [unrolled: 1-line block ×4, first 2 shown]
	v_mul_f64 v[48:49], v[212:213], v[72:73]
	v_fma_f64 v[16:17], v[204:205], v[70:71], -v[16:17]
	v_fma_f64 v[6:7], v[210:211], v[0:1], -v[48:49]
	buffer_load_dword v204, off, s[0:3], 0 offset:776
	buffer_load_dword v213, off, s[0:3], 0 offset:764
	;; [unrolled: 1-line block ×12, first 2 shown]
	s_waitcnt vmcnt(56) lgkmcnt(0)
	v_mul_f64 v[46:47], v[42:43], v[160:161]
	s_waitcnt vmcnt(54)
	v_fmac_f64_e32 v[46:47], v[44:45], v[164:165]
	v_add_f64 v[4:5], v[4:5], v[46:47]
	ds_read_b128 v[46:49], v254 offset:1408
	ds_read_b128 v[50:53], v254 offset:1424
	v_mul_f64 v[54:55], v[216:217], v[96:97]
	v_fma_f64 v[118:119], v[214:215], v[118:119], -v[54:55]
	ds_read_b128 v[54:57], v254 offset:1440
	s_waitcnt lgkmcnt(2)
	v_mul_f64 v[58:59], v[46:47], v[148:149]
	v_mul_f64 v[66:67], v[220:221], v[88:89]
	v_fma_f64 v[214:215], v[218:219], v[90:91], -v[66:67]
	ds_read_b128 v[216:219], v254 offset:1472
	v_mul_f64 v[66:67], v[232:233], v[222:223]
	v_fma_f64 v[62:63], v[230:231], v[62:63], -v[66:67]
	v_mul_f64 v[74:75], v[236:237], v[106:107]
	v_fma_f64 v[230:231], v[234:235], v[108:109], -v[74:75]
	ds_read_b128 v[220:223], v254 offset:1536
	v_mul_f64 v[88:89], v[240:241], v[224:225]
	v_fma_f64 v[0:1], v[238:239], v[2:3], -v[88:89]
	v_mul_f64 v[90:91], v[248:249], v[102:103]
	v_fma_f64 v[224:225], v[246:247], v[104:105], -v[90:91]
	;; [unrolled: 2-line block ×3, first 2 shown]
	v_add_f64 v[18:19], v[18:19], 0
	v_add_f64 v[14:15], v[18:19], v[14:15]
	;; [unrolled: 1-line block ×16, first 2 shown]
	v_accvgpr_read_b32 v6, a160
	v_accvgpr_read_b32 v7, a161
	;; [unrolled: 1-line block ×3, first 2 shown]
	v_mul_f64 v[6:7], v[138:139], v[6:7]
	v_accvgpr_read_b32 v9, a163
	ds_read_b128 v[66:69], v254 offset:1488
	v_fma_f64 v[6:7], v[136:137], v[8:9], -v[6:7]
	v_accvgpr_read_b32 v8, a166
	v_accvgpr_read_b32 v9, a167
	ds_read_b128 v[74:77], v254 offset:1520
	ds_read_b128 v[98:101], v254 offset:1616
	s_waitcnt vmcnt(52)
	v_fmac_f64_e32 v[58:59], v[48:49], v[168:169]
	v_add_f64 v[4:5], v[4:5], v[58:59]
	s_waitcnt vmcnt(49) lgkmcnt(6)
	v_mul_f64 v[58:59], v[50:51], v[172:173]
	s_waitcnt vmcnt(47)
	v_fmac_f64_e32 v[58:59], v[52:53], v[174:175]
	v_add_f64 v[4:5], v[4:5], v[58:59]
	s_waitcnt vmcnt(45) lgkmcnt(5)
	v_mul_f64 v[58:59], v[54:55], v[166:167]
	s_waitcnt vmcnt(44)
	v_fmac_f64_e32 v[58:59], v[56:57], v[170:171]
	v_add_f64 v[4:5], v[4:5], v[58:59]
	ds_read_b128 v[58:61], v254 offset:1456
	s_waitcnt vmcnt(42) lgkmcnt(0)
	v_mul_f64 v[70:71], v[58:59], v[176:177]
	s_waitcnt vmcnt(40)
	v_fmac_f64_e32 v[70:71], v[60:61], v[178:179]
	v_add_f64 v[4:5], v[4:5], v[70:71]
	s_waitcnt vmcnt(38)
	v_mul_f64 v[70:71], v[216:217], v[180:181]
	s_waitcnt vmcnt(36)
	v_fmac_f64_e32 v[70:71], v[218:219], v[184:185]
	v_add_f64 v[4:5], v[4:5], v[70:71]
	s_waitcnt vmcnt(34)
	v_mul_f64 v[70:71], v[66:67], v[182:183]
	s_waitcnt vmcnt(32)
	v_fmac_f64_e32 v[70:71], v[68:69], v[186:187]
	v_add_f64 v[4:5], v[4:5], v[70:71]
	ds_read_b128 v[70:73], v254 offset:1504
	s_waitcnt vmcnt(29) lgkmcnt(0)
	v_mul_f64 v[86:87], v[70:71], v[188:189]
	s_waitcnt vmcnt(28)
	v_fmac_f64_e32 v[86:87], v[72:73], v[192:193]
	v_add_f64 v[2:3], v[4:5], v[86:87]
	s_waitcnt vmcnt(25)
	v_mul_f64 v[4:5], v[74:75], v[196:197]
	s_waitcnt vmcnt(23)
	v_fmac_f64_e32 v[4:5], v[76:77], v[198:199]
	v_mul_f64 v[86:87], v[244:245], v[92:93]
	v_add_f64 v[2:3], v[2:3], v[4:5]
	v_fma_f64 v[242:243], v[242:243], v[94:95], -v[86:87]
	ds_read_b128 v[86:89], v254 offset:1568
	s_waitcnt vmcnt(21)
	v_mul_f64 v[4:5], v[220:221], v[78:79]
	s_waitcnt vmcnt(20)
	v_fmac_f64_e32 v[4:5], v[222:223], v[194:195]
	v_add_f64 v[20:21], v[2:3], v[4:5]
	ds_read_b128 v[2:5], v254 offset:1552
	ds_read_b128 v[90:93], v254 offset:1584
	s_waitcnt vmcnt(18) lgkmcnt(1)
	v_mul_f64 v[94:95], v[2:3], v[200:201]
	s_waitcnt vmcnt(16)
	v_fmac_f64_e32 v[94:95], v[4:5], v[202:203]
	v_add_f64 v[20:21], v[20:21], v[94:95]
	s_waitcnt vmcnt(14)
	v_mul_f64 v[94:95], v[86:87], v[206:207]
	s_waitcnt vmcnt(12)
	v_fmac_f64_e32 v[94:95], v[88:89], v[208:209]
	v_add_f64 v[20:21], v[20:21], v[94:95]
	ds_read_b128 v[94:97], v254 offset:1600
	buffer_load_dword v250, off, s[0:3], 0 offset:808
	buffer_load_dword v251, off, s[0:3], 0 offset:812
	;; [unrolled: 1-line block ×4, first 2 shown]
	s_waitcnt vmcnt(13) lgkmcnt(1)
	v_mul_f64 v[102:103], v[90:91], v[212:213]
	s_waitcnt vmcnt(11)
	v_fmac_f64_e32 v[102:103], v[92:93], v[226:227]
	v_add_f64 v[20:21], v[20:21], v[102:103]
	s_waitcnt vmcnt(9) lgkmcnt(0)
	v_mul_f64 v[102:103], v[94:95], v[204:205]
	s_waitcnt vmcnt(8)
	v_fmac_f64_e32 v[102:103], v[96:97], v[210:211]
	v_add_f64 v[20:21], v[20:21], v[102:103]
	s_waitcnt vmcnt(6)
	v_mul_f64 v[102:103], v[98:99], v[64:65]
	s_waitcnt vmcnt(4)
	v_fmac_f64_e32 v[102:103], v[100:101], v[228:229]
	v_add_f64 v[20:21], v[20:21], v[102:103]
	ds_read_b128 v[102:105], v254 offset:1632
	buffer_load_dword v235, off, s[0:3], 0 offset:828
	buffer_load_dword v234, off, s[0:3], 0 offset:824
	;; [unrolled: 1-line block ×4, first 2 shown]
	v_mul_f64 v[4:5], v[4:5], v[200:201]
	v_fma_f64 v[2:3], v[2:3], v[202:203], -v[4:5]
	s_waitcnt vmcnt(6) lgkmcnt(0)
	v_mul_f64 v[106:107], v[102:103], v[250:251]
	s_waitcnt vmcnt(4)
	v_fmac_f64_e32 v[106:107], v[104:105], v[232:233]
	v_add_f64 v[20:21], v[20:21], v[106:107]
	ds_read_b128 v[106:109], v254 offset:1648
	buffer_load_dword v238, off, s[0:3], 0 offset:840
	buffer_load_dword v239, off, s[0:3], 0 offset:844
	;; [unrolled: 1-line block ×4, first 2 shown]
	s_waitcnt vmcnt(6) lgkmcnt(0)
	v_mul_f64 v[110:111], v[106:107], v[234:235]
	s_waitcnt vmcnt(4)
	v_fmac_f64_e32 v[110:111], v[108:109], v[236:237]
	v_add_f64 v[20:21], v[20:21], v[110:111]
	ds_read_b128 v[110:113], v254 offset:1664
	buffer_load_dword v245, off, s[0:3], 0 offset:860
	buffer_load_dword v244, off, s[0:3], 0 offset:856
	;; [unrolled: 1-line block ×4, first 2 shown]
	s_waitcnt vmcnt(6) lgkmcnt(0)
	v_mul_f64 v[114:115], v[110:111], v[238:239]
	s_waitcnt vmcnt(4)
	v_fmac_f64_e32 v[114:115], v[112:113], v[240:241]
	v_add_f64 v[20:21], v[20:21], v[114:115]
	ds_read_b128 v[114:117], v254 offset:1680
	v_add_f64 v[254:255], v[0:1], v[242:243]
	v_add_f64 v[0:1], v[254:255], v[224:225]
	;; [unrolled: 1-line block ×4, first 2 shown]
	v_accvgpr_read_b32 v6, a164
	v_accvgpr_read_b32 v7, a165
	s_waitcnt vmcnt(2) lgkmcnt(0)
	v_mul_f64 v[248:249], v[114:115], v[244:245]
	v_mul_f64 v[6:7], v[134:135], v[6:7]
	s_waitcnt vmcnt(0)
	v_fmac_f64_e32 v[248:249], v[116:117], v[246:247]
	v_add_f64 v[20:21], v[20:21], v[248:249]
	buffer_load_dword v248, off, s[0:3], 0 offset:80
	buffer_load_dword v249, off, s[0:3], 0 offset:84
	;; [unrolled: 1-line block ×4, first 2 shown]
	v_fma_f64 v[6:7], v[132:133], v[8:9], -v[6:7]
	v_add_f64 v[0:1], v[0:1], v[6:7]
	v_mul_f64 v[6:7], v[130:131], v[142:143]
	v_fma_f64 v[6:7], v[128:129], v[146:147], -v[6:7]
	v_add_f64 v[0:1], v[0:1], v[6:7]
	v_accvgpr_read_b32 v6, a168
	v_accvgpr_read_b32 v7, a169
	v_accvgpr_read_b32 v8, a170
	v_mul_f64 v[6:7], v[126:127], v[6:7]
	v_accvgpr_read_b32 v9, a171
	v_fma_f64 v[6:7], v[124:125], v[8:9], -v[6:7]
	v_add_f64 v[0:1], v[0:1], v[6:7]
	v_mul_f64 v[6:7], v[122:123], v[150:151]
	v_fma_f64 v[6:7], v[120:121], v[152:153], -v[6:7]
	v_add_f64 v[0:1], v[0:1], v[6:7]
	v_accvgpr_read_b32 v6, a172
	v_accvgpr_read_b32 v7, a173
	v_accvgpr_read_b32 v8, a174
	v_mul_f64 v[6:7], v[24:25], v[6:7]
	v_accvgpr_read_b32 v9, a175
	;; [unrolled: 10-line block ×3, first 2 shown]
	v_fma_f64 v[6:7], v[30:31], v[8:9], -v[6:7]
	v_add_f64 v[0:1], v[0:1], v[6:7]
	v_mul_f64 v[6:7], v[36:37], v[158:159]
	v_fma_f64 v[6:7], v[34:35], v[162:163], -v[6:7]
	v_add_f64 v[0:1], v[0:1], v[6:7]
	v_mul_f64 v[6:7], v[40:41], v[140:141]
	;; [unrolled: 3-line block ×12, first 2 shown]
	v_fma_f64 v[6:7], v[220:221], v[194:195], -v[6:7]
	v_add_f64 v[0:1], v[0:1], v[6:7]
	v_add_f64 v[0:1], v[0:1], v[2:3]
	v_mul_f64 v[2:3], v[88:89], v[206:207]
	v_fma_f64 v[2:3], v[86:87], v[208:209], -v[2:3]
	v_add_f64 v[0:1], v[0:1], v[2:3]
	v_mul_f64 v[2:3], v[92:93], v[212:213]
	v_fma_f64 v[2:3], v[90:91], v[226:227], -v[2:3]
	;; [unrolled: 3-line block ×8, first 2 shown]
	v_add_f64 v[0:1], v[0:1], v[2:3]
	s_waitcnt vmcnt(2)
	v_add_f64 v[0:1], v[248:249], -v[0:1]
	s_waitcnt vmcnt(0)
	v_add_f64 v[2:3], v[214:215], -v[20:21]
	buffer_store_dword v1, off, s[0:3], 0 offset:84
	buffer_store_dword v0, off, s[0:3], 0 offset:80
	;; [unrolled: 1-line block ×4, first 2 shown]
	v_accvgpr_read_b32 v0, a158
	v_cmp_lt_u32_e32 vcc, 3, v0
	s_and_saveexec_b64 s[4:5], vcc
	s_cbranch_execz .LBB52_325
; %bb.324:
	v_accvgpr_read_b32 v3, a155
	buffer_load_dword v0, v3, s[0:3], 0 offen
	buffer_load_dword v1, v3, s[0:3], 0 offen offset:4
	buffer_load_dword v2, v3, s[0:3], 0 offen offset:8
	s_nop 0
	buffer_load_dword v3, v3, s[0:3], 0 offen offset:12
	v_mov_b32_e32 v4, 0
	v_accvgpr_read_b32 v5, a159
	buffer_store_dword v4, off, s[0:3], 0 offset:64
	buffer_store_dword v4, off, s[0:3], 0 offset:68
	;; [unrolled: 1-line block ×4, first 2 shown]
	s_waitcnt vmcnt(4)
	ds_write_b128 v5, v[0:3]
.LBB52_325:
	s_or_b64 exec, exec, s[4:5]
	s_waitcnt lgkmcnt(0)
	; wave barrier
	s_waitcnt lgkmcnt(0)
	buffer_load_dword v38, off, s[0:3], 0 offset:80
	buffer_load_dword v39, off, s[0:3], 0 offset:84
	;; [unrolled: 1-line block ×42, first 2 shown]
	v_mov_b32_e32 v214, 0
	buffer_load_dword v99, off, s[0:3], 0 offset:228
	buffer_load_dword v98, off, s[0:3], 0 offset:224
	;; [unrolled: 1-line block ×7, first 2 shown]
	ds_read_b128 v[108:111], v214 offset:912
	ds_read_b128 v[112:115], v214 offset:928
	;; [unrolled: 1-line block ×11, first 2 shown]
	s_waitcnt vmcnt(45) lgkmcnt(10)
	v_mul_f64 v[0:1], v[108:109], v[40:41]
	v_fmac_f64_e32 v[0:1], v[110:111], v[38:39]
	v_add_f64 v[0:1], v[0:1], 0
	v_mul_f64 v[40:41], v[110:111], v[40:41]
	s_waitcnt vmcnt(41) lgkmcnt(9)
	v_mul_f64 v[2:3], v[112:113], v[46:47]
	v_fmac_f64_e32 v[2:3], v[114:115], v[44:45]
	s_waitcnt vmcnt(39) lgkmcnt(8)
	v_mul_f64 v[4:5], v[116:117], v[42:43]
	v_add_f64 v[0:1], v[0:1], v[2:3]
	s_waitcnt vmcnt(37) lgkmcnt(6)
	v_mul_f64 v[8:9], v[182:183], v[48:49]
	v_mul_f64 v[42:43], v[118:119], v[42:43]
	s_waitcnt vmcnt(35)
	v_fmac_f64_e32 v[8:9], v[184:185], v[176:177]
	v_mul_f64 v[46:47], v[114:115], v[46:47]
	s_waitcnt vmcnt(33)
	v_mul_f64 v[6:7], v[172:173], v[52:53]
	s_waitcnt vmcnt(31) lgkmcnt(4)
	v_mul_f64 v[12:13], v[192:193], v[56:57]
	s_waitcnt vmcnt(29)
	v_fmac_f64_e32 v[12:13], v[194:195], v[54:55]
	s_waitcnt vmcnt(27)
	v_mul_f64 v[10:11], v[186:187], v[58:59]
	s_waitcnt vmcnt(25) lgkmcnt(2)
	v_mul_f64 v[16:17], v[200:201], v[64:65]
	s_waitcnt vmcnt(22)
	v_mul_f64 v[14:15], v[196:197], v[66:67]
	s_waitcnt vmcnt(20) lgkmcnt(1)
	v_mul_f64 v[18:19], v[204:205], v[60:61]
	s_waitcnt vmcnt(18)
	v_fmac_f64_e32 v[4:5], v[118:119], v[74:75]
	v_add_f64 v[0:1], v[0:1], v[4:5]
	s_waitcnt vmcnt(16)
	v_fmac_f64_e32 v[6:7], v[174:175], v[72:73]
	v_add_f64 v[0:1], v[0:1], v[6:7]
	v_add_f64 v[0:1], v[0:1], v[8:9]
	buffer_load_dword v84, off, s[0:3], 0 offset:264
	buffer_load_dword v5, off, s[0:3], 0 offset:260
	;; [unrolled: 1-line block ×29, first 2 shown]
	s_waitcnt vmcnt(43)
	v_fmac_f64_e32 v[10:11], v[188:189], v[70:71]
	v_add_f64 v[0:1], v[0:1], v[10:11]
	s_waitcnt vmcnt(41)
	v_fmac_f64_e32 v[14:15], v[198:199], v[68:69]
	v_add_f64 v[0:1], v[0:1], v[12:13]
	v_add_f64 v[0:1], v[0:1], v[14:15]
	s_waitcnt vmcnt(40)
	v_fmac_f64_e32 v[16:17], v[202:203], v[62:63]
	v_add_f64 v[0:1], v[0:1], v[16:17]
	s_waitcnt vmcnt(34)
	v_fmac_f64_e32 v[18:19], v[206:207], v[98:99]
	v_add_f64 v[0:1], v[0:1], v[18:19]
	v_fma_f64 v[118:119], v[116:117], v[74:75], -v[42:43]
	v_mul_f64 v[42:43], v[174:175], v[52:53]
	v_fma_f64 v[72:73], v[172:173], v[72:73], -v[42:43]
	s_waitcnt vmcnt(0)
	v_pk_mov_b32 v[14:15], v[2:3], v[2:3] op_sel:[0,1]
	buffer_load_dword v3, off, s[0:3], 0 offset:404
	buffer_load_dword v2, off, s[0:3], 0 offset:400
	v_accvgpr_write_b32 a161, v15
	v_accvgpr_write_b32 a160, v14
	s_waitcnt vmcnt(0)
	v_pk_mov_b32 v[16:17], v[2:3], v[2:3] op_sel:[0,1]
	buffer_load_dword v95, off, s[0:3], 0 offset:396
	buffer_load_dword v94, off, s[0:3], 0 offset:392
	buffer_load_dword v97, off, s[0:3], 0 offset:388
	buffer_load_dword v96, off, s[0:3], 0 offset:384
	buffer_load_dword v3, off, s[0:3], 0 offset:444
	buffer_load_dword v2, off, s[0:3], 0 offset:440
	v_accvgpr_write_b32 a163, v17
	v_accvgpr_write_b32 a162, v16
	s_waitcnt vmcnt(0)
	v_pk_mov_b32 v[22:23], v[2:3], v[2:3] op_sel:[0,1]
	buffer_load_dword v3, off, s[0:3], 0 offset:436
	buffer_load_dword v2, off, s[0:3], 0 offset:432
	v_accvgpr_write_b32 a165, v23
	v_accvgpr_write_b32 a164, v22
	s_waitcnt vmcnt(0)
	v_pk_mov_b32 v[24:25], v[2:3], v[2:3] op_sel:[0,1]
	buffer_load_dword v213, off, s[0:3], 0 offset:428
	buffer_load_dword v212, off, s[0:3], 0 offset:424
	buffer_load_dword v145, off, s[0:3], 0 offset:420
	buffer_load_dword v144, off, s[0:3], 0 offset:416
	buffer_load_dword v3, off, s[0:3], 0 offset:476
	buffer_load_dword v2, off, s[0:3], 0 offset:472
	v_accvgpr_write_b32 a167, v25
	v_accvgpr_write_b32 a166, v24
	;; [unrolled: 16-line block ×4, first 2 shown]
	s_waitcnt vmcnt(0)
	v_pk_mov_b32 v[168:169], v[2:3], v[2:3] op_sel:[0,1]
	buffer_load_dword v3, off, s[0:3], 0 offset:532
	buffer_load_dword v2, off, s[0:3], 0 offset:528
	v_accvgpr_write_b32 a177, v169
	v_accvgpr_write_b32 a176, v168
	s_waitcnt vmcnt(0)
	v_pk_mov_b32 v[170:171], v[2:3], v[2:3] op_sel:[0,1]
	buffer_load_dword v157, off, s[0:3], 0 offset:524
	buffer_load_dword v156, off, s[0:3], 0 offset:520
	;; [unrolled: 1-line block ×12, first 2 shown]
	ds_read_b128 v[216:219], v214 offset:1088
	ds_read_b128 v[220:223], v214 offset:1104
	;; [unrolled: 1-line block ×12, first 2 shown]
	s_waitcnt lgkmcnt(4)
	v_mul_f64 v[12:13], v[120:121], v[90:91]
	v_fmac_f64_e32 v[12:13], v[122:123], v[92:93]
	s_waitcnt lgkmcnt(2)
	v_mul_f64 v[20:21], v[132:133], v[22:23]
	v_fmac_f64_e32 v[20:21], v[134:135], v[24:25]
	;; [unrolled: 3-line block ×4, first 2 shown]
	v_accvgpr_write_b32 a179, v171
	v_accvgpr_write_b32 a178, v170
	ds_read_b128 v[140:143], v214 offset:1232
	s_waitcnt vmcnt(6)
	v_pk_mov_b32 v[226:227], v[2:3], v[2:3] op_sel:[0,1]
	v_mul_f64 v[2:3], v[208:209], v[76:77]
	v_fmac_f64_e32 v[2:3], v[210:211], v[82:83]
	v_add_f64 v[0:1], v[0:1], v[2:3]
	v_mul_f64 v[2:3], v[216:217], v[84:85]
	v_fmac_f64_e32 v[2:3], v[218:219], v[4:5]
	v_add_f64 v[0:1], v[0:1], v[2:3]
	v_mul_f64 v[2:3], v[220:221], v[78:79]
	v_fmac_f64_e32 v[2:3], v[222:223], v[80:81]
	v_add_f64 v[0:1], v[0:1], v[2:3]
	v_mul_f64 v[2:3], v[236:237], v[6:7]
	v_fmac_f64_e32 v[2:3], v[238:239], v[50:51]
	v_add_f64 v[0:1], v[0:1], v[2:3]
	v_mul_f64 v[2:3], v[240:241], v[104:105]
	v_fmac_f64_e32 v[2:3], v[242:243], v[106:107]
	v_add_f64 v[0:1], v[0:1], v[2:3]
	v_mul_f64 v[2:3], v[244:245], v[8:9]
	v_fmac_f64_e32 v[2:3], v[246:247], v[178:179]
	v_add_f64 v[0:1], v[0:1], v[2:3]
	v_mul_f64 v[2:3], v[248:249], v[86:87]
	v_fmac_f64_e32 v[2:3], v[250:251], v[88:89]
	v_add_f64 v[0:1], v[0:1], v[2:3]
	v_mul_f64 v[2:3], v[252:253], v[100:101]
	v_fmac_f64_e32 v[2:3], v[254:255], v[102:103]
	v_add_f64 v[10:11], v[0:1], v[2:3]
	ds_read_b128 v[0:3], v214 offset:1216
	v_add_f64 v[10:11], v[10:11], v[12:13]
	v_accvgpr_write_b32 a180, v226
	v_accvgpr_write_b32 a181, v227
	v_mul_f64 v[6:7], v[238:239], v[6:7]
	s_waitcnt lgkmcnt(0)
	v_mul_f64 v[12:13], v[0:1], v[94:95]
	v_fmac_f64_e32 v[12:13], v[2:3], v[96:97]
	v_add_f64 v[10:11], v[10:11], v[12:13]
	v_mul_f64 v[12:13], v[140:141], v[14:15]
	v_fmac_f64_e32 v[12:13], v[142:143], v[16:17]
	v_mul_f64 v[16:17], v[136:137], v[212:213]
	v_add_f64 v[14:15], v[10:11], v[12:13]
	v_fmac_f64_e32 v[16:17], v[138:139], v[144:145]
	v_add_f64 v[18:19], v[14:15], v[16:17]
	v_add_f64 v[22:23], v[18:19], v[20:21]
	;; [unrolled: 1-line block ×3, first 2 shown]
	ds_read_b128 v[22:25], v214 offset:1312
	v_add_f64 v[30:31], v[26:27], v[28:29]
	ds_read_b128 v[26:29], v214 offset:1328
	v_fma_f64 v[16:17], v[108:109], v[38:39], -v[40:41]
	ds_read_b128 v[38:41], v214 offset:1376
	s_waitcnt lgkmcnt(2)
	v_mul_f64 v[32:33], v[22:23], v[152:153]
	v_fmac_f64_e32 v[32:33], v[24:25], v[154:155]
	v_add_f64 v[34:35], v[30:31], v[32:33]
	ds_read_b128 v[30:33], v214 offset:1344
	s_waitcnt lgkmcnt(2)
	v_mul_f64 v[36:37], v[26:27], v[164:165]
	v_fmac_f64_e32 v[36:37], v[28:29], v[166:167]
	v_add_f64 v[164:165], v[34:35], v[36:37]
	ds_read_b128 v[34:37], v214 offset:1360
	s_waitcnt lgkmcnt(1)
	v_mul_f64 v[12:13], v[30:31], v[156:157]
	v_fmac_f64_e32 v[12:13], v[32:33], v[158:159]
	v_add_f64 v[12:13], v[164:165], v[12:13]
	buffer_load_dword v165, off, s[0:3], 0 offset:588
	buffer_load_dword v164, off, s[0:3], 0 offset:584
	;; [unrolled: 1-line block ×4, first 2 shown]
	s_waitcnt lgkmcnt(0)
	v_mul_f64 v[108:109], v[34:35], v[168:169]
	v_fmac_f64_e32 v[108:109], v[36:37], v[170:171]
	buffer_load_dword v18, off, s[0:3], 0 offset:600
	buffer_load_dword v170, off, s[0:3], 0 offset:592
	;; [unrolled: 1-line block ×12, first 2 shown]
	v_fma_f64 v[168:169], v[112:113], v[44:45], -v[46:47]
	v_mul_f64 v[46:47], v[184:185], v[48:49]
	ds_read_b128 v[42:45], v214 offset:1392
	v_fma_f64 v[190:191], v[182:183], v[176:177], -v[46:47]
	buffer_load_dword v176, off, s[0:3], 0 offset:664
	buffer_load_dword v183, off, s[0:3], 0 offset:652
	;; [unrolled: 1-line block ×5, first 2 shown]
	v_mul_f64 v[46:47], v[188:189], v[58:59]
	v_fma_f64 v[58:59], v[186:187], v[70:71], -v[46:47]
	buffer_load_dword v186, off, s[0:3], 0 offset:656
	buffer_load_dword v177, off, s[0:3], 0 offset:668
	;; [unrolled: 1-line block ×7, first 2 shown]
	v_mul_f64 v[46:47], v[194:195], v[56:57]
	v_fma_f64 v[224:225], v[192:193], v[54:55], -v[46:47]
	v_mul_f64 v[46:47], v[198:199], v[66:67]
	v_fma_f64 v[110:111], v[196:197], v[68:69], -v[46:47]
	buffer_load_dword v194, off, s[0:3], 0 offset:696
	buffer_load_dword v196, off, s[0:3], 0 offset:688
	;; [unrolled: 1-line block ×4, first 2 shown]
	v_mul_f64 v[46:47], v[202:203], v[64:65]
	v_fma_f64 v[112:113], v[200:201], v[62:63], -v[46:47]
	buffer_load_dword v193, off, s[0:3], 0 offset:732
	buffer_load_dword v199, off, s[0:3], 0 offset:716
	;; [unrolled: 1-line block ×8, first 2 shown]
	ds_read_b128 v[46:49], v214 offset:1408
	s_waitcnt lgkmcnt(1)
	v_mul_f64 v[54:55], v[42:43], v[226:227]
	v_mul_f64 v[56:57], v[206:207], v[60:61]
	buffer_load_dword v61, off, s[0:3], 0 offset:748
	buffer_load_dword v60, off, s[0:3], 0 offset:744
	;; [unrolled: 1-line block ×4, first 2 shown]
	v_add_f64 v[12:13], v[12:13], v[108:109]
	s_waitcnt vmcnt(46)
	v_mul_f64 v[108:109], v[38:39], v[160:161]
	v_fma_f64 v[98:99], v[204:205], v[98:99], -v[56:57]
	v_mul_f64 v[56:57], v[210:211], v[76:77]
	s_waitcnt vmcnt(44)
	v_fmac_f64_e32 v[108:109], v[40:41], v[162:163]
	v_fma_f64 v[208:209], v[208:209], v[82:83], -v[56:57]
	v_mul_f64 v[56:57], v[218:219], v[84:85]
	v_add_f64 v[108:109], v[12:13], v[108:109]
	buffer_load_dword v228, off, s[0:3], 0 offset:760
	buffer_load_dword v230, off, s[0:3], 0 offset:752
	;; [unrolled: 1-line block ×8, first 2 shown]
	v_fmac_f64_e32 v[54:55], v[44:45], v[146:147]
	v_fma_f64 v[10:11], v[216:217], v[4:5], -v[56:57]
	buffer_load_dword v204, off, s[0:3], 0 offset:792
	buffer_load_dword v206, off, s[0:3], 0 offset:784
	;; [unrolled: 1-line block ×4, first 2 shown]
	ds_read_b128 v[216:219], v214 offset:1424
	v_add_f64 v[54:55], v[108:109], v[54:55]
	v_mul_f64 v[14:15], v[222:223], v[78:79]
	v_fma_f64 v[210:211], v[220:221], v[80:81], -v[14:15]
	ds_read_b128 v[220:223], v214 offset:1456
	ds_read_b128 v[62:65], v214 offset:1472
	v_fma_f64 v[50:51], v[236:237], v[50:51], -v[6:7]
	ds_read_b128 v[66:69], v214 offset:1488
	v_mul_f64 v[8:9], v[246:247], v[8:9]
	v_fma_f64 v[178:179], v[244:245], v[178:179], -v[8:9]
	v_mul_f64 v[82:83], v[254:255], v[100:101]
	v_fma_f64 v[254:255], v[252:253], v[102:103], -v[82:83]
	ds_read_b128 v[82:85], v214 offset:1552
	v_mul_f64 v[2:3], v[2:3], v[94:95]
	v_fma_f64 v[252:253], v[0:1], v[96:97], -v[2:3]
	v_add_f64 v[16:17], v[16:17], 0
	v_add_f64 v[16:17], v[16:17], v[168:169]
	;; [unrolled: 1-line block ×10, first 2 shown]
	ds_read_b128 v[78:81], v214 offset:1536
	v_add_f64 v[16:17], v[16:17], v[208:209]
	v_add_f64 v[10:11], v[16:17], v[10:11]
	;; [unrolled: 1-line block ×4, first 2 shown]
	v_accvgpr_read_b32 v16, a162
	v_accvgpr_read_b32 v17, a163
	ds_read_b128 v[94:97], v214 offset:1600
	s_waitcnt vmcnt(54) lgkmcnt(7)
	v_mul_f64 v[12:13], v[46:47], v[164:165]
	s_waitcnt vmcnt(52)
	v_fmac_f64_e32 v[12:13], v[48:49], v[166:167]
	v_add_f64 v[12:13], v[54:55], v[12:13]
	ds_read_b128 v[54:57], v214 offset:1440
	s_waitcnt vmcnt(49) lgkmcnt(7)
	v_mul_f64 v[14:15], v[216:217], v[18:19]
	s_waitcnt vmcnt(48)
	v_fmac_f64_e32 v[14:15], v[218:219], v[170:171]
	v_add_f64 v[6:7], v[12:13], v[14:15]
	s_waitcnt vmcnt(45) lgkmcnt(0)
	v_mul_f64 v[12:13], v[54:55], v[174:175]
	s_waitcnt vmcnt(43)
	v_fmac_f64_e32 v[12:13], v[56:57], v[180:181]
	v_add_f64 v[6:7], v[6:7], v[12:13]
	s_waitcnt vmcnt(42)
	v_mul_f64 v[12:13], v[220:221], v[172:173]
	s_waitcnt vmcnt(40)
	v_fmac_f64_e32 v[12:13], v[222:223], v[52:53]
	v_add_f64 v[6:7], v[6:7], v[12:13]
	v_mul_f64 v[12:13], v[242:243], v[104:105]
	v_fma_f64 v[236:237], v[240:241], v[106:107], -v[12:13]
	ds_read_b128 v[12:15], v214 offset:1504
	s_waitcnt vmcnt(37)
	v_mul_f64 v[74:75], v[62:63], v[182:183]
	s_waitcnt vmcnt(35)
	v_fmac_f64_e32 v[74:75], v[64:65], v[184:185]
	v_add_f64 v[6:7], v[6:7], v[74:75]
	s_waitcnt vmcnt(33)
	v_mul_f64 v[8:9], v[66:67], v[176:177]
	ds_read_b128 v[74:77], v214 offset:1520
	s_waitcnt vmcnt(32)
	v_fmac_f64_e32 v[8:9], v[68:69], v[186:187]
	v_add_f64 v[6:7], v[6:7], v[8:9]
	s_waitcnt vmcnt(30) lgkmcnt(1)
	v_mul_f64 v[8:9], v[12:13], v[188:189]
	s_waitcnt vmcnt(28)
	v_fmac_f64_e32 v[8:9], v[14:15], v[70:71]
	v_add_f64 v[6:7], v[6:7], v[8:9]
	v_mul_f64 v[8:9], v[250:251], v[86:87]
	v_fma_f64 v[250:251], v[248:249], v[88:89], -v[8:9]
	s_waitcnt vmcnt(25) lgkmcnt(0)
	v_mul_f64 v[8:9], v[74:75], v[194:195]
	s_waitcnt vmcnt(24)
	v_fmac_f64_e32 v[8:9], v[76:77], v[196:197]
	v_add_f64 v[6:7], v[6:7], v[8:9]
	s_waitcnt vmcnt(21)
	v_mul_f64 v[8:9], v[78:79], v[198:199]
	ds_read_b128 v[86:89], v214 offset:1568
	s_waitcnt vmcnt(19)
	v_fmac_f64_e32 v[8:9], v[80:81], v[202:203]
	v_add_f64 v[6:7], v[6:7], v[8:9]
	s_waitcnt vmcnt(18)
	v_mul_f64 v[8:9], v[82:83], v[192:193]
	s_waitcnt vmcnt(16)
	v_fmac_f64_e32 v[8:9], v[84:85], v[200:201]
	v_add_f64 v[6:7], v[6:7], v[8:9]
	v_mul_f64 v[8:9], v[122:123], v[90:91]
	v_fma_f64 v[4:5], v[120:121], v[92:93], -v[8:9]
	s_waitcnt vmcnt(14) lgkmcnt(0)
	v_mul_f64 v[8:9], v[86:87], v[60:61]
	s_waitcnt vmcnt(12)
	v_fmac_f64_e32 v[8:9], v[88:89], v[226:227]
	ds_read_b128 v[90:93], v214 offset:1584
	v_add_f64 v[0:1], v[6:7], v[8:9]
	ds_read_b128 v[120:123], v214 offset:1616
	buffer_load_dword v9, off, s[0:3], 0 offset:812
	buffer_load_dword v8, off, s[0:3], 0 offset:808
	buffer_load_dword v7, off, s[0:3], 0 offset:804
	buffer_load_dword v6, off, s[0:3], 0 offset:800
	ds_read_b128 v[102:105], v214 offset:1632
	buffer_load_dword v100, off, s[0:3], 0 offset:824
	buffer_load_dword v101, off, s[0:3], 0 offset:828
	buffer_load_dword v238, off, s[0:3], 0 offset:816
	buffer_load_dword v239, off, s[0:3], 0 offset:820
	;; [unrolled: 5-line block ×3, first 2 shown]
	s_waitcnt vmcnt(21) lgkmcnt(3)
	v_mul_f64 v[2:3], v[90:91], v[228:229]
	s_waitcnt vmcnt(20)
	v_fmac_f64_e32 v[2:3], v[92:93], v[230:231]
	v_add_f64 v[0:1], v[0:1], v[2:3]
	s_waitcnt vmcnt(18)
	v_mul_f64 v[2:3], v[94:95], v[232:233]
	s_waitcnt vmcnt(16)
	v_fmac_f64_e32 v[2:3], v[96:97], v[234:235]
	v_add_f64 v[0:1], v[0:1], v[2:3]
	s_waitcnt vmcnt(13) lgkmcnt(2)
	v_mul_f64 v[2:3], v[120:121], v[204:205]
	s_waitcnt vmcnt(12)
	v_fmac_f64_e32 v[2:3], v[122:123], v[206:207]
	v_add_f64 v[0:1], v[0:1], v[2:3]
	v_add_f64 v[10:11], v[10:11], v[236:237]
	;; [unrolled: 1-line block ×6, first 2 shown]
	v_accvgpr_read_b32 v10, a160
	v_accvgpr_read_b32 v11, a161
	v_mul_f64 v[10:11], v[142:143], v[10:11]
	v_add_f64 v[4:5], v[254:255], v[252:253]
	v_fma_f64 v[10:11], v[140:141], v[16:17], -v[10:11]
	v_add_f64 v[4:5], v[4:5], v[10:11]
	v_mul_f64 v[10:11], v[138:139], v[212:213]
	v_fma_f64 v[10:11], v[136:137], v[144:145], -v[10:11]
	v_add_f64 v[4:5], v[4:5], v[10:11]
	v_accvgpr_read_b32 v10, a164
	v_accvgpr_read_b32 v11, a165
	v_accvgpr_read_b32 v16, a166
	v_mul_f64 v[10:11], v[134:135], v[10:11]
	v_accvgpr_read_b32 v17, a167
	v_fma_f64 v[10:11], v[132:133], v[16:17], -v[10:11]
	v_add_f64 v[4:5], v[4:5], v[10:11]
	v_mul_f64 v[10:11], v[130:131], v[148:149]
	v_fma_f64 v[10:11], v[128:129], v[150:151], -v[10:11]
	v_add_f64 v[4:5], v[4:5], v[10:11]
	v_accvgpr_read_b32 v10, a168
	v_accvgpr_read_b32 v11, a169
	v_accvgpr_read_b32 v16, a170
	v_mul_f64 v[10:11], v[126:127], v[10:11]
	v_accvgpr_read_b32 v17, a171
	v_fma_f64 v[10:11], v[124:125], v[16:17], -v[10:11]
	v_add_f64 v[4:5], v[4:5], v[10:11]
	v_mul_f64 v[10:11], v[24:25], v[152:153]
	v_fma_f64 v[10:11], v[22:23], v[154:155], -v[10:11]
	v_add_f64 v[4:5], v[4:5], v[10:11]
	v_accvgpr_read_b32 v10, a172
	v_accvgpr_read_b32 v11, a173
	v_accvgpr_read_b32 v16, a174
	v_mul_f64 v[10:11], v[28:29], v[10:11]
	v_accvgpr_read_b32 v17, a175
	v_fma_f64 v[10:11], v[26:27], v[16:17], -v[10:11]
	v_add_f64 v[4:5], v[4:5], v[10:11]
	v_mul_f64 v[10:11], v[32:33], v[156:157]
	v_fma_f64 v[10:11], v[30:31], v[158:159], -v[10:11]
	v_add_f64 v[4:5], v[4:5], v[10:11]
	v_accvgpr_read_b32 v10, a176
	v_accvgpr_read_b32 v11, a177
	v_accvgpr_read_b32 v16, a178
	v_mul_f64 v[10:11], v[36:37], v[10:11]
	v_accvgpr_read_b32 v17, a179
	v_fma_f64 v[10:11], v[34:35], v[16:17], -v[10:11]
	v_add_f64 v[4:5], v[4:5], v[10:11]
	v_mul_f64 v[10:11], v[40:41], v[160:161]
	v_fma_f64 v[10:11], v[38:39], v[162:163], -v[10:11]
	v_add_f64 v[4:5], v[4:5], v[10:11]
	v_accvgpr_read_b32 v10, a180
	v_accvgpr_read_b32 v11, a181
	v_mul_f64 v[10:11], v[44:45], v[10:11]
	v_fma_f64 v[10:11], v[42:43], v[146:147], -v[10:11]
	v_add_f64 v[4:5], v[4:5], v[10:11]
	v_mul_f64 v[10:11], v[48:49], v[164:165]
	v_fma_f64 v[10:11], v[46:47], v[166:167], -v[10:11]
	v_add_f64 v[4:5], v[4:5], v[10:11]
	v_mul_f64 v[10:11], v[218:219], v[18:19]
	v_fma_f64 v[10:11], v[216:217], v[170:171], -v[10:11]
	s_waitcnt vmcnt(10) lgkmcnt(1)
	v_mul_f64 v[2:3], v[102:103], v[8:9]
	v_add_f64 v[4:5], v[4:5], v[10:11]
	s_waitcnt vmcnt(8)
	v_fmac_f64_e32 v[2:3], v[104:105], v[6:7]
	v_add_f64 v[0:1], v[0:1], v[2:3]
	s_waitcnt vmcnt(6) lgkmcnt(0)
	v_mul_f64 v[2:3], v[106:107], v[100:101]
	s_waitcnt vmcnt(4)
	v_fmac_f64_e32 v[2:3], v[108:109], v[238:239]
	v_add_f64 v[20:21], v[0:1], v[2:3]
	ds_read_b128 v[0:3], v214 offset:1664
	buffer_load_dword v246, off, s[0:3], 0 offset:856
	buffer_load_dword v247, off, s[0:3], 0 offset:860
	;; [unrolled: 1-line block ×4, first 2 shown]
	v_mul_f64 v[10:11], v[56:57], v[174:175]
	v_fma_f64 v[10:11], v[54:55], v[180:181], -v[10:11]
	v_add_f64 v[4:5], v[4:5], v[10:11]
	s_waitcnt vmcnt(6) lgkmcnt(0)
	v_mul_f64 v[114:115], v[0:1], v[240:241]
	s_waitcnt vmcnt(4)
	v_fmac_f64_e32 v[114:115], v[2:3], v[242:243]
	v_add_f64 v[20:21], v[20:21], v[114:115]
	ds_read_b128 v[114:117], v214 offset:1680
	buffer_load_dword v250, off, s[0:3], 0 offset:64
	buffer_load_dword v251, off, s[0:3], 0 offset:68
	;; [unrolled: 1-line block ×4, first 2 shown]
	v_mul_f64 v[10:11], v[222:223], v[172:173]
	v_fma_f64 v[10:11], v[220:221], v[52:53], -v[10:11]
	v_add_f64 v[4:5], v[4:5], v[10:11]
	v_mul_f64 v[10:11], v[64:65], v[182:183]
	v_fma_f64 v[10:11], v[62:63], v[184:185], -v[10:11]
	v_add_f64 v[4:5], v[4:5], v[10:11]
	;; [unrolled: 3-line block ×10, first 2 shown]
	v_mul_f64 v[10:11], v[122:123], v[204:205]
	v_fma_f64 v[10:11], v[120:121], v[206:207], -v[10:11]
	v_mul_f64 v[8:9], v[104:105], v[8:9]
	v_add_f64 v[4:5], v[4:5], v[10:11]
	v_fma_f64 v[6:7], v[102:103], v[6:7], -v[8:9]
	v_add_f64 v[4:5], v[4:5], v[6:7]
	v_mul_f64 v[6:7], v[108:109], v[100:101]
	v_fma_f64 v[6:7], v[106:107], v[238:239], -v[6:7]
	v_mul_f64 v[2:3], v[2:3], v[240:241]
	v_add_f64 v[4:5], v[4:5], v[6:7]
	v_fma_f64 v[0:1], v[0:1], v[242:243], -v[2:3]
	v_add_f64 v[0:1], v[4:5], v[0:1]
	s_waitcnt vmcnt(6) lgkmcnt(0)
	v_mul_f64 v[2:3], v[116:117], v[246:247]
	v_mul_f64 v[244:245], v[114:115], v[246:247]
	s_waitcnt vmcnt(4)
	v_fma_f64 v[2:3], v[114:115], v[248:249], -v[2:3]
	v_fmac_f64_e32 v[244:245], v[116:117], v[248:249]
	v_add_f64 v[0:1], v[0:1], v[2:3]
	v_add_f64 v[244:245], v[20:21], v[244:245]
	s_waitcnt vmcnt(2)
	v_add_f64 v[0:1], v[250:251], -v[0:1]
	s_waitcnt vmcnt(0)
	v_add_f64 v[2:3], v[118:119], -v[244:245]
	buffer_store_dword v1, off, s[0:3], 0 offset:68
	buffer_store_dword v0, off, s[0:3], 0 offset:64
	;; [unrolled: 1-line block ×4, first 2 shown]
	v_accvgpr_read_b32 v0, a158
	v_cmp_lt_u32_e32 vcc, 2, v0
	s_and_saveexec_b64 s[4:5], vcc
	s_cbranch_execz .LBB52_327
; %bb.326:
	v_accvgpr_read_b32 v3, a156
	buffer_load_dword v0, v3, s[0:3], 0 offen
	buffer_load_dword v1, v3, s[0:3], 0 offen offset:4
	buffer_load_dword v2, v3, s[0:3], 0 offen offset:8
	s_nop 0
	buffer_load_dword v3, v3, s[0:3], 0 offen offset:12
	v_accvgpr_read_b32 v4, a159
	buffer_store_dword v214, off, s[0:3], 0 offset:48
	buffer_store_dword v214, off, s[0:3], 0 offset:52
	;; [unrolled: 1-line block ×4, first 2 shown]
	s_waitcnt vmcnt(4)
	ds_write_b128 v4, v[0:3]
.LBB52_327:
	s_or_b64 exec, exec, s[4:5]
	s_waitcnt lgkmcnt(0)
	; wave barrier
	s_waitcnt lgkmcnt(0)
	buffer_load_dword v34, off, s[0:3], 0 offset:64
	buffer_load_dword v35, off, s[0:3], 0 offset:68
	;; [unrolled: 1-line block ×42, first 2 shown]
	ds_read_b128 v[42:45], v214 offset:896
	ds_read_b128 v[108:111], v214 offset:912
	;; [unrolled: 1-line block ×10, first 2 shown]
	buffer_load_dword v201, off, s[0:3], 0 offset:212
	buffer_load_dword v200, off, s[0:3], 0 offset:208
	ds_read_b128 v[46:49], v214 offset:1056
	buffer_load_dword v85, off, s[0:3], 0 offset:268
	buffer_load_dword v84, off, s[0:3], 0 offset:264
	;; [unrolled: 1-line block ×6, first 2 shown]
	s_waitcnt vmcnt(46) lgkmcnt(10)
	v_mul_f64 v[0:1], v[42:43], v[36:37]
	v_fmac_f64_e32 v[0:1], v[44:45], v[34:35]
	v_add_f64 v[0:1], v[0:1], 0
	v_mul_f64 v[36:37], v[44:45], v[36:37]
	s_waitcnt vmcnt(42) lgkmcnt(9)
	v_mul_f64 v[2:3], v[108:109], v[40:41]
	v_fmac_f64_e32 v[2:3], v[110:111], v[38:39]
	s_waitcnt vmcnt(40) lgkmcnt(8)
	v_mul_f64 v[4:5], v[112:113], v[160:161]
	v_add_f64 v[0:1], v[0:1], v[2:3]
	s_waitcnt vmcnt(38) lgkmcnt(6)
	v_mul_f64 v[8:9], v[170:171], v[174:175]
	v_mul_f64 v[40:41], v[110:111], v[40:41]
	s_waitcnt vmcnt(36)
	v_fmac_f64_e32 v[8:9], v[172:173], v[176:177]
	v_fma_f64 v[232:233], v[108:109], v[38:39], -v[40:41]
	s_waitcnt vmcnt(34)
	v_mul_f64 v[6:7], v[116:117], v[56:57]
	v_mul_f64 v[108:109], v[114:115], v[160:161]
	s_waitcnt vmcnt(32) lgkmcnt(4)
	v_mul_f64 v[12:13], v[184:185], v[58:59]
	v_mul_f64 v[56:57], v[118:119], v[56:57]
	s_waitcnt vmcnt(30)
	v_fmac_f64_e32 v[12:13], v[186:187], v[60:61]
	s_waitcnt vmcnt(28)
	v_mul_f64 v[10:11], v[180:181], v[62:63]
	v_mul_f64 v[62:63], v[182:183], v[62:63]
	s_waitcnt vmcnt(26) lgkmcnt(2)
	v_mul_f64 v[16:17], v[192:193], v[64:65]
	s_waitcnt vmcnt(23)
	v_mul_f64 v[14:15], v[188:189], v[70:71]
	s_waitcnt vmcnt(21) lgkmcnt(1)
	v_mul_f64 v[18:19], v[196:197], v[68:69]
	s_waitcnt vmcnt(19)
	v_fmac_f64_e32 v[4:5], v[114:115], v[78:79]
	v_add_f64 v[0:1], v[0:1], v[4:5]
	s_waitcnt vmcnt(17)
	v_fmac_f64_e32 v[6:7], v[118:119], v[76:77]
	v_add_f64 v[0:1], v[0:1], v[6:7]
	;; [unrolled: 3-line block ×3, first 2 shown]
	v_add_f64 v[0:1], v[0:1], v[10:11]
	s_waitcnt vmcnt(13)
	v_fmac_f64_e32 v[14:15], v[190:191], v[72:73]
	v_add_f64 v[0:1], v[0:1], v[12:13]
	s_waitcnt vmcnt(12)
	v_fmac_f64_e32 v[16:17], v[194:195], v[66:67]
	v_add_f64 v[0:1], v[0:1], v[14:15]
	v_add_f64 v[2:3], v[0:1], v[16:17]
	buffer_load_dword v225, off, s[0:3], 0 offset:244
	buffer_load_dword v224, off, s[0:3], 0 offset:240
	;; [unrolled: 1-line block ×36, first 2 shown]
	s_waitcnt vmcnt(42)
	v_fmac_f64_e32 v[18:19], v[198:199], v[200:201]
	v_add_f64 v[2:3], v[2:3], v[18:19]
	v_fma_f64 v[226:227], v[116:117], v[76:77], -v[56:57]
	v_mul_f64 v[76:77], v[172:173], v[174:175]
	v_fma_f64 v[78:79], v[112:113], v[78:79], -v[108:109]
	v_fma_f64 v[108:109], v[170:171], v[176:177], -v[76:77]
	s_waitcnt vmcnt(0)
	v_pk_mov_b32 v[20:21], v[4:5], v[4:5] op_sel:[0,1]
	buffer_load_dword v5, off, s[0:3], 0 offset:420
	buffer_load_dword v4, off, s[0:3], 0 offset:416
	v_accvgpr_write_b32 a165, v21
	v_accvgpr_write_b32 a164, v20
	s_waitcnt vmcnt(0)
	v_pk_mov_b32 v[22:23], v[4:5], v[4:5] op_sel:[0,1]
	buffer_load_dword v5, off, s[0:3], 0 offset:412
	buffer_load_dword v4, off, s[0:3], 0 offset:408
	v_accvgpr_write_b32 a167, v23
	v_accvgpr_write_b32 a166, v22
	;; [unrolled: 6-line block ×5, first 2 shown]
	s_waitcnt vmcnt(0)
	v_pk_mov_b32 v[28:29], v[4:5], v[4:5] op_sel:[0,1]
	buffer_load_dword v145, off, s[0:3], 0 offset:444
	buffer_load_dword v144, off, s[0:3], 0 offset:440
	;; [unrolled: 1-line block ×6, first 2 shown]
	v_accvgpr_write_b32 a171, v29
	v_accvgpr_write_b32 a170, v28
	s_waitcnt vmcnt(0)
	v_pk_mov_b32 v[164:165], v[4:5], v[4:5] op_sel:[0,1]
	buffer_load_dword v5, off, s[0:3], 0 offset:484
	buffer_load_dword v4, off, s[0:3], 0 offset:480
	v_accvgpr_write_b32 a173, v165
	v_accvgpr_write_b32 a172, v164
	s_waitcnt vmcnt(0)
	v_pk_mov_b32 v[166:167], v[4:5], v[4:5] op_sel:[0,1]
	buffer_load_dword v149, off, s[0:3], 0 offset:476
	buffer_load_dword v148, off, s[0:3], 0 offset:472
	buffer_load_dword v151, off, s[0:3], 0 offset:468
	buffer_load_dword v150, off, s[0:3], 0 offset:464
	buffer_load_dword v5, off, s[0:3], 0 offset:524
	buffer_load_dword v4, off, s[0:3], 0 offset:520
	v_accvgpr_write_b32 a175, v167
	v_accvgpr_write_b32 a174, v166
	s_waitcnt vmcnt(0)
	v_pk_mov_b32 v[178:179], v[4:5], v[4:5] op_sel:[0,1]
	buffer_load_dword v5, off, s[0:3], 0 offset:516
	buffer_load_dword v4, off, s[0:3], 0 offset:512
	v_accvgpr_write_b32 a176, v178
	v_accvgpr_write_b32 a177, v179
	s_waitcnt vmcnt(0)
	v_pk_mov_b32 v[202:203], v[4:5], v[4:5] op_sel:[0,1]
	buffer_load_dword v153, off, s[0:3], 0 offset:508
	buffer_load_dword v152, off, s[0:3], 0 offset:504
	;; [unrolled: 1-line block ×6, first 2 shown]
	v_accvgpr_write_b32 a178, v202
	v_accvgpr_write_b32 a179, v203
	s_waitcnt vmcnt(0)
	v_pk_mov_b32 v[228:229], v[4:5], v[4:5] op_sel:[0,1]
	buffer_load_dword v5, off, s[0:3], 0 offset:548
	buffer_load_dword v4, off, s[0:3], 0 offset:544
	;; [unrolled: 1-line block ×6, first 2 shown]
	ds_read_b128 v[204:207], v214 offset:1072
	ds_read_b128 v[208:211], v214 offset:1088
	;; [unrolled: 1-line block ×14, first 2 shown]
	s_waitcnt lgkmcnt(4)
	v_mul_f64 v[8:9], v[120:121], v[94:95]
	v_fmac_f64_e32 v[8:9], v[122:123], v[96:97]
	s_waitcnt lgkmcnt(3)
	v_mul_f64 v[12:13], v[140:141], v[14:15]
	v_fmac_f64_e32 v[12:13], v[142:143], v[16:17]
	;; [unrolled: 3-line block ×4, first 2 shown]
	s_waitcnt lgkmcnt(0)
	v_mul_f64 v[24:25], v[128:129], v[26:27]
	ds_read_b128 v[124:127], v214 offset:1296
	v_fmac_f64_e32 v[24:25], v[130:131], v[28:29]
	v_accvgpr_write_b32 a180, v228
	v_accvgpr_write_b32 a181, v229
	s_waitcnt vmcnt(4)
	v_pk_mov_b32 v[234:235], v[4:5], v[4:5] op_sel:[0,1]
	v_mul_f64 v[4:5], v[46:47], v[80:81]
	v_fmac_f64_e32 v[4:5], v[48:49], v[82:83]
	v_add_f64 v[2:3], v[2:3], v[4:5]
	v_mul_f64 v[4:5], v[204:205], v[212:213]
	v_fmac_f64_e32 v[4:5], v[206:207], v[224:225]
	v_add_f64 v[2:3], v[2:3], v[4:5]
	;; [unrolled: 3-line block ×10, first 2 shown]
	v_add_f64 v[10:11], v[6:7], v[8:9]
	v_add_f64 v[14:15], v[10:11], v[12:13]
	;; [unrolled: 1-line block ×5, first 2 shown]
	ds_read_b128 v[22:25], v214 offset:1312
	s_waitcnt lgkmcnt(1)
	v_mul_f64 v[28:29], v[124:125], v[148:149]
	v_fmac_f64_e32 v[28:29], v[126:127], v[150:151]
	v_add_f64 v[30:31], v[26:27], v[28:29]
	ds_read_b128 v[26:29], v214 offset:1328
	s_waitcnt lgkmcnt(1)
	v_mul_f64 v[32:33], v[22:23], v[164:165]
	v_fmac_f64_e32 v[32:33], v[24:25], v[166:167]
	v_add_f64 v[164:165], v[30:31], v[32:33]
	ds_read_b128 v[30:33], v214 offset:1344
	v_fma_f64 v[18:19], v[42:43], v[34:35], -v[36:37]
	ds_read_b128 v[34:37], v214 offset:1360
	s_waitcnt lgkmcnt(2)
	v_mul_f64 v[4:5], v[26:27], v[152:153]
	v_fmac_f64_e32 v[4:5], v[28:29], v[154:155]
	s_waitcnt lgkmcnt(1)
	v_mul_f64 v[42:43], v[30:31], v[178:179]
	v_add_f64 v[4:5], v[164:165], v[4:5]
	v_fmac_f64_e32 v[42:43], v[32:33], v[202:203]
	v_add_f64 v[4:5], v[4:5], v[42:43]
	s_waitcnt vmcnt(2) lgkmcnt(0)
	v_mul_f64 v[42:43], v[34:35], v[156:157]
	s_waitcnt vmcnt(0)
	v_fmac_f64_e32 v[42:43], v[36:37], v[158:159]
	v_add_f64 v[4:5], v[4:5], v[42:43]
	ds_read_b128 v[42:45], v214 offset:1376
	ds_read_b128 v[38:41], v214 offset:1392
	buffer_load_dword v160, off, s[0:3], 0 offset:584
	buffer_load_dword v165, off, s[0:3], 0 offset:572
	;; [unrolled: 1-line block ×17, first 2 shown]
	v_fma_f64 v[14:15], v[180:181], v[74:75], -v[62:63]
	buffer_load_dword v172, off, s[0:3], 0 offset:640
	buffer_load_dword v181, off, s[0:3], 0 offset:636
	;; [unrolled: 1-line block ×7, first 2 shown]
	v_mul_f64 v[8:9], v[186:187], v[58:59]
	v_fma_f64 v[10:11], v[184:185], v[60:61], -v[8:9]
	v_mul_f64 v[60:61], v[190:191], v[70:71]
	buffer_load_dword v185, off, s[0:3], 0 offset:668
	buffer_load_dword v184, off, s[0:3], 0 offset:664
	;; [unrolled: 1-line block ×4, first 2 shown]
	v_mul_f64 v[12:13], v[194:195], v[64:65]
	buffer_load_dword v190, off, s[0:3], 0 offset:680
	v_fma_f64 v[12:13], v[192:193], v[66:67], -v[12:13]
	buffer_load_dword v192, off, s[0:3], 0 offset:672
	buffer_load_dword v191, off, s[0:3], 0 offset:684
	;; [unrolled: 1-line block ×3, first 2 shown]
	v_fma_f64 v[8:9], v[188:189], v[72:73], -v[60:61]
	v_mul_f64 v[60:61], v[198:199], v[68:69]
	v_fma_f64 v[6:7], v[196:197], v[200:201], -v[60:61]
	buffer_load_dword v189, off, s[0:3], 0 offset:716
	buffer_load_dword v195, off, s[0:3], 0 offset:700
	;; [unrolled: 1-line block ×12, first 2 shown]
	v_mul_f64 v[16:17], v[48:49], v[80:81]
	s_waitcnt lgkmcnt(1)
	v_mul_f64 v[58:59], v[42:43], v[228:229]
	v_fma_f64 v[16:17], v[46:47], v[82:83], -v[16:17]
	v_mul_f64 v[46:47], v[206:207], v[212:213]
	v_fma_f64 v[212:213], v[204:205], v[224:225], -v[46:47]
	buffer_load_dword v206, off, s[0:3], 0 offset:744
	buffer_load_dword v224, off, s[0:3], 0 offset:736
	;; [unrolled: 1-line block ×12, first 2 shown]
	v_fmac_f64_e32 v[58:59], v[44:45], v[234:235]
	v_accvgpr_write_b32 a182, v234
	v_add_f64 v[58:59], v[4:5], v[58:59]
	v_mul_f64 v[4:5], v[210:211], v[84:85]
	v_accvgpr_write_b32 a183, v235
	v_fma_f64 v[208:209], v[208:209], v[86:87], -v[4:5]
	buffer_load_dword v5, off, s[0:3], 0 offset:796
	buffer_load_dword v4, off, s[0:3], 0 offset:792
	;; [unrolled: 1-line block ×4, first 2 shown]
	ds_read_b128 v[46:49], v214 offset:1408
	v_mul_f64 v[50:51], v[218:219], v[50:51]
	v_fma_f64 v[210:211], v[216:217], v[52:53], -v[50:51]
	ds_read_b128 v[50:53], v214 offset:1424
	ds_read_b128 v[216:219], v214 offset:1440
	v_mul_f64 v[0:1], v[222:223], v[0:1]
	v_fma_f64 v[162:163], v[220:221], v[162:163], -v[0:1]
	v_mul_f64 v[54:55], v[238:239], v[54:55]
	v_fma_f64 v[168:169], v[236:237], v[168:169], -v[54:55]
	ds_read_b128 v[70:73], v214 offset:1504
	ds_read_b128 v[74:77], v214 offset:1520
	;; [unrolled: 1-line block ×4, first 2 shown]
	v_mul_f64 v[86:87], v[254:255], v[90:91]
	v_fma_f64 v[252:253], v[252:253], v[98:99], -v[86:87]
	v_add_f64 v[18:19], v[18:19], 0
	v_add_f64 v[18:19], v[18:19], v[232:233]
	;; [unrolled: 1-line block ×16, first 2 shown]
	v_accvgpr_read_b32 v8, a162
	v_accvgpr_read_b32 v9, a163
	s_waitcnt vmcnt(48) lgkmcnt(5)
	v_mul_f64 v[0:1], v[50:51], v[176:177]
	v_mul_f64 v[60:61], v[38:39], v[164:165]
	s_waitcnt vmcnt(46)
	v_fmac_f64_e32 v[0:1], v[52:53], v[178:179]
	v_fmac_f64_e32 v[60:61], v[40:41], v[166:167]
	v_add_f64 v[58:59], v[58:59], v[60:61]
	v_mul_f64 v[60:61], v[46:47], v[160:161]
	v_fmac_f64_e32 v[60:61], v[48:49], v[56:57]
	v_add_f64 v[62:63], v[58:59], v[60:61]
	ds_read_b128 v[58:61], v214 offset:1456
	v_add_f64 v[0:1], v[62:63], v[0:1]
	s_waitcnt lgkmcnt(5)
	v_mul_f64 v[66:67], v[216:217], v[118:119]
	ds_read_b128 v[62:65], v214 offset:1472
	s_waitcnt vmcnt(44)
	v_fmac_f64_e32 v[66:67], v[218:219], v[174:175]
	v_add_f64 v[0:1], v[0:1], v[66:67]
	ds_read_b128 v[66:69], v214 offset:1488
	s_waitcnt vmcnt(40) lgkmcnt(2)
	v_mul_f64 v[54:55], v[58:59], v[180:181]
	s_waitcnt vmcnt(38)
	v_fmac_f64_e32 v[54:55], v[60:61], v[182:183]
	v_add_f64 v[0:1], v[0:1], v[54:55]
	s_waitcnt vmcnt(37) lgkmcnt(1)
	v_mul_f64 v[54:55], v[62:63], v[170:171]
	s_waitcnt vmcnt(36)
	v_fmac_f64_e32 v[54:55], v[64:65], v[172:173]
	v_add_f64 v[0:1], v[0:1], v[54:55]
	v_mul_f64 v[54:55], v[242:243], v[100:101]
	s_waitcnt vmcnt(34) lgkmcnt(0)
	v_mul_f64 v[20:21], v[66:67], v[184:185]
	v_fma_f64 v[2:3], v[240:241], v[102:103], -v[54:55]
	s_waitcnt vmcnt(32)
	v_fmac_f64_e32 v[20:21], v[68:69], v[186:187]
	s_waitcnt vmcnt(29)
	v_mul_f64 v[54:55], v[70:71], v[190:191]
	v_add_f64 v[0:1], v[0:1], v[20:21]
	s_waitcnt vmcnt(28)
	v_fmac_f64_e32 v[54:55], v[72:73], v[192:193]
	v_add_f64 v[0:1], v[0:1], v[54:55]
	v_mul_f64 v[54:55], v[250:251], v[88:89]
	v_fma_f64 v[248:249], v[248:249], v[92:93], -v[54:55]
	s_waitcnt vmcnt(25)
	v_mul_f64 v[54:55], v[74:75], v[194:195]
	s_waitcnt vmcnt(23)
	v_fmac_f64_e32 v[54:55], v[76:77], v[200:201]
	v_add_f64 v[0:1], v[0:1], v[54:55]
	s_waitcnt vmcnt(22)
	v_mul_f64 v[54:55], v[220:221], v[188:189]
	s_waitcnt vmcnt(20)
	v_fmac_f64_e32 v[54:55], v[222:223], v[198:199]
	ds_read_b128 v[90:93], v214 offset:1568
	ds_read_b128 v[86:89], v214 offset:1584
	v_add_f64 v[0:1], v[0:1], v[54:55]
	s_waitcnt vmcnt(18)
	v_mul_f64 v[54:55], v[82:83], v[196:197]
	s_waitcnt vmcnt(16)
	v_fmac_f64_e32 v[54:55], v[84:85], v[202:203]
	v_add_f64 v[0:1], v[0:1], v[54:55]
	v_mul_f64 v[54:55], v[122:123], v[94:95]
	v_fma_f64 v[254:255], v[120:121], v[96:97], -v[54:55]
	ds_read_b128 v[94:97], v214 offset:1600
	ds_read_b128 v[98:101], v214 offset:1616
	s_waitcnt vmcnt(13) lgkmcnt(3)
	v_mul_f64 v[54:55], v[90:91], v[206:207]
	s_waitcnt vmcnt(12)
	v_fmac_f64_e32 v[54:55], v[92:93], v[224:225]
	v_add_f64 v[0:1], v[0:1], v[54:55]
	s_waitcnt vmcnt(9) lgkmcnt(2)
	v_mul_f64 v[54:55], v[86:87], v[228:229]
	s_waitcnt vmcnt(7)
	v_fmac_f64_e32 v[54:55], v[88:89], v[230:231]
	v_add_f64 v[0:1], v[0:1], v[54:55]
	;; [unrolled: 5-line block ×3, first 2 shown]
	s_waitcnt vmcnt(2) lgkmcnt(0)
	v_mul_f64 v[54:55], v[98:99], v[4:5]
	v_mul_f64 v[20:21], v[246:247], v[104:105]
	s_waitcnt vmcnt(0)
	v_fmac_f64_e32 v[54:55], v[100:101], v[234:235]
	v_fma_f64 v[20:21], v[244:245], v[106:107], -v[20:21]
	v_add_f64 v[0:1], v[0:1], v[54:55]
	buffer_load_dword v54, off, s[0:3], 0 offset:808
	buffer_load_dword v55, off, s[0:3], 0 offset:812
	;; [unrolled: 1-line block ×4, first 2 shown]
	ds_read_b128 v[102:105], v214 offset:1632
	buffer_load_dword v237, off, s[0:3], 0 offset:828
	buffer_load_dword v236, off, s[0:3], 0 offset:824
	;; [unrolled: 1-line block ×4, first 2 shown]
	ds_read_b128 v[120:123], v214 offset:1648
	v_add_f64 v[2:3], v[6:7], v[2:3]
	v_add_f64 v[2:3], v[2:3], v[20:21]
	v_accvgpr_read_b32 v6, a160
	v_accvgpr_read_b32 v7, a161
	v_mul_f64 v[6:7], v[142:143], v[6:7]
	v_fma_f64 v[6:7], v[140:141], v[8:9], -v[6:7]
	v_accvgpr_read_b32 v8, a166
	v_accvgpr_read_b32 v9, a167
	v_mul_f64 v[4:5], v[100:101], v[4:5]
	v_fma_f64 v[4:5], v[98:99], v[234:235], -v[4:5]
	s_waitcnt vmcnt(6) lgkmcnt(1)
	v_mul_f64 v[110:111], v[102:103], v[54:55]
	s_waitcnt vmcnt(4)
	v_fmac_f64_e32 v[110:111], v[104:105], v[106:107]
	v_add_f64 v[0:1], v[0:1], v[110:111]
	s_waitcnt vmcnt(2) lgkmcnt(0)
	v_mul_f64 v[110:111], v[120:121], v[236:237]
	s_waitcnt vmcnt(0)
	v_fmac_f64_e32 v[110:111], v[122:123], v[238:239]
	v_add_f64 v[114:115], v[0:1], v[110:111]
	buffer_load_dword v0, off, s[0:3], 0 offset:840
	buffer_load_dword v1, off, s[0:3], 0 offset:844
	;; [unrolled: 1-line block ×4, first 2 shown]
	ds_read_b128 v[110:113], v214 offset:1664
	buffer_load_dword v245, off, s[0:3], 0 offset:860
	buffer_load_dword v244, off, s[0:3], 0 offset:856
	;; [unrolled: 1-line block ×4, first 2 shown]
	s_waitcnt vmcnt(6) lgkmcnt(0)
	v_mul_f64 v[116:117], v[110:111], v[0:1]
	v_mul_f64 v[0:1], v[112:113], v[0:1]
	s_waitcnt vmcnt(4)
	v_fmac_f64_e32 v[116:117], v[112:113], v[240:241]
	v_add_f64 v[242:243], v[114:115], v[116:117]
	ds_read_b128 v[114:117], v214 offset:1680
	v_fma_f64 v[0:1], v[110:111], v[240:241], -v[0:1]
	s_waitcnt vmcnt(2) lgkmcnt(0)
	v_mul_f64 v[214:215], v[114:115], v[244:245]
	s_waitcnt vmcnt(0)
	v_fmac_f64_e32 v[214:215], v[116:117], v[246:247]
	v_add_f64 v[242:243], v[242:243], v[214:215]
	v_add_f64 v[214:215], v[2:3], v[248:249]
	buffer_load_dword v250, off, s[0:3], 0 offset:48
	buffer_load_dword v251, off, s[0:3], 0 offset:52
	;; [unrolled: 1-line block ×4, first 2 shown]
	v_add_f64 v[2:3], v[214:215], v[252:253]
	v_add_f64 v[2:3], v[2:3], v[254:255]
	;; [unrolled: 1-line block ×3, first 2 shown]
	v_accvgpr_read_b32 v6, a164
	v_accvgpr_read_b32 v7, a165
	v_mul_f64 v[6:7], v[138:139], v[6:7]
	v_fma_f64 v[6:7], v[136:137], v[8:9], -v[6:7]
	v_add_f64 v[2:3], v[2:3], v[6:7]
	v_mul_f64 v[6:7], v[134:135], v[144:145]
	v_fma_f64 v[6:7], v[132:133], v[146:147], -v[6:7]
	v_add_f64 v[2:3], v[2:3], v[6:7]
	v_accvgpr_read_b32 v6, a168
	v_accvgpr_read_b32 v7, a169
	v_accvgpr_read_b32 v8, a170
	v_mul_f64 v[6:7], v[130:131], v[6:7]
	v_accvgpr_read_b32 v9, a171
	v_fma_f64 v[6:7], v[128:129], v[8:9], -v[6:7]
	v_add_f64 v[2:3], v[2:3], v[6:7]
	v_mul_f64 v[6:7], v[126:127], v[148:149]
	v_fma_f64 v[6:7], v[124:125], v[150:151], -v[6:7]
	v_add_f64 v[2:3], v[2:3], v[6:7]
	v_accvgpr_read_b32 v6, a172
	v_accvgpr_read_b32 v7, a173
	v_accvgpr_read_b32 v8, a174
	v_mul_f64 v[6:7], v[24:25], v[6:7]
	v_accvgpr_read_b32 v9, a175
	;; [unrolled: 10-line block ×4, first 2 shown]
	v_fma_f64 v[6:7], v[42:43], v[8:9], -v[6:7]
	v_add_f64 v[2:3], v[2:3], v[6:7]
	v_mul_f64 v[6:7], v[40:41], v[164:165]
	v_fma_f64 v[6:7], v[38:39], v[166:167], -v[6:7]
	v_add_f64 v[2:3], v[2:3], v[6:7]
	v_mul_f64 v[6:7], v[48:49], v[160:161]
	;; [unrolled: 3-line block ×14, first 2 shown]
	v_fma_f64 v[6:7], v[94:95], v[80:81], -v[6:7]
	v_add_f64 v[2:3], v[2:3], v[6:7]
	v_add_f64 v[2:3], v[2:3], v[4:5]
	v_mul_f64 v[4:5], v[104:105], v[54:55]
	v_fma_f64 v[4:5], v[102:103], v[106:107], -v[4:5]
	v_add_f64 v[2:3], v[2:3], v[4:5]
	v_mul_f64 v[4:5], v[122:123], v[236:237]
	v_fma_f64 v[4:5], v[120:121], v[238:239], -v[4:5]
	v_add_f64 v[2:3], v[2:3], v[4:5]
	v_add_f64 v[0:1], v[2:3], v[0:1]
	v_mul_f64 v[2:3], v[116:117], v[244:245]
	v_fma_f64 v[2:3], v[114:115], v[246:247], -v[2:3]
	v_add_f64 v[0:1], v[0:1], v[2:3]
	s_waitcnt vmcnt(2)
	v_add_f64 v[0:1], v[250:251], -v[0:1]
	s_waitcnt vmcnt(0)
	v_add_f64 v[2:3], v[248:249], -v[242:243]
	buffer_store_dword v1, off, s[0:3], 0 offset:52
	buffer_store_dword v0, off, s[0:3], 0 offset:48
	;; [unrolled: 1-line block ×4, first 2 shown]
	v_accvgpr_read_b32 v0, a158
	v_cmp_lt_u32_e32 vcc, 1, v0
	s_and_saveexec_b64 s[4:5], vcc
	s_cbranch_execz .LBB52_329
; %bb.328:
	v_accvgpr_read_b32 v3, a157
	buffer_load_dword v0, v3, s[0:3], 0 offen
	buffer_load_dword v1, v3, s[0:3], 0 offen offset:4
	buffer_load_dword v2, v3, s[0:3], 0 offen offset:8
	s_nop 0
	buffer_load_dword v3, v3, s[0:3], 0 offen offset:12
	v_mov_b32_e32 v4, 0
	v_accvgpr_read_b32 v5, a159
	buffer_store_dword v4, off, s[0:3], 0 offset:32
	buffer_store_dword v4, off, s[0:3], 0 offset:36
	;; [unrolled: 1-line block ×4, first 2 shown]
	s_waitcnt vmcnt(4)
	ds_write_b128 v5, v[0:3]
.LBB52_329:
	s_or_b64 exec, exec, s[4:5]
	s_waitcnt lgkmcnt(0)
	; wave barrier
	s_waitcnt lgkmcnt(0)
	buffer_load_dword v30, off, s[0:3], 0 offset:48
	buffer_load_dword v31, off, s[0:3], 0 offset:52
	;; [unrolled: 1-line block ×36, first 2 shown]
	v_mov_b32_e32 v214, 0
	buffer_load_dword v67, off, s[0:3], 0 offset:220
	buffer_load_dword v66, off, s[0:3], 0 offset:216
	;; [unrolled: 1-line block ×18, first 2 shown]
	ds_read_b128 v[114:117], v214 offset:880
	ds_read_b128 v[126:129], v214 offset:896
	;; [unrolled: 1-line block ×9, first 2 shown]
	s_waitcnt vmcnt(50) lgkmcnt(8)
	v_mul_f64 v[0:1], v[114:115], v[32:33]
	v_fmac_f64_e32 v[0:1], v[116:117], v[30:31]
	v_add_f64 v[0:1], v[0:1], 0
	v_mul_f64 v[32:33], v[116:117], v[32:33]
	s_waitcnt vmcnt(46) lgkmcnt(7)
	v_mul_f64 v[2:3], v[126:127], v[38:39]
	v_fmac_f64_e32 v[2:3], v[128:129], v[36:37]
	v_add_f64 v[0:1], v[0:1], v[2:3]
	buffer_load_dword v109, off, s[0:3], 0 offset:276
	buffer_load_dword v108, off, s[0:3], 0 offset:272
	;; [unrolled: 1-line block ×32, first 2 shown]
	s_waitcnt vmcnt(62) lgkmcnt(6)
	v_mul_f64 v[4:5], v[136:137], v[34:35]
	s_waitcnt lgkmcnt(4)
	v_mul_f64 v[8:9], v[144:145], v[40:41]
	v_fmac_f64_e32 v[8:9], v[146:147], v[42:43]
	v_mul_f64 v[38:39], v[128:129], v[38:39]
	v_mul_f64 v[6:7], v[140:141], v[44:45]
	v_fma_f64 v[180:181], v[126:127], v[36:37], -v[38:39]
	s_waitcnt lgkmcnt(2)
	v_mul_f64 v[12:13], v[152:153], v[48:49]
	v_mul_f64 v[34:35], v[138:139], v[34:35]
	v_fmac_f64_e32 v[12:13], v[154:155], v[50:51]
	v_mul_f64 v[10:11], v[148:149], v[56:57]
	s_waitcnt lgkmcnt(1)
	v_mul_f64 v[14:15], v[156:157], v[52:53]
	s_waitcnt vmcnt(60)
	v_fmac_f64_e32 v[4:5], v[138:139], v[62:63]
	v_add_f64 v[0:1], v[0:1], v[4:5]
	s_waitcnt vmcnt(58)
	v_fmac_f64_e32 v[6:7], v[142:143], v[60:61]
	v_add_f64 v[0:1], v[0:1], v[6:7]
	v_add_f64 v[0:1], v[0:1], v[8:9]
	s_waitcnt vmcnt(56)
	v_fmac_f64_e32 v[10:11], v[150:151], v[58:59]
	v_add_f64 v[0:1], v[0:1], v[10:11]
	;; [unrolled: 4-line block ×3, first 2 shown]
	s_waitcnt vmcnt(0)
	v_pk_mov_b32 v[4:5], v[2:3], v[2:3] op_sel:[0,1]
	buffer_load_dword v3, off, s[0:3], 0 offset:404
	buffer_load_dword v2, off, s[0:3], 0 offset:400
	v_accvgpr_write_b32 a161, v5
	v_accvgpr_write_b32 a160, v4
	s_waitcnt vmcnt(0)
	v_pk_mov_b32 v[8:9], v[2:3], v[2:3] op_sel:[0,1]
	buffer_load_dword v95, off, s[0:3], 0 offset:396
	buffer_load_dword v94, off, s[0:3], 0 offset:392
	;; [unrolled: 1-line block ×6, first 2 shown]
	v_accvgpr_write_b32 a163, v9
	v_accvgpr_write_b32 a162, v8
	s_waitcnt vmcnt(0)
	v_pk_mov_b32 v[12:13], v[2:3], v[2:3] op_sel:[0,1]
	buffer_load_dword v3, off, s[0:3], 0 offset:436
	buffer_load_dword v2, off, s[0:3], 0 offset:432
	v_accvgpr_write_b32 a169, v13
	v_accvgpr_write_b32 a168, v12
	s_waitcnt vmcnt(0)
	v_pk_mov_b32 v[16:17], v[2:3], v[2:3] op_sel:[0,1]
	buffer_load_dword v3, off, s[0:3], 0 offset:428
	buffer_load_dword v2, off, s[0:3], 0 offset:424
	v_accvgpr_write_b32 a171, v17
	v_accvgpr_write_b32 a170, v16
	s_waitcnt vmcnt(0)
	v_pk_mov_b32 v[18:19], v[2:3], v[2:3] op_sel:[0,1]
	buffer_load_dword v3, off, s[0:3], 0 offset:420
	buffer_load_dword v2, off, s[0:3], 0 offset:416
	v_accvgpr_write_b32 a165, v19
	v_accvgpr_write_b32 a164, v18
	s_waitcnt vmcnt(0)
	v_pk_mov_b32 v[26:27], v[2:3], v[2:3] op_sel:[0,1]
	buffer_load_dword v3, off, s[0:3], 0 offset:476
	buffer_load_dword v2, off, s[0:3], 0 offset:472
	v_accvgpr_write_b32 a167, v27
	v_accvgpr_write_b32 a166, v26
	s_waitcnt vmcnt(0)
	v_pk_mov_b32 v[20:21], v[2:3], v[2:3] op_sel:[0,1]
	buffer_load_dword v3, off, s[0:3], 0 offset:468
	buffer_load_dword v2, off, s[0:3], 0 offset:464
	v_accvgpr_write_b32 a177, v21
	v_accvgpr_write_b32 a176, v20
	s_waitcnt vmcnt(0)
	v_pk_mov_b32 v[22:23], v[2:3], v[2:3] op_sel:[0,1]
	buffer_load_dword v3, off, s[0:3], 0 offset:460
	buffer_load_dword v2, off, s[0:3], 0 offset:456
	v_accvgpr_write_b32 a179, v23
	v_accvgpr_write_b32 a178, v22
	s_waitcnt vmcnt(0)
	v_pk_mov_b32 v[28:29], v[2:3], v[2:3] op_sel:[0,1]
	buffer_load_dword v3, off, s[0:3], 0 offset:452
	buffer_load_dword v2, off, s[0:3], 0 offset:448
	v_accvgpr_write_b32 a173, v29
	v_accvgpr_write_b32 a172, v28
	s_waitcnt vmcnt(0)
	v_pk_mov_b32 v[130:131], v[2:3], v[2:3] op_sel:[0,1]
	buffer_load_dword v3, off, s[0:3], 0 offset:508
	buffer_load_dword v2, off, s[0:3], 0 offset:504
	v_accvgpr_write_b32 a175, v131
	v_accvgpr_write_b32 a174, v130
	s_waitcnt vmcnt(0)
	v_pk_mov_b32 v[24:25], v[2:3], v[2:3] op_sel:[0,1]
	buffer_load_dword v3, off, s[0:3], 0 offset:500
	buffer_load_dword v2, off, s[0:3], 0 offset:496
	buffer_load_dword v249, off, s[0:3], 0 offset:492
	buffer_load_dword v248, off, s[0:3], 0 offset:488
	;; [unrolled: 1-line block ×4, first 2 shown]
	ds_read_b128 v[164:167], v214 offset:1024
	ds_read_b128 v[168:171], v214 offset:1040
	;; [unrolled: 1-line block ×8, first 2 shown]
	buffer_load_dword v121, off, s[0:3], 0 offset:540
	buffer_load_dword v253, off, s[0:3], 0 offset:524
	;; [unrolled: 1-line block ×8, first 2 shown]
	ds_read_b128 v[200:203], v214 offset:1152
	ds_read_b128 v[204:207], v214 offset:1168
	;; [unrolled: 1-line block ×10, first 2 shown]
	s_waitcnt lgkmcnt(5)
	v_mul_f64 v[6:7], v[220:221], v[94:95]
	v_fmac_f64_e32 v[6:7], v[222:223], v[96:97]
	s_waitcnt lgkmcnt(4)
	v_mul_f64 v[10:11], v[224:225], v[4:5]
	v_fmac_f64_e32 v[10:11], v[226:227], v[8:9]
	;; [unrolled: 3-line block ×3, first 2 shown]
	s_waitcnt lgkmcnt(2)
	v_mul_f64 v[18:19], v[232:233], v[12:13]
	ds_read_b128 v[244:247], v214 offset:1312
	v_fmac_f64_e32 v[18:19], v[234:235], v[16:17]
	s_waitcnt lgkmcnt(2)
	v_mul_f64 v[26:27], v[236:237], v[28:29]
	v_fmac_f64_e32 v[26:27], v[238:239], v[130:131]
	v_mul_f64 v[4:5], v[150:151], v[56:57]
	v_accvgpr_write_b32 a181, v25
	v_accvgpr_write_b32 a180, v24
	v_mul_f64 v[94:95], v[222:223], v[94:95]
	v_fma_f64 v[94:95], v[220:221], v[96:97], -v[94:95]
	v_accvgpr_write_b32 a185, v95
	v_accvgpr_write_b32 a184, v94
	s_waitcnt vmcnt(12)
	v_pk_mov_b32 v[124:125], v[2:3], v[2:3] op_sel:[0,1]
	v_mul_f64 v[2:3], v[160:161], v[46:47]
	v_fmac_f64_e32 v[2:3], v[162:163], v[64:65]
	v_add_f64 v[0:1], v[0:1], v[2:3]
	v_mul_f64 v[2:3], v[164:165], v[70:71]
	v_fmac_f64_e32 v[2:3], v[166:167], v[72:73]
	v_add_f64 v[0:1], v[0:1], v[2:3]
	;; [unrolled: 3-line block ×13, first 2 shown]
	v_add_f64 v[0:1], v[0:1], v[6:7]
	v_add_f64 v[0:1], v[0:1], v[10:11]
	;; [unrolled: 1-line block ×5, first 2 shown]
	s_waitcnt lgkmcnt(1)
	v_mul_f64 v[26:27], v[240:241], v[20:21]
	v_fmac_f64_e32 v[26:27], v[242:243], v[22:23]
	v_add_f64 v[0:1], v[0:1], v[26:27]
	v_fma_f64 v[22:23], v[114:115], v[30:31], -v[32:33]
	ds_read_b128 v[30:33], v214 offset:1344
	s_waitcnt vmcnt(10) lgkmcnt(1)
	v_mul_f64 v[26:27], v[244:245], v[248:249]
	s_waitcnt vmcnt(8)
	v_fmac_f64_e32 v[26:27], v[246:247], v[250:251]
	v_add_f64 v[0:1], v[0:1], v[26:27]
	ds_read_b128 v[26:29], v214 offset:1328
	v_accvgpr_write_b32 a183, v125
	v_accvgpr_write_b32 a182, v124
	s_waitcnt vmcnt(5) lgkmcnt(1)
	v_mul_f64 v[38:39], v[30:31], v[252:253]
	s_waitcnt vmcnt(3)
	v_fmac_f64_e32 v[38:39], v[32:33], v[254:255]
	s_waitcnt lgkmcnt(0)
	v_mul_f64 v[114:115], v[26:27], v[24:25]
	v_fmac_f64_e32 v[114:115], v[28:29], v[124:125]
	buffer_load_dword v125, off, s[0:3], 0 offset:572
	buffer_load_dword v124, off, s[0:3], 0 offset:568
	;; [unrolled: 1-line block ×8, first 2 shown]
	v_add_f64 v[0:1], v[0:1], v[114:115]
	v_fma_f64 v[114:115], v[136:137], v[62:63], -v[34:35]
	buffer_load_dword v128, off, s[0:3], 0 offset:600
	buffer_load_dword v133, off, s[0:3], 0 offset:588
	;; [unrolled: 1-line block ×5, first 2 shown]
	v_mul_f64 v[34:35], v[142:143], v[44:45]
	v_fma_f64 v[116:117], v[140:141], v[60:61], -v[34:35]
	ds_read_b128 v[34:37], v214 offset:1360
	buffer_load_dword v138, off, s[0:3], 0 offset:592
	buffer_load_dword v129, off, s[0:3], 0 offset:604
	;; [unrolled: 1-line block ×3, first 2 shown]
	v_add_f64 v[0:1], v[0:1], v[38:39]
	v_fma_f64 v[18:19], v[148:149], v[58:59], -v[4:5]
	v_mul_f64 v[4:5], v[154:155], v[48:49]
	s_waitcnt vmcnt(18) lgkmcnt(0)
	v_mul_f64 v[38:39], v[34:35], v[120:121]
	s_waitcnt vmcnt(16)
	v_fmac_f64_e32 v[38:39], v[36:37], v[122:123]
	v_add_f64 v[60:61], v[0:1], v[38:39]
	v_mul_f64 v[0:1], v[146:147], v[40:41]
	v_fma_f64 v[20:21], v[144:145], v[42:43], -v[0:1]
	buffer_load_dword v141, off, s[0:3], 0 offset:636
	buffer_load_dword v143, off, s[0:3], 0 offset:620
	;; [unrolled: 1-line block ×8, first 2 shown]
	ds_read_b128 v[38:41], v214 offset:1376
	buffer_load_dword v149, off, s[0:3], 0 offset:652
	buffer_load_dword v148, off, s[0:3], 0 offset:648
	;; [unrolled: 1-line block ×4, first 2 shown]
	v_fma_f64 v[16:17], v[152:153], v[50:51], -v[4:5]
	v_mul_f64 v[4:5], v[158:159], v[52:53]
	v_fma_f64 v[14:15], v[156:157], v[54:55], -v[4:5]
	buffer_load_dword v153, off, s[0:3], 0 offset:668
	buffer_load_dword v152, off, s[0:3], 0 offset:664
	;; [unrolled: 1-line block ×8, first 2 shown]
	v_mul_f64 v[4:5], v[162:163], v[46:47]
	v_fma_f64 v[12:13], v[160:161], v[64:65], -v[4:5]
	buffer_load_dword v160, off, s[0:3], 0 offset:696
	buffer_load_dword v162, off, s[0:3], 0 offset:688
	;; [unrolled: 1-line block ×4, first 2 shown]
	v_mul_f64 v[4:5], v[166:167], v[70:71]
	v_fma_f64 v[10:11], v[164:165], v[72:73], -v[4:5]
	v_mul_f64 v[4:5], v[170:171], v[66:67]
	buffer_load_dword v165, off, s[0:3], 0 offset:716
	buffer_load_dword v164, off, s[0:3], 0 offset:712
	;; [unrolled: 1-line block ×4, first 2 shown]
	v_fma_f64 v[8:9], v[168:169], v[68:69], -v[4:5]
	v_mul_f64 v[4:5], v[174:175], v[100:101]
	v_fma_f64 v[100:101], v[172:173], v[104:105], -v[4:5]
	buffer_load_dword v171, off, s[0:3], 0 offset:732
	buffer_load_dword v170, off, s[0:3], 0 offset:728
	;; [unrolled: 1-line block ×4, first 2 shown]
	v_mul_f64 v[4:5], v[178:179], v[92:93]
	v_fma_f64 v[6:7], v[176:177], v[76:77], -v[4:5]
	buffer_load_dword v169, off, s[0:3], 0 offset:764
	buffer_load_dword v175, off, s[0:3], 0 offset:748
	;; [unrolled: 1-line block ×12, first 2 shown]
	ds_read_b128 v[42:45], v214 offset:1392
	v_mul_f64 v[46:47], v[186:187], v[118:119]
	v_fma_f64 v[118:119], v[184:185], v[212:213], -v[46:47]
	ds_read_b128 v[46:49], v214 offset:1408
	v_mul_f64 v[54:55], v[190:191], v[74:75]
	v_fma_f64 v[212:213], v[188:189], v[108:109], -v[54:55]
	v_mul_f64 v[58:59], v[194:195], v[110:111]
	v_fma_f64 v[184:185], v[192:193], v[112:113], -v[58:59]
	;; [unrolled: 2-line block ×3, first 2 shown]
	ds_read_b128 v[66:69], v214 offset:1488
	ds_read_b128 v[54:57], v214 offset:1440
	v_mul_f64 v[70:71], v[202:203], v[102:103]
	v_fma_f64 v[2:3], v[200:201], v[106:107], -v[70:71]
	v_mul_f64 v[78:79], v[206:207], v[78:79]
	v_fma_f64 v[206:207], v[204:205], v[80:81], -v[78:79]
	;; [unrolled: 2-line block ×3, first 2 shown]
	ds_read_b128 v[82:85], v214 offset:1552
	v_mul_f64 v[86:87], v[218:219], v[86:87]
	v_fma_f64 v[0:1], v[216:217], v[88:89], -v[86:87]
	ds_read_b128 v[86:89], v214 offset:1568
	ds_read_b128 v[70:73], v214 offset:1504
	buffer_load_dword v98, off, s[0:3], 0 offset:792
	v_add_f64 v[22:23], v[22:23], 0
	v_add_f64 v[22:23], v[22:23], v[180:181]
	;; [unrolled: 1-line block ×9, first 2 shown]
	ds_read_b128 v[78:81], v214 offset:1536
	v_add_f64 v[10:11], v[12:13], v[10:11]
	v_add_f64 v[8:9], v[10:11], v[8:9]
	;; [unrolled: 1-line block ×5, first 2 shown]
	s_waitcnt vmcnt(55) lgkmcnt(8)
	v_mul_f64 v[50:51], v[38:39], v[130:131]
	s_waitcnt lgkmcnt(7)
	v_mul_f64 v[52:53], v[42:43], v[124:125]
	s_waitcnt vmcnt(53)
	v_fmac_f64_e32 v[50:51], v[40:41], v[134:135]
	v_add_f64 v[50:51], v[60:61], v[50:51]
	v_fmac_f64_e32 v[52:53], v[44:45], v[126:127]
	v_add_f64 v[50:51], v[50:51], v[52:53]
	s_waitcnt vmcnt(50) lgkmcnt(6)
	v_mul_f64 v[52:53], v[46:47], v[132:133]
	s_waitcnt vmcnt(48)
	v_fmac_f64_e32 v[52:53], v[48:49], v[136:137]
	v_add_f64 v[62:63], v[50:51], v[52:53]
	ds_read_b128 v[50:53], v214 offset:1424
	ds_read_b128 v[58:61], v214 offset:1456
	;; [unrolled: 1-line block ×3, first 2 shown]
	v_add_f64 v[6:7], v[6:7], v[212:213]
	v_add_f64 v[6:7], v[6:7], v[184:185]
	s_waitcnt vmcnt(46) lgkmcnt(2)
	v_mul_f64 v[64:65], v[50:51], v[128:129]
	s_waitcnt vmcnt(45)
	v_fmac_f64_e32 v[64:65], v[52:53], v[138:139]
	v_add_f64 v[62:63], v[62:63], v[64:65]
	s_waitcnt vmcnt(42)
	v_mul_f64 v[64:65], v[54:55], v[142:143]
	s_waitcnt vmcnt(40)
	v_fmac_f64_e32 v[64:65], v[56:57], v[146:147]
	v_add_f64 v[62:63], v[62:63], v[64:65]
	s_waitcnt vmcnt(39) lgkmcnt(1)
	v_mul_f64 v[64:65], v[58:59], v[140:141]
	s_waitcnt vmcnt(37)
	v_fmac_f64_e32 v[64:65], v[60:61], v[144:145]
	v_add_f64 v[74:75], v[62:63], v[64:65]
	ds_read_b128 v[62:65], v214 offset:1472
	v_add_f64 v[4:5], v[6:7], v[4:5]
	v_add_f64 v[2:3], v[4:5], v[2:3]
	;; [unrolled: 1-line block ×4, first 2 shown]
	s_waitcnt vmcnt(35) lgkmcnt(0)
	v_mul_f64 v[76:77], v[62:63], v[148:149]
	s_waitcnt vmcnt(33)
	v_fmac_f64_e32 v[76:77], v[64:65], v[150:151]
	v_add_f64 v[74:75], v[74:75], v[76:77]
	s_waitcnt vmcnt(31)
	v_mul_f64 v[76:77], v[66:67], v[152:153]
	s_waitcnt vmcnt(29)
	v_fmac_f64_e32 v[76:77], v[68:69], v[156:157]
	v_add_f64 v[74:75], v[74:75], v[76:77]
	s_waitcnt vmcnt(27)
	v_mul_f64 v[76:77], v[70:71], v[154:155]
	s_waitcnt vmcnt(25)
	v_fmac_f64_e32 v[76:77], v[72:73], v[158:159]
	v_add_f64 v[90:91], v[74:75], v[76:77]
	ds_read_b128 v[74:77], v214 offset:1520
	s_waitcnt vmcnt(10)
	v_mul_f64 v[104:105], v[86:87], v[174:175]
	s_waitcnt vmcnt(8)
	v_fmac_f64_e32 v[104:105], v[88:89], v[24:25]
	v_add_f64 v[212:213], v[2:3], v[0:1]
	v_accvgpr_read_b32 v2, a160
	s_waitcnt lgkmcnt(0)
	v_mul_f64 v[92:93], v[74:75], v[160:161]
	v_fmac_f64_e32 v[92:93], v[76:77], v[162:163]
	v_add_f64 v[90:91], v[90:91], v[92:93]
	v_mul_f64 v[92:93], v[78:79], v[164:165]
	v_fmac_f64_e32 v[92:93], v[80:81], v[166:167]
	v_add_f64 v[90:91], v[90:91], v[92:93]
	;; [unrolled: 3-line block ×3, first 2 shown]
	ds_read_b128 v[90:93], v214 offset:1584
	buffer_load_dword v186, off, s[0:3], 0 offset:784
	buffer_load_dword v99, off, s[0:3], 0 offset:796
	;; [unrolled: 1-line block ×3, first 2 shown]
	ds_read_b128 v[220:223], v214 offset:1616
	buffer_load_dword v189, off, s[0:3], 0 offset:812
	buffer_load_dword v188, off, s[0:3], 0 offset:808
	;; [unrolled: 1-line block ×4, first 2 shown]
	v_add_f64 v[102:103], v[102:103], v[104:105]
	s_waitcnt vmcnt(14) lgkmcnt(1)
	v_mul_f64 v[104:105], v[90:91], v[168:169]
	s_waitcnt vmcnt(12)
	v_fmac_f64_e32 v[104:105], v[92:93], v[178:179]
	v_add_f64 v[102:103], v[102:103], v[104:105]
	s_waitcnt vmcnt(10)
	v_mul_f64 v[104:105], v[94:95], v[176:177]
	s_waitcnt vmcnt(8)
	v_fmac_f64_e32 v[104:105], v[96:97], v[182:183]
	v_add_f64 v[102:103], v[102:103], v[104:105]
	v_accvgpr_read_b32 v0, a184
	v_accvgpr_read_b32 v3, a161
	;; [unrolled: 1-line block ×4, first 2 shown]
	v_mul_f64 v[2:3], v[226:227], v[2:3]
	v_accvgpr_read_b32 v5, a163
	v_add_f64 v[0:1], v[212:213], v[0:1]
	v_fma_f64 v[2:3], v[224:225], v[4:5], -v[2:3]
	v_add_f64 v[0:1], v[0:1], v[2:3]
	v_accvgpr_read_b32 v2, a164
	v_accvgpr_read_b32 v3, a165
	v_accvgpr_read_b32 v4, a166
	v_mul_f64 v[2:3], v[230:231], v[2:3]
	v_accvgpr_read_b32 v5, a167
	v_fma_f64 v[2:3], v[228:229], v[4:5], -v[2:3]
	v_add_f64 v[0:1], v[0:1], v[2:3]
	v_accvgpr_read_b32 v2, a168
	v_accvgpr_read_b32 v3, a169
	v_accvgpr_read_b32 v4, a170
	v_mul_f64 v[2:3], v[234:235], v[2:3]
	v_accvgpr_read_b32 v5, a171
	;; [unrolled: 7-line block ×4, first 2 shown]
	v_fma_f64 v[2:3], v[240:241], v[4:5], -v[2:3]
	v_add_f64 v[0:1], v[0:1], v[2:3]
	v_mul_f64 v[2:3], v[246:247], v[248:249]
	v_fma_f64 v[2:3], v[244:245], v[250:251], -v[2:3]
	v_add_f64 v[0:1], v[0:1], v[2:3]
	v_accvgpr_read_b32 v2, a180
	v_accvgpr_read_b32 v3, a181
	;; [unrolled: 1-line block ×3, first 2 shown]
	v_mul_f64 v[2:3], v[28:29], v[2:3]
	v_accvgpr_read_b32 v5, a183
	v_fma_f64 v[2:3], v[26:27], v[4:5], -v[2:3]
	v_add_f64 v[0:1], v[0:1], v[2:3]
	v_mul_f64 v[2:3], v[32:33], v[252:253]
	v_fma_f64 v[2:3], v[30:31], v[254:255], -v[2:3]
	v_add_f64 v[0:1], v[0:1], v[2:3]
	v_mul_f64 v[2:3], v[36:37], v[120:121]
	;; [unrolled: 3-line block ×8, first 2 shown]
	s_waitcnt vmcnt(5) lgkmcnt(0)
	v_mul_f64 v[104:105], v[220:221], v[98:99]
	s_waitcnt vmcnt(4)
	v_fmac_f64_e32 v[104:105], v[222:223], v[186:187]
	v_add_f64 v[106:107], v[102:103], v[104:105]
	ds_read_b128 v[102:105], v214 offset:1632
	buffer_load_dword v192, off, s[0:3], 0 offset:824
	buffer_load_dword v193, off, s[0:3], 0 offset:828
	buffer_load_dword v194, off, s[0:3], 0 offset:816
	buffer_load_dword v195, off, s[0:3], 0 offset:820
	v_fma_f64 v[2:3], v[58:59], v[144:145], -v[2:3]
	v_add_f64 v[0:1], v[0:1], v[2:3]
	v_mul_f64 v[2:3], v[64:65], v[148:149]
	s_waitcnt vmcnt(6) lgkmcnt(0)
	v_mul_f64 v[108:109], v[102:103], v[188:189]
	s_waitcnt vmcnt(4)
	v_fmac_f64_e32 v[108:109], v[104:105], v[190:191]
	v_add_f64 v[110:111], v[106:107], v[108:109]
	ds_read_b128 v[106:109], v214 offset:1648
	buffer_load_dword v197, off, s[0:3], 0 offset:844
	buffer_load_dword v196, off, s[0:3], 0 offset:840
	;; [unrolled: 1-line block ×4, first 2 shown]
	v_fma_f64 v[2:3], v[62:63], v[150:151], -v[2:3]
	v_add_f64 v[0:1], v[0:1], v[2:3]
	v_mul_f64 v[2:3], v[68:69], v[152:153]
	v_fma_f64 v[2:3], v[66:67], v[156:157], -v[2:3]
	v_add_f64 v[0:1], v[0:1], v[2:3]
	v_mul_f64 v[2:3], v[72:73], v[154:155]
	;; [unrolled: 3-line block ×10, first 2 shown]
	v_fma_f64 v[2:3], v[102:103], v[190:191], -v[2:3]
	v_add_f64 v[0:1], v[0:1], v[2:3]
	s_waitcnt vmcnt(6) lgkmcnt(0)
	v_mul_f64 v[112:113], v[106:107], v[192:193]
	v_mul_f64 v[2:3], v[108:109], v[192:193]
	s_waitcnt vmcnt(4)
	v_fmac_f64_e32 v[112:113], v[108:109], v[194:195]
	v_add_f64 v[200:201], v[110:111], v[112:113]
	ds_read_b128 v[110:113], v214 offset:1664
	v_fma_f64 v[2:3], v[106:107], v[194:195], -v[2:3]
	v_add_f64 v[0:1], v[0:1], v[2:3]
	s_waitcnt vmcnt(2) lgkmcnt(0)
	v_mul_f64 v[202:203], v[110:111], v[196:197]
	s_waitcnt vmcnt(0)
	v_fmac_f64_e32 v[202:203], v[112:113], v[198:199]
	v_add_f64 v[200:201], v[200:201], v[202:203]
	buffer_load_dword v202, off, s[0:3], 0 offset:856
	buffer_load_dword v203, off, s[0:3], 0 offset:860
	;; [unrolled: 1-line block ×4, first 2 shown]
	ds_read_b128 v[216:219], v214 offset:1680
	buffer_load_dword v208, off, s[0:3], 0 offset:32
	buffer_load_dword v209, off, s[0:3], 0 offset:36
	;; [unrolled: 1-line block ×4, first 2 shown]
	v_mul_f64 v[2:3], v[112:113], v[196:197]
	v_fma_f64 v[2:3], v[110:111], v[198:199], -v[2:3]
	v_add_f64 v[0:1], v[0:1], v[2:3]
	s_waitcnt vmcnt(6) lgkmcnt(0)
	v_mul_f64 v[2:3], v[218:219], v[202:203]
	v_mul_f64 v[210:211], v[216:217], v[202:203]
	s_waitcnt vmcnt(4)
	v_fma_f64 v[2:3], v[216:217], v[204:205], -v[2:3]
	v_fmac_f64_e32 v[210:211], v[218:219], v[204:205]
	v_add_f64 v[0:1], v[0:1], v[2:3]
	v_add_f64 v[200:201], v[200:201], v[210:211]
	s_waitcnt vmcnt(2)
	v_add_f64 v[0:1], v[208:209], -v[0:1]
	s_waitcnt vmcnt(0)
	v_add_f64 v[2:3], v[206:207], -v[200:201]
	buffer_store_dword v1, off, s[0:3], 0 offset:36
	buffer_store_dword v0, off, s[0:3], 0 offset:32
	;; [unrolled: 1-line block ×4, first 2 shown]
	v_accvgpr_read_b32 v0, a158
	v_cmp_ne_u32_e32 vcc, 0, v0
	s_and_saveexec_b64 s[4:5], vcc
	s_cbranch_execz .LBB52_331
; %bb.330:
	buffer_load_dword v0, off, s[0:3], 0 offset:16
	buffer_load_dword v1, off, s[0:3], 0 offset:20
	;; [unrolled: 1-line block ×4, first 2 shown]
	v_accvgpr_read_b32 v4, a159
	buffer_store_dword v214, off, s[0:3], 0 offset:16
	buffer_store_dword v214, off, s[0:3], 0 offset:20
	;; [unrolled: 1-line block ×4, first 2 shown]
	s_waitcnt vmcnt(4)
	ds_write_b128 v4, v[0:3]
.LBB52_331:
	s_or_b64 exec, exec, s[4:5]
	s_waitcnt lgkmcnt(0)
	; wave barrier
	s_waitcnt lgkmcnt(0)
	buffer_load_dword v24, off, s[0:3], 0 offset:32
	buffer_load_dword v25, off, s[0:3], 0 offset:36
	;; [unrolled: 1-line block ×36, first 2 shown]
	ds_read_b128 v[20:23], v214 offset:864
	ds_read_b128 v[56:59], v214 offset:880
	ds_read_b128 v[36:39], v214 offset:896
	ds_read_b128 v[28:31], v214 offset:912
	ds_read_b128 v[32:35], v214 offset:928
	ds_read_b128 v[52:55], v214 offset:944
	ds_read_b128 v[48:51], v214 offset:960
	ds_read_b128 v[44:47], v214 offset:976
	ds_read_b128 v[40:43], v214 offset:992
	buffer_load_dword v93, off, s[0:3], 0 offset:204
	buffer_load_dword v92, off, s[0:3], 0 offset:200
	;; [unrolled: 1-line block ×19, first 2 shown]
	s_and_b64 vcc, exec, s[20:21]
	s_waitcnt vmcnt(51) lgkmcnt(8)
	v_mul_f64 v[0:1], v[20:21], v[26:27]
	v_fmac_f64_e32 v[0:1], v[22:23], v[24:25]
	v_add_f64 v[0:1], v[0:1], 0
	v_mul_f64 v[22:23], v[22:23], v[26:27]
	s_waitcnt vmcnt(47) lgkmcnt(7)
	v_mul_f64 v[2:3], v[56:57], v[64:65]
	v_fmac_f64_e32 v[2:3], v[58:59], v[62:63]
	s_waitcnt vmcnt(45) lgkmcnt(6)
	v_mul_f64 v[4:5], v[36:37], v[60:61]
	v_add_f64 v[0:1], v[0:1], v[2:3]
	s_waitcnt vmcnt(43) lgkmcnt(4)
	v_mul_f64 v[8:9], v[32:33], v[66:67]
	v_fma_f64 v[20:21], v[20:21], v[24:25], -v[22:23]
	s_waitcnt vmcnt(41)
	v_fmac_f64_e32 v[8:9], v[34:35], v[68:69]
	v_mul_f64 v[34:35], v[34:35], v[66:67]
	s_waitcnt vmcnt(39)
	v_mul_f64 v[6:7], v[28:29], v[70:71]
	v_fma_f64 v[68:69], v[32:33], v[68:69], -v[34:35]
	s_waitcnt vmcnt(37) lgkmcnt(2)
	v_mul_f64 v[12:13], v[48:49], v[76:77]
	v_mul_f64 v[58:59], v[58:59], v[64:65]
	s_waitcnt vmcnt(35)
	v_fmac_f64_e32 v[12:13], v[50:51], v[78:79]
	v_fma_f64 v[64:65], v[56:57], v[62:63], -v[58:59]
	s_waitcnt vmcnt(33)
	v_mul_f64 v[10:11], v[52:53], v[82:83]
	v_mul_f64 v[50:51], v[50:51], v[76:77]
	s_waitcnt vmcnt(31) lgkmcnt(1)
	v_mul_f64 v[14:15], v[44:45], v[74:75]
	v_fma_f64 v[66:67], v[48:49], v[78:79], -v[50:51]
	s_waitcnt vmcnt(29)
	v_fmac_f64_e32 v[4:5], v[38:39], v[88:89]
	v_add_f64 v[0:1], v[0:1], v[4:5]
	s_waitcnt vmcnt(27)
	v_fmac_f64_e32 v[6:7], v[30:31], v[86:87]
	v_add_f64 v[0:1], v[0:1], v[6:7]
	;; [unrolled: 3-line block ×3, first 2 shown]
	v_add_f64 v[0:1], v[0:1], v[10:11]
	v_add_f64 v[0:1], v[0:1], v[12:13]
	buffer_load_dword v114, off, s[0:3], 0 offset:256
	buffer_load_dword v13, off, s[0:3], 0 offset:252
	;; [unrolled: 1-line block ×39, first 2 shown]
	s_waitcnt vmcnt(62)
	v_fmac_f64_e32 v[14:15], v[46:47], v[80:81]
	v_add_f64 v[0:1], v[0:1], v[14:15]
	v_mul_f64 v[30:31], v[30:31], v[70:71]
	v_fma_f64 v[70:71], v[28:29], v[86:87], -v[30:31]
	v_mul_f64 v[38:39], v[38:39], v[60:61]
	v_mul_f64 v[46:47], v[46:47], v[74:75]
	v_fma_f64 v[76:77], v[44:45], v[80:81], -v[46:47]
	v_mul_f64 v[54:55], v[54:55], v[82:83]
	v_fma_f64 v[82:83], v[52:53], v[84:85], -v[54:55]
	v_add_f64 v[20:21], v[20:21], 0
	v_add_f64 v[20:21], v[20:21], v[64:65]
	s_waitcnt vmcnt(0)
	v_pk_mov_b32 v[18:19], v[2:3], v[2:3] op_sel:[0,1]
	buffer_load_dword v3, off, s[0:3], 0 offset:420
	buffer_load_dword v2, off, s[0:3], 0 offset:416
	v_accvgpr_write_b32 a163, v19
	v_accvgpr_write_b32 a162, v18
	s_waitcnt vmcnt(0)
	v_pk_mov_b32 v[124:125], v[2:3], v[2:3] op_sel:[0,1]
	buffer_load_dword v3, off, s[0:3], 0 offset:412
	buffer_load_dword v2, off, s[0:3], 0 offset:408
	v_accvgpr_write_b32 a165, v125
	v_accvgpr_write_b32 a164, v124
	;; [unrolled: 6-line block ×10, first 2 shown]
	s_waitcnt vmcnt(0)
	v_pk_mov_b32 v[142:143], v[2:3], v[2:3] op_sel:[0,1]
	buffer_load_dword v3, off, s[0:3], 0 offset:468
	buffer_load_dword v2, off, s[0:3], 0 offset:464
	ds_read_b128 v[152:155], v214 offset:1008
	ds_read_b128 v[158:161], v214 offset:1024
	;; [unrolled: 1-line block ×9, first 2 shown]
	buffer_load_dword v5, off, s[0:3], 0 offset:508
	buffer_load_dword v4, off, s[0:3], 0 offset:504
	;; [unrolled: 1-line block ×4, first 2 shown]
	ds_read_b128 v[220:223], v214 offset:1152
	buffer_load_dword v251, off, s[0:3], 0 offset:524
	buffer_load_dword v250, off, s[0:3], 0 offset:520
	;; [unrolled: 1-line block ×6, first 2 shown]
	ds_read_b128 v[116:119], v214 offset:1168
	ds_read_b128 v[242:245], v214 offset:1232
	;; [unrolled: 1-line block ×5, first 2 shown]
	v_accvgpr_write_b32 a179, v143
	v_accvgpr_write_b32 a178, v142
	s_waitcnt lgkmcnt(13)
	v_mul_f64 v[44:45], v[160:161], v[92:93]
	s_waitcnt lgkmcnt(5)
	v_mul_f64 v[74:75], v[222:223], v[182:183]
	s_waitcnt vmcnt(10)
	v_pk_mov_b32 v[144:145], v[2:3], v[2:3] op_sel:[0,1]
	v_mul_f64 v[2:3], v[40:41], v[72:73]
	v_fmac_f64_e32 v[2:3], v[42:43], v[90:91]
	v_add_f64 v[0:1], v[0:1], v[2:3]
	v_mul_f64 v[2:3], v[152:153], v[100:101]
	v_fmac_f64_e32 v[2:3], v[154:155], v[102:103]
	v_add_f64 v[0:1], v[0:1], v[2:3]
	;; [unrolled: 3-line block ×10, first 2 shown]
	v_mul_f64 v[2:3], v[220:221], v[182:183]
	v_fmac_f64_e32 v[2:3], v[222:223], v[186:187]
	s_waitcnt vmcnt(8)
	v_pk_mov_b32 v[14:15], v[4:5], v[4:5] op_sel:[0,1]
	v_add_f64 v[4:5], v[0:1], v[2:3]
	ds_read_b128 v[0:3], v214 offset:1184
	s_waitcnt lgkmcnt(5)
	v_mul_f64 v[6:7], v[116:117], v[184:185]
	v_fmac_f64_e32 v[6:7], v[118:119], v[188:189]
	v_add_f64 v[8:9], v[4:5], v[6:7]
	ds_read_b128 v[4:7], v214 offset:1200
	s_waitcnt lgkmcnt(1)
	v_mul_f64 v[10:11], v[0:1], v[104:105]
	v_fmac_f64_e32 v[10:11], v[2:3], v[108:109]
	;; [unrolled: 5-line block ×3, first 2 shown]
	v_add_f64 v[120:121], v[120:121], v[122:123]
	v_accvgpr_write_b32 a181, v145
	s_waitcnt lgkmcnt(0)
	v_mul_f64 v[122:123], v[8:9], v[96:97]
	v_fmac_f64_e32 v[122:123], v[10:11], v[98:99]
	v_add_f64 v[120:121], v[120:121], v[122:123]
	v_mul_f64 v[122:123], v[242:243], v[134:135]
	v_fmac_f64_e32 v[122:123], v[244:245], v[136:137]
	v_add_f64 v[120:121], v[120:121], v[122:123]
	;; [unrolled: 3-line block ×3, first 2 shown]
	buffer_load_dword v121, off, s[0:3], 0 offset:532
	buffer_load_dword v120, off, s[0:3], 0 offset:528
	ds_read_b128 v[238:241], v214 offset:1296
	ds_read_b128 v[224:227], v214 offset:1312
	v_mul_f64 v[124:125], v[228:229], v[138:139]
	v_fmac_f64_e32 v[124:125], v[230:231], v[140:141]
	v_add_f64 v[122:123], v[122:123], v[124:125]
	v_mul_f64 v[124:125], v[246:247], v[126:127]
	v_fmac_f64_e32 v[124:125], v[248:249], v[128:129]
	s_waitcnt lgkmcnt(1)
	v_mul_f64 v[26:27], v[238:239], v[142:143]
	v_add_f64 v[24:25], v[122:123], v[124:125]
	v_fmac_f64_e32 v[26:27], v[240:241], v[144:145]
	v_add_f64 v[24:25], v[24:25], v[26:27]
	s_waitcnt lgkmcnt(0)
	v_mul_f64 v[26:27], v[224:225], v[130:131]
	v_fmac_f64_e32 v[26:27], v[226:227], v[132:133]
	v_add_f64 v[134:135], v[24:25], v[26:27]
	ds_read_b128 v[24:27], v214 offset:1328
	buffer_load_dword v127, off, s[0:3], 0 offset:556
	buffer_load_dword v126, off, s[0:3], 0 offset:552
	;; [unrolled: 1-line block ×12, first 2 shown]
	ds_read_b128 v[28:31], v214 offset:1344
	ds_read_b128 v[32:35], v214 offset:1360
	v_fma_f64 v[136:137], v[36:37], v[88:89], -v[38:39]
	s_waitcnt lgkmcnt(2)
	v_mul_f64 v[36:37], v[24:25], v[14:15]
	s_waitcnt vmcnt(20)
	v_fmac_f64_e32 v[36:37], v[26:27], v[236:237]
	s_waitcnt vmcnt(18) lgkmcnt(1)
	v_mul_f64 v[38:39], v[28:29], v[250:251]
	v_add_f64 v[36:37], v[134:135], v[36:37]
	s_waitcnt vmcnt(16)
	v_fmac_f64_e32 v[38:39], v[30:31], v[252:253]
	v_accvgpr_write_b32 a180, v144
	v_add_f64 v[56:57], v[36:37], v[38:39]
	ds_read_b128 v[36:39], v214 offset:1376
	buffer_load_dword v135, off, s[0:3], 0 offset:604
	buffer_load_dword v134, off, s[0:3], 0 offset:600
	;; [unrolled: 1-line block ×16, first 2 shown]
	v_mul_f64 v[42:43], v[42:43], v[72:73]
	v_fma_f64 v[78:79], v[40:41], v[90:91], -v[42:43]
	buffer_load_dword v146, off, s[0:3], 0 offset:680
	v_mul_f64 v[40:41], v[154:155], v[100:101]
	v_fma_f64 v[88:89], v[152:153], v[102:103], -v[40:41]
	buffer_load_dword v155, off, s[0:3], 0 offset:668
	buffer_load_dword v154, off, s[0:3], 0 offset:664
	;; [unrolled: 1-line block ×7, first 2 shown]
	ds_read_b128 v[40:43], v214 offset:1392
	v_fma_f64 v[90:91], v[158:159], v[94:95], -v[44:45]
	buffer_load_dword v159, off, s[0:3], 0 offset:700
	buffer_load_dword v158, off, s[0:3], 0 offset:696
	;; [unrolled: 1-line block ×4, first 2 shown]
	v_mul_f64 v[44:45], v[168:169], v[162:163]
	v_fma_f64 v[92:93], v[166:167], v[164:165], -v[44:45]
	buffer_load_dword v163, off, s[0:3], 0 offset:716
	buffer_load_dword v162, off, s[0:3], 0 offset:712
	;; [unrolled: 1-line block ×8, first 2 shown]
	v_mul_f64 v[44:45], v[176:177], v[170:171]
	v_fma_f64 v[94:95], v[174:175], v[172:173], -v[44:45]
	buffer_load_dword v173, off, s[0:3], 0 offset:748
	buffer_load_dword v172, off, s[0:3], 0 offset:744
	;; [unrolled: 1-line block ×4, first 2 shown]
	v_mul_f64 v[12:13], v[180:181], v[12:13]
	v_fma_f64 v[18:19], v[178:179], v[16:17], -v[12:13]
	buffer_load_dword v170, off, s[0:3], 0 offset:776
	buffer_load_dword v179, off, s[0:3], 0 offset:764
	;; [unrolled: 1-line block ×8, first 2 shown]
	v_mul_f64 v[44:45], v[204:205], v[110:111]
	s_waitcnt vmcnt(62) lgkmcnt(2)
	v_mul_f64 v[52:53], v[32:33], v[254:255]
	v_fma_f64 v[204:205], v[202:203], v[114:115], -v[44:45]
	ds_read_b128 v[44:47], v214 offset:1408
	v_mul_f64 v[72:73], v[218:219], v[194:195]
	v_accvgpr_write_b32 a183, v15
	v_accvgpr_write_b32 a182, v14
	v_fma_f64 v[14:15], v[220:221], v[186:187], -v[74:75]
	ds_read_b128 v[220:223], v214 offset:1504
	v_mul_f64 v[84:85], v[118:119], v[184:185]
	v_fma_f64 v[12:13], v[116:117], v[188:189], -v[84:85]
	ds_read_b128 v[116:119], v214 offset:1536
	v_mul_f64 v[2:3], v[2:3], v[104:105]
	ds_read_b128 v[84:87], v214 offset:1568
	v_mul_f64 v[6:7], v[6:7], v[106:107]
	v_mul_f64 v[10:11], v[10:11], v[96:97]
	v_add_f64 v[20:21], v[20:21], v[136:137]
	v_add_f64 v[20:21], v[20:21], v[70:71]
	;; [unrolled: 1-line block ×13, first 2 shown]
	s_waitcnt vmcnt(60)
	v_fmac_f64_e32 v[52:53], v[34:35], v[120:121]
	v_add_f64 v[48:49], v[56:57], v[52:53]
	v_mul_f64 v[52:53], v[208:209], v[198:199]
	v_fma_f64 v[206:207], v[206:207], v[200:201], -v[52:53]
	ds_read_b128 v[52:55], v214 offset:1440
	v_fma_f64 v[198:199], v[216:217], v[196:197], -v[72:73]
	ds_read_b128 v[216:219], v214 offset:1488
	;; [unrolled: 2-line block ×3, first 2 shown]
	v_add_f64 v[18:19], v[18:19], v[206:207]
	s_waitcnt vmcnt(58) lgkmcnt(8)
	v_mul_f64 v[16:17], v[36:37], v[126:127]
	s_waitcnt vmcnt(56)
	v_fmac_f64_e32 v[16:17], v[38:39], v[128:129]
	v_add_f64 v[16:17], v[48:49], v[16:17]
	s_waitcnt vmcnt(52) lgkmcnt(7)
	v_mul_f64 v[48:49], v[40:41], v[130:131]
	s_waitcnt vmcnt(50)
	v_fmac_f64_e32 v[48:49], v[42:43], v[132:133]
	;; [unrolled: 5-line block ×3, first 2 shown]
	v_add_f64 v[16:17], v[16:17], v[48:49]
	ds_read_b128 v[48:51], v214 offset:1424
	s_waitcnt vmcnt(42) lgkmcnt(3)
	v_mul_f64 v[60:61], v[52:53], v[138:139]
	s_waitcnt lgkmcnt(0)
	v_mul_f64 v[56:57], v[48:49], v[134:135]
	v_fmac_f64_e32 v[56:57], v[50:51], v[140:141]
	v_add_f64 v[16:17], v[16:17], v[56:57]
	v_mul_f64 v[56:57], v[212:213], v[190:191]
	v_fma_f64 v[212:213], v[210:211], v[192:193], -v[56:57]
	ds_read_b128 v[56:59], v214 offset:1456
	s_waitcnt vmcnt(40)
	v_fmac_f64_e32 v[60:61], v[54:55], v[144:145]
	v_add_f64 v[16:17], v[16:17], v[60:61]
	ds_read_b128 v[60:63], v214 offset:1472
	v_fma_f64 v[210:211], v[8:9], v[98:99], -v[10:11]
	s_waitcnt vmcnt(35) lgkmcnt(1)
	v_mul_f64 v[72:73], v[56:57], v[148:149]
	s_waitcnt vmcnt(33)
	v_fmac_f64_e32 v[72:73], v[58:59], v[150:151]
	v_add_f64 v[16:17], v[16:17], v[72:73]
	s_waitcnt lgkmcnt(0)
	v_mul_f64 v[72:73], v[60:61], v[80:81]
	s_waitcnt vmcnt(32)
	v_fmac_f64_e32 v[72:73], v[62:63], v[142:143]
	v_add_f64 v[16:17], v[16:17], v[72:73]
	s_waitcnt vmcnt(29)
	v_mul_f64 v[72:73], v[216:217], v[154:155]
	s_waitcnt vmcnt(27)
	v_fmac_f64_e32 v[72:73], v[218:219], v[156:157]
	v_add_f64 v[16:17], v[16:17], v[72:73]
	s_waitcnt vmcnt(25)
	v_mul_f64 v[72:73], v[220:221], v[146:147]
	s_waitcnt vmcnt(24)
	v_fmac_f64_e32 v[72:73], v[222:223], v[152:153]
	v_add_f64 v[16:17], v[16:17], v[72:73]
	ds_read_b128 v[72:75], v214 offset:1520
	ds_read_b128 v[8:11], v214 offset:1600
	v_add_f64 v[18:19], v[18:19], v[212:213]
	v_add_f64 v[18:19], v[18:19], v[198:199]
	;; [unrolled: 1-line block ×3, first 2 shown]
	s_waitcnt vmcnt(22) lgkmcnt(1)
	v_mul_f64 v[22:23], v[72:73], v[158:159]
	s_waitcnt vmcnt(20)
	v_fmac_f64_e32 v[22:23], v[74:75], v[160:161]
	v_add_f64 v[16:17], v[16:17], v[22:23]
	s_waitcnt vmcnt(18)
	v_mul_f64 v[22:23], v[116:117], v[162:163]
	s_waitcnt vmcnt(16)
	v_fmac_f64_e32 v[22:23], v[118:119], v[166:167]
	v_add_f64 v[16:17], v[16:17], v[22:23]
	s_waitcnt vmcnt(14)
	v_mul_f64 v[22:23], v[0:1], v[164:165]
	s_waitcnt vmcnt(12)
	v_fmac_f64_e32 v[22:23], v[2:3], v[168:169]
	v_add_f64 v[16:17], v[16:17], v[22:23]
	v_fma_f64 v[22:23], v[4:5], v[112:113], -v[6:7]
	ds_read_b128 v[4:7], v214 offset:1584
	buffer_load_dword v183, off, s[0:3], 0 offset:796
	buffer_load_dword v182, off, s[0:3], 0 offset:792
	;; [unrolled: 1-line block ×4, first 2 shown]
	s_waitcnt vmcnt(14)
	v_mul_f64 v[100:101], v[84:85], v[172:173]
	s_waitcnt vmcnt(12)
	v_fmac_f64_e32 v[100:101], v[86:87], v[174:175]
	v_add_f64 v[16:17], v[16:17], v[100:101]
	s_waitcnt vmcnt(9) lgkmcnt(0)
	v_mul_f64 v[96:97], v[4:5], v[178:179]
	s_waitcnt vmcnt(7)
	v_fmac_f64_e32 v[96:97], v[6:7], v[180:181]
	v_add_f64 v[16:17], v[16:17], v[96:97]
	s_waitcnt vmcnt(5)
	v_mul_f64 v[96:97], v[8:9], v[170:171]
	s_waitcnt vmcnt(4)
	v_fmac_f64_e32 v[96:97], v[10:11], v[176:177]
	v_add_f64 v[16:17], v[16:17], v[96:97]
	ds_read_b128 v[96:99], v214 offset:1616
	buffer_load_dword v186, off, s[0:3], 0 offset:808
	buffer_load_dword v187, off, s[0:3], 0 offset:812
	buffer_load_dword v188, off, s[0:3], 0 offset:800
	buffer_load_dword v189, off, s[0:3], 0 offset:804
	v_add_f64 v[12:13], v[14:15], v[12:13]
	v_accvgpr_read_b32 v14, a158
	v_add_f64 v[212:213], v[12:13], v[208:209]
	v_accvgpr_read_b32 v15, a159
	v_accvgpr_read_b32 v18, a160
	v_add_f64 v[12:13], v[212:213], v[22:23]
	v_mul_f64 v[14:15], v[244:245], v[14:15]
	v_accvgpr_read_b32 v19, a161
	v_add_f64 v[12:13], v[12:13], v[210:211]
	v_fma_f64 v[14:15], v[242:243], v[18:19], -v[14:15]
	v_add_f64 v[12:13], v[12:13], v[14:15]
	v_accvgpr_read_b32 v14, a162
	v_accvgpr_read_b32 v15, a163
	v_accvgpr_read_b32 v18, a164
	v_mul_f64 v[14:15], v[234:235], v[14:15]
	v_accvgpr_read_b32 v19, a165
	v_fma_f64 v[14:15], v[232:233], v[18:19], -v[14:15]
	v_add_f64 v[12:13], v[12:13], v[14:15]
	v_accvgpr_read_b32 v14, a166
	v_accvgpr_read_b32 v15, a167
	v_accvgpr_read_b32 v18, a168
	v_mul_f64 v[14:15], v[230:231], v[14:15]
	v_accvgpr_read_b32 v19, a169
	v_fma_f64 v[14:15], v[228:229], v[18:19], -v[14:15]
	v_add_f64 v[12:13], v[12:13], v[14:15]
	v_accvgpr_read_b32 v14, a170
	v_accvgpr_read_b32 v15, a171
	v_accvgpr_read_b32 v18, a172
	v_mul_f64 v[14:15], v[248:249], v[14:15]
	v_accvgpr_read_b32 v19, a173
	v_fma_f64 v[14:15], v[246:247], v[18:19], -v[14:15]
	v_add_f64 v[12:13], v[12:13], v[14:15]
	v_accvgpr_read_b32 v14, a178
	v_accvgpr_read_b32 v15, a179
	v_accvgpr_read_b32 v18, a180
	v_mul_f64 v[14:15], v[240:241], v[14:15]
	v_accvgpr_read_b32 v19, a181
	v_fma_f64 v[14:15], v[238:239], v[18:19], -v[14:15]
	v_add_f64 v[12:13], v[12:13], v[14:15]
	v_accvgpr_read_b32 v14, a174
	v_accvgpr_read_b32 v15, a175
	v_accvgpr_read_b32 v18, a176
	v_mul_f64 v[14:15], v[226:227], v[14:15]
	v_accvgpr_read_b32 v19, a177
	v_fma_f64 v[14:15], v[224:225], v[18:19], -v[14:15]
	v_add_f64 v[12:13], v[12:13], v[14:15]
	v_accvgpr_read_b32 v14, a182
	v_accvgpr_read_b32 v15, a183
	v_mul_f64 v[14:15], v[26:27], v[14:15]
	v_fma_f64 v[14:15], v[24:25], v[236:237], -v[14:15]
	v_add_f64 v[12:13], v[12:13], v[14:15]
	v_mul_f64 v[14:15], v[30:31], v[250:251]
	v_fma_f64 v[14:15], v[28:29], v[252:253], -v[14:15]
	v_add_f64 v[12:13], v[12:13], v[14:15]
	v_mul_f64 v[14:15], v[34:35], v[254:255]
	v_fma_f64 v[14:15], v[32:33], v[120:121], -v[14:15]
	v_add_f64 v[12:13], v[12:13], v[14:15]
	v_mul_f64 v[14:15], v[38:39], v[126:127]
	v_fma_f64 v[14:15], v[36:37], v[128:129], -v[14:15]
	v_add_f64 v[12:13], v[12:13], v[14:15]
	v_mul_f64 v[14:15], v[42:43], v[130:131]
	v_fma_f64 v[14:15], v[40:41], v[132:133], -v[14:15]
	v_add_f64 v[12:13], v[12:13], v[14:15]
	v_mul_f64 v[14:15], v[46:47], v[122:123]
	v_fma_f64 v[14:15], v[44:45], v[124:125], -v[14:15]
	v_add_f64 v[12:13], v[12:13], v[14:15]
	s_waitcnt vmcnt(6) lgkmcnt(0)
	v_mul_f64 v[100:101], v[96:97], v[182:183]
	v_mul_f64 v[14:15], v[50:51], v[134:135]
	s_waitcnt vmcnt(4)
	v_fmac_f64_e32 v[100:101], v[98:99], v[184:185]
	v_add_f64 v[16:17], v[16:17], v[100:101]
	ds_read_b128 v[100:103], v214 offset:1632
	buffer_load_dword v191, off, s[0:3], 0 offset:828
	buffer_load_dword v190, off, s[0:3], 0 offset:824
	;; [unrolled: 1-line block ×4, first 2 shown]
	v_fma_f64 v[14:15], v[48:49], v[140:141], -v[14:15]
	v_add_f64 v[12:13], v[12:13], v[14:15]
	v_mul_f64 v[14:15], v[54:55], v[138:139]
	v_fma_f64 v[14:15], v[52:53], v[144:145], -v[14:15]
	v_add_f64 v[12:13], v[12:13], v[14:15]
	s_waitcnt vmcnt(6) lgkmcnt(0)
	v_mul_f64 v[104:105], v[100:101], v[186:187]
	v_mul_f64 v[14:15], v[58:59], v[148:149]
	s_waitcnt vmcnt(4)
	v_fmac_f64_e32 v[104:105], v[102:103], v[188:189]
	v_add_f64 v[16:17], v[16:17], v[104:105]
	ds_read_b128 v[104:107], v214 offset:1648
	buffer_load_dword v194, off, s[0:3], 0 offset:840
	buffer_load_dword v195, off, s[0:3], 0 offset:844
	;; [unrolled: 1-line block ×4, first 2 shown]
	v_fma_f64 v[14:15], v[56:57], v[150:151], -v[14:15]
	v_add_f64 v[12:13], v[12:13], v[14:15]
	v_mul_f64 v[14:15], v[62:63], v[80:81]
	v_fma_f64 v[14:15], v[60:61], v[142:143], -v[14:15]
	v_add_f64 v[12:13], v[12:13], v[14:15]
	v_mul_f64 v[14:15], v[218:219], v[154:155]
	v_fma_f64 v[14:15], v[216:217], v[156:157], -v[14:15]
	v_add_f64 v[12:13], v[12:13], v[14:15]
	v_mul_f64 v[14:15], v[222:223], v[146:147]
	v_fma_f64 v[14:15], v[220:221], v[152:153], -v[14:15]
	v_add_f64 v[12:13], v[12:13], v[14:15]
	v_mul_f64 v[14:15], v[74:75], v[158:159]
	v_fma_f64 v[14:15], v[72:73], v[160:161], -v[14:15]
	v_add_f64 v[12:13], v[12:13], v[14:15]
	v_mul_f64 v[14:15], v[118:119], v[162:163]
	v_fma_f64 v[14:15], v[116:117], v[166:167], -v[14:15]
	v_mul_f64 v[2:3], v[2:3], v[164:165]
	v_add_f64 v[12:13], v[12:13], v[14:15]
	v_fma_f64 v[0:1], v[0:1], v[168:169], -v[2:3]
	v_mul_f64 v[2:3], v[86:87], v[172:173]
	v_add_f64 v[0:1], v[12:13], v[0:1]
	v_fma_f64 v[2:3], v[84:85], v[174:175], -v[2:3]
	v_add_f64 v[0:1], v[0:1], v[2:3]
	v_mul_f64 v[2:3], v[6:7], v[178:179]
	v_fma_f64 v[2:3], v[4:5], v[180:181], -v[2:3]
	v_add_f64 v[0:1], v[0:1], v[2:3]
	v_mul_f64 v[2:3], v[10:11], v[170:171]
	;; [unrolled: 3-line block ×4, first 2 shown]
	v_fma_f64 v[2:3], v[100:101], v[188:189], -v[2:3]
	v_add_f64 v[0:1], v[0:1], v[2:3]
	s_waitcnt vmcnt(6) lgkmcnt(0)
	v_mul_f64 v[108:109], v[104:105], v[190:191]
	v_mul_f64 v[2:3], v[106:107], v[190:191]
	s_waitcnt vmcnt(4)
	v_fmac_f64_e32 v[108:109], v[106:107], v[192:193]
	v_add_f64 v[16:17], v[16:17], v[108:109]
	ds_read_b128 v[108:111], v214 offset:1664
	buffer_load_dword v201, off, s[0:3], 0 offset:860
	buffer_load_dword v200, off, s[0:3], 0 offset:856
	;; [unrolled: 1-line block ×4, first 2 shown]
	v_fma_f64 v[2:3], v[104:105], v[192:193], -v[2:3]
	v_add_f64 v[0:1], v[0:1], v[2:3]
	s_waitcnt vmcnt(6) lgkmcnt(0)
	v_mul_f64 v[112:113], v[108:109], v[194:195]
	v_mul_f64 v[2:3], v[110:111], v[194:195]
	s_waitcnt vmcnt(4)
	v_fmac_f64_e32 v[112:113], v[110:111], v[196:197]
	v_add_f64 v[16:17], v[16:17], v[112:113]
	ds_read_b128 v[112:115], v214 offset:1680
	buffer_load_dword v206, off, s[0:3], 0 offset:16
	buffer_load_dword v207, off, s[0:3], 0 offset:20
	;; [unrolled: 1-line block ×4, first 2 shown]
	v_fma_f64 v[2:3], v[108:109], v[196:197], -v[2:3]
	v_add_f64 v[0:1], v[0:1], v[2:3]
	s_waitcnt vmcnt(6) lgkmcnt(0)
	v_mul_f64 v[2:3], v[114:115], v[200:201]
	v_mul_f64 v[214:215], v[112:113], v[200:201]
	s_waitcnt vmcnt(4)
	v_fma_f64 v[2:3], v[112:113], v[202:203], -v[2:3]
	v_fmac_f64_e32 v[214:215], v[114:115], v[202:203]
	v_add_f64 v[0:1], v[0:1], v[2:3]
	v_add_f64 v[16:17], v[16:17], v[214:215]
	s_waitcnt vmcnt(2)
	v_add_f64 v[0:1], v[206:207], -v[0:1]
	s_waitcnt vmcnt(0)
	v_add_f64 v[2:3], v[204:205], -v[16:17]
	buffer_store_dword v1, off, s[0:3], 0 offset:20
	buffer_store_dword v0, off, s[0:3], 0 offset:16
	;; [unrolled: 1-line block ×4, first 2 shown]
	s_cbranch_vccz .LBB52_437
; %bb.332:
	v_pk_mov_b32 v[0:1], s[10:11], s[10:11] op_sel:[0,1]
	flat_load_dword v0, v[0:1] offset:204
	s_waitcnt vmcnt(0) lgkmcnt(0)
	v_add_u32_e32 v0, -1, v0
	v_cmp_ne_u32_e32 vcc, 51, v0
	s_and_saveexec_b64 s[4:5], vcc
	s_cbranch_execz .LBB52_334
; %bb.333:
	v_mov_b32_e32 v1, 16
	v_accvgpr_read_b32 v9, a107
	v_lshl_add_u32 v0, v0, 4, v1
	buffer_load_dword v1, v9, s[0:3], 0 offen offset:4
	buffer_load_dword v2, v9, s[0:3], 0 offen offset:8
	buffer_load_dword v3, v9, s[0:3], 0 offen offset:12
	buffer_load_dword v4, v0, s[0:3], 0 offen
	buffer_load_dword v5, v0, s[0:3], 0 offen offset:4
	buffer_load_dword v6, v0, s[0:3], 0 offen offset:8
	buffer_load_dword v7, v0, s[0:3], 0 offen offset:12
	buffer_load_dword v8, v9, s[0:3], 0 offen
	s_waitcnt vmcnt(4)
	buffer_store_dword v4, v9, s[0:3], 0 offen
	s_waitcnt vmcnt(4)
	buffer_store_dword v5, v9, s[0:3], 0 offen offset:4
	s_waitcnt vmcnt(4)
	buffer_store_dword v6, v9, s[0:3], 0 offen offset:8
	s_waitcnt vmcnt(4)
	buffer_store_dword v7, v9, s[0:3], 0 offen offset:12
	buffer_store_dword v3, v0, s[0:3], 0 offen offset:12
	buffer_store_dword v2, v0, s[0:3], 0 offen offset:8
	buffer_store_dword v1, v0, s[0:3], 0 offen offset:4
	s_waitcnt vmcnt(7)
	buffer_store_dword v8, v0, s[0:3], 0 offen
.LBB52_334:
	s_or_b64 exec, exec, s[4:5]
	v_pk_mov_b32 v[0:1], s[10:11], s[10:11] op_sel:[0,1]
	flat_load_dword v0, v[0:1] offset:200
	s_waitcnt vmcnt(0) lgkmcnt(0)
	v_add_u32_e32 v0, -1, v0
	v_cmp_ne_u32_e32 vcc, 50, v0
	s_and_saveexec_b64 s[4:5], vcc
	s_cbranch_execz .LBB52_336
; %bb.335:
	v_mov_b32_e32 v1, 16
	v_accvgpr_read_b32 v9, a108
	v_lshl_add_u32 v0, v0, 4, v1
	buffer_load_dword v1, v9, s[0:3], 0 offen offset:4
	buffer_load_dword v2, v9, s[0:3], 0 offen offset:8
	buffer_load_dword v3, v9, s[0:3], 0 offen offset:12
	buffer_load_dword v4, v0, s[0:3], 0 offen
	buffer_load_dword v5, v0, s[0:3], 0 offen offset:4
	buffer_load_dword v6, v0, s[0:3], 0 offen offset:8
	buffer_load_dword v7, v0, s[0:3], 0 offen offset:12
	buffer_load_dword v8, v9, s[0:3], 0 offen
	s_waitcnt vmcnt(4)
	buffer_store_dword v4, v9, s[0:3], 0 offen
	s_waitcnt vmcnt(4)
	buffer_store_dword v5, v9, s[0:3], 0 offen offset:4
	s_waitcnt vmcnt(4)
	buffer_store_dword v6, v9, s[0:3], 0 offen offset:8
	s_waitcnt vmcnt(4)
	buffer_store_dword v7, v9, s[0:3], 0 offen offset:12
	buffer_store_dword v3, v0, s[0:3], 0 offen offset:12
	buffer_store_dword v2, v0, s[0:3], 0 offen offset:8
	buffer_store_dword v1, v0, s[0:3], 0 offen offset:4
	s_waitcnt vmcnt(7)
	buffer_store_dword v8, v0, s[0:3], 0 offen
.LBB52_336:
	s_or_b64 exec, exec, s[4:5]
	;; [unrolled: 34-line block ×51, first 2 shown]
	v_pk_mov_b32 v[0:1], s[10:11], s[10:11] op_sel:[0,1]
	flat_load_dword v0, v[0:1]
	s_waitcnt vmcnt(0) lgkmcnt(0)
	v_add_u32_e32 v0, -1, v0
	v_cmp_ne_u32_e32 vcc, 0, v0
	s_and_saveexec_b64 s[4:5], vcc
	s_cbranch_execz .LBB52_436
; %bb.435:
	v_mov_b32_e32 v1, 16
	v_lshl_add_u32 v0, v0, 4, v1
	buffer_load_dword v1, v0, s[0:3], 0 offen
	buffer_load_dword v2, v0, s[0:3], 0 offen offset:4
	buffer_load_dword v3, v0, s[0:3], 0 offen offset:8
	;; [unrolled: 1-line block ×3, first 2 shown]
	buffer_load_dword v5, off, s[0:3], 0 offset:28
	buffer_load_dword v6, off, s[0:3], 0 offset:24
	;; [unrolled: 1-line block ×4, first 2 shown]
	s_waitcnt vmcnt(7)
	buffer_store_dword v1, off, s[0:3], 0 offset:16
	s_waitcnt vmcnt(7)
	buffer_store_dword v2, off, s[0:3], 0 offset:20
	s_waitcnt vmcnt(7)
	buffer_store_dword v3, off, s[0:3], 0 offset:24
	s_waitcnt vmcnt(7)
	buffer_store_dword v4, off, s[0:3], 0 offset:28
	s_waitcnt vmcnt(7)
	buffer_store_dword v5, v0, s[0:3], 0 offen offset:12
	s_waitcnt vmcnt(7)
	buffer_store_dword v6, v0, s[0:3], 0 offen offset:8
	;; [unrolled: 2-line block ×3, first 2 shown]
	s_waitcnt vmcnt(7)
	buffer_store_dword v8, v0, s[0:3], 0 offen
.LBB52_436:
	s_or_b64 exec, exec, s[4:5]
.LBB52_437:
	buffer_load_dword v0, off, s[0:3], 0 offset:16
	buffer_load_dword v1, off, s[0:3], 0 offset:20
	;; [unrolled: 1-line block ×4, first 2 shown]
	v_accvgpr_read_b32 v5, a1
	v_accvgpr_read_b32 v4, a0
	s_waitcnt vmcnt(0)
	global_store_dwordx4 v[4:5], v[0:3], off
	s_nop 0
	v_accvgpr_read_b32 v3, a157
	buffer_load_dword v0, v3, s[0:3], 0 offen
	buffer_load_dword v1, v3, s[0:3], 0 offen offset:4
	buffer_load_dword v2, v3, s[0:3], 0 offen offset:8
	s_nop 0
	buffer_load_dword v3, v3, s[0:3], 0 offen offset:12
	v_accvgpr_read_b32 v5, a3
	v_accvgpr_read_b32 v4, a2
	s_waitcnt vmcnt(0)
	global_store_dwordx4 v[4:5], v[0:3], off
	s_nop 0
	v_accvgpr_read_b32 v3, a156
	buffer_load_dword v0, v3, s[0:3], 0 offen
	buffer_load_dword v1, v3, s[0:3], 0 offen offset:4
	buffer_load_dword v2, v3, s[0:3], 0 offen offset:8
	s_nop 0
	buffer_load_dword v3, v3, s[0:3], 0 offen offset:12
	;; [unrolled: 11-line block ×11, first 2 shown]
	v_accvgpr_read_b32 v4, a22
	v_accvgpr_read_b32 v5, a23
	s_waitcnt vmcnt(0)
	global_store_dwordx4 v[4:5], v[0:3], off
	v_accvgpr_read_b32 v4, a146
	buffer_load_dword v0, v4, s[0:3], 0 offen
	buffer_load_dword v1, v4, s[0:3], 0 offen offset:4
	buffer_load_dword v2, v4, s[0:3], 0 offen offset:8
	buffer_load_dword v3, v4, s[0:3], 0 offen offset:12
	v_accvgpr_read_b32 v4, a24
	v_accvgpr_read_b32 v5, a25
	s_waitcnt vmcnt(0)
	global_store_dwordx4 v[4:5], v[0:3], off
	v_accvgpr_read_b32 v4, a145
	buffer_load_dword v0, v4, s[0:3], 0 offen
	buffer_load_dword v1, v4, s[0:3], 0 offen offset:4
	buffer_load_dword v2, v4, s[0:3], 0 offen offset:8
	buffer_load_dword v3, v4, s[0:3], 0 offen offset:12
	;; [unrolled: 9-line block ×41, first 2 shown]
	v_accvgpr_read_b32 v4, a66
	v_accvgpr_read_b32 v5, a67
	s_waitcnt vmcnt(0)
	global_store_dwordx4 v[4:5], v[0:3], off
	s_endpgm
	.section	.rodata,"a",@progbits
	.p2align	6, 0x0
	.amdhsa_kernel _ZN9rocsolver6v33100L18getri_kernel_smallILi53E19rocblas_complex_numIdEPS3_EEvT1_iilPiilS6_bb
		.amdhsa_group_segment_fixed_size 1704
		.amdhsa_private_segment_fixed_size 880
		.amdhsa_kernarg_size 60
		.amdhsa_user_sgpr_count 8
		.amdhsa_user_sgpr_private_segment_buffer 1
		.amdhsa_user_sgpr_dispatch_ptr 0
		.amdhsa_user_sgpr_queue_ptr 0
		.amdhsa_user_sgpr_kernarg_segment_ptr 1
		.amdhsa_user_sgpr_dispatch_id 0
		.amdhsa_user_sgpr_flat_scratch_init 1
		.amdhsa_user_sgpr_kernarg_preload_length 0
		.amdhsa_user_sgpr_kernarg_preload_offset 0
		.amdhsa_user_sgpr_private_segment_size 0
		.amdhsa_uses_dynamic_stack 0
		.amdhsa_system_sgpr_private_segment_wavefront_offset 1
		.amdhsa_system_sgpr_workgroup_id_x 1
		.amdhsa_system_sgpr_workgroup_id_y 0
		.amdhsa_system_sgpr_workgroup_id_z 0
		.amdhsa_system_sgpr_workgroup_info 0
		.amdhsa_system_vgpr_workitem_id 0
		.amdhsa_next_free_vgpr 442
		.amdhsa_next_free_sgpr 23
		.amdhsa_accum_offset 256
		.amdhsa_reserve_vcc 1
		.amdhsa_reserve_flat_scratch 1
		.amdhsa_float_round_mode_32 0
		.amdhsa_float_round_mode_16_64 0
		.amdhsa_float_denorm_mode_32 3
		.amdhsa_float_denorm_mode_16_64 3
		.amdhsa_dx10_clamp 1
		.amdhsa_ieee_mode 1
		.amdhsa_fp16_overflow 0
		.amdhsa_tg_split 0
		.amdhsa_exception_fp_ieee_invalid_op 0
		.amdhsa_exception_fp_denorm_src 0
		.amdhsa_exception_fp_ieee_div_zero 0
		.amdhsa_exception_fp_ieee_overflow 0
		.amdhsa_exception_fp_ieee_underflow 0
		.amdhsa_exception_fp_ieee_inexact 0
		.amdhsa_exception_int_div_zero 0
	.end_amdhsa_kernel
	.section	.text._ZN9rocsolver6v33100L18getri_kernel_smallILi53E19rocblas_complex_numIdEPS3_EEvT1_iilPiilS6_bb,"axG",@progbits,_ZN9rocsolver6v33100L18getri_kernel_smallILi53E19rocblas_complex_numIdEPS3_EEvT1_iilPiilS6_bb,comdat
.Lfunc_end52:
	.size	_ZN9rocsolver6v33100L18getri_kernel_smallILi53E19rocblas_complex_numIdEPS3_EEvT1_iilPiilS6_bb, .Lfunc_end52-_ZN9rocsolver6v33100L18getri_kernel_smallILi53E19rocblas_complex_numIdEPS3_EEvT1_iilPiilS6_bb
                                        ; -- End function
	.section	.AMDGPU.csdata,"",@progbits
; Kernel info:
; codeLenInByte = 176416
; NumSgprs: 29
; NumVgprs: 256
; NumAgprs: 186
; TotalNumVgprs: 442
; ScratchSize: 880
; MemoryBound: 0
; FloatMode: 240
; IeeeMode: 1
; LDSByteSize: 1704 bytes/workgroup (compile time only)
; SGPRBlocks: 3
; VGPRBlocks: 55
; NumSGPRsForWavesPerEU: 29
; NumVGPRsForWavesPerEU: 442
; AccumOffset: 256
; Occupancy: 1
; WaveLimiterHint : 1
; COMPUTE_PGM_RSRC2:SCRATCH_EN: 1
; COMPUTE_PGM_RSRC2:USER_SGPR: 8
; COMPUTE_PGM_RSRC2:TRAP_HANDLER: 0
; COMPUTE_PGM_RSRC2:TGID_X_EN: 1
; COMPUTE_PGM_RSRC2:TGID_Y_EN: 0
; COMPUTE_PGM_RSRC2:TGID_Z_EN: 0
; COMPUTE_PGM_RSRC2:TIDIG_COMP_CNT: 0
; COMPUTE_PGM_RSRC3_GFX90A:ACCUM_OFFSET: 63
; COMPUTE_PGM_RSRC3_GFX90A:TG_SPLIT: 0
	.section	.text._ZN9rocsolver6v33100L18getri_kernel_smallILi54E19rocblas_complex_numIdEPS3_EEvT1_iilPiilS6_bb,"axG",@progbits,_ZN9rocsolver6v33100L18getri_kernel_smallILi54E19rocblas_complex_numIdEPS3_EEvT1_iilPiilS6_bb,comdat
	.globl	_ZN9rocsolver6v33100L18getri_kernel_smallILi54E19rocblas_complex_numIdEPS3_EEvT1_iilPiilS6_bb ; -- Begin function _ZN9rocsolver6v33100L18getri_kernel_smallILi54E19rocblas_complex_numIdEPS3_EEvT1_iilPiilS6_bb
	.p2align	8
	.type	_ZN9rocsolver6v33100L18getri_kernel_smallILi54E19rocblas_complex_numIdEPS3_EEvT1_iilPiilS6_bb,@function
_ZN9rocsolver6v33100L18getri_kernel_smallILi54E19rocblas_complex_numIdEPS3_EEvT1_iilPiilS6_bb: ; @_ZN9rocsolver6v33100L18getri_kernel_smallILi54E19rocblas_complex_numIdEPS3_EEvT1_iilPiilS6_bb
; %bb.0:
	s_add_u32 flat_scratch_lo, s6, s9
	s_addc_u32 flat_scratch_hi, s7, 0
	s_add_u32 s0, s0, s9
	s_addc_u32 s1, s1, 0
	v_cmp_gt_u32_e32 vcc, 54, v0
	s_and_saveexec_b64 s[6:7], vcc
	s_cbranch_execz .LBB53_230
; %bb.1:
	s_load_dword s22, s[4:5], 0x38
	s_load_dwordx4 s[16:19], s[4:5], 0x10
	s_load_dwordx4 s[12:15], s[4:5], 0x28
                                        ; implicit-def: $sgpr10_sgpr11
	s_waitcnt lgkmcnt(0)
	s_bitcmp1_b32 s22, 8
	s_cselect_b64 s[20:21], -1, 0
	s_ashr_i32 s9, s8, 31
	s_bfe_u32 s6, s22, 0x10008
	s_cmp_eq_u32 s6, 0
	s_cbranch_scc1 .LBB53_3
; %bb.2:
	s_load_dword s6, s[4:5], 0x20
	s_mul_i32 s7, s8, s13
	s_mul_hi_u32 s10, s8, s12
	s_mul_i32 s11, s9, s12
	s_add_i32 s10, s10, s7
	s_add_i32 s11, s10, s11
	s_mul_i32 s10, s8, s12
	s_waitcnt lgkmcnt(0)
	s_ashr_i32 s7, s6, 31
	s_lshl_b64 s[10:11], s[10:11], 2
	s_add_u32 s10, s18, s10
	s_addc_u32 s11, s19, s11
	s_lshl_b64 s[6:7], s[6:7], 2
	s_add_u32 s10, s10, s6
	s_addc_u32 s11, s11, s7
.LBB53_3:
	s_load_dwordx4 s[4:7], s[4:5], 0x0
	s_mul_i32 s12, s8, s17
	s_mul_hi_u32 s13, s8, s16
	s_add_i32 s17, s13, s12
	v_lshlrev_b32_e32 v1, 4, v0
	s_waitcnt lgkmcnt(0)
	s_ashr_i32 s13, s6, 31
	s_mov_b32 s12, s6
	s_mul_i32 s6, s9, s16
	s_add_i32 s17, s17, s6
	s_mul_i32 s16, s8, s16
	s_lshl_b64 s[16:17], s[16:17], 4
	s_add_u32 s6, s4, s16
	s_addc_u32 s16, s5, s17
	s_lshl_b64 s[4:5], s[12:13], 4
	s_add_u32 s4, s6, s4
	s_addc_u32 s5, s16, s5
	s_add_i32 s6, s7, s7
	v_add_u32_e32 v4, s6, v0
	v_ashrrev_i32_e32 v5, 31, v4
	v_add_u32_e32 v2, s7, v4
	v_lshlrev_b64 v[4:5], 4, v[4:5]
	v_mov_b32_e32 v3, s5
	v_add_co_u32_e32 v4, vcc, s4, v4
	v_addc_co_u32_e32 v5, vcc, v3, v5, vcc
	global_load_dwordx4 v[90:93], v1, s[4:5]
	v_add_co_u32_e32 v62, vcc, s4, v1
	s_ashr_i32 s13, s7, 31
	s_mov_b32 s12, s7
	v_addc_co_u32_e32 v63, vcc, 0, v3, vcc
	s_lshl_b64 s[12:13], s[12:13], 4
	v_mov_b32_e32 v3, s13
	v_add_co_u32_e32 v60, vcc, s12, v62
	v_addc_co_u32_e32 v61, vcc, v63, v3, vcc
	global_load_dwordx4 v[94:97], v[60:61], off
	global_load_dwordx4 v[98:101], v[4:5], off
	v_ashrrev_i32_e32 v3, 31, v2
	v_add_u32_e32 v10, s7, v2
	v_accvgpr_write_b32 a95, v61
	v_accvgpr_write_b32 a69, v5
	v_lshlrev_b64 v[2:3], 4, v[2:3]
	v_accvgpr_write_b32 a94, v60
	v_accvgpr_write_b32 a68, v4
	v_mov_b32_e32 v4, s5
	v_add_co_u32_e32 v60, vcc, s4, v2
	v_addc_co_u32_e32 v61, vcc, v4, v3, vcc
	v_ashrrev_i32_e32 v11, 31, v10
	global_load_dwordx4 v[102:105], v[60:61], off
	v_lshlrev_b64 v[2:3], 4, v[10:11]
	v_add_co_u32_e32 v2, vcc, s4, v2
	v_add_u32_e32 v12, s7, v10
	v_addc_co_u32_e32 v3, vcc, v4, v3, vcc
	v_accvgpr_write_b32 a71, v3
	global_load_dwordx4 v[106:109], v[2:3], off
	v_ashrrev_i32_e32 v13, 31, v12
	v_accvgpr_write_b32 a70, v2
	v_lshlrev_b64 v[2:3], 4, v[12:13]
	v_add_co_u32_e32 v10, vcc, s4, v2
	v_add_u32_e32 v24, s7, v12
	v_addc_co_u32_e32 v11, vcc, v4, v3, vcc
	v_ashrrev_i32_e32 v25, 31, v24
	global_load_dwordx4 v[110:113], v[10:11], off
	v_lshlrev_b64 v[2:3], 4, v[24:25]
	v_add_co_u32_e32 v2, vcc, s4, v2
	v_add_u32_e32 v26, s7, v24
	v_addc_co_u32_e32 v3, vcc, v4, v3, vcc
	global_load_dwordx4 v[114:117], v[2:3], off
	v_accvgpr_write_b32 a61, v3
	v_ashrrev_i32_e32 v27, 31, v26
	v_accvgpr_write_b32 a77, v11
	v_accvgpr_write_b32 a60, v2
	v_lshlrev_b64 v[2:3], 4, v[26:27]
	v_accvgpr_write_b32 a76, v10
	v_add_co_u32_e32 v10, vcc, s4, v2
	v_add_u32_e32 v32, s7, v26
	v_addc_co_u32_e32 v11, vcc, v4, v3, vcc
	v_ashrrev_i32_e32 v33, 31, v32
	global_load_dwordx4 v[118:121], v[10:11], off
	v_lshlrev_b64 v[2:3], 4, v[32:33]
	v_add_co_u32_e32 v2, vcc, s4, v2
	v_add_u32_e32 v34, s7, v32
	v_addc_co_u32_e32 v3, vcc, v4, v3, vcc
	global_load_dwordx4 v[122:125], v[2:3], off
	v_add_u32_e32 v40, s7, v34
	v_accvgpr_write_b32 a53, v3
	v_ashrrev_i32_e32 v35, 31, v34
	v_add_u32_e32 v42, s7, v40
	v_accvgpr_write_b32 a63, v11
	v_accvgpr_write_b32 a52, v2
	v_lshlrev_b64 v[2:3], 4, v[34:35]
	v_add_u32_e32 v48, s7, v42
	v_accvgpr_write_b32 a62, v10
	v_add_co_u32_e32 v10, vcc, s4, v2
	v_add_u32_e32 v6, s7, v48
	v_addc_co_u32_e32 v11, vcc, v4, v3, vcc
	v_add_u32_e32 v8, s7, v6
	v_ashrrev_i32_e32 v41, 31, v40
	global_load_dwordx4 v[126:129], v[10:11], off
	v_add_u32_e32 v14, s7, v8
	v_lshlrev_b64 v[2:3], 4, v[40:41]
	v_add_u32_e32 v16, s7, v14
	v_add_co_u32_e32 v2, vcc, s4, v2
	v_add_u32_e32 v18, s7, v16
	v_addc_co_u32_e32 v3, vcc, v4, v3, vcc
	global_load_dwordx4 v[130:133], v[2:3], off
	v_add_u32_e32 v20, s7, v18
	v_accvgpr_write_b32 a41, v3
	v_ashrrev_i32_e32 v43, 31, v42
	v_add_u32_e32 v22, s7, v20
	v_accvgpr_write_b32 a55, v11
	v_accvgpr_write_b32 a40, v2
	v_lshlrev_b64 v[2:3], 4, v[42:43]
	v_add_u32_e32 v28, s7, v22
	v_accvgpr_write_b32 a54, v10
	v_add_co_u32_e32 v10, vcc, s4, v2
	v_add_u32_e32 v30, s7, v28
	v_addc_co_u32_e32 v11, vcc, v4, v3, vcc
	v_add_u32_e32 v36, s7, v30
	v_ashrrev_i32_e32 v49, 31, v48
	global_load_dwordx4 v[134:137], v[10:11], off
	v_add_u32_e32 v38, s7, v36
	v_lshlrev_b64 v[2:3], 4, v[48:49]
	v_add_u32_e32 v44, s7, v38
	v_add_co_u32_e32 v2, vcc, s4, v2
	v_add_u32_e32 v46, s7, v44
	v_accvgpr_write_b32 a43, v11
	v_addc_co_u32_e32 v3, vcc, v4, v3, vcc
	v_add_u32_e32 v50, s7, v46
	v_accvgpr_write_b32 a42, v10
	global_load_dwordx4 v[10:13], v[2:3], off
	v_add_u32_e32 v52, s7, v50
	v_add_u32_e32 v54, s7, v52
	;; [unrolled: 1-line block ×16, first 2 shown]
	v_accvgpr_write_b32 a101, v63
	v_add_u32_e32 v64, s7, v66
	v_accvgpr_write_b32 a100, v62
	v_accvgpr_write_b32 a83, v61
	v_add_u32_e32 v62, s7, v64
	v_accvgpr_write_b32 a82, v60
	v_add_u32_e32 v60, s7, v62
	v_add_u32_e32 v48, s7, v60
	;; [unrolled: 1-line block ×7, first 2 shown]
	v_accvgpr_write_b32 a35, v3
	v_add_u32_e32 v24, s7, v26
	v_accvgpr_write_b32 a34, v2
	v_add_u32_e32 v2, s7, v24
	v_ashrrev_i32_e32 v3, 31, v2
	v_lshlrev_b64 v[2:3], 4, v[2:3]
	v_add_co_u32_e32 v2, vcc, s4, v2
	v_ashrrev_i32_e32 v7, 31, v6
	v_addc_co_u32_e32 v3, vcc, v4, v3, vcc
	v_accvgpr_write_b32 a0, v2
	v_lshlrev_b64 v[6:7], 4, v[6:7]
	v_accvgpr_write_b32 a1, v3
	global_load_dwordx4 v[2:5], v[2:3], off
	s_waitcnt vmcnt(13)
	buffer_store_dword v93, off, s[0:3], 0 offset:28
	buffer_store_dword v92, off, s[0:3], 0 offset:24
	buffer_store_dword v91, off, s[0:3], 0 offset:20
	buffer_store_dword v90, off, s[0:3], 0 offset:16
	s_waitcnt vmcnt(16)
	buffer_store_dword v97, off, s[0:3], 0 offset:44
	buffer_store_dword v96, off, s[0:3], 0 offset:40
	buffer_store_dword v95, off, s[0:3], 0 offset:36
	buffer_store_dword v94, off, s[0:3], 0 offset:32
	;; [unrolled: 5-line block ×12, first 2 shown]
	s_waitcnt vmcnt(49)
	buffer_store_dword v13, off, s[0:3], 0 offset:220
	v_mov_b32_e32 v9, s5
	v_add_co_u32_e32 v90, vcc, s4, v6
	v_addc_co_u32_e32 v91, vcc, v9, v7, vcc
	v_ashrrev_i32_e32 v9, 31, v8
	v_accvgpr_write_b32 a107, v91
	v_lshlrev_b64 v[6:7], 4, v[8:9]
	v_accvgpr_write_b32 a106, v90
	global_load_dwordx4 v[90:93], v[90:91], off
	v_mov_b32_e32 v8, s5
	v_add_co_u32_e32 v6, vcc, s4, v6
	v_addc_co_u32_e32 v7, vcc, v8, v7, vcc
	global_load_dwordx4 v[94:97], v[6:7], off
	v_accvgpr_write_b32 a103, v7
	v_ashrrev_i32_e32 v15, 31, v14
	v_accvgpr_write_b32 a102, v6
	v_lshlrev_b64 v[6:7], 4, v[14:15]
	v_add_co_u32_e32 v14, vcc, s4, v6
	v_addc_co_u32_e32 v15, vcc, v8, v7, vcc
	v_ashrrev_i32_e32 v17, 31, v16
	v_accvgpr_write_b32 a105, v15
	v_lshlrev_b64 v[6:7], 4, v[16:17]
	v_accvgpr_write_b32 a104, v14
	global_load_dwordx4 v[14:17], v[14:15], off
	v_add_co_u32_e32 v6, vcc, s4, v6
	v_addc_co_u32_e32 v7, vcc, v8, v7, vcc
	global_load_dwordx4 v[98:101], v[6:7], off
	v_accvgpr_write_b32 a97, v7
	v_ashrrev_i32_e32 v19, 31, v18
	v_accvgpr_write_b32 a96, v6
	v_lshlrev_b64 v[6:7], 4, v[18:19]
	v_add_co_u32_e32 v18, vcc, s4, v6
	v_addc_co_u32_e32 v19, vcc, v8, v7, vcc
	v_ashrrev_i32_e32 v21, 31, v20
	v_accvgpr_write_b32 a99, v19
	v_lshlrev_b64 v[6:7], 4, v[20:21]
	v_accvgpr_write_b32 a98, v18
	global_load_dwordx4 v[18:21], v[18:19], off
	v_add_co_u32_e32 v6, vcc, s4, v6
	v_addc_co_u32_e32 v7, vcc, v8, v7, vcc
	global_load_dwordx4 v[102:105], v[6:7], off
	v_accvgpr_write_b32 a89, v7
	v_ashrrev_i32_e32 v23, 31, v22
	v_accvgpr_write_b32 a88, v6
	v_lshlrev_b64 v[6:7], 4, v[22:23]
	v_add_co_u32_e32 v22, vcc, s4, v6
	v_addc_co_u32_e32 v23, vcc, v8, v7, vcc
	v_ashrrev_i32_e32 v29, 31, v28
	global_load_dwordx4 v[106:109], v[22:23], off
	v_lshlrev_b64 v[6:7], 4, v[28:29]
	v_add_co_u32_e32 v6, vcc, s4, v6
	v_addc_co_u32_e32 v7, vcc, v8, v7, vcc
	global_load_dwordx4 v[110:113], v[6:7], off
	v_accvgpr_write_b32 a79, v7
	v_ashrrev_i32_e32 v31, 31, v30
	v_accvgpr_write_b32 a91, v23
	v_accvgpr_write_b32 a78, v6
	v_lshlrev_b64 v[6:7], 4, v[30:31]
	v_accvgpr_write_b32 a90, v22
	v_add_co_u32_e32 v22, vcc, s4, v6
	v_addc_co_u32_e32 v23, vcc, v8, v7, vcc
	v_ashrrev_i32_e32 v37, 31, v36
	global_load_dwordx4 v[28:31], v[22:23], off
	v_lshlrev_b64 v[6:7], 4, v[36:37]
	v_add_co_u32_e32 v6, vcc, s4, v6
	v_addc_co_u32_e32 v7, vcc, v8, v7, vcc
	global_load_dwordx4 v[114:117], v[6:7], off
	v_accvgpr_write_b32 a65, v7
	v_ashrrev_i32_e32 v39, 31, v38
	v_accvgpr_write_b32 a81, v23
	v_accvgpr_write_b32 a64, v6
	v_lshlrev_b64 v[6:7], 4, v[38:39]
	v_accvgpr_write_b32 a80, v22
	;; [unrolled: 14-line block ×6, first 2 shown]
	v_add_co_u32_e32 v22, vcc, s4, v6
	v_addc_co_u32_e32 v23, vcc, v8, v7, vcc
	v_ashrrev_i32_e32 v87, 31, v86
	v_lshlrev_b64 v[6:7], 4, v[86:87]
	global_load_dwordx4 v[86:89], v[22:23], off
	v_add_co_u32_e32 v6, vcc, s4, v6
	v_addc_co_u32_e32 v7, vcc, v8, v7, vcc
	v_accvgpr_write_b32 a13, v7
	v_accvgpr_write_b32 a12, v6
	global_load_dwordx4 v[6:9], v[6:7], off
	v_ashrrev_i32_e32 v85, 31, v84
	buffer_store_dword v12, off, s[0:3], 0 offset:216
	buffer_store_dword v11, off, s[0:3], 0 offset:212
	buffer_store_dword v10, off, s[0:3], 0 offset:208
	s_waitcnt vmcnt(22)
	buffer_store_dword v93, off, s[0:3], 0 offset:236
	buffer_store_dword v92, off, s[0:3], 0 offset:232
	buffer_store_dword v91, off, s[0:3], 0 offset:228
	buffer_store_dword v90, off, s[0:3], 0 offset:224
	s_waitcnt vmcnt(25)
	buffer_store_dword v97, off, s[0:3], 0 offset:252
	;; [unrolled: 5-line block ×15, first 2 shown]
	buffer_store_dword v52, off, s[0:3], 0 offset:456
	buffer_store_dword v51, off, s[0:3], 0 offset:452
	;; [unrolled: 1-line block ×11, first 2 shown]
	s_waitcnt vmcnt(62)
	buffer_store_dword v133, off, s[0:3], 0 offset:508
	buffer_store_dword v132, off, s[0:3], 0 offset:504
	;; [unrolled: 1-line block ×9, first 2 shown]
	v_lshlrev_b64 v[10:11], 4, v[84:85]
	v_mov_b32_e32 v9, s5
	v_add_co_u32_e32 v12, vcc, s4, v10
	v_ashrrev_i32_e32 v83, 31, v82
	v_addc_co_u32_e32 v13, vcc, v9, v11, vcc
	v_lshlrev_b64 v[10:11], 4, v[82:83]
	v_add_co_u32_e32 v14, vcc, s4, v10
	v_accvgpr_write_b32 a93, v13
	v_addc_co_u32_e32 v15, vcc, v9, v11, vcc
	v_accvgpr_write_b32 a92, v12
	global_load_dwordx4 v[10:13], v[12:13], off
	v_accvgpr_write_b32 a85, v15
	v_ashrrev_i32_e32 v81, 31, v80
	v_accvgpr_write_b32 a84, v14
	global_load_dwordx4 v[14:17], v[14:15], off
	v_lshlrev_b64 v[18:19], 4, v[80:81]
	v_add_co_u32_e32 v20, vcc, s4, v18
	v_ashrrev_i32_e32 v79, 31, v78
	v_accvgpr_write_b32 a20, v22
	v_addc_co_u32_e32 v21, vcc, v9, v19, vcc
	v_lshlrev_b64 v[18:19], 4, v[78:79]
	v_accvgpr_write_b32 a21, v23
	v_add_co_u32_e32 v22, vcc, s4, v18
	v_accvgpr_write_b32 a87, v21
	v_addc_co_u32_e32 v23, vcc, v9, v19, vcc
	v_accvgpr_write_b32 a86, v20
	global_load_dwordx4 v[18:21], v[20:21], off
	v_accvgpr_write_b32 a73, v23
	global_load_dwordx4 v[28:31], v[22:23], off
	v_ashrrev_i32_e32 v77, 31, v76
	v_accvgpr_write_b32 a72, v22
	v_lshlrev_b64 v[22:23], 4, v[76:77]
	v_add_co_u32_e32 v36, vcc, s4, v22
	v_addc_co_u32_e32 v37, vcc, v9, v23, vcc
	v_ashrrev_i32_e32 v75, 31, v74
	v_accvgpr_write_b32 a75, v37
	v_lshlrev_b64 v[22:23], 4, v[74:75]
	v_accvgpr_write_b32 a74, v36
	global_load_dwordx4 v[36:39], v[36:37], off
	v_add_co_u32_e32 v22, vcc, s4, v22
	v_addc_co_u32_e32 v23, vcc, v9, v23, vcc
	global_load_dwordx4 v[44:47], v[22:23], off
	v_accvgpr_write_b32 a57, v23
	v_ashrrev_i32_e32 v73, 31, v72
	v_accvgpr_write_b32 a56, v22
	v_lshlrev_b64 v[22:23], 4, v[72:73]
	v_add_co_u32_e32 v50, vcc, s4, v22
	v_addc_co_u32_e32 v51, vcc, v9, v23, vcc
	v_accvgpr_write_b32 a59, v51
	v_ashrrev_i32_e32 v71, 31, v70
	v_accvgpr_write_b32 a58, v50
	global_load_dwordx4 v[50:53], v[50:51], off
	v_lshlrev_b64 v[22:23], 4, v[70:71]
	v_add_co_u32_e32 v22, vcc, s4, v22
	v_addc_co_u32_e32 v23, vcc, v9, v23, vcc
	global_load_dwordx4 v[54:57], v[22:23], off
	v_accvgpr_write_b32 a45, v23
	v_ashrrev_i32_e32 v69, 31, v68
	v_accvgpr_write_b32 a44, v22
	v_lshlrev_b64 v[22:23], 4, v[68:69]
	v_add_co_u32_e32 v58, vcc, s4, v22
	v_addc_co_u32_e32 v59, vcc, v9, v23, vcc
	v_ashrrev_i32_e32 v67, 31, v66
	v_lshlrev_b64 v[22:23], 4, v[66:67]
	global_load_dwordx4 v[66:69], v[58:59], off
	v_add_co_u32_e32 v22, vcc, s4, v22
	v_addc_co_u32_e32 v23, vcc, v9, v23, vcc
	global_load_dwordx4 v[70:73], v[22:23], off
	v_accvgpr_write_b32 a31, v23
	v_ashrrev_i32_e32 v65, 31, v64
	v_accvgpr_write_b32 a46, v58
	v_accvgpr_write_b32 a30, v22
	v_lshlrev_b64 v[22:23], 4, v[64:65]
	v_accvgpr_write_b32 a47, v59
	v_add_co_u32_e32 v58, vcc, s4, v22
	v_addc_co_u32_e32 v59, vcc, v9, v23, vcc
	v_ashrrev_i32_e32 v63, 31, v62
	v_lshlrev_b64 v[22:23], 4, v[62:63]
	global_load_dwordx4 v[62:65], v[58:59], off
	v_add_co_u32_e32 v22, vcc, s4, v22
	v_addc_co_u32_e32 v23, vcc, v9, v23, vcc
	global_load_dwordx4 v[74:77], v[22:23], off
	v_accvgpr_write_b32 a22, v22
	v_ashrrev_i32_e32 v61, 31, v60
	v_accvgpr_write_b32 a32, v58
	v_accvgpr_write_b32 a23, v23
	v_lshlrev_b64 v[22:23], 4, v[60:61]
	v_accvgpr_write_b32 a33, v59
	v_add_co_u32_e32 v58, vcc, s4, v22
	v_addc_co_u32_e32 v59, vcc, v9, v23, vcc
	v_accvgpr_write_b32 a24, v58
	v_ashrrev_i32_e32 v49, 31, v48
	v_accvgpr_write_b32 a25, v59
	global_load_dwordx4 v[58:61], v[58:59], off
	v_lshlrev_b64 v[22:23], 4, v[48:49]
	v_add_co_u32_e32 v22, vcc, s4, v22
	v_addc_co_u32_e32 v23, vcc, v9, v23, vcc
	global_load_dwordx4 v[78:81], v[22:23], off
	v_accvgpr_write_b32 a14, v22
	v_ashrrev_i32_e32 v43, 31, v42
	v_accvgpr_write_b32 a15, v23
	v_lshlrev_b64 v[22:23], 4, v[42:43]
	v_add_co_u32_e32 v42, vcc, s4, v22
	v_addc_co_u32_e32 v43, vcc, v9, v23, vcc
	v_ashrrev_i32_e32 v41, 31, v40
	v_accvgpr_write_b32 a16, v42
	v_lshlrev_b64 v[22:23], 4, v[40:41]
	v_accvgpr_write_b32 a17, v43
	global_load_dwordx4 v[40:43], v[42:43], off
	v_add_co_u32_e32 v22, vcc, s4, v22
	v_addc_co_u32_e32 v23, vcc, v9, v23, vcc
	global_load_dwordx4 v[82:85], v[22:23], off
	v_accvgpr_write_b32 a8, v22
	v_ashrrev_i32_e32 v35, 31, v34
	v_accvgpr_write_b32 a9, v23
	v_lshlrev_b64 v[22:23], 4, v[34:35]
	v_add_co_u32_e32 v34, vcc, s4, v22
	v_addc_co_u32_e32 v35, vcc, v9, v23, vcc
	v_ashrrev_i32_e32 v33, 31, v32
	v_accvgpr_write_b32 a10, v34
	v_lshlrev_b64 v[22:23], 4, v[32:33]
	v_accvgpr_write_b32 a11, v35
	global_load_dwordx4 v[32:35], v[34:35], off
	;; [unrolled: 14-line block ×3, first 2 shown]
	v_add_co_u32_e32 v26, vcc, s4, v26
	v_addc_co_u32_e32 v27, vcc, v9, v27, vcc
	global_load_dwordx4 v[90:93], v[26:27], off
	s_nop 0
	buffer_store_dword v8, off, s[0:3], 0 offset:536
	buffer_store_dword v7, off, s[0:3], 0 offset:532
	buffer_store_dword v6, off, s[0:3], 0 offset:528
	s_waitcnt vmcnt(22)
	buffer_store_dword v13, off, s[0:3], 0 offset:556
	buffer_store_dword v12, off, s[0:3], 0 offset:552
	buffer_store_dword v11, off, s[0:3], 0 offset:548
	buffer_store_dword v10, off, s[0:3], 0 offset:544
	s_waitcnt vmcnt(25)
	buffer_store_dword v17, off, s[0:3], 0 offset:572
	;; [unrolled: 5-line block ×15, first 2 shown]
	buffer_store_dword v42, off, s[0:3], 0 offset:776
	buffer_store_dword v41, off, s[0:3], 0 offset:772
	;; [unrolled: 1-line block ×11, first 2 shown]
	s_waitcnt vmcnt(62)
	buffer_store_dword v89, off, s[0:3], 0 offset:828
	buffer_store_dword v88, off, s[0:3], 0 offset:824
	buffer_store_dword v87, off, s[0:3], 0 offset:820
	buffer_store_dword v86, off, s[0:3], 0 offset:816
	buffer_store_dword v25, off, s[0:3], 0 offset:844
	buffer_store_dword v24, off, s[0:3], 0 offset:840
	buffer_store_dword v23, off, s[0:3], 0 offset:836
	buffer_store_dword v22, off, s[0:3], 0 offset:832
	buffer_store_dword v93, off, s[0:3], 0 offset:860
	buffer_store_dword v92, off, s[0:3], 0 offset:856
	buffer_store_dword v91, off, s[0:3], 0 offset:852
	buffer_store_dword v90, off, s[0:3], 0 offset:848
	buffer_store_dword v5, off, s[0:3], 0 offset:876
	buffer_store_dword v4, off, s[0:3], 0 offset:872
	buffer_store_dword v3, off, s[0:3], 0 offset:868
	buffer_store_dword v2, off, s[0:3], 0 offset:864
	v_mov_b32_e32 v2, 16
	v_add_u32_e32 v3, 16, v2
	v_accvgpr_write_b32 a160, v3
	v_add_u32_e32 v3, 32, v2
	v_accvgpr_write_b32 a159, v3
	;; [unrolled: 2-line block ×51, first 2 shown]
	v_accvgpr_write_b32 a110, v3
	v_add_u32_e32 v3, 0x340, v2
	v_add_u32_e32 v2, 0x350, v2
	v_accvgpr_write_b32 a3, v27
	s_bitcmp0_b32 s22, 0
	v_accvgpr_write_b32 a109, v3
	v_accvgpr_write_b32 a108, v2
	s_mov_b64 s[6:7], -1
	s_cbranch_scc1 .LBB53_228
; %bb.4:
	v_cmp_eq_u32_e64 s[4:5], 0, v0
	s_and_saveexec_b64 s[6:7], s[4:5]
	s_cbranch_execz .LBB53_6
; %bb.5:
	v_mov_b32_e32 v2, 0
	ds_write_b32 v2, v2 offset:1728
.LBB53_6:
	s_or_b64 exec, exec, s[6:7]
	v_mov_b32_e32 v2, 16
	v_lshl_add_u32 v12, v0, 4, v2
	s_waitcnt lgkmcnt(0)
	; wave barrier
	s_waitcnt lgkmcnt(0)
	buffer_load_dword v2, v12, s[0:3], 0 offen
	buffer_load_dword v3, v12, s[0:3], 0 offen offset:4
	buffer_load_dword v4, v12, s[0:3], 0 offen offset:8
	;; [unrolled: 1-line block ×3, first 2 shown]
	s_waitcnt vmcnt(2)
	v_cmp_eq_f64_e32 vcc, 0, v[2:3]
	s_waitcnt vmcnt(0)
	v_cmp_eq_f64_e64 s[6:7], 0, v[4:5]
	s_and_b64 s[6:7], vcc, s[6:7]
	s_and_saveexec_b64 s[12:13], s[6:7]
	s_cbranch_execz .LBB53_10
; %bb.7:
	v_mov_b32_e32 v2, 0
	ds_read_b32 v4, v2 offset:1728
	v_add_u32_e32 v3, 1, v0
	s_waitcnt lgkmcnt(0)
	v_readfirstlane_b32 s6, v4
	s_cmp_eq_u32 s6, 0
	s_cselect_b64 s[16:17], -1, 0
	v_cmp_gt_i32_e32 vcc, s6, v3
	s_or_b64 s[16:17], s[16:17], vcc
	s_and_b64 exec, exec, s[16:17]
	s_cbranch_execz .LBB53_10
; %bb.8:
	s_mov_b64 s[16:17], 0
	v_mov_b32_e32 v4, s6
.LBB53_9:                               ; =>This Inner Loop Header: Depth=1
	ds_cmpst_rtn_b32 v4, v2, v4, v3 offset:1728
	s_waitcnt lgkmcnt(0)
	v_cmp_ne_u32_e32 vcc, 0, v4
	v_cmp_le_i32_e64 s[6:7], v4, v3
	s_and_b64 s[6:7], vcc, s[6:7]
	s_and_b64 s[6:7], exec, s[6:7]
	s_or_b64 s[16:17], s[6:7], s[16:17]
	s_andn2_b64 exec, exec, s[16:17]
	s_cbranch_execnz .LBB53_9
.LBB53_10:
	s_or_b64 exec, exec, s[12:13]
	v_mov_b32_e32 v3, 0
	s_waitcnt lgkmcnt(0)
	; wave barrier
	ds_read_b32 v2, v3 offset:1728
	s_and_saveexec_b64 s[6:7], s[4:5]
	s_cbranch_execz .LBB53_12
; %bb.11:
	s_lshl_b64 s[12:13], s[8:9], 2
	s_add_u32 s12, s14, s12
	s_addc_u32 s13, s15, s13
	s_waitcnt lgkmcnt(0)
	global_store_dword v3, v2, s[12:13]
.LBB53_12:
	s_or_b64 exec, exec, s[6:7]
	s_waitcnt lgkmcnt(0)
	v_cmp_ne_u32_e32 vcc, 0, v2
	s_mov_b64 s[6:7], 0
	s_cbranch_vccnz .LBB53_228
; %bb.13:
	buffer_load_dword v7, v12, s[0:3], 0 offen offset:4
	buffer_load_dword v6, v12, s[0:3], 0 offen
	buffer_load_dword v9, v12, s[0:3], 0 offen offset:12
	buffer_load_dword v8, v12, s[0:3], 0 offen offset:8
                                        ; implicit-def: $vgpr10_vgpr11
	s_waitcnt vmcnt(3)
	v_xor_b32_e32 v3, 0x80000000, v7
	s_waitcnt vmcnt(2)
	v_cmp_gt_f64_e32 vcc, 0, v[6:7]
	s_waitcnt vmcnt(1)
	v_xor_b32_e32 v4, 0x80000000, v9
	v_cndmask_b32_e32 v3, v7, v3, vcc
	s_waitcnt vmcnt(0)
	v_cmp_gt_f64_e32 vcc, 0, v[8:9]
	v_mov_b32_e32 v2, v6
	v_cndmask_b32_e32 v5, v9, v4, vcc
	v_mov_b32_e32 v4, v8
	v_cmp_ngt_f64_e32 vcc, v[2:3], v[4:5]
                                        ; implicit-def: $vgpr4_vgpr5
	s_and_saveexec_b64 s[6:7], vcc
	s_xor_b64 s[6:7], exec, s[6:7]
	s_cbranch_execz .LBB53_15
; %bb.14:
	v_div_scale_f64 v[2:3], s[12:13], v[8:9], v[8:9], v[6:7]
	v_rcp_f64_e32 v[4:5], v[2:3]
	v_div_scale_f64 v[10:11], vcc, v[6:7], v[8:9], v[6:7]
	v_fma_f64 v[14:15], -v[2:3], v[4:5], 1.0
	v_fmac_f64_e32 v[4:5], v[4:5], v[14:15]
	v_fma_f64 v[14:15], -v[2:3], v[4:5], 1.0
	v_fmac_f64_e32 v[4:5], v[4:5], v[14:15]
	v_mul_f64 v[14:15], v[10:11], v[4:5]
	v_fma_f64 v[2:3], -v[2:3], v[14:15], v[10:11]
	v_div_fmas_f64 v[2:3], v[2:3], v[4:5], v[14:15]
	v_div_fixup_f64 v[2:3], v[2:3], v[8:9], v[6:7]
	v_fmac_f64_e32 v[8:9], v[6:7], v[2:3]
	v_div_scale_f64 v[4:5], s[12:13], v[8:9], v[8:9], 1.0
	v_rcp_f64_e32 v[6:7], v[4:5]
	v_fma_f64 v[10:11], -v[4:5], v[6:7], 1.0
	v_fmac_f64_e32 v[6:7], v[6:7], v[10:11]
	v_fma_f64 v[10:11], -v[4:5], v[6:7], 1.0
	v_fmac_f64_e32 v[6:7], v[6:7], v[10:11]
	v_div_scale_f64 v[10:11], vcc, 1.0, v[8:9], 1.0
	v_mul_f64 v[14:15], v[10:11], v[6:7]
	v_fma_f64 v[4:5], -v[4:5], v[14:15], v[10:11]
	s_nop 1
	v_div_fmas_f64 v[4:5], v[4:5], v[6:7], v[14:15]
	v_div_fixup_f64 v[4:5], v[4:5], v[8:9], 1.0
	v_mul_f64 v[10:11], v[2:3], v[4:5]
	v_xor_b32_e32 v5, 0x80000000, v5
	v_xor_b32_e32 v3, 0x80000000, v11
	v_mov_b32_e32 v2, v10
                                        ; implicit-def: $vgpr6_vgpr7
                                        ; implicit-def: $vgpr8_vgpr9
.LBB53_15:
	s_andn2_saveexec_b64 s[6:7], s[6:7]
	s_cbranch_execz .LBB53_17
; %bb.16:
	v_div_scale_f64 v[2:3], s[12:13], v[6:7], v[6:7], v[8:9]
	v_rcp_f64_e32 v[4:5], v[2:3]
	v_div_scale_f64 v[10:11], vcc, v[8:9], v[6:7], v[8:9]
	v_fma_f64 v[14:15], -v[2:3], v[4:5], 1.0
	v_fmac_f64_e32 v[4:5], v[4:5], v[14:15]
	v_fma_f64 v[14:15], -v[2:3], v[4:5], 1.0
	v_fmac_f64_e32 v[4:5], v[4:5], v[14:15]
	v_mul_f64 v[14:15], v[10:11], v[4:5]
	v_fma_f64 v[2:3], -v[2:3], v[14:15], v[10:11]
	v_div_fmas_f64 v[2:3], v[2:3], v[4:5], v[14:15]
	v_div_fixup_f64 v[4:5], v[2:3], v[6:7], v[8:9]
	v_fmac_f64_e32 v[6:7], v[8:9], v[4:5]
	v_div_scale_f64 v[2:3], s[12:13], v[6:7], v[6:7], 1.0
	v_rcp_f64_e32 v[8:9], v[2:3]
	v_fma_f64 v[10:11], -v[2:3], v[8:9], 1.0
	v_fmac_f64_e32 v[8:9], v[8:9], v[10:11]
	v_fma_f64 v[10:11], -v[2:3], v[8:9], 1.0
	v_fmac_f64_e32 v[8:9], v[8:9], v[10:11]
	v_div_scale_f64 v[10:11], vcc, 1.0, v[6:7], 1.0
	v_mul_f64 v[14:15], v[10:11], v[8:9]
	v_fma_f64 v[2:3], -v[2:3], v[14:15], v[10:11]
	s_nop 1
	v_div_fmas_f64 v[2:3], v[2:3], v[8:9], v[14:15]
	v_div_fixup_f64 v[10:11], v[2:3], v[6:7], 1.0
	v_xor_b32_e32 v3, 0x80000000, v11
	v_mov_b32_e32 v2, v10
	v_mul_f64 v[4:5], v[4:5], -v[10:11]
.LBB53_17:
	s_or_b64 exec, exec, s[6:7]
	buffer_store_dword v11, v12, s[0:3], 0 offen offset:4
	buffer_store_dword v10, v12, s[0:3], 0 offen
	buffer_store_dword v5, v12, s[0:3], 0 offen offset:12
	buffer_store_dword v4, v12, s[0:3], 0 offen offset:8
	v_accvgpr_read_b32 v6, a160
	buffer_load_dword v11, v6, s[0:3], 0 offen offset:12
	buffer_load_dword v10, v6, s[0:3], 0 offen offset:8
	;; [unrolled: 1-line block ×3, first 2 shown]
	buffer_load_dword v8, v6, s[0:3], 0 offen
	v_xor_b32_e32 v5, 0x80000000, v5
	v_add_u32_e32 v6, 0x360, v1
	ds_write_b128 v1, v[2:5]
	s_waitcnt vmcnt(0)
	ds_write_b128 v1, v[8:11] offset:864
	s_waitcnt lgkmcnt(0)
	; wave barrier
	s_waitcnt lgkmcnt(0)
	s_and_saveexec_b64 s[6:7], s[4:5]
	s_cbranch_execz .LBB53_19
; %bb.18:
	buffer_load_dword v14, v12, s[0:3], 0 offen offset:8
	buffer_load_dword v15, v12, s[0:3], 0 offen offset:12
	buffer_load_dword v16, v12, s[0:3], 0 offen
	buffer_load_dword v17, v12, s[0:3], 0 offen offset:4
	ds_read_b128 v[2:5], v6
	v_mov_b32_e32 v7, 0
	ds_read_b128 v[8:11], v7 offset:16
	s_waitcnt vmcnt(2) lgkmcnt(1)
	v_mul_f64 v[18:19], v[4:5], v[14:15]
	v_mul_f64 v[14:15], v[2:3], v[14:15]
	s_waitcnt vmcnt(0)
	v_fmac_f64_e32 v[14:15], v[4:5], v[16:17]
	v_fma_f64 v[2:3], v[2:3], v[16:17], -v[18:19]
	v_add_f64 v[4:5], v[14:15], 0
	v_add_f64 v[2:3], v[2:3], 0
	s_waitcnt lgkmcnt(0)
	v_mul_f64 v[14:15], v[4:5], v[10:11]
	v_mul_f64 v[10:11], v[2:3], v[10:11]
	v_fma_f64 v[2:3], v[2:3], v[8:9], -v[14:15]
	v_fmac_f64_e32 v[10:11], v[4:5], v[8:9]
	buffer_store_dword v2, off, s[0:3], 0 offset:32
	buffer_store_dword v3, off, s[0:3], 0 offset:36
	;; [unrolled: 1-line block ×4, first 2 shown]
.LBB53_19:
	s_or_b64 exec, exec, s[6:7]
	v_accvgpr_read_b32 v5, a159
	s_waitcnt lgkmcnt(0)
	; wave barrier
	buffer_load_dword v2, v5, s[0:3], 0 offen
	buffer_load_dword v3, v5, s[0:3], 0 offen offset:4
	buffer_load_dword v4, v5, s[0:3], 0 offen offset:8
	s_nop 0
	buffer_load_dword v5, v5, s[0:3], 0 offen offset:12
	v_cmp_gt_u32_e32 vcc, 2, v0
	s_waitcnt vmcnt(0)
	ds_write_b128 v6, v[2:5]
	s_waitcnt lgkmcnt(0)
	; wave barrier
	s_waitcnt lgkmcnt(0)
	s_and_saveexec_b64 s[6:7], vcc
	s_cbranch_execz .LBB53_23
; %bb.20:
	buffer_load_dword v8, v12, s[0:3], 0 offen offset:8
	buffer_load_dword v9, v12, s[0:3], 0 offen offset:12
	buffer_load_dword v10, v12, s[0:3], 0 offen
	buffer_load_dword v11, v12, s[0:3], 0 offen offset:4
	ds_read_b128 v[2:5], v6
	s_waitcnt vmcnt(2) lgkmcnt(0)
	v_mul_f64 v[12:13], v[4:5], v[8:9]
	v_mul_f64 v[8:9], v[2:3], v[8:9]
	s_waitcnt vmcnt(0)
	v_fma_f64 v[2:3], v[2:3], v[10:11], -v[12:13]
	v_fmac_f64_e32 v[8:9], v[4:5], v[10:11]
	v_add_f64 v[4:5], v[2:3], 0
	v_add_f64 v[2:3], v[8:9], 0
	s_and_saveexec_b64 s[12:13], s[4:5]
	s_cbranch_execz .LBB53_22
; %bb.21:
	buffer_load_dword v12, off, s[0:3], 0 offset:40
	buffer_load_dword v13, off, s[0:3], 0 offset:44
	;; [unrolled: 1-line block ×4, first 2 shown]
	v_mov_b32_e32 v7, 0
	ds_read_b128 v[8:11], v7 offset:880
	s_waitcnt vmcnt(2) lgkmcnt(0)
	v_mul_f64 v[16:17], v[8:9], v[12:13]
	v_mul_f64 v[12:13], v[10:11], v[12:13]
	s_waitcnt vmcnt(0)
	v_fmac_f64_e32 v[16:17], v[10:11], v[14:15]
	v_fma_f64 v[8:9], v[8:9], v[14:15], -v[12:13]
	v_add_f64 v[2:3], v[2:3], v[16:17]
	v_add_f64 v[4:5], v[4:5], v[8:9]
.LBB53_22:
	s_or_b64 exec, exec, s[12:13]
	v_mov_b32_e32 v7, 0
	ds_read_b128 v[8:11], v7 offset:32
	s_waitcnt lgkmcnt(0)
	v_mul_f64 v[12:13], v[2:3], v[10:11]
	v_mul_f64 v[10:11], v[4:5], v[10:11]
	v_fma_f64 v[4:5], v[4:5], v[8:9], -v[12:13]
	v_fmac_f64_e32 v[10:11], v[2:3], v[8:9]
	buffer_store_dword v5, off, s[0:3], 0 offset:52
	buffer_store_dword v4, off, s[0:3], 0 offset:48
	;; [unrolled: 1-line block ×4, first 2 shown]
.LBB53_23:
	s_or_b64 exec, exec, s[6:7]
	v_accvgpr_read_b32 v5, a158
	s_waitcnt lgkmcnt(0)
	; wave barrier
	buffer_load_dword v2, v5, s[0:3], 0 offen
	buffer_load_dword v3, v5, s[0:3], 0 offen offset:4
	buffer_load_dword v4, v5, s[0:3], 0 offen offset:8
	s_nop 0
	buffer_load_dword v5, v5, s[0:3], 0 offen offset:12
	v_cmp_gt_u32_e32 vcc, 3, v0
	v_add_u32_e32 v7, -1, v0
	s_waitcnt vmcnt(0)
	ds_write_b128 v6, v[2:5]
	s_waitcnt lgkmcnt(0)
	; wave barrier
	s_waitcnt lgkmcnt(0)
	s_and_saveexec_b64 s[4:5], vcc
	s_cbranch_execz .LBB53_27
; %bb.24:
	v_pk_mov_b32 v[2:3], 0, 0
	v_add_u32_e32 v8, -1, v0
	v_add_u32_e32 v9, 0x360, v1
	v_add_u32_e32 v10, 16, v1
	s_mov_b64 s[6:7], 0
	v_pk_mov_b32 v[4:5], v[2:3], v[2:3] op_sel:[0,1]
.LBB53_25:                              ; =>This Inner Loop Header: Depth=1
	buffer_load_dword v16, v10, s[0:3], 0 offen offset:8
	buffer_load_dword v17, v10, s[0:3], 0 offen offset:12
	buffer_load_dword v18, v10, s[0:3], 0 offen
	buffer_load_dword v19, v10, s[0:3], 0 offen offset:4
	ds_read_b128 v[12:15], v9
	v_add_u32_e32 v8, 1, v8
	v_cmp_lt_u32_e32 vcc, 1, v8
	v_add_u32_e32 v9, 16, v9
	v_add_u32_e32 v10, 16, v10
	s_or_b64 s[6:7], vcc, s[6:7]
	s_waitcnt vmcnt(2) lgkmcnt(0)
	v_mul_f64 v[20:21], v[14:15], v[16:17]
	v_mul_f64 v[16:17], v[12:13], v[16:17]
	s_waitcnt vmcnt(0)
	v_fma_f64 v[12:13], v[12:13], v[18:19], -v[20:21]
	v_fmac_f64_e32 v[16:17], v[14:15], v[18:19]
	v_add_f64 v[4:5], v[4:5], v[12:13]
	v_add_f64 v[2:3], v[2:3], v[16:17]
	s_andn2_b64 exec, exec, s[6:7]
	s_cbranch_execnz .LBB53_25
; %bb.26:
	s_or_b64 exec, exec, s[6:7]
	v_mov_b32_e32 v8, 0
	ds_read_b128 v[8:11], v8 offset:48
	s_waitcnt lgkmcnt(0)
	v_mul_f64 v[12:13], v[2:3], v[10:11]
	v_mul_f64 v[10:11], v[4:5], v[10:11]
	v_fma_f64 v[4:5], v[4:5], v[8:9], -v[12:13]
	v_fmac_f64_e32 v[10:11], v[2:3], v[8:9]
	buffer_store_dword v5, off, s[0:3], 0 offset:68
	buffer_store_dword v4, off, s[0:3], 0 offset:64
	buffer_store_dword v11, off, s[0:3], 0 offset:76
	buffer_store_dword v10, off, s[0:3], 0 offset:72
.LBB53_27:
	s_or_b64 exec, exec, s[4:5]
	v_accvgpr_read_b32 v5, a157
	s_waitcnt lgkmcnt(0)
	; wave barrier
	buffer_load_dword v2, v5, s[0:3], 0 offen
	buffer_load_dword v3, v5, s[0:3], 0 offen offset:4
	buffer_load_dword v4, v5, s[0:3], 0 offen offset:8
	s_nop 0
	buffer_load_dword v5, v5, s[0:3], 0 offen offset:12
	v_cmp_gt_u32_e32 vcc, 4, v0
	s_waitcnt vmcnt(0)
	ds_write_b128 v6, v[2:5]
	s_waitcnt lgkmcnt(0)
	; wave barrier
	s_waitcnt lgkmcnt(0)
	s_and_saveexec_b64 s[4:5], vcc
	s_cbranch_execz .LBB53_31
; %bb.28:
	v_pk_mov_b32 v[2:3], 0, 0
	v_add_u32_e32 v8, -1, v0
	v_add_u32_e32 v9, 0x360, v1
	v_add_u32_e32 v10, 16, v1
	s_mov_b64 s[6:7], 0
	v_pk_mov_b32 v[4:5], v[2:3], v[2:3] op_sel:[0,1]
.LBB53_29:                              ; =>This Inner Loop Header: Depth=1
	buffer_load_dword v16, v10, s[0:3], 0 offen offset:8
	buffer_load_dword v17, v10, s[0:3], 0 offen offset:12
	buffer_load_dword v18, v10, s[0:3], 0 offen
	buffer_load_dword v19, v10, s[0:3], 0 offen offset:4
	ds_read_b128 v[12:15], v9
	v_add_u32_e32 v8, 1, v8
	v_cmp_lt_u32_e32 vcc, 2, v8
	v_add_u32_e32 v9, 16, v9
	v_add_u32_e32 v10, 16, v10
	s_or_b64 s[6:7], vcc, s[6:7]
	s_waitcnt vmcnt(2) lgkmcnt(0)
	v_mul_f64 v[20:21], v[14:15], v[16:17]
	v_mul_f64 v[16:17], v[12:13], v[16:17]
	s_waitcnt vmcnt(0)
	v_fma_f64 v[12:13], v[12:13], v[18:19], -v[20:21]
	v_fmac_f64_e32 v[16:17], v[14:15], v[18:19]
	v_add_f64 v[4:5], v[4:5], v[12:13]
	v_add_f64 v[2:3], v[2:3], v[16:17]
	s_andn2_b64 exec, exec, s[6:7]
	s_cbranch_execnz .LBB53_29
; %bb.30:
	s_or_b64 exec, exec, s[6:7]
	v_mov_b32_e32 v8, 0
	ds_read_b128 v[8:11], v8 offset:64
	s_waitcnt lgkmcnt(0)
	v_mul_f64 v[12:13], v[2:3], v[10:11]
	v_mul_f64 v[10:11], v[4:5], v[10:11]
	v_fma_f64 v[4:5], v[4:5], v[8:9], -v[12:13]
	v_fmac_f64_e32 v[10:11], v[2:3], v[8:9]
	buffer_store_dword v5, off, s[0:3], 0 offset:84
	buffer_store_dword v4, off, s[0:3], 0 offset:80
	buffer_store_dword v11, off, s[0:3], 0 offset:92
	buffer_store_dword v10, off, s[0:3], 0 offset:88
.LBB53_31:
	s_or_b64 exec, exec, s[4:5]
	v_accvgpr_read_b32 v5, a156
	s_waitcnt lgkmcnt(0)
	; wave barrier
	buffer_load_dword v2, v5, s[0:3], 0 offen
	buffer_load_dword v3, v5, s[0:3], 0 offen offset:4
	buffer_load_dword v4, v5, s[0:3], 0 offen offset:8
	s_nop 0
	buffer_load_dword v5, v5, s[0:3], 0 offen offset:12
	v_cmp_gt_u32_e32 vcc, 5, v0
	;; [unrolled: 59-line block ×19, first 2 shown]
	s_waitcnt vmcnt(0)
	ds_write_b128 v6, v[2:5]
	s_waitcnt lgkmcnt(0)
	; wave barrier
	s_waitcnt lgkmcnt(0)
	s_and_saveexec_b64 s[4:5], vcc
	s_cbranch_execz .LBB53_103
; %bb.100:
	v_pk_mov_b32 v[2:3], 0, 0
	v_add_u32_e32 v8, -1, v0
	v_add_u32_e32 v9, 0x360, v1
	v_add_u32_e32 v10, 16, v1
	s_mov_b64 s[6:7], 0
	v_pk_mov_b32 v[4:5], v[2:3], v[2:3] op_sel:[0,1]
.LBB53_101:                             ; =>This Inner Loop Header: Depth=1
	buffer_load_dword v16, v10, s[0:3], 0 offen offset:8
	buffer_load_dword v17, v10, s[0:3], 0 offen offset:12
	buffer_load_dword v18, v10, s[0:3], 0 offen
	buffer_load_dword v19, v10, s[0:3], 0 offen offset:4
	ds_read_b128 v[12:15], v9
	v_add_u32_e32 v8, 1, v8
	v_cmp_lt_u32_e32 vcc, 20, v8
	v_add_u32_e32 v9, 16, v9
	v_add_u32_e32 v10, 16, v10
	s_or_b64 s[6:7], vcc, s[6:7]
	s_waitcnt vmcnt(2) lgkmcnt(0)
	v_mul_f64 v[20:21], v[14:15], v[16:17]
	v_mul_f64 v[16:17], v[12:13], v[16:17]
	s_waitcnt vmcnt(0)
	v_fma_f64 v[12:13], v[12:13], v[18:19], -v[20:21]
	v_fmac_f64_e32 v[16:17], v[14:15], v[18:19]
	v_add_f64 v[4:5], v[4:5], v[12:13]
	v_add_f64 v[2:3], v[2:3], v[16:17]
	s_andn2_b64 exec, exec, s[6:7]
	s_cbranch_execnz .LBB53_101
; %bb.102:
	s_or_b64 exec, exec, s[6:7]
	v_mov_b32_e32 v8, 0
	ds_read_b128 v[8:11], v8 offset:352
	s_waitcnt lgkmcnt(0)
	v_mul_f64 v[12:13], v[2:3], v[10:11]
	v_mul_f64 v[10:11], v[4:5], v[10:11]
	v_fma_f64 v[4:5], v[4:5], v[8:9], -v[12:13]
	v_fmac_f64_e32 v[10:11], v[2:3], v[8:9]
	buffer_store_dword v5, off, s[0:3], 0 offset:372
	buffer_store_dword v4, off, s[0:3], 0 offset:368
	buffer_store_dword v11, off, s[0:3], 0 offset:380
	buffer_store_dword v10, off, s[0:3], 0 offset:376
.LBB53_103:
	s_or_b64 exec, exec, s[4:5]
	v_accvgpr_read_b32 v5, a138
	s_waitcnt lgkmcnt(0)
	; wave barrier
	buffer_load_dword v2, v5, s[0:3], 0 offen
	buffer_load_dword v3, v5, s[0:3], 0 offen offset:4
	buffer_load_dword v4, v5, s[0:3], 0 offen offset:8
	s_nop 0
	buffer_load_dword v5, v5, s[0:3], 0 offen offset:12
	v_cmp_gt_u32_e32 vcc, 23, v0
	s_waitcnt vmcnt(0)
	ds_write_b128 v6, v[2:5]
	s_waitcnt lgkmcnt(0)
	; wave barrier
	s_waitcnt lgkmcnt(0)
	s_and_saveexec_b64 s[4:5], vcc
	s_cbranch_execz .LBB53_107
; %bb.104:
	v_pk_mov_b32 v[2:3], 0, 0
	v_add_u32_e32 v8, -1, v0
	v_add_u32_e32 v9, 0x360, v1
	v_add_u32_e32 v10, 16, v1
	s_mov_b64 s[6:7], 0
	v_pk_mov_b32 v[4:5], v[2:3], v[2:3] op_sel:[0,1]
.LBB53_105:                             ; =>This Inner Loop Header: Depth=1
	buffer_load_dword v16, v10, s[0:3], 0 offen offset:8
	buffer_load_dword v17, v10, s[0:3], 0 offen offset:12
	buffer_load_dword v18, v10, s[0:3], 0 offen
	buffer_load_dword v19, v10, s[0:3], 0 offen offset:4
	ds_read_b128 v[12:15], v9
	v_add_u32_e32 v8, 1, v8
	v_cmp_lt_u32_e32 vcc, 21, v8
	v_add_u32_e32 v9, 16, v9
	v_add_u32_e32 v10, 16, v10
	s_or_b64 s[6:7], vcc, s[6:7]
	s_waitcnt vmcnt(2) lgkmcnt(0)
	v_mul_f64 v[20:21], v[14:15], v[16:17]
	v_mul_f64 v[16:17], v[12:13], v[16:17]
	s_waitcnt vmcnt(0)
	v_fma_f64 v[12:13], v[12:13], v[18:19], -v[20:21]
	v_fmac_f64_e32 v[16:17], v[14:15], v[18:19]
	v_add_f64 v[4:5], v[4:5], v[12:13]
	v_add_f64 v[2:3], v[2:3], v[16:17]
	s_andn2_b64 exec, exec, s[6:7]
	s_cbranch_execnz .LBB53_105
; %bb.106:
	s_or_b64 exec, exec, s[6:7]
	v_mov_b32_e32 v8, 0
	ds_read_b128 v[8:11], v8 offset:368
	s_waitcnt lgkmcnt(0)
	v_mul_f64 v[12:13], v[2:3], v[10:11]
	v_mul_f64 v[10:11], v[4:5], v[10:11]
	v_fma_f64 v[4:5], v[4:5], v[8:9], -v[12:13]
	v_fmac_f64_e32 v[10:11], v[2:3], v[8:9]
	buffer_store_dword v5, off, s[0:3], 0 offset:388
	buffer_store_dword v4, off, s[0:3], 0 offset:384
	buffer_store_dword v11, off, s[0:3], 0 offset:396
	buffer_store_dword v10, off, s[0:3], 0 offset:392
.LBB53_107:
	s_or_b64 exec, exec, s[4:5]
	v_accvgpr_read_b32 v5, a137
	s_waitcnt lgkmcnt(0)
	; wave barrier
	buffer_load_dword v2, v5, s[0:3], 0 offen
	buffer_load_dword v3, v5, s[0:3], 0 offen offset:4
	buffer_load_dword v4, v5, s[0:3], 0 offen offset:8
	s_nop 0
	buffer_load_dword v5, v5, s[0:3], 0 offen offset:12
	v_cmp_gt_u32_e32 vcc, 24, v0
	;; [unrolled: 59-line block ×30, first 2 shown]
	s_waitcnt vmcnt(0)
	ds_write_b128 v6, v[2:5]
	s_waitcnt lgkmcnt(0)
	; wave barrier
	s_waitcnt lgkmcnt(0)
	s_and_saveexec_b64 s[4:5], vcc
	s_cbranch_execz .LBB53_223
; %bb.220:
	v_pk_mov_b32 v[2:3], 0, 0
	v_add_u32_e32 v8, -1, v0
	v_add_u32_e32 v9, 0x360, v1
	v_add_u32_e32 v10, 16, v1
	s_mov_b64 s[6:7], 0
	v_pk_mov_b32 v[4:5], v[2:3], v[2:3] op_sel:[0,1]
.LBB53_221:                             ; =>This Inner Loop Header: Depth=1
	buffer_load_dword v16, v10, s[0:3], 0 offen offset:8
	buffer_load_dword v17, v10, s[0:3], 0 offen offset:12
	buffer_load_dword v18, v10, s[0:3], 0 offen
	buffer_load_dword v19, v10, s[0:3], 0 offen offset:4
	ds_read_b128 v[12:15], v9
	v_add_u32_e32 v8, 1, v8
	v_cmp_lt_u32_e32 vcc, 50, v8
	v_add_u32_e32 v9, 16, v9
	v_add_u32_e32 v10, 16, v10
	s_or_b64 s[6:7], vcc, s[6:7]
	s_waitcnt vmcnt(2) lgkmcnt(0)
	v_mul_f64 v[20:21], v[14:15], v[16:17]
	v_mul_f64 v[16:17], v[12:13], v[16:17]
	s_waitcnt vmcnt(0)
	v_fma_f64 v[12:13], v[12:13], v[18:19], -v[20:21]
	v_fmac_f64_e32 v[16:17], v[14:15], v[18:19]
	v_add_f64 v[4:5], v[4:5], v[12:13]
	v_add_f64 v[2:3], v[2:3], v[16:17]
	s_andn2_b64 exec, exec, s[6:7]
	s_cbranch_execnz .LBB53_221
; %bb.222:
	s_or_b64 exec, exec, s[6:7]
	v_mov_b32_e32 v8, 0
	ds_read_b128 v[8:11], v8 offset:832
	s_waitcnt lgkmcnt(0)
	v_mul_f64 v[12:13], v[2:3], v[10:11]
	v_mul_f64 v[10:11], v[4:5], v[10:11]
	v_fma_f64 v[4:5], v[4:5], v[8:9], -v[12:13]
	v_fmac_f64_e32 v[10:11], v[2:3], v[8:9]
	buffer_store_dword v5, off, s[0:3], 0 offset:852
	buffer_store_dword v4, off, s[0:3], 0 offset:848
	;; [unrolled: 1-line block ×4, first 2 shown]
.LBB53_223:
	s_or_b64 exec, exec, s[4:5]
	v_accvgpr_read_b32 v5, a108
	s_waitcnt lgkmcnt(0)
	; wave barrier
	buffer_load_dword v2, v5, s[0:3], 0 offen
	buffer_load_dword v3, v5, s[0:3], 0 offen offset:4
	buffer_load_dword v4, v5, s[0:3], 0 offen offset:8
	s_nop 0
	buffer_load_dword v5, v5, s[0:3], 0 offen offset:12
	v_cmp_ne_u32_e32 vcc, 53, v0
	s_waitcnt vmcnt(0)
	ds_write_b128 v6, v[2:5]
	s_waitcnt lgkmcnt(0)
	; wave barrier
	s_waitcnt lgkmcnt(0)
	s_and_saveexec_b64 s[4:5], vcc
	s_cbranch_execz .LBB53_227
; %bb.224:
	v_pk_mov_b32 v[2:3], 0, 0
	v_add_u32_e32 v6, 0x360, v1
	v_add_u32_e32 v1, 16, v1
	s_mov_b64 s[6:7], 0
	v_pk_mov_b32 v[4:5], v[2:3], v[2:3] op_sel:[0,1]
.LBB53_225:                             ; =>This Inner Loop Header: Depth=1
	buffer_load_dword v12, v1, s[0:3], 0 offen offset:8
	buffer_load_dword v13, v1, s[0:3], 0 offen offset:12
	buffer_load_dword v14, v1, s[0:3], 0 offen
	buffer_load_dword v15, v1, s[0:3], 0 offen offset:4
	ds_read_b128 v[8:11], v6
	v_add_u32_e32 v7, 1, v7
	v_cmp_lt_u32_e32 vcc, 51, v7
	v_add_u32_e32 v6, 16, v6
	v_add_u32_e32 v1, 16, v1
	s_or_b64 s[6:7], vcc, s[6:7]
	s_waitcnt vmcnt(2) lgkmcnt(0)
	v_mul_f64 v[16:17], v[10:11], v[12:13]
	v_mul_f64 v[12:13], v[8:9], v[12:13]
	s_waitcnt vmcnt(0)
	v_fma_f64 v[8:9], v[8:9], v[14:15], -v[16:17]
	v_fmac_f64_e32 v[12:13], v[10:11], v[14:15]
	v_add_f64 v[4:5], v[4:5], v[8:9]
	v_add_f64 v[2:3], v[2:3], v[12:13]
	s_andn2_b64 exec, exec, s[6:7]
	s_cbranch_execnz .LBB53_225
; %bb.226:
	s_or_b64 exec, exec, s[6:7]
	v_mov_b32_e32 v1, 0
	ds_read_b128 v[6:9], v1 offset:848
	s_waitcnt lgkmcnt(0)
	v_mul_f64 v[10:11], v[2:3], v[8:9]
	v_mul_f64 v[8:9], v[4:5], v[8:9]
	v_fma_f64 v[4:5], v[4:5], v[6:7], -v[10:11]
	v_fmac_f64_e32 v[8:9], v[2:3], v[6:7]
	buffer_store_dword v5, off, s[0:3], 0 offset:868
	buffer_store_dword v4, off, s[0:3], 0 offset:864
	;; [unrolled: 1-line block ×4, first 2 shown]
.LBB53_227:
	s_or_b64 exec, exec, s[4:5]
	s_mov_b64 s[6:7], -1
	s_waitcnt lgkmcnt(0)
	; wave barrier
.LBB53_228:
	s_and_b64 vcc, exec, s[6:7]
	s_cbranch_vccz .LBB53_230
; %bb.229:
	s_lshl_b64 s[4:5], s[8:9], 2
	s_add_u32 s4, s14, s4
	s_addc_u32 s5, s15, s5
	v_mov_b32_e32 v1, 0
	global_load_dword v1, v1, s[4:5]
	s_waitcnt vmcnt(0)
	v_cmp_ne_u32_e32 vcc, 0, v1
	s_cbranch_vccz .LBB53_231
.LBB53_230:
	s_endpgm
.LBB53_231:
	v_mov_b32_e32 v1, 0x360
	v_lshl_add_u32 v1, v0, 4, v1
	v_accvgpr_write_b32 a161, v1
	v_cmp_eq_u32_e32 vcc, 53, v0
	s_and_saveexec_b64 s[4:5], vcc
	s_cbranch_execz .LBB53_233
; %bb.232:
	v_accvgpr_read_b32 v1, a109
	buffer_load_dword v2, v1, s[0:3], 0 offen
	buffer_load_dword v3, v1, s[0:3], 0 offen offset:4
	buffer_load_dword v4, v1, s[0:3], 0 offen offset:8
	buffer_load_dword v5, v1, s[0:3], 0 offen offset:12
	v_mov_b32_e32 v1, 0
	v_accvgpr_read_b32 v6, a161
	buffer_store_dword v1, off, s[0:3], 0 offset:848
	buffer_store_dword v1, off, s[0:3], 0 offset:852
	;; [unrolled: 1-line block ×4, first 2 shown]
	s_waitcnt vmcnt(4)
	ds_write_b128 v6, v[2:5]
.LBB53_233:
	s_or_b64 exec, exec, s[4:5]
	s_waitcnt lgkmcnt(0)
	; wave barrier
	s_waitcnt lgkmcnt(0)
	buffer_load_dword v6, off, s[0:3], 0 offset:872
	buffer_load_dword v7, off, s[0:3], 0 offset:876
	;; [unrolled: 1-line block ×8, first 2 shown]
	v_mov_b32_e32 v1, 0
	ds_read_b128 v[2:5], v1 offset:1712
	v_cmp_lt_u32_e32 vcc, 51, v0
	s_waitcnt vmcnt(6) lgkmcnt(0)
	v_mul_f64 v[14:15], v[2:3], v[6:7]
	v_mul_f64 v[6:7], v[4:5], v[6:7]
	s_waitcnt vmcnt(4)
	v_fma_f64 v[2:3], v[2:3], v[8:9], -v[6:7]
	v_fmac_f64_e32 v[14:15], v[4:5], v[8:9]
	v_add_f64 v[2:3], v[2:3], 0
	v_add_f64 v[4:5], v[14:15], 0
	s_waitcnt vmcnt(2)
	v_add_f64 v[2:3], v[10:11], -v[2:3]
	s_waitcnt vmcnt(0)
	v_add_f64 v[4:5], v[12:13], -v[4:5]
	buffer_store_dword v2, off, s[0:3], 0 offset:848
	buffer_store_dword v3, off, s[0:3], 0 offset:852
	;; [unrolled: 1-line block ×4, first 2 shown]
	s_and_saveexec_b64 s[4:5], vcc
	s_cbranch_execz .LBB53_235
; %bb.234:
	v_accvgpr_read_b32 v5, a110
	buffer_load_dword v2, v5, s[0:3], 0 offen
	buffer_load_dword v3, v5, s[0:3], 0 offen offset:4
	buffer_load_dword v4, v5, s[0:3], 0 offen offset:8
	s_nop 0
	buffer_load_dword v5, v5, s[0:3], 0 offen offset:12
	v_accvgpr_read_b32 v6, a161
	buffer_store_dword v1, off, s[0:3], 0 offset:832
	buffer_store_dword v1, off, s[0:3], 0 offset:836
	;; [unrolled: 1-line block ×4, first 2 shown]
	s_waitcnt vmcnt(4)
	ds_write_b128 v6, v[2:5]
.LBB53_235:
	s_or_b64 exec, exec, s[4:5]
	s_waitcnt lgkmcnt(0)
	; wave barrier
	s_waitcnt lgkmcnt(0)
	buffer_load_dword v10, off, s[0:3], 0 offset:856
	buffer_load_dword v11, off, s[0:3], 0 offset:860
	;; [unrolled: 1-line block ×12, first 2 shown]
	ds_read_b128 v[2:5], v1 offset:1696
	ds_read_b128 v[6:9], v1 offset:1712
	v_cmp_lt_u32_e32 vcc, 50, v0
	s_waitcnt vmcnt(10) lgkmcnt(1)
	v_mul_f64 v[22:23], v[2:3], v[10:11]
	v_mul_f64 v[10:11], v[4:5], v[10:11]
	s_waitcnt vmcnt(8) lgkmcnt(0)
	v_mul_f64 v[24:25], v[6:7], v[12:13]
	v_mul_f64 v[12:13], v[8:9], v[12:13]
	s_waitcnt vmcnt(6)
	v_fma_f64 v[2:3], v[2:3], v[14:15], -v[10:11]
	v_fmac_f64_e32 v[22:23], v[4:5], v[14:15]
	s_waitcnt vmcnt(4)
	v_fma_f64 v[4:5], v[6:7], v[16:17], -v[12:13]
	v_add_f64 v[2:3], v[2:3], 0
	v_fmac_f64_e32 v[24:25], v[8:9], v[16:17]
	v_add_f64 v[6:7], v[22:23], 0
	v_add_f64 v[2:3], v[2:3], v[4:5]
	;; [unrolled: 1-line block ×3, first 2 shown]
	s_waitcnt vmcnt(2)
	v_add_f64 v[2:3], v[18:19], -v[2:3]
	s_waitcnt vmcnt(0)
	v_add_f64 v[4:5], v[20:21], -v[6:7]
	buffer_store_dword v2, off, s[0:3], 0 offset:832
	buffer_store_dword v3, off, s[0:3], 0 offset:836
	;; [unrolled: 1-line block ×4, first 2 shown]
	s_and_saveexec_b64 s[4:5], vcc
	s_cbranch_execz .LBB53_237
; %bb.236:
	v_accvgpr_read_b32 v1, a111
	buffer_load_dword v2, v1, s[0:3], 0 offen
	buffer_load_dword v3, v1, s[0:3], 0 offen offset:4
	buffer_load_dword v4, v1, s[0:3], 0 offen offset:8
	;; [unrolled: 1-line block ×3, first 2 shown]
	v_mov_b32_e32 v1, 0
	v_accvgpr_read_b32 v6, a161
	buffer_store_dword v1, off, s[0:3], 0 offset:816
	buffer_store_dword v1, off, s[0:3], 0 offset:820
	;; [unrolled: 1-line block ×4, first 2 shown]
	s_waitcnt vmcnt(4)
	ds_write_b128 v6, v[2:5]
.LBB53_237:
	s_or_b64 exec, exec, s[4:5]
	s_waitcnt lgkmcnt(0)
	; wave barrier
	s_waitcnt lgkmcnt(0)
	buffer_load_dword v14, off, s[0:3], 0 offset:840
	buffer_load_dword v15, off, s[0:3], 0 offset:844
	;; [unrolled: 1-line block ×16, first 2 shown]
	v_mov_b32_e32 v1, 0
	ds_read_b128 v[2:5], v1 offset:1680
	ds_read_b128 v[6:9], v1 offset:1696
	;; [unrolled: 1-line block ×3, first 2 shown]
	v_cmp_lt_u32_e32 vcc, 49, v0
	s_waitcnt vmcnt(14) lgkmcnt(2)
	v_mul_f64 v[30:31], v[2:3], v[14:15]
	v_mul_f64 v[14:15], v[4:5], v[14:15]
	s_waitcnt vmcnt(12) lgkmcnt(1)
	v_mul_f64 v[32:33], v[6:7], v[16:17]
	v_mul_f64 v[16:17], v[8:9], v[16:17]
	;; [unrolled: 3-line block ×3, first 2 shown]
	s_waitcnt vmcnt(8)
	v_fma_f64 v[2:3], v[2:3], v[20:21], -v[14:15]
	v_fmac_f64_e32 v[30:31], v[4:5], v[20:21]
	s_waitcnt vmcnt(6)
	v_fma_f64 v[4:5], v[6:7], v[22:23], -v[16:17]
	v_add_f64 v[2:3], v[2:3], 0
	v_fmac_f64_e32 v[32:33], v[8:9], v[22:23]
	s_waitcnt vmcnt(4)
	v_fma_f64 v[6:7], v[10:11], v[24:25], -v[18:19]
	v_add_f64 v[8:9], v[30:31], 0
	v_add_f64 v[2:3], v[2:3], v[4:5]
	v_fmac_f64_e32 v[34:35], v[12:13], v[24:25]
	v_add_f64 v[8:9], v[8:9], v[32:33]
	v_add_f64 v[2:3], v[2:3], v[6:7]
	;; [unrolled: 1-line block ×3, first 2 shown]
	s_waitcnt vmcnt(2)
	v_add_f64 v[2:3], v[26:27], -v[2:3]
	s_waitcnt vmcnt(0)
	v_add_f64 v[4:5], v[28:29], -v[4:5]
	buffer_store_dword v2, off, s[0:3], 0 offset:816
	buffer_store_dword v3, off, s[0:3], 0 offset:820
	;; [unrolled: 1-line block ×4, first 2 shown]
	s_and_saveexec_b64 s[4:5], vcc
	s_cbranch_execz .LBB53_239
; %bb.238:
	v_accvgpr_read_b32 v5, a112
	buffer_load_dword v2, v5, s[0:3], 0 offen
	buffer_load_dword v3, v5, s[0:3], 0 offen offset:4
	buffer_load_dword v4, v5, s[0:3], 0 offen offset:8
	s_nop 0
	buffer_load_dword v5, v5, s[0:3], 0 offen offset:12
	v_accvgpr_read_b32 v6, a161
	buffer_store_dword v1, off, s[0:3], 0 offset:800
	buffer_store_dword v1, off, s[0:3], 0 offset:804
	;; [unrolled: 1-line block ×4, first 2 shown]
	s_waitcnt vmcnt(4)
	ds_write_b128 v6, v[2:5]
.LBB53_239:
	s_or_b64 exec, exec, s[4:5]
	s_waitcnt lgkmcnt(0)
	; wave barrier
	s_waitcnt lgkmcnt(0)
	buffer_load_dword v18, off, s[0:3], 0 offset:824
	buffer_load_dword v19, off, s[0:3], 0 offset:828
	;; [unrolled: 1-line block ×20, first 2 shown]
	ds_read_b128 v[2:5], v1 offset:1664
	ds_read_b128 v[6:9], v1 offset:1680
	;; [unrolled: 1-line block ×4, first 2 shown]
	v_cmp_lt_u32_e32 vcc, 48, v0
	s_waitcnt vmcnt(18) lgkmcnt(3)
	v_mul_f64 v[38:39], v[2:3], v[18:19]
	v_mul_f64 v[18:19], v[4:5], v[18:19]
	s_waitcnt vmcnt(16) lgkmcnt(2)
	v_mul_f64 v[40:41], v[6:7], v[20:21]
	v_mul_f64 v[20:21], v[8:9], v[20:21]
	;; [unrolled: 3-line block ×4, first 2 shown]
	s_waitcnt vmcnt(10)
	v_fma_f64 v[2:3], v[2:3], v[26:27], -v[18:19]
	v_fmac_f64_e32 v[38:39], v[4:5], v[26:27]
	s_waitcnt vmcnt(8)
	v_fma_f64 v[4:5], v[6:7], v[28:29], -v[20:21]
	v_add_f64 v[2:3], v[2:3], 0
	v_fmac_f64_e32 v[40:41], v[8:9], v[28:29]
	s_waitcnt vmcnt(6)
	v_fma_f64 v[6:7], v[10:11], v[30:31], -v[22:23]
	v_add_f64 v[10:11], v[38:39], 0
	v_add_f64 v[2:3], v[2:3], v[4:5]
	v_fmac_f64_e32 v[42:43], v[12:13], v[30:31]
	s_waitcnt vmcnt(4)
	v_fma_f64 v[8:9], v[14:15], v[32:33], -v[24:25]
	v_add_f64 v[10:11], v[10:11], v[40:41]
	v_add_f64 v[2:3], v[2:3], v[6:7]
	v_fmac_f64_e32 v[44:45], v[16:17], v[32:33]
	v_add_f64 v[4:5], v[10:11], v[42:43]
	v_add_f64 v[2:3], v[2:3], v[8:9]
	;; [unrolled: 1-line block ×3, first 2 shown]
	s_waitcnt vmcnt(2)
	v_add_f64 v[2:3], v[34:35], -v[2:3]
	s_waitcnt vmcnt(0)
	v_add_f64 v[4:5], v[36:37], -v[4:5]
	buffer_store_dword v2, off, s[0:3], 0 offset:800
	buffer_store_dword v3, off, s[0:3], 0 offset:804
	;; [unrolled: 1-line block ×4, first 2 shown]
	s_and_saveexec_b64 s[4:5], vcc
	s_cbranch_execz .LBB53_241
; %bb.240:
	v_accvgpr_read_b32 v1, a113
	buffer_load_dword v2, v1, s[0:3], 0 offen
	buffer_load_dword v3, v1, s[0:3], 0 offen offset:4
	buffer_load_dword v4, v1, s[0:3], 0 offen offset:8
	;; [unrolled: 1-line block ×3, first 2 shown]
	v_mov_b32_e32 v1, 0
	v_accvgpr_read_b32 v6, a161
	buffer_store_dword v1, off, s[0:3], 0 offset:784
	buffer_store_dword v1, off, s[0:3], 0 offset:788
	;; [unrolled: 1-line block ×4, first 2 shown]
	s_waitcnt vmcnt(4)
	ds_write_b128 v6, v[2:5]
.LBB53_241:
	s_or_b64 exec, exec, s[4:5]
	s_waitcnt lgkmcnt(0)
	; wave barrier
	s_waitcnt lgkmcnt(0)
	buffer_load_dword v22, off, s[0:3], 0 offset:808
	buffer_load_dword v23, off, s[0:3], 0 offset:812
	;; [unrolled: 1-line block ×24, first 2 shown]
	v_mov_b32_e32 v1, 0
	ds_read_b128 v[2:5], v1 offset:1648
	ds_read_b128 v[6:9], v1 offset:1664
	;; [unrolled: 1-line block ×5, first 2 shown]
	v_cmp_lt_u32_e32 vcc, 47, v0
	s_waitcnt vmcnt(22) lgkmcnt(4)
	v_mul_f64 v[46:47], v[2:3], v[22:23]
	v_mul_f64 v[22:23], v[4:5], v[22:23]
	s_waitcnt vmcnt(20) lgkmcnt(3)
	v_mul_f64 v[48:49], v[6:7], v[24:25]
	v_mul_f64 v[24:25], v[8:9], v[24:25]
	;; [unrolled: 3-line block ×4, first 2 shown]
	s_waitcnt vmcnt(13) lgkmcnt(0)
	v_mul_f64 v[54:55], v[18:19], v[28:29]
	s_waitcnt vmcnt(11)
	v_fma_f64 v[2:3], v[2:3], v[34:35], -v[22:23]
	v_fmac_f64_e32 v[46:47], v[4:5], v[34:35]
	s_waitcnt vmcnt(9)
	v_fma_f64 v[4:5], v[6:7], v[36:37], -v[24:25]
	v_add_f64 v[2:3], v[2:3], 0
	v_fmac_f64_e32 v[48:49], v[8:9], v[36:37]
	s_waitcnt vmcnt(7)
	v_fmac_f64_e32 v[50:51], v[12:13], v[38:39]
	v_fma_f64 v[6:7], v[10:11], v[38:39], -v[26:27]
	v_add_f64 v[12:13], v[46:47], 0
	v_add_f64 v[2:3], v[2:3], v[4:5]
	v_mul_f64 v[28:29], v[20:21], v[28:29]
	s_waitcnt vmcnt(5)
	v_fma_f64 v[8:9], v[14:15], v[40:41], -v[32:33]
	v_add_f64 v[12:13], v[12:13], v[48:49]
	v_add_f64 v[2:3], v[2:3], v[6:7]
	v_fmac_f64_e32 v[52:53], v[16:17], v[40:41]
	s_waitcnt vmcnt(4)
	v_fma_f64 v[10:11], v[18:19], v[30:31], -v[28:29]
	v_add_f64 v[4:5], v[12:13], v[50:51]
	v_add_f64 v[2:3], v[2:3], v[8:9]
	v_fmac_f64_e32 v[54:55], v[20:21], v[30:31]
	v_add_f64 v[4:5], v[4:5], v[52:53]
	v_add_f64 v[2:3], v[2:3], v[10:11]
	;; [unrolled: 1-line block ×3, first 2 shown]
	s_waitcnt vmcnt(2)
	v_add_f64 v[2:3], v[42:43], -v[2:3]
	s_waitcnt vmcnt(0)
	v_add_f64 v[4:5], v[44:45], -v[4:5]
	buffer_store_dword v3, off, s[0:3], 0 offset:788
	buffer_store_dword v2, off, s[0:3], 0 offset:784
	;; [unrolled: 1-line block ×4, first 2 shown]
	s_and_saveexec_b64 s[4:5], vcc
	s_cbranch_execz .LBB53_243
; %bb.242:
	v_accvgpr_read_b32 v5, a114
	buffer_load_dword v2, v5, s[0:3], 0 offen
	buffer_load_dword v3, v5, s[0:3], 0 offen offset:4
	buffer_load_dword v4, v5, s[0:3], 0 offen offset:8
	s_nop 0
	buffer_load_dword v5, v5, s[0:3], 0 offen offset:12
	v_accvgpr_read_b32 v6, a161
	buffer_store_dword v1, off, s[0:3], 0 offset:768
	buffer_store_dword v1, off, s[0:3], 0 offset:772
	;; [unrolled: 1-line block ×4, first 2 shown]
	s_waitcnt vmcnt(4)
	ds_write_b128 v6, v[2:5]
.LBB53_243:
	s_or_b64 exec, exec, s[4:5]
	s_waitcnt lgkmcnt(0)
	; wave barrier
	s_waitcnt lgkmcnt(0)
	buffer_load_dword v26, off, s[0:3], 0 offset:792
	buffer_load_dword v27, off, s[0:3], 0 offset:796
	;; [unrolled: 1-line block ×28, first 2 shown]
	ds_read_b128 v[2:5], v1 offset:1632
	ds_read_b128 v[6:9], v1 offset:1648
	;; [unrolled: 1-line block ×6, first 2 shown]
	v_cmp_lt_u32_e32 vcc, 46, v0
	s_waitcnt vmcnt(26) lgkmcnt(5)
	v_mul_f64 v[54:55], v[2:3], v[26:27]
	v_mul_f64 v[26:27], v[4:5], v[26:27]
	s_waitcnt vmcnt(24) lgkmcnt(4)
	v_mul_f64 v[56:57], v[6:7], v[28:29]
	v_mul_f64 v[28:29], v[8:9], v[28:29]
	;; [unrolled: 3-line block ×4, first 2 shown]
	s_waitcnt vmcnt(17)
	v_mul_f64 v[60:61], v[14:15], v[36:37]
	v_mul_f64 v[36:37], v[16:17], v[36:37]
	s_waitcnt vmcnt(15) lgkmcnt(0)
	v_mul_f64 v[64:65], v[22:23], v[38:39]
	v_mul_f64 v[38:39], v[24:25], v[38:39]
	s_waitcnt vmcnt(14)
	v_fmac_f64_e32 v[62:63], v[20:21], v[34:35]
	s_waitcnt vmcnt(12)
	v_fma_f64 v[2:3], v[2:3], v[40:41], -v[26:27]
	v_fmac_f64_e32 v[54:55], v[4:5], v[40:41]
	s_waitcnt vmcnt(10)
	v_fma_f64 v[4:5], v[6:7], v[42:43], -v[28:29]
	v_add_f64 v[2:3], v[2:3], 0
	v_fmac_f64_e32 v[56:57], v[8:9], v[42:43]
	s_waitcnt vmcnt(8)
	v_fma_f64 v[6:7], v[10:11], v[44:45], -v[30:31]
	s_waitcnt vmcnt(6)
	v_fma_f64 v[8:9], v[14:15], v[46:47], -v[36:37]
	v_add_f64 v[14:15], v[54:55], 0
	v_add_f64 v[2:3], v[2:3], v[4:5]
	v_fmac_f64_e32 v[58:59], v[12:13], v[44:45]
	v_add_f64 v[14:15], v[14:15], v[56:57]
	v_add_f64 v[2:3], v[2:3], v[6:7]
	v_fmac_f64_e32 v[60:61], v[16:17], v[46:47]
	v_fma_f64 v[10:11], v[18:19], v[34:35], -v[32:33]
	v_add_f64 v[4:5], v[14:15], v[58:59]
	v_add_f64 v[2:3], v[2:3], v[8:9]
	s_waitcnt vmcnt(4)
	v_fma_f64 v[12:13], v[22:23], v[48:49], -v[38:39]
	v_add_f64 v[4:5], v[4:5], v[60:61]
	v_add_f64 v[2:3], v[2:3], v[10:11]
	v_fmac_f64_e32 v[64:65], v[24:25], v[48:49]
	v_add_f64 v[4:5], v[4:5], v[62:63]
	v_add_f64 v[2:3], v[2:3], v[12:13]
	v_add_f64 v[4:5], v[4:5], v[64:65]
	s_waitcnt vmcnt(2)
	v_add_f64 v[2:3], v[50:51], -v[2:3]
	s_waitcnt vmcnt(0)
	v_add_f64 v[4:5], v[52:53], -v[4:5]
	buffer_store_dword v3, off, s[0:3], 0 offset:772
	buffer_store_dword v2, off, s[0:3], 0 offset:768
	;; [unrolled: 1-line block ×4, first 2 shown]
	s_and_saveexec_b64 s[4:5], vcc
	s_cbranch_execz .LBB53_245
; %bb.244:
	v_accvgpr_read_b32 v1, a115
	buffer_load_dword v2, v1, s[0:3], 0 offen
	buffer_load_dword v3, v1, s[0:3], 0 offen offset:4
	buffer_load_dword v4, v1, s[0:3], 0 offen offset:8
	;; [unrolled: 1-line block ×3, first 2 shown]
	v_mov_b32_e32 v1, 0
	v_accvgpr_read_b32 v6, a161
	buffer_store_dword v1, off, s[0:3], 0 offset:752
	buffer_store_dword v1, off, s[0:3], 0 offset:756
	;; [unrolled: 1-line block ×4, first 2 shown]
	s_waitcnt vmcnt(4)
	ds_write_b128 v6, v[2:5]
.LBB53_245:
	s_or_b64 exec, exec, s[4:5]
	s_waitcnt lgkmcnt(0)
	; wave barrier
	s_waitcnt lgkmcnt(0)
	buffer_load_dword v30, off, s[0:3], 0 offset:776
	buffer_load_dword v31, off, s[0:3], 0 offset:780
	;; [unrolled: 1-line block ×32, first 2 shown]
	v_mov_b32_e32 v1, 0
	ds_read_b128 v[2:5], v1 offset:1616
	ds_read_b128 v[6:9], v1 offset:1632
	;; [unrolled: 1-line block ×7, first 2 shown]
	v_cmp_lt_u32_e32 vcc, 45, v0
	s_waitcnt vmcnt(30) lgkmcnt(6)
	v_mul_f64 v[62:63], v[2:3], v[30:31]
	v_mul_f64 v[30:31], v[4:5], v[30:31]
	s_waitcnt vmcnt(28) lgkmcnt(5)
	v_mul_f64 v[64:65], v[6:7], v[32:33]
	v_mul_f64 v[32:33], v[8:9], v[32:33]
	;; [unrolled: 3-line block ×4, first 2 shown]
	s_waitcnt vmcnt(21)
	v_mul_f64 v[68:69], v[14:15], v[40:41]
	v_mul_f64 v[40:41], v[16:17], v[40:41]
	s_waitcnt vmcnt(17) lgkmcnt(1)
	v_mul_f64 v[72:73], v[22:23], v[46:47]
	v_mul_f64 v[46:47], v[24:25], v[46:47]
	s_waitcnt vmcnt(16) lgkmcnt(0)
	v_mul_f64 v[74:75], v[26:27], v[42:43]
	v_mul_f64 v[42:43], v[28:29], v[42:43]
	s_waitcnt vmcnt(13)
	v_fma_f64 v[2:3], v[2:3], v[48:49], -v[30:31]
	v_fmac_f64_e32 v[62:63], v[4:5], v[48:49]
	s_waitcnt vmcnt(11)
	v_fma_f64 v[4:5], v[6:7], v[50:51], -v[32:33]
	v_add_f64 v[2:3], v[2:3], 0
	v_fmac_f64_e32 v[64:65], v[8:9], v[50:51]
	s_waitcnt vmcnt(9)
	v_fma_f64 v[6:7], v[10:11], v[52:53], -v[34:35]
	s_waitcnt vmcnt(7)
	v_fmac_f64_e32 v[68:69], v[16:17], v[54:55]
	v_add_f64 v[16:17], v[62:63], 0
	v_add_f64 v[2:3], v[2:3], v[4:5]
	v_fmac_f64_e32 v[66:67], v[12:13], v[52:53]
	v_fma_f64 v[8:9], v[14:15], v[54:55], -v[40:41]
	v_add_f64 v[16:17], v[16:17], v[64:65]
	v_add_f64 v[2:3], v[2:3], v[6:7]
	v_fma_f64 v[10:11], v[18:19], v[38:39], -v[36:37]
	v_add_f64 v[4:5], v[16:17], v[66:67]
	v_add_f64 v[2:3], v[2:3], v[8:9]
	v_fmac_f64_e32 v[70:71], v[20:21], v[38:39]
	s_waitcnt vmcnt(5)
	v_fma_f64 v[12:13], v[22:23], v[56:57], -v[46:47]
	v_add_f64 v[4:5], v[4:5], v[68:69]
	v_add_f64 v[2:3], v[2:3], v[10:11]
	v_fmac_f64_e32 v[72:73], v[24:25], v[56:57]
	s_waitcnt vmcnt(4)
	v_fma_f64 v[14:15], v[26:27], v[44:45], -v[42:43]
	v_add_f64 v[4:5], v[4:5], v[70:71]
	v_add_f64 v[2:3], v[2:3], v[12:13]
	v_fmac_f64_e32 v[74:75], v[28:29], v[44:45]
	v_add_f64 v[4:5], v[4:5], v[72:73]
	v_add_f64 v[2:3], v[2:3], v[14:15]
	;; [unrolled: 1-line block ×3, first 2 shown]
	s_waitcnt vmcnt(2)
	v_add_f64 v[2:3], v[58:59], -v[2:3]
	s_waitcnt vmcnt(0)
	v_add_f64 v[4:5], v[60:61], -v[4:5]
	buffer_store_dword v3, off, s[0:3], 0 offset:756
	buffer_store_dword v2, off, s[0:3], 0 offset:752
	;; [unrolled: 1-line block ×4, first 2 shown]
	s_and_saveexec_b64 s[4:5], vcc
	s_cbranch_execz .LBB53_247
; %bb.246:
	v_accvgpr_read_b32 v5, a116
	buffer_load_dword v2, v5, s[0:3], 0 offen
	buffer_load_dword v3, v5, s[0:3], 0 offen offset:4
	buffer_load_dword v4, v5, s[0:3], 0 offen offset:8
	s_nop 0
	buffer_load_dword v5, v5, s[0:3], 0 offen offset:12
	v_accvgpr_read_b32 v6, a161
	buffer_store_dword v1, off, s[0:3], 0 offset:736
	buffer_store_dword v1, off, s[0:3], 0 offset:740
	;; [unrolled: 1-line block ×4, first 2 shown]
	s_waitcnt vmcnt(4)
	ds_write_b128 v6, v[2:5]
.LBB53_247:
	s_or_b64 exec, exec, s[4:5]
	s_waitcnt lgkmcnt(0)
	; wave barrier
	s_waitcnt lgkmcnt(0)
	buffer_load_dword v34, off, s[0:3], 0 offset:760
	buffer_load_dword v35, off, s[0:3], 0 offset:764
	;; [unrolled: 1-line block ×36, first 2 shown]
	ds_read_b128 v[2:5], v1 offset:1600
	ds_read_b128 v[6:9], v1 offset:1616
	;; [unrolled: 1-line block ×8, first 2 shown]
	v_cmp_lt_u32_e32 vcc, 44, v0
	s_waitcnt vmcnt(34) lgkmcnt(7)
	v_mul_f64 v[70:71], v[2:3], v[34:35]
	v_mul_f64 v[34:35], v[4:5], v[34:35]
	s_waitcnt vmcnt(32) lgkmcnt(6)
	v_mul_f64 v[72:73], v[6:7], v[36:37]
	v_mul_f64 v[36:37], v[8:9], v[36:37]
	;; [unrolled: 3-line block ×4, first 2 shown]
	s_waitcnt vmcnt(25)
	v_mul_f64 v[76:77], v[14:15], v[44:45]
	v_mul_f64 v[44:45], v[16:17], v[44:45]
	s_waitcnt vmcnt(23) lgkmcnt(1)
	v_mul_f64 v[82:83], v[26:27], v[46:47]
	v_mul_f64 v[46:47], v[28:29], v[46:47]
	s_waitcnt vmcnt(20)
	v_mul_f64 v[80:81], v[22:23], v[50:51]
	v_mul_f64 v[50:51], v[24:25], v[50:51]
	s_waitcnt vmcnt(18) lgkmcnt(0)
	v_mul_f64 v[84:85], v[30:31], v[52:53]
	s_waitcnt vmcnt(17)
	v_fmac_f64_e32 v[78:79], v[20:21], v[42:43]
	s_waitcnt vmcnt(16)
	v_fmac_f64_e32 v[82:83], v[28:29], v[48:49]
	s_waitcnt vmcnt(14)
	v_fma_f64 v[2:3], v[2:3], v[54:55], -v[34:35]
	v_fmac_f64_e32 v[70:71], v[4:5], v[54:55]
	s_waitcnt vmcnt(12)
	v_fma_f64 v[4:5], v[6:7], v[56:57], -v[36:37]
	v_add_f64 v[2:3], v[2:3], 0
	v_fmac_f64_e32 v[72:73], v[8:9], v[56:57]
	s_waitcnt vmcnt(10)
	v_fma_f64 v[6:7], v[10:11], v[58:59], -v[38:39]
	s_waitcnt vmcnt(8)
	v_fmac_f64_e32 v[76:77], v[16:17], v[60:61]
	v_add_f64 v[16:17], v[70:71], 0
	v_add_f64 v[2:3], v[2:3], v[4:5]
	v_fmac_f64_e32 v[74:75], v[12:13], v[58:59]
	v_fma_f64 v[8:9], v[14:15], v[60:61], -v[44:45]
	v_add_f64 v[16:17], v[16:17], v[72:73]
	v_add_f64 v[2:3], v[2:3], v[6:7]
	v_fma_f64 v[10:11], v[18:19], v[42:43], -v[40:41]
	v_add_f64 v[4:5], v[16:17], v[74:75]
	v_add_f64 v[2:3], v[2:3], v[8:9]
	s_waitcnt vmcnt(6)
	v_fma_f64 v[12:13], v[22:23], v[62:63], -v[50:51]
	v_add_f64 v[4:5], v[4:5], v[76:77]
	v_add_f64 v[2:3], v[2:3], v[10:11]
	v_fmac_f64_e32 v[80:81], v[24:25], v[62:63]
	v_fma_f64 v[14:15], v[26:27], v[48:49], -v[46:47]
	v_add_f64 v[4:5], v[4:5], v[78:79]
	v_add_f64 v[2:3], v[2:3], v[12:13]
	v_mul_f64 v[6:7], v[32:33], v[52:53]
	v_add_f64 v[4:5], v[4:5], v[80:81]
	v_add_f64 v[2:3], v[2:3], v[14:15]
	s_waitcnt vmcnt(4)
	v_fma_f64 v[6:7], v[30:31], v[64:65], -v[6:7]
	v_fmac_f64_e32 v[84:85], v[32:33], v[64:65]
	v_add_f64 v[4:5], v[4:5], v[82:83]
	v_add_f64 v[2:3], v[2:3], v[6:7]
	;; [unrolled: 1-line block ×3, first 2 shown]
	s_waitcnt vmcnt(2)
	v_add_f64 v[2:3], v[66:67], -v[2:3]
	s_waitcnt vmcnt(0)
	v_add_f64 v[4:5], v[68:69], -v[4:5]
	buffer_store_dword v3, off, s[0:3], 0 offset:740
	buffer_store_dword v2, off, s[0:3], 0 offset:736
	;; [unrolled: 1-line block ×4, first 2 shown]
	s_and_saveexec_b64 s[4:5], vcc
	s_cbranch_execz .LBB53_249
; %bb.248:
	v_accvgpr_read_b32 v1, a117
	buffer_load_dword v2, v1, s[0:3], 0 offen
	buffer_load_dword v3, v1, s[0:3], 0 offen offset:4
	buffer_load_dword v4, v1, s[0:3], 0 offen offset:8
	buffer_load_dword v5, v1, s[0:3], 0 offen offset:12
	v_mov_b32_e32 v1, 0
	v_accvgpr_read_b32 v6, a161
	buffer_store_dword v1, off, s[0:3], 0 offset:720
	buffer_store_dword v1, off, s[0:3], 0 offset:724
	;; [unrolled: 1-line block ×4, first 2 shown]
	s_waitcnt vmcnt(4)
	ds_write_b128 v6, v[2:5]
.LBB53_249:
	s_or_b64 exec, exec, s[4:5]
	v_mov_b32_e32 v1, 0
	s_waitcnt lgkmcnt(0)
	; wave barrier
	s_waitcnt lgkmcnt(0)
	ds_read_b128 v[18:21], v1 offset:1584
	ds_read_b128 v[14:17], v1 offset:1600
	ds_read_b128 v[10:13], v1 offset:1616
	ds_read_b128 v[2:5], v1 offset:1632
	buffer_load_dword v40, off, s[0:3], 0 offset:720
	buffer_load_dword v41, off, s[0:3], 0 offset:724
	;; [unrolled: 1-line block ×20, first 2 shown]
	v_cmp_lt_u32_e32 vcc, 43, v0
	s_waitcnt vmcnt(12) lgkmcnt(3)
	v_mul_f64 v[6:7], v[18:19], v[56:57]
	v_fmac_f64_e32 v[6:7], v[20:21], v[44:45]
	v_add_f64 v[6:7], v[6:7], 0
	v_mul_f64 v[20:21], v[20:21], v[56:57]
	s_waitcnt vmcnt(8) lgkmcnt(2)
	v_mul_f64 v[8:9], v[14:15], v[54:55]
	v_fmac_f64_e32 v[8:9], v[16:17], v[50:51]
	v_add_f64 v[6:7], v[6:7], v[8:9]
	v_fma_f64 v[18:19], v[18:19], v[44:45], -v[20:21]
	s_waitcnt vmcnt(4) lgkmcnt(1)
	v_mul_f64 v[8:9], v[10:11], v[52:53]
	v_fmac_f64_e32 v[8:9], v[12:13], v[48:49]
	v_add_f64 v[6:7], v[6:7], v[8:9]
	s_waitcnt vmcnt(0) lgkmcnt(0)
	v_mul_f64 v[8:9], v[2:3], v[58:59]
	v_fmac_f64_e32 v[8:9], v[4:5], v[46:47]
	v_add_f64 v[22:23], v[6:7], v[8:9]
	ds_read_b128 v[6:9], v1 offset:1648
	buffer_load_dword v43, off, s[0:3], 0 offset:804
	buffer_load_dword v42, off, s[0:3], 0 offset:800
	;; [unrolled: 1-line block ×4, first 2 shown]
	v_mul_f64 v[16:17], v[16:17], v[54:55]
	v_add_f64 v[18:19], v[18:19], 0
	v_fma_f64 v[14:15], v[14:15], v[50:51], -v[16:17]
	v_mul_f64 v[12:13], v[12:13], v[52:53]
	v_add_f64 v[14:15], v[18:19], v[14:15]
	v_fma_f64 v[10:11], v[10:11], v[48:49], -v[12:13]
	;; [unrolled: 3-line block ×3, first 2 shown]
	v_add_f64 v[2:3], v[10:11], v[2:3]
	s_waitcnt vmcnt(0) lgkmcnt(0)
	v_mul_f64 v[24:25], v[6:7], v[60:61]
	v_fmac_f64_e32 v[24:25], v[8:9], v[42:43]
	v_add_f64 v[26:27], v[22:23], v[24:25]
	ds_read_b128 v[22:25], v1 offset:1664
	buffer_load_dword v63, off, s[0:3], 0 offset:820
	buffer_load_dword v62, off, s[0:3], 0 offset:816
	buffer_load_dword v65, off, s[0:3], 0 offset:828
	buffer_load_dword v64, off, s[0:3], 0 offset:824
	v_mul_f64 v[4:5], v[8:9], v[60:61]
	v_fma_f64 v[4:5], v[6:7], v[42:43], -v[4:5]
	v_add_f64 v[2:3], v[2:3], v[4:5]
	s_waitcnt vmcnt(0) lgkmcnt(0)
	v_mul_f64 v[28:29], v[22:23], v[64:65]
	v_fmac_f64_e32 v[28:29], v[24:25], v[62:63]
	v_add_f64 v[30:31], v[26:27], v[28:29]
	ds_read_b128 v[26:29], v1 offset:1680
	buffer_load_dword v67, off, s[0:3], 0 offset:836
	buffer_load_dword v66, off, s[0:3], 0 offset:832
	buffer_load_dword v69, off, s[0:3], 0 offset:844
	buffer_load_dword v68, off, s[0:3], 0 offset:840
	v_mul_f64 v[4:5], v[24:25], v[64:65]
	v_fma_f64 v[4:5], v[22:23], v[62:63], -v[4:5]
	v_add_f64 v[2:3], v[2:3], v[4:5]
	s_waitcnt vmcnt(0) lgkmcnt(0)
	v_mul_f64 v[32:33], v[26:27], v[68:69]
	v_fmac_f64_e32 v[32:33], v[28:29], v[66:67]
	v_add_f64 v[34:35], v[30:31], v[32:33]
	ds_read_b128 v[30:33], v1 offset:1696
	buffer_load_dword v71, off, s[0:3], 0 offset:852
	buffer_load_dword v70, off, s[0:3], 0 offset:848
	buffer_load_dword v73, off, s[0:3], 0 offset:860
	buffer_load_dword v72, off, s[0:3], 0 offset:856
	v_mul_f64 v[4:5], v[28:29], v[68:69]
	v_fma_f64 v[4:5], v[26:27], v[66:67], -v[4:5]
	v_add_f64 v[2:3], v[2:3], v[4:5]
	s_waitcnt vmcnt(0) lgkmcnt(0)
	v_mul_f64 v[36:37], v[30:31], v[72:73]
	v_fmac_f64_e32 v[36:37], v[32:33], v[70:71]
	v_add_f64 v[78:79], v[34:35], v[36:37]
	ds_read_b128 v[34:37], v1 offset:1712
	buffer_load_dword v75, off, s[0:3], 0 offset:868
	buffer_load_dword v74, off, s[0:3], 0 offset:864
	buffer_load_dword v77, off, s[0:3], 0 offset:876
	buffer_load_dword v76, off, s[0:3], 0 offset:872
	v_mul_f64 v[4:5], v[32:33], v[72:73]
	v_fma_f64 v[4:5], v[30:31], v[70:71], -v[4:5]
	v_add_f64 v[2:3], v[2:3], v[4:5]
	s_waitcnt vmcnt(0) lgkmcnt(0)
	v_mul_f64 v[4:5], v[36:37], v[76:77]
	v_mul_f64 v[80:81], v[34:35], v[76:77]
	v_fma_f64 v[4:5], v[34:35], v[74:75], -v[4:5]
	v_fmac_f64_e32 v[80:81], v[36:37], v[74:75]
	v_add_f64 v[2:3], v[2:3], v[4:5]
	v_add_f64 v[78:79], v[78:79], v[80:81]
	v_add_f64 v[2:3], v[40:41], -v[2:3]
	v_add_f64 v[4:5], v[38:39], -v[78:79]
	buffer_store_dword v3, off, s[0:3], 0 offset:724
	buffer_store_dword v2, off, s[0:3], 0 offset:720
	;; [unrolled: 1-line block ×4, first 2 shown]
	s_and_saveexec_b64 s[4:5], vcc
	s_cbranch_execz .LBB53_251
; %bb.250:
	v_accvgpr_read_b32 v5, a118
	buffer_load_dword v2, v5, s[0:3], 0 offen
	buffer_load_dword v3, v5, s[0:3], 0 offen offset:4
	buffer_load_dword v4, v5, s[0:3], 0 offen offset:8
	s_nop 0
	buffer_load_dword v5, v5, s[0:3], 0 offen offset:12
	v_accvgpr_read_b32 v6, a161
	buffer_store_dword v1, off, s[0:3], 0 offset:704
	buffer_store_dword v1, off, s[0:3], 0 offset:708
	buffer_store_dword v1, off, s[0:3], 0 offset:712
	buffer_store_dword v1, off, s[0:3], 0 offset:716
	s_waitcnt vmcnt(4)
	ds_write_b128 v6, v[2:5]
.LBB53_251:
	s_or_b64 exec, exec, s[4:5]
	s_waitcnt lgkmcnt(0)
	; wave barrier
	s_waitcnt lgkmcnt(0)
	ds_read_b128 v[18:21], v1 offset:1568
	ds_read_b128 v[10:13], v1 offset:1584
	;; [unrolled: 1-line block ×4, first 2 shown]
	buffer_load_dword v44, off, s[0:3], 0 offset:704
	buffer_load_dword v45, off, s[0:3], 0 offset:708
	;; [unrolled: 1-line block ×20, first 2 shown]
	v_cmp_lt_u32_e32 vcc, 42, v0
	s_waitcnt vmcnt(12) lgkmcnt(3)
	v_mul_f64 v[14:15], v[18:19], v[62:63]
	v_fmac_f64_e32 v[14:15], v[20:21], v[58:59]
	v_add_f64 v[14:15], v[14:15], 0
	v_mul_f64 v[20:21], v[20:21], v[62:63]
	s_waitcnt vmcnt(8) lgkmcnt(2)
	v_mul_f64 v[16:17], v[10:11], v[60:61]
	v_fmac_f64_e32 v[16:17], v[12:13], v[56:57]
	v_add_f64 v[14:15], v[14:15], v[16:17]
	v_fma_f64 v[18:19], v[18:19], v[58:59], -v[20:21]
	s_waitcnt vmcnt(4) lgkmcnt(1)
	v_mul_f64 v[16:17], v[6:7], v[48:49]
	v_fmac_f64_e32 v[16:17], v[8:9], v[46:47]
	v_add_f64 v[14:15], v[14:15], v[16:17]
	s_waitcnt vmcnt(0) lgkmcnt(0)
	v_mul_f64 v[16:17], v[2:3], v[52:53]
	v_fmac_f64_e32 v[16:17], v[4:5], v[50:51]
	v_add_f64 v[22:23], v[14:15], v[16:17]
	ds_read_b128 v[14:17], v1 offset:1632
	buffer_load_dword v55, off, s[0:3], 0 offset:788
	buffer_load_dword v54, off, s[0:3], 0 offset:784
	buffer_load_dword v65, off, s[0:3], 0 offset:796
	buffer_load_dword v64, off, s[0:3], 0 offset:792
	v_mul_f64 v[12:13], v[12:13], v[60:61]
	v_add_f64 v[18:19], v[18:19], 0
	v_fma_f64 v[10:11], v[10:11], v[56:57], -v[12:13]
	v_mul_f64 v[8:9], v[8:9], v[48:49]
	v_add_f64 v[10:11], v[18:19], v[10:11]
	v_fma_f64 v[6:7], v[6:7], v[46:47], -v[8:9]
	;; [unrolled: 3-line block ×3, first 2 shown]
	v_add_f64 v[2:3], v[6:7], v[2:3]
	s_waitcnt vmcnt(0) lgkmcnt(0)
	v_mul_f64 v[24:25], v[14:15], v[64:65]
	v_fmac_f64_e32 v[24:25], v[16:17], v[54:55]
	v_add_f64 v[26:27], v[22:23], v[24:25]
	ds_read_b128 v[22:25], v1 offset:1648
	buffer_load_dword v67, off, s[0:3], 0 offset:804
	buffer_load_dword v66, off, s[0:3], 0 offset:800
	buffer_load_dword v69, off, s[0:3], 0 offset:812
	buffer_load_dword v68, off, s[0:3], 0 offset:808
	v_mul_f64 v[4:5], v[16:17], v[64:65]
	v_fma_f64 v[4:5], v[14:15], v[54:55], -v[4:5]
	v_add_f64 v[2:3], v[2:3], v[4:5]
	s_waitcnt vmcnt(0) lgkmcnt(0)
	v_mul_f64 v[28:29], v[22:23], v[68:69]
	v_fmac_f64_e32 v[28:29], v[24:25], v[66:67]
	v_add_f64 v[30:31], v[26:27], v[28:29]
	ds_read_b128 v[26:29], v1 offset:1664
	buffer_load_dword v71, off, s[0:3], 0 offset:820
	buffer_load_dword v70, off, s[0:3], 0 offset:816
	buffer_load_dword v73, off, s[0:3], 0 offset:828
	buffer_load_dword v72, off, s[0:3], 0 offset:824
	v_mul_f64 v[4:5], v[24:25], v[68:69]
	v_fma_f64 v[4:5], v[22:23], v[66:67], -v[4:5]
	;; [unrolled: 12-line block ×5, first 2 shown]
	v_add_f64 v[2:3], v[2:3], v[4:5]
	s_waitcnt vmcnt(0) lgkmcnt(0)
	v_mul_f64 v[4:5], v[40:41], v[86:87]
	v_mul_f64 v[88:89], v[38:39], v[86:87]
	v_fma_f64 v[4:5], v[38:39], v[82:83], -v[4:5]
	v_fmac_f64_e32 v[88:89], v[40:41], v[82:83]
	v_add_f64 v[2:3], v[2:3], v[4:5]
	v_add_f64 v[84:85], v[84:85], v[88:89]
	v_add_f64 v[2:3], v[44:45], -v[2:3]
	v_add_f64 v[4:5], v[42:43], -v[84:85]
	buffer_store_dword v3, off, s[0:3], 0 offset:708
	buffer_store_dword v2, off, s[0:3], 0 offset:704
	;; [unrolled: 1-line block ×4, first 2 shown]
	s_and_saveexec_b64 s[4:5], vcc
	s_cbranch_execz .LBB53_253
; %bb.252:
	v_accvgpr_read_b32 v1, a119
	buffer_load_dword v2, v1, s[0:3], 0 offen
	buffer_load_dword v3, v1, s[0:3], 0 offen offset:4
	buffer_load_dword v4, v1, s[0:3], 0 offen offset:8
	;; [unrolled: 1-line block ×3, first 2 shown]
	v_mov_b32_e32 v1, 0
	v_accvgpr_read_b32 v6, a161
	buffer_store_dword v1, off, s[0:3], 0 offset:688
	buffer_store_dword v1, off, s[0:3], 0 offset:692
	;; [unrolled: 1-line block ×4, first 2 shown]
	s_waitcnt vmcnt(4)
	ds_write_b128 v6, v[2:5]
.LBB53_253:
	s_or_b64 exec, exec, s[4:5]
	v_mov_b32_e32 v1, 0
	s_waitcnt lgkmcnt(0)
	; wave barrier
	s_waitcnt lgkmcnt(0)
	ds_read_b128 v[14:17], v1 offset:1552
	ds_read_b128 v[10:13], v1 offset:1568
	;; [unrolled: 1-line block ×4, first 2 shown]
	buffer_load_dword v48, off, s[0:3], 0 offset:688
	buffer_load_dword v49, off, s[0:3], 0 offset:692
	buffer_load_dword v46, off, s[0:3], 0 offset:696
	buffer_load_dword v47, off, s[0:3], 0 offset:700
	buffer_load_dword v50, off, s[0:3], 0 offset:704
	buffer_load_dword v51, off, s[0:3], 0 offset:708
	buffer_load_dword v56, off, s[0:3], 0 offset:712
	buffer_load_dword v57, off, s[0:3], 0 offset:716
	buffer_load_dword v52, off, s[0:3], 0 offset:720
	buffer_load_dword v53, off, s[0:3], 0 offset:724
	buffer_load_dword v58, off, s[0:3], 0 offset:728
	buffer_load_dword v59, off, s[0:3], 0 offset:732
	buffer_load_dword v54, off, s[0:3], 0 offset:736
	buffer_load_dword v55, off, s[0:3], 0 offset:740
	buffer_load_dword v60, off, s[0:3], 0 offset:744
	buffer_load_dword v61, off, s[0:3], 0 offset:748
	buffer_load_dword v63, off, s[0:3], 0 offset:756
	buffer_load_dword v62, off, s[0:3], 0 offset:752
	buffer_load_dword v65, off, s[0:3], 0 offset:764
	buffer_load_dword v64, off, s[0:3], 0 offset:760
	v_cmp_lt_u32_e32 vcc, 41, v0
	s_waitcnt vmcnt(12) lgkmcnt(3)
	v_mul_f64 v[18:19], v[14:15], v[56:57]
	v_fmac_f64_e32 v[18:19], v[16:17], v[50:51]
	v_add_f64 v[18:19], v[18:19], 0
	v_mul_f64 v[16:17], v[16:17], v[56:57]
	s_waitcnt vmcnt(8) lgkmcnt(2)
	v_mul_f64 v[20:21], v[10:11], v[58:59]
	v_fmac_f64_e32 v[20:21], v[12:13], v[52:53]
	v_add_f64 v[18:19], v[18:19], v[20:21]
	v_fma_f64 v[14:15], v[14:15], v[50:51], -v[16:17]
	s_waitcnt vmcnt(4) lgkmcnt(1)
	v_mul_f64 v[20:21], v[6:7], v[60:61]
	v_fmac_f64_e32 v[20:21], v[8:9], v[54:55]
	v_add_f64 v[18:19], v[18:19], v[20:21]
	s_waitcnt vmcnt(0) lgkmcnt(0)
	v_mul_f64 v[20:21], v[2:3], v[64:65]
	v_fmac_f64_e32 v[20:21], v[4:5], v[62:63]
	v_add_f64 v[22:23], v[18:19], v[20:21]
	ds_read_b128 v[18:21], v1 offset:1616
	buffer_load_dword v67, off, s[0:3], 0 offset:772
	buffer_load_dword v66, off, s[0:3], 0 offset:768
	;; [unrolled: 1-line block ×4, first 2 shown]
	v_mul_f64 v[12:13], v[12:13], v[58:59]
	v_add_f64 v[14:15], v[14:15], 0
	v_fma_f64 v[10:11], v[10:11], v[52:53], -v[12:13]
	v_mul_f64 v[8:9], v[8:9], v[60:61]
	v_add_f64 v[10:11], v[14:15], v[10:11]
	v_fma_f64 v[6:7], v[6:7], v[54:55], -v[8:9]
	;; [unrolled: 3-line block ×3, first 2 shown]
	v_add_f64 v[2:3], v[6:7], v[2:3]
	s_waitcnt vmcnt(0) lgkmcnt(0)
	v_mul_f64 v[24:25], v[18:19], v[68:69]
	v_fmac_f64_e32 v[24:25], v[20:21], v[66:67]
	v_add_f64 v[26:27], v[22:23], v[24:25]
	ds_read_b128 v[22:25], v1 offset:1632
	buffer_load_dword v71, off, s[0:3], 0 offset:788
	buffer_load_dword v70, off, s[0:3], 0 offset:784
	buffer_load_dword v73, off, s[0:3], 0 offset:796
	buffer_load_dword v72, off, s[0:3], 0 offset:792
	v_mul_f64 v[4:5], v[20:21], v[68:69]
	v_fma_f64 v[4:5], v[18:19], v[66:67], -v[4:5]
	v_add_f64 v[2:3], v[2:3], v[4:5]
	s_waitcnt vmcnt(0) lgkmcnt(0)
	v_mul_f64 v[28:29], v[22:23], v[72:73]
	v_fmac_f64_e32 v[28:29], v[24:25], v[70:71]
	v_add_f64 v[30:31], v[26:27], v[28:29]
	ds_read_b128 v[26:29], v1 offset:1648
	buffer_load_dword v75, off, s[0:3], 0 offset:804
	buffer_load_dword v74, off, s[0:3], 0 offset:800
	buffer_load_dword v77, off, s[0:3], 0 offset:812
	buffer_load_dword v76, off, s[0:3], 0 offset:808
	v_mul_f64 v[4:5], v[24:25], v[72:73]
	v_fma_f64 v[4:5], v[22:23], v[70:71], -v[4:5]
	v_add_f64 v[2:3], v[2:3], v[4:5]
	s_waitcnt vmcnt(0) lgkmcnt(0)
	v_mul_f64 v[32:33], v[26:27], v[76:77]
	v_fmac_f64_e32 v[32:33], v[28:29], v[74:75]
	v_add_f64 v[34:35], v[30:31], v[32:33]
	ds_read_b128 v[30:33], v1 offset:1664
	buffer_load_dword v79, off, s[0:3], 0 offset:820
	buffer_load_dword v78, off, s[0:3], 0 offset:816
	buffer_load_dword v81, off, s[0:3], 0 offset:828
	buffer_load_dword v80, off, s[0:3], 0 offset:824
	v_mul_f64 v[4:5], v[28:29], v[76:77]
	v_fma_f64 v[4:5], v[26:27], v[74:75], -v[4:5]
	v_add_f64 v[2:3], v[2:3], v[4:5]
	s_waitcnt vmcnt(0) lgkmcnt(0)
	v_mul_f64 v[36:37], v[30:31], v[80:81]
	v_fmac_f64_e32 v[36:37], v[32:33], v[78:79]
	v_add_f64 v[38:39], v[34:35], v[36:37]
	ds_read_b128 v[34:37], v1 offset:1680
	buffer_load_dword v83, off, s[0:3], 0 offset:836
	buffer_load_dword v82, off, s[0:3], 0 offset:832
	buffer_load_dword v85, off, s[0:3], 0 offset:844
	buffer_load_dword v84, off, s[0:3], 0 offset:840
	v_mul_f64 v[4:5], v[32:33], v[80:81]
	v_fma_f64 v[4:5], v[30:31], v[78:79], -v[4:5]
	v_add_f64 v[2:3], v[2:3], v[4:5]
	s_waitcnt vmcnt(0) lgkmcnt(0)
	v_mul_f64 v[40:41], v[34:35], v[84:85]
	v_fmac_f64_e32 v[40:41], v[36:37], v[82:83]
	v_add_f64 v[42:43], v[38:39], v[40:41]
	ds_read_b128 v[38:41], v1 offset:1696
	buffer_load_dword v87, off, s[0:3], 0 offset:852
	buffer_load_dword v86, off, s[0:3], 0 offset:848
	buffer_load_dword v89, off, s[0:3], 0 offset:860
	buffer_load_dword v88, off, s[0:3], 0 offset:856
	v_mul_f64 v[4:5], v[36:37], v[84:85]
	v_fma_f64 v[4:5], v[34:35], v[82:83], -v[4:5]
	v_add_f64 v[2:3], v[2:3], v[4:5]
	s_waitcnt vmcnt(0) lgkmcnt(0)
	v_mul_f64 v[44:45], v[38:39], v[88:89]
	v_fmac_f64_e32 v[44:45], v[40:41], v[86:87]
	v_add_f64 v[94:95], v[42:43], v[44:45]
	ds_read_b128 v[42:45], v1 offset:1712
	buffer_load_dword v91, off, s[0:3], 0 offset:868
	buffer_load_dword v90, off, s[0:3], 0 offset:864
	buffer_load_dword v93, off, s[0:3], 0 offset:876
	buffer_load_dword v92, off, s[0:3], 0 offset:872
	v_mul_f64 v[4:5], v[40:41], v[88:89]
	v_fma_f64 v[4:5], v[38:39], v[86:87], -v[4:5]
	v_add_f64 v[2:3], v[2:3], v[4:5]
	s_waitcnt vmcnt(0) lgkmcnt(0)
	v_mul_f64 v[4:5], v[44:45], v[92:93]
	v_mul_f64 v[96:97], v[42:43], v[92:93]
	v_fma_f64 v[4:5], v[42:43], v[90:91], -v[4:5]
	v_fmac_f64_e32 v[96:97], v[44:45], v[90:91]
	v_add_f64 v[2:3], v[2:3], v[4:5]
	v_add_f64 v[94:95], v[94:95], v[96:97]
	v_add_f64 v[2:3], v[48:49], -v[2:3]
	v_add_f64 v[4:5], v[46:47], -v[94:95]
	buffer_store_dword v3, off, s[0:3], 0 offset:692
	buffer_store_dword v2, off, s[0:3], 0 offset:688
	buffer_store_dword v5, off, s[0:3], 0 offset:700
	buffer_store_dword v4, off, s[0:3], 0 offset:696
	s_and_saveexec_b64 s[4:5], vcc
	s_cbranch_execz .LBB53_255
; %bb.254:
	v_accvgpr_read_b32 v5, a120
	buffer_load_dword v2, v5, s[0:3], 0 offen
	buffer_load_dword v3, v5, s[0:3], 0 offen offset:4
	buffer_load_dword v4, v5, s[0:3], 0 offen offset:8
	s_nop 0
	buffer_load_dword v5, v5, s[0:3], 0 offen offset:12
	v_accvgpr_read_b32 v6, a161
	buffer_store_dword v1, off, s[0:3], 0 offset:672
	buffer_store_dword v1, off, s[0:3], 0 offset:676
	;; [unrolled: 1-line block ×4, first 2 shown]
	s_waitcnt vmcnt(4)
	ds_write_b128 v6, v[2:5]
.LBB53_255:
	s_or_b64 exec, exec, s[4:5]
	s_waitcnt lgkmcnt(0)
	; wave barrier
	s_waitcnt lgkmcnt(0)
	ds_read_b128 v[14:17], v1 offset:1536
	ds_read_b128 v[10:13], v1 offset:1552
	;; [unrolled: 1-line block ×4, first 2 shown]
	buffer_load_dword v48, off, s[0:3], 0 offset:672
	buffer_load_dword v49, off, s[0:3], 0 offset:676
	;; [unrolled: 1-line block ×20, first 2 shown]
	v_cmp_lt_u32_e32 vcc, 40, v0
	s_waitcnt vmcnt(12) lgkmcnt(3)
	v_mul_f64 v[18:19], v[14:15], v[56:57]
	v_fmac_f64_e32 v[18:19], v[16:17], v[50:51]
	v_add_f64 v[18:19], v[18:19], 0
	v_mul_f64 v[16:17], v[16:17], v[56:57]
	s_waitcnt vmcnt(8) lgkmcnt(2)
	v_mul_f64 v[20:21], v[10:11], v[58:59]
	v_fmac_f64_e32 v[20:21], v[12:13], v[52:53]
	v_add_f64 v[18:19], v[18:19], v[20:21]
	v_fma_f64 v[14:15], v[14:15], v[50:51], -v[16:17]
	s_waitcnt vmcnt(4) lgkmcnt(1)
	v_mul_f64 v[20:21], v[6:7], v[60:61]
	v_fmac_f64_e32 v[20:21], v[8:9], v[54:55]
	v_add_f64 v[18:19], v[18:19], v[20:21]
	s_waitcnt vmcnt(0) lgkmcnt(0)
	v_mul_f64 v[20:21], v[2:3], v[64:65]
	v_fmac_f64_e32 v[20:21], v[4:5], v[62:63]
	v_add_f64 v[22:23], v[18:19], v[20:21]
	ds_read_b128 v[18:21], v1 offset:1600
	buffer_load_dword v67, off, s[0:3], 0 offset:756
	buffer_load_dword v66, off, s[0:3], 0 offset:752
	buffer_load_dword v69, off, s[0:3], 0 offset:764
	buffer_load_dword v68, off, s[0:3], 0 offset:760
	v_mul_f64 v[12:13], v[12:13], v[58:59]
	v_add_f64 v[14:15], v[14:15], 0
	v_fma_f64 v[10:11], v[10:11], v[52:53], -v[12:13]
	v_mul_f64 v[8:9], v[8:9], v[60:61]
	v_add_f64 v[10:11], v[14:15], v[10:11]
	v_fma_f64 v[6:7], v[6:7], v[54:55], -v[8:9]
	;; [unrolled: 3-line block ×3, first 2 shown]
	v_add_f64 v[2:3], v[6:7], v[2:3]
	s_waitcnt vmcnt(0) lgkmcnt(0)
	v_mul_f64 v[24:25], v[18:19], v[68:69]
	v_fmac_f64_e32 v[24:25], v[20:21], v[66:67]
	v_add_f64 v[26:27], v[22:23], v[24:25]
	ds_read_b128 v[22:25], v1 offset:1616
	buffer_load_dword v71, off, s[0:3], 0 offset:772
	buffer_load_dword v70, off, s[0:3], 0 offset:768
	buffer_load_dword v73, off, s[0:3], 0 offset:780
	buffer_load_dword v72, off, s[0:3], 0 offset:776
	v_mul_f64 v[4:5], v[20:21], v[68:69]
	v_fma_f64 v[4:5], v[18:19], v[66:67], -v[4:5]
	v_add_f64 v[2:3], v[2:3], v[4:5]
	s_waitcnt vmcnt(0) lgkmcnt(0)
	v_mul_f64 v[28:29], v[22:23], v[72:73]
	v_fmac_f64_e32 v[28:29], v[24:25], v[70:71]
	v_add_f64 v[30:31], v[26:27], v[28:29]
	ds_read_b128 v[26:29], v1 offset:1632
	buffer_load_dword v75, off, s[0:3], 0 offset:788
	buffer_load_dword v74, off, s[0:3], 0 offset:784
	buffer_load_dword v77, off, s[0:3], 0 offset:796
	buffer_load_dword v76, off, s[0:3], 0 offset:792
	v_mul_f64 v[4:5], v[24:25], v[72:73]
	v_fma_f64 v[4:5], v[22:23], v[70:71], -v[4:5]
	;; [unrolled: 12-line block ×7, first 2 shown]
	v_add_f64 v[2:3], v[2:3], v[4:5]
	s_waitcnt vmcnt(0) lgkmcnt(0)
	v_mul_f64 v[4:5], v[96:97], v[102:103]
	v_mul_f64 v[104:105], v[94:95], v[102:103]
	v_fma_f64 v[4:5], v[94:95], v[100:101], -v[4:5]
	v_fmac_f64_e32 v[104:105], v[96:97], v[100:101]
	v_add_f64 v[2:3], v[2:3], v[4:5]
	v_add_f64 v[98:99], v[98:99], v[104:105]
	v_add_f64 v[2:3], v[48:49], -v[2:3]
	v_add_f64 v[4:5], v[46:47], -v[98:99]
	buffer_store_dword v3, off, s[0:3], 0 offset:676
	buffer_store_dword v2, off, s[0:3], 0 offset:672
	;; [unrolled: 1-line block ×4, first 2 shown]
	s_and_saveexec_b64 s[4:5], vcc
	s_cbranch_execz .LBB53_257
; %bb.256:
	v_accvgpr_read_b32 v1, a121
	buffer_load_dword v2, v1, s[0:3], 0 offen
	buffer_load_dword v3, v1, s[0:3], 0 offen offset:4
	buffer_load_dword v4, v1, s[0:3], 0 offen offset:8
	buffer_load_dword v5, v1, s[0:3], 0 offen offset:12
	v_mov_b32_e32 v1, 0
	v_accvgpr_read_b32 v6, a161
	buffer_store_dword v1, off, s[0:3], 0 offset:656
	buffer_store_dword v1, off, s[0:3], 0 offset:660
	;; [unrolled: 1-line block ×4, first 2 shown]
	s_waitcnt vmcnt(4)
	ds_write_b128 v6, v[2:5]
.LBB53_257:
	s_or_b64 exec, exec, s[4:5]
	s_waitcnt lgkmcnt(0)
	; wave barrier
	s_waitcnt lgkmcnt(0)
	buffer_load_dword v2, off, s[0:3], 0 offset:672
	buffer_load_dword v3, off, s[0:3], 0 offset:676
	;; [unrolled: 1-line block ×56, first 2 shown]
	v_mov_b32_e32 v1, 0
	ds_read_b128 v[30:33], v1 offset:1520
	ds_read_b128 v[34:37], v1 offset:1536
	;; [unrolled: 1-line block ×9, first 2 shown]
	v_cmp_lt_u32_e32 vcc, 39, v0
	s_waitcnt vmcnt(52) lgkmcnt(8)
	v_mul_f64 v[62:63], v[30:31], v[6:7]
	v_fmac_f64_e32 v[62:63], v[32:33], v[2:3]
	v_mul_f64 v[6:7], v[32:33], v[6:7]
	v_add_f64 v[62:63], v[62:63], 0
	s_waitcnt vmcnt(48) lgkmcnt(7)
	v_mul_f64 v[64:65], v[34:35], v[8:9]
	v_fmac_f64_e32 v[64:65], v[36:37], v[4:5]
	s_waitcnt vmcnt(46) lgkmcnt(6)
	v_mul_f64 v[66:67], v[38:39], v[10:11]
	v_fma_f64 v[2:3], v[30:31], v[2:3], -v[6:7]
	v_mul_f64 v[6:7], v[36:37], v[8:9]
	s_waitcnt vmcnt(44) lgkmcnt(5)
	v_mul_f64 v[68:69], v[42:43], v[12:13]
	v_add_f64 v[62:63], v[62:63], v[64:65]
	v_add_f64 v[2:3], v[2:3], 0
	v_fma_f64 v[4:5], v[34:35], v[4:5], -v[6:7]
	v_add_f64 v[2:3], v[2:3], v[4:5]
	v_mul_f64 v[4:5], v[40:41], v[10:11]
	s_waitcnt vmcnt(37) lgkmcnt(4)
	v_mul_f64 v[70:71], v[46:47], v[20:21]
	s_waitcnt lgkmcnt(3)
	v_mul_f64 v[72:73], v[50:51], v[18:19]
	s_waitcnt vmcnt(35)
	v_fmac_f64_e32 v[70:71], v[48:49], v[22:23]
	s_waitcnt lgkmcnt(2)
	v_mul_f64 v[74:75], v[54:55], v[14:15]
	s_waitcnt vmcnt(33)
	v_fmac_f64_e32 v[66:67], v[40:41], v[28:29]
	v_add_f64 v[62:63], v[62:63], v[66:67]
	s_waitcnt vmcnt(31)
	v_fmac_f64_e32 v[68:69], v[44:45], v[26:27]
	v_add_f64 v[62:63], v[62:63], v[68:69]
	v_fma_f64 v[4:5], v[38:39], v[28:29], -v[4:5]
	s_waitcnt vmcnt(29)
	v_fmac_f64_e32 v[72:73], v[52:53], v[24:25]
	v_add_f64 v[62:63], v[62:63], v[70:71]
	v_add_f64 v[2:3], v[2:3], v[4:5]
	v_mul_f64 v[4:5], v[44:45], v[12:13]
	s_waitcnt vmcnt(28)
	v_fmac_f64_e32 v[74:75], v[56:57], v[16:17]
	v_add_f64 v[62:63], v[62:63], v[72:73]
	v_fma_f64 v[4:5], v[42:43], v[26:27], -v[4:5]
	v_add_f64 v[66:67], v[62:63], v[74:75]
	ds_read_b128 v[62:65], v1 offset:1648
	s_waitcnt vmcnt(24) lgkmcnt(2)
	v_mul_f64 v[68:69], v[58:59], v[86:87]
	v_add_f64 v[2:3], v[2:3], v[4:5]
	v_mul_f64 v[4:5], v[48:49], v[20:21]
	s_waitcnt vmcnt(22)
	v_fmac_f64_e32 v[68:69], v[60:61], v[88:89]
	v_fma_f64 v[4:5], v[46:47], v[22:23], -v[4:5]
	v_add_f64 v[70:71], v[66:67], v[68:69]
	ds_read_b128 v[66:69], v1 offset:1664
	v_add_f64 v[2:3], v[2:3], v[4:5]
	v_mul_f64 v[4:5], v[52:53], v[18:19]
	v_fma_f64 v[4:5], v[50:51], v[24:25], -v[4:5]
	v_add_f64 v[2:3], v[2:3], v[4:5]
	v_mul_f64 v[4:5], v[56:57], v[14:15]
	s_waitcnt vmcnt(21) lgkmcnt(1)
	v_mul_f64 v[72:73], v[62:63], v[82:83]
	v_fma_f64 v[4:5], v[54:55], v[16:17], -v[4:5]
	s_waitcnt vmcnt(20)
	v_fmac_f64_e32 v[72:73], v[64:65], v[84:85]
	v_add_f64 v[2:3], v[2:3], v[4:5]
	v_mul_f64 v[4:5], v[60:61], v[86:87]
	v_add_f64 v[74:75], v[70:71], v[72:73]
	ds_read_b128 v[70:73], v1 offset:1680
	s_waitcnt vmcnt(16) lgkmcnt(1)
	v_mul_f64 v[76:77], v[66:67], v[94:95]
	v_fma_f64 v[4:5], v[58:59], v[88:89], -v[4:5]
	s_waitcnt vmcnt(14)
	v_fmac_f64_e32 v[76:77], v[68:69], v[96:97]
	v_add_f64 v[2:3], v[2:3], v[4:5]
	v_mul_f64 v[4:5], v[64:65], v[82:83]
	v_add_f64 v[110:111], v[74:75], v[76:77]
	ds_read_b128 v[74:77], v1 offset:1696
	v_fma_f64 v[4:5], v[62:63], v[84:85], -v[4:5]
	v_add_f64 v[2:3], v[2:3], v[4:5]
	v_mul_f64 v[4:5], v[68:69], v[94:95]
	v_fma_f64 v[4:5], v[66:67], v[96:97], -v[4:5]
	v_add_f64 v[2:3], v[2:3], v[4:5]
	s_waitcnt vmcnt(13) lgkmcnt(1)
	v_mul_f64 v[4:5], v[72:73], v[90:91]
	v_mul_f64 v[112:113], v[70:71], v[90:91]
	s_waitcnt vmcnt(12)
	v_fma_f64 v[4:5], v[70:71], v[92:93], -v[4:5]
	v_fmac_f64_e32 v[112:113], v[72:73], v[92:93]
	v_add_f64 v[2:3], v[2:3], v[4:5]
	s_waitcnt vmcnt(8) lgkmcnt(0)
	v_mul_f64 v[4:5], v[76:77], v[102:103]
	v_add_f64 v[110:111], v[110:111], v[112:113]
	v_mul_f64 v[112:113], v[74:75], v[102:103]
	s_waitcnt vmcnt(6)
	v_fma_f64 v[4:5], v[74:75], v[104:105], -v[4:5]
	v_fmac_f64_e32 v[112:113], v[76:77], v[104:105]
	v_add_f64 v[2:3], v[2:3], v[4:5]
	s_waitcnt vmcnt(5)
	v_mul_f64 v[4:5], v[80:81], v[98:99]
	v_add_f64 v[110:111], v[110:111], v[112:113]
	v_mul_f64 v[112:113], v[78:79], v[98:99]
	s_waitcnt vmcnt(4)
	v_fma_f64 v[4:5], v[78:79], v[100:101], -v[4:5]
	v_fmac_f64_e32 v[112:113], v[80:81], v[100:101]
	v_add_f64 v[2:3], v[2:3], v[4:5]
	v_add_f64 v[110:111], v[110:111], v[112:113]
	s_waitcnt vmcnt(2)
	v_add_f64 v[2:3], v[106:107], -v[2:3]
	s_waitcnt vmcnt(0)
	v_add_f64 v[4:5], v[108:109], -v[110:111]
	buffer_store_dword v3, off, s[0:3], 0 offset:660
	buffer_store_dword v2, off, s[0:3], 0 offset:656
	;; [unrolled: 1-line block ×4, first 2 shown]
	s_and_saveexec_b64 s[4:5], vcc
	s_cbranch_execz .LBB53_259
; %bb.258:
	v_accvgpr_read_b32 v5, a122
	buffer_load_dword v2, v5, s[0:3], 0 offen
	buffer_load_dword v3, v5, s[0:3], 0 offen offset:4
	buffer_load_dword v4, v5, s[0:3], 0 offen offset:8
	s_nop 0
	buffer_load_dword v5, v5, s[0:3], 0 offen offset:12
	v_accvgpr_read_b32 v6, a161
	buffer_store_dword v1, off, s[0:3], 0 offset:640
	buffer_store_dword v1, off, s[0:3], 0 offset:644
	;; [unrolled: 1-line block ×4, first 2 shown]
	s_waitcnt vmcnt(4)
	ds_write_b128 v6, v[2:5]
.LBB53_259:
	s_or_b64 exec, exec, s[4:5]
	s_waitcnt lgkmcnt(0)
	; wave barrier
	s_waitcnt lgkmcnt(0)
	buffer_load_dword v2, off, s[0:3], 0 offset:656
	buffer_load_dword v3, off, s[0:3], 0 offset:660
	;; [unrolled: 1-line block ×60, first 2 shown]
	ds_read_b128 v[30:33], v1 offset:1504
	ds_read_b128 v[34:37], v1 offset:1520
	ds_read_b128 v[38:41], v1 offset:1536
	ds_read_b128 v[42:45], v1 offset:1552
	ds_read_b128 v[46:49], v1 offset:1568
	ds_read_b128 v[50:53], v1 offset:1584
	ds_read_b128 v[54:57], v1 offset:1600
	ds_read_b128 v[58:61], v1 offset:1616
	v_cmp_lt_u32_e32 vcc, 38, v0
	ds_read_b128 v[82:85], v1 offset:1712
	s_waitcnt vmcnt(56) lgkmcnt(8)
	v_mul_f64 v[62:63], v[30:31], v[6:7]
	v_fmac_f64_e32 v[62:63], v[32:33], v[2:3]
	v_add_f64 v[62:63], v[62:63], 0
	v_mul_f64 v[6:7], v[32:33], v[6:7]
	s_waitcnt vmcnt(52) lgkmcnt(7)
	v_mul_f64 v[64:65], v[34:35], v[8:9]
	v_fmac_f64_e32 v[64:65], v[36:37], v[4:5]
	s_waitcnt vmcnt(50) lgkmcnt(6)
	v_mul_f64 v[66:67], v[38:39], v[10:11]
	v_add_f64 v[62:63], v[62:63], v[64:65]
	s_waitcnt vmcnt(48) lgkmcnt(4)
	v_mul_f64 v[70:71], v[46:47], v[12:13]
	v_fma_f64 v[2:3], v[30:31], v[2:3], -v[6:7]
	s_waitcnt vmcnt(46)
	v_fmac_f64_e32 v[70:71], v[48:49], v[14:15]
	v_mul_f64 v[6:7], v[36:37], v[8:9]
	s_waitcnt vmcnt(44)
	v_mul_f64 v[68:69], v[42:43], v[16:17]
	v_add_f64 v[2:3], v[2:3], 0
	v_fma_f64 v[4:5], v[34:35], v[4:5], -v[6:7]
	v_add_f64 v[2:3], v[2:3], v[4:5]
	s_waitcnt vmcnt(40) lgkmcnt(3)
	v_mul_f64 v[72:73], v[50:51], v[22:23]
	v_mul_f64 v[4:5], v[40:41], v[10:11]
	s_waitcnt vmcnt(38)
	v_fmac_f64_e32 v[66:67], v[40:41], v[28:29]
	v_add_f64 v[62:63], v[62:63], v[66:67]
	s_waitcnt vmcnt(36)
	v_fmac_f64_e32 v[68:69], v[44:45], v[26:27]
	v_add_f64 v[62:63], v[62:63], v[68:69]
	s_waitcnt vmcnt(34)
	v_fmac_f64_e32 v[72:73], v[52:53], v[24:25]
	v_add_f64 v[62:63], v[62:63], v[70:71]
	s_waitcnt vmcnt(33) lgkmcnt(2)
	v_mul_f64 v[64:65], v[54:55], v[18:19]
	v_add_f64 v[62:63], v[62:63], v[72:73]
	s_waitcnt vmcnt(32)
	v_fmac_f64_e32 v[64:65], v[56:57], v[20:21]
	v_add_f64 v[66:67], v[62:63], v[64:65]
	ds_read_b128 v[62:65], v1 offset:1632
	v_fma_f64 v[4:5], v[38:39], v[28:29], -v[4:5]
	v_add_f64 v[2:3], v[2:3], v[4:5]
	v_mul_f64 v[4:5], v[44:45], v[16:17]
	v_fma_f64 v[4:5], v[42:43], v[26:27], -v[4:5]
	s_waitcnt vmcnt(28) lgkmcnt(2)
	v_mul_f64 v[68:69], v[58:59], v[90:91]
	v_add_f64 v[2:3], v[2:3], v[4:5]
	v_mul_f64 v[4:5], v[48:49], v[12:13]
	s_waitcnt vmcnt(26)
	v_fmac_f64_e32 v[68:69], v[60:61], v[92:93]
	v_fma_f64 v[4:5], v[46:47], v[14:15], -v[4:5]
	v_add_f64 v[70:71], v[66:67], v[68:69]
	ds_read_b128 v[66:69], v1 offset:1648
	s_waitcnt vmcnt(25) lgkmcnt(1)
	v_mul_f64 v[72:73], v[62:63], v[86:87]
	v_add_f64 v[2:3], v[2:3], v[4:5]
	v_mul_f64 v[4:5], v[52:53], v[22:23]
	s_waitcnt vmcnt(24)
	v_fmac_f64_e32 v[72:73], v[64:65], v[88:89]
	v_fma_f64 v[4:5], v[50:51], v[24:25], -v[4:5]
	v_add_f64 v[74:75], v[70:71], v[72:73]
	ds_read_b128 v[70:73], v1 offset:1664
	v_add_f64 v[2:3], v[2:3], v[4:5]
	v_mul_f64 v[4:5], v[56:57], v[18:19]
	v_fma_f64 v[4:5], v[54:55], v[20:21], -v[4:5]
	v_add_f64 v[2:3], v[2:3], v[4:5]
	v_mul_f64 v[4:5], v[60:61], v[90:91]
	s_waitcnt vmcnt(20) lgkmcnt(1)
	v_mul_f64 v[76:77], v[66:67], v[98:99]
	v_fma_f64 v[4:5], v[58:59], v[92:93], -v[4:5]
	s_waitcnt vmcnt(18)
	v_fmac_f64_e32 v[76:77], v[68:69], v[100:101]
	v_add_f64 v[2:3], v[2:3], v[4:5]
	v_mul_f64 v[4:5], v[64:65], v[86:87]
	v_add_f64 v[78:79], v[74:75], v[76:77]
	ds_read_b128 v[74:77], v1 offset:1680
	s_waitcnt vmcnt(17) lgkmcnt(1)
	v_mul_f64 v[80:81], v[70:71], v[94:95]
	v_fma_f64 v[4:5], v[62:63], v[88:89], -v[4:5]
	s_waitcnt vmcnt(16)
	v_fmac_f64_e32 v[80:81], v[72:73], v[96:97]
	v_add_f64 v[2:3], v[2:3], v[4:5]
	v_mul_f64 v[4:5], v[68:69], v[98:99]
	v_add_f64 v[118:119], v[78:79], v[80:81]
	ds_read_b128 v[78:81], v1 offset:1696
	v_fma_f64 v[4:5], v[66:67], v[100:101], -v[4:5]
	v_add_f64 v[2:3], v[2:3], v[4:5]
	v_mul_f64 v[4:5], v[72:73], v[94:95]
	v_fma_f64 v[4:5], v[70:71], v[96:97], -v[4:5]
	v_add_f64 v[2:3], v[2:3], v[4:5]
	s_waitcnt vmcnt(12) lgkmcnt(1)
	v_mul_f64 v[4:5], v[76:77], v[106:107]
	v_mul_f64 v[120:121], v[74:75], v[106:107]
	s_waitcnt vmcnt(10)
	v_fma_f64 v[4:5], v[74:75], v[108:109], -v[4:5]
	v_fmac_f64_e32 v[120:121], v[76:77], v[108:109]
	v_add_f64 v[2:3], v[2:3], v[4:5]
	s_waitcnt vmcnt(9) lgkmcnt(0)
	v_mul_f64 v[4:5], v[80:81], v[102:103]
	v_add_f64 v[118:119], v[118:119], v[120:121]
	v_mul_f64 v[120:121], v[78:79], v[102:103]
	s_waitcnt vmcnt(8)
	v_fma_f64 v[4:5], v[78:79], v[104:105], -v[4:5]
	v_fmac_f64_e32 v[120:121], v[80:81], v[104:105]
	v_add_f64 v[2:3], v[2:3], v[4:5]
	s_waitcnt vmcnt(6)
	v_mul_f64 v[4:5], v[84:85], v[110:111]
	v_add_f64 v[118:119], v[118:119], v[120:121]
	v_mul_f64 v[120:121], v[82:83], v[110:111]
	s_waitcnt vmcnt(4)
	v_fma_f64 v[4:5], v[82:83], v[112:113], -v[4:5]
	v_fmac_f64_e32 v[120:121], v[84:85], v[112:113]
	v_add_f64 v[2:3], v[2:3], v[4:5]
	v_add_f64 v[118:119], v[118:119], v[120:121]
	s_waitcnt vmcnt(2)
	v_add_f64 v[2:3], v[114:115], -v[2:3]
	s_waitcnt vmcnt(0)
	v_add_f64 v[4:5], v[116:117], -v[118:119]
	buffer_store_dword v3, off, s[0:3], 0 offset:644
	buffer_store_dword v2, off, s[0:3], 0 offset:640
	;; [unrolled: 1-line block ×4, first 2 shown]
	s_and_saveexec_b64 s[4:5], vcc
	s_cbranch_execz .LBB53_261
; %bb.260:
	v_accvgpr_read_b32 v1, a123
	buffer_load_dword v2, v1, s[0:3], 0 offen
	buffer_load_dword v3, v1, s[0:3], 0 offen offset:4
	buffer_load_dword v4, v1, s[0:3], 0 offen offset:8
	buffer_load_dword v5, v1, s[0:3], 0 offen offset:12
	v_mov_b32_e32 v1, 0
	v_accvgpr_read_b32 v6, a161
	buffer_store_dword v1, off, s[0:3], 0 offset:624
	buffer_store_dword v1, off, s[0:3], 0 offset:628
	buffer_store_dword v1, off, s[0:3], 0 offset:632
	buffer_store_dword v1, off, s[0:3], 0 offset:636
	s_waitcnt vmcnt(4)
	ds_write_b128 v6, v[2:5]
.LBB53_261:
	s_or_b64 exec, exec, s[4:5]
	s_waitcnt lgkmcnt(0)
	; wave barrier
	s_waitcnt lgkmcnt(0)
	buffer_load_dword v2, off, s[0:3], 0 offset:640
	buffer_load_dword v3, off, s[0:3], 0 offset:644
	;; [unrolled: 1-line block ×64, first 2 shown]
	v_mov_b32_e32 v1, 0
	ds_read_b128 v[38:41], v1 offset:1488
	ds_read_b128 v[42:45], v1 offset:1504
	;; [unrolled: 1-line block ×7, first 2 shown]
	v_cmp_lt_u32_e32 vcc, 37, v0
	s_waitcnt vmcnt(60) lgkmcnt(6)
	v_mul_f64 v[62:63], v[38:39], v[4:5]
	v_fmac_f64_e32 v[62:63], v[40:41], v[2:3]
	s_waitcnt vmcnt(58) lgkmcnt(5)
	v_mul_f64 v[64:65], v[42:43], v[6:7]
	v_add_f64 v[62:63], v[62:63], 0
	s_waitcnt vmcnt(56) lgkmcnt(4)
	v_mul_f64 v[66:67], v[46:47], v[8:9]
	v_mul_f64 v[4:5], v[40:41], v[4:5]
	s_waitcnt vmcnt(54) lgkmcnt(2)
	v_mul_f64 v[70:71], v[54:55], v[10:11]
	v_fma_f64 v[2:3], v[38:39], v[2:3], -v[4:5]
	v_mul_f64 v[4:5], v[44:45], v[6:7]
	s_waitcnt vmcnt(51)
	v_mul_f64 v[68:69], v[50:51], v[14:15]
	v_add_f64 v[2:3], v[2:3], 0
	s_waitcnt vmcnt(49)
	v_fmac_f64_e32 v[64:65], v[44:45], v[20:21]
	v_add_f64 v[62:63], v[62:63], v[64:65]
	s_waitcnt vmcnt(47)
	v_fmac_f64_e32 v[66:67], v[48:49], v[18:19]
	;; [unrolled: 3-line block ×4, first 2 shown]
	v_add_f64 v[66:67], v[62:63], v[70:71]
	ds_read_b128 v[62:65], v1 offset:1584
	s_waitcnt vmcnt(40) lgkmcnt(2)
	v_mul_f64 v[68:69], v[58:59], v[26:27]
	v_fma_f64 v[4:5], v[42:43], v[20:21], -v[4:5]
	s_waitcnt vmcnt(38)
	v_fmac_f64_e32 v[68:69], v[60:61], v[28:29]
	v_add_f64 v[70:71], v[66:67], v[68:69]
	ds_read_b128 v[66:69], v1 offset:1600
	s_waitcnt vmcnt(37) lgkmcnt(1)
	v_mul_f64 v[72:73], v[62:63], v[22:23]
	s_waitcnt vmcnt(36)
	v_fmac_f64_e32 v[72:73], v[64:65], v[24:25]
	v_add_f64 v[2:3], v[2:3], v[4:5]
	v_mul_f64 v[4:5], v[48:49], v[8:9]
	v_add_f64 v[74:75], v[70:71], v[72:73]
	ds_read_b128 v[70:73], v1 offset:1616
	s_waitcnt vmcnt(32) lgkmcnt(1)
	v_mul_f64 v[76:77], v[66:67], v[34:35]
	v_fma_f64 v[4:5], v[46:47], v[18:19], -v[4:5]
	s_waitcnt vmcnt(30)
	v_fmac_f64_e32 v[76:77], v[68:69], v[36:37]
	v_add_f64 v[2:3], v[2:3], v[4:5]
	v_mul_f64 v[4:5], v[52:53], v[14:15]
	v_add_f64 v[78:79], v[74:75], v[76:77]
	ds_read_b128 v[74:77], v1 offset:1632
	v_fma_f64 v[4:5], v[50:51], v[16:17], -v[4:5]
	v_add_f64 v[2:3], v[2:3], v[4:5]
	v_mul_f64 v[4:5], v[56:57], v[10:11]
	v_fma_f64 v[4:5], v[54:55], v[12:13], -v[4:5]
	s_waitcnt vmcnt(29) lgkmcnt(1)
	v_mul_f64 v[80:81], v[70:71], v[30:31]
	v_add_f64 v[2:3], v[2:3], v[4:5]
	v_mul_f64 v[4:5], v[60:61], v[26:27]
	s_waitcnt vmcnt(28)
	v_fmac_f64_e32 v[80:81], v[72:73], v[32:33]
	v_fma_f64 v[4:5], v[58:59], v[28:29], -v[4:5]
	v_add_f64 v[82:83], v[78:79], v[80:81]
	ds_read_b128 v[78:81], v1 offset:1648
	s_waitcnt vmcnt(24) lgkmcnt(1)
	v_mul_f64 v[84:85], v[74:75], v[102:103]
	v_add_f64 v[2:3], v[2:3], v[4:5]
	v_mul_f64 v[4:5], v[64:65], v[22:23]
	s_waitcnt vmcnt(22)
	v_fmac_f64_e32 v[84:85], v[76:77], v[104:105]
	v_fma_f64 v[4:5], v[62:63], v[24:25], -v[4:5]
	v_add_f64 v[86:87], v[82:83], v[84:85]
	ds_read_b128 v[82:85], v1 offset:1664
	v_add_f64 v[2:3], v[2:3], v[4:5]
	v_mul_f64 v[4:5], v[68:69], v[34:35]
	v_fma_f64 v[4:5], v[66:67], v[36:37], -v[4:5]
	v_add_f64 v[2:3], v[2:3], v[4:5]
	v_mul_f64 v[4:5], v[72:73], v[30:31]
	s_waitcnt vmcnt(21) lgkmcnt(1)
	v_mul_f64 v[88:89], v[78:79], v[98:99]
	v_fma_f64 v[4:5], v[70:71], v[32:33], -v[4:5]
	s_waitcnt vmcnt(20)
	v_fmac_f64_e32 v[88:89], v[80:81], v[100:101]
	v_add_f64 v[2:3], v[2:3], v[4:5]
	v_mul_f64 v[4:5], v[76:77], v[102:103]
	v_add_f64 v[90:91], v[86:87], v[88:89]
	ds_read_b128 v[86:89], v1 offset:1680
	s_waitcnt vmcnt(16) lgkmcnt(1)
	v_mul_f64 v[92:93], v[82:83], v[110:111]
	v_fma_f64 v[4:5], v[74:75], v[104:105], -v[4:5]
	s_waitcnt vmcnt(14)
	v_fmac_f64_e32 v[92:93], v[84:85], v[112:113]
	v_add_f64 v[2:3], v[2:3], v[4:5]
	v_mul_f64 v[4:5], v[80:81], v[98:99]
	v_add_f64 v[126:127], v[90:91], v[92:93]
	ds_read_b128 v[90:93], v1 offset:1696
	v_fma_f64 v[4:5], v[78:79], v[100:101], -v[4:5]
	v_add_f64 v[2:3], v[2:3], v[4:5]
	v_mul_f64 v[4:5], v[84:85], v[110:111]
	v_fma_f64 v[4:5], v[82:83], v[112:113], -v[4:5]
	v_add_f64 v[2:3], v[2:3], v[4:5]
	s_waitcnt vmcnt(13) lgkmcnt(1)
	v_mul_f64 v[4:5], v[88:89], v[106:107]
	v_mul_f64 v[128:129], v[86:87], v[106:107]
	s_waitcnt vmcnt(12)
	v_fma_f64 v[4:5], v[86:87], v[108:109], -v[4:5]
	v_fmac_f64_e32 v[128:129], v[88:89], v[108:109]
	v_add_f64 v[2:3], v[2:3], v[4:5]
	s_waitcnt vmcnt(8) lgkmcnt(0)
	v_mul_f64 v[4:5], v[92:93], v[118:119]
	v_add_f64 v[126:127], v[126:127], v[128:129]
	v_mul_f64 v[128:129], v[90:91], v[118:119]
	s_waitcnt vmcnt(6)
	v_fma_f64 v[4:5], v[90:91], v[120:121], -v[4:5]
	v_fmac_f64_e32 v[128:129], v[92:93], v[120:121]
	v_add_f64 v[2:3], v[2:3], v[4:5]
	s_waitcnt vmcnt(5)
	v_mul_f64 v[4:5], v[96:97], v[114:115]
	v_add_f64 v[126:127], v[126:127], v[128:129]
	v_mul_f64 v[128:129], v[94:95], v[114:115]
	s_waitcnt vmcnt(4)
	v_fma_f64 v[4:5], v[94:95], v[116:117], -v[4:5]
	v_fmac_f64_e32 v[128:129], v[96:97], v[116:117]
	v_add_f64 v[2:3], v[2:3], v[4:5]
	v_add_f64 v[126:127], v[126:127], v[128:129]
	s_waitcnt vmcnt(2)
	v_add_f64 v[2:3], v[122:123], -v[2:3]
	s_waitcnt vmcnt(0)
	v_add_f64 v[4:5], v[124:125], -v[126:127]
	buffer_store_dword v3, off, s[0:3], 0 offset:628
	buffer_store_dword v2, off, s[0:3], 0 offset:624
	;; [unrolled: 1-line block ×4, first 2 shown]
	s_and_saveexec_b64 s[4:5], vcc
	s_cbranch_execz .LBB53_263
; %bb.262:
	v_accvgpr_read_b32 v5, a124
	buffer_load_dword v2, v5, s[0:3], 0 offen
	buffer_load_dword v3, v5, s[0:3], 0 offen offset:4
	buffer_load_dword v4, v5, s[0:3], 0 offen offset:8
	s_nop 0
	buffer_load_dword v5, v5, s[0:3], 0 offen offset:12
	v_accvgpr_read_b32 v6, a161
	buffer_store_dword v1, off, s[0:3], 0 offset:608
	buffer_store_dword v1, off, s[0:3], 0 offset:612
	;; [unrolled: 1-line block ×4, first 2 shown]
	s_waitcnt vmcnt(4)
	ds_write_b128 v6, v[2:5]
.LBB53_263:
	s_or_b64 exec, exec, s[4:5]
	s_waitcnt lgkmcnt(0)
	; wave barrier
	s_waitcnt lgkmcnt(0)
	buffer_load_dword v2, off, s[0:3], 0 offset:624
	buffer_load_dword v3, off, s[0:3], 0 offset:628
	;; [unrolled: 1-line block ×64, first 2 shown]
	ds_read_b128 v[46:49], v1 offset:1472
	ds_read_b128 v[50:53], v1 offset:1488
	;; [unrolled: 1-line block ×4, first 2 shown]
	buffer_load_dword v130, off, s[0:3], 0 offset:608
	buffer_load_dword v131, off, s[0:3], 0 offset:612
	;; [unrolled: 1-line block ×4, first 2 shown]
	v_cmp_lt_u32_e32 vcc, 36, v0
	ds_read_b128 v[106:109], v1 offset:1712
	s_waitcnt vmcnt(62) lgkmcnt(4)
	v_mul_f64 v[62:63], v[46:47], v[4:5]
	v_fmac_f64_e32 v[62:63], v[48:49], v[2:3]
	v_add_f64 v[62:63], v[62:63], 0
	s_waitcnt lgkmcnt(2)
	v_mul_f64 v[66:67], v[54:55], v[6:7]
	v_mul_f64 v[4:5], v[48:49], v[4:5]
	v_fma_f64 v[2:3], v[46:47], v[2:3], -v[4:5]
	s_waitcnt vmcnt(58) lgkmcnt(1)
	v_mul_f64 v[68:69], v[58:59], v[12:13]
	v_add_f64 v[2:3], v[2:3], 0
	s_waitcnt vmcnt(56)
	v_mul_f64 v[64:65], v[50:51], v[18:19]
	v_mul_f64 v[4:5], v[52:53], v[18:19]
	s_waitcnt vmcnt(53)
	v_fmac_f64_e32 v[66:67], v[56:57], v[16:17]
	s_waitcnt vmcnt(52)
	v_fmac_f64_e32 v[64:65], v[52:53], v[20:21]
	v_add_f64 v[70:71], v[62:63], v[64:65]
	ds_read_b128 v[62:65], v1 offset:1536
	v_add_f64 v[66:67], v[70:71], v[66:67]
	s_waitcnt vmcnt(50)
	v_fmac_f64_e32 v[68:69], v[60:61], v[14:15]
	v_add_f64 v[70:71], v[66:67], v[68:69]
	ds_read_b128 v[66:69], v1 offset:1552
	s_waitcnt vmcnt(49) lgkmcnt(1)
	v_mul_f64 v[72:73], v[62:63], v[8:9]
	s_waitcnt vmcnt(48)
	v_fmac_f64_e32 v[72:73], v[64:65], v[10:11]
	v_add_f64 v[74:75], v[70:71], v[72:73]
	ds_read_b128 v[70:73], v1 offset:1568
	s_waitcnt vmcnt(44) lgkmcnt(1)
	v_mul_f64 v[76:77], v[66:67], v[26:27]
	;; [unrolled: 6-line block ×3, first 2 shown]
	s_waitcnt vmcnt(40)
	v_fmac_f64_e32 v[80:81], v[72:73], v[24:25]
	v_add_f64 v[82:83], v[78:79], v[80:81]
	ds_read_b128 v[78:81], v1 offset:1600
	v_fma_f64 v[4:5], v[50:51], v[20:21], -v[4:5]
	v_add_f64 v[2:3], v[2:3], v[4:5]
	v_mul_f64 v[4:5], v[56:57], v[6:7]
	s_waitcnt vmcnt(36) lgkmcnt(1)
	v_mul_f64 v[84:85], v[74:75], v[34:35]
	v_fma_f64 v[4:5], v[54:55], v[16:17], -v[4:5]
	s_waitcnt vmcnt(34)
	v_fmac_f64_e32 v[84:85], v[76:77], v[36:37]
	v_add_f64 v[2:3], v[2:3], v[4:5]
	v_mul_f64 v[4:5], v[60:61], v[12:13]
	v_add_f64 v[86:87], v[82:83], v[84:85]
	ds_read_b128 v[82:85], v1 offset:1616
	s_waitcnt vmcnt(33) lgkmcnt(1)
	v_mul_f64 v[88:89], v[78:79], v[30:31]
	v_fma_f64 v[4:5], v[58:59], v[14:15], -v[4:5]
	s_waitcnt vmcnt(32)
	v_fmac_f64_e32 v[88:89], v[80:81], v[32:33]
	v_add_f64 v[2:3], v[2:3], v[4:5]
	v_mul_f64 v[4:5], v[64:65], v[8:9]
	v_add_f64 v[90:91], v[86:87], v[88:89]
	ds_read_b128 v[86:89], v1 offset:1632
	v_fma_f64 v[4:5], v[62:63], v[10:11], -v[4:5]
	v_add_f64 v[2:3], v[2:3], v[4:5]
	v_mul_f64 v[4:5], v[68:69], v[26:27]
	v_fma_f64 v[4:5], v[66:67], v[28:29], -v[4:5]
	s_waitcnt vmcnt(28) lgkmcnt(1)
	v_mul_f64 v[92:93], v[82:83], v[42:43]
	v_add_f64 v[2:3], v[2:3], v[4:5]
	v_mul_f64 v[4:5], v[72:73], v[22:23]
	s_waitcnt vmcnt(26)
	v_fmac_f64_e32 v[92:93], v[84:85], v[44:45]
	v_fma_f64 v[4:5], v[70:71], v[24:25], -v[4:5]
	v_add_f64 v[94:95], v[90:91], v[92:93]
	ds_read_b128 v[90:93], v1 offset:1648
	s_waitcnt vmcnt(25) lgkmcnt(1)
	v_mul_f64 v[96:97], v[86:87], v[38:39]
	v_add_f64 v[2:3], v[2:3], v[4:5]
	v_mul_f64 v[4:5], v[76:77], v[34:35]
	s_waitcnt vmcnt(24)
	v_fmac_f64_e32 v[96:97], v[88:89], v[40:41]
	v_fma_f64 v[4:5], v[74:75], v[36:37], -v[4:5]
	v_add_f64 v[98:99], v[94:95], v[96:97]
	ds_read_b128 v[94:97], v1 offset:1664
	v_add_f64 v[2:3], v[2:3], v[4:5]
	v_mul_f64 v[4:5], v[80:81], v[30:31]
	v_fma_f64 v[4:5], v[78:79], v[32:33], -v[4:5]
	v_add_f64 v[2:3], v[2:3], v[4:5]
	v_mul_f64 v[4:5], v[84:85], v[42:43]
	s_waitcnt vmcnt(20) lgkmcnt(1)
	v_mul_f64 v[100:101], v[90:91], v[114:115]
	v_fma_f64 v[4:5], v[82:83], v[44:45], -v[4:5]
	s_waitcnt vmcnt(18)
	v_fmac_f64_e32 v[100:101], v[92:93], v[116:117]
	v_add_f64 v[2:3], v[2:3], v[4:5]
	v_mul_f64 v[4:5], v[88:89], v[38:39]
	v_add_f64 v[102:103], v[98:99], v[100:101]
	ds_read_b128 v[98:101], v1 offset:1680
	s_waitcnt vmcnt(17) lgkmcnt(1)
	v_mul_f64 v[104:105], v[94:95], v[110:111]
	v_fma_f64 v[4:5], v[86:87], v[40:41], -v[4:5]
	s_waitcnt vmcnt(16)
	v_fmac_f64_e32 v[104:105], v[96:97], v[112:113]
	v_add_f64 v[2:3], v[2:3], v[4:5]
	v_mul_f64 v[4:5], v[92:93], v[114:115]
	v_add_f64 v[134:135], v[102:103], v[104:105]
	ds_read_b128 v[102:105], v1 offset:1696
	v_fma_f64 v[4:5], v[90:91], v[116:117], -v[4:5]
	v_add_f64 v[2:3], v[2:3], v[4:5]
	v_mul_f64 v[4:5], v[96:97], v[110:111]
	v_fma_f64 v[4:5], v[94:95], v[112:113], -v[4:5]
	v_add_f64 v[2:3], v[2:3], v[4:5]
	s_waitcnt vmcnt(12) lgkmcnt(1)
	v_mul_f64 v[4:5], v[100:101], v[122:123]
	v_mul_f64 v[136:137], v[98:99], v[122:123]
	s_waitcnt vmcnt(10)
	v_fma_f64 v[4:5], v[98:99], v[124:125], -v[4:5]
	v_fmac_f64_e32 v[136:137], v[100:101], v[124:125]
	v_add_f64 v[2:3], v[2:3], v[4:5]
	s_waitcnt vmcnt(9) lgkmcnt(0)
	v_mul_f64 v[4:5], v[104:105], v[118:119]
	v_add_f64 v[134:135], v[134:135], v[136:137]
	v_mul_f64 v[136:137], v[102:103], v[118:119]
	s_waitcnt vmcnt(8)
	v_fma_f64 v[4:5], v[102:103], v[120:121], -v[4:5]
	v_fmac_f64_e32 v[136:137], v[104:105], v[120:121]
	v_add_f64 v[2:3], v[2:3], v[4:5]
	s_waitcnt vmcnt(6)
	v_mul_f64 v[4:5], v[108:109], v[126:127]
	v_add_f64 v[134:135], v[134:135], v[136:137]
	v_mul_f64 v[136:137], v[106:107], v[126:127]
	s_waitcnt vmcnt(4)
	v_fma_f64 v[4:5], v[106:107], v[128:129], -v[4:5]
	v_fmac_f64_e32 v[136:137], v[108:109], v[128:129]
	v_add_f64 v[2:3], v[2:3], v[4:5]
	v_add_f64 v[134:135], v[134:135], v[136:137]
	s_waitcnt vmcnt(2)
	v_add_f64 v[2:3], v[130:131], -v[2:3]
	s_waitcnt vmcnt(0)
	v_add_f64 v[4:5], v[132:133], -v[134:135]
	buffer_store_dword v3, off, s[0:3], 0 offset:612
	buffer_store_dword v2, off, s[0:3], 0 offset:608
	;; [unrolled: 1-line block ×4, first 2 shown]
	s_and_saveexec_b64 s[4:5], vcc
	s_cbranch_execz .LBB53_265
; %bb.264:
	v_accvgpr_read_b32 v1, a125
	buffer_load_dword v2, v1, s[0:3], 0 offen
	buffer_load_dword v3, v1, s[0:3], 0 offen offset:4
	buffer_load_dword v4, v1, s[0:3], 0 offen offset:8
	;; [unrolled: 1-line block ×3, first 2 shown]
	v_mov_b32_e32 v1, 0
	v_accvgpr_read_b32 v6, a161
	buffer_store_dword v1, off, s[0:3], 0 offset:592
	buffer_store_dword v1, off, s[0:3], 0 offset:596
	;; [unrolled: 1-line block ×4, first 2 shown]
	s_waitcnt vmcnt(4)
	ds_write_b128 v6, v[2:5]
.LBB53_265:
	s_or_b64 exec, exec, s[4:5]
	s_waitcnt lgkmcnt(0)
	; wave barrier
	s_waitcnt lgkmcnt(0)
	buffer_load_dword v2, off, s[0:3], 0 offset:608
	buffer_load_dword v3, off, s[0:3], 0 offset:612
	;; [unrolled: 1-line block ×68, first 2 shown]
	v_mov_b32_e32 v1, 0
	buffer_load_dword v138, off, s[0:3], 0 offset:592
	buffer_load_dword v139, off, s[0:3], 0 offset:596
	;; [unrolled: 1-line block ×3, first 2 shown]
	ds_read_b128 v[46:49], v1 offset:1456
	ds_read_b128 v[50:53], v1 offset:1472
	buffer_load_dword v141, off, s[0:3], 0 offset:604
	ds_read_b128 v[54:57], v1 offset:1488
	ds_read_b128 v[58:61], v1 offset:1504
	;; [unrolled: 1-line block ×3, first 2 shown]
	v_cmp_lt_u32_e32 vcc, 35, v0
	s_waitcnt vmcnt(62) lgkmcnt(4)
	v_mul_f64 v[62:63], v[46:47], v[6:7]
	v_fmac_f64_e32 v[62:63], v[48:49], v[2:3]
	v_add_f64 v[62:63], v[62:63], 0
	v_mul_f64 v[6:7], v[48:49], v[6:7]
	s_waitcnt lgkmcnt(3)
	v_mul_f64 v[64:65], v[50:51], v[10:11]
	v_fmac_f64_e32 v[64:65], v[52:53], v[4:5]
	v_add_f64 v[62:63], v[62:63], v[64:65]
	v_fma_f64 v[2:3], v[46:47], v[2:3], -v[6:7]
	s_waitcnt vmcnt(60) lgkmcnt(2)
	v_mul_f64 v[64:65], v[54:55], v[12:13]
	v_fmac_f64_e32 v[64:65], v[56:57], v[8:9]
	v_add_f64 v[66:67], v[62:63], v[64:65]
	ds_read_b128 v[62:65], v1 offset:1520
	s_waitcnt vmcnt(56) lgkmcnt(2)
	v_mul_f64 v[68:69], v[58:59], v[18:19]
	v_mul_f64 v[6:7], v[52:53], v[10:11]
	s_waitcnt vmcnt(54)
	v_fmac_f64_e32 v[68:69], v[60:61], v[20:21]
	v_add_f64 v[70:71], v[66:67], v[68:69]
	ds_read_b128 v[66:69], v1 offset:1536
	s_waitcnt vmcnt(53) lgkmcnt(1)
	v_mul_f64 v[72:73], v[62:63], v[14:15]
	s_waitcnt vmcnt(52)
	v_fmac_f64_e32 v[72:73], v[64:65], v[16:17]
	v_add_f64 v[74:75], v[70:71], v[72:73]
	ds_read_b128 v[70:73], v1 offset:1552
	s_waitcnt vmcnt(48) lgkmcnt(1)
	;; [unrolled: 6-line block ×4, first 2 shown]
	v_mul_f64 v[84:85], v[74:75], v[34:35]
	s_waitcnt vmcnt(38)
	v_fmac_f64_e32 v[84:85], v[76:77], v[36:37]
	v_add_f64 v[2:3], v[2:3], 0
	v_fma_f64 v[4:5], v[50:51], v[4:5], -v[6:7]
	v_add_f64 v[86:87], v[82:83], v[84:85]
	ds_read_b128 v[82:85], v1 offset:1600
	v_add_f64 v[2:3], v[2:3], v[4:5]
	v_mul_f64 v[4:5], v[56:57], v[12:13]
	v_fma_f64 v[4:5], v[54:55], v[8:9], -v[4:5]
	v_add_f64 v[2:3], v[2:3], v[4:5]
	v_mul_f64 v[4:5], v[60:61], v[18:19]
	s_waitcnt vmcnt(37) lgkmcnt(1)
	v_mul_f64 v[88:89], v[78:79], v[30:31]
	v_fma_f64 v[4:5], v[58:59], v[20:21], -v[4:5]
	s_waitcnt vmcnt(36)
	v_fmac_f64_e32 v[88:89], v[80:81], v[32:33]
	v_add_f64 v[2:3], v[2:3], v[4:5]
	v_mul_f64 v[4:5], v[64:65], v[14:15]
	v_add_f64 v[90:91], v[86:87], v[88:89]
	ds_read_b128 v[86:89], v1 offset:1616
	s_waitcnt vmcnt(32) lgkmcnt(1)
	v_mul_f64 v[92:93], v[82:83], v[42:43]
	v_fma_f64 v[4:5], v[62:63], v[16:17], -v[4:5]
	s_waitcnt vmcnt(30)
	v_fmac_f64_e32 v[92:93], v[84:85], v[44:45]
	v_add_f64 v[2:3], v[2:3], v[4:5]
	v_mul_f64 v[4:5], v[68:69], v[26:27]
	v_add_f64 v[94:95], v[90:91], v[92:93]
	ds_read_b128 v[90:93], v1 offset:1632
	v_fma_f64 v[4:5], v[66:67], v[28:29], -v[4:5]
	v_add_f64 v[2:3], v[2:3], v[4:5]
	v_mul_f64 v[4:5], v[72:73], v[22:23]
	v_fma_f64 v[4:5], v[70:71], v[24:25], -v[4:5]
	s_waitcnt vmcnt(29) lgkmcnt(1)
	v_mul_f64 v[96:97], v[86:87], v[38:39]
	v_add_f64 v[2:3], v[2:3], v[4:5]
	v_mul_f64 v[4:5], v[76:77], v[34:35]
	s_waitcnt vmcnt(28)
	v_fmac_f64_e32 v[96:97], v[88:89], v[40:41]
	v_fma_f64 v[4:5], v[74:75], v[36:37], -v[4:5]
	v_add_f64 v[98:99], v[94:95], v[96:97]
	ds_read_b128 v[94:97], v1 offset:1648
	s_waitcnt vmcnt(24) lgkmcnt(1)
	v_mul_f64 v[100:101], v[90:91], v[118:119]
	v_add_f64 v[2:3], v[2:3], v[4:5]
	v_mul_f64 v[4:5], v[80:81], v[30:31]
	s_waitcnt vmcnt(22)
	v_fmac_f64_e32 v[100:101], v[92:93], v[120:121]
	v_fma_f64 v[4:5], v[78:79], v[32:33], -v[4:5]
	v_add_f64 v[102:103], v[98:99], v[100:101]
	ds_read_b128 v[98:101], v1 offset:1664
	v_add_f64 v[2:3], v[2:3], v[4:5]
	v_mul_f64 v[4:5], v[84:85], v[42:43]
	v_fma_f64 v[4:5], v[82:83], v[44:45], -v[4:5]
	v_add_f64 v[2:3], v[2:3], v[4:5]
	v_mul_f64 v[4:5], v[88:89], v[38:39]
	s_waitcnt vmcnt(21) lgkmcnt(1)
	v_mul_f64 v[104:105], v[94:95], v[114:115]
	v_fma_f64 v[4:5], v[86:87], v[40:41], -v[4:5]
	s_waitcnt vmcnt(20)
	v_fmac_f64_e32 v[104:105], v[96:97], v[116:117]
	v_add_f64 v[2:3], v[2:3], v[4:5]
	v_mul_f64 v[4:5], v[92:93], v[118:119]
	v_add_f64 v[106:107], v[102:103], v[104:105]
	ds_read_b128 v[102:105], v1 offset:1680
	s_waitcnt vmcnt(16) lgkmcnt(1)
	v_mul_f64 v[108:109], v[98:99], v[126:127]
	v_fma_f64 v[4:5], v[90:91], v[120:121], -v[4:5]
	s_waitcnt vmcnt(14)
	v_fmac_f64_e32 v[108:109], v[100:101], v[128:129]
	v_add_f64 v[2:3], v[2:3], v[4:5]
	v_mul_f64 v[4:5], v[96:97], v[114:115]
	v_add_f64 v[142:143], v[106:107], v[108:109]
	ds_read_b128 v[106:109], v1 offset:1696
	v_fma_f64 v[4:5], v[94:95], v[116:117], -v[4:5]
	v_add_f64 v[2:3], v[2:3], v[4:5]
	v_mul_f64 v[4:5], v[100:101], v[126:127]
	v_fma_f64 v[4:5], v[98:99], v[128:129], -v[4:5]
	v_add_f64 v[2:3], v[2:3], v[4:5]
	s_waitcnt vmcnt(13) lgkmcnt(1)
	v_mul_f64 v[4:5], v[104:105], v[122:123]
	v_mul_f64 v[144:145], v[102:103], v[122:123]
	s_waitcnt vmcnt(12)
	v_fma_f64 v[4:5], v[102:103], v[124:125], -v[4:5]
	v_fmac_f64_e32 v[144:145], v[104:105], v[124:125]
	v_add_f64 v[2:3], v[2:3], v[4:5]
	s_waitcnt vmcnt(8) lgkmcnt(0)
	v_mul_f64 v[4:5], v[108:109], v[134:135]
	v_add_f64 v[142:143], v[142:143], v[144:145]
	v_mul_f64 v[144:145], v[106:107], v[134:135]
	s_waitcnt vmcnt(6)
	v_fma_f64 v[4:5], v[106:107], v[136:137], -v[4:5]
	v_fmac_f64_e32 v[144:145], v[108:109], v[136:137]
	v_add_f64 v[2:3], v[2:3], v[4:5]
	s_waitcnt vmcnt(5)
	v_mul_f64 v[4:5], v[112:113], v[130:131]
	v_add_f64 v[142:143], v[142:143], v[144:145]
	v_mul_f64 v[144:145], v[110:111], v[130:131]
	s_waitcnt vmcnt(4)
	v_fma_f64 v[4:5], v[110:111], v[132:133], -v[4:5]
	v_fmac_f64_e32 v[144:145], v[112:113], v[132:133]
	v_add_f64 v[2:3], v[2:3], v[4:5]
	v_add_f64 v[142:143], v[142:143], v[144:145]
	s_waitcnt vmcnt(2)
	v_add_f64 v[2:3], v[138:139], -v[2:3]
	s_waitcnt vmcnt(0)
	v_add_f64 v[4:5], v[140:141], -v[142:143]
	buffer_store_dword v3, off, s[0:3], 0 offset:596
	buffer_store_dword v2, off, s[0:3], 0 offset:592
	;; [unrolled: 1-line block ×4, first 2 shown]
	s_and_saveexec_b64 s[4:5], vcc
	s_cbranch_execz .LBB53_267
; %bb.266:
	v_accvgpr_read_b32 v5, a126
	buffer_load_dword v2, v5, s[0:3], 0 offen
	buffer_load_dword v3, v5, s[0:3], 0 offen offset:4
	buffer_load_dword v4, v5, s[0:3], 0 offen offset:8
	s_nop 0
	buffer_load_dword v5, v5, s[0:3], 0 offen offset:12
	v_accvgpr_read_b32 v6, a161
	buffer_store_dword v1, off, s[0:3], 0 offset:576
	buffer_store_dword v1, off, s[0:3], 0 offset:580
	;; [unrolled: 1-line block ×4, first 2 shown]
	s_waitcnt vmcnt(4)
	ds_write_b128 v6, v[2:5]
.LBB53_267:
	s_or_b64 exec, exec, s[4:5]
	s_waitcnt lgkmcnt(0)
	; wave barrier
	s_waitcnt lgkmcnt(0)
	buffer_load_dword v2, off, s[0:3], 0 offset:592
	buffer_load_dword v3, off, s[0:3], 0 offset:596
	;; [unrolled: 1-line block ×72, first 2 shown]
	ds_read_b128 v[52:55], v1 offset:1440
	buffer_load_dword v146, off, s[0:3], 0 offset:576
	buffer_load_dword v147, off, s[0:3], 0 offset:580
	;; [unrolled: 1-line block ×4, first 2 shown]
	ds_read_b128 v[56:59], v1 offset:1456
	ds_read_b128 v[60:63], v1 offset:1472
	;; [unrolled: 1-line block ×3, first 2 shown]
	v_cmp_lt_u32_e32 vcc, 34, v0
	ds_read_b128 v[120:123], v1 offset:1712
	s_waitcnt vmcnt(62) lgkmcnt(4)
	v_mul_f64 v[68:69], v[52:53], v[8:9]
	v_fmac_f64_e32 v[68:69], v[54:55], v[2:3]
	v_add_f64 v[68:69], v[68:69], 0
	v_mul_f64 v[8:9], v[54:55], v[8:9]
	s_waitcnt lgkmcnt(3)
	v_mul_f64 v[70:71], v[56:57], v[10:11]
	v_fmac_f64_e32 v[70:71], v[58:59], v[4:5]
	v_add_f64 v[68:69], v[68:69], v[70:71]
	v_fma_f64 v[2:3], v[52:53], v[2:3], -v[8:9]
	s_waitcnt lgkmcnt(2)
	v_mul_f64 v[70:71], v[60:61], v[12:13]
	v_fmac_f64_e32 v[70:71], v[62:63], v[6:7]
	v_add_f64 v[72:73], v[68:69], v[70:71]
	ds_read_b128 v[68:71], v1 offset:1504
	s_waitcnt vmcnt(60) lgkmcnt(2)
	v_mul_f64 v[74:75], v[64:65], v[18:19]
	v_mul_f64 v[8:9], v[58:59], v[10:11]
	s_waitcnt vmcnt(58)
	v_fmac_f64_e32 v[74:75], v[66:67], v[20:21]
	v_add_f64 v[76:77], v[72:73], v[74:75]
	ds_read_b128 v[72:75], v1 offset:1520
	s_waitcnt vmcnt(57) lgkmcnt(1)
	v_mul_f64 v[78:79], v[68:69], v[14:15]
	s_waitcnt vmcnt(56)
	v_fmac_f64_e32 v[78:79], v[70:71], v[16:17]
	v_add_f64 v[80:81], v[76:77], v[78:79]
	ds_read_b128 v[76:79], v1 offset:1536
	s_waitcnt vmcnt(52) lgkmcnt(1)
	;; [unrolled: 6-line block ×4, first 2 shown]
	v_mul_f64 v[90:91], v[80:81], v[34:35]
	s_waitcnt vmcnt(42)
	v_fmac_f64_e32 v[90:91], v[82:83], v[36:37]
	v_add_f64 v[2:3], v[2:3], 0
	v_fma_f64 v[4:5], v[56:57], v[4:5], -v[8:9]
	v_add_f64 v[92:93], v[88:89], v[90:91]
	ds_read_b128 v[88:91], v1 offset:1584
	s_waitcnt vmcnt(41) lgkmcnt(1)
	v_mul_f64 v[94:95], v[84:85], v[30:31]
	v_add_f64 v[2:3], v[2:3], v[4:5]
	v_mul_f64 v[4:5], v[62:63], v[12:13]
	s_waitcnt vmcnt(40)
	v_fmac_f64_e32 v[94:95], v[86:87], v[32:33]
	v_fma_f64 v[4:5], v[60:61], v[6:7], -v[4:5]
	v_add_f64 v[96:97], v[92:93], v[94:95]
	ds_read_b128 v[92:95], v1 offset:1600
	v_add_f64 v[2:3], v[2:3], v[4:5]
	v_mul_f64 v[4:5], v[66:67], v[18:19]
	v_fma_f64 v[4:5], v[64:65], v[20:21], -v[4:5]
	v_add_f64 v[2:3], v[2:3], v[4:5]
	v_mul_f64 v[4:5], v[70:71], v[14:15]
	s_waitcnt vmcnt(36) lgkmcnt(1)
	v_mul_f64 v[98:99], v[88:89], v[42:43]
	v_fma_f64 v[4:5], v[68:69], v[16:17], -v[4:5]
	s_waitcnt vmcnt(34)
	v_fmac_f64_e32 v[98:99], v[90:91], v[44:45]
	v_add_f64 v[2:3], v[2:3], v[4:5]
	v_mul_f64 v[4:5], v[74:75], v[26:27]
	v_add_f64 v[100:101], v[96:97], v[98:99]
	ds_read_b128 v[96:99], v1 offset:1616
	s_waitcnt vmcnt(33) lgkmcnt(1)
	v_mul_f64 v[102:103], v[92:93], v[38:39]
	v_fma_f64 v[4:5], v[72:73], v[28:29], -v[4:5]
	s_waitcnt vmcnt(32)
	v_fmac_f64_e32 v[102:103], v[94:95], v[40:41]
	v_add_f64 v[2:3], v[2:3], v[4:5]
	v_mul_f64 v[4:5], v[78:79], v[22:23]
	v_add_f64 v[104:105], v[100:101], v[102:103]
	ds_read_b128 v[100:103], v1 offset:1632
	v_fma_f64 v[4:5], v[76:77], v[24:25], -v[4:5]
	v_add_f64 v[2:3], v[2:3], v[4:5]
	v_mul_f64 v[4:5], v[82:83], v[34:35]
	v_fma_f64 v[4:5], v[80:81], v[36:37], -v[4:5]
	s_waitcnt vmcnt(28) lgkmcnt(1)
	v_mul_f64 v[106:107], v[96:97], v[50:51]
	v_add_f64 v[2:3], v[2:3], v[4:5]
	v_mul_f64 v[4:5], v[86:87], v[30:31]
	s_waitcnt vmcnt(26)
	v_fmac_f64_e32 v[106:107], v[98:99], v[124:125]
	v_fma_f64 v[4:5], v[84:85], v[32:33], -v[4:5]
	v_add_f64 v[108:109], v[104:105], v[106:107]
	ds_read_b128 v[104:107], v1 offset:1648
	s_waitcnt vmcnt(25) lgkmcnt(1)
	v_mul_f64 v[110:111], v[100:101], v[46:47]
	v_add_f64 v[2:3], v[2:3], v[4:5]
	v_mul_f64 v[4:5], v[90:91], v[42:43]
	s_waitcnt vmcnt(24)
	v_fmac_f64_e32 v[110:111], v[102:103], v[48:49]
	v_fma_f64 v[4:5], v[88:89], v[44:45], -v[4:5]
	v_add_f64 v[112:113], v[108:109], v[110:111]
	ds_read_b128 v[108:111], v1 offset:1664
	v_add_f64 v[2:3], v[2:3], v[4:5]
	v_mul_f64 v[4:5], v[94:95], v[38:39]
	v_fma_f64 v[4:5], v[92:93], v[40:41], -v[4:5]
	v_add_f64 v[2:3], v[2:3], v[4:5]
	v_mul_f64 v[4:5], v[98:99], v[50:51]
	s_waitcnt vmcnt(20) lgkmcnt(1)
	v_mul_f64 v[114:115], v[104:105], v[130:131]
	v_fma_f64 v[4:5], v[96:97], v[124:125], -v[4:5]
	s_waitcnt vmcnt(18)
	v_fmac_f64_e32 v[114:115], v[106:107], v[132:133]
	v_add_f64 v[2:3], v[2:3], v[4:5]
	v_mul_f64 v[4:5], v[102:103], v[46:47]
	v_add_f64 v[116:117], v[112:113], v[114:115]
	ds_read_b128 v[112:115], v1 offset:1680
	s_waitcnt vmcnt(17) lgkmcnt(1)
	v_mul_f64 v[118:119], v[108:109], v[126:127]
	v_fma_f64 v[4:5], v[100:101], v[48:49], -v[4:5]
	s_waitcnt vmcnt(16)
	v_fmac_f64_e32 v[118:119], v[110:111], v[128:129]
	v_add_f64 v[2:3], v[2:3], v[4:5]
	v_mul_f64 v[4:5], v[106:107], v[130:131]
	v_add_f64 v[150:151], v[116:117], v[118:119]
	ds_read_b128 v[116:119], v1 offset:1696
	v_fma_f64 v[4:5], v[104:105], v[132:133], -v[4:5]
	v_add_f64 v[2:3], v[2:3], v[4:5]
	v_mul_f64 v[4:5], v[110:111], v[126:127]
	v_fma_f64 v[4:5], v[108:109], v[128:129], -v[4:5]
	v_add_f64 v[2:3], v[2:3], v[4:5]
	s_waitcnt vmcnt(12) lgkmcnt(1)
	v_mul_f64 v[4:5], v[114:115], v[138:139]
	v_mul_f64 v[152:153], v[112:113], v[138:139]
	s_waitcnt vmcnt(10)
	v_fma_f64 v[4:5], v[112:113], v[140:141], -v[4:5]
	v_fmac_f64_e32 v[152:153], v[114:115], v[140:141]
	v_add_f64 v[2:3], v[2:3], v[4:5]
	s_waitcnt vmcnt(9) lgkmcnt(0)
	v_mul_f64 v[4:5], v[118:119], v[134:135]
	v_add_f64 v[150:151], v[150:151], v[152:153]
	v_mul_f64 v[152:153], v[116:117], v[134:135]
	s_waitcnt vmcnt(8)
	v_fma_f64 v[4:5], v[116:117], v[136:137], -v[4:5]
	v_fmac_f64_e32 v[152:153], v[118:119], v[136:137]
	v_add_f64 v[2:3], v[2:3], v[4:5]
	s_waitcnt vmcnt(6)
	v_mul_f64 v[4:5], v[122:123], v[142:143]
	v_add_f64 v[150:151], v[150:151], v[152:153]
	v_mul_f64 v[152:153], v[120:121], v[142:143]
	s_waitcnt vmcnt(4)
	v_fma_f64 v[4:5], v[120:121], v[144:145], -v[4:5]
	v_fmac_f64_e32 v[152:153], v[122:123], v[144:145]
	v_add_f64 v[2:3], v[2:3], v[4:5]
	v_add_f64 v[150:151], v[150:151], v[152:153]
	s_waitcnt vmcnt(2)
	v_add_f64 v[2:3], v[146:147], -v[2:3]
	s_waitcnt vmcnt(0)
	v_add_f64 v[4:5], v[148:149], -v[150:151]
	buffer_store_dword v3, off, s[0:3], 0 offset:580
	buffer_store_dword v2, off, s[0:3], 0 offset:576
	;; [unrolled: 1-line block ×4, first 2 shown]
	s_and_saveexec_b64 s[4:5], vcc
	s_cbranch_execz .LBB53_269
; %bb.268:
	v_accvgpr_read_b32 v1, a127
	buffer_load_dword v2, v1, s[0:3], 0 offen
	buffer_load_dword v3, v1, s[0:3], 0 offen offset:4
	buffer_load_dword v4, v1, s[0:3], 0 offen offset:8
	buffer_load_dword v5, v1, s[0:3], 0 offen offset:12
	v_mov_b32_e32 v1, 0
	v_accvgpr_read_b32 v6, a161
	buffer_store_dword v1, off, s[0:3], 0 offset:560
	buffer_store_dword v1, off, s[0:3], 0 offset:564
	buffer_store_dword v1, off, s[0:3], 0 offset:568
	buffer_store_dword v1, off, s[0:3], 0 offset:572
	s_waitcnt vmcnt(4)
	ds_write_b128 v6, v[2:5]
.LBB53_269:
	s_or_b64 exec, exec, s[4:5]
	s_waitcnt lgkmcnt(0)
	; wave barrier
	s_waitcnt lgkmcnt(0)
	buffer_load_dword v2, off, s[0:3], 0 offset:576
	buffer_load_dword v3, off, s[0:3], 0 offset:580
	;; [unrolled: 1-line block ×76, first 2 shown]
	v_mov_b32_e32 v1, 0
	ds_read_b128 v[54:57], v1 offset:1424
	buffer_load_dword v154, off, s[0:3], 0 offset:560
	buffer_load_dword v155, off, s[0:3], 0 offset:564
	;; [unrolled: 1-line block ×4, first 2 shown]
	ds_read_b128 v[58:61], v1 offset:1440
	ds_read_b128 v[62:65], v1 offset:1456
	;; [unrolled: 1-line block ×4, first 2 shown]
	v_cmp_lt_u32_e32 vcc, 33, v0
	s_waitcnt vmcnt(62) lgkmcnt(4)
	v_mul_f64 v[70:71], v[54:55], v[8:9]
	v_fmac_f64_e32 v[70:71], v[56:57], v[2:3]
	v_add_f64 v[70:71], v[70:71], 0
	v_mul_f64 v[8:9], v[56:57], v[8:9]
	s_waitcnt lgkmcnt(3)
	v_mul_f64 v[72:73], v[58:59], v[10:11]
	v_fmac_f64_e32 v[72:73], v[60:61], v[4:5]
	v_add_f64 v[70:71], v[70:71], v[72:73]
	v_fma_f64 v[2:3], v[54:55], v[2:3], -v[8:9]
	s_waitcnt lgkmcnt(2)
	v_mul_f64 v[72:73], v[62:63], v[12:13]
	v_fmac_f64_e32 v[72:73], v[64:65], v[6:7]
	v_add_f64 v[74:75], v[70:71], v[72:73]
	ds_read_b128 v[70:73], v1 offset:1488
	s_waitcnt lgkmcnt(2)
	v_mul_f64 v[76:77], v[66:67], v[18:19]
	v_mul_f64 v[8:9], v[60:61], v[10:11]
	v_fmac_f64_e32 v[76:77], v[68:69], v[20:21]
	v_add_f64 v[78:79], v[74:75], v[76:77]
	ds_read_b128 v[74:77], v1 offset:1504
	s_waitcnt vmcnt(61) lgkmcnt(1)
	v_mul_f64 v[80:81], v[70:71], v[14:15]
	s_waitcnt vmcnt(60)
	v_fmac_f64_e32 v[80:81], v[72:73], v[16:17]
	v_add_f64 v[82:83], v[78:79], v[80:81]
	ds_read_b128 v[78:81], v1 offset:1520
	s_waitcnt vmcnt(56) lgkmcnt(1)
	v_mul_f64 v[84:85], v[74:75], v[26:27]
	s_waitcnt vmcnt(54)
	v_fmac_f64_e32 v[84:85], v[76:77], v[28:29]
	v_add_f64 v[86:87], v[82:83], v[84:85]
	ds_read_b128 v[82:85], v1 offset:1536
	s_waitcnt vmcnt(53) lgkmcnt(1)
	v_mul_f64 v[88:89], v[78:79], v[22:23]
	s_waitcnt vmcnt(52)
	v_fmac_f64_e32 v[88:89], v[80:81], v[24:25]
	v_add_f64 v[90:91], v[86:87], v[88:89]
	ds_read_b128 v[86:89], v1 offset:1552
	s_waitcnt vmcnt(48) lgkmcnt(1)
	v_mul_f64 v[92:93], v[82:83], v[34:35]
	s_waitcnt vmcnt(46)
	v_fmac_f64_e32 v[92:93], v[84:85], v[36:37]
	v_add_f64 v[94:95], v[90:91], v[92:93]
	ds_read_b128 v[90:93], v1 offset:1568
	v_add_f64 v[2:3], v[2:3], 0
	v_fma_f64 v[4:5], v[58:59], v[4:5], -v[8:9]
	s_waitcnt vmcnt(45) lgkmcnt(1)
	v_mul_f64 v[96:97], v[86:87], v[30:31]
	v_add_f64 v[2:3], v[2:3], v[4:5]
	v_mul_f64 v[4:5], v[64:65], v[12:13]
	s_waitcnt vmcnt(44)
	v_fmac_f64_e32 v[96:97], v[88:89], v[32:33]
	v_fma_f64 v[4:5], v[62:63], v[6:7], -v[4:5]
	v_add_f64 v[98:99], v[94:95], v[96:97]
	ds_read_b128 v[94:97], v1 offset:1584
	s_waitcnt vmcnt(40) lgkmcnt(1)
	v_mul_f64 v[100:101], v[90:91], v[42:43]
	v_add_f64 v[2:3], v[2:3], v[4:5]
	v_mul_f64 v[4:5], v[68:69], v[18:19]
	s_waitcnt vmcnt(38)
	v_fmac_f64_e32 v[100:101], v[92:93], v[44:45]
	v_fma_f64 v[4:5], v[66:67], v[20:21], -v[4:5]
	v_add_f64 v[102:103], v[98:99], v[100:101]
	ds_read_b128 v[98:101], v1 offset:1600
	v_add_f64 v[2:3], v[2:3], v[4:5]
	v_mul_f64 v[4:5], v[72:73], v[14:15]
	v_fma_f64 v[4:5], v[70:71], v[16:17], -v[4:5]
	v_add_f64 v[2:3], v[2:3], v[4:5]
	v_mul_f64 v[4:5], v[76:77], v[26:27]
	s_waitcnt vmcnt(37) lgkmcnt(1)
	v_mul_f64 v[104:105], v[94:95], v[38:39]
	v_fma_f64 v[4:5], v[74:75], v[28:29], -v[4:5]
	s_waitcnt vmcnt(36)
	v_fmac_f64_e32 v[104:105], v[96:97], v[40:41]
	v_add_f64 v[2:3], v[2:3], v[4:5]
	v_mul_f64 v[4:5], v[80:81], v[22:23]
	v_add_f64 v[106:107], v[102:103], v[104:105]
	ds_read_b128 v[102:105], v1 offset:1616
	s_waitcnt vmcnt(32) lgkmcnt(1)
	v_mul_f64 v[108:109], v[98:99], v[50:51]
	v_fma_f64 v[4:5], v[78:79], v[24:25], -v[4:5]
	s_waitcnt vmcnt(30)
	v_fmac_f64_e32 v[108:109], v[100:101], v[52:53]
	v_add_f64 v[2:3], v[2:3], v[4:5]
	v_mul_f64 v[4:5], v[84:85], v[34:35]
	v_add_f64 v[110:111], v[106:107], v[108:109]
	ds_read_b128 v[106:109], v1 offset:1632
	v_fma_f64 v[4:5], v[82:83], v[36:37], -v[4:5]
	v_add_f64 v[2:3], v[2:3], v[4:5]
	v_mul_f64 v[4:5], v[88:89], v[30:31]
	v_fma_f64 v[4:5], v[86:87], v[32:33], -v[4:5]
	s_waitcnt vmcnt(29) lgkmcnt(1)
	v_mul_f64 v[112:113], v[102:103], v[46:47]
	v_add_f64 v[2:3], v[2:3], v[4:5]
	v_mul_f64 v[4:5], v[92:93], v[42:43]
	s_waitcnt vmcnt(28)
	v_fmac_f64_e32 v[112:113], v[104:105], v[48:49]
	v_fma_f64 v[4:5], v[90:91], v[44:45], -v[4:5]
	v_add_f64 v[114:115], v[110:111], v[112:113]
	ds_read_b128 v[110:113], v1 offset:1648
	s_waitcnt vmcnt(24) lgkmcnt(1)
	v_mul_f64 v[116:117], v[106:107], v[134:135]
	v_add_f64 v[2:3], v[2:3], v[4:5]
	v_mul_f64 v[4:5], v[96:97], v[38:39]
	s_waitcnt vmcnt(22)
	v_fmac_f64_e32 v[116:117], v[108:109], v[136:137]
	v_fma_f64 v[4:5], v[94:95], v[40:41], -v[4:5]
	v_add_f64 v[118:119], v[114:115], v[116:117]
	ds_read_b128 v[114:117], v1 offset:1664
	v_add_f64 v[2:3], v[2:3], v[4:5]
	v_mul_f64 v[4:5], v[100:101], v[50:51]
	v_fma_f64 v[4:5], v[98:99], v[52:53], -v[4:5]
	v_add_f64 v[2:3], v[2:3], v[4:5]
	v_mul_f64 v[4:5], v[104:105], v[46:47]
	s_waitcnt vmcnt(21) lgkmcnt(1)
	v_mul_f64 v[120:121], v[110:111], v[130:131]
	v_fma_f64 v[4:5], v[102:103], v[48:49], -v[4:5]
	s_waitcnt vmcnt(20)
	v_fmac_f64_e32 v[120:121], v[112:113], v[132:133]
	v_add_f64 v[2:3], v[2:3], v[4:5]
	v_mul_f64 v[4:5], v[108:109], v[134:135]
	v_add_f64 v[122:123], v[118:119], v[120:121]
	ds_read_b128 v[118:121], v1 offset:1680
	s_waitcnt vmcnt(16) lgkmcnt(1)
	v_mul_f64 v[124:125], v[114:115], v[142:143]
	v_fma_f64 v[4:5], v[106:107], v[136:137], -v[4:5]
	s_waitcnt vmcnt(14)
	v_fmac_f64_e32 v[124:125], v[116:117], v[144:145]
	v_add_f64 v[2:3], v[2:3], v[4:5]
	v_mul_f64 v[4:5], v[112:113], v[130:131]
	v_add_f64 v[158:159], v[122:123], v[124:125]
	ds_read_b128 v[122:125], v1 offset:1696
	v_fma_f64 v[4:5], v[110:111], v[132:133], -v[4:5]
	v_add_f64 v[2:3], v[2:3], v[4:5]
	v_mul_f64 v[4:5], v[116:117], v[142:143]
	v_fma_f64 v[4:5], v[114:115], v[144:145], -v[4:5]
	v_add_f64 v[2:3], v[2:3], v[4:5]
	s_waitcnt vmcnt(13) lgkmcnt(1)
	v_mul_f64 v[4:5], v[120:121], v[138:139]
	v_mul_f64 v[160:161], v[118:119], v[138:139]
	s_waitcnt vmcnt(12)
	v_fma_f64 v[4:5], v[118:119], v[140:141], -v[4:5]
	v_fmac_f64_e32 v[160:161], v[120:121], v[140:141]
	v_add_f64 v[2:3], v[2:3], v[4:5]
	s_waitcnt vmcnt(8) lgkmcnt(0)
	v_mul_f64 v[4:5], v[124:125], v[150:151]
	v_add_f64 v[158:159], v[158:159], v[160:161]
	v_mul_f64 v[160:161], v[122:123], v[150:151]
	s_waitcnt vmcnt(6)
	v_fma_f64 v[4:5], v[122:123], v[152:153], -v[4:5]
	v_fmac_f64_e32 v[160:161], v[124:125], v[152:153]
	v_add_f64 v[2:3], v[2:3], v[4:5]
	s_waitcnt vmcnt(5)
	v_mul_f64 v[4:5], v[128:129], v[146:147]
	v_add_f64 v[158:159], v[158:159], v[160:161]
	v_mul_f64 v[160:161], v[126:127], v[146:147]
	s_waitcnt vmcnt(4)
	v_fma_f64 v[4:5], v[126:127], v[148:149], -v[4:5]
	v_fmac_f64_e32 v[160:161], v[128:129], v[148:149]
	v_add_f64 v[2:3], v[2:3], v[4:5]
	v_add_f64 v[158:159], v[158:159], v[160:161]
	s_waitcnt vmcnt(2)
	v_add_f64 v[2:3], v[154:155], -v[2:3]
	s_waitcnt vmcnt(0)
	v_add_f64 v[4:5], v[156:157], -v[158:159]
	buffer_store_dword v3, off, s[0:3], 0 offset:564
	buffer_store_dword v2, off, s[0:3], 0 offset:560
	;; [unrolled: 1-line block ×4, first 2 shown]
	s_and_saveexec_b64 s[4:5], vcc
	s_cbranch_execz .LBB53_271
; %bb.270:
	v_accvgpr_read_b32 v5, a128
	buffer_load_dword v2, v5, s[0:3], 0 offen
	buffer_load_dword v3, v5, s[0:3], 0 offen offset:4
	buffer_load_dword v4, v5, s[0:3], 0 offen offset:8
	s_nop 0
	buffer_load_dword v5, v5, s[0:3], 0 offen offset:12
	v_accvgpr_read_b32 v6, a161
	buffer_store_dword v1, off, s[0:3], 0 offset:544
	buffer_store_dword v1, off, s[0:3], 0 offset:548
	;; [unrolled: 1-line block ×4, first 2 shown]
	s_waitcnt vmcnt(4)
	ds_write_b128 v6, v[2:5]
.LBB53_271:
	s_or_b64 exec, exec, s[4:5]
	s_waitcnt lgkmcnt(0)
	; wave barrier
	s_waitcnt lgkmcnt(0)
	buffer_load_dword v2, off, s[0:3], 0 offset:560
	buffer_load_dword v3, off, s[0:3], 0 offset:564
	;; [unrolled: 1-line block ×76, first 2 shown]
	ds_read_b128 v[54:57], v1 offset:1408
	buffer_load_dword v159, off, s[0:3], 0 offset:876
	buffer_load_dword v158, off, s[0:3], 0 offset:872
	;; [unrolled: 1-line block ×8, first 2 shown]
	ds_read_b128 v[58:61], v1 offset:1424
	ds_read_b128 v[62:65], v1 offset:1440
	ds_read_b128 v[66:69], v1 offset:1456
	v_cmp_lt_u32_e32 vcc, 32, v0
	ds_read_b128 v[130:133], v1 offset:1712
	s_waitcnt vmcnt(62) lgkmcnt(4)
	v_mul_f64 v[70:71], v[54:55], v[8:9]
	v_fmac_f64_e32 v[70:71], v[56:57], v[2:3]
	v_add_f64 v[70:71], v[70:71], 0
	v_mul_f64 v[8:9], v[56:57], v[8:9]
	s_waitcnt lgkmcnt(3)
	v_mul_f64 v[72:73], v[58:59], v[10:11]
	v_fmac_f64_e32 v[72:73], v[60:61], v[4:5]
	v_add_f64 v[70:71], v[70:71], v[72:73]
	v_fma_f64 v[2:3], v[54:55], v[2:3], -v[8:9]
	s_waitcnt lgkmcnt(2)
	v_mul_f64 v[72:73], v[62:63], v[12:13]
	v_fmac_f64_e32 v[72:73], v[64:65], v[6:7]
	v_add_f64 v[74:75], v[70:71], v[72:73]
	ds_read_b128 v[70:73], v1 offset:1472
	v_mul_f64 v[8:9], v[60:61], v[10:11]
	v_add_f64 v[2:3], v[2:3], 0
	s_waitcnt lgkmcnt(2)
	v_mul_f64 v[76:77], v[66:67], v[18:19]
	v_fma_f64 v[4:5], v[58:59], v[4:5], -v[8:9]
	v_fmac_f64_e32 v[76:77], v[68:69], v[20:21]
	v_add_f64 v[78:79], v[74:75], v[76:77]
	ds_read_b128 v[74:77], v1 offset:1488
	s_waitcnt lgkmcnt(1)
	v_mul_f64 v[80:81], v[70:71], v[14:15]
	v_fmac_f64_e32 v[80:81], v[72:73], v[16:17]
	v_add_f64 v[82:83], v[78:79], v[80:81]
	ds_read_b128 v[78:81], v1 offset:1504
	s_waitcnt vmcnt(58) lgkmcnt(1)
	v_mul_f64 v[84:85], v[74:75], v[26:27]
	s_waitcnt vmcnt(56)
	v_fmac_f64_e32 v[84:85], v[76:77], v[28:29]
	v_add_f64 v[86:87], v[82:83], v[84:85]
	ds_read_b128 v[82:85], v1 offset:1520
	s_waitcnt lgkmcnt(1)
	v_mul_f64 v[88:89], v[78:79], v[22:23]
	v_fmac_f64_e32 v[88:89], v[80:81], v[24:25]
	v_add_f64 v[90:91], v[86:87], v[88:89]
	ds_read_b128 v[86:89], v1 offset:1536
	s_waitcnt vmcnt(50) lgkmcnt(1)
	v_mul_f64 v[92:93], v[82:83], v[34:35]
	s_waitcnt vmcnt(48)
	v_fmac_f64_e32 v[92:93], v[84:85], v[36:37]
	v_add_f64 v[94:95], v[90:91], v[92:93]
	ds_read_b128 v[90:93], v1 offset:1552
	s_waitcnt lgkmcnt(1)
	v_mul_f64 v[96:97], v[86:87], v[30:31]
	v_fmac_f64_e32 v[96:97], v[88:89], v[32:33]
	v_add_f64 v[98:99], v[94:95], v[96:97]
	ds_read_b128 v[94:97], v1 offset:1568
	v_add_f64 v[2:3], v[2:3], v[4:5]
	v_mul_f64 v[4:5], v[64:65], v[12:13]
	v_fma_f64 v[4:5], v[62:63], v[6:7], -v[4:5]
	s_waitcnt vmcnt(42) lgkmcnt(1)
	v_mul_f64 v[100:101], v[90:91], v[42:43]
	v_add_f64 v[2:3], v[2:3], v[4:5]
	v_mul_f64 v[4:5], v[68:69], v[18:19]
	s_waitcnt vmcnt(40)
	v_fmac_f64_e32 v[100:101], v[92:93], v[44:45]
	v_fma_f64 v[4:5], v[66:67], v[20:21], -v[4:5]
	v_add_f64 v[102:103], v[98:99], v[100:101]
	ds_read_b128 v[98:101], v1 offset:1584
	s_waitcnt lgkmcnt(1)
	v_mul_f64 v[104:105], v[94:95], v[38:39]
	v_add_f64 v[2:3], v[2:3], v[4:5]
	v_mul_f64 v[4:5], v[72:73], v[14:15]
	v_fmac_f64_e32 v[104:105], v[96:97], v[40:41]
	v_fma_f64 v[4:5], v[70:71], v[16:17], -v[4:5]
	v_add_f64 v[106:107], v[102:103], v[104:105]
	ds_read_b128 v[102:105], v1 offset:1600
	v_add_f64 v[2:3], v[2:3], v[4:5]
	v_mul_f64 v[4:5], v[76:77], v[26:27]
	v_fma_f64 v[4:5], v[74:75], v[28:29], -v[4:5]
	v_add_f64 v[2:3], v[2:3], v[4:5]
	v_mul_f64 v[4:5], v[80:81], v[22:23]
	s_waitcnt vmcnt(34) lgkmcnt(1)
	v_mul_f64 v[108:109], v[98:99], v[50:51]
	v_fma_f64 v[4:5], v[78:79], v[24:25], -v[4:5]
	s_waitcnt vmcnt(32)
	v_fmac_f64_e32 v[108:109], v[100:101], v[52:53]
	v_add_f64 v[2:3], v[2:3], v[4:5]
	v_mul_f64 v[4:5], v[84:85], v[34:35]
	v_add_f64 v[110:111], v[106:107], v[108:109]
	ds_read_b128 v[106:109], v1 offset:1616
	s_waitcnt lgkmcnt(1)
	v_mul_f64 v[112:113], v[102:103], v[46:47]
	v_fma_f64 v[4:5], v[82:83], v[36:37], -v[4:5]
	v_fmac_f64_e32 v[112:113], v[104:105], v[48:49]
	v_add_f64 v[2:3], v[2:3], v[4:5]
	v_mul_f64 v[4:5], v[88:89], v[30:31]
	v_add_f64 v[114:115], v[110:111], v[112:113]
	ds_read_b128 v[110:113], v1 offset:1632
	v_fma_f64 v[4:5], v[86:87], v[32:33], -v[4:5]
	v_add_f64 v[2:3], v[2:3], v[4:5]
	v_mul_f64 v[4:5], v[92:93], v[42:43]
	v_fma_f64 v[4:5], v[90:91], v[44:45], -v[4:5]
	s_waitcnt vmcnt(26) lgkmcnt(1)
	v_mul_f64 v[116:117], v[106:107], v[138:139]
	v_add_f64 v[2:3], v[2:3], v[4:5]
	v_mul_f64 v[4:5], v[96:97], v[38:39]
	s_waitcnt vmcnt(24)
	v_fmac_f64_e32 v[116:117], v[108:109], v[140:141]
	v_fma_f64 v[4:5], v[94:95], v[40:41], -v[4:5]
	v_add_f64 v[118:119], v[114:115], v[116:117]
	ds_read_b128 v[114:117], v1 offset:1648
	s_waitcnt lgkmcnt(1)
	v_mul_f64 v[120:121], v[110:111], v[134:135]
	v_add_f64 v[2:3], v[2:3], v[4:5]
	v_mul_f64 v[4:5], v[100:101], v[50:51]
	v_fmac_f64_e32 v[120:121], v[112:113], v[136:137]
	v_fma_f64 v[4:5], v[98:99], v[52:53], -v[4:5]
	v_add_f64 v[122:123], v[118:119], v[120:121]
	ds_read_b128 v[118:121], v1 offset:1664
	v_add_f64 v[2:3], v[2:3], v[4:5]
	v_mul_f64 v[4:5], v[104:105], v[46:47]
	v_fma_f64 v[4:5], v[102:103], v[48:49], -v[4:5]
	v_add_f64 v[2:3], v[2:3], v[4:5]
	v_mul_f64 v[4:5], v[108:109], v[138:139]
	s_waitcnt vmcnt(18) lgkmcnt(1)
	v_mul_f64 v[124:125], v[114:115], v[146:147]
	v_fma_f64 v[4:5], v[106:107], v[140:141], -v[4:5]
	s_waitcnt vmcnt(16)
	v_fmac_f64_e32 v[124:125], v[116:117], v[148:149]
	v_add_f64 v[2:3], v[2:3], v[4:5]
	v_mul_f64 v[4:5], v[112:113], v[134:135]
	v_add_f64 v[126:127], v[122:123], v[124:125]
	ds_read_b128 v[122:125], v1 offset:1680
	s_waitcnt lgkmcnt(1)
	v_mul_f64 v[128:129], v[118:119], v[142:143]
	v_fma_f64 v[4:5], v[110:111], v[136:137], -v[4:5]
	v_fmac_f64_e32 v[128:129], v[120:121], v[144:145]
	v_add_f64 v[2:3], v[2:3], v[4:5]
	v_mul_f64 v[4:5], v[116:117], v[146:147]
	v_add_f64 v[166:167], v[126:127], v[128:129]
	ds_read_b128 v[126:129], v1 offset:1696
	v_fma_f64 v[4:5], v[114:115], v[148:149], -v[4:5]
	v_add_f64 v[2:3], v[2:3], v[4:5]
	v_mul_f64 v[4:5], v[120:121], v[142:143]
	v_fma_f64 v[4:5], v[118:119], v[144:145], -v[4:5]
	v_add_f64 v[2:3], v[2:3], v[4:5]
	s_waitcnt vmcnt(10) lgkmcnt(1)
	v_mul_f64 v[4:5], v[124:125], v[154:155]
	v_mul_f64 v[168:169], v[122:123], v[154:155]
	s_waitcnt vmcnt(8)
	v_fma_f64 v[4:5], v[122:123], v[156:157], -v[4:5]
	v_fmac_f64_e32 v[168:169], v[124:125], v[156:157]
	v_add_f64 v[2:3], v[2:3], v[4:5]
	s_waitcnt lgkmcnt(0)
	v_mul_f64 v[4:5], v[128:129], v[150:151]
	v_add_f64 v[166:167], v[166:167], v[168:169]
	v_mul_f64 v[168:169], v[126:127], v[150:151]
	v_fma_f64 v[4:5], v[126:127], v[152:153], -v[4:5]
	v_fmac_f64_e32 v[168:169], v[128:129], v[152:153]
	v_add_f64 v[2:3], v[2:3], v[4:5]
	s_waitcnt vmcnt(6)
	v_mul_f64 v[4:5], v[132:133], v[158:159]
	v_add_f64 v[166:167], v[166:167], v[168:169]
	v_mul_f64 v[168:169], v[130:131], v[158:159]
	s_waitcnt vmcnt(4)
	v_fma_f64 v[4:5], v[130:131], v[160:161], -v[4:5]
	v_fmac_f64_e32 v[168:169], v[132:133], v[160:161]
	v_add_f64 v[2:3], v[2:3], v[4:5]
	v_add_f64 v[166:167], v[166:167], v[168:169]
	s_waitcnt vmcnt(2)
	v_add_f64 v[2:3], v[162:163], -v[2:3]
	s_waitcnt vmcnt(0)
	v_add_f64 v[4:5], v[164:165], -v[166:167]
	buffer_store_dword v3, off, s[0:3], 0 offset:548
	buffer_store_dword v2, off, s[0:3], 0 offset:544
	;; [unrolled: 1-line block ×4, first 2 shown]
	s_and_saveexec_b64 s[4:5], vcc
	s_cbranch_execz .LBB53_273
; %bb.272:
	v_accvgpr_read_b32 v1, a129
	buffer_load_dword v2, v1, s[0:3], 0 offen
	buffer_load_dword v3, v1, s[0:3], 0 offen offset:4
	buffer_load_dword v4, v1, s[0:3], 0 offen offset:8
	;; [unrolled: 1-line block ×3, first 2 shown]
	v_mov_b32_e32 v1, 0
	v_accvgpr_read_b32 v6, a161
	buffer_store_dword v1, off, s[0:3], 0 offset:528
	buffer_store_dword v1, off, s[0:3], 0 offset:532
	;; [unrolled: 1-line block ×4, first 2 shown]
	s_waitcnt vmcnt(4)
	ds_write_b128 v6, v[2:5]
.LBB53_273:
	s_or_b64 exec, exec, s[4:5]
	s_waitcnt lgkmcnt(0)
	; wave barrier
	s_waitcnt lgkmcnt(0)
	buffer_load_dword v4, off, s[0:3], 0 offset:528
	buffer_load_dword v5, off, s[0:3], 0 offset:532
	;; [unrolled: 1-line block ×84, first 2 shown]
	v_mov_b32_e32 v1, 0
	ds_read_b128 v[66:69], v1 offset:1392
	buffer_load_dword v171, off, s[0:3], 0 offset:876
	buffer_load_dword v170, off, s[0:3], 0 offset:872
	;; [unrolled: 1-line block ×4, first 2 shown]
	ds_read_b128 v[70:73], v1 offset:1408
	ds_read_b128 v[74:77], v1 offset:1424
	;; [unrolled: 1-line block ×4, first 2 shown]
	v_cmp_lt_u32_e32 vcc, 31, v0
	s_waitcnt vmcnt(62) lgkmcnt(4)
	v_mul_f64 v[82:83], v[66:67], v[12:13]
	v_fmac_f64_e32 v[82:83], v[68:69], v[6:7]
	s_waitcnt lgkmcnt(3)
	v_mul_f64 v[84:85], v[70:71], v[14:15]
	v_add_f64 v[82:83], v[82:83], 0
	v_fmac_f64_e32 v[84:85], v[72:73], v[8:9]
	v_add_f64 v[82:83], v[82:83], v[84:85]
	s_waitcnt lgkmcnt(2)
	v_mul_f64 v[84:85], v[74:75], v[16:17]
	v_fmac_f64_e32 v[84:85], v[76:77], v[10:11]
	v_add_f64 v[86:87], v[82:83], v[84:85]
	ds_read_b128 v[82:85], v1 offset:1456
	v_mul_f64 v[12:13], v[68:69], v[12:13]
	s_waitcnt lgkmcnt(2)
	v_mul_f64 v[88:89], v[78:79], v[22:23]
	v_fma_f64 v[6:7], v[66:67], v[6:7], -v[12:13]
	v_fmac_f64_e32 v[88:89], v[80:81], v[24:25]
	v_add_f64 v[90:91], v[86:87], v[88:89]
	ds_read_b128 v[86:89], v1 offset:1472
	s_waitcnt lgkmcnt(1)
	v_mul_f64 v[92:93], v[82:83], v[18:19]
	v_fmac_f64_e32 v[92:93], v[84:85], v[20:21]
	v_add_f64 v[94:95], v[90:91], v[92:93]
	ds_read_b128 v[90:93], v1 offset:1488
	s_waitcnt vmcnt(58) lgkmcnt(1)
	v_mul_f64 v[96:97], v[86:87], v[30:31]
	s_waitcnt vmcnt(56)
	v_fmac_f64_e32 v[96:97], v[88:89], v[32:33]
	v_add_f64 v[98:99], v[94:95], v[96:97]
	ds_read_b128 v[94:97], v1 offset:1504
	s_waitcnt lgkmcnt(1)
	v_mul_f64 v[100:101], v[90:91], v[26:27]
	v_fmac_f64_e32 v[100:101], v[92:93], v[28:29]
	v_add_f64 v[102:103], v[98:99], v[100:101]
	ds_read_b128 v[98:101], v1 offset:1520
	s_waitcnt vmcnt(50) lgkmcnt(1)
	v_mul_f64 v[104:105], v[94:95], v[38:39]
	s_waitcnt vmcnt(48)
	v_fmac_f64_e32 v[104:105], v[96:97], v[40:41]
	v_add_f64 v[106:107], v[102:103], v[104:105]
	ds_read_b128 v[102:105], v1 offset:1536
	s_waitcnt lgkmcnt(1)
	v_mul_f64 v[108:109], v[98:99], v[34:35]
	v_fmac_f64_e32 v[108:109], v[100:101], v[36:37]
	v_mul_f64 v[12:13], v[72:73], v[14:15]
	v_add_f64 v[110:111], v[106:107], v[108:109]
	ds_read_b128 v[106:109], v1 offset:1552
	s_waitcnt vmcnt(42) lgkmcnt(1)
	v_mul_f64 v[112:113], v[102:103], v[46:47]
	v_add_f64 v[6:7], v[6:7], 0
	v_fma_f64 v[8:9], v[70:71], v[8:9], -v[12:13]
	s_waitcnt vmcnt(40)
	v_fmac_f64_e32 v[112:113], v[104:105], v[48:49]
	v_add_f64 v[6:7], v[6:7], v[8:9]
	v_mul_f64 v[8:9], v[76:77], v[16:17]
	v_add_f64 v[114:115], v[110:111], v[112:113]
	ds_read_b128 v[110:113], v1 offset:1568
	v_fma_f64 v[8:9], v[74:75], v[10:11], -v[8:9]
	v_add_f64 v[6:7], v[6:7], v[8:9]
	v_mul_f64 v[8:9], v[80:81], v[22:23]
	v_fma_f64 v[8:9], v[78:79], v[24:25], -v[8:9]
	s_waitcnt lgkmcnt(1)
	v_mul_f64 v[116:117], v[106:107], v[42:43]
	v_add_f64 v[6:7], v[6:7], v[8:9]
	v_mul_f64 v[8:9], v[84:85], v[18:19]
	v_fmac_f64_e32 v[116:117], v[108:109], v[44:45]
	v_fma_f64 v[8:9], v[82:83], v[20:21], -v[8:9]
	v_add_f64 v[118:119], v[114:115], v[116:117]
	ds_read_b128 v[114:117], v1 offset:1584
	s_waitcnt vmcnt(34) lgkmcnt(1)
	v_mul_f64 v[120:121], v[110:111], v[54:55]
	v_add_f64 v[6:7], v[6:7], v[8:9]
	v_mul_f64 v[8:9], v[88:89], v[30:31]
	s_waitcnt vmcnt(32)
	v_fmac_f64_e32 v[120:121], v[112:113], v[56:57]
	v_fma_f64 v[8:9], v[86:87], v[32:33], -v[8:9]
	v_add_f64 v[122:123], v[118:119], v[120:121]
	ds_read_b128 v[118:121], v1 offset:1600
	v_add_f64 v[6:7], v[6:7], v[8:9]
	v_mul_f64 v[8:9], v[92:93], v[26:27]
	v_fma_f64 v[8:9], v[90:91], v[28:29], -v[8:9]
	v_add_f64 v[6:7], v[6:7], v[8:9]
	v_mul_f64 v[8:9], v[96:97], v[38:39]
	s_waitcnt lgkmcnt(1)
	v_mul_f64 v[124:125], v[114:115], v[50:51]
	v_fma_f64 v[8:9], v[94:95], v[40:41], -v[8:9]
	v_fmac_f64_e32 v[124:125], v[116:117], v[52:53]
	v_add_f64 v[6:7], v[6:7], v[8:9]
	v_mul_f64 v[8:9], v[100:101], v[34:35]
	v_add_f64 v[126:127], v[122:123], v[124:125]
	ds_read_b128 v[122:125], v1 offset:1616
	s_waitcnt vmcnt(26) lgkmcnt(1)
	v_mul_f64 v[128:129], v[118:119], v[62:63]
	v_fma_f64 v[8:9], v[98:99], v[36:37], -v[8:9]
	s_waitcnt vmcnt(24)
	v_fmac_f64_e32 v[128:129], v[120:121], v[64:65]
	v_add_f64 v[6:7], v[6:7], v[8:9]
	v_mul_f64 v[8:9], v[104:105], v[46:47]
	v_add_f64 v[130:131], v[126:127], v[128:129]
	ds_read_b128 v[126:129], v1 offset:1632
	v_fma_f64 v[8:9], v[102:103], v[48:49], -v[8:9]
	v_add_f64 v[6:7], v[6:7], v[8:9]
	v_mul_f64 v[8:9], v[108:109], v[42:43]
	v_fma_f64 v[8:9], v[106:107], v[44:45], -v[8:9]
	s_waitcnt lgkmcnt(1)
	v_mul_f64 v[132:133], v[122:123], v[58:59]
	v_add_f64 v[6:7], v[6:7], v[8:9]
	v_mul_f64 v[8:9], v[112:113], v[54:55]
	v_fmac_f64_e32 v[132:133], v[124:125], v[60:61]
	v_fma_f64 v[8:9], v[110:111], v[56:57], -v[8:9]
	v_add_f64 v[134:135], v[130:131], v[132:133]
	ds_read_b128 v[130:133], v1 offset:1648
	s_waitcnt vmcnt(18) lgkmcnt(1)
	v_mul_f64 v[136:137], v[126:127], v[154:155]
	v_add_f64 v[6:7], v[6:7], v[8:9]
	v_mul_f64 v[8:9], v[116:117], v[50:51]
	s_waitcnt vmcnt(16)
	v_fmac_f64_e32 v[136:137], v[128:129], v[156:157]
	v_fma_f64 v[8:9], v[114:115], v[52:53], -v[8:9]
	v_add_f64 v[138:139], v[134:135], v[136:137]
	ds_read_b128 v[134:137], v1 offset:1664
	v_add_f64 v[6:7], v[6:7], v[8:9]
	v_mul_f64 v[8:9], v[120:121], v[62:63]
	v_fma_f64 v[8:9], v[118:119], v[64:65], -v[8:9]
	v_add_f64 v[6:7], v[6:7], v[8:9]
	v_mul_f64 v[8:9], v[124:125], v[58:59]
	s_waitcnt lgkmcnt(1)
	v_mul_f64 v[140:141], v[130:131], v[150:151]
	v_fma_f64 v[8:9], v[122:123], v[60:61], -v[8:9]
	v_fmac_f64_e32 v[140:141], v[132:133], v[152:153]
	v_add_f64 v[6:7], v[6:7], v[8:9]
	v_mul_f64 v[8:9], v[128:129], v[154:155]
	v_add_f64 v[142:143], v[138:139], v[140:141]
	ds_read_b128 v[138:141], v1 offset:1680
	s_waitcnt vmcnt(10) lgkmcnt(1)
	v_mul_f64 v[144:145], v[134:135], v[162:163]
	v_fma_f64 v[8:9], v[126:127], v[156:157], -v[8:9]
	s_waitcnt vmcnt(8)
	v_fmac_f64_e32 v[144:145], v[136:137], v[164:165]
	v_add_f64 v[6:7], v[6:7], v[8:9]
	v_mul_f64 v[8:9], v[132:133], v[150:151]
	v_add_f64 v[174:175], v[142:143], v[144:145]
	ds_read_b128 v[142:145], v1 offset:1696
	v_fma_f64 v[8:9], v[130:131], v[152:153], -v[8:9]
	v_add_f64 v[6:7], v[6:7], v[8:9]
	v_mul_f64 v[8:9], v[136:137], v[162:163]
	v_fma_f64 v[8:9], v[134:135], v[164:165], -v[8:9]
	v_add_f64 v[6:7], v[6:7], v[8:9]
	s_waitcnt lgkmcnt(1)
	v_mul_f64 v[8:9], v[140:141], v[158:159]
	v_mul_f64 v[176:177], v[138:139], v[158:159]
	v_fma_f64 v[8:9], v[138:139], v[160:161], -v[8:9]
	v_fmac_f64_e32 v[176:177], v[140:141], v[160:161]
	v_add_f64 v[6:7], v[6:7], v[8:9]
	s_waitcnt vmcnt(6) lgkmcnt(0)
	v_mul_f64 v[8:9], v[144:145], v[166:167]
	v_add_f64 v[174:175], v[174:175], v[176:177]
	v_mul_f64 v[176:177], v[142:143], v[166:167]
	s_waitcnt vmcnt(4)
	v_fma_f64 v[8:9], v[142:143], v[168:169], -v[8:9]
	v_fmac_f64_e32 v[176:177], v[144:145], v[168:169]
	v_add_f64 v[6:7], v[6:7], v[8:9]
	s_waitcnt vmcnt(2)
	v_mul_f64 v[8:9], v[148:149], v[170:171]
	v_add_f64 v[174:175], v[174:175], v[176:177]
	v_mul_f64 v[176:177], v[146:147], v[170:171]
	s_waitcnt vmcnt(0)
	v_fma_f64 v[8:9], v[146:147], v[172:173], -v[8:9]
	v_fmac_f64_e32 v[176:177], v[148:149], v[172:173]
	v_add_f64 v[6:7], v[6:7], v[8:9]
	v_add_f64 v[174:175], v[174:175], v[176:177]
	v_add_f64 v[4:5], v[4:5], -v[6:7]
	v_add_f64 v[2:3], v[2:3], -v[174:175]
	buffer_store_dword v5, off, s[0:3], 0 offset:532
	buffer_store_dword v4, off, s[0:3], 0 offset:528
	;; [unrolled: 1-line block ×4, first 2 shown]
	s_and_saveexec_b64 s[4:5], vcc
	s_cbranch_execz .LBB53_275
; %bb.274:
	v_accvgpr_read_b32 v5, a130
	buffer_load_dword v2, v5, s[0:3], 0 offen
	buffer_load_dword v3, v5, s[0:3], 0 offen offset:4
	buffer_load_dword v4, v5, s[0:3], 0 offen offset:8
	s_nop 0
	buffer_load_dword v5, v5, s[0:3], 0 offen offset:12
	v_accvgpr_read_b32 v6, a161
	buffer_store_dword v1, off, s[0:3], 0 offset:512
	buffer_store_dword v1, off, s[0:3], 0 offset:516
	;; [unrolled: 1-line block ×4, first 2 shown]
	s_waitcnt vmcnt(4)
	ds_write_b128 v6, v[2:5]
.LBB53_275:
	s_or_b64 exec, exec, s[4:5]
	s_waitcnt lgkmcnt(0)
	; wave barrier
	s_waitcnt lgkmcnt(0)
	ds_read_b128 v[14:17], v1 offset:1376
	ds_read_b128 v[10:13], v1 offset:1392
	;; [unrolled: 1-line block ×4, first 2 shown]
	buffer_load_dword v20, off, s[0:3], 0 offset:512
	buffer_load_dword v21, off, s[0:3], 0 offset:516
	;; [unrolled: 1-line block ×92, first 2 shown]
	s_waitcnt vmcnt(62) lgkmcnt(3)
	v_mul_f64 v[86:87], v[14:15], v[28:29]
	v_fmac_f64_e32 v[86:87], v[16:17], v[22:23]
	s_waitcnt lgkmcnt(2)
	v_mul_f64 v[88:89], v[10:11], v[30:31]
	v_add_f64 v[86:87], v[86:87], 0
	v_fmac_f64_e32 v[88:89], v[12:13], v[24:25]
	v_add_f64 v[86:87], v[86:87], v[88:89]
	s_waitcnt lgkmcnt(1)
	v_mul_f64 v[88:89], v[6:7], v[32:33]
	v_fmac_f64_e32 v[88:89], v[8:9], v[26:27]
	v_add_f64 v[90:91], v[86:87], v[88:89]
	ds_read_b128 v[86:89], v1 offset:1440
	v_mul_f64 v[16:17], v[16:17], v[28:29]
	v_fma_f64 v[14:15], v[14:15], v[22:23], -v[16:17]
	s_waitcnt lgkmcnt(1)
	v_mul_f64 v[92:93], v[2:3], v[38:39]
	v_mul_f64 v[12:13], v[12:13], v[30:31]
	v_fmac_f64_e32 v[92:93], v[4:5], v[40:41]
	v_add_f64 v[94:95], v[90:91], v[92:93]
	ds_read_b128 v[90:93], v1 offset:1456
	s_waitcnt lgkmcnt(1)
	v_mul_f64 v[96:97], v[86:87], v[34:35]
	v_fmac_f64_e32 v[96:97], v[88:89], v[36:37]
	v_add_f64 v[98:99], v[94:95], v[96:97]
	ds_read_b128 v[94:97], v1 offset:1472
	s_waitcnt lgkmcnt(1)
	v_mul_f64 v[100:101], v[90:91], v[46:47]
	s_waitcnt vmcnt(60)
	v_fmac_f64_e32 v[100:101], v[92:93], v[48:49]
	v_add_f64 v[102:103], v[98:99], v[100:101]
	ds_read_b128 v[98:101], v1 offset:1488
	s_waitcnt lgkmcnt(1)
	v_mul_f64 v[104:105], v[94:95], v[42:43]
	v_fmac_f64_e32 v[104:105], v[96:97], v[44:45]
	v_add_f64 v[106:107], v[102:103], v[104:105]
	ds_read_b128 v[102:105], v1 offset:1504
	s_waitcnt vmcnt(54) lgkmcnt(1)
	v_mul_f64 v[108:109], v[98:99], v[54:55]
	s_waitcnt vmcnt(52)
	v_fmac_f64_e32 v[108:109], v[100:101], v[56:57]
	v_add_f64 v[110:111], v[106:107], v[108:109]
	ds_read_b128 v[106:109], v1 offset:1520
	s_waitcnt lgkmcnt(1)
	v_mul_f64 v[112:113], v[102:103], v[50:51]
	v_fmac_f64_e32 v[112:113], v[104:105], v[52:53]
	v_add_f64 v[114:115], v[110:111], v[112:113]
	ds_read_b128 v[110:113], v1 offset:1536
	s_waitcnt vmcnt(46) lgkmcnt(1)
	v_mul_f64 v[116:117], v[106:107], v[62:63]
	s_waitcnt vmcnt(44)
	v_fmac_f64_e32 v[116:117], v[108:109], v[64:65]
	v_add_f64 v[118:119], v[114:115], v[116:117]
	ds_read_b128 v[114:117], v1 offset:1552
	s_waitcnt lgkmcnt(1)
	v_mul_f64 v[120:121], v[110:111], v[58:59]
	v_fmac_f64_e32 v[120:121], v[112:113], v[60:61]
	v_add_f64 v[14:15], v[14:15], 0
	v_fma_f64 v[10:11], v[10:11], v[24:25], -v[12:13]
	v_mul_f64 v[8:9], v[8:9], v[32:33]
	v_add_f64 v[122:123], v[118:119], v[120:121]
	ds_read_b128 v[118:121], v1 offset:1568
	v_add_f64 v[10:11], v[14:15], v[10:11]
	v_fma_f64 v[6:7], v[6:7], v[26:27], -v[8:9]
	v_mul_f64 v[4:5], v[4:5], v[38:39]
	v_add_f64 v[6:7], v[10:11], v[6:7]
	v_fma_f64 v[2:3], v[2:3], v[40:41], -v[4:5]
	v_mul_f64 v[4:5], v[88:89], v[34:35]
	v_add_f64 v[2:3], v[6:7], v[2:3]
	v_fma_f64 v[4:5], v[86:87], v[36:37], -v[4:5]
	s_waitcnt vmcnt(38) lgkmcnt(1)
	v_mul_f64 v[124:125], v[114:115], v[70:71]
	v_add_f64 v[2:3], v[2:3], v[4:5]
	v_mul_f64 v[4:5], v[92:93], v[46:47]
	s_waitcnt vmcnt(36)
	v_fmac_f64_e32 v[124:125], v[116:117], v[72:73]
	v_fma_f64 v[4:5], v[90:91], v[48:49], -v[4:5]
	v_add_f64 v[126:127], v[122:123], v[124:125]
	ds_read_b128 v[122:125], v1 offset:1584
	s_waitcnt lgkmcnt(1)
	v_mul_f64 v[128:129], v[118:119], v[66:67]
	v_add_f64 v[2:3], v[2:3], v[4:5]
	v_mul_f64 v[4:5], v[96:97], v[42:43]
	v_fmac_f64_e32 v[128:129], v[120:121], v[68:69]
	v_fma_f64 v[4:5], v[94:95], v[44:45], -v[4:5]
	v_add_f64 v[130:131], v[126:127], v[128:129]
	ds_read_b128 v[126:129], v1 offset:1600
	v_add_f64 v[2:3], v[2:3], v[4:5]
	v_mul_f64 v[4:5], v[100:101], v[54:55]
	v_fma_f64 v[4:5], v[98:99], v[56:57], -v[4:5]
	v_add_f64 v[2:3], v[2:3], v[4:5]
	v_mul_f64 v[4:5], v[104:105], v[50:51]
	s_waitcnt vmcnt(30) lgkmcnt(1)
	v_mul_f64 v[132:133], v[122:123], v[78:79]
	v_fma_f64 v[4:5], v[102:103], v[52:53], -v[4:5]
	s_waitcnt vmcnt(28)
	v_fmac_f64_e32 v[132:133], v[124:125], v[80:81]
	v_add_f64 v[2:3], v[2:3], v[4:5]
	v_mul_f64 v[4:5], v[108:109], v[62:63]
	v_add_f64 v[134:135], v[130:131], v[132:133]
	ds_read_b128 v[130:133], v1 offset:1616
	s_waitcnt lgkmcnt(1)
	v_mul_f64 v[136:137], v[126:127], v[74:75]
	v_fma_f64 v[4:5], v[106:107], v[64:65], -v[4:5]
	v_fmac_f64_e32 v[136:137], v[128:129], v[76:77]
	v_add_f64 v[2:3], v[2:3], v[4:5]
	v_mul_f64 v[4:5], v[112:113], v[58:59]
	v_add_f64 v[138:139], v[134:135], v[136:137]
	ds_read_b128 v[134:137], v1 offset:1632
	v_fma_f64 v[4:5], v[110:111], v[60:61], -v[4:5]
	v_add_f64 v[2:3], v[2:3], v[4:5]
	v_mul_f64 v[4:5], v[116:117], v[70:71]
	v_fma_f64 v[4:5], v[114:115], v[72:73], -v[4:5]
	s_waitcnt vmcnt(22) lgkmcnt(1)
	v_mul_f64 v[140:141], v[130:131], v[158:159]
	v_add_f64 v[2:3], v[2:3], v[4:5]
	v_mul_f64 v[4:5], v[120:121], v[66:67]
	s_waitcnt vmcnt(20)
	v_fmac_f64_e32 v[140:141], v[132:133], v[160:161]
	v_fma_f64 v[4:5], v[118:119], v[68:69], -v[4:5]
	v_add_f64 v[142:143], v[138:139], v[140:141]
	ds_read_b128 v[138:141], v1 offset:1648
	s_waitcnt lgkmcnt(1)
	v_mul_f64 v[144:145], v[134:135], v[82:83]
	v_add_f64 v[2:3], v[2:3], v[4:5]
	v_mul_f64 v[4:5], v[124:125], v[78:79]
	v_fmac_f64_e32 v[144:145], v[136:137], v[84:85]
	v_fma_f64 v[4:5], v[122:123], v[80:81], -v[4:5]
	v_add_f64 v[146:147], v[142:143], v[144:145]
	ds_read_b128 v[142:145], v1 offset:1664
	v_add_f64 v[2:3], v[2:3], v[4:5]
	v_mul_f64 v[4:5], v[128:129], v[74:75]
	v_fma_f64 v[4:5], v[126:127], v[76:77], -v[4:5]
	v_add_f64 v[2:3], v[2:3], v[4:5]
	v_mul_f64 v[4:5], v[132:133], v[158:159]
	s_waitcnt vmcnt(14) lgkmcnt(1)
	v_mul_f64 v[148:149], v[138:139], v[166:167]
	v_fma_f64 v[4:5], v[130:131], v[160:161], -v[4:5]
	s_waitcnt vmcnt(12)
	v_fmac_f64_e32 v[148:149], v[140:141], v[168:169]
	v_add_f64 v[2:3], v[2:3], v[4:5]
	v_mul_f64 v[4:5], v[136:137], v[82:83]
	v_add_f64 v[150:151], v[146:147], v[148:149]
	ds_read_b128 v[146:149], v1 offset:1680
	s_waitcnt lgkmcnt(1)
	v_mul_f64 v[152:153], v[142:143], v[162:163]
	v_fma_f64 v[4:5], v[134:135], v[84:85], -v[4:5]
	v_fmac_f64_e32 v[152:153], v[144:145], v[164:165]
	v_add_f64 v[2:3], v[2:3], v[4:5]
	v_mul_f64 v[4:5], v[140:141], v[166:167]
	v_add_f64 v[182:183], v[150:151], v[152:153]
	ds_read_b128 v[150:153], v1 offset:1696
	ds_read_b128 v[154:157], v1 offset:1712
	v_fma_f64 v[4:5], v[138:139], v[168:169], -v[4:5]
	v_add_f64 v[2:3], v[2:3], v[4:5]
	v_mul_f64 v[4:5], v[144:145], v[162:163]
	v_fma_f64 v[4:5], v[142:143], v[164:165], -v[4:5]
	v_add_f64 v[2:3], v[2:3], v[4:5]
	s_waitcnt vmcnt(6) lgkmcnt(2)
	v_mul_f64 v[4:5], v[148:149], v[174:175]
	v_mul_f64 v[184:185], v[146:147], v[174:175]
	s_waitcnt vmcnt(4)
	v_fma_f64 v[4:5], v[146:147], v[176:177], -v[4:5]
	v_fmac_f64_e32 v[184:185], v[148:149], v[176:177]
	v_add_f64 v[2:3], v[2:3], v[4:5]
	s_waitcnt lgkmcnt(1)
	v_mul_f64 v[4:5], v[152:153], v[170:171]
	v_add_f64 v[182:183], v[182:183], v[184:185]
	v_mul_f64 v[184:185], v[150:151], v[170:171]
	v_fma_f64 v[4:5], v[150:151], v[172:173], -v[4:5]
	v_fmac_f64_e32 v[184:185], v[152:153], v[172:173]
	v_add_f64 v[2:3], v[2:3], v[4:5]
	s_waitcnt vmcnt(2) lgkmcnt(0)
	v_mul_f64 v[4:5], v[156:157], v[178:179]
	v_add_f64 v[182:183], v[182:183], v[184:185]
	v_mul_f64 v[184:185], v[154:155], v[178:179]
	s_waitcnt vmcnt(0)
	v_fma_f64 v[4:5], v[154:155], v[180:181], -v[4:5]
	v_fmac_f64_e32 v[184:185], v[156:157], v[180:181]
	v_add_f64 v[2:3], v[2:3], v[4:5]
	v_add_f64 v[182:183], v[182:183], v[184:185]
	v_add_f64 v[2:3], v[20:21], -v[2:3]
	v_cmp_lt_u32_e32 vcc, 30, v0
	v_add_f64 v[4:5], v[18:19], -v[182:183]
	buffer_store_dword v3, off, s[0:3], 0 offset:516
	buffer_store_dword v2, off, s[0:3], 0 offset:512
	;; [unrolled: 1-line block ×4, first 2 shown]
	s_and_saveexec_b64 s[4:5], vcc
	s_cbranch_execz .LBB53_277
; %bb.276:
	v_accvgpr_read_b32 v1, a131
	buffer_load_dword v2, v1, s[0:3], 0 offen
	buffer_load_dword v3, v1, s[0:3], 0 offen offset:4
	buffer_load_dword v4, v1, s[0:3], 0 offen offset:8
	;; [unrolled: 1-line block ×3, first 2 shown]
	v_mov_b32_e32 v1, 0
	v_accvgpr_read_b32 v6, a161
	buffer_store_dword v1, off, s[0:3], 0 offset:496
	buffer_store_dword v1, off, s[0:3], 0 offset:500
	;; [unrolled: 1-line block ×4, first 2 shown]
	s_waitcnt vmcnt(4)
	ds_write_b128 v6, v[2:5]
.LBB53_277:
	s_or_b64 exec, exec, s[4:5]
	s_waitcnt lgkmcnt(0)
	; wave barrier
	s_waitcnt lgkmcnt(0)
	buffer_load_dword v9, off, s[0:3], 0 offset:524
	buffer_load_dword v6, off, s[0:3], 0 offset:536
	;; [unrolled: 1-line block ×64, first 2 shown]
	v_mov_b32_e32 v1, 0
	ds_read_b128 v[74:77], v1 offset:1360
	ds_read_b128 v[78:81], v1 offset:1376
	buffer_load_dword v67, off, s[0:3], 0 offset:780
	buffer_load_dword v66, off, s[0:3], 0 offset:776
	buffer_load_dword v69, off, s[0:3], 0 offset:772
	buffer_load_dword v68, off, s[0:3], 0 offset:768
	buffer_load_dword v71, off, s[0:3], 0 offset:764
	buffer_load_dword v70, off, s[0:3], 0 offset:760
	buffer_load_dword v73, off, s[0:3], 0 offset:756
	buffer_load_dword v72, off, s[0:3], 0 offset:752
	ds_read_b128 v[82:85], v1 offset:1392
	ds_read_b128 v[86:89], v1 offset:1408
	buffer_load_dword v167, off, s[0:3], 0 offset:812
	buffer_load_dword v166, off, s[0:3], 0 offset:808
	;; [unrolled: 1-line block ×24, first 2 shown]
	ds_read_b128 v[162:165], v1 offset:1712
	v_cmp_lt_u32_e32 vcc, 29, v0
	s_waitcnt vmcnt(62) lgkmcnt(1)
	v_mul_f64 v[96:97], v[86:87], v[22:23]
	v_fmac_f64_e32 v[96:97], v[88:89], v[24:25]
	v_mul_f64 v[92:93], v[78:79], v[6:7]
	v_mul_f64 v[90:91], v[74:75], v[8:9]
	;; [unrolled: 1-line block ×3, first 2 shown]
	v_fmac_f64_e32 v[90:91], v[76:77], v[10:11]
	v_add_f64 v[90:91], v[90:91], 0
	v_fma_f64 v[8:9], v[74:75], v[10:11], -v[8:9]
	v_mul_f64 v[6:7], v[80:81], v[6:7]
	v_add_f64 v[8:9], v[8:9], 0
	v_fmac_f64_e32 v[92:93], v[80:81], v[14:15]
	v_add_f64 v[90:91], v[90:91], v[92:93]
	v_mul_f64 v[92:93], v[82:83], v[16:17]
	v_fmac_f64_e32 v[92:93], v[84:85], v[12:13]
	v_add_f64 v[94:95], v[90:91], v[92:93]
	ds_read_b128 v[90:93], v1 offset:1424
	v_add_f64 v[98:99], v[94:95], v[96:97]
	ds_read_b128 v[94:97], v1 offset:1440
	v_fma_f64 v[6:7], v[78:79], v[14:15], -v[6:7]
	v_add_f64 v[6:7], v[8:9], v[6:7]
	s_waitcnt lgkmcnt(1)
	v_mul_f64 v[100:101], v[90:91], v[18:19]
	v_fmac_f64_e32 v[100:101], v[92:93], v[20:21]
	v_add_f64 v[102:103], v[98:99], v[100:101]
	ds_read_b128 v[98:101], v1 offset:1456
	s_waitcnt lgkmcnt(1)
	v_mul_f64 v[104:105], v[94:95], v[30:31]
	v_fmac_f64_e32 v[104:105], v[96:97], v[32:33]
	v_add_f64 v[106:107], v[102:103], v[104:105]
	ds_read_b128 v[102:105], v1 offset:1472
	;; [unrolled: 5-line block ×3, first 2 shown]
	s_waitcnt vmcnt(58) lgkmcnt(1)
	v_mul_f64 v[112:113], v[102:103], v[38:39]
	s_waitcnt vmcnt(56)
	v_fmac_f64_e32 v[112:113], v[104:105], v[40:41]
	v_add_f64 v[114:115], v[110:111], v[112:113]
	ds_read_b128 v[110:113], v1 offset:1504
	s_waitcnt lgkmcnt(1)
	v_mul_f64 v[116:117], v[106:107], v[34:35]
	v_fmac_f64_e32 v[116:117], v[108:109], v[36:37]
	v_add_f64 v[118:119], v[114:115], v[116:117]
	ds_read_b128 v[114:117], v1 offset:1520
	s_waitcnt vmcnt(50) lgkmcnt(1)
	v_mul_f64 v[120:121], v[110:111], v[46:47]
	s_waitcnt vmcnt(48)
	v_fmac_f64_e32 v[120:121], v[112:113], v[48:49]
	v_add_f64 v[122:123], v[118:119], v[120:121]
	ds_read_b128 v[118:121], v1 offset:1536
	v_mul_f64 v[8:9], v[84:85], v[16:17]
	s_waitcnt lgkmcnt(1)
	v_mul_f64 v[124:125], v[114:115], v[42:43]
	v_fma_f64 v[8:9], v[82:83], v[12:13], -v[8:9]
	v_fmac_f64_e32 v[124:125], v[116:117], v[44:45]
	v_add_f64 v[6:7], v[6:7], v[8:9]
	v_mul_f64 v[8:9], v[88:89], v[22:23]
	v_add_f64 v[126:127], v[122:123], v[124:125]
	ds_read_b128 v[122:125], v1 offset:1552
	s_waitcnt vmcnt(42) lgkmcnt(1)
	v_mul_f64 v[128:129], v[118:119], v[54:55]
	v_fma_f64 v[8:9], v[86:87], v[24:25], -v[8:9]
	s_waitcnt vmcnt(40)
	v_fmac_f64_e32 v[128:129], v[120:121], v[56:57]
	v_add_f64 v[6:7], v[6:7], v[8:9]
	v_mul_f64 v[8:9], v[92:93], v[18:19]
	v_add_f64 v[130:131], v[126:127], v[128:129]
	ds_read_b128 v[126:129], v1 offset:1568
	v_fma_f64 v[8:9], v[90:91], v[20:21], -v[8:9]
	v_add_f64 v[6:7], v[6:7], v[8:9]
	v_mul_f64 v[8:9], v[96:97], v[30:31]
	v_fma_f64 v[8:9], v[94:95], v[32:33], -v[8:9]
	s_waitcnt lgkmcnt(1)
	v_mul_f64 v[132:133], v[122:123], v[50:51]
	v_add_f64 v[6:7], v[6:7], v[8:9]
	v_mul_f64 v[8:9], v[100:101], v[26:27]
	v_fmac_f64_e32 v[132:133], v[124:125], v[52:53]
	v_fma_f64 v[8:9], v[98:99], v[28:29], -v[8:9]
	v_add_f64 v[134:135], v[130:131], v[132:133]
	ds_read_b128 v[130:133], v1 offset:1584
	s_waitcnt vmcnt(34) lgkmcnt(1)
	v_mul_f64 v[136:137], v[126:127], v[62:63]
	v_add_f64 v[6:7], v[6:7], v[8:9]
	v_mul_f64 v[8:9], v[104:105], v[38:39]
	s_waitcnt vmcnt(32)
	v_fmac_f64_e32 v[136:137], v[128:129], v[64:65]
	v_fma_f64 v[8:9], v[102:103], v[40:41], -v[8:9]
	v_add_f64 v[138:139], v[134:135], v[136:137]
	ds_read_b128 v[134:137], v1 offset:1600
	v_add_f64 v[6:7], v[6:7], v[8:9]
	v_mul_f64 v[8:9], v[108:109], v[34:35]
	v_fma_f64 v[8:9], v[106:107], v[36:37], -v[8:9]
	v_add_f64 v[6:7], v[6:7], v[8:9]
	v_mul_f64 v[8:9], v[112:113], v[46:47]
	s_waitcnt lgkmcnt(1)
	v_mul_f64 v[140:141], v[130:131], v[58:59]
	v_fma_f64 v[8:9], v[110:111], v[48:49], -v[8:9]
	v_fmac_f64_e32 v[140:141], v[132:133], v[60:61]
	v_add_f64 v[6:7], v[6:7], v[8:9]
	v_mul_f64 v[8:9], v[116:117], v[42:43]
	v_add_f64 v[142:143], v[138:139], v[140:141]
	ds_read_b128 v[138:141], v1 offset:1616
	s_waitcnt vmcnt(26) lgkmcnt(1)
	v_mul_f64 v[144:145], v[134:135], v[70:71]
	v_fma_f64 v[8:9], v[114:115], v[44:45], -v[8:9]
	s_waitcnt vmcnt(24)
	v_fmac_f64_e32 v[144:145], v[136:137], v[72:73]
	v_add_f64 v[6:7], v[6:7], v[8:9]
	v_mul_f64 v[8:9], v[120:121], v[54:55]
	v_add_f64 v[146:147], v[142:143], v[144:145]
	ds_read_b128 v[142:145], v1 offset:1632
	v_fma_f64 v[8:9], v[118:119], v[56:57], -v[8:9]
	v_add_f64 v[6:7], v[6:7], v[8:9]
	v_mul_f64 v[8:9], v[124:125], v[50:51]
	v_fma_f64 v[8:9], v[122:123], v[52:53], -v[8:9]
	s_waitcnt lgkmcnt(1)
	v_mul_f64 v[148:149], v[138:139], v[66:67]
	v_add_f64 v[6:7], v[6:7], v[8:9]
	v_mul_f64 v[8:9], v[128:129], v[62:63]
	v_fmac_f64_e32 v[148:149], v[140:141], v[68:69]
	v_fma_f64 v[8:9], v[126:127], v[64:65], -v[8:9]
	v_add_f64 v[150:151], v[146:147], v[148:149]
	ds_read_b128 v[146:149], v1 offset:1648
	s_waitcnt vmcnt(18) lgkmcnt(1)
	v_mul_f64 v[152:153], v[142:143], v[170:171]
	v_add_f64 v[6:7], v[6:7], v[8:9]
	v_mul_f64 v[8:9], v[132:133], v[58:59]
	s_waitcnt vmcnt(16)
	v_fmac_f64_e32 v[152:153], v[144:145], v[172:173]
	v_fma_f64 v[8:9], v[130:131], v[60:61], -v[8:9]
	v_add_f64 v[154:155], v[150:151], v[152:153]
	ds_read_b128 v[150:153], v1 offset:1664
	v_add_f64 v[6:7], v[6:7], v[8:9]
	v_mul_f64 v[8:9], v[136:137], v[70:71]
	v_fma_f64 v[8:9], v[134:135], v[72:73], -v[8:9]
	v_add_f64 v[6:7], v[6:7], v[8:9]
	v_mul_f64 v[8:9], v[140:141], v[66:67]
	s_waitcnt lgkmcnt(1)
	v_mul_f64 v[156:157], v[146:147], v[166:167]
	v_fma_f64 v[8:9], v[138:139], v[68:69], -v[8:9]
	v_fmac_f64_e32 v[156:157], v[148:149], v[168:169]
	v_add_f64 v[6:7], v[6:7], v[8:9]
	v_mul_f64 v[8:9], v[144:145], v[170:171]
	v_add_f64 v[158:159], v[154:155], v[156:157]
	ds_read_b128 v[154:157], v1 offset:1680
	s_waitcnt vmcnt(10) lgkmcnt(1)
	v_mul_f64 v[160:161], v[150:151], v[178:179]
	v_fma_f64 v[8:9], v[142:143], v[172:173], -v[8:9]
	s_waitcnt vmcnt(8)
	v_fmac_f64_e32 v[160:161], v[152:153], v[180:181]
	v_add_f64 v[6:7], v[6:7], v[8:9]
	v_mul_f64 v[8:9], v[148:149], v[166:167]
	v_add_f64 v[190:191], v[158:159], v[160:161]
	ds_read_b128 v[158:161], v1 offset:1696
	v_fma_f64 v[8:9], v[146:147], v[168:169], -v[8:9]
	v_add_f64 v[6:7], v[6:7], v[8:9]
	v_mul_f64 v[8:9], v[152:153], v[178:179]
	v_fma_f64 v[8:9], v[150:151], v[180:181], -v[8:9]
	v_add_f64 v[6:7], v[6:7], v[8:9]
	s_waitcnt lgkmcnt(1)
	v_mul_f64 v[8:9], v[156:157], v[174:175]
	v_mul_f64 v[192:193], v[154:155], v[174:175]
	v_fma_f64 v[8:9], v[154:155], v[176:177], -v[8:9]
	v_fmac_f64_e32 v[192:193], v[156:157], v[176:177]
	v_add_f64 v[6:7], v[6:7], v[8:9]
	s_waitcnt vmcnt(2) lgkmcnt(0)
	v_mul_f64 v[8:9], v[160:161], v[186:187]
	v_add_f64 v[190:191], v[190:191], v[192:193]
	v_mul_f64 v[192:193], v[158:159], v[186:187]
	s_waitcnt vmcnt(0)
	v_fma_f64 v[8:9], v[158:159], v[188:189], -v[8:9]
	v_fmac_f64_e32 v[192:193], v[160:161], v[188:189]
	v_add_f64 v[6:7], v[6:7], v[8:9]
	v_mul_f64 v[8:9], v[164:165], v[182:183]
	v_add_f64 v[190:191], v[190:191], v[192:193]
	v_mul_f64 v[192:193], v[162:163], v[182:183]
	v_fma_f64 v[8:9], v[162:163], v[184:185], -v[8:9]
	v_fmac_f64_e32 v[192:193], v[164:165], v[184:185]
	v_add_f64 v[6:7], v[6:7], v[8:9]
	v_add_f64 v[190:191], v[190:191], v[192:193]
	v_add_f64 v[4:5], v[4:5], -v[6:7]
	v_add_f64 v[2:3], v[2:3], -v[190:191]
	buffer_store_dword v5, off, s[0:3], 0 offset:500
	buffer_store_dword v4, off, s[0:3], 0 offset:496
	;; [unrolled: 1-line block ×4, first 2 shown]
	s_and_saveexec_b64 s[4:5], vcc
	s_cbranch_execz .LBB53_279
; %bb.278:
	v_accvgpr_read_b32 v5, a132
	buffer_load_dword v2, v5, s[0:3], 0 offen
	buffer_load_dword v3, v5, s[0:3], 0 offen offset:4
	buffer_load_dword v4, v5, s[0:3], 0 offen offset:8
	s_nop 0
	buffer_load_dword v5, v5, s[0:3], 0 offen offset:12
	v_accvgpr_read_b32 v6, a161
	buffer_store_dword v1, off, s[0:3], 0 offset:480
	buffer_store_dword v1, off, s[0:3], 0 offset:484
	buffer_store_dword v1, off, s[0:3], 0 offset:488
	buffer_store_dword v1, off, s[0:3], 0 offset:492
	s_waitcnt vmcnt(4)
	ds_write_b128 v6, v[2:5]
.LBB53_279:
	s_or_b64 exec, exec, s[4:5]
	s_waitcnt lgkmcnt(0)
	; wave barrier
	s_waitcnt lgkmcnt(0)
	buffer_load_dword v22, off, s[0:3], 0 offset:496
	buffer_load_dword v23, off, s[0:3], 0 offset:500
	;; [unrolled: 1-line block ×16, first 2 shown]
	ds_read_b128 v[2:5], v1 offset:1344
	ds_read_b128 v[6:9], v1 offset:1360
	;; [unrolled: 1-line block ×4, first 2 shown]
	buffer_load_dword v35, off, s[0:3], 0 offset:572
	buffer_load_dword v34, off, s[0:3], 0 offset:568
	;; [unrolled: 1-line block ×48, first 2 shown]
	v_cmp_lt_u32_e32 vcc, 28, v0
	s_waitcnt vmcnt(42) lgkmcnt(0)
	v_mul_f64 v[104:105], v[14:15], v[38:39]
	s_waitcnt vmcnt(40)
	v_fmac_f64_e32 v[104:105], v[16:17], v[40:41]
	v_mul_f64 v[82:83], v[2:3], v[24:25]
	v_fmac_f64_e32 v[82:83], v[4:5], v[22:23]
	v_add_f64 v[82:83], v[82:83], 0
	v_mul_f64 v[4:5], v[4:5], v[24:25]
	v_mul_f64 v[84:85], v[6:7], v[32:33]
	v_fma_f64 v[2:3], v[2:3], v[22:23], -v[4:5]
	v_mul_f64 v[98:99], v[10:11], v[26:27]
	v_fmac_f64_e32 v[98:99], v[12:13], v[30:31]
	v_fmac_f64_e32 v[84:85], v[8:9], v[28:29]
	v_add_f64 v[100:101], v[82:83], v[84:85]
	buffer_load_dword v83, off, s[0:3], 0 offset:764
	buffer_load_dword v82, off, s[0:3], 0 offset:760
	;; [unrolled: 1-line block ×32, first 2 shown]
	v_add_f64 v[102:103], v[100:101], v[98:99]
	ds_read_b128 v[98:101], v1 offset:1408
	buffer_load_dword v195, off, s[0:3], 0 offset:876
	buffer_load_dword v194, off, s[0:3], 0 offset:872
	buffer_load_dword v197, off, s[0:3], 0 offset:868
	buffer_load_dword v196, off, s[0:3], 0 offset:864
	v_add_f64 v[106:107], v[102:103], v[104:105]
	ds_read_b128 v[102:105], v1 offset:1424
	v_mul_f64 v[4:5], v[8:9], v[32:33]
	s_waitcnt lgkmcnt(1)
	v_mul_f64 v[108:109], v[98:99], v[34:35]
	v_fmac_f64_e32 v[108:109], v[100:101], v[36:37]
	v_add_f64 v[110:111], v[106:107], v[108:109]
	ds_read_b128 v[106:109], v1 offset:1440
	s_waitcnt vmcnt(62) lgkmcnt(1)
	v_mul_f64 v[112:113], v[102:103], v[46:47]
	v_fmac_f64_e32 v[112:113], v[104:105], v[48:49]
	v_add_f64 v[114:115], v[110:111], v[112:113]
	ds_read_b128 v[110:113], v1 offset:1456
	s_waitcnt lgkmcnt(1)
	v_mul_f64 v[116:117], v[106:107], v[42:43]
	v_fmac_f64_e32 v[116:117], v[108:109], v[44:45]
	v_add_f64 v[118:119], v[114:115], v[116:117]
	ds_read_b128 v[114:117], v1 offset:1472
	s_waitcnt lgkmcnt(1)
	v_mul_f64 v[120:121], v[110:111], v[54:55]
	s_waitcnt vmcnt(60)
	v_fmac_f64_e32 v[120:121], v[112:113], v[56:57]
	v_add_f64 v[122:123], v[118:119], v[120:121]
	ds_read_b128 v[118:121], v1 offset:1488
	s_waitcnt lgkmcnt(1)
	v_mul_f64 v[124:125], v[114:115], v[50:51]
	v_fmac_f64_e32 v[124:125], v[116:117], v[52:53]
	v_add_f64 v[126:127], v[122:123], v[124:125]
	ds_read_b128 v[122:125], v1 offset:1504
	s_waitcnt vmcnt(54) lgkmcnt(1)
	v_mul_f64 v[128:129], v[118:119], v[62:63]
	s_waitcnt vmcnt(52)
	v_fmac_f64_e32 v[128:129], v[120:121], v[64:65]
	v_add_f64 v[130:131], v[126:127], v[128:129]
	ds_read_b128 v[126:129], v1 offset:1520
	s_waitcnt lgkmcnt(1)
	v_mul_f64 v[132:133], v[122:123], v[58:59]
	v_fmac_f64_e32 v[132:133], v[124:125], v[60:61]
	v_add_f64 v[2:3], v[2:3], 0
	v_fma_f64 v[4:5], v[6:7], v[28:29], -v[4:5]
	v_add_f64 v[134:135], v[130:131], v[132:133]
	ds_read_b128 v[130:133], v1 offset:1536
	v_add_f64 v[2:3], v[2:3], v[4:5]
	v_mul_f64 v[4:5], v[12:13], v[26:27]
	v_fma_f64 v[4:5], v[10:11], v[30:31], -v[4:5]
	v_add_f64 v[2:3], v[2:3], v[4:5]
	v_mul_f64 v[4:5], v[16:17], v[38:39]
	s_waitcnt vmcnt(46) lgkmcnt(1)
	v_mul_f64 v[136:137], v[126:127], v[70:71]
	v_fma_f64 v[4:5], v[14:15], v[40:41], -v[4:5]
	s_waitcnt vmcnt(44)
	v_fmac_f64_e32 v[136:137], v[128:129], v[72:73]
	v_add_f64 v[2:3], v[2:3], v[4:5]
	v_mul_f64 v[4:5], v[100:101], v[34:35]
	v_add_f64 v[138:139], v[134:135], v[136:137]
	ds_read_b128 v[134:137], v1 offset:1552
	s_waitcnt lgkmcnt(1)
	v_mul_f64 v[140:141], v[130:131], v[66:67]
	v_fma_f64 v[4:5], v[98:99], v[36:37], -v[4:5]
	v_fmac_f64_e32 v[140:141], v[132:133], v[68:69]
	v_add_f64 v[2:3], v[2:3], v[4:5]
	v_mul_f64 v[4:5], v[104:105], v[46:47]
	v_add_f64 v[142:143], v[138:139], v[140:141]
	ds_read_b128 v[138:141], v1 offset:1568
	v_fma_f64 v[4:5], v[102:103], v[48:49], -v[4:5]
	v_add_f64 v[2:3], v[2:3], v[4:5]
	v_mul_f64 v[4:5], v[108:109], v[42:43]
	v_fma_f64 v[4:5], v[106:107], v[44:45], -v[4:5]
	s_waitcnt vmcnt(38) lgkmcnt(1)
	v_mul_f64 v[144:145], v[134:135], v[78:79]
	v_add_f64 v[2:3], v[2:3], v[4:5]
	v_mul_f64 v[4:5], v[112:113], v[54:55]
	s_waitcnt vmcnt(36)
	v_fmac_f64_e32 v[144:145], v[136:137], v[80:81]
	v_fma_f64 v[4:5], v[110:111], v[56:57], -v[4:5]
	v_add_f64 v[146:147], v[142:143], v[144:145]
	ds_read_b128 v[142:145], v1 offset:1584
	s_waitcnt lgkmcnt(1)
	v_mul_f64 v[148:149], v[138:139], v[74:75]
	v_add_f64 v[2:3], v[2:3], v[4:5]
	v_mul_f64 v[4:5], v[116:117], v[50:51]
	v_fmac_f64_e32 v[148:149], v[140:141], v[76:77]
	v_fma_f64 v[4:5], v[114:115], v[52:53], -v[4:5]
	v_add_f64 v[150:151], v[146:147], v[148:149]
	ds_read_b128 v[146:149], v1 offset:1600
	v_add_f64 v[2:3], v[2:3], v[4:5]
	v_mul_f64 v[4:5], v[120:121], v[62:63]
	v_fma_f64 v[4:5], v[118:119], v[64:65], -v[4:5]
	v_add_f64 v[2:3], v[2:3], v[4:5]
	v_mul_f64 v[4:5], v[124:125], v[58:59]
	s_waitcnt vmcnt(30) lgkmcnt(1)
	v_mul_f64 v[152:153], v[142:143], v[86:87]
	v_fma_f64 v[4:5], v[122:123], v[60:61], -v[4:5]
	s_waitcnt vmcnt(28)
	v_fmac_f64_e32 v[152:153], v[144:145], v[88:89]
	v_add_f64 v[2:3], v[2:3], v[4:5]
	v_mul_f64 v[4:5], v[128:129], v[70:71]
	v_add_f64 v[154:155], v[150:151], v[152:153]
	ds_read_b128 v[150:153], v1 offset:1616
	s_waitcnt lgkmcnt(1)
	v_mul_f64 v[156:157], v[146:147], v[82:83]
	v_fma_f64 v[4:5], v[126:127], v[72:73], -v[4:5]
	v_fmac_f64_e32 v[156:157], v[148:149], v[84:85]
	v_add_f64 v[2:3], v[2:3], v[4:5]
	v_mul_f64 v[4:5], v[132:133], v[66:67]
	v_add_f64 v[158:159], v[154:155], v[156:157]
	ds_read_b128 v[154:157], v1 offset:1632
	v_fma_f64 v[4:5], v[130:131], v[68:69], -v[4:5]
	v_add_f64 v[2:3], v[2:3], v[4:5]
	v_mul_f64 v[4:5], v[136:137], v[78:79]
	v_fma_f64 v[4:5], v[134:135], v[80:81], -v[4:5]
	s_waitcnt vmcnt(22) lgkmcnt(1)
	v_mul_f64 v[160:161], v[150:151], v[94:95]
	v_add_f64 v[2:3], v[2:3], v[4:5]
	v_mul_f64 v[4:5], v[140:141], v[74:75]
	s_waitcnt vmcnt(20)
	v_fmac_f64_e32 v[160:161], v[152:153], v[96:97]
	v_fma_f64 v[4:5], v[138:139], v[76:77], -v[4:5]
	v_add_f64 v[162:163], v[158:159], v[160:161]
	ds_read_b128 v[158:161], v1 offset:1648
	s_waitcnt lgkmcnt(1)
	v_mul_f64 v[164:165], v[154:155], v[90:91]
	v_add_f64 v[2:3], v[2:3], v[4:5]
	v_mul_f64 v[4:5], v[144:145], v[86:87]
	v_fmac_f64_e32 v[164:165], v[156:157], v[92:93]
	v_fma_f64 v[4:5], v[142:143], v[88:89], -v[4:5]
	v_add_f64 v[166:167], v[162:163], v[164:165]
	ds_read_b128 v[162:165], v1 offset:1664
	v_add_f64 v[2:3], v[2:3], v[4:5]
	v_mul_f64 v[4:5], v[148:149], v[82:83]
	v_fma_f64 v[4:5], v[146:147], v[84:85], -v[4:5]
	v_add_f64 v[2:3], v[2:3], v[4:5]
	v_mul_f64 v[4:5], v[152:153], v[94:95]
	s_waitcnt vmcnt(14) lgkmcnt(1)
	v_mul_f64 v[168:169], v[158:159], v[182:183]
	v_fma_f64 v[4:5], v[150:151], v[96:97], -v[4:5]
	s_waitcnt vmcnt(12)
	v_fmac_f64_e32 v[168:169], v[160:161], v[184:185]
	v_add_f64 v[2:3], v[2:3], v[4:5]
	v_mul_f64 v[4:5], v[156:157], v[90:91]
	v_add_f64 v[170:171], v[166:167], v[168:169]
	ds_read_b128 v[166:169], v1 offset:1680
	s_waitcnt lgkmcnt(1)
	v_mul_f64 v[172:173], v[162:163], v[178:179]
	v_fma_f64 v[4:5], v[154:155], v[92:93], -v[4:5]
	v_fmac_f64_e32 v[172:173], v[164:165], v[180:181]
	v_add_f64 v[2:3], v[2:3], v[4:5]
	v_mul_f64 v[4:5], v[160:161], v[182:183]
	v_add_f64 v[198:199], v[170:171], v[172:173]
	ds_read_b128 v[170:173], v1 offset:1696
	v_fma_f64 v[4:5], v[158:159], v[184:185], -v[4:5]
	v_add_f64 v[2:3], v[2:3], v[4:5]
	v_mul_f64 v[4:5], v[164:165], v[178:179]
	ds_read_b128 v[174:177], v1 offset:1712
	v_fma_f64 v[4:5], v[162:163], v[180:181], -v[4:5]
	v_add_f64 v[2:3], v[2:3], v[4:5]
	s_waitcnt vmcnt(6) lgkmcnt(2)
	v_mul_f64 v[4:5], v[168:169], v[190:191]
	v_mul_f64 v[200:201], v[166:167], v[190:191]
	s_waitcnt vmcnt(4)
	v_fma_f64 v[4:5], v[166:167], v[192:193], -v[4:5]
	v_fmac_f64_e32 v[200:201], v[168:169], v[192:193]
	v_add_f64 v[2:3], v[2:3], v[4:5]
	s_waitcnt lgkmcnt(1)
	v_mul_f64 v[4:5], v[172:173], v[186:187]
	v_add_f64 v[198:199], v[198:199], v[200:201]
	v_mul_f64 v[200:201], v[170:171], v[186:187]
	v_fma_f64 v[4:5], v[170:171], v[188:189], -v[4:5]
	v_fmac_f64_e32 v[200:201], v[172:173], v[188:189]
	v_add_f64 v[2:3], v[2:3], v[4:5]
	s_waitcnt vmcnt(2) lgkmcnt(0)
	v_mul_f64 v[4:5], v[176:177], v[194:195]
	v_add_f64 v[198:199], v[198:199], v[200:201]
	v_mul_f64 v[200:201], v[174:175], v[194:195]
	s_waitcnt vmcnt(0)
	v_fma_f64 v[4:5], v[174:175], v[196:197], -v[4:5]
	v_fmac_f64_e32 v[200:201], v[176:177], v[196:197]
	v_add_f64 v[2:3], v[2:3], v[4:5]
	v_add_f64 v[198:199], v[198:199], v[200:201]
	v_add_f64 v[2:3], v[20:21], -v[2:3]
	v_add_f64 v[4:5], v[18:19], -v[198:199]
	buffer_store_dword v3, off, s[0:3], 0 offset:484
	buffer_store_dword v2, off, s[0:3], 0 offset:480
	;; [unrolled: 1-line block ×4, first 2 shown]
	s_and_saveexec_b64 s[4:5], vcc
	s_cbranch_execz .LBB53_281
; %bb.280:
	v_accvgpr_read_b32 v1, a133
	buffer_load_dword v2, v1, s[0:3], 0 offen
	buffer_load_dword v3, v1, s[0:3], 0 offen offset:4
	buffer_load_dword v4, v1, s[0:3], 0 offen offset:8
	;; [unrolled: 1-line block ×3, first 2 shown]
	v_mov_b32_e32 v1, 0
	v_accvgpr_read_b32 v6, a161
	buffer_store_dword v1, off, s[0:3], 0 offset:464
	buffer_store_dword v1, off, s[0:3], 0 offset:468
	;; [unrolled: 1-line block ×4, first 2 shown]
	s_waitcnt vmcnt(4)
	ds_write_b128 v6, v[2:5]
.LBB53_281:
	s_or_b64 exec, exec, s[4:5]
	s_waitcnt lgkmcnt(0)
	; wave barrier
	s_waitcnt lgkmcnt(0)
	buffer_load_dword v22, off, s[0:3], 0 offset:480
	buffer_load_dword v23, off, s[0:3], 0 offset:484
	;; [unrolled: 1-line block ×64, first 2 shown]
	v_mov_b32_e32 v1, 0
	ds_read_b128 v[18:21], v1 offset:1328
	ds_read_b128 v[14:17], v1 offset:1344
	;; [unrolled: 1-line block ×5, first 2 shown]
	v_cmp_lt_u32_e32 vcc, 27, v0
	s_waitcnt vmcnt(60) lgkmcnt(4)
	v_mul_f64 v[86:87], v[18:19], v[26:27]
	v_fmac_f64_e32 v[86:87], v[20:21], v[22:23]
	v_add_f64 v[86:87], v[86:87], 0
	v_mul_f64 v[20:21], v[20:21], v[26:27]
	s_waitcnt vmcnt(56) lgkmcnt(3)
	v_mul_f64 v[88:89], v[14:15], v[28:29]
	v_fmac_f64_e32 v[88:89], v[16:17], v[24:25]
	s_waitcnt vmcnt(54) lgkmcnt(2)
	v_mul_f64 v[90:91], v[10:11], v[30:31]
	v_add_f64 v[86:87], v[86:87], v[88:89]
	v_fma_f64 v[18:19], v[18:19], v[22:23], -v[20:21]
	v_mul_f64 v[16:17], v[16:17], v[28:29]
	s_waitcnt vmcnt(50) lgkmcnt(1)
	v_mul_f64 v[102:103], v[6:7], v[40:41]
	v_add_f64 v[18:19], v[18:19], 0
	s_waitcnt vmcnt(48)
	v_fmac_f64_e32 v[90:91], v[12:13], v[44:45]
	v_add_f64 v[104:105], v[86:87], v[90:91]
	buffer_load_dword v87, off, s[0:3], 0 offset:748
	buffer_load_dword v86, off, s[0:3], 0 offset:744
	;; [unrolled: 1-line block ×40, first 2 shown]
	s_waitcnt vmcnt(62)
	v_fmac_f64_e32 v[102:103], v[8:9], v[42:43]
	v_add_f64 v[106:107], v[104:105], v[102:103]
	ds_read_b128 v[102:105], v1 offset:1408
	s_waitcnt lgkmcnt(1)
	v_mul_f64 v[108:109], v[2:3], v[36:37]
	v_fmac_f64_e32 v[108:109], v[4:5], v[38:39]
	v_add_f64 v[110:111], v[106:107], v[108:109]
	ds_read_b128 v[106:109], v1 offset:1424
	s_waitcnt lgkmcnt(1)
	v_mul_f64 v[112:113], v[102:103], v[50:51]
	;; [unrolled: 5-line block ×5, first 2 shown]
	v_fmac_f64_e32 v[124:125], v[116:117], v[56:57]
	v_add_f64 v[126:127], v[122:123], v[124:125]
	ds_read_b128 v[122:125], v1 offset:1488
	s_waitcnt vmcnt(58) lgkmcnt(1)
	v_mul_f64 v[128:129], v[118:119], v[66:67]
	s_waitcnt vmcnt(56)
	v_fmac_f64_e32 v[128:129], v[120:121], v[68:69]
	v_add_f64 v[130:131], v[126:127], v[128:129]
	ds_read_b128 v[126:129], v1 offset:1504
	s_waitcnt lgkmcnt(1)
	v_mul_f64 v[132:133], v[122:123], v[62:63]
	v_fmac_f64_e32 v[132:133], v[124:125], v[64:65]
	v_add_f64 v[134:135], v[130:131], v[132:133]
	ds_read_b128 v[130:133], v1 offset:1520
	s_waitcnt vmcnt(50) lgkmcnt(1)
	v_mul_f64 v[136:137], v[126:127], v[74:75]
	s_waitcnt vmcnt(48)
	v_fmac_f64_e32 v[136:137], v[128:129], v[76:77]
	v_add_f64 v[138:139], v[134:135], v[136:137]
	ds_read_b128 v[134:137], v1 offset:1536
	v_fma_f64 v[14:15], v[14:15], v[24:25], -v[16:17]
	v_mul_f64 v[12:13], v[12:13], v[30:31]
	v_add_f64 v[14:15], v[18:19], v[14:15]
	v_fma_f64 v[10:11], v[10:11], v[44:45], -v[12:13]
	v_mul_f64 v[8:9], v[8:9], v[40:41]
	s_waitcnt lgkmcnt(1)
	v_mul_f64 v[140:141], v[130:131], v[70:71]
	v_add_f64 v[10:11], v[14:15], v[10:11]
	v_fma_f64 v[6:7], v[6:7], v[42:43], -v[8:9]
	v_mul_f64 v[4:5], v[4:5], v[36:37]
	v_fmac_f64_e32 v[140:141], v[132:133], v[72:73]
	v_add_f64 v[6:7], v[10:11], v[6:7]
	v_fma_f64 v[2:3], v[2:3], v[38:39], -v[4:5]
	v_mul_f64 v[4:5], v[104:105], v[50:51]
	v_add_f64 v[142:143], v[138:139], v[140:141]
	ds_read_b128 v[138:141], v1 offset:1552
	s_waitcnt vmcnt(42) lgkmcnt(1)
	v_mul_f64 v[144:145], v[134:135], v[82:83]
	v_add_f64 v[2:3], v[6:7], v[2:3]
	v_fma_f64 v[4:5], v[102:103], v[52:53], -v[4:5]
	s_waitcnt vmcnt(40)
	v_fmac_f64_e32 v[144:145], v[136:137], v[84:85]
	v_add_f64 v[2:3], v[2:3], v[4:5]
	v_mul_f64 v[4:5], v[108:109], v[46:47]
	v_add_f64 v[146:147], v[142:143], v[144:145]
	ds_read_b128 v[142:145], v1 offset:1568
	v_fma_f64 v[4:5], v[106:107], v[48:49], -v[4:5]
	v_add_f64 v[2:3], v[2:3], v[4:5]
	v_mul_f64 v[4:5], v[112:113], v[58:59]
	v_fma_f64 v[4:5], v[110:111], v[60:61], -v[4:5]
	s_waitcnt lgkmcnt(1)
	v_mul_f64 v[148:149], v[138:139], v[78:79]
	v_add_f64 v[2:3], v[2:3], v[4:5]
	v_mul_f64 v[4:5], v[116:117], v[54:55]
	v_fmac_f64_e32 v[148:149], v[140:141], v[80:81]
	v_fma_f64 v[4:5], v[114:115], v[56:57], -v[4:5]
	v_add_f64 v[150:151], v[146:147], v[148:149]
	ds_read_b128 v[146:149], v1 offset:1584
	s_waitcnt vmcnt(34) lgkmcnt(1)
	v_mul_f64 v[152:153], v[142:143], v[90:91]
	v_add_f64 v[2:3], v[2:3], v[4:5]
	v_mul_f64 v[4:5], v[120:121], v[66:67]
	s_waitcnt vmcnt(32)
	v_fmac_f64_e32 v[152:153], v[144:145], v[92:93]
	v_fma_f64 v[4:5], v[118:119], v[68:69], -v[4:5]
	v_add_f64 v[154:155], v[150:151], v[152:153]
	ds_read_b128 v[150:153], v1 offset:1600
	v_add_f64 v[2:3], v[2:3], v[4:5]
	v_mul_f64 v[4:5], v[124:125], v[62:63]
	v_fma_f64 v[4:5], v[122:123], v[64:65], -v[4:5]
	v_add_f64 v[2:3], v[2:3], v[4:5]
	v_mul_f64 v[4:5], v[128:129], v[74:75]
	s_waitcnt lgkmcnt(1)
	v_mul_f64 v[156:157], v[146:147], v[86:87]
	v_fma_f64 v[4:5], v[126:127], v[76:77], -v[4:5]
	v_fmac_f64_e32 v[156:157], v[148:149], v[88:89]
	v_add_f64 v[2:3], v[2:3], v[4:5]
	v_mul_f64 v[4:5], v[132:133], v[70:71]
	v_add_f64 v[158:159], v[154:155], v[156:157]
	ds_read_b128 v[154:157], v1 offset:1616
	s_waitcnt vmcnt(26) lgkmcnt(1)
	v_mul_f64 v[160:161], v[150:151], v[98:99]
	v_fma_f64 v[4:5], v[130:131], v[72:73], -v[4:5]
	s_waitcnt vmcnt(24)
	v_fmac_f64_e32 v[160:161], v[152:153], v[100:101]
	v_add_f64 v[2:3], v[2:3], v[4:5]
	v_mul_f64 v[4:5], v[136:137], v[82:83]
	v_add_f64 v[162:163], v[158:159], v[160:161]
	ds_read_b128 v[158:161], v1 offset:1632
	v_fma_f64 v[4:5], v[134:135], v[84:85], -v[4:5]
	v_add_f64 v[2:3], v[2:3], v[4:5]
	v_mul_f64 v[4:5], v[140:141], v[78:79]
	v_fma_f64 v[4:5], v[138:139], v[80:81], -v[4:5]
	s_waitcnt lgkmcnt(1)
	v_mul_f64 v[164:165], v[154:155], v[94:95]
	v_add_f64 v[2:3], v[2:3], v[4:5]
	v_mul_f64 v[4:5], v[144:145], v[90:91]
	v_fmac_f64_e32 v[164:165], v[156:157], v[96:97]
	v_fma_f64 v[4:5], v[142:143], v[92:93], -v[4:5]
	v_add_f64 v[166:167], v[162:163], v[164:165]
	ds_read_b128 v[162:165], v1 offset:1648
	s_waitcnt vmcnt(18) lgkmcnt(1)
	v_mul_f64 v[168:169], v[158:159], v[186:187]
	v_add_f64 v[2:3], v[2:3], v[4:5]
	v_mul_f64 v[4:5], v[148:149], v[86:87]
	s_waitcnt vmcnt(16)
	v_fmac_f64_e32 v[168:169], v[160:161], v[188:189]
	v_fma_f64 v[4:5], v[146:147], v[88:89], -v[4:5]
	v_add_f64 v[170:171], v[166:167], v[168:169]
	ds_read_b128 v[166:169], v1 offset:1664
	v_add_f64 v[2:3], v[2:3], v[4:5]
	v_mul_f64 v[4:5], v[152:153], v[98:99]
	v_fma_f64 v[4:5], v[150:151], v[100:101], -v[4:5]
	v_add_f64 v[2:3], v[2:3], v[4:5]
	v_mul_f64 v[4:5], v[156:157], v[94:95]
	s_waitcnt lgkmcnt(1)
	v_mul_f64 v[172:173], v[162:163], v[182:183]
	v_fma_f64 v[4:5], v[154:155], v[96:97], -v[4:5]
	v_fmac_f64_e32 v[172:173], v[164:165], v[184:185]
	v_add_f64 v[2:3], v[2:3], v[4:5]
	v_mul_f64 v[4:5], v[160:161], v[186:187]
	v_add_f64 v[174:175], v[170:171], v[172:173]
	ds_read_b128 v[170:173], v1 offset:1680
	s_waitcnt vmcnt(10) lgkmcnt(1)
	v_mul_f64 v[176:177], v[166:167], v[194:195]
	v_fma_f64 v[4:5], v[158:159], v[188:189], -v[4:5]
	s_waitcnt vmcnt(8)
	v_fmac_f64_e32 v[176:177], v[168:169], v[196:197]
	v_add_f64 v[2:3], v[2:3], v[4:5]
	v_mul_f64 v[4:5], v[164:165], v[182:183]
	v_add_f64 v[206:207], v[174:175], v[176:177]
	ds_read_b128 v[174:177], v1 offset:1696
	ds_read_b128 v[178:181], v1 offset:1712
	v_fma_f64 v[4:5], v[162:163], v[184:185], -v[4:5]
	v_add_f64 v[2:3], v[2:3], v[4:5]
	v_mul_f64 v[4:5], v[168:169], v[194:195]
	v_fma_f64 v[4:5], v[166:167], v[196:197], -v[4:5]
	v_add_f64 v[2:3], v[2:3], v[4:5]
	s_waitcnt lgkmcnt(2)
	v_mul_f64 v[4:5], v[172:173], v[190:191]
	v_mul_f64 v[208:209], v[170:171], v[190:191]
	v_fma_f64 v[4:5], v[170:171], v[192:193], -v[4:5]
	v_fmac_f64_e32 v[208:209], v[172:173], v[192:193]
	v_add_f64 v[2:3], v[2:3], v[4:5]
	s_waitcnt vmcnt(2) lgkmcnt(1)
	v_mul_f64 v[4:5], v[176:177], v[202:203]
	v_add_f64 v[206:207], v[206:207], v[208:209]
	v_mul_f64 v[208:209], v[174:175], v[202:203]
	s_waitcnt vmcnt(0)
	v_fma_f64 v[4:5], v[174:175], v[204:205], -v[4:5]
	v_fmac_f64_e32 v[208:209], v[176:177], v[204:205]
	v_add_f64 v[2:3], v[2:3], v[4:5]
	s_waitcnt lgkmcnt(0)
	v_mul_f64 v[4:5], v[180:181], v[198:199]
	v_add_f64 v[206:207], v[206:207], v[208:209]
	v_mul_f64 v[208:209], v[178:179], v[198:199]
	v_fma_f64 v[4:5], v[178:179], v[200:201], -v[4:5]
	v_fmac_f64_e32 v[208:209], v[180:181], v[200:201]
	v_add_f64 v[2:3], v[2:3], v[4:5]
	v_add_f64 v[206:207], v[206:207], v[208:209]
	v_add_f64 v[2:3], v[34:35], -v[2:3]
	v_add_f64 v[4:5], v[32:33], -v[206:207]
	buffer_store_dword v3, off, s[0:3], 0 offset:468
	buffer_store_dword v2, off, s[0:3], 0 offset:464
	;; [unrolled: 1-line block ×4, first 2 shown]
	s_and_saveexec_b64 s[4:5], vcc
	s_cbranch_execz .LBB53_283
; %bb.282:
	v_accvgpr_read_b32 v5, a134
	buffer_load_dword v2, v5, s[0:3], 0 offen
	buffer_load_dword v3, v5, s[0:3], 0 offen offset:4
	buffer_load_dword v4, v5, s[0:3], 0 offen offset:8
	s_nop 0
	buffer_load_dword v5, v5, s[0:3], 0 offen offset:12
	v_accvgpr_read_b32 v6, a161
	buffer_store_dword v1, off, s[0:3], 0 offset:448
	buffer_store_dword v1, off, s[0:3], 0 offset:452
	;; [unrolled: 1-line block ×4, first 2 shown]
	s_waitcnt vmcnt(4)
	ds_write_b128 v6, v[2:5]
.LBB53_283:
	s_or_b64 exec, exec, s[4:5]
	s_waitcnt lgkmcnt(0)
	; wave barrier
	s_waitcnt lgkmcnt(0)
	buffer_load_dword v26, off, s[0:3], 0 offset:464
	buffer_load_dword v27, off, s[0:3], 0 offset:468
	;; [unrolled: 1-line block ×24, first 2 shown]
	ds_read_b128 v[22:25], v1 offset:1312
	ds_read_b128 v[18:21], v1 offset:1328
	;; [unrolled: 1-line block ×6, first 2 shown]
	buffer_load_dword v51, off, s[0:3], 0 offset:572
	buffer_load_dword v50, off, s[0:3], 0 offset:568
	;; [unrolled: 1-line block ×40, first 2 shown]
	v_cmp_lt_u32_e32 vcc, 26, v0
	s_waitcnt vmcnt(34) lgkmcnt(0)
	v_mul_f64 v[120:121], v[14:15], v[54:55]
	s_waitcnt vmcnt(32)
	v_fmac_f64_e32 v[120:121], v[16:17], v[56:57]
	v_mul_f64 v[90:91], v[22:23], v[28:29]
	v_fmac_f64_e32 v[90:91], v[24:25], v[26:27]
	v_mul_f64 v[92:93], v[18:19], v[30:31]
	v_add_f64 v[90:91], v[90:91], 0
	v_mul_f64 v[94:95], v[10:11], v[32:33]
	v_mul_f64 v[24:25], v[24:25], v[28:29]
	;; [unrolled: 1-line block ×3, first 2 shown]
	v_fma_f64 v[22:23], v[22:23], v[26:27], -v[24:25]
	v_add_f64 v[22:23], v[22:23], 0
	v_mul_f64 v[96:97], v[6:7], v[42:43]
	v_fmac_f64_e32 v[92:93], v[20:21], v[48:49]
	v_add_f64 v[90:91], v[90:91], v[92:93]
	v_fmac_f64_e32 v[94:95], v[12:13], v[46:47]
	v_add_f64 v[90:91], v[90:91], v[94:95]
	;; [unrolled: 2-line block ×3, first 2 shown]
	buffer_load_dword v91, off, s[0:3], 0 offset:732
	buffer_load_dword v90, off, s[0:3], 0 offset:728
	;; [unrolled: 1-line block ×40, first 2 shown]
	v_fmac_f64_e32 v[114:115], v[4:5], v[40:41]
	v_add_f64 v[118:119], v[116:117], v[114:115]
	ds_read_b128 v[114:117], v1 offset:1408
	buffer_load_dword v211, off, s[0:3], 0 offset:876
	buffer_load_dword v210, off, s[0:3], 0 offset:872
	;; [unrolled: 1-line block ×4, first 2 shown]
	v_add_f64 v[122:123], v[118:119], v[120:121]
	ds_read_b128 v[118:121], v1 offset:1424
	v_mul_f64 v[20:21], v[20:21], v[30:31]
	s_waitcnt lgkmcnt(1)
	v_mul_f64 v[124:125], v[114:115], v[50:51]
	v_fmac_f64_e32 v[124:125], v[116:117], v[52:53]
	v_add_f64 v[126:127], v[122:123], v[124:125]
	ds_read_b128 v[122:125], v1 offset:1440
	s_waitcnt vmcnt(62) lgkmcnt(1)
	v_mul_f64 v[128:129], v[118:119], v[62:63]
	v_fmac_f64_e32 v[128:129], v[120:121], v[64:65]
	v_add_f64 v[130:131], v[126:127], v[128:129]
	ds_read_b128 v[126:129], v1 offset:1456
	s_waitcnt lgkmcnt(1)
	v_mul_f64 v[132:133], v[122:123], v[58:59]
	v_fmac_f64_e32 v[132:133], v[124:125], v[60:61]
	v_add_f64 v[134:135], v[130:131], v[132:133]
	ds_read_b128 v[130:133], v1 offset:1472
	s_waitcnt lgkmcnt(1)
	v_mul_f64 v[136:137], v[126:127], v[70:71]
	s_waitcnt vmcnt(60)
	v_fmac_f64_e32 v[136:137], v[128:129], v[72:73]
	v_add_f64 v[138:139], v[134:135], v[136:137]
	ds_read_b128 v[134:137], v1 offset:1488
	s_waitcnt lgkmcnt(1)
	v_mul_f64 v[140:141], v[130:131], v[66:67]
	v_fmac_f64_e32 v[140:141], v[132:133], v[68:69]
	v_add_f64 v[142:143], v[138:139], v[140:141]
	ds_read_b128 v[138:141], v1 offset:1504
	s_waitcnt vmcnt(54) lgkmcnt(1)
	v_mul_f64 v[144:145], v[134:135], v[78:79]
	s_waitcnt vmcnt(52)
	v_fmac_f64_e32 v[144:145], v[136:137], v[80:81]
	v_add_f64 v[146:147], v[142:143], v[144:145]
	ds_read_b128 v[142:145], v1 offset:1520
	s_waitcnt lgkmcnt(1)
	v_mul_f64 v[148:149], v[138:139], v[74:75]
	v_fmac_f64_e32 v[148:149], v[140:141], v[76:77]
	v_fma_f64 v[18:19], v[18:19], v[48:49], -v[20:21]
	v_mul_f64 v[12:13], v[12:13], v[32:33]
	v_add_f64 v[150:151], v[146:147], v[148:149]
	ds_read_b128 v[146:149], v1 offset:1536
	v_add_f64 v[18:19], v[22:23], v[18:19]
	v_fma_f64 v[10:11], v[10:11], v[46:47], -v[12:13]
	v_mul_f64 v[8:9], v[8:9], v[42:43]
	v_add_f64 v[10:11], v[18:19], v[10:11]
	v_fma_f64 v[6:7], v[6:7], v[44:45], -v[8:9]
	v_mul_f64 v[4:5], v[4:5], v[38:39]
	v_add_f64 v[6:7], v[10:11], v[6:7]
	v_fma_f64 v[2:3], v[2:3], v[40:41], -v[4:5]
	v_mul_f64 v[4:5], v[16:17], v[54:55]
	s_waitcnt vmcnt(46) lgkmcnt(1)
	v_mul_f64 v[152:153], v[142:143], v[86:87]
	v_add_f64 v[2:3], v[6:7], v[2:3]
	v_fma_f64 v[4:5], v[14:15], v[56:57], -v[4:5]
	s_waitcnt vmcnt(44)
	v_fmac_f64_e32 v[152:153], v[144:145], v[88:89]
	v_add_f64 v[2:3], v[2:3], v[4:5]
	v_mul_f64 v[4:5], v[116:117], v[50:51]
	v_add_f64 v[154:155], v[150:151], v[152:153]
	ds_read_b128 v[150:153], v1 offset:1552
	s_waitcnt lgkmcnt(1)
	v_mul_f64 v[156:157], v[146:147], v[82:83]
	v_fma_f64 v[4:5], v[114:115], v[52:53], -v[4:5]
	v_fmac_f64_e32 v[156:157], v[148:149], v[84:85]
	v_add_f64 v[2:3], v[2:3], v[4:5]
	v_mul_f64 v[4:5], v[120:121], v[62:63]
	v_add_f64 v[158:159], v[154:155], v[156:157]
	ds_read_b128 v[154:157], v1 offset:1568
	v_fma_f64 v[4:5], v[118:119], v[64:65], -v[4:5]
	v_add_f64 v[2:3], v[2:3], v[4:5]
	v_mul_f64 v[4:5], v[124:125], v[58:59]
	v_fma_f64 v[4:5], v[122:123], v[60:61], -v[4:5]
	s_waitcnt vmcnt(38) lgkmcnt(1)
	v_mul_f64 v[160:161], v[150:151], v[94:95]
	v_add_f64 v[2:3], v[2:3], v[4:5]
	v_mul_f64 v[4:5], v[128:129], v[70:71]
	s_waitcnt vmcnt(36)
	v_fmac_f64_e32 v[160:161], v[152:153], v[96:97]
	v_fma_f64 v[4:5], v[126:127], v[72:73], -v[4:5]
	v_add_f64 v[162:163], v[158:159], v[160:161]
	ds_read_b128 v[158:161], v1 offset:1584
	s_waitcnt lgkmcnt(1)
	v_mul_f64 v[164:165], v[154:155], v[90:91]
	v_add_f64 v[2:3], v[2:3], v[4:5]
	v_mul_f64 v[4:5], v[132:133], v[66:67]
	v_fmac_f64_e32 v[164:165], v[156:157], v[92:93]
	v_fma_f64 v[4:5], v[130:131], v[68:69], -v[4:5]
	v_add_f64 v[166:167], v[162:163], v[164:165]
	ds_read_b128 v[162:165], v1 offset:1600
	v_add_f64 v[2:3], v[2:3], v[4:5]
	v_mul_f64 v[4:5], v[136:137], v[78:79]
	v_fma_f64 v[4:5], v[134:135], v[80:81], -v[4:5]
	v_add_f64 v[2:3], v[2:3], v[4:5]
	v_mul_f64 v[4:5], v[140:141], v[74:75]
	s_waitcnt vmcnt(30) lgkmcnt(1)
	v_mul_f64 v[168:169], v[158:159], v[102:103]
	v_fma_f64 v[4:5], v[138:139], v[76:77], -v[4:5]
	s_waitcnt vmcnt(28)
	v_fmac_f64_e32 v[168:169], v[160:161], v[104:105]
	v_add_f64 v[2:3], v[2:3], v[4:5]
	v_mul_f64 v[4:5], v[144:145], v[86:87]
	v_add_f64 v[170:171], v[166:167], v[168:169]
	ds_read_b128 v[166:169], v1 offset:1616
	s_waitcnt lgkmcnt(1)
	v_mul_f64 v[172:173], v[162:163], v[98:99]
	v_fma_f64 v[4:5], v[142:143], v[88:89], -v[4:5]
	v_fmac_f64_e32 v[172:173], v[164:165], v[100:101]
	v_add_f64 v[2:3], v[2:3], v[4:5]
	v_mul_f64 v[4:5], v[148:149], v[82:83]
	v_add_f64 v[174:175], v[170:171], v[172:173]
	ds_read_b128 v[170:173], v1 offset:1632
	v_fma_f64 v[4:5], v[146:147], v[84:85], -v[4:5]
	v_add_f64 v[2:3], v[2:3], v[4:5]
	v_mul_f64 v[4:5], v[152:153], v[94:95]
	v_fma_f64 v[4:5], v[150:151], v[96:97], -v[4:5]
	s_waitcnt vmcnt(22) lgkmcnt(1)
	v_mul_f64 v[176:177], v[166:167], v[110:111]
	v_add_f64 v[2:3], v[2:3], v[4:5]
	v_mul_f64 v[4:5], v[156:157], v[90:91]
	s_waitcnt vmcnt(20)
	v_fmac_f64_e32 v[176:177], v[168:169], v[112:113]
	v_fma_f64 v[4:5], v[154:155], v[92:93], -v[4:5]
	v_add_f64 v[178:179], v[174:175], v[176:177]
	ds_read_b128 v[174:177], v1 offset:1648
	s_waitcnt lgkmcnt(1)
	v_mul_f64 v[180:181], v[170:171], v[106:107]
	v_add_f64 v[2:3], v[2:3], v[4:5]
	v_mul_f64 v[4:5], v[160:161], v[102:103]
	v_fmac_f64_e32 v[180:181], v[172:173], v[108:109]
	v_fma_f64 v[4:5], v[158:159], v[104:105], -v[4:5]
	v_add_f64 v[182:183], v[178:179], v[180:181]
	ds_read_b128 v[178:181], v1 offset:1664
	v_add_f64 v[2:3], v[2:3], v[4:5]
	v_mul_f64 v[4:5], v[164:165], v[98:99]
	v_fma_f64 v[4:5], v[162:163], v[100:101], -v[4:5]
	v_add_f64 v[2:3], v[2:3], v[4:5]
	v_mul_f64 v[4:5], v[168:169], v[110:111]
	s_waitcnt vmcnt(14) lgkmcnt(1)
	v_mul_f64 v[184:185], v[174:175], v[198:199]
	v_fma_f64 v[4:5], v[166:167], v[112:113], -v[4:5]
	s_waitcnt vmcnt(12)
	v_fmac_f64_e32 v[184:185], v[176:177], v[200:201]
	v_add_f64 v[2:3], v[2:3], v[4:5]
	v_mul_f64 v[4:5], v[172:173], v[106:107]
	v_add_f64 v[186:187], v[182:183], v[184:185]
	ds_read_b128 v[182:185], v1 offset:1680
	s_waitcnt lgkmcnt(1)
	v_mul_f64 v[188:189], v[178:179], v[194:195]
	v_fma_f64 v[4:5], v[170:171], v[108:109], -v[4:5]
	v_fmac_f64_e32 v[188:189], v[180:181], v[196:197]
	v_add_f64 v[2:3], v[2:3], v[4:5]
	v_mul_f64 v[4:5], v[176:177], v[198:199]
	v_add_f64 v[214:215], v[186:187], v[188:189]
	ds_read_b128 v[186:189], v1 offset:1696
	v_fma_f64 v[4:5], v[174:175], v[200:201], -v[4:5]
	v_add_f64 v[2:3], v[2:3], v[4:5]
	v_mul_f64 v[4:5], v[180:181], v[194:195]
	ds_read_b128 v[190:193], v1 offset:1712
	v_fma_f64 v[4:5], v[178:179], v[196:197], -v[4:5]
	v_add_f64 v[2:3], v[2:3], v[4:5]
	s_waitcnt vmcnt(6) lgkmcnt(2)
	v_mul_f64 v[4:5], v[184:185], v[206:207]
	v_mul_f64 v[216:217], v[182:183], v[206:207]
	s_waitcnt vmcnt(4)
	v_fma_f64 v[4:5], v[182:183], v[208:209], -v[4:5]
	v_fmac_f64_e32 v[216:217], v[184:185], v[208:209]
	v_add_f64 v[2:3], v[2:3], v[4:5]
	s_waitcnt lgkmcnt(1)
	v_mul_f64 v[4:5], v[188:189], v[202:203]
	v_add_f64 v[214:215], v[214:215], v[216:217]
	v_mul_f64 v[216:217], v[186:187], v[202:203]
	v_fma_f64 v[4:5], v[186:187], v[204:205], -v[4:5]
	v_fmac_f64_e32 v[216:217], v[188:189], v[204:205]
	v_add_f64 v[2:3], v[2:3], v[4:5]
	s_waitcnt vmcnt(2) lgkmcnt(0)
	v_mul_f64 v[4:5], v[192:193], v[210:211]
	v_add_f64 v[214:215], v[214:215], v[216:217]
	v_mul_f64 v[216:217], v[190:191], v[210:211]
	s_waitcnt vmcnt(0)
	v_fma_f64 v[4:5], v[190:191], v[212:213], -v[4:5]
	v_fmac_f64_e32 v[216:217], v[192:193], v[212:213]
	v_add_f64 v[2:3], v[2:3], v[4:5]
	v_add_f64 v[214:215], v[214:215], v[216:217]
	v_add_f64 v[2:3], v[36:37], -v[2:3]
	v_add_f64 v[4:5], v[34:35], -v[214:215]
	buffer_store_dword v3, off, s[0:3], 0 offset:452
	buffer_store_dword v2, off, s[0:3], 0 offset:448
	buffer_store_dword v5, off, s[0:3], 0 offset:460
	buffer_store_dword v4, off, s[0:3], 0 offset:456
	s_and_saveexec_b64 s[4:5], vcc
	s_cbranch_execz .LBB53_285
; %bb.284:
	v_accvgpr_read_b32 v1, a135
	buffer_load_dword v2, v1, s[0:3], 0 offen
	buffer_load_dword v3, v1, s[0:3], 0 offen offset:4
	buffer_load_dword v4, v1, s[0:3], 0 offen offset:8
	;; [unrolled: 1-line block ×3, first 2 shown]
	v_mov_b32_e32 v1, 0
	v_accvgpr_read_b32 v6, a161
	buffer_store_dword v1, off, s[0:3], 0 offset:432
	buffer_store_dword v1, off, s[0:3], 0 offset:436
	;; [unrolled: 1-line block ×4, first 2 shown]
	s_waitcnt vmcnt(4)
	ds_write_b128 v6, v[2:5]
.LBB53_285:
	s_or_b64 exec, exec, s[4:5]
	s_waitcnt lgkmcnt(0)
	; wave barrier
	s_waitcnt lgkmcnt(0)
	buffer_load_dword v30, off, s[0:3], 0 offset:448
	buffer_load_dword v31, off, s[0:3], 0 offset:452
	;; [unrolled: 1-line block ×56, first 2 shown]
	v_mov_b32_e32 v1, 0
	ds_read_b128 v[26:29], v1 offset:1296
	ds_read_b128 v[22:25], v1 offset:1312
	;; [unrolled: 1-line block ×7, first 2 shown]
	v_cmp_lt_u32_e32 vcc, 25, v0
	s_waitcnt vmcnt(52) lgkmcnt(6)
	v_mul_f64 v[86:87], v[26:27], v[34:35]
	v_fmac_f64_e32 v[86:87], v[28:29], v[30:31]
	v_add_f64 v[86:87], v[86:87], 0
	v_mul_f64 v[28:29], v[28:29], v[34:35]
	s_waitcnt vmcnt(48) lgkmcnt(5)
	v_mul_f64 v[88:89], v[22:23], v[36:37]
	v_fmac_f64_e32 v[88:89], v[24:25], v[32:33]
	s_waitcnt vmcnt(46) lgkmcnt(4)
	v_mul_f64 v[90:91], v[18:19], v[38:39]
	v_add_f64 v[86:87], v[86:87], v[88:89]
	s_waitcnt vmcnt(44) lgkmcnt(2)
	v_mul_f64 v[94:95], v[10:11], v[40:41]
	v_fma_f64 v[26:27], v[26:27], v[30:31], -v[28:29]
	s_waitcnt vmcnt(42)
	v_fmac_f64_e32 v[94:95], v[12:13], v[42:43]
	v_mul_f64 v[24:25], v[24:25], v[36:37]
	s_waitcnt vmcnt(40)
	v_mul_f64 v[92:93], v[14:15], v[48:49]
	v_add_f64 v[26:27], v[26:27], 0
	v_fma_f64 v[22:23], v[22:23], v[32:33], -v[24:25]
	v_add_f64 v[22:23], v[26:27], v[22:23]
	s_waitcnt vmcnt(36) lgkmcnt(1)
	v_mul_f64 v[110:111], v[6:7], v[54:55]
	v_mul_f64 v[12:13], v[12:13], v[40:41]
	s_waitcnt vmcnt(34)
	v_fmac_f64_e32 v[90:91], v[20:21], v[60:61]
	v_add_f64 v[86:87], v[86:87], v[90:91]
	s_waitcnt vmcnt(32)
	v_fmac_f64_e32 v[92:93], v[16:17], v[58:59]
	v_add_f64 v[86:87], v[86:87], v[92:93]
	v_add_f64 v[116:117], v[86:87], v[94:95]
	buffer_load_dword v87, off, s[0:3], 0 offset:684
	buffer_load_dword v86, off, s[0:3], 0 offset:680
	buffer_load_dword v89, off, s[0:3], 0 offset:676
	buffer_load_dword v88, off, s[0:3], 0 offset:672
	buffer_load_dword v91, off, s[0:3], 0 offset:668
	buffer_load_dword v90, off, s[0:3], 0 offset:664
	buffer_load_dword v93, off, s[0:3], 0 offset:660
	buffer_load_dword v92, off, s[0:3], 0 offset:656
	buffer_load_dword v95, off, s[0:3], 0 offset:716
	buffer_load_dword v94, off, s[0:3], 0 offset:712
	buffer_load_dword v97, off, s[0:3], 0 offset:708
	buffer_load_dword v96, off, s[0:3], 0 offset:704
	buffer_load_dword v99, off, s[0:3], 0 offset:700
	buffer_load_dword v98, off, s[0:3], 0 offset:696
	buffer_load_dword v101, off, s[0:3], 0 offset:692
	buffer_load_dword v100, off, s[0:3], 0 offset:688
	buffer_load_dword v103, off, s[0:3], 0 offset:748
	buffer_load_dword v102, off, s[0:3], 0 offset:744
	buffer_load_dword v105, off, s[0:3], 0 offset:740
	buffer_load_dword v104, off, s[0:3], 0 offset:736
	buffer_load_dword v107, off, s[0:3], 0 offset:732
	buffer_load_dword v106, off, s[0:3], 0 offset:728
	buffer_load_dword v109, off, s[0:3], 0 offset:724
	buffer_load_dword v108, off, s[0:3], 0 offset:720
	buffer_load_dword v113, off, s[0:3], 0 offset:780
	buffer_load_dword v112, off, s[0:3], 0 offset:776
	buffer_load_dword v115, off, s[0:3], 0 offset:772
	buffer_load_dword v114, off, s[0:3], 0 offset:768
	buffer_load_dword v119, off, s[0:3], 0 offset:764
	buffer_load_dword v118, off, s[0:3], 0 offset:760
	buffer_load_dword v121, off, s[0:3], 0 offset:756
	buffer_load_dword v120, off, s[0:3], 0 offset:752
	buffer_load_dword v123, off, s[0:3], 0 offset:812
	buffer_load_dword v122, off, s[0:3], 0 offset:808
	buffer_load_dword v205, off, s[0:3], 0 offset:804
	buffer_load_dword v204, off, s[0:3], 0 offset:800
	buffer_load_dword v207, off, s[0:3], 0 offset:796
	buffer_load_dword v206, off, s[0:3], 0 offset:792
	buffer_load_dword v209, off, s[0:3], 0 offset:788
	buffer_load_dword v208, off, s[0:3], 0 offset:784
	buffer_load_dword v211, off, s[0:3], 0 offset:844
	buffer_load_dword v210, off, s[0:3], 0 offset:840
	buffer_load_dword v213, off, s[0:3], 0 offset:836
	buffer_load_dword v212, off, s[0:3], 0 offset:832
	buffer_load_dword v215, off, s[0:3], 0 offset:828
	buffer_load_dword v214, off, s[0:3], 0 offset:824
	buffer_load_dword v217, off, s[0:3], 0 offset:820
	buffer_load_dword v216, off, s[0:3], 0 offset:816
	buffer_load_dword v219, off, s[0:3], 0 offset:876
	buffer_load_dword v218, off, s[0:3], 0 offset:872
	buffer_load_dword v221, off, s[0:3], 0 offset:868
	buffer_load_dword v220, off, s[0:3], 0 offset:864
	buffer_load_dword v223, off, s[0:3], 0 offset:860
	buffer_load_dword v222, off, s[0:3], 0 offset:856
	buffer_load_dword v225, off, s[0:3], 0 offset:852
	buffer_load_dword v224, off, s[0:3], 0 offset:848
	ds_read_b128 v[124:127], v1 offset:1408
	ds_read_b128 v[128:131], v1 offset:1424
	v_mul_f64 v[20:21], v[20:21], v[38:39]
	v_fma_f64 v[18:19], v[18:19], v[60:61], -v[20:21]
	v_mul_f64 v[16:17], v[16:17], v[48:49]
	s_waitcnt vmcnt(62)
	v_fmac_f64_e32 v[110:111], v[8:9], v[56:57]
	v_add_f64 v[18:19], v[22:23], v[18:19]
	v_fma_f64 v[14:15], v[14:15], v[58:59], -v[16:17]
	v_add_f64 v[110:111], v[116:117], v[110:111]
	s_waitcnt lgkmcnt(2)
	v_mul_f64 v[116:117], v[2:3], v[50:51]
	v_add_f64 v[14:15], v[18:19], v[14:15]
	v_fma_f64 v[10:11], v[10:11], v[42:43], -v[12:13]
	v_mul_f64 v[8:9], v[8:9], v[54:55]
	v_fmac_f64_e32 v[116:117], v[4:5], v[52:53]
	ds_read_b128 v[132:135], v1 offset:1440
	ds_read_b128 v[136:139], v1 offset:1456
	v_add_f64 v[10:11], v[14:15], v[10:11]
	v_fma_f64 v[6:7], v[6:7], v[56:57], -v[8:9]
	v_mul_f64 v[4:5], v[4:5], v[50:51]
	v_add_f64 v[6:7], v[10:11], v[6:7]
	v_fma_f64 v[2:3], v[2:3], v[52:53], -v[4:5]
	s_waitcnt lgkmcnt(3)
	v_mul_f64 v[4:5], v[126:127], v[66:67]
	v_add_f64 v[110:111], v[110:111], v[116:117]
	v_mul_f64 v[116:117], v[124:125], v[66:67]
	v_add_f64 v[2:3], v[6:7], v[2:3]
	v_fma_f64 v[4:5], v[124:125], v[68:69], -v[4:5]
	v_fmac_f64_e32 v[116:117], v[126:127], v[68:69]
	v_add_f64 v[2:3], v[2:3], v[4:5]
	s_waitcnt lgkmcnt(2)
	v_mul_f64 v[4:5], v[130:131], v[62:63]
	v_add_f64 v[110:111], v[110:111], v[116:117]
	v_mul_f64 v[116:117], v[128:129], v[62:63]
	ds_read_b128 v[140:143], v1 offset:1472
	ds_read_b128 v[144:147], v1 offset:1488
	v_fma_f64 v[4:5], v[128:129], v[64:65], -v[4:5]
	v_fmac_f64_e32 v[116:117], v[130:131], v[64:65]
	v_add_f64 v[2:3], v[2:3], v[4:5]
	s_waitcnt lgkmcnt(3)
	v_mul_f64 v[4:5], v[134:135], v[74:75]
	v_add_f64 v[110:111], v[110:111], v[116:117]
	v_mul_f64 v[116:117], v[132:133], v[74:75]
	v_fma_f64 v[4:5], v[132:133], v[76:77], -v[4:5]
	v_fmac_f64_e32 v[116:117], v[134:135], v[76:77]
	v_add_f64 v[2:3], v[2:3], v[4:5]
	s_waitcnt lgkmcnt(2)
	v_mul_f64 v[4:5], v[138:139], v[70:71]
	v_add_f64 v[110:111], v[110:111], v[116:117]
	v_mul_f64 v[116:117], v[136:137], v[70:71]
	ds_read_b128 v[148:151], v1 offset:1504
	ds_read_b128 v[152:155], v1 offset:1520
	v_fma_f64 v[4:5], v[136:137], v[72:73], -v[4:5]
	v_fmac_f64_e32 v[116:117], v[138:139], v[72:73]
	v_add_f64 v[2:3], v[2:3], v[4:5]
	s_waitcnt vmcnt(58) lgkmcnt(3)
	v_mul_f64 v[4:5], v[142:143], v[82:83]
	v_add_f64 v[110:111], v[110:111], v[116:117]
	v_mul_f64 v[116:117], v[140:141], v[82:83]
	s_waitcnt vmcnt(56)
	v_fma_f64 v[4:5], v[140:141], v[84:85], -v[4:5]
	v_fmac_f64_e32 v[116:117], v[142:143], v[84:85]
	v_add_f64 v[2:3], v[2:3], v[4:5]
	s_waitcnt lgkmcnt(2)
	v_mul_f64 v[4:5], v[146:147], v[78:79]
	v_add_f64 v[110:111], v[110:111], v[116:117]
	v_mul_f64 v[116:117], v[144:145], v[78:79]
	ds_read_b128 v[156:159], v1 offset:1536
	ds_read_b128 v[160:163], v1 offset:1552
	v_fma_f64 v[4:5], v[144:145], v[80:81], -v[4:5]
	v_fmac_f64_e32 v[116:117], v[146:147], v[80:81]
	v_add_f64 v[2:3], v[2:3], v[4:5]
	s_waitcnt vmcnt(50) lgkmcnt(3)
	v_mul_f64 v[4:5], v[150:151], v[90:91]
	v_add_f64 v[110:111], v[110:111], v[116:117]
	v_mul_f64 v[116:117], v[148:149], v[90:91]
	s_waitcnt vmcnt(48)
	;; [unrolled: 17-line block ×7, first 2 shown]
	v_fma_f64 v[4:5], v[188:189], v[216:217], -v[4:5]
	v_fmac_f64_e32 v[116:117], v[190:191], v[216:217]
	v_add_f64 v[2:3], v[2:3], v[4:5]
	s_waitcnt lgkmcnt(2)
	v_mul_f64 v[4:5], v[194:195], v[210:211]
	v_add_f64 v[110:111], v[110:111], v[116:117]
	v_mul_f64 v[116:117], v[192:193], v[210:211]
	v_fma_f64 v[4:5], v[192:193], v[212:213], -v[4:5]
	v_fmac_f64_e32 v[116:117], v[194:195], v[212:213]
	v_add_f64 v[2:3], v[2:3], v[4:5]
	s_waitcnt vmcnt(2) lgkmcnt(1)
	v_mul_f64 v[4:5], v[198:199], v[222:223]
	v_add_f64 v[110:111], v[110:111], v[116:117]
	v_mul_f64 v[116:117], v[196:197], v[222:223]
	s_waitcnt vmcnt(0)
	v_fma_f64 v[4:5], v[196:197], v[224:225], -v[4:5]
	v_fmac_f64_e32 v[116:117], v[198:199], v[224:225]
	v_add_f64 v[2:3], v[2:3], v[4:5]
	s_waitcnt lgkmcnt(0)
	v_mul_f64 v[4:5], v[202:203], v[218:219]
	v_add_f64 v[110:111], v[110:111], v[116:117]
	v_mul_f64 v[116:117], v[200:201], v[218:219]
	v_fma_f64 v[4:5], v[200:201], v[220:221], -v[4:5]
	v_fmac_f64_e32 v[116:117], v[202:203], v[220:221]
	v_add_f64 v[2:3], v[2:3], v[4:5]
	v_add_f64 v[110:111], v[110:111], v[116:117]
	v_add_f64 v[2:3], v[46:47], -v[2:3]
	v_add_f64 v[4:5], v[44:45], -v[110:111]
	buffer_store_dword v3, off, s[0:3], 0 offset:436
	buffer_store_dword v2, off, s[0:3], 0 offset:432
	;; [unrolled: 1-line block ×4, first 2 shown]
	s_and_saveexec_b64 s[4:5], vcc
	s_cbranch_execz .LBB53_287
; %bb.286:
	v_accvgpr_read_b32 v5, a136
	buffer_load_dword v2, v5, s[0:3], 0 offen
	buffer_load_dword v3, v5, s[0:3], 0 offen offset:4
	buffer_load_dword v4, v5, s[0:3], 0 offen offset:8
	s_nop 0
	buffer_load_dword v5, v5, s[0:3], 0 offen offset:12
	v_accvgpr_read_b32 v6, a161
	buffer_store_dword v1, off, s[0:3], 0 offset:416
	buffer_store_dword v1, off, s[0:3], 0 offset:420
	;; [unrolled: 1-line block ×4, first 2 shown]
	s_waitcnt vmcnt(4)
	ds_write_b128 v6, v[2:5]
.LBB53_287:
	s_or_b64 exec, exec, s[4:5]
	s_waitcnt lgkmcnt(0)
	; wave barrier
	s_waitcnt lgkmcnt(0)
	buffer_load_dword v34, off, s[0:3], 0 offset:432
	buffer_load_dword v35, off, s[0:3], 0 offset:436
	;; [unrolled: 1-line block ×32, first 2 shown]
	ds_read_b128 v[30:33], v1 offset:1280
	ds_read_b128 v[26:29], v1 offset:1296
	;; [unrolled: 1-line block ×8, first 2 shown]
	buffer_load_dword v67, off, s[0:3], 0 offset:572
	buffer_load_dword v66, off, s[0:3], 0 offset:568
	;; [unrolled: 1-line block ×24, first 2 shown]
	v_cmp_lt_u32_e32 vcc, 24, v0
	s_waitcnt vmcnt(52) lgkmcnt(7)
	v_mul_f64 v[90:91], v[30:31], v[38:39]
	v_fmac_f64_e32 v[90:91], v[32:33], v[34:35]
	v_add_f64 v[90:91], v[90:91], 0
	v_mul_f64 v[32:33], v[32:33], v[38:39]
	s_waitcnt vmcnt(48) lgkmcnt(6)
	v_mul_f64 v[92:93], v[26:27], v[40:41]
	v_fmac_f64_e32 v[92:93], v[28:29], v[36:37]
	s_waitcnt vmcnt(46) lgkmcnt(5)
	v_mul_f64 v[94:95], v[22:23], v[42:43]
	v_add_f64 v[90:91], v[90:91], v[92:93]
	s_waitcnt vmcnt(44) lgkmcnt(4)
	v_mul_f64 v[96:97], v[18:19], v[48:49]
	v_fma_f64 v[30:31], v[30:31], v[34:35], -v[32:33]
	s_waitcnt vmcnt(42) lgkmcnt(1)
	v_mul_f64 v[122:123], v[2:3], v[50:51]
	v_mul_f64 v[28:29], v[28:29], v[40:41]
	s_waitcnt vmcnt(18) lgkmcnt(0)
	v_mul_f64 v[136:137], v[14:15], v[70:71]
	v_mul_f64 v[100:101], v[6:7], v[54:55]
	s_waitcnt vmcnt(16)
	v_fmac_f64_e32 v[136:137], v[16:17], v[72:73]
	v_mul_f64 v[98:99], v[10:11], v[56:57]
	v_add_f64 v[30:31], v[30:31], 0
	v_fmac_f64_e32 v[98:99], v[12:13], v[58:59]
	v_fma_f64 v[26:27], v[26:27], v[36:37], -v[28:29]
	v_fmac_f64_e32 v[94:95], v[24:25], v[64:65]
	v_add_f64 v[90:91], v[90:91], v[94:95]
	v_fmac_f64_e32 v[96:97], v[20:21], v[62:63]
	v_add_f64 v[90:91], v[90:91], v[96:97]
	;; [unrolled: 2-line block ×3, first 2 shown]
	v_add_f64 v[124:125], v[90:91], v[100:101]
	buffer_load_dword v91, off, s[0:3], 0 offset:668
	buffer_load_dword v90, off, s[0:3], 0 offset:664
	;; [unrolled: 1-line block ×56, first 2 shown]
	v_fmac_f64_e32 v[122:123], v[4:5], v[52:53]
	v_add_f64 v[134:135], v[124:125], v[122:123]
	ds_read_b128 v[122:125], v1 offset:1408
	buffer_load_dword v227, off, s[0:3], 0 offset:876
	buffer_load_dword v226, off, s[0:3], 0 offset:872
	;; [unrolled: 1-line block ×4, first 2 shown]
	v_add_f64 v[138:139], v[134:135], v[136:137]
	ds_read_b128 v[134:137], v1 offset:1424
	v_mul_f64 v[24:25], v[24:25], v[42:43]
	s_waitcnt lgkmcnt(1)
	v_mul_f64 v[140:141], v[122:123], v[66:67]
	v_fmac_f64_e32 v[140:141], v[124:125], v[68:69]
	v_add_f64 v[142:143], v[138:139], v[140:141]
	ds_read_b128 v[138:141], v1 offset:1440
	s_waitcnt vmcnt(62) lgkmcnt(1)
	v_mul_f64 v[144:145], v[134:135], v[78:79]
	v_fmac_f64_e32 v[144:145], v[136:137], v[80:81]
	v_add_f64 v[146:147], v[142:143], v[144:145]
	ds_read_b128 v[142:145], v1 offset:1456
	s_waitcnt lgkmcnt(1)
	v_mul_f64 v[148:149], v[138:139], v[74:75]
	v_fmac_f64_e32 v[148:149], v[140:141], v[76:77]
	v_add_f64 v[150:151], v[146:147], v[148:149]
	ds_read_b128 v[146:149], v1 offset:1472
	s_waitcnt lgkmcnt(1)
	v_mul_f64 v[152:153], v[142:143], v[86:87]
	s_waitcnt vmcnt(60)
	v_fmac_f64_e32 v[152:153], v[144:145], v[88:89]
	v_add_f64 v[154:155], v[150:151], v[152:153]
	ds_read_b128 v[150:153], v1 offset:1488
	s_waitcnt lgkmcnt(1)
	v_mul_f64 v[156:157], v[146:147], v[82:83]
	v_fmac_f64_e32 v[156:157], v[148:149], v[84:85]
	v_add_f64 v[158:159], v[154:155], v[156:157]
	ds_read_b128 v[154:157], v1 offset:1504
	v_add_f64 v[26:27], v[30:31], v[26:27]
	v_fma_f64 v[22:23], v[22:23], v[64:65], -v[24:25]
	s_waitcnt vmcnt(54) lgkmcnt(1)
	v_mul_f64 v[160:161], v[150:151], v[94:95]
	v_mul_f64 v[20:21], v[20:21], v[48:49]
	s_waitcnt vmcnt(52)
	v_fmac_f64_e32 v[160:161], v[152:153], v[96:97]
	v_add_f64 v[162:163], v[158:159], v[160:161]
	ds_read_b128 v[158:161], v1 offset:1520
	s_waitcnt lgkmcnt(1)
	v_mul_f64 v[164:165], v[154:155], v[90:91]
	v_fmac_f64_e32 v[164:165], v[156:157], v[92:93]
	v_add_f64 v[22:23], v[26:27], v[22:23]
	v_fma_f64 v[18:19], v[18:19], v[62:63], -v[20:21]
	v_mul_f64 v[12:13], v[12:13], v[56:57]
	v_add_f64 v[166:167], v[162:163], v[164:165]
	ds_read_b128 v[162:165], v1 offset:1536
	v_add_f64 v[18:19], v[22:23], v[18:19]
	v_fma_f64 v[10:11], v[10:11], v[58:59], -v[12:13]
	v_mul_f64 v[8:9], v[8:9], v[54:55]
	v_add_f64 v[10:11], v[18:19], v[10:11]
	v_fma_f64 v[6:7], v[6:7], v[60:61], -v[8:9]
	v_mul_f64 v[4:5], v[4:5], v[50:51]
	;; [unrolled: 3-line block ×3, first 2 shown]
	s_waitcnt vmcnt(46) lgkmcnt(1)
	v_mul_f64 v[168:169], v[158:159], v[102:103]
	v_add_f64 v[2:3], v[6:7], v[2:3]
	v_fma_f64 v[4:5], v[14:15], v[72:73], -v[4:5]
	s_waitcnt vmcnt(44)
	v_fmac_f64_e32 v[168:169], v[160:161], v[104:105]
	v_add_f64 v[2:3], v[2:3], v[4:5]
	v_mul_f64 v[4:5], v[124:125], v[66:67]
	v_add_f64 v[170:171], v[166:167], v[168:169]
	ds_read_b128 v[166:169], v1 offset:1552
	s_waitcnt lgkmcnt(1)
	v_mul_f64 v[172:173], v[162:163], v[98:99]
	v_fma_f64 v[4:5], v[122:123], v[68:69], -v[4:5]
	v_fmac_f64_e32 v[172:173], v[164:165], v[100:101]
	v_add_f64 v[2:3], v[2:3], v[4:5]
	v_mul_f64 v[4:5], v[136:137], v[78:79]
	v_add_f64 v[174:175], v[170:171], v[172:173]
	ds_read_b128 v[170:173], v1 offset:1568
	v_fma_f64 v[4:5], v[134:135], v[80:81], -v[4:5]
	v_add_f64 v[2:3], v[2:3], v[4:5]
	v_mul_f64 v[4:5], v[140:141], v[74:75]
	v_fma_f64 v[4:5], v[138:139], v[76:77], -v[4:5]
	s_waitcnt vmcnt(38) lgkmcnt(1)
	v_mul_f64 v[176:177], v[166:167], v[110:111]
	v_add_f64 v[2:3], v[2:3], v[4:5]
	v_mul_f64 v[4:5], v[144:145], v[86:87]
	s_waitcnt vmcnt(36)
	v_fmac_f64_e32 v[176:177], v[168:169], v[112:113]
	v_fma_f64 v[4:5], v[142:143], v[88:89], -v[4:5]
	v_add_f64 v[178:179], v[174:175], v[176:177]
	ds_read_b128 v[174:177], v1 offset:1584
	s_waitcnt lgkmcnt(1)
	v_mul_f64 v[180:181], v[170:171], v[106:107]
	v_add_f64 v[2:3], v[2:3], v[4:5]
	v_mul_f64 v[4:5], v[148:149], v[82:83]
	v_fmac_f64_e32 v[180:181], v[172:173], v[108:109]
	v_fma_f64 v[4:5], v[146:147], v[84:85], -v[4:5]
	v_add_f64 v[182:183], v[178:179], v[180:181]
	ds_read_b128 v[178:181], v1 offset:1600
	v_add_f64 v[2:3], v[2:3], v[4:5]
	v_mul_f64 v[4:5], v[152:153], v[94:95]
	v_fma_f64 v[4:5], v[150:151], v[96:97], -v[4:5]
	v_add_f64 v[2:3], v[2:3], v[4:5]
	v_mul_f64 v[4:5], v[156:157], v[90:91]
	s_waitcnt vmcnt(30) lgkmcnt(1)
	v_mul_f64 v[184:185], v[174:175], v[118:119]
	v_fma_f64 v[4:5], v[154:155], v[92:93], -v[4:5]
	s_waitcnt vmcnt(28)
	v_fmac_f64_e32 v[184:185], v[176:177], v[120:121]
	v_add_f64 v[2:3], v[2:3], v[4:5]
	v_mul_f64 v[4:5], v[160:161], v[102:103]
	v_add_f64 v[186:187], v[182:183], v[184:185]
	ds_read_b128 v[182:185], v1 offset:1616
	s_waitcnt lgkmcnt(1)
	v_mul_f64 v[188:189], v[178:179], v[114:115]
	v_fma_f64 v[4:5], v[158:159], v[104:105], -v[4:5]
	v_fmac_f64_e32 v[188:189], v[180:181], v[116:117]
	v_add_f64 v[2:3], v[2:3], v[4:5]
	v_mul_f64 v[4:5], v[164:165], v[98:99]
	v_add_f64 v[190:191], v[186:187], v[188:189]
	ds_read_b128 v[186:189], v1 offset:1632
	v_fma_f64 v[4:5], v[162:163], v[100:101], -v[4:5]
	v_add_f64 v[2:3], v[2:3], v[4:5]
	v_mul_f64 v[4:5], v[168:169], v[110:111]
	v_fma_f64 v[4:5], v[166:167], v[112:113], -v[4:5]
	s_waitcnt vmcnt(22) lgkmcnt(1)
	v_mul_f64 v[192:193], v[182:183], v[130:131]
	v_add_f64 v[2:3], v[2:3], v[4:5]
	v_mul_f64 v[4:5], v[172:173], v[106:107]
	s_waitcnt vmcnt(20)
	v_fmac_f64_e32 v[192:193], v[184:185], v[132:133]
	v_fma_f64 v[4:5], v[170:171], v[108:109], -v[4:5]
	v_add_f64 v[194:195], v[190:191], v[192:193]
	ds_read_b128 v[190:193], v1 offset:1648
	s_waitcnt lgkmcnt(1)
	v_mul_f64 v[196:197], v[186:187], v[126:127]
	v_add_f64 v[2:3], v[2:3], v[4:5]
	v_mul_f64 v[4:5], v[176:177], v[118:119]
	v_fmac_f64_e32 v[196:197], v[188:189], v[128:129]
	v_fma_f64 v[4:5], v[174:175], v[120:121], -v[4:5]
	v_add_f64 v[198:199], v[194:195], v[196:197]
	ds_read_b128 v[194:197], v1 offset:1664
	v_add_f64 v[2:3], v[2:3], v[4:5]
	v_mul_f64 v[4:5], v[180:181], v[114:115]
	v_fma_f64 v[4:5], v[178:179], v[116:117], -v[4:5]
	v_add_f64 v[2:3], v[2:3], v[4:5]
	v_mul_f64 v[4:5], v[184:185], v[130:131]
	s_waitcnt vmcnt(14) lgkmcnt(1)
	v_mul_f64 v[200:201], v[190:191], v[214:215]
	v_fma_f64 v[4:5], v[182:183], v[132:133], -v[4:5]
	s_waitcnt vmcnt(12)
	v_fmac_f64_e32 v[200:201], v[192:193], v[216:217]
	v_add_f64 v[2:3], v[2:3], v[4:5]
	v_mul_f64 v[4:5], v[188:189], v[126:127]
	v_add_f64 v[202:203], v[198:199], v[200:201]
	ds_read_b128 v[198:201], v1 offset:1680
	s_waitcnt lgkmcnt(1)
	v_mul_f64 v[204:205], v[194:195], v[210:211]
	v_fma_f64 v[4:5], v[186:187], v[128:129], -v[4:5]
	v_fmac_f64_e32 v[204:205], v[196:197], v[212:213]
	v_add_f64 v[2:3], v[2:3], v[4:5]
	v_mul_f64 v[4:5], v[192:193], v[214:215]
	v_add_f64 v[230:231], v[202:203], v[204:205]
	ds_read_b128 v[202:205], v1 offset:1696
	v_fma_f64 v[4:5], v[190:191], v[216:217], -v[4:5]
	v_add_f64 v[2:3], v[2:3], v[4:5]
	v_mul_f64 v[4:5], v[196:197], v[210:211]
	ds_read_b128 v[206:209], v1 offset:1712
	v_fma_f64 v[4:5], v[194:195], v[212:213], -v[4:5]
	v_add_f64 v[2:3], v[2:3], v[4:5]
	s_waitcnt vmcnt(6) lgkmcnt(2)
	v_mul_f64 v[4:5], v[200:201], v[222:223]
	v_mul_f64 v[232:233], v[198:199], v[222:223]
	s_waitcnt vmcnt(4)
	v_fma_f64 v[4:5], v[198:199], v[224:225], -v[4:5]
	v_fmac_f64_e32 v[232:233], v[200:201], v[224:225]
	v_add_f64 v[2:3], v[2:3], v[4:5]
	s_waitcnt lgkmcnt(1)
	v_mul_f64 v[4:5], v[204:205], v[218:219]
	v_add_f64 v[230:231], v[230:231], v[232:233]
	v_mul_f64 v[232:233], v[202:203], v[218:219]
	v_fma_f64 v[4:5], v[202:203], v[220:221], -v[4:5]
	v_fmac_f64_e32 v[232:233], v[204:205], v[220:221]
	v_add_f64 v[2:3], v[2:3], v[4:5]
	s_waitcnt vmcnt(2) lgkmcnt(0)
	v_mul_f64 v[4:5], v[208:209], v[226:227]
	v_add_f64 v[230:231], v[230:231], v[232:233]
	v_mul_f64 v[232:233], v[206:207], v[226:227]
	s_waitcnt vmcnt(0)
	v_fma_f64 v[4:5], v[206:207], v[228:229], -v[4:5]
	v_fmac_f64_e32 v[232:233], v[208:209], v[228:229]
	v_add_f64 v[2:3], v[2:3], v[4:5]
	v_add_f64 v[230:231], v[230:231], v[232:233]
	v_add_f64 v[2:3], v[46:47], -v[2:3]
	v_add_f64 v[4:5], v[44:45], -v[230:231]
	buffer_store_dword v3, off, s[0:3], 0 offset:420
	buffer_store_dword v2, off, s[0:3], 0 offset:416
	;; [unrolled: 1-line block ×4, first 2 shown]
	s_and_saveexec_b64 s[4:5], vcc
	s_cbranch_execz .LBB53_289
; %bb.288:
	v_accvgpr_read_b32 v1, a137
	buffer_load_dword v2, v1, s[0:3], 0 offen
	buffer_load_dword v3, v1, s[0:3], 0 offen offset:4
	buffer_load_dword v4, v1, s[0:3], 0 offen offset:8
	;; [unrolled: 1-line block ×3, first 2 shown]
	v_mov_b32_e32 v1, 0
	v_accvgpr_read_b32 v6, a161
	buffer_store_dword v1, off, s[0:3], 0 offset:400
	buffer_store_dword v1, off, s[0:3], 0 offset:404
	;; [unrolled: 1-line block ×4, first 2 shown]
	s_waitcnt vmcnt(4)
	ds_write_b128 v6, v[2:5]
.LBB53_289:
	s_or_b64 exec, exec, s[4:5]
	s_waitcnt lgkmcnt(0)
	; wave barrier
	s_waitcnt lgkmcnt(0)
	buffer_load_dword v38, off, s[0:3], 0 offset:416
	buffer_load_dword v39, off, s[0:3], 0 offset:420
	;; [unrolled: 1-line block ×48, first 2 shown]
	v_mov_b32_e32 v1, 0
	ds_read_b128 v[34:37], v1 offset:1264
	ds_read_b128 v[30:33], v1 offset:1280
	;; [unrolled: 1-line block ×9, first 2 shown]
	v_cmp_lt_u32_e32 vcc, 23, v0
	s_waitcnt vmcnt(44) lgkmcnt(8)
	v_mul_f64 v[86:87], v[34:35], v[42:43]
	v_fmac_f64_e32 v[86:87], v[36:37], v[38:39]
	v_add_f64 v[86:87], v[86:87], 0
	v_mul_f64 v[36:37], v[36:37], v[42:43]
	s_waitcnt vmcnt(40) lgkmcnt(7)
	v_mul_f64 v[88:89], v[30:31], v[44:45]
	v_fmac_f64_e32 v[88:89], v[32:33], v[40:41]
	s_waitcnt vmcnt(38) lgkmcnt(6)
	v_mul_f64 v[90:91], v[26:27], v[46:47]
	v_add_f64 v[86:87], v[86:87], v[88:89]
	s_waitcnt vmcnt(36) lgkmcnt(4)
	v_mul_f64 v[94:95], v[18:19], v[48:49]
	v_fma_f64 v[34:35], v[34:35], v[38:39], -v[36:37]
	s_waitcnt vmcnt(34)
	v_fmac_f64_e32 v[94:95], v[20:21], v[50:51]
	v_mul_f64 v[32:33], v[32:33], v[44:45]
	s_waitcnt vmcnt(32)
	v_mul_f64 v[92:93], v[22:23], v[52:53]
	v_add_f64 v[34:35], v[34:35], 0
	s_waitcnt vmcnt(30) lgkmcnt(2)
	v_mul_f64 v[98:99], v[10:11], v[54:55]
	v_fma_f64 v[30:31], v[30:31], v[40:41], -v[32:33]
	s_waitcnt vmcnt(28)
	v_fmac_f64_e32 v[98:99], v[12:13], v[56:57]
	v_add_f64 v[30:31], v[34:35], v[30:31]
	s_waitcnt vmcnt(26)
	v_mul_f64 v[96:97], v[14:15], v[58:59]
	v_mul_f64 v[20:21], v[20:21], v[48:49]
	v_fma_f64 v[18:19], v[18:19], v[50:51], -v[20:21]
	v_mul_f64 v[12:13], v[12:13], v[54:55]
	s_waitcnt vmcnt(22) lgkmcnt(1)
	v_mul_f64 v[110:111], v[6:7], v[68:69]
	v_fma_f64 v[10:11], v[10:11], v[56:57], -v[12:13]
	s_waitcnt vmcnt(20)
	v_fmac_f64_e32 v[90:91], v[28:29], v[76:77]
	v_add_f64 v[86:87], v[86:87], v[90:91]
	s_waitcnt vmcnt(18)
	v_fmac_f64_e32 v[92:93], v[24:25], v[74:75]
	v_add_f64 v[86:87], v[86:87], v[92:93]
	s_waitcnt vmcnt(16)
	v_fmac_f64_e32 v[96:97], v[16:17], v[72:73]
	v_add_f64 v[86:87], v[86:87], v[94:95]
	v_add_f64 v[86:87], v[86:87], v[96:97]
	v_add_f64 v[112:113], v[86:87], v[98:99]
	buffer_load_dword v87, off, s[0:3], 0 offset:620
	buffer_load_dword v86, off, s[0:3], 0 offset:616
	;; [unrolled: 1-line block ×72, first 2 shown]
	s_waitcnt vmcnt(62)
	v_fmac_f64_e32 v[110:111], v[8:9], v[70:71]
	v_add_f64 v[142:143], v[112:113], v[110:111]
	ds_read_b128 v[110:113], v1 offset:1408
	s_waitcnt lgkmcnt(1)
	v_mul_f64 v[144:145], v[2:3], v[64:65]
	v_fmac_f64_e32 v[144:145], v[4:5], v[66:67]
	v_add_f64 v[146:147], v[142:143], v[144:145]
	ds_read_b128 v[142:145], v1 offset:1424
	s_waitcnt lgkmcnt(1)
	v_mul_f64 v[148:149], v[110:111], v[82:83]
	;; [unrolled: 5-line block ×5, first 2 shown]
	v_fmac_f64_e32 v[160:161], v[152:153], v[88:89]
	v_add_f64 v[162:163], v[158:159], v[160:161]
	ds_read_b128 v[158:161], v1 offset:1488
	s_waitcnt vmcnt(58) lgkmcnt(1)
	v_mul_f64 v[164:165], v[154:155], v[98:99]
	s_waitcnt vmcnt(56)
	v_fmac_f64_e32 v[164:165], v[156:157], v[100:101]
	v_add_f64 v[166:167], v[162:163], v[164:165]
	ds_read_b128 v[162:165], v1 offset:1504
	s_waitcnt lgkmcnt(1)
	v_mul_f64 v[168:169], v[158:159], v[94:95]
	v_fmac_f64_e32 v[168:169], v[160:161], v[96:97]
	v_mul_f64 v[28:29], v[28:29], v[46:47]
	v_add_f64 v[170:171], v[166:167], v[168:169]
	ds_read_b128 v[166:169], v1 offset:1520
	s_waitcnt vmcnt(50) lgkmcnt(1)
	v_mul_f64 v[172:173], v[162:163], v[106:107]
	v_fma_f64 v[26:27], v[26:27], v[76:77], -v[28:29]
	v_mul_f64 v[24:25], v[24:25], v[52:53]
	s_waitcnt vmcnt(48)
	v_fmac_f64_e32 v[172:173], v[164:165], v[108:109]
	v_add_f64 v[26:27], v[30:31], v[26:27]
	v_fma_f64 v[22:23], v[22:23], v[74:75], -v[24:25]
	v_add_f64 v[174:175], v[170:171], v[172:173]
	ds_read_b128 v[170:173], v1 offset:1536
	v_add_f64 v[22:23], v[26:27], v[22:23]
	v_mul_f64 v[16:17], v[16:17], v[58:59]
	v_add_f64 v[18:19], v[22:23], v[18:19]
	v_fma_f64 v[14:15], v[14:15], v[72:73], -v[16:17]
	v_add_f64 v[14:15], v[18:19], v[14:15]
	v_mul_f64 v[8:9], v[8:9], v[68:69]
	s_waitcnt lgkmcnt(1)
	v_mul_f64 v[176:177], v[166:167], v[102:103]
	v_add_f64 v[10:11], v[14:15], v[10:11]
	v_fma_f64 v[6:7], v[6:7], v[70:71], -v[8:9]
	v_mul_f64 v[4:5], v[4:5], v[64:65]
	v_fmac_f64_e32 v[176:177], v[168:169], v[104:105]
	v_add_f64 v[6:7], v[10:11], v[6:7]
	v_fma_f64 v[2:3], v[2:3], v[66:67], -v[4:5]
	v_mul_f64 v[4:5], v[112:113], v[82:83]
	v_add_f64 v[178:179], v[174:175], v[176:177]
	ds_read_b128 v[174:177], v1 offset:1552
	s_waitcnt vmcnt(42) lgkmcnt(1)
	v_mul_f64 v[180:181], v[170:171], v[118:119]
	v_add_f64 v[2:3], v[6:7], v[2:3]
	v_fma_f64 v[4:5], v[110:111], v[84:85], -v[4:5]
	s_waitcnt vmcnt(40)
	v_fmac_f64_e32 v[180:181], v[172:173], v[120:121]
	v_add_f64 v[2:3], v[2:3], v[4:5]
	v_mul_f64 v[4:5], v[144:145], v[78:79]
	v_add_f64 v[182:183], v[178:179], v[180:181]
	ds_read_b128 v[178:181], v1 offset:1568
	v_fma_f64 v[4:5], v[142:143], v[80:81], -v[4:5]
	v_add_f64 v[2:3], v[2:3], v[4:5]
	v_mul_f64 v[4:5], v[148:149], v[90:91]
	v_fma_f64 v[4:5], v[146:147], v[92:93], -v[4:5]
	s_waitcnt lgkmcnt(1)
	v_mul_f64 v[184:185], v[174:175], v[114:115]
	v_add_f64 v[2:3], v[2:3], v[4:5]
	v_mul_f64 v[4:5], v[152:153], v[86:87]
	v_fmac_f64_e32 v[184:185], v[176:177], v[116:117]
	v_fma_f64 v[4:5], v[150:151], v[88:89], -v[4:5]
	v_add_f64 v[186:187], v[182:183], v[184:185]
	ds_read_b128 v[182:185], v1 offset:1584
	s_waitcnt vmcnt(34) lgkmcnt(1)
	v_mul_f64 v[188:189], v[178:179], v[126:127]
	v_add_f64 v[2:3], v[2:3], v[4:5]
	v_mul_f64 v[4:5], v[156:157], v[98:99]
	s_waitcnt vmcnt(32)
	v_fmac_f64_e32 v[188:189], v[180:181], v[128:129]
	v_fma_f64 v[4:5], v[154:155], v[100:101], -v[4:5]
	v_add_f64 v[190:191], v[186:187], v[188:189]
	ds_read_b128 v[186:189], v1 offset:1600
	v_add_f64 v[2:3], v[2:3], v[4:5]
	v_mul_f64 v[4:5], v[160:161], v[94:95]
	v_fma_f64 v[4:5], v[158:159], v[96:97], -v[4:5]
	v_add_f64 v[2:3], v[2:3], v[4:5]
	v_mul_f64 v[4:5], v[164:165], v[106:107]
	s_waitcnt lgkmcnt(1)
	v_mul_f64 v[192:193], v[182:183], v[122:123]
	v_fma_f64 v[4:5], v[162:163], v[108:109], -v[4:5]
	v_fmac_f64_e32 v[192:193], v[184:185], v[124:125]
	v_add_f64 v[2:3], v[2:3], v[4:5]
	v_mul_f64 v[4:5], v[168:169], v[102:103]
	v_add_f64 v[194:195], v[190:191], v[192:193]
	ds_read_b128 v[190:193], v1 offset:1616
	s_waitcnt vmcnt(26) lgkmcnt(1)
	v_mul_f64 v[196:197], v[186:187], v[134:135]
	v_fma_f64 v[4:5], v[166:167], v[104:105], -v[4:5]
	s_waitcnt vmcnt(24)
	v_fmac_f64_e32 v[196:197], v[188:189], v[136:137]
	v_add_f64 v[2:3], v[2:3], v[4:5]
	v_mul_f64 v[4:5], v[172:173], v[118:119]
	v_add_f64 v[198:199], v[194:195], v[196:197]
	ds_read_b128 v[194:197], v1 offset:1632
	v_fma_f64 v[4:5], v[170:171], v[120:121], -v[4:5]
	v_add_f64 v[2:3], v[2:3], v[4:5]
	v_mul_f64 v[4:5], v[176:177], v[114:115]
	v_fma_f64 v[4:5], v[174:175], v[116:117], -v[4:5]
	s_waitcnt lgkmcnt(1)
	v_mul_f64 v[200:201], v[190:191], v[130:131]
	v_add_f64 v[2:3], v[2:3], v[4:5]
	v_mul_f64 v[4:5], v[180:181], v[126:127]
	v_fmac_f64_e32 v[200:201], v[192:193], v[132:133]
	v_fma_f64 v[4:5], v[178:179], v[128:129], -v[4:5]
	v_add_f64 v[202:203], v[198:199], v[200:201]
	ds_read_b128 v[198:201], v1 offset:1648
	s_waitcnt vmcnt(18) lgkmcnt(1)
	v_mul_f64 v[204:205], v[194:195], v[214:215]
	v_add_f64 v[2:3], v[2:3], v[4:5]
	v_mul_f64 v[4:5], v[184:185], v[122:123]
	s_waitcnt vmcnt(16)
	v_fmac_f64_e32 v[204:205], v[196:197], v[216:217]
	v_fma_f64 v[4:5], v[182:183], v[124:125], -v[4:5]
	v_add_f64 v[206:207], v[202:203], v[204:205]
	ds_read_b128 v[202:205], v1 offset:1664
	v_add_f64 v[2:3], v[2:3], v[4:5]
	v_mul_f64 v[4:5], v[188:189], v[134:135]
	v_fma_f64 v[4:5], v[186:187], v[136:137], -v[4:5]
	v_add_f64 v[2:3], v[2:3], v[4:5]
	v_mul_f64 v[4:5], v[192:193], v[130:131]
	s_waitcnt lgkmcnt(1)
	v_mul_f64 v[208:209], v[198:199], v[138:139]
	v_fma_f64 v[4:5], v[190:191], v[132:133], -v[4:5]
	v_fmac_f64_e32 v[208:209], v[200:201], v[140:141]
	v_add_f64 v[2:3], v[2:3], v[4:5]
	v_mul_f64 v[4:5], v[196:197], v[214:215]
	v_add_f64 v[210:211], v[206:207], v[208:209]
	ds_read_b128 v[206:209], v1 offset:1680
	s_waitcnt vmcnt(10) lgkmcnt(1)
	v_mul_f64 v[212:213], v[202:203], v[222:223]
	v_fma_f64 v[4:5], v[194:195], v[216:217], -v[4:5]
	s_waitcnt vmcnt(8)
	v_fmac_f64_e32 v[212:213], v[204:205], v[224:225]
	v_add_f64 v[2:3], v[2:3], v[4:5]
	v_mul_f64 v[4:5], v[200:201], v[138:139]
	v_add_f64 v[238:239], v[210:211], v[212:213]
	ds_read_b128 v[210:213], v1 offset:1696
	ds_read_b128 v[226:229], v1 offset:1712
	v_fma_f64 v[4:5], v[198:199], v[140:141], -v[4:5]
	v_add_f64 v[2:3], v[2:3], v[4:5]
	v_mul_f64 v[4:5], v[204:205], v[222:223]
	v_fma_f64 v[4:5], v[202:203], v[224:225], -v[4:5]
	v_add_f64 v[2:3], v[2:3], v[4:5]
	s_waitcnt lgkmcnt(2)
	v_mul_f64 v[4:5], v[208:209], v[218:219]
	v_mul_f64 v[240:241], v[206:207], v[218:219]
	v_fma_f64 v[4:5], v[206:207], v[220:221], -v[4:5]
	v_fmac_f64_e32 v[240:241], v[208:209], v[220:221]
	v_add_f64 v[2:3], v[2:3], v[4:5]
	s_waitcnt vmcnt(2) lgkmcnt(1)
	v_mul_f64 v[4:5], v[212:213], v[234:235]
	v_add_f64 v[238:239], v[238:239], v[240:241]
	v_mul_f64 v[240:241], v[210:211], v[234:235]
	s_waitcnt vmcnt(0)
	v_fma_f64 v[4:5], v[210:211], v[236:237], -v[4:5]
	v_fmac_f64_e32 v[240:241], v[212:213], v[236:237]
	v_add_f64 v[2:3], v[2:3], v[4:5]
	s_waitcnt lgkmcnt(0)
	v_mul_f64 v[4:5], v[228:229], v[230:231]
	v_add_f64 v[238:239], v[238:239], v[240:241]
	v_mul_f64 v[240:241], v[226:227], v[230:231]
	v_fma_f64 v[4:5], v[226:227], v[232:233], -v[4:5]
	v_fmac_f64_e32 v[240:241], v[228:229], v[232:233]
	v_add_f64 v[2:3], v[2:3], v[4:5]
	v_add_f64 v[238:239], v[238:239], v[240:241]
	v_add_f64 v[2:3], v[62:63], -v[2:3]
	v_add_f64 v[4:5], v[60:61], -v[238:239]
	buffer_store_dword v3, off, s[0:3], 0 offset:404
	buffer_store_dword v2, off, s[0:3], 0 offset:400
	;; [unrolled: 1-line block ×4, first 2 shown]
	s_and_saveexec_b64 s[4:5], vcc
	s_cbranch_execz .LBB53_291
; %bb.290:
	v_accvgpr_read_b32 v5, a138
	buffer_load_dword v2, v5, s[0:3], 0 offen
	buffer_load_dword v3, v5, s[0:3], 0 offen offset:4
	buffer_load_dword v4, v5, s[0:3], 0 offen offset:8
	s_nop 0
	buffer_load_dword v5, v5, s[0:3], 0 offen offset:12
	v_accvgpr_read_b32 v6, a161
	buffer_store_dword v1, off, s[0:3], 0 offset:384
	buffer_store_dword v1, off, s[0:3], 0 offset:388
	;; [unrolled: 1-line block ×4, first 2 shown]
	s_waitcnt vmcnt(4)
	ds_write_b128 v6, v[2:5]
.LBB53_291:
	s_or_b64 exec, exec, s[4:5]
	s_waitcnt lgkmcnt(0)
	; wave barrier
	s_waitcnt lgkmcnt(0)
	buffer_load_dword v48, off, s[0:3], 0 offset:400
	buffer_load_dword v49, off, s[0:3], 0 offset:404
	;; [unrolled: 1-line block ×40, first 2 shown]
	ds_read_b128 v[38:41], v1 offset:1248
	ds_read_b128 v[34:37], v1 offset:1264
	;; [unrolled: 1-line block ×10, first 2 shown]
	buffer_load_dword v83, off, s[0:3], 0 offset:572
	buffer_load_dword v82, off, s[0:3], 0 offset:568
	;; [unrolled: 1-line block ×8, first 2 shown]
	v_cmp_lt_u32_e32 vcc, 22, v0
	s_waitcnt vmcnt(44) lgkmcnt(9)
	v_mul_f64 v[90:91], v[38:39], v[50:51]
	v_fmac_f64_e32 v[90:91], v[40:41], v[48:49]
	v_add_f64 v[90:91], v[90:91], 0
	v_mul_f64 v[40:41], v[40:41], v[50:51]
	s_waitcnt vmcnt(40) lgkmcnt(8)
	v_mul_f64 v[92:93], v[34:35], v[44:45]
	v_fmac_f64_e32 v[92:93], v[36:37], v[42:43]
	s_waitcnt vmcnt(38) lgkmcnt(7)
	v_mul_f64 v[94:95], v[30:31], v[46:47]
	v_add_f64 v[90:91], v[90:91], v[92:93]
	s_waitcnt vmcnt(36) lgkmcnt(5)
	v_mul_f64 v[98:99], v[22:23], v[52:53]
	v_mul_f64 v[36:37], v[36:37], v[44:45]
	s_waitcnt vmcnt(34)
	v_fmac_f64_e32 v[98:99], v[24:25], v[54:55]
	v_fma_f64 v[34:35], v[34:35], v[42:43], -v[36:37]
	s_waitcnt vmcnt(32)
	v_mul_f64 v[96:97], v[26:27], v[56:57]
	v_mul_f64 v[24:25], v[24:25], v[52:53]
	s_waitcnt vmcnt(30) lgkmcnt(4)
	v_mul_f64 v[100:101], v[18:19], v[62:63]
	v_fma_f64 v[22:23], v[22:23], v[54:55], -v[24:25]
	s_waitcnt vmcnt(28) lgkmcnt(1)
	v_mul_f64 v[122:123], v[2:3], v[64:65]
	s_waitcnt vmcnt(25)
	v_mul_f64 v[104:105], v[6:7], v[68:69]
	s_waitcnt vmcnt(23)
	;; [unrolled: 2-line block ×3, first 2 shown]
	v_fmac_f64_e32 v[102:103], v[12:13], v[72:73]
	v_mul_f64 v[12:13], v[12:13], v[70:71]
	s_waitcnt vmcnt(19)
	v_fmac_f64_e32 v[94:95], v[32:33], v[80:81]
	v_add_f64 v[90:91], v[90:91], v[94:95]
	s_waitcnt vmcnt(17)
	v_fmac_f64_e32 v[96:97], v[28:29], v[78:79]
	v_add_f64 v[90:91], v[90:91], v[96:97]
	;; [unrolled: 3-line block ×3, first 2 shown]
	v_add_f64 v[90:91], v[90:91], v[100:101]
	s_waitcnt vmcnt(13)
	v_fmac_f64_e32 v[104:105], v[8:9], v[74:75]
	v_add_f64 v[90:91], v[90:91], v[102:103]
	v_add_f64 v[124:125], v[90:91], v[104:105]
	buffer_load_dword v91, off, s[0:3], 0 offset:604
	buffer_load_dword v90, off, s[0:3], 0 offset:600
	;; [unrolled: 1-line block ×72, first 2 shown]
	s_waitcnt vmcnt(62)
	v_fmac_f64_e32 v[122:123], v[4:5], v[66:67]
	v_add_f64 v[150:151], v[124:125], v[122:123]
	ds_read_b128 v[122:125], v1 offset:1408
	s_waitcnt lgkmcnt(1)
	v_mul_f64 v[152:153], v[14:15], v[86:87]
	v_fmac_f64_e32 v[152:153], v[16:17], v[88:89]
	buffer_load_dword v235, off, s[0:3], 0 offset:876
	buffer_load_dword v234, off, s[0:3], 0 offset:872
	;; [unrolled: 1-line block ×4, first 2 shown]
	v_add_f64 v[154:155], v[150:151], v[152:153]
	s_waitcnt lgkmcnt(0)
	v_mul_f64 v[156:157], v[122:123], v[82:83]
	ds_read_b128 v[150:153], v1 offset:1424
	v_fmac_f64_e32 v[156:157], v[124:125], v[84:85]
	v_add_f64 v[158:159], v[154:155], v[156:157]
	ds_read_b128 v[154:157], v1 offset:1440
	v_mul_f64 v[32:33], v[32:33], v[46:47]
	s_waitcnt lgkmcnt(1)
	v_mul_f64 v[160:161], v[150:151], v[94:95]
	v_fma_f64 v[30:31], v[30:31], v[80:81], -v[32:33]
	v_fmac_f64_e32 v[160:161], v[152:153], v[96:97]
	s_waitcnt lgkmcnt(0)
	v_mul_f64 v[164:165], v[154:155], v[90:91]
	v_add_f64 v[162:163], v[158:159], v[160:161]
	ds_read_b128 v[158:161], v1 offset:1456
	v_fmac_f64_e32 v[164:165], v[156:157], v[92:93]
	v_add_f64 v[166:167], v[162:163], v[164:165]
	ds_read_b128 v[162:165], v1 offset:1472
	v_mul_f64 v[28:29], v[28:29], v[56:57]
	s_waitcnt vmcnt(62) lgkmcnt(1)
	v_mul_f64 v[168:169], v[158:159], v[102:103]
	s_waitcnt vmcnt(60)
	v_fmac_f64_e32 v[168:169], v[160:161], v[104:105]
	v_add_f64 v[170:171], v[166:167], v[168:169]
	s_waitcnt lgkmcnt(0)
	v_mul_f64 v[172:173], v[162:163], v[98:99]
	ds_read_b128 v[166:169], v1 offset:1488
	v_fmac_f64_e32 v[172:173], v[164:165], v[100:101]
	v_add_f64 v[174:175], v[170:171], v[172:173]
	ds_read_b128 v[170:173], v1 offset:1504
	v_fma_f64 v[26:27], v[26:27], v[78:79], -v[28:29]
	s_waitcnt vmcnt(54) lgkmcnt(1)
	v_mul_f64 v[176:177], v[166:167], v[110:111]
	s_waitcnt vmcnt(52)
	v_fmac_f64_e32 v[176:177], v[168:169], v[112:113]
	v_add_f64 v[178:179], v[174:175], v[176:177]
	s_waitcnt lgkmcnt(0)
	v_mul_f64 v[180:181], v[170:171], v[106:107]
	ds_read_b128 v[174:177], v1 offset:1520
	v_fmac_f64_e32 v[180:181], v[172:173], v[108:109]
	v_add_f64 v[182:183], v[178:179], v[180:181]
	ds_read_b128 v[178:181], v1 offset:1536
	v_mul_f64 v[20:21], v[20:21], v[62:63]
	s_waitcnt vmcnt(46) lgkmcnt(1)
	v_mul_f64 v[184:185], v[174:175], v[118:119]
	s_waitcnt vmcnt(44)
	v_fmac_f64_e32 v[184:185], v[176:177], v[120:121]
	v_add_f64 v[186:187], v[182:183], v[184:185]
	s_waitcnt lgkmcnt(0)
	v_mul_f64 v[188:189], v[178:179], v[114:115]
	ds_read_b128 v[182:185], v1 offset:1552
	v_fmac_f64_e32 v[188:189], v[180:181], v[116:117]
	v_add_f64 v[190:191], v[186:187], v[188:189]
	ds_read_b128 v[186:189], v1 offset:1568
	v_fma_f64 v[18:19], v[18:19], v[76:77], -v[20:21]
	s_waitcnt vmcnt(38) lgkmcnt(1)
	v_mul_f64 v[192:193], v[182:183], v[130:131]
	s_waitcnt vmcnt(36)
	v_fmac_f64_e32 v[192:193], v[184:185], v[132:133]
	v_add_f64 v[194:195], v[190:191], v[192:193]
	s_waitcnt lgkmcnt(0)
	v_mul_f64 v[196:197], v[186:187], v[126:127]
	ds_read_b128 v[190:193], v1 offset:1584
	v_fmac_f64_e32 v[196:197], v[188:189], v[128:129]
	v_add_f64 v[198:199], v[194:195], v[196:197]
	ds_read_b128 v[194:197], v1 offset:1600
	v_fma_f64 v[10:11], v[10:11], v[72:73], -v[12:13]
	s_waitcnt vmcnt(30) lgkmcnt(1)
	v_mul_f64 v[200:201], v[190:191], v[138:139]
	s_waitcnt vmcnt(28)
	v_fmac_f64_e32 v[200:201], v[192:193], v[140:141]
	v_add_f64 v[202:203], v[198:199], v[200:201]
	s_waitcnt lgkmcnt(0)
	v_mul_f64 v[204:205], v[194:195], v[134:135]
	ds_read_b128 v[198:201], v1 offset:1616
	v_fmac_f64_e32 v[204:205], v[196:197], v[136:137]
	v_add_f64 v[206:207], v[202:203], v[204:205]
	ds_read_b128 v[202:205], v1 offset:1632
	v_mul_f64 v[8:9], v[8:9], v[68:69]
	s_waitcnt vmcnt(22) lgkmcnt(1)
	v_mul_f64 v[208:209], v[198:199], v[146:147]
	s_waitcnt vmcnt(20)
	v_fmac_f64_e32 v[208:209], v[200:201], v[148:149]
	v_add_f64 v[210:211], v[206:207], v[208:209]
	s_waitcnt lgkmcnt(0)
	v_mul_f64 v[212:213], v[202:203], v[142:143]
	ds_read_b128 v[206:209], v1 offset:1648
	v_fmac_f64_e32 v[212:213], v[204:205], v[144:145]
	v_add_f64 v[226:227], v[210:211], v[212:213]
	ds_read_b128 v[210:213], v1 offset:1664
	v_fma_f64 v[6:7], v[6:7], v[74:75], -v[8:9]
	s_waitcnt vmcnt(14) lgkmcnt(1)
	v_mul_f64 v[228:229], v[206:207], v[218:219]
	s_waitcnt vmcnt(12)
	v_fmac_f64_e32 v[228:229], v[208:209], v[220:221]
	v_add_f64 v[238:239], v[226:227], v[228:229]
	s_waitcnt lgkmcnt(0)
	v_mul_f64 v[240:241], v[210:211], v[214:215]
	v_fmac_f64_e32 v[240:241], v[212:213], v[216:217]
	v_add_f64 v[238:239], v[238:239], v[240:241]
	v_fma_f64 v[240:241], v[38:39], v[48:49], -v[40:41]
	v_add_f64 v[240:241], v[240:241], 0
	v_add_f64 v[34:35], v[240:241], v[34:35]
	v_add_f64 v[30:31], v[34:35], v[30:31]
	v_add_f64 v[26:27], v[30:31], v[26:27]
	v_add_f64 v[22:23], v[26:27], v[22:23]
	v_add_f64 v[18:19], v[22:23], v[18:19]
	v_add_f64 v[10:11], v[18:19], v[10:11]
	v_mul_f64 v[4:5], v[4:5], v[64:65]
	v_add_f64 v[6:7], v[10:11], v[6:7]
	v_fma_f64 v[2:3], v[2:3], v[66:67], -v[4:5]
	v_mul_f64 v[4:5], v[16:17], v[86:87]
	v_add_f64 v[2:3], v[6:7], v[2:3]
	v_fma_f64 v[4:5], v[14:15], v[88:89], -v[4:5]
	v_add_f64 v[2:3], v[2:3], v[4:5]
	v_mul_f64 v[4:5], v[124:125], v[82:83]
	v_fma_f64 v[4:5], v[122:123], v[84:85], -v[4:5]
	v_add_f64 v[2:3], v[2:3], v[4:5]
	v_mul_f64 v[4:5], v[152:153], v[94:95]
	;; [unrolled: 3-line block ×15, first 2 shown]
	ds_read_b128 v[226:229], v1 offset:1680
	ds_read_b128 v[38:41], v1 offset:1696
	v_fma_f64 v[4:5], v[202:203], v[144:145], -v[4:5]
	v_add_f64 v[2:3], v[2:3], v[4:5]
	v_mul_f64 v[4:5], v[208:209], v[218:219]
	v_fma_f64 v[4:5], v[206:207], v[220:221], -v[4:5]
	v_add_f64 v[2:3], v[2:3], v[4:5]
	v_mul_f64 v[4:5], v[212:213], v[214:215]
	ds_read_b128 v[48:51], v1 offset:1712
	v_fma_f64 v[4:5], v[210:211], v[216:217], -v[4:5]
	v_add_f64 v[2:3], v[2:3], v[4:5]
	s_waitcnt vmcnt(6) lgkmcnt(2)
	v_mul_f64 v[4:5], v[228:229], v[230:231]
	v_mul_f64 v[242:243], v[226:227], v[230:231]
	s_waitcnt vmcnt(4)
	v_fma_f64 v[4:5], v[226:227], v[232:233], -v[4:5]
	v_fmac_f64_e32 v[242:243], v[228:229], v[232:233]
	v_add_f64 v[2:3], v[2:3], v[4:5]
	s_waitcnt lgkmcnt(1)
	v_mul_f64 v[4:5], v[40:41], v[222:223]
	v_add_f64 v[238:239], v[238:239], v[242:243]
	v_mul_f64 v[242:243], v[38:39], v[222:223]
	v_fma_f64 v[4:5], v[38:39], v[224:225], -v[4:5]
	v_fmac_f64_e32 v[242:243], v[40:41], v[224:225]
	v_add_f64 v[2:3], v[2:3], v[4:5]
	s_waitcnt vmcnt(2) lgkmcnt(0)
	v_mul_f64 v[4:5], v[50:51], v[234:235]
	v_add_f64 v[238:239], v[238:239], v[242:243]
	v_mul_f64 v[242:243], v[48:49], v[234:235]
	s_waitcnt vmcnt(0)
	v_fma_f64 v[4:5], v[48:49], v[236:237], -v[4:5]
	v_fmac_f64_e32 v[242:243], v[50:51], v[236:237]
	v_add_f64 v[2:3], v[2:3], v[4:5]
	v_add_f64 v[238:239], v[238:239], v[242:243]
	v_add_f64 v[2:3], v[60:61], -v[2:3]
	v_add_f64 v[4:5], v[58:59], -v[238:239]
	buffer_store_dword v3, off, s[0:3], 0 offset:388
	buffer_store_dword v2, off, s[0:3], 0 offset:384
	;; [unrolled: 1-line block ×4, first 2 shown]
	s_and_saveexec_b64 s[4:5], vcc
	s_cbranch_execz .LBB53_293
; %bb.292:
	v_accvgpr_read_b32 v1, a139
	buffer_load_dword v2, v1, s[0:3], 0 offen
	buffer_load_dword v3, v1, s[0:3], 0 offen offset:4
	buffer_load_dword v4, v1, s[0:3], 0 offen offset:8
	;; [unrolled: 1-line block ×3, first 2 shown]
	v_mov_b32_e32 v1, 0
	v_accvgpr_read_b32 v6, a161
	buffer_store_dword v1, off, s[0:3], 0 offset:368
	buffer_store_dword v1, off, s[0:3], 0 offset:372
	;; [unrolled: 1-line block ×4, first 2 shown]
	s_waitcnt vmcnt(4)
	ds_write_b128 v6, v[2:5]
.LBB53_293:
	s_or_b64 exec, exec, s[4:5]
	s_waitcnt lgkmcnt(0)
	; wave barrier
	s_waitcnt lgkmcnt(0)
	buffer_load_dword v106, off, s[0:3], 0 offset:384
	buffer_load_dword v107, off, s[0:3], 0 offset:388
	;; [unrolled: 1-line block ×49, first 2 shown]
	v_mov_b32_e32 v1, 0
	ds_read_b128 v[110:113], v1 offset:1232
	ds_read_b128 v[250:253], v1 offset:1248
	;; [unrolled: 1-line block ×10, first 2 shown]
	buffer_load_dword v158, off, s[0:3], 0 offset:576
	buffer_load_dword v173, off, s[0:3], 0 offset:572
	;; [unrolled: 1-line block ×69, first 2 shown]
	v_cmp_lt_u32_e32 vcc, 21, v0
	s_waitcnt vmcnt(62) lgkmcnt(9)
	v_mul_f64 v[34:35], v[110:111], v[108:109]
	v_fmac_f64_e32 v[34:35], v[112:113], v[106:107]
	v_add_f64 v[34:35], v[34:35], 0
	v_mul_f64 v[108:109], v[112:113], v[108:109]
	s_waitcnt lgkmcnt(8)
	v_mul_f64 v[36:37], v[250:251], v[116:117]
	v_fmac_f64_e32 v[36:37], v[252:253], v[114:115]
	s_waitcnt lgkmcnt(7)
	v_mul_f64 v[38:39], v[30:31], v[118:119]
	v_add_f64 v[34:35], v[34:35], v[36:37]
	s_waitcnt lgkmcnt(5)
	v_mul_f64 v[42:43], v[22:23], v[120:121]
	v_mul_f64 v[116:117], v[252:253], v[116:117]
	v_fmac_f64_e32 v[42:43], v[24:25], v[122:123]
	v_fma_f64 v[248:249], v[110:111], v[106:107], -v[108:109]
	v_mul_f64 v[40:41], v[26:27], v[124:125]
	v_fma_f64 v[250:251], v[250:251], v[114:115], -v[116:117]
	s_waitcnt lgkmcnt(3)
	v_mul_f64 v[46:47], v[14:15], v[126:127]
	v_mul_f64 v[24:25], v[24:25], v[120:121]
	v_fmac_f64_e32 v[46:47], v[16:17], v[128:129]
	v_fma_f64 v[22:23], v[22:23], v[122:123], -v[24:25]
	v_mul_f64 v[44:45], v[18:19], v[130:131]
	v_mul_f64 v[16:17], v[16:17], v[126:127]
	s_waitcnt lgkmcnt(1)
	v_mul_f64 v[50:51], v[6:7], v[132:133]
	v_fma_f64 v[14:15], v[14:15], v[128:129], -v[16:17]
	v_fmac_f64_e32 v[50:51], v[8:9], v[134:135]
	v_mul_f64 v[8:9], v[8:9], v[132:133]
	v_mul_f64 v[48:49], v[10:11], v[140:141]
	v_fma_f64 v[6:7], v[6:7], v[134:135], -v[8:9]
	s_waitcnt lgkmcnt(0)
	v_mul_f64 v[52:53], v[2:3], v[136:137]
	v_fmac_f64_e32 v[38:39], v[32:33], v[152:153]
	v_add_f64 v[34:35], v[34:35], v[38:39]
	v_fmac_f64_e32 v[40:41], v[28:29], v[150:151]
	v_add_f64 v[34:35], v[34:35], v[40:41]
	;; [unrolled: 2-line block ×3, first 2 shown]
	v_add_f64 v[34:35], v[34:35], v[44:45]
	v_fmac_f64_e32 v[48:49], v[12:13], v[146:147]
	v_add_f64 v[34:35], v[34:35], v[46:47]
	v_add_f64 v[34:35], v[34:35], v[48:49]
	v_fmac_f64_e32 v[52:53], v[4:5], v[144:145]
	v_add_f64 v[34:35], v[34:35], v[50:51]
	v_add_f64 v[42:43], v[34:35], v[52:53]
	ds_read_b128 v[38:41], v1 offset:1392
	ds_read_b128 v[34:37], v1 offset:1408
	buffer_load_dword v231, off, s[0:3], 0 offset:876
	buffer_load_dword v230, off, s[0:3], 0 offset:872
	;; [unrolled: 1-line block ×8, first 2 shown]
	ds_read_b128 v[110:113], v1 offset:1680
	ds_read_b128 v[106:109], v1 offset:1696
	s_waitcnt lgkmcnt(3)
	v_mul_f64 v[44:45], v[38:39], v[142:143]
	v_fmac_f64_e32 v[44:45], v[40:41], v[154:155]
	v_add_f64 v[46:47], v[42:43], v[44:45]
	ds_read_b128 v[42:45], v1 offset:1424
	s_waitcnt lgkmcnt(3)
	v_mul_f64 v[48:49], v[34:35], v[172:173]
	v_fmac_f64_e32 v[48:49], v[36:37], v[176:177]
	v_add_f64 v[50:51], v[46:47], v[48:49]
	;; [unrolled: 5-line block ×3, first 2 shown]
	ds_read_b128 v[50:53], v1 offset:1456
	s_waitcnt vmcnt(62) lgkmcnt(1)
	v_mul_f64 v[56:57], v[46:47], v[180:181]
	v_fmac_f64_e32 v[56:57], v[48:49], v[184:185]
	v_add_f64 v[58:59], v[54:55], v[56:57]
	ds_read_b128 v[54:57], v1 offset:1472
	s_waitcnt lgkmcnt(1)
	v_mul_f64 v[60:61], v[50:51], v[160:161]
	v_fmac_f64_e32 v[60:61], v[52:53], v[162:163]
	v_add_f64 v[62:63], v[58:59], v[60:61]
	ds_read_b128 v[58:61], v1 offset:1488
	s_waitcnt vmcnt(58) lgkmcnt(1)
	v_mul_f64 v[64:65], v[54:55], v[188:189]
	s_waitcnt vmcnt(56)
	v_fmac_f64_e32 v[64:65], v[56:57], v[192:193]
	v_add_f64 v[66:67], v[62:63], v[64:65]
	ds_read_b128 v[62:65], v1 offset:1504
	s_waitcnt lgkmcnt(1)
	v_mul_f64 v[68:69], v[58:59], v[164:165]
	v_fmac_f64_e32 v[68:69], v[60:61], v[166:167]
	v_add_f64 v[70:71], v[66:67], v[68:69]
	ds_read_b128 v[66:69], v1 offset:1520
	s_waitcnt vmcnt(50) lgkmcnt(1)
	v_mul_f64 v[72:73], v[62:63], v[196:197]
	s_waitcnt vmcnt(48)
	;; [unrolled: 11-line block ×5, first 2 shown]
	v_fmac_f64_e32 v[96:97], v[88:89], v[228:229]
	v_add_f64 v[98:99], v[94:95], v[96:97]
	ds_read_b128 v[94:97], v1 offset:1632
	s_waitcnt lgkmcnt(1)
	v_mul_f64 v[100:101], v[90:91], v[190:191]
	v_fmac_f64_e32 v[100:101], v[92:93], v[194:195]
	v_add_f64 v[216:217], v[98:99], v[100:101]
	ds_read_b128 v[98:101], v1 offset:1648
	ds_read_b128 v[102:105], v1 offset:1664
	;; [unrolled: 1-line block ×3, first 2 shown]
	buffer_load_dword v252, off, s[0:3], 0 offset:376
	buffer_load_dword v253, off, s[0:3], 0 offset:380
	s_waitcnt vmcnt(20) lgkmcnt(3)
	v_mul_f64 v[218:219], v[94:95], v[232:233]
	s_waitcnt vmcnt(18)
	v_fmac_f64_e32 v[218:219], v[96:97], v[236:237]
	v_add_f64 v[216:217], v[216:217], v[218:219]
	s_waitcnt lgkmcnt(2)
	v_mul_f64 v[218:219], v[98:99], v[198:199]
	v_fmac_f64_e32 v[218:219], v[100:101], v[202:203]
	v_add_f64 v[216:217], v[216:217], v[218:219]
	s_waitcnt vmcnt(12) lgkmcnt(1)
	v_mul_f64 v[218:219], v[102:103], v[238:239]
	s_waitcnt vmcnt(10)
	v_fmac_f64_e32 v[218:219], v[104:105], v[240:241]
	v_add_f64 v[216:217], v[216:217], v[218:219]
	v_mul_f64 v[218:219], v[110:111], v[206:207]
	v_fmac_f64_e32 v[218:219], v[112:113], v[210:211]
	v_add_f64 v[216:217], v[216:217], v[218:219]
	s_waitcnt vmcnt(4)
	v_mul_f64 v[218:219], v[106:107], v[242:243]
	v_mul_f64 v[32:33], v[32:33], v[118:119]
	s_waitcnt vmcnt(2)
	v_fmac_f64_e32 v[218:219], v[108:109], v[244:245]
	v_add_f64 v[216:217], v[216:217], v[218:219]
	s_waitcnt lgkmcnt(0)
	v_mul_f64 v[218:219], v[114:115], v[230:231]
	v_fmac_f64_e32 v[218:219], v[116:117], v[234:235]
	v_add_f64 v[246:247], v[216:217], v[218:219]
	v_add_f64 v[216:217], v[248:249], 0
	;; [unrolled: 1-line block ×3, first 2 shown]
	v_fma_f64 v[30:31], v[30:31], v[152:153], -v[32:33]
	v_mul_f64 v[28:29], v[28:29], v[124:125]
	v_add_f64 v[30:31], v[216:217], v[30:31]
	v_fma_f64 v[26:27], v[26:27], v[150:151], -v[28:29]
	v_add_f64 v[26:27], v[30:31], v[26:27]
	v_mul_f64 v[20:21], v[20:21], v[130:131]
	v_add_f64 v[22:23], v[26:27], v[22:23]
	v_fma_f64 v[18:19], v[18:19], v[148:149], -v[20:21]
	v_add_f64 v[18:19], v[22:23], v[18:19]
	;; [unrolled: 4-line block ×3, first 2 shown]
	v_mul_f64 v[4:5], v[4:5], v[136:137]
	v_add_f64 v[6:7], v[10:11], v[6:7]
	v_fma_f64 v[2:3], v[2:3], v[144:145], -v[4:5]
	v_mul_f64 v[4:5], v[40:41], v[142:143]
	v_add_f64 v[2:3], v[6:7], v[2:3]
	v_fma_f64 v[4:5], v[38:39], v[154:155], -v[4:5]
	v_add_f64 v[2:3], v[2:3], v[4:5]
	v_mul_f64 v[4:5], v[36:37], v[172:173]
	v_fma_f64 v[4:5], v[34:35], v[176:177], -v[4:5]
	v_add_f64 v[2:3], v[2:3], v[4:5]
	v_mul_f64 v[4:5], v[44:45], v[156:157]
	;; [unrolled: 3-line block ×20, first 2 shown]
	v_fma_f64 v[4:5], v[114:115], v[234:235], -v[4:5]
	v_add_f64 v[2:3], v[2:3], v[4:5]
	v_add_f64 v[2:3], v[138:139], -v[2:3]
	s_waitcnt vmcnt(0)
	v_add_f64 v[4:5], v[252:253], -v[246:247]
	buffer_store_dword v3, off, s[0:3], 0 offset:372
	buffer_store_dword v2, off, s[0:3], 0 offset:368
	;; [unrolled: 1-line block ×4, first 2 shown]
	s_and_saveexec_b64 s[4:5], vcc
	s_cbranch_execz .LBB53_295
; %bb.294:
	v_accvgpr_read_b32 v5, a140
	buffer_load_dword v2, v5, s[0:3], 0 offen
	buffer_load_dword v3, v5, s[0:3], 0 offen offset:4
	buffer_load_dword v4, v5, s[0:3], 0 offen offset:8
	s_nop 0
	buffer_load_dword v5, v5, s[0:3], 0 offen offset:12
	v_accvgpr_read_b32 v6, a161
	buffer_store_dword v1, off, s[0:3], 0 offset:352
	buffer_store_dword v1, off, s[0:3], 0 offset:356
	;; [unrolled: 1-line block ×4, first 2 shown]
	s_waitcnt vmcnt(4)
	ds_write_b128 v6, v[2:5]
.LBB53_295:
	s_or_b64 exec, exec, s[4:5]
	s_waitcnt lgkmcnt(0)
	; wave barrier
	s_waitcnt lgkmcnt(0)
	buffer_load_dword v112, off, s[0:3], 0 offset:368
	buffer_load_dword v113, off, s[0:3], 0 offset:372
	;; [unrolled: 1-line block ×36, first 2 shown]
	ds_read_b128 v[102:105], v1 offset:1216
	ds_read_b128 v[106:109], v1 offset:1232
	;; [unrolled: 1-line block ×9, first 2 shown]
	buffer_load_dword v143, off, s[0:3], 0 offset:540
	buffer_load_dword v142, off, s[0:3], 0 offset:536
	;; [unrolled: 1-line block ×78, first 2 shown]
	v_cmp_lt_u32_e32 vcc, 20, v0
	s_waitcnt vmcnt(62) lgkmcnt(8)
	v_mul_f64 v[26:27], v[102:103], v[246:247]
	v_fmac_f64_e32 v[26:27], v[104:105], v[112:113]
	v_add_f64 v[26:27], v[26:27], 0
	v_mul_f64 v[104:105], v[104:105], v[246:247]
	s_waitcnt lgkmcnt(7)
	v_mul_f64 v[28:29], v[106:107], v[248:249]
	v_fmac_f64_e32 v[28:29], v[108:109], v[110:111]
	s_waitcnt lgkmcnt(6)
	v_mul_f64 v[30:31], v[114:115], v[244:245]
	v_add_f64 v[26:27], v[26:27], v[28:29]
	s_waitcnt lgkmcnt(4)
	v_mul_f64 v[34:35], v[18:19], v[118:119]
	v_fma_f64 v[246:247], v[102:103], v[112:113], -v[104:105]
	v_fmac_f64_e32 v[34:35], v[20:21], v[120:121]
	v_mul_f64 v[108:109], v[108:109], v[248:249]
	v_mul_f64 v[32:33], v[22:23], v[122:123]
	v_fma_f64 v[248:249], v[106:107], v[110:111], -v[108:109]
	s_waitcnt lgkmcnt(2)
	v_mul_f64 v[38:39], v[10:11], v[124:125]
	v_mul_f64 v[20:21], v[20:21], v[118:119]
	v_fmac_f64_e32 v[38:39], v[12:13], v[126:127]
	v_fma_f64 v[18:19], v[18:19], v[120:121], -v[20:21]
	v_mul_f64 v[36:37], v[14:15], v[130:131]
	v_mul_f64 v[12:13], v[12:13], v[124:125]
	s_waitcnt lgkmcnt(1)
	v_mul_f64 v[40:41], v[6:7], v[128:129]
	v_fma_f64 v[10:11], v[10:11], v[126:127], -v[12:13]
	v_fmac_f64_e32 v[30:31], v[116:117], v[250:251]
	v_add_f64 v[26:27], v[26:27], v[30:31]
	v_fmac_f64_e32 v[32:33], v[24:25], v[138:139]
	v_add_f64 v[26:27], v[26:27], v[32:33]
	v_fmac_f64_e32 v[36:37], v[16:17], v[136:137]
	v_add_f64 v[26:27], v[26:27], v[34:35]
	v_add_f64 v[26:27], v[26:27], v[36:37]
	v_fmac_f64_e32 v[40:41], v[8:9], v[134:135]
	v_add_f64 v[30:31], v[26:27], v[38:39]
	v_add_f64 v[30:31], v[30:31], v[40:41]
	s_waitcnt lgkmcnt(0)
	v_mul_f64 v[32:33], v[2:3], v[132:133]
	v_fmac_f64_e32 v[32:33], v[4:5], v[140:141]
	ds_read_b128 v[26:29], v1 offset:1360
	v_add_f64 v[34:35], v[30:31], v[32:33]
	ds_read_b128 v[30:33], v1 offset:1376
	buffer_load_dword v231, off, s[0:3], 0 offset:804
	buffer_load_dword v230, off, s[0:3], 0 offset:800
	v_mul_f64 v[116:117], v[116:117], v[244:245]
	s_waitcnt lgkmcnt(1)
	v_mul_f64 v[36:37], v[26:27], v[146:147]
	v_fmac_f64_e32 v[36:37], v[28:29], v[148:149]
	v_add_f64 v[38:39], v[34:35], v[36:37]
	ds_read_b128 v[34:37], v1 offset:1392
	s_waitcnt lgkmcnt(1)
	v_mul_f64 v[40:41], v[30:31], v[142:143]
	v_fmac_f64_e32 v[40:41], v[32:33], v[144:145]
	v_add_f64 v[42:43], v[38:39], v[40:41]
	ds_read_b128 v[38:41], v1 offset:1408
	;; [unrolled: 5-line block ×4, first 2 shown]
	buffer_load_dword v233, off, s[0:3], 0 offset:860
	buffer_load_dword v235, off, s[0:3], 0 offset:844
	;; [unrolled: 1-line block ×12, first 2 shown]
	s_waitcnt vmcnt(62) lgkmcnt(1)
	v_mul_f64 v[52:53], v[42:43], v[174:175]
	v_fmac_f64_e32 v[52:53], v[44:45], v[178:179]
	v_add_f64 v[54:55], v[50:51], v[52:53]
	ds_read_b128 v[50:53], v1 offset:1456
	s_waitcnt lgkmcnt(1)
	v_mul_f64 v[56:57], v[46:47], v[154:155]
	v_fmac_f64_e32 v[56:57], v[48:49], v[156:157]
	v_add_f64 v[58:59], v[54:55], v[56:57]
	ds_read_b128 v[54:57], v1 offset:1472
	s_waitcnt lgkmcnt(1)
	v_mul_f64 v[60:61], v[50:51], v[182:183]
	s_waitcnt vmcnt(60)
	v_fmac_f64_e32 v[60:61], v[52:53], v[186:187]
	v_add_f64 v[62:63], v[58:59], v[60:61]
	ds_read_b128 v[58:61], v1 offset:1488
	s_waitcnt lgkmcnt(1)
	v_mul_f64 v[64:65], v[54:55], v[162:163]
	v_fmac_f64_e32 v[64:65], v[56:57], v[164:165]
	v_add_f64 v[66:67], v[62:63], v[64:65]
	ds_read_b128 v[62:65], v1 offset:1504
	s_waitcnt vmcnt(54) lgkmcnt(1)
	v_mul_f64 v[68:69], v[58:59], v[190:191]
	s_waitcnt vmcnt(52)
	v_fmac_f64_e32 v[68:69], v[60:61], v[194:195]
	v_add_f64 v[70:71], v[66:67], v[68:69]
	ds_read_b128 v[66:69], v1 offset:1520
	s_waitcnt lgkmcnt(1)
	v_mul_f64 v[72:73], v[62:63], v[166:167]
	v_fmac_f64_e32 v[72:73], v[64:65], v[168:169]
	v_add_f64 v[74:75], v[70:71], v[72:73]
	ds_read_b128 v[70:73], v1 offset:1536
	s_waitcnt vmcnt(46) lgkmcnt(1)
	;; [unrolled: 11-line block ×4, first 2 shown]
	v_mul_f64 v[92:93], v[82:83], v[210:211]
	s_waitcnt vmcnt(28)
	v_fmac_f64_e32 v[92:93], v[84:85], v[212:213]
	v_add_f64 v[98:99], v[90:91], v[92:93]
	ds_read_b128 v[90:93], v1 offset:1616
	ds_read_b128 v[94:97], v1 offset:1632
	s_waitcnt lgkmcnt(2)
	v_mul_f64 v[100:101], v[86:87], v[184:185]
	v_fmac_f64_e32 v[100:101], v[88:89], v[188:189]
	v_add_f64 v[98:99], v[98:99], v[100:101]
	s_waitcnt vmcnt(22) lgkmcnt(1)
	v_mul_f64 v[100:101], v[90:91], v[214:215]
	s_waitcnt vmcnt(20)
	v_fmac_f64_e32 v[100:101], v[92:93], v[226:227]
	v_add_f64 v[98:99], v[98:99], v[100:101]
	s_waitcnt lgkmcnt(0)
	v_mul_f64 v[100:101], v[94:95], v[192:193]
	v_fmac_f64_e32 v[100:101], v[96:97], v[196:197]
	v_add_f64 v[216:217], v[98:99], v[100:101]
	ds_read_b128 v[98:101], v1 offset:1648
	ds_read_b128 v[102:105], v1 offset:1664
	;; [unrolled: 1-line block ×3, first 2 shown]
	v_fma_f64 v[250:251], v[114:115], v[250:251], -v[116:117]
	ds_read_b128 v[114:117], v1 offset:1712
	s_waitcnt vmcnt(14) lgkmcnt(3)
	v_mul_f64 v[112:113], v[98:99], v[228:229]
	s_waitcnt lgkmcnt(2)
	v_mul_f64 v[110:111], v[102:103], v[200:201]
	s_waitcnt vmcnt(12)
	v_fmac_f64_e32 v[112:113], v[100:101], v[230:231]
	v_add_f64 v[112:113], v[216:217], v[112:113]
	v_fmac_f64_e32 v[110:111], v[104:105], v[204:205]
	v_add_f64 v[216:217], v[112:113], v[110:111]
	ds_read_b128 v[110:113], v1 offset:1696
	buffer_load_dword v254, off, s[0:3], 0 offset:352
	buffer_load_dword v255, off, s[0:3], 0 offset:356
	buffer_load_dword v252, off, s[0:3], 0 offset:360
	buffer_load_dword v253, off, s[0:3], 0 offset:364
	v_mul_f64 v[24:25], v[24:25], v[122:123]
	v_fma_f64 v[22:23], v[22:23], v[138:139], -v[24:25]
	v_mul_f64 v[16:17], v[16:17], v[130:131]
	s_waitcnt vmcnt(13) lgkmcnt(2)
	v_mul_f64 v[218:219], v[106:107], v[234:235]
	v_fma_f64 v[14:15], v[14:15], v[136:137], -v[16:17]
	s_waitcnt vmcnt(11)
	v_fmac_f64_e32 v[218:219], v[108:109], v[240:241]
	v_add_f64 v[216:217], v[216:217], v[218:219]
	s_waitcnt vmcnt(10) lgkmcnt(0)
	v_mul_f64 v[218:219], v[110:111], v[232:233]
	s_waitcnt vmcnt(8)
	v_fmac_f64_e32 v[218:219], v[112:113], v[238:239]
	v_add_f64 v[216:217], v[216:217], v[218:219]
	s_waitcnt vmcnt(6)
	v_mul_f64 v[218:219], v[114:115], v[236:237]
	v_mul_f64 v[8:9], v[8:9], v[128:129]
	s_waitcnt vmcnt(4)
	v_fmac_f64_e32 v[218:219], v[116:117], v[242:243]
	v_add_f64 v[244:245], v[216:217], v[218:219]
	v_add_f64 v[216:217], v[246:247], 0
	;; [unrolled: 1-line block ×8, first 2 shown]
	v_fma_f64 v[6:7], v[6:7], v[134:135], -v[8:9]
	v_mul_f64 v[4:5], v[4:5], v[132:133]
	v_add_f64 v[6:7], v[10:11], v[6:7]
	v_fma_f64 v[2:3], v[2:3], v[140:141], -v[4:5]
	v_mul_f64 v[4:5], v[28:29], v[146:147]
	v_add_f64 v[2:3], v[6:7], v[2:3]
	v_fma_f64 v[4:5], v[26:27], v[148:149], -v[4:5]
	v_add_f64 v[2:3], v[2:3], v[4:5]
	v_mul_f64 v[4:5], v[32:33], v[142:143]
	v_fma_f64 v[4:5], v[30:31], v[144:145], -v[4:5]
	v_add_f64 v[2:3], v[2:3], v[4:5]
	v_mul_f64 v[4:5], v[36:37], v[158:159]
	;; [unrolled: 3-line block ×22, first 2 shown]
	v_fma_f64 v[4:5], v[114:115], v[242:243], -v[4:5]
	v_add_f64 v[2:3], v[2:3], v[4:5]
	s_waitcnt vmcnt(2)
	v_add_f64 v[2:3], v[254:255], -v[2:3]
	s_waitcnt vmcnt(0)
	v_add_f64 v[4:5], v[252:253], -v[244:245]
	buffer_store_dword v3, off, s[0:3], 0 offset:356
	buffer_store_dword v2, off, s[0:3], 0 offset:352
	;; [unrolled: 1-line block ×4, first 2 shown]
	s_and_saveexec_b64 s[4:5], vcc
	s_cbranch_execz .LBB53_297
; %bb.296:
	v_accvgpr_read_b32 v1, a141
	buffer_load_dword v2, v1, s[0:3], 0 offen
	buffer_load_dword v3, v1, s[0:3], 0 offen offset:4
	buffer_load_dword v4, v1, s[0:3], 0 offen offset:8
	buffer_load_dword v5, v1, s[0:3], 0 offen offset:12
	v_mov_b32_e32 v1, 0
	v_accvgpr_read_b32 v6, a161
	buffer_store_dword v1, off, s[0:3], 0 offset:336
	buffer_store_dword v1, off, s[0:3], 0 offset:340
	;; [unrolled: 1-line block ×4, first 2 shown]
	s_waitcnt vmcnt(4)
	ds_write_b128 v6, v[2:5]
.LBB53_297:
	s_or_b64 exec, exec, s[4:5]
	s_waitcnt lgkmcnt(0)
	; wave barrier
	s_waitcnt lgkmcnt(0)
	buffer_load_dword v94, off, s[0:3], 0 offset:352
	buffer_load_dword v95, off, s[0:3], 0 offset:356
	;; [unrolled: 1-line block ×52, first 2 shown]
	v_mov_b32_e32 v1, 0
	ds_read_b128 v[102:105], v1 offset:1200
	ds_read_b128 v[114:117], v1 offset:1216
	;; [unrolled: 1-line block ×10, first 2 shown]
	v_cmp_lt_u32_e32 vcc, 19, v0
	s_waitcnt vmcnt(48) lgkmcnt(9)
	v_mul_f64 v[26:27], v[102:103], v[96:97]
	v_fmac_f64_e32 v[26:27], v[104:105], v[94:95]
	v_add_f64 v[26:27], v[26:27], 0
	v_mul_f64 v[96:97], v[104:105], v[96:97]
	s_waitcnt vmcnt(44) lgkmcnt(8)
	v_mul_f64 v[28:29], v[114:115], v[100:101]
	v_fmac_f64_e32 v[28:29], v[116:117], v[98:99]
	s_waitcnt vmcnt(42) lgkmcnt(7)
	v_mul_f64 v[30:31], v[244:245], v[106:107]
	v_add_f64 v[26:27], v[26:27], v[28:29]
	s_waitcnt vmcnt(40) lgkmcnt(5)
	v_mul_f64 v[34:35], v[22:23], v[120:121]
	v_fma_f64 v[218:219], v[102:103], v[94:95], -v[96:97]
	s_waitcnt vmcnt(38)
	v_fmac_f64_e32 v[34:35], v[24:25], v[124:125]
	v_mul_f64 v[100:101], v[116:117], v[100:101]
	s_waitcnt vmcnt(36)
	v_mul_f64 v[32:33], v[250:251], v[110:111]
	v_fma_f64 v[220:221], v[114:115], v[98:99], -v[100:101]
	s_waitcnt vmcnt(34) lgkmcnt(3)
	v_mul_f64 v[38:39], v[14:15], v[118:119]
	v_mul_f64 v[106:107], v[246:247], v[106:107]
	s_waitcnt vmcnt(32)
	v_fmac_f64_e32 v[38:39], v[16:17], v[122:123]
	v_mul_f64 v[110:111], v[252:253], v[110:111]
	s_waitcnt vmcnt(30)
	v_mul_f64 v[36:37], v[18:19], v[130:131]
	v_mul_f64 v[24:25], v[24:25], v[120:121]
	v_fma_f64 v[22:23], v[22:23], v[124:125], -v[24:25]
	s_waitcnt vmcnt(27) lgkmcnt(2)
	v_mul_f64 v[40:41], v[10:11], v[128:129]
	s_waitcnt vmcnt(26) lgkmcnt(1)
	v_mul_f64 v[42:43], v[6:7], v[126:127]
	v_mul_f64 v[16:17], v[16:17], v[118:119]
	s_waitcnt vmcnt(24)
	v_fmac_f64_e32 v[30:31], v[246:247], v[108:109]
	v_add_f64 v[26:27], v[26:27], v[30:31]
	s_waitcnt vmcnt(22)
	v_fmac_f64_e32 v[32:33], v[252:253], v[112:113]
	v_add_f64 v[26:27], v[26:27], v[32:33]
	;; [unrolled: 3-line block ×3, first 2 shown]
	v_add_f64 v[26:27], v[26:27], v[36:37]
	s_waitcnt vmcnt(18)
	v_fmac_f64_e32 v[40:41], v[12:13], v[132:133]
	v_add_f64 v[26:27], v[26:27], v[38:39]
	v_add_f64 v[26:27], v[26:27], v[40:41]
	s_waitcnt vmcnt(16)
	v_fmac_f64_e32 v[42:43], v[8:9], v[138:139]
	v_add_f64 v[34:35], v[26:27], v[42:43]
	ds_read_b128 v[26:29], v1 offset:1360
	ds_read_b128 v[30:33], v1 offset:1376
	buffer_load_dword v155, off, s[0:3], 0 offset:588
	buffer_load_dword v154, off, s[0:3], 0 offset:584
	;; [unrolled: 1-line block ×56, first 2 shown]
	s_waitcnt vmcnt(62) lgkmcnt(2)
	v_mul_f64 v[36:37], v[2:3], v[142:143]
	v_fmac_f64_e32 v[36:37], v[4:5], v[144:145]
	v_add_f64 v[34:35], v[34:35], v[36:37]
	s_waitcnt lgkmcnt(1)
	v_mul_f64 v[36:37], v[26:27], v[136:137]
	v_fmac_f64_e32 v[36:37], v[28:29], v[140:141]
	v_add_f64 v[34:35], v[34:35], v[36:37]
	s_waitcnt lgkmcnt(0)
	v_mul_f64 v[36:37], v[30:31], v[146:147]
	s_waitcnt vmcnt(60)
	v_fmac_f64_e32 v[36:37], v[32:33], v[150:151]
	v_add_f64 v[42:43], v[34:35], v[36:37]
	ds_read_b128 v[34:37], v1 offset:1392
	buffer_load_dword v199, off, s[0:3], 0 offset:812
	buffer_load_dword v198, off, s[0:3], 0 offset:808
	;; [unrolled: 1-line block ×16, first 2 shown]
	ds_read_b128 v[38:41], v1 offset:1408
	buffer_load_dword v231, off, s[0:3], 0 offset:876
	buffer_load_dword v230, off, s[0:3], 0 offset:872
	buffer_load_dword v235, off, s[0:3], 0 offset:868
	buffer_load_dword v234, off, s[0:3], 0 offset:864
	buffer_load_dword v241, off, s[0:3], 0 offset:860
	buffer_load_dword v240, off, s[0:3], 0 offset:856
	buffer_load_dword v243, off, s[0:3], 0 offset:852
	buffer_load_dword v242, off, s[0:3], 0 offset:848
	ds_read_b128 v[98:101], v1 offset:1648
	s_waitcnt vmcnt(62) lgkmcnt(2)
	v_mul_f64 v[44:45], v[34:35], v[148:149]
	v_fmac_f64_e32 v[44:45], v[36:37], v[152:153]
	v_add_f64 v[46:47], v[42:43], v[44:45]
	ds_read_b128 v[42:45], v1 offset:1424
	v_fma_f64 v[248:249], v[244:245], v[108:109], -v[106:107]
	ds_read_b128 v[106:109], v1 offset:1680
	v_fma_f64 v[246:247], v[250:251], v[112:113], -v[110:111]
	v_mul_f64 v[20:21], v[20:21], v[130:131]
	v_fma_f64 v[18:19], v[18:19], v[134:135], -v[20:21]
	v_fma_f64 v[14:15], v[14:15], v[122:123], -v[16:17]
	v_mul_f64 v[12:13], v[12:13], v[128:129]
	v_fma_f64 v[10:11], v[10:11], v[132:133], -v[12:13]
	v_mul_f64 v[8:9], v[8:9], v[126:127]
	;; [unrolled: 2-line block ×3, first 2 shown]
	s_waitcnt lgkmcnt(3)
	v_mul_f64 v[48:49], v[38:39], v[170:171]
	v_fma_f64 v[2:3], v[2:3], v[144:145], -v[4:5]
	v_fmac_f64_e32 v[48:49], v[40:41], v[174:175]
	v_add_f64 v[50:51], v[46:47], v[48:49]
	ds_read_b128 v[46:49], v1 offset:1440
	s_waitcnt lgkmcnt(2)
	v_mul_f64 v[52:53], v[42:43], v[154:155]
	v_fmac_f64_e32 v[52:53], v[44:45], v[156:157]
	v_add_f64 v[54:55], v[50:51], v[52:53]
	ds_read_b128 v[50:53], v1 offset:1456
	s_waitcnt lgkmcnt(1)
	v_mul_f64 v[56:57], v[46:47], v[178:179]
	v_fmac_f64_e32 v[56:57], v[48:49], v[182:183]
	v_add_f64 v[58:59], v[54:55], v[56:57]
	ds_read_b128 v[54:57], v1 offset:1472
	s_waitcnt lgkmcnt(1)
	v_mul_f64 v[60:61], v[50:51], v[158:159]
	v_fmac_f64_e32 v[60:61], v[52:53], v[160:161]
	v_add_f64 v[62:63], v[58:59], v[60:61]
	ds_read_b128 v[58:61], v1 offset:1488
	s_waitcnt vmcnt(58) lgkmcnt(1)
	v_mul_f64 v[64:65], v[54:55], v[186:187]
	s_waitcnt vmcnt(56)
	v_fmac_f64_e32 v[64:65], v[56:57], v[190:191]
	v_add_f64 v[66:67], v[62:63], v[64:65]
	ds_read_b128 v[62:65], v1 offset:1504
	s_waitcnt lgkmcnt(1)
	v_mul_f64 v[68:69], v[58:59], v[162:163]
	v_fmac_f64_e32 v[68:69], v[60:61], v[164:165]
	v_add_f64 v[70:71], v[66:67], v[68:69]
	ds_read_b128 v[66:69], v1 offset:1520
	s_waitcnt vmcnt(50) lgkmcnt(1)
	v_mul_f64 v[72:73], v[62:63], v[194:195]
	s_waitcnt vmcnt(48)
	v_fmac_f64_e32 v[72:73], v[64:65], v[196:197]
	v_add_f64 v[74:75], v[70:71], v[72:73]
	ds_read_b128 v[70:73], v1 offset:1536
	s_waitcnt lgkmcnt(1)
	v_mul_f64 v[76:77], v[66:67], v[166:167]
	;; [unrolled: 11-line block ×3, first 2 shown]
	v_fmac_f64_e32 v[84:85], v[76:77], v[176:177]
	v_add_f64 v[90:91], v[82:83], v[84:85]
	ds_read_b128 v[82:85], v1 offset:1584
	ds_read_b128 v[86:89], v1 offset:1600
	s_waitcnt vmcnt(34) lgkmcnt(2)
	v_mul_f64 v[92:93], v[78:79], v[208:209]
	s_waitcnt vmcnt(32)
	v_fmac_f64_e32 v[92:93], v[80:81], v[214:215]
	v_add_f64 v[90:91], v[90:91], v[92:93]
	s_waitcnt lgkmcnt(1)
	v_mul_f64 v[92:93], v[82:83], v[180:181]
	v_fmac_f64_e32 v[92:93], v[84:85], v[184:185]
	v_add_f64 v[90:91], v[90:91], v[92:93]
	s_waitcnt vmcnt(27) lgkmcnt(0)
	v_mul_f64 v[92:93], v[86:87], v[212:213]
	s_waitcnt vmcnt(25)
	v_fmac_f64_e32 v[92:93], v[88:89], v[226:227]
	v_add_f64 v[216:217], v[90:91], v[92:93]
	ds_read_b128 v[90:93], v1 offset:1616
	ds_read_b128 v[94:97], v1 offset:1632
	ds_read_b128 v[110:113], v1 offset:1696
	v_mul_f64 v[4:5], v[28:29], v[136:137]
	v_fma_f64 v[4:5], v[26:27], v[140:141], -v[4:5]
	s_waitcnt lgkmcnt(2)
	v_mul_f64 v[102:103], v[90:91], v[188:189]
	s_waitcnt vmcnt(24)
	v_fmac_f64_e32 v[102:103], v[92:93], v[192:193]
	s_waitcnt vmcnt(18) lgkmcnt(1)
	v_mul_f64 v[104:105], v[94:95], v[228:229]
	v_add_f64 v[102:103], v[216:217], v[102:103]
	s_waitcnt vmcnt(16)
	v_fmac_f64_e32 v[104:105], v[96:97], v[232:233]
	v_add_f64 v[102:103], v[102:103], v[104:105]
	v_mul_f64 v[104:105], v[98:99], v[198:199]
	v_fmac_f64_e32 v[104:105], v[100:101], v[202:203]
	v_add_f64 v[114:115], v[102:103], v[104:105]
	ds_read_b128 v[102:105], v1 offset:1664
	s_waitcnt vmcnt(10) lgkmcnt(0)
	v_mul_f64 v[116:117], v[102:103], v[236:237]
	s_waitcnt vmcnt(8)
	v_fmac_f64_e32 v[116:117], v[104:105], v[238:239]
	v_add_f64 v[114:115], v[114:115], v[116:117]
	v_mul_f64 v[116:117], v[106:107], v[206:207]
	v_fmac_f64_e32 v[116:117], v[108:109], v[210:211]
	v_add_f64 v[114:115], v[114:115], v[116:117]
	s_waitcnt vmcnt(2)
	v_mul_f64 v[116:117], v[110:111], v[240:241]
	s_waitcnt vmcnt(0)
	v_fmac_f64_e32 v[116:117], v[112:113], v[242:243]
	v_add_f64 v[216:217], v[114:115], v[116:117]
	ds_read_b128 v[114:117], v1 offset:1712
	buffer_load_dword v252, off, s[0:3], 0 offset:336
	buffer_load_dword v253, off, s[0:3], 0 offset:340
	s_waitcnt lgkmcnt(0)
	v_mul_f64 v[222:223], v[114:115], v[230:231]
	v_fmac_f64_e32 v[222:223], v[116:117], v[234:235]
	v_add_f64 v[244:245], v[216:217], v[222:223]
	v_add_f64 v[216:217], v[218:219], 0
	;; [unrolled: 1-line block ×4, first 2 shown]
	buffer_load_dword v248, off, s[0:3], 0 offset:344
	buffer_load_dword v249, off, s[0:3], 0 offset:348
	v_add_f64 v[216:217], v[216:217], v[246:247]
	v_add_f64 v[22:23], v[216:217], v[22:23]
	;; [unrolled: 1-line block ×8, first 2 shown]
	v_mul_f64 v[4:5], v[32:33], v[146:147]
	v_fma_f64 v[4:5], v[30:31], v[150:151], -v[4:5]
	v_add_f64 v[2:3], v[2:3], v[4:5]
	v_mul_f64 v[4:5], v[36:37], v[148:149]
	v_fma_f64 v[4:5], v[34:35], v[152:153], -v[4:5]
	v_add_f64 v[2:3], v[2:3], v[4:5]
	;; [unrolled: 3-line block ×22, first 2 shown]
	s_waitcnt vmcnt(2)
	v_add_f64 v[2:3], v[252:253], -v[2:3]
	s_waitcnt vmcnt(0)
	v_add_f64 v[4:5], v[248:249], -v[244:245]
	buffer_store_dword v3, off, s[0:3], 0 offset:340
	buffer_store_dword v2, off, s[0:3], 0 offset:336
	;; [unrolled: 1-line block ×4, first 2 shown]
	s_and_saveexec_b64 s[4:5], vcc
	s_cbranch_execz .LBB53_299
; %bb.298:
	v_accvgpr_read_b32 v5, a142
	buffer_load_dword v2, v5, s[0:3], 0 offen
	buffer_load_dword v3, v5, s[0:3], 0 offen offset:4
	buffer_load_dword v4, v5, s[0:3], 0 offen offset:8
	s_nop 0
	buffer_load_dword v5, v5, s[0:3], 0 offen offset:12
	v_accvgpr_read_b32 v6, a161
	buffer_store_dword v1, off, s[0:3], 0 offset:320
	buffer_store_dword v1, off, s[0:3], 0 offset:324
	;; [unrolled: 1-line block ×4, first 2 shown]
	s_waitcnt vmcnt(4)
	ds_write_b128 v6, v[2:5]
.LBB53_299:
	s_or_b64 exec, exec, s[4:5]
	s_waitcnt lgkmcnt(0)
	; wave barrier
	s_waitcnt lgkmcnt(0)
	buffer_load_dword v86, off, s[0:3], 0 offset:336
	buffer_load_dword v87, off, s[0:3], 0 offset:340
	;; [unrolled: 1-line block ×42, first 2 shown]
	ds_read_b128 v[94:97], v1 offset:1184
	ds_read_b128 v[106:109], v1 offset:1200
	;; [unrolled: 1-line block ×10, first 2 shown]
	buffer_load_dword v145, off, s[0:3], 0 offset:484
	buffer_load_dword v144, off, s[0:3], 0 offset:480
	ds_read_b128 v[6:9], v1 offset:1344
	buffer_load_dword v141, off, s[0:3], 0 offset:540
	buffer_load_dword v140, off, s[0:3], 0 offset:536
	;; [unrolled: 1-line block ×80, first 2 shown]
	v_cmp_lt_u32_e32 vcc, 18, v0
	s_waitcnt vmcnt(62) lgkmcnt(10)
	v_mul_f64 v[26:27], v[94:95], v[88:89]
	v_fmac_f64_e32 v[26:27], v[96:97], v[86:87]
	v_add_f64 v[26:27], v[26:27], 0
	v_mul_f64 v[88:89], v[96:97], v[88:89]
	s_waitcnt lgkmcnt(9)
	v_mul_f64 v[28:29], v[106:107], v[92:93]
	v_fmac_f64_e32 v[28:29], v[108:109], v[90:91]
	s_waitcnt lgkmcnt(8)
	v_mul_f64 v[30:31], v[114:115], v[98:99]
	v_add_f64 v[26:27], v[26:27], v[28:29]
	s_waitcnt lgkmcnt(6)
	v_mul_f64 v[34:35], v[248:249], v[110:111]
	v_fma_f64 v[218:219], v[94:95], v[86:87], -v[88:89]
	v_fmac_f64_e32 v[34:35], v[250:251], v[112:113]
	v_mul_f64 v[92:93], v[108:109], v[92:93]
	v_mul_f64 v[32:33], v[244:245], v[102:103]
	;; [unrolled: 1-line block ×3, first 2 shown]
	s_waitcnt lgkmcnt(4)
	v_mul_f64 v[38:39], v[18:19], v[118:119]
	v_mul_f64 v[102:103], v[246:247], v[102:103]
	v_fmac_f64_e32 v[38:39], v[20:21], v[120:121]
	v_mul_f64 v[110:111], v[250:251], v[110:111]
	v_mul_f64 v[36:37], v[22:23], v[122:123]
	v_fma_f64 v[248:249], v[248:249], v[112:113], -v[110:111]
	s_waitcnt lgkmcnt(2)
	v_mul_f64 v[42:43], v[10:11], v[124:125]
	v_add_f64 v[218:219], v[218:219], 0
	v_mul_f64 v[20:21], v[20:21], v[118:119]
	v_mul_f64 v[40:41], v[14:15], v[130:131]
	v_fma_f64 v[18:19], v[18:19], v[120:121], -v[20:21]
	s_waitcnt lgkmcnt(1)
	v_mul_f64 v[44:45], v[2:3], v[128:129]
	v_fmac_f64_e32 v[30:31], v[116:117], v[100:101]
	v_add_f64 v[26:27], v[26:27], v[30:31]
	v_fmac_f64_e32 v[32:33], v[246:247], v[104:105]
	v_add_f64 v[26:27], v[26:27], v[32:33]
	;; [unrolled: 2-line block ×3, first 2 shown]
	v_add_f64 v[26:27], v[26:27], v[36:37]
	v_fmac_f64_e32 v[40:41], v[16:17], v[132:133]
	v_add_f64 v[26:27], v[26:27], v[38:39]
	v_fmac_f64_e32 v[42:43], v[12:13], v[126:127]
	v_add_f64 v[26:27], v[26:27], v[40:41]
	v_add_f64 v[26:27], v[26:27], v[42:43]
	s_waitcnt lgkmcnt(0)
	v_mul_f64 v[32:33], v[6:7], v[136:137]
	v_fmac_f64_e32 v[44:45], v[4:5], v[144:145]
	v_add_f64 v[30:31], v[26:27], v[44:45]
	ds_read_b128 v[26:29], v1 offset:1360
	v_fmac_f64_e32 v[32:33], v[8:9], v[138:139]
	v_add_f64 v[34:35], v[30:31], v[32:33]
	ds_read_b128 v[30:33], v1 offset:1376
	v_fma_f64 v[220:221], v[114:115], v[100:101], -v[98:99]
	s_waitcnt lgkmcnt(1)
	v_mul_f64 v[36:37], v[26:27], v[146:147]
	v_fmac_f64_e32 v[36:37], v[28:29], v[162:163]
	v_add_f64 v[38:39], v[34:35], v[36:37]
	ds_read_b128 v[34:37], v1 offset:1392
	s_waitcnt lgkmcnt(1)
	v_mul_f64 v[40:41], v[30:31], v[140:141]
	v_fmac_f64_e32 v[40:41], v[32:33], v[142:143]
	v_add_f64 v[42:43], v[38:39], v[40:41]
	ds_read_b128 v[38:41], v1 offset:1408
	;; [unrolled: 5-line block ×4, first 2 shown]
	s_waitcnt vmcnt(58) lgkmcnt(1)
	v_mul_f64 v[52:53], v[42:43], v[174:175]
	s_waitcnt vmcnt(56)
	v_fmac_f64_e32 v[52:53], v[44:45], v[178:179]
	v_add_f64 v[54:55], v[50:51], v[52:53]
	ds_read_b128 v[50:53], v1 offset:1456
	buffer_load_dword v232, off, s[0:3], 0 offset:856
	buffer_load_dword v237, off, s[0:3], 0 offset:844
	;; [unrolled: 1-line block ×8, first 2 shown]
	s_waitcnt lgkmcnt(1)
	v_mul_f64 v[56:57], v[46:47], v[152:153]
	v_fmac_f64_e32 v[56:57], v[48:49], v[154:155]
	v_add_f64 v[58:59], v[54:55], v[56:57]
	ds_read_b128 v[54:57], v1 offset:1472
	s_waitcnt vmcnt(58) lgkmcnt(1)
	v_mul_f64 v[60:61], v[50:51], v[182:183]
	s_waitcnt vmcnt(56)
	v_fmac_f64_e32 v[60:61], v[52:53], v[186:187]
	buffer_load_dword v241, off, s[0:3], 0 offset:876
	buffer_load_dword v240, off, s[0:3], 0 offset:872
	;; [unrolled: 1-line block ×4, first 2 shown]
	v_add_f64 v[62:63], v[58:59], v[60:61]
	ds_read_b128 v[58:61], v1 offset:1488
	s_waitcnt lgkmcnt(1)
	v_mul_f64 v[64:65], v[54:55], v[156:157]
	v_fmac_f64_e32 v[64:65], v[56:57], v[158:159]
	v_add_f64 v[66:67], v[62:63], v[64:65]
	ds_read_b128 v[62:65], v1 offset:1504
	s_waitcnt vmcnt(54) lgkmcnt(1)
	v_mul_f64 v[68:69], v[58:59], v[190:191]
	s_waitcnt vmcnt(52)
	v_fmac_f64_e32 v[68:69], v[60:61], v[194:195]
	v_add_f64 v[70:71], v[66:67], v[68:69]
	ds_read_b128 v[66:69], v1 offset:1520
	s_waitcnt lgkmcnt(1)
	v_mul_f64 v[72:73], v[62:63], v[160:161]
	v_fmac_f64_e32 v[72:73], v[64:65], v[164:165]
	v_add_f64 v[74:75], v[70:71], v[72:73]
	ds_read_b128 v[70:73], v1 offset:1536
	s_waitcnt vmcnt(46) lgkmcnt(1)
	v_mul_f64 v[76:77], v[66:67], v[198:199]
	s_waitcnt vmcnt(44)
	v_fmac_f64_e32 v[76:77], v[68:69], v[202:203]
	v_add_f64 v[82:83], v[74:75], v[76:77]
	ds_read_b128 v[74:77], v1 offset:1552
	ds_read_b128 v[78:81], v1 offset:1568
	s_waitcnt lgkmcnt(2)
	v_mul_f64 v[84:85], v[70:71], v[168:169]
	v_fmac_f64_e32 v[84:85], v[72:73], v[172:173]
	v_add_f64 v[82:83], v[82:83], v[84:85]
	s_waitcnt vmcnt(38) lgkmcnt(1)
	v_mul_f64 v[84:85], v[74:75], v[206:207]
	s_waitcnt vmcnt(36)
	v_fmac_f64_e32 v[84:85], v[76:77], v[208:209]
	v_add_f64 v[82:83], v[82:83], v[84:85]
	s_waitcnt lgkmcnt(0)
	v_mul_f64 v[84:85], v[78:79], v[176:177]
	v_fmac_f64_e32 v[84:85], v[80:81], v[180:181]
	v_add_f64 v[216:217], v[82:83], v[84:85]
	ds_read_b128 v[82:85], v1 offset:1584
	ds_read_b128 v[86:89], v1 offset:1600
	;; [unrolled: 1-line block ×3, first 2 shown]
	v_fma_f64 v[246:247], v[244:245], v[104:105], -v[102:103]
	ds_read_b128 v[102:105], v1 offset:1680
	ds_read_b128 v[110:113], v1 offset:1696
	s_waitcnt vmcnt(30) lgkmcnt(4)
	v_mul_f64 v[94:95], v[82:83], v[210:211]
	s_waitcnt vmcnt(28)
	v_fmac_f64_e32 v[94:95], v[84:85], v[212:213]
	v_add_f64 v[94:95], v[216:217], v[94:95]
	v_fma_f64 v[216:217], v[106:107], v[90:91], -v[92:93]
	ds_read_b128 v[90:93], v1 offset:1616
	s_waitcnt lgkmcnt(4)
	v_mul_f64 v[96:97], v[86:87], v[184:185]
	v_fmac_f64_e32 v[96:97], v[88:89], v[188:189]
	v_add_f64 v[106:107], v[94:95], v[96:97]
	ds_read_b128 v[94:97], v1 offset:1632
	s_waitcnt vmcnt(22) lgkmcnt(1)
	v_mul_f64 v[108:109], v[90:91], v[214:215]
	s_waitcnt vmcnt(20)
	v_fmac_f64_e32 v[108:109], v[92:93], v[226:227]
	v_add_f64 v[106:107], v[106:107], v[108:109]
	v_add_f64 v[216:217], v[218:219], v[216:217]
	s_waitcnt lgkmcnt(0)
	v_mul_f64 v[108:109], v[94:95], v[192:193]
	v_fmac_f64_e32 v[108:109], v[96:97], v[196:197]
	v_add_f64 v[114:115], v[106:107], v[108:109]
	ds_read_b128 v[106:109], v1 offset:1664
	s_waitcnt vmcnt(14)
	v_mul_f64 v[116:117], v[98:99], v[228:229]
	s_waitcnt vmcnt(12)
	v_fmac_f64_e32 v[116:117], v[100:101], v[230:231]
	v_add_f64 v[114:115], v[114:115], v[116:117]
	v_add_f64 v[250:251], v[216:217], v[220:221]
	s_waitcnt lgkmcnt(0)
	v_mul_f64 v[116:117], v[106:107], v[200:201]
	v_fmac_f64_e32 v[116:117], v[108:109], v[204:205]
	v_add_f64 v[114:115], v[114:115], v[116:117]
	v_add_f64 v[216:217], v[250:251], v[246:247]
	v_mul_f64 v[24:25], v[24:25], v[122:123]
	v_add_f64 v[216:217], v[216:217], v[248:249]
	v_fma_f64 v[22:23], v[22:23], v[134:135], -v[24:25]
	v_add_f64 v[22:23], v[216:217], v[22:23]
	v_mul_f64 v[16:17], v[16:17], v[130:131]
	v_add_f64 v[18:19], v[22:23], v[18:19]
	v_fma_f64 v[14:15], v[14:15], v[132:133], -v[16:17]
	v_mul_f64 v[12:13], v[12:13], v[124:125]
	s_waitcnt vmcnt(9)
	v_mul_f64 v[116:117], v[102:103], v[236:237]
	v_add_f64 v[14:15], v[18:19], v[14:15]
	s_waitcnt vmcnt(7)
	v_fmac_f64_e32 v[116:117], v[104:105], v[238:239]
	v_add_f64 v[114:115], v[114:115], v[116:117]
	s_waitcnt vmcnt(5)
	v_mul_f64 v[116:117], v[110:111], v[232:233]
	s_waitcnt vmcnt(4)
	v_fmac_f64_e32 v[116:117], v[112:113], v[234:235]
	v_add_f64 v[222:223], v[114:115], v[116:117]
	ds_read_b128 v[114:117], v1 offset:1712
	buffer_load_dword v254, off, s[0:3], 0 offset:320
	buffer_load_dword v255, off, s[0:3], 0 offset:324
	;; [unrolled: 1-line block ×4, first 2 shown]
	v_fma_f64 v[10:11], v[10:11], v[126:127], -v[12:13]
	v_mul_f64 v[4:5], v[4:5], v[128:129]
	v_add_f64 v[10:11], v[14:15], v[10:11]
	v_fma_f64 v[2:3], v[2:3], v[144:145], -v[4:5]
	v_mul_f64 v[4:5], v[8:9], v[136:137]
	v_add_f64 v[2:3], v[10:11], v[2:3]
	v_fma_f64 v[4:5], v[6:7], v[138:139], -v[4:5]
	v_add_f64 v[2:3], v[2:3], v[4:5]
	v_mul_f64 v[4:5], v[28:29], v[146:147]
	v_fma_f64 v[4:5], v[26:27], v[162:163], -v[4:5]
	v_add_f64 v[2:3], v[2:3], v[4:5]
	v_mul_f64 v[4:5], v[32:33], v[140:141]
	;; [unrolled: 3-line block ×22, first 2 shown]
	v_fma_f64 v[4:5], v[110:111], v[234:235], -v[4:5]
	v_add_f64 v[2:3], v[2:3], v[4:5]
	s_waitcnt vmcnt(6) lgkmcnt(0)
	v_mul_f64 v[4:5], v[116:117], v[240:241]
	v_mul_f64 v[224:225], v[114:115], v[240:241]
	s_waitcnt vmcnt(4)
	v_fma_f64 v[4:5], v[114:115], v[242:243], -v[4:5]
	v_fmac_f64_e32 v[224:225], v[116:117], v[242:243]
	v_add_f64 v[2:3], v[2:3], v[4:5]
	v_add_f64 v[244:245], v[222:223], v[224:225]
	s_waitcnt vmcnt(2)
	v_add_f64 v[2:3], v[254:255], -v[2:3]
	s_waitcnt vmcnt(0)
	v_add_f64 v[4:5], v[252:253], -v[244:245]
	buffer_store_dword v3, off, s[0:3], 0 offset:324
	buffer_store_dword v2, off, s[0:3], 0 offset:320
	;; [unrolled: 1-line block ×4, first 2 shown]
	s_and_saveexec_b64 s[4:5], vcc
	s_cbranch_execz .LBB53_301
; %bb.300:
	v_accvgpr_read_b32 v1, a143
	buffer_load_dword v2, v1, s[0:3], 0 offen
	buffer_load_dword v3, v1, s[0:3], 0 offen offset:4
	buffer_load_dword v4, v1, s[0:3], 0 offen offset:8
	;; [unrolled: 1-line block ×3, first 2 shown]
	v_mov_b32_e32 v1, 0
	v_accvgpr_read_b32 v6, a161
	buffer_store_dword v1, off, s[0:3], 0 offset:304
	buffer_store_dword v1, off, s[0:3], 0 offset:308
	;; [unrolled: 1-line block ×4, first 2 shown]
	s_waitcnt vmcnt(4)
	ds_write_b128 v6, v[2:5]
.LBB53_301:
	s_or_b64 exec, exec, s[4:5]
	s_waitcnt lgkmcnt(0)
	; wave barrier
	s_waitcnt lgkmcnt(0)
	buffer_load_dword v82, off, s[0:3], 0 offset:320
	buffer_load_dword v83, off, s[0:3], 0 offset:324
	;; [unrolled: 1-line block ×54, first 2 shown]
	v_mov_b32_e32 v1, 0
	ds_read_b128 v[90:93], v1 offset:1168
	ds_read_b128 v[106:109], v1 offset:1184
	;; [unrolled: 1-line block ×9, first 2 shown]
	buffer_load_dword v149, off, s[0:3], 0 offset:548
	buffer_load_dword v148, off, s[0:3], 0 offset:544
	;; [unrolled: 1-line block ×62, first 2 shown]
	v_cmp_lt_u32_e32 vcc, 17, v0
	s_waitcnt vmcnt(62) lgkmcnt(8)
	v_mul_f64 v[14:15], v[90:91], v[84:85]
	v_fmac_f64_e32 v[14:15], v[92:93], v[82:83]
	v_add_f64 v[14:15], v[14:15], 0
	v_mul_f64 v[84:85], v[92:93], v[84:85]
	s_waitcnt lgkmcnt(7)
	v_mul_f64 v[16:17], v[106:107], v[88:89]
	v_fmac_f64_e32 v[16:17], v[108:109], v[86:87]
	s_waitcnt lgkmcnt(6)
	v_mul_f64 v[18:19], v[114:115], v[94:95]
	v_add_f64 v[14:15], v[14:15], v[16:17]
	s_waitcnt lgkmcnt(4)
	v_mul_f64 v[22:23], v[246:247], v[102:103]
	v_fma_f64 v[218:219], v[90:91], v[82:83], -v[84:85]
	v_fmac_f64_e32 v[22:23], v[248:249], v[104:105]
	v_mul_f64 v[88:89], v[108:109], v[88:89]
	v_mul_f64 v[20:21], v[242:243], v[98:99]
	v_fma_f64 v[220:221], v[106:107], v[86:87], -v[88:89]
	s_waitcnt lgkmcnt(2)
	v_mul_f64 v[26:27], v[10:11], v[118:119]
	v_mul_f64 v[94:95], v[116:117], v[94:95]
	v_fmac_f64_e32 v[26:27], v[12:13], v[120:121]
	v_mul_f64 v[98:99], v[244:245], v[98:99]
	v_mul_f64 v[24:25], v[250:251], v[110:111]
	;; [unrolled: 1-line block ×3, first 2 shown]
	s_waitcnt lgkmcnt(1)
	v_mul_f64 v[28:29], v[6:7], v[122:123]
	v_mul_f64 v[110:111], v[252:253], v[110:111]
	v_fmac_f64_e32 v[18:19], v[116:117], v[96:97]
	v_add_f64 v[14:15], v[14:15], v[18:19]
	v_fmac_f64_e32 v[20:21], v[244:245], v[100:101]
	v_add_f64 v[14:15], v[14:15], v[20:21]
	;; [unrolled: 2-line block ×3, first 2 shown]
	v_add_f64 v[14:15], v[14:15], v[24:25]
	v_fmac_f64_e32 v[28:29], v[8:9], v[126:127]
	v_add_f64 v[14:15], v[14:15], v[26:27]
	v_add_f64 v[18:19], v[14:15], v[28:29]
	ds_read_b128 v[14:17], v1 offset:1312
	s_waitcnt lgkmcnt(1)
	v_mul_f64 v[20:21], v[2:3], v[124:125]
	v_fmac_f64_e32 v[20:21], v[4:5], v[128:129]
	v_add_f64 v[22:23], v[18:19], v[20:21]
	ds_read_b128 v[18:21], v1 offset:1328
	s_waitcnt lgkmcnt(1)
	v_mul_f64 v[24:25], v[14:15], v[134:135]
	v_fmac_f64_e32 v[24:25], v[16:17], v[136:137]
	;; [unrolled: 5-line block ×5, first 2 shown]
	v_add_f64 v[38:39], v[34:35], v[36:37]
	ds_read_b128 v[34:37], v1 offset:1392
	s_waitcnt vmcnt(58) lgkmcnt(1)
	v_mul_f64 v[40:41], v[30:31], v[162:163]
	s_waitcnt vmcnt(56)
	v_fmac_f64_e32 v[40:41], v[32:33], v[166:167]
	v_add_f64 v[42:43], v[38:39], v[40:41]
	ds_read_b128 v[38:41], v1 offset:1408
	s_waitcnt lgkmcnt(1)
	v_mul_f64 v[44:45], v[34:35], v[142:143]
	v_fmac_f64_e32 v[44:45], v[36:37], v[148:149]
	v_add_f64 v[46:47], v[42:43], v[44:45]
	ds_read_b128 v[42:45], v1 offset:1424
	s_waitcnt vmcnt(50) lgkmcnt(1)
	v_mul_f64 v[48:49], v[38:39], v[170:171]
	s_waitcnt vmcnt(48)
	v_fmac_f64_e32 v[48:49], v[40:41], v[174:175]
	v_add_f64 v[50:51], v[46:47], v[48:49]
	ds_read_b128 v[46:49], v1 offset:1440
	buffer_load_dword v211, off, s[0:3], 0 offset:796
	buffer_load_dword v210, off, s[0:3], 0 offset:792
	;; [unrolled: 1-line block ×8, first 2 shown]
	s_waitcnt lgkmcnt(1)
	v_mul_f64 v[52:53], v[42:43], v[150:151]
	v_fmac_f64_e32 v[52:53], v[44:45], v[152:153]
	v_add_f64 v[54:55], v[50:51], v[52:53]
	ds_read_b128 v[50:53], v1 offset:1456
	s_waitcnt vmcnt(50) lgkmcnt(1)
	v_mul_f64 v[56:57], v[46:47], v[178:179]
	s_waitcnt vmcnt(48)
	v_fmac_f64_e32 v[56:57], v[48:49], v[182:183]
	buffer_load_dword v215, off, s[0:3], 0 offset:844
	buffer_load_dword v231, off, s[0:3], 0 offset:828
	buffer_load_dword v230, off, s[0:3], 0 offset:824
	buffer_load_dword v237, off, s[0:3], 0 offset:820
	buffer_load_dword v236, off, s[0:3], 0 offset:816
	buffer_load_dword v214, off, s[0:3], 0 offset:840
	buffer_load_dword v235, off, s[0:3], 0 offset:836
	buffer_load_dword v234, off, s[0:3], 0 offset:832
	buffer_load_dword v233, off, s[0:3], 0 offset:860
	buffer_load_dword v232, off, s[0:3], 0 offset:856
	buffer_load_dword v239, off, s[0:3], 0 offset:852
	buffer_load_dword v238, off, s[0:3], 0 offset:848
	v_add_f64 v[58:59], v[54:55], v[56:57]
	ds_read_b128 v[54:57], v1 offset:1472
	s_waitcnt lgkmcnt(1)
	v_mul_f64 v[60:61], v[50:51], v[154:155]
	v_fmac_f64_e32 v[60:61], v[52:53], v[156:157]
	v_add_f64 v[62:63], v[58:59], v[60:61]
	ds_read_b128 v[58:61], v1 offset:1488
	s_waitcnt vmcnt(54) lgkmcnt(1)
	v_mul_f64 v[64:65], v[54:55], v[186:187]
	s_waitcnt vmcnt(52)
	v_fmac_f64_e32 v[64:65], v[56:57], v[190:191]
	v_add_f64 v[66:67], v[62:63], v[64:65]
	ds_read_b128 v[62:65], v1 offset:1504
	s_waitcnt lgkmcnt(1)
	v_mul_f64 v[68:69], v[58:59], v[158:159]
	v_fmac_f64_e32 v[68:69], v[60:61], v[160:161]
	v_add_f64 v[70:71], v[66:67], v[68:69]
	ds_read_b128 v[66:69], v1 offset:1520
	s_waitcnt vmcnt(46) lgkmcnt(1)
	v_mul_f64 v[72:73], v[62:63], v[194:195]
	s_waitcnt vmcnt(44)
	v_fmac_f64_e32 v[72:73], v[64:65], v[196:197]
	v_add_f64 v[78:79], v[70:71], v[72:73]
	ds_read_b128 v[70:73], v1 offset:1536
	ds_read_b128 v[74:77], v1 offset:1552
	s_waitcnt lgkmcnt(2)
	v_mul_f64 v[80:81], v[66:67], v[164:165]
	v_fmac_f64_e32 v[80:81], v[68:69], v[168:169]
	v_add_f64 v[78:79], v[78:79], v[80:81]
	s_waitcnt vmcnt(38) lgkmcnt(1)
	v_mul_f64 v[80:81], v[70:71], v[198:199]
	s_waitcnt vmcnt(36)
	v_fmac_f64_e32 v[80:81], v[72:73], v[200:201]
	v_add_f64 v[78:79], v[78:79], v[80:81]
	s_waitcnt lgkmcnt(0)
	v_mul_f64 v[80:81], v[74:75], v[172:173]
	v_fmac_f64_e32 v[80:81], v[76:77], v[176:177]
	v_add_f64 v[216:217], v[78:79], v[80:81]
	ds_read_b128 v[78:81], v1 offset:1568
	ds_read_b128 v[82:85], v1 offset:1584
	;; [unrolled: 1-line block ×3, first 2 shown]
	v_fma_f64 v[222:223], v[242:243], v[100:101], -v[98:99]
	ds_read_b128 v[98:101], v1 offset:1648
	s_waitcnt vmcnt(30) lgkmcnt(3)
	v_mul_f64 v[90:91], v[78:79], v[202:203]
	s_waitcnt vmcnt(28)
	v_fmac_f64_e32 v[90:91], v[80:81], v[204:205]
	s_waitcnt lgkmcnt(2)
	v_mul_f64 v[92:93], v[82:83], v[180:181]
	v_add_f64 v[90:91], v[216:217], v[90:91]
	v_fmac_f64_e32 v[92:93], v[84:85], v[184:185]
	v_add_f64 v[90:91], v[90:91], v[92:93]
	v_fma_f64 v[216:217], v[114:115], v[96:97], -v[94:95]
	ds_read_b128 v[94:97], v1 offset:1632
	s_waitcnt vmcnt(22) lgkmcnt(2)
	v_mul_f64 v[92:93], v[86:87], v[206:207]
	s_waitcnt vmcnt(20)
	v_fmac_f64_e32 v[92:93], v[88:89], v[208:209]
	v_add_f64 v[106:107], v[90:91], v[92:93]
	ds_read_b128 v[90:93], v1 offset:1616
	buffer_load_dword v240, off, s[0:3], 0 offset:872
	v_fma_f64 v[224:225], v[246:247], v[104:105], -v[102:103]
	ds_read_b128 v[102:105], v1 offset:1664
	v_fma_f64 v[250:251], v[250:251], v[112:113], -v[110:111]
	s_waitcnt lgkmcnt(1)
	v_mul_f64 v[108:109], v[90:91], v[188:189]
	v_fmac_f64_e32 v[108:109], v[92:93], v[192:193]
	v_add_f64 v[106:107], v[106:107], v[108:109]
	ds_read_b128 v[110:113], v1 offset:1696
	v_add_f64 v[218:219], v[218:219], 0
	v_add_f64 v[218:219], v[218:219], v[220:221]
	v_add_f64 v[216:217], v[218:219], v[216:217]
	v_add_f64 v[216:217], v[216:217], v[222:223]
	v_add_f64 v[252:253], v[216:217], v[224:225]
	v_mul_f64 v[12:13], v[12:13], v[118:119]
	v_add_f64 v[216:217], v[252:253], v[250:251]
	v_fma_f64 v[10:11], v[10:11], v[120:121], -v[12:13]
	v_mul_f64 v[8:9], v[8:9], v[122:123]
	v_add_f64 v[10:11], v[216:217], v[10:11]
	v_fma_f64 v[6:7], v[6:7], v[126:127], -v[8:9]
	;; [unrolled: 3-line block ×3, first 2 shown]
	v_mul_f64 v[4:5], v[16:17], v[134:135]
	v_add_f64 v[2:3], v[6:7], v[2:3]
	s_waitcnt vmcnt(19)
	v_mul_f64 v[108:109], v[94:95], v[210:211]
	v_fma_f64 v[4:5], v[14:15], v[136:137], -v[4:5]
	s_waitcnt vmcnt(17)
	v_fmac_f64_e32 v[108:109], v[96:97], v[212:213]
	v_add_f64 v[106:107], v[106:107], v[108:109]
	s_waitcnt vmcnt(15)
	v_mul_f64 v[108:109], v[98:99], v[226:227]
	s_waitcnt vmcnt(13)
	v_fmac_f64_e32 v[108:109], v[100:101], v[228:229]
	v_add_f64 v[114:115], v[106:107], v[108:109]
	ds_read_b128 v[106:109], v1 offset:1680
	buffer_load_dword v244, off, s[0:3], 0 offset:864
	buffer_load_dword v241, off, s[0:3], 0 offset:876
	;; [unrolled: 1-line block ×3, first 2 shown]
	s_waitcnt vmcnt(13) lgkmcnt(2)
	v_mul_f64 v[116:117], v[102:103], v[230:231]
	s_waitcnt vmcnt(11)
	v_fmac_f64_e32 v[116:117], v[104:105], v[236:237]
	v_add_f64 v[114:115], v[114:115], v[116:117]
	s_waitcnt vmcnt(10) lgkmcnt(0)
	v_mul_f64 v[116:117], v[106:107], v[214:215]
	s_waitcnt vmcnt(8)
	v_fmac_f64_e32 v[116:117], v[108:109], v[234:235]
	v_add_f64 v[114:115], v[114:115], v[116:117]
	s_waitcnt vmcnt(6)
	v_mul_f64 v[116:117], v[110:111], v[232:233]
	s_waitcnt vmcnt(4)
	v_fmac_f64_e32 v[116:117], v[112:113], v[238:239]
	v_add_f64 v[242:243], v[114:115], v[116:117]
	ds_read_b128 v[114:117], v1 offset:1712
	buffer_load_dword v248, off, s[0:3], 0 offset:304
	buffer_load_dword v249, off, s[0:3], 0 offset:308
	v_add_f64 v[2:3], v[2:3], v[4:5]
	v_mul_f64 v[4:5], v[20:21], v[130:131]
	v_fma_f64 v[4:5], v[18:19], v[132:133], -v[4:5]
	v_add_f64 v[2:3], v[2:3], v[4:5]
	v_mul_f64 v[4:5], v[24:25], v[144:145]
	v_fma_f64 v[4:5], v[22:23], v[146:147], -v[4:5]
	;; [unrolled: 3-line block ×22, first 2 shown]
	v_add_f64 v[2:3], v[2:3], v[4:5]
	s_waitcnt vmcnt(3) lgkmcnt(0)
	v_mul_f64 v[246:247], v[114:115], v[240:241]
	s_waitcnt vmcnt(2)
	v_fmac_f64_e32 v[246:247], v[116:117], v[244:245]
	v_add_f64 v[242:243], v[242:243], v[246:247]
	buffer_load_dword v246, off, s[0:3], 0 offset:312
	buffer_load_dword v247, off, s[0:3], 0 offset:316
	v_mul_f64 v[4:5], v[108:109], v[214:215]
	v_fma_f64 v[4:5], v[106:107], v[234:235], -v[4:5]
	v_add_f64 v[2:3], v[2:3], v[4:5]
	v_mul_f64 v[4:5], v[112:113], v[232:233]
	v_fma_f64 v[4:5], v[110:111], v[238:239], -v[4:5]
	v_add_f64 v[2:3], v[2:3], v[4:5]
	;; [unrolled: 3-line block ×3, first 2 shown]
	s_waitcnt vmcnt(2)
	v_add_f64 v[2:3], v[248:249], -v[2:3]
	s_waitcnt vmcnt(0)
	v_add_f64 v[4:5], v[246:247], -v[242:243]
	buffer_store_dword v3, off, s[0:3], 0 offset:308
	buffer_store_dword v2, off, s[0:3], 0 offset:304
	;; [unrolled: 1-line block ×4, first 2 shown]
	s_and_saveexec_b64 s[4:5], vcc
	s_cbranch_execz .LBB53_303
; %bb.302:
	v_accvgpr_read_b32 v5, a144
	buffer_load_dword v2, v5, s[0:3], 0 offen
	buffer_load_dword v3, v5, s[0:3], 0 offen offset:4
	buffer_load_dword v4, v5, s[0:3], 0 offen offset:8
	s_nop 0
	buffer_load_dword v5, v5, s[0:3], 0 offen offset:12
	v_accvgpr_read_b32 v6, a161
	buffer_store_dword v1, off, s[0:3], 0 offset:288
	buffer_store_dword v1, off, s[0:3], 0 offset:292
	;; [unrolled: 1-line block ×4, first 2 shown]
	s_waitcnt vmcnt(4)
	ds_write_b128 v6, v[2:5]
.LBB53_303:
	s_or_b64 exec, exec, s[4:5]
	s_waitcnt lgkmcnt(0)
	; wave barrier
	s_waitcnt lgkmcnt(0)
	buffer_load_dword v84, off, s[0:3], 0 offset:304
	buffer_load_dword v85, off, s[0:3], 0 offset:308
	;; [unrolled: 1-line block ×34, first 2 shown]
	ds_read_b128 v[74:77], v1 offset:1152
	ds_read_b128 v[78:81], v1 offset:1168
	;; [unrolled: 1-line block ×8, first 2 shown]
	buffer_load_dword v125, off, s[0:3], 0 offset:420
	buffer_load_dword v124, off, s[0:3], 0 offset:416
	ds_read_b128 v[6:9], v1 offset:1280
	buffer_load_dword v127, off, s[0:3], 0 offset:476
	buffer_load_dword v126, off, s[0:3], 0 offset:472
	;; [unrolled: 1-line block ×80, first 2 shown]
	v_cmp_lt_u32_e32 vcc, 16, v0
	s_waitcnt vmcnt(62) lgkmcnt(8)
	v_mul_f64 v[10:11], v[74:75], v[106:107]
	v_fmac_f64_e32 v[10:11], v[76:77], v[84:85]
	v_add_f64 v[10:11], v[10:11], 0
	v_mul_f64 v[76:77], v[76:77], v[106:107]
	s_waitcnt lgkmcnt(7)
	v_mul_f64 v[12:13], v[78:79], v[96:97]
	v_fmac_f64_e32 v[12:13], v[80:81], v[82:83]
	s_waitcnt lgkmcnt(6)
	v_mul_f64 v[14:15], v[86:87], v[94:95]
	v_add_f64 v[10:11], v[10:11], v[12:13]
	s_waitcnt lgkmcnt(4)
	v_mul_f64 v[18:19], v[98:99], v[108:109]
	v_fma_f64 v[218:219], v[74:75], v[84:85], -v[76:77]
	v_fmac_f64_e32 v[18:19], v[100:101], v[114:115]
	v_mul_f64 v[80:81], v[80:81], v[96:97]
	v_mul_f64 v[16:17], v[90:91], v[116:117]
	v_fma_f64 v[220:221], v[78:79], v[82:83], -v[80:81]
	s_waitcnt lgkmcnt(2)
	v_mul_f64 v[22:23], v[110:111], v[240:241]
	v_mul_f64 v[100:101], v[100:101], v[108:109]
	v_fma_f64 v[224:225], v[98:99], v[114:115], -v[100:101]
	v_mul_f64 v[20:21], v[102:103], v[244:245]
	v_add_f64 v[218:219], v[218:219], 0
	s_waitcnt lgkmcnt(1)
	v_mul_f64 v[24:25], v[2:3], v[118:119]
	v_add_f64 v[218:219], v[218:219], v[220:221]
	v_fmac_f64_e32 v[14:15], v[88:89], v[250:251]
	v_add_f64 v[10:11], v[10:11], v[14:15]
	v_fmac_f64_e32 v[16:17], v[92:93], v[248:249]
	;; [unrolled: 2-line block ×4, first 2 shown]
	v_add_f64 v[10:11], v[10:11], v[20:21]
	v_add_f64 v[10:11], v[10:11], v[22:23]
	s_waitcnt lgkmcnt(0)
	v_mul_f64 v[16:17], v[6:7], v[120:121]
	v_fmac_f64_e32 v[16:17], v[8:9], v[122:123]
	v_fmac_f64_e32 v[24:25], v[4:5], v[124:125]
	v_add_f64 v[14:15], v[10:11], v[24:25]
	ds_read_b128 v[10:13], v1 offset:1296
	v_add_f64 v[18:19], v[14:15], v[16:17]
	ds_read_b128 v[14:17], v1 offset:1312
	v_mul_f64 v[88:89], v[88:89], v[94:95]
	v_mul_f64 v[92:93], v[92:93], v[116:117]
	s_waitcnt lgkmcnt(1)
	v_mul_f64 v[20:21], v[10:11], v[130:131]
	v_fmac_f64_e32 v[20:21], v[12:13], v[132:133]
	s_waitcnt lgkmcnt(0)
	v_mul_f64 v[24:25], v[14:15], v[126:127]
	v_add_f64 v[22:23], v[18:19], v[20:21]
	ds_read_b128 v[18:21], v1 offset:1328
	v_fmac_f64_e32 v[24:25], v[16:17], v[128:129]
	v_add_f64 v[26:27], v[22:23], v[24:25]
	ds_read_b128 v[22:25], v1 offset:1344
	v_fma_f64 v[222:223], v[90:91], v[248:249], -v[92:93]
	s_waitcnt lgkmcnt(1)
	v_mul_f64 v[28:29], v[18:19], v[142:143]
	v_fmac_f64_e32 v[28:29], v[20:21], v[144:145]
	v_add_f64 v[30:31], v[26:27], v[28:29]
	s_waitcnt lgkmcnt(0)
	v_mul_f64 v[32:33], v[22:23], v[134:135]
	ds_read_b128 v[26:29], v1 offset:1360
	v_fmac_f64_e32 v[32:33], v[24:25], v[136:137]
	v_add_f64 v[34:35], v[30:31], v[32:33]
	ds_read_b128 v[30:33], v1 offset:1376
	v_mul_f64 v[104:105], v[104:105], v[244:245]
	s_waitcnt vmcnt(58) lgkmcnt(1)
	v_mul_f64 v[36:37], v[26:27], v[158:159]
	s_waitcnt vmcnt(56)
	v_fmac_f64_e32 v[36:37], v[28:29], v[162:163]
	v_add_f64 v[38:39], v[34:35], v[36:37]
	s_waitcnt lgkmcnt(0)
	v_mul_f64 v[40:41], v[30:31], v[138:139]
	ds_read_b128 v[34:37], v1 offset:1392
	v_fmac_f64_e32 v[40:41], v[32:33], v[140:141]
	v_add_f64 v[42:43], v[38:39], v[40:41]
	ds_read_b128 v[38:41], v1 offset:1408
	v_mul_f64 v[112:113], v[112:113], v[240:241]
	s_waitcnt vmcnt(50) lgkmcnt(1)
	v_mul_f64 v[44:45], v[34:35], v[166:167]
	s_waitcnt vmcnt(48)
	v_fmac_f64_e32 v[44:45], v[36:37], v[170:171]
	v_add_f64 v[46:47], v[42:43], v[44:45]
	s_waitcnt lgkmcnt(0)
	v_mul_f64 v[48:49], v[38:39], v[146:147]
	v_fmac_f64_e32 v[48:49], v[40:41], v[148:149]
	ds_read_b128 v[42:45], v1 offset:1424
	v_add_f64 v[50:51], v[46:47], v[48:49]
	ds_read_b128 v[46:49], v1 offset:1440
	buffer_load_dword v207, off, s[0:3], 0 offset:796
	buffer_load_dword v209, off, s[0:3], 0 offset:780
	;; [unrolled: 1-line block ×12, first 2 shown]
	v_fma_f64 v[252:253], v[110:111], v[242:243], -v[112:113]
	s_waitcnt vmcnt(54) lgkmcnt(1)
	v_mul_f64 v[52:53], v[42:43], v[174:175]
	s_waitcnt vmcnt(52)
	v_fmac_f64_e32 v[52:53], v[44:45], v[178:179]
	v_add_f64 v[54:55], v[50:51], v[52:53]
	ds_read_b128 v[50:53], v1 offset:1456
	s_waitcnt lgkmcnt(1)
	v_mul_f64 v[56:57], v[46:47], v[150:151]
	v_fmac_f64_e32 v[56:57], v[48:49], v[152:153]
	buffer_load_dword v231, off, s[0:3], 0 offset:828
	buffer_load_dword v230, off, s[0:3], 0 offset:824
	;; [unrolled: 1-line block ×12, first 2 shown]
	v_add_f64 v[58:59], v[54:55], v[56:57]
	ds_read_b128 v[54:57], v1 offset:1472
	s_waitcnt vmcnt(58) lgkmcnt(1)
	v_mul_f64 v[60:61], v[50:51], v[182:183]
	s_waitcnt vmcnt(56)
	v_fmac_f64_e32 v[60:61], v[52:53], v[186:187]
	v_add_f64 v[62:63], v[58:59], v[60:61]
	ds_read_b128 v[58:61], v1 offset:1488
	s_waitcnt lgkmcnt(1)
	v_mul_f64 v[64:65], v[54:55], v[154:155]
	v_fmac_f64_e32 v[64:65], v[56:57], v[156:157]
	v_add_f64 v[70:71], v[62:63], v[64:65]
	ds_read_b128 v[62:65], v1 offset:1504
	ds_read_b128 v[66:69], v1 offset:1520
	s_waitcnt vmcnt(50) lgkmcnt(2)
	v_mul_f64 v[72:73], v[58:59], v[190:191]
	s_waitcnt vmcnt(48)
	v_fmac_f64_e32 v[72:73], v[60:61], v[192:193]
	v_add_f64 v[70:71], v[70:71], v[72:73]
	s_waitcnt lgkmcnt(1)
	v_mul_f64 v[72:73], v[62:63], v[160:161]
	v_fmac_f64_e32 v[72:73], v[64:65], v[164:165]
	v_add_f64 v[70:71], v[70:71], v[72:73]
	s_waitcnt vmcnt(42) lgkmcnt(0)
	v_mul_f64 v[72:73], v[66:67], v[194:195]
	s_waitcnt vmcnt(40)
	v_fmac_f64_e32 v[72:73], v[68:69], v[196:197]
	v_add_f64 v[216:217], v[70:71], v[72:73]
	ds_read_b128 v[70:73], v1 offset:1536
	ds_read_b128 v[74:77], v1 offset:1552
	;; [unrolled: 1-line block ×5, first 2 shown]
	s_waitcnt lgkmcnt(4)
	v_mul_f64 v[84:85], v[70:71], v[168:169]
	v_fmac_f64_e32 v[84:85], v[72:73], v[172:173]
	v_add_f64 v[82:83], v[216:217], v[84:85]
	s_waitcnt vmcnt(34) lgkmcnt(3)
	v_mul_f64 v[84:85], v[74:75], v[198:199]
	s_waitcnt vmcnt(32)
	v_fmac_f64_e32 v[84:85], v[76:77], v[200:201]
	v_add_f64 v[82:83], v[82:83], v[84:85]
	v_fma_f64 v[216:217], v[86:87], v[250:251], -v[88:89]
	ds_read_b128 v[86:89], v1 offset:1600
	s_waitcnt lgkmcnt(3)
	v_mul_f64 v[84:85], v[78:79], v[176:177]
	v_fmac_f64_e32 v[84:85], v[80:81], v[180:181]
	v_add_f64 v[96:97], v[82:83], v[84:85]
	ds_read_b128 v[82:85], v1 offset:1584
	v_fma_f64 v[250:251], v[102:103], v[246:247], -v[104:105]
	ds_read_b128 v[110:113], v1 offset:1696
	v_add_f64 v[216:217], v[218:219], v[216:217]
	v_add_f64 v[216:217], v[216:217], v[222:223]
	s_waitcnt vmcnt(26) lgkmcnt(1)
	v_mul_f64 v[94:95], v[82:83], v[202:203]
	s_waitcnt vmcnt(24)
	v_fmac_f64_e32 v[94:95], v[84:85], v[204:205]
	v_add_f64 v[94:95], v[96:97], v[94:95]
	v_mul_f64 v[96:97], v[86:87], v[184:185]
	v_fmac_f64_e32 v[96:97], v[88:89], v[188:189]
	v_add_f64 v[106:107], v[94:95], v[96:97]
	ds_read_b128 v[94:97], v1 offset:1632
	v_add_f64 v[254:255], v[216:217], v[224:225]
	v_add_f64 v[216:217], v[254:255], v[250:251]
	v_mul_f64 v[4:5], v[4:5], v[118:119]
	v_add_f64 v[216:217], v[216:217], v[252:253]
	ds_read_b128 v[102:105], v1 offset:1680
	v_fma_f64 v[2:3], v[2:3], v[124:125], -v[4:5]
	v_mul_f64 v[4:5], v[8:9], v[120:121]
	v_add_f64 v[2:3], v[216:217], v[2:3]
	v_fma_f64 v[4:5], v[6:7], v[122:123], -v[4:5]
	v_add_f64 v[2:3], v[2:3], v[4:5]
	v_mul_f64 v[4:5], v[12:13], v[130:131]
	v_fma_f64 v[4:5], v[10:11], v[132:133], -v[4:5]
	v_add_f64 v[2:3], v[2:3], v[4:5]
	v_mul_f64 v[4:5], v[16:17], v[126:127]
	s_waitcnt vmcnt(21)
	v_mul_f64 v[108:109], v[90:91], v[208:209]
	v_fma_f64 v[4:5], v[14:15], v[128:129], -v[4:5]
	s_waitcnt vmcnt(19)
	v_fmac_f64_e32 v[108:109], v[92:93], v[214:215]
	v_add_f64 v[106:107], v[106:107], v[108:109]
	s_waitcnt vmcnt(18) lgkmcnt(1)
	v_mul_f64 v[108:109], v[94:95], v[206:207]
	s_waitcnt vmcnt(16)
	v_fmac_f64_e32 v[108:109], v[96:97], v[212:213]
	v_add_f64 v[114:115], v[106:107], v[108:109]
	ds_read_b128 v[106:109], v1 offset:1664
	buffer_load_dword v243, off, s[0:3], 0 offset:876
	buffer_load_dword v242, off, s[0:3], 0 offset:872
	;; [unrolled: 1-line block ×4, first 2 shown]
	s_waitcnt vmcnt(18)
	v_mul_f64 v[116:117], v[98:99], v[210:211]
	s_waitcnt vmcnt(16)
	v_fmac_f64_e32 v[116:117], v[100:101], v[226:227]
	v_add_f64 v[114:115], v[114:115], v[116:117]
	s_waitcnt vmcnt(14) lgkmcnt(0)
	v_mul_f64 v[116:117], v[106:107], v[230:231]
	s_waitcnt vmcnt(12)
	v_fmac_f64_e32 v[116:117], v[108:109], v[232:233]
	v_add_f64 v[114:115], v[114:115], v[116:117]
	s_waitcnt vmcnt(9)
	v_mul_f64 v[116:117], v[102:103], v[236:237]
	s_waitcnt vmcnt(7)
	v_fmac_f64_e32 v[116:117], v[104:105], v[238:239]
	v_add_f64 v[114:115], v[114:115], v[116:117]
	s_waitcnt vmcnt(5)
	v_mul_f64 v[116:117], v[110:111], v[228:229]
	s_waitcnt vmcnt(4)
	v_fmac_f64_e32 v[116:117], v[112:113], v[234:235]
	v_add_f64 v[240:241], v[114:115], v[116:117]
	ds_read_b128 v[114:117], v1 offset:1712
	v_add_f64 v[2:3], v[2:3], v[4:5]
	v_mul_f64 v[4:5], v[20:21], v[142:143]
	v_fma_f64 v[4:5], v[18:19], v[144:145], -v[4:5]
	v_add_f64 v[2:3], v[2:3], v[4:5]
	v_mul_f64 v[4:5], v[24:25], v[134:135]
	v_fma_f64 v[4:5], v[22:23], v[136:137], -v[4:5]
	;; [unrolled: 3-line block ×21, first 2 shown]
	v_add_f64 v[2:3], v[2:3], v[4:5]
	s_waitcnt vmcnt(2) lgkmcnt(0)
	v_mul_f64 v[246:247], v[114:115], v[242:243]
	v_mul_f64 v[4:5], v[108:109], v[230:231]
	s_waitcnt vmcnt(0)
	v_fmac_f64_e32 v[246:247], v[116:117], v[244:245]
	v_add_f64 v[240:241], v[240:241], v[246:247]
	buffer_load_dword v248, off, s[0:3], 0 offset:288
	buffer_load_dword v249, off, s[0:3], 0 offset:292
	;; [unrolled: 1-line block ×4, first 2 shown]
	v_fma_f64 v[4:5], v[106:107], v[232:233], -v[4:5]
	v_add_f64 v[2:3], v[2:3], v[4:5]
	v_mul_f64 v[4:5], v[104:105], v[236:237]
	v_fma_f64 v[4:5], v[102:103], v[238:239], -v[4:5]
	v_add_f64 v[2:3], v[2:3], v[4:5]
	v_mul_f64 v[4:5], v[112:113], v[228:229]
	;; [unrolled: 3-line block ×3, first 2 shown]
	v_fma_f64 v[4:5], v[114:115], v[244:245], -v[4:5]
	v_add_f64 v[2:3], v[2:3], v[4:5]
	s_waitcnt vmcnt(2)
	v_add_f64 v[2:3], v[248:249], -v[2:3]
	s_waitcnt vmcnt(0)
	v_add_f64 v[4:5], v[246:247], -v[240:241]
	buffer_store_dword v3, off, s[0:3], 0 offset:292
	buffer_store_dword v2, off, s[0:3], 0 offset:288
	;; [unrolled: 1-line block ×4, first 2 shown]
	s_and_saveexec_b64 s[4:5], vcc
	s_cbranch_execz .LBB53_305
; %bb.304:
	v_accvgpr_read_b32 v1, a145
	buffer_load_dword v2, v1, s[0:3], 0 offen
	buffer_load_dword v3, v1, s[0:3], 0 offen offset:4
	buffer_load_dword v4, v1, s[0:3], 0 offen offset:8
	;; [unrolled: 1-line block ×3, first 2 shown]
	v_mov_b32_e32 v1, 0
	v_accvgpr_read_b32 v6, a161
	buffer_store_dword v1, off, s[0:3], 0 offset:272
	buffer_store_dword v1, off, s[0:3], 0 offset:276
	;; [unrolled: 1-line block ×4, first 2 shown]
	s_waitcnt vmcnt(4)
	ds_write_b128 v6, v[2:5]
.LBB53_305:
	s_or_b64 exec, exec, s[4:5]
	s_waitcnt lgkmcnt(0)
	; wave barrier
	s_waitcnt lgkmcnt(0)
	buffer_load_dword v66, off, s[0:3], 0 offset:288
	buffer_load_dword v67, off, s[0:3], 0 offset:292
	;; [unrolled: 1-line block ×55, first 2 shown]
	v_mov_b32_e32 v1, 0
	ds_read_b128 v[74:77], v1 offset:1136
	ds_read_b128 v[86:89], v1 offset:1152
	;; [unrolled: 1-line block ×9, first 2 shown]
	buffer_load_dword v136, off, s[0:3], 0 offset:512
	buffer_load_dword v155, off, s[0:3], 0 offset:508
	;; [unrolled: 1-line block ×61, first 2 shown]
	v_cmp_lt_u32_e32 vcc, 15, v0
	s_waitcnt vmcnt(62) lgkmcnt(8)
	v_mul_f64 v[6:7], v[74:75], v[68:69]
	v_fmac_f64_e32 v[6:7], v[76:77], v[66:67]
	v_add_f64 v[6:7], v[6:7], 0
	v_mul_f64 v[68:69], v[76:77], v[68:69]
	s_waitcnt lgkmcnt(7)
	v_mul_f64 v[8:9], v[86:87], v[72:73]
	v_fmac_f64_e32 v[8:9], v[88:89], v[70:71]
	s_waitcnt lgkmcnt(6)
	v_mul_f64 v[10:11], v[98:99], v[78:79]
	v_add_f64 v[6:7], v[6:7], v[8:9]
	s_waitcnt lgkmcnt(4)
	v_mul_f64 v[14:15], v[114:115], v[90:91]
	v_fma_f64 v[218:219], v[74:75], v[66:67], -v[68:69]
	v_fmac_f64_e32 v[14:15], v[116:117], v[92:93]
	v_mul_f64 v[72:73], v[88:89], v[72:73]
	v_mul_f64 v[12:13], v[110:111], v[82:83]
	;; [unrolled: 1-line block ×3, first 2 shown]
	s_waitcnt lgkmcnt(2)
	v_mul_f64 v[18:19], v[244:245], v[102:103]
	v_mul_f64 v[82:83], v[112:113], v[82:83]
	;; [unrolled: 1-line block ×4, first 2 shown]
	v_fma_f64 v[224:225], v[114:115], v[92:93], -v[90:91]
	s_waitcnt lgkmcnt(1)
	v_mul_f64 v[20:21], v[248:249], v[106:107]
	v_fmac_f64_e32 v[20:21], v[250:251], v[108:109]
	v_fmac_f64_e32 v[10:11], v[100:101], v[80:81]
	v_add_f64 v[6:7], v[6:7], v[10:11]
	v_fmac_f64_e32 v[12:13], v[112:113], v[84:85]
	v_add_f64 v[6:7], v[6:7], v[12:13]
	;; [unrolled: 2-line block ×4, first 2 shown]
	v_add_f64 v[6:7], v[6:7], v[18:19]
	v_add_f64 v[10:11], v[6:7], v[20:21]
	ds_read_b128 v[6:9], v1 offset:1280
	s_waitcnt lgkmcnt(1)
	v_mul_f64 v[12:13], v[2:3], v[118:119]
	v_fmac_f64_e32 v[12:13], v[4:5], v[120:121]
	v_add_f64 v[14:15], v[10:11], v[12:13]
	ds_read_b128 v[10:13], v1 offset:1296
	s_waitcnt lgkmcnt(1)
	v_mul_f64 v[16:17], v[6:7], v[126:127]
	v_fmac_f64_e32 v[16:17], v[8:9], v[128:129]
	;; [unrolled: 5-line block ×5, first 2 shown]
	v_add_f64 v[30:31], v[26:27], v[28:29]
	ds_read_b128 v[26:29], v1 offset:1360
	s_waitcnt vmcnt(58) lgkmcnt(1)
	v_mul_f64 v[32:33], v[22:23], v[154:155]
	s_waitcnt vmcnt(56)
	v_fmac_f64_e32 v[32:33], v[24:25], v[158:159]
	v_add_f64 v[34:35], v[30:31], v[32:33]
	ds_read_b128 v[30:33], v1 offset:1376
	s_waitcnt lgkmcnt(1)
	v_mul_f64 v[36:37], v[26:27], v[134:135]
	v_fmac_f64_e32 v[36:37], v[28:29], v[136:137]
	v_add_f64 v[38:39], v[34:35], v[36:37]
	ds_read_b128 v[34:37], v1 offset:1392
	s_waitcnt vmcnt(50) lgkmcnt(1)
	v_mul_f64 v[40:41], v[30:31], v[162:163]
	s_waitcnt vmcnt(48)
	v_fmac_f64_e32 v[40:41], v[32:33], v[166:167]
	v_add_f64 v[42:43], v[38:39], v[40:41]
	ds_read_b128 v[38:41], v1 offset:1408
	s_waitcnt lgkmcnt(1)
	v_mul_f64 v[44:45], v[34:35], v[142:143]
	v_fmac_f64_e32 v[44:45], v[36:37], v[144:145]
	v_add_f64 v[46:47], v[42:43], v[44:45]
	ds_read_b128 v[42:45], v1 offset:1424
	s_waitcnt vmcnt(42) lgkmcnt(1)
	v_mul_f64 v[48:49], v[38:39], v[170:171]
	s_waitcnt vmcnt(40)
	v_fmac_f64_e32 v[48:49], v[40:41], v[174:175]
	v_add_f64 v[50:51], v[46:47], v[48:49]
	ds_read_b128 v[46:49], v1 offset:1440
	buffer_load_dword v203, off, s[0:3], 0 offset:764
	buffer_load_dword v202, off, s[0:3], 0 offset:760
	;; [unrolled: 1-line block ×4, first 2 shown]
	s_waitcnt lgkmcnt(1)
	v_mul_f64 v[52:53], v[42:43], v[146:147]
	v_fmac_f64_e32 v[52:53], v[44:45], v[148:149]
	v_add_f64 v[54:55], v[50:51], v[52:53]
	ds_read_b128 v[50:53], v1 offset:1456
	buffer_load_dword v207, off, s[0:3], 0 offset:780
	buffer_load_dword v206, off, s[0:3], 0 offset:776
	;; [unrolled: 1-line block ×8, first 2 shown]
	s_waitcnt vmcnt(46) lgkmcnt(1)
	v_mul_f64 v[56:57], v[46:47], v[178:179]
	s_waitcnt vmcnt(44)
	v_fmac_f64_e32 v[56:57], v[48:49], v[182:183]
	v_add_f64 v[58:59], v[54:55], v[56:57]
	ds_read_b128 v[54:57], v1 offset:1472
	buffer_load_dword v227, off, s[0:3], 0 offset:812
	buffer_load_dword v226, off, s[0:3], 0 offset:808
	;; [unrolled: 1-line block ×12, first 2 shown]
	s_waitcnt lgkmcnt(1)
	v_mul_f64 v[60:61], v[50:51], v[150:151]
	v_fmac_f64_e32 v[60:61], v[52:53], v[152:153]
	v_add_f64 v[62:63], v[58:59], v[60:61]
	ds_read_b128 v[58:61], v1 offset:1488
	s_waitcnt vmcnt(50) lgkmcnt(1)
	v_mul_f64 v[64:65], v[54:55], v[186:187]
	s_waitcnt vmcnt(48)
	v_fmac_f64_e32 v[64:65], v[56:57], v[188:189]
	v_add_f64 v[62:63], v[62:63], v[64:65]
	buffer_load_dword v237, off, s[0:3], 0 offset:860
	buffer_load_dword v236, off, s[0:3], 0 offset:856
	;; [unrolled: 1-line block ×4, first 2 shown]
	s_waitcnt lgkmcnt(0)
	v_mul_f64 v[64:65], v[58:59], v[156:157]
	v_fmac_f64_e32 v[64:65], v[60:61], v[160:161]
	v_add_f64 v[216:217], v[62:63], v[64:65]
	ds_read_b128 v[62:65], v1 offset:1504
	ds_read_b128 v[66:69], v1 offset:1520
	v_fma_f64 v[220:221], v[98:99], v[80:81], -v[78:79]
	ds_read_b128 v[78:81], v1 offset:1568
	v_fma_f64 v[222:223], v[110:111], v[84:85], -v[82:83]
	ds_read_b128 v[82:85], v1 offset:1584
	s_waitcnt vmcnt(46) lgkmcnt(3)
	v_mul_f64 v[74:75], v[62:63], v[190:191]
	s_waitcnt vmcnt(44)
	v_fmac_f64_e32 v[74:75], v[64:65], v[192:193]
	v_add_f64 v[74:75], v[216:217], v[74:75]
	v_fma_f64 v[216:217], v[86:87], v[70:71], -v[72:73]
	ds_read_b128 v[70:73], v1 offset:1536
	s_waitcnt lgkmcnt(3)
	v_mul_f64 v[76:77], v[66:67], v[164:165]
	v_fmac_f64_e32 v[76:77], v[68:69], v[168:169]
	v_add_f64 v[86:87], v[74:75], v[76:77]
	ds_read_b128 v[74:77], v1 offset:1552
	s_waitcnt vmcnt(38) lgkmcnt(1)
	v_mul_f64 v[88:89], v[70:71], v[194:195]
	s_waitcnt vmcnt(36)
	v_fmac_f64_e32 v[88:89], v[72:73], v[196:197]
	v_add_f64 v[86:87], v[86:87], v[88:89]
	ds_read_b128 v[90:93], v1 offset:1616
	s_waitcnt lgkmcnt(1)
	v_mul_f64 v[88:89], v[74:75], v[172:173]
	v_fmac_f64_e32 v[88:89], v[76:77], v[176:177]
	v_add_f64 v[86:87], v[86:87], v[88:89]
	s_waitcnt vmcnt(30)
	v_mul_f64 v[88:89], v[78:79], v[198:199]
	s_waitcnt vmcnt(28)
	v_fmac_f64_e32 v[88:89], v[80:81], v[200:201]
	v_add_f64 v[86:87], v[86:87], v[88:89]
	v_mul_f64 v[88:89], v[82:83], v[180:181]
	v_fmac_f64_e32 v[88:89], v[84:85], v[184:185]
	v_add_f64 v[98:99], v[86:87], v[88:89]
	ds_read_b128 v[86:89], v1 offset:1600
	v_mul_f64 v[94:95], v[242:243], v[94:95]
	v_fma_f64 v[252:253], v[240:241], v[96:97], -v[94:95]
	ds_read_b128 v[94:97], v1 offset:1632
	v_mul_f64 v[102:103], v[246:247], v[102:103]
	v_fma_f64 v[246:247], v[244:245], v[104:105], -v[102:103]
	;; [unrolled: 3-line block ×3, first 2 shown]
	v_add_f64 v[218:219], v[218:219], 0
	v_add_f64 v[216:217], v[218:219], v[216:217]
	;; [unrolled: 1-line block ×7, first 2 shown]
	v_mul_f64 v[4:5], v[4:5], v[118:119]
	v_add_f64 v[216:217], v[252:253], v[250:251]
	v_fma_f64 v[2:3], v[2:3], v[120:121], -v[4:5]
	v_mul_f64 v[4:5], v[8:9], v[126:127]
	v_add_f64 v[2:3], v[216:217], v[2:3]
	v_fma_f64 v[4:5], v[6:7], v[128:129], -v[4:5]
	v_add_f64 v[2:3], v[2:3], v[4:5]
	ds_read_b128 v[106:109], v1 offset:1680
	v_mul_f64 v[4:5], v[12:13], v[122:123]
	v_fma_f64 v[4:5], v[10:11], v[124:125], -v[4:5]
	v_add_f64 v[2:3], v[2:3], v[4:5]
	s_waitcnt vmcnt(26) lgkmcnt(3)
	v_mul_f64 v[100:101], v[86:87], v[202:203]
	v_mul_f64 v[4:5], v[16:17], v[138:139]
	s_waitcnt vmcnt(24)
	v_fmac_f64_e32 v[100:101], v[88:89], v[204:205]
	v_add_f64 v[98:99], v[98:99], v[100:101]
	s_waitcnt vmcnt(22)
	v_mul_f64 v[100:101], v[90:91], v[206:207]
	s_waitcnt vmcnt(20)
	v_fmac_f64_e32 v[100:101], v[92:93], v[210:211]
	v_add_f64 v[98:99], v[98:99], v[100:101]
	s_waitcnt vmcnt(18) lgkmcnt(2)
	v_mul_f64 v[100:101], v[94:95], v[208:209]
	s_waitcnt vmcnt(16)
	v_fmac_f64_e32 v[100:101], v[96:97], v[212:213]
	v_add_f64 v[110:111], v[98:99], v[100:101]
	ds_read_b128 v[98:101], v1 offset:1648
	v_fma_f64 v[4:5], v[14:15], v[140:141], -v[4:5]
	v_add_f64 v[2:3], v[2:3], v[4:5]
	v_mul_f64 v[4:5], v[20:21], v[130:131]
	v_fma_f64 v[4:5], v[18:19], v[132:133], -v[4:5]
	s_waitcnt vmcnt(14) lgkmcnt(0)
	v_mul_f64 v[112:113], v[98:99], v[226:227]
	s_waitcnt vmcnt(12)
	v_fmac_f64_e32 v[112:113], v[100:101], v[228:229]
	v_add_f64 v[110:111], v[110:111], v[112:113]
	s_waitcnt vmcnt(9)
	v_mul_f64 v[112:113], v[102:103], v[232:233]
	s_waitcnt vmcnt(7)
	v_fmac_f64_e32 v[112:113], v[104:105], v[234:235]
	v_add_f64 v[110:111], v[110:111], v[112:113]
	s_waitcnt vmcnt(5)
	v_mul_f64 v[112:113], v[106:107], v[214:215]
	s_waitcnt vmcnt(4)
	v_fmac_f64_e32 v[112:113], v[108:109], v[230:231]
	v_add_f64 v[114:115], v[110:111], v[112:113]
	ds_read_b128 v[110:113], v1 offset:1696
	buffer_load_dword v242, off, s[0:3], 0 offset:872
	buffer_load_dword v243, off, s[0:3], 0 offset:876
	;; [unrolled: 1-line block ×4, first 2 shown]
	v_add_f64 v[2:3], v[2:3], v[4:5]
	v_mul_f64 v[4:5], v[24:25], v[154:155]
	v_fma_f64 v[4:5], v[22:23], v[158:159], -v[4:5]
	s_waitcnt vmcnt(6) lgkmcnt(0)
	v_mul_f64 v[116:117], v[110:111], v[236:237]
	s_waitcnt vmcnt(4)
	v_fmac_f64_e32 v[116:117], v[112:113], v[238:239]
	v_add_f64 v[240:241], v[114:115], v[116:117]
	ds_read_b128 v[114:117], v1 offset:1712
	v_add_f64 v[2:3], v[2:3], v[4:5]
	v_mul_f64 v[4:5], v[28:29], v[134:135]
	v_fma_f64 v[4:5], v[26:27], v[136:137], -v[4:5]
	v_add_f64 v[2:3], v[2:3], v[4:5]
	v_mul_f64 v[4:5], v[32:33], v[162:163]
	v_fma_f64 v[4:5], v[30:31], v[166:167], -v[4:5]
	;; [unrolled: 3-line block ×22, first 2 shown]
	v_add_f64 v[2:3], v[2:3], v[4:5]
	s_waitcnt vmcnt(2) lgkmcnt(0)
	v_mul_f64 v[248:249], v[114:115], v[242:243]
	v_mul_f64 v[4:5], v[116:117], v[242:243]
	s_waitcnt vmcnt(0)
	v_fmac_f64_e32 v[248:249], v[116:117], v[244:245]
	v_add_f64 v[240:241], v[240:241], v[248:249]
	buffer_load_dword v248, off, s[0:3], 0 offset:272
	buffer_load_dword v249, off, s[0:3], 0 offset:276
	;; [unrolled: 1-line block ×4, first 2 shown]
	v_fma_f64 v[4:5], v[114:115], v[244:245], -v[4:5]
	v_add_f64 v[2:3], v[2:3], v[4:5]
	s_waitcnt vmcnt(2)
	v_add_f64 v[2:3], v[248:249], -v[2:3]
	s_waitcnt vmcnt(0)
	v_add_f64 v[4:5], v[246:247], -v[240:241]
	buffer_store_dword v3, off, s[0:3], 0 offset:276
	buffer_store_dword v2, off, s[0:3], 0 offset:272
	;; [unrolled: 1-line block ×4, first 2 shown]
	s_and_saveexec_b64 s[4:5], vcc
	s_cbranch_execz .LBB53_307
; %bb.306:
	v_accvgpr_read_b32 v5, a146
	buffer_load_dword v2, v5, s[0:3], 0 offen
	buffer_load_dword v3, v5, s[0:3], 0 offen offset:4
	buffer_load_dword v4, v5, s[0:3], 0 offen offset:8
	s_nop 0
	buffer_load_dword v5, v5, s[0:3], 0 offen offset:12
	v_accvgpr_read_b32 v6, a161
	buffer_store_dword v1, off, s[0:3], 0 offset:256
	buffer_store_dword v1, off, s[0:3], 0 offset:260
	;; [unrolled: 1-line block ×4, first 2 shown]
	s_waitcnt vmcnt(4)
	ds_write_b128 v6, v[2:5]
.LBB53_307:
	s_or_b64 exec, exec, s[4:5]
	s_waitcnt lgkmcnt(0)
	; wave barrier
	s_waitcnt lgkmcnt(0)
	buffer_load_dword v66, off, s[0:3], 0 offset:272
	buffer_load_dword v67, off, s[0:3], 0 offset:276
	;; [unrolled: 1-line block ×42, first 2 shown]
	ds_read_b128 v[78:81], v1 offset:1120
	ds_read_b128 v[90:93], v1 offset:1136
	;; [unrolled: 1-line block ×10, first 2 shown]
	buffer_load_dword v129, off, s[0:3], 0 offset:420
	buffer_load_dword v128, off, s[0:3], 0 offset:416
	ds_read_b128 v[6:9], v1 offset:1280
	buffer_load_dword v125, off, s[0:3], 0 offset:476
	buffer_load_dword v124, off, s[0:3], 0 offset:472
	;; [unrolled: 1-line block ×80, first 2 shown]
	v_cmp_lt_u32_e32 vcc, 14, v0
	s_waitcnt vmcnt(62) lgkmcnt(10)
	v_mul_f64 v[10:11], v[78:79], v[68:69]
	v_fmac_f64_e32 v[10:11], v[80:81], v[66:67]
	v_add_f64 v[10:11], v[10:11], 0
	v_mul_f64 v[68:69], v[80:81], v[68:69]
	s_waitcnt lgkmcnt(9)
	v_mul_f64 v[12:13], v[90:91], v[64:65]
	v_fmac_f64_e32 v[12:13], v[92:93], v[62:63]
	s_waitcnt lgkmcnt(8)
	v_mul_f64 v[14:15], v[102:103], v[70:71]
	v_add_f64 v[10:11], v[10:11], v[12:13]
	s_waitcnt lgkmcnt(6)
	v_mul_f64 v[18:19], v[114:115], v[82:83]
	v_mul_f64 v[64:65], v[92:93], v[64:65]
	v_fmac_f64_e32 v[18:19], v[116:117], v[84:85]
	v_fma_f64 v[220:221], v[90:91], v[62:63], -v[64:65]
	v_mul_f64 v[16:17], v[110:111], v[74:75]
	v_fma_f64 v[218:219], v[78:79], v[66:67], -v[68:69]
	s_waitcnt lgkmcnt(4)
	v_mul_f64 v[22:23], v[244:245], v[94:95]
	v_mul_f64 v[70:71], v[104:105], v[70:71]
	v_fmac_f64_e32 v[22:23], v[246:247], v[96:97]
	v_mul_f64 v[74:75], v[112:113], v[74:75]
	v_mul_f64 v[20:21], v[240:241], v[86:87]
	;; [unrolled: 1-line block ×3, first 2 shown]
	s_waitcnt lgkmcnt(2)
	v_mul_f64 v[26:27], v[252:253], v[106:107]
	v_fma_f64 v[224:225], v[114:115], v[84:85], -v[82:83]
	v_mul_f64 v[86:87], v[242:243], v[86:87]
	v_mul_f64 v[24:25], v[248:249], v[98:99]
	;; [unrolled: 1-line block ×3, first 2 shown]
	s_waitcnt lgkmcnt(1)
	v_mul_f64 v[28:29], v[118:119], v[4:5]
	v_fma_f64 v[246:247], v[244:245], v[96:97], -v[94:95]
	v_fmac_f64_e32 v[14:15], v[104:105], v[72:73]
	v_add_f64 v[10:11], v[10:11], v[14:15]
	v_fmac_f64_e32 v[16:17], v[112:113], v[76:77]
	v_add_f64 v[10:11], v[10:11], v[16:17]
	;; [unrolled: 2-line block ×3, first 2 shown]
	v_add_f64 v[10:11], v[10:11], v[20:21]
	v_fmac_f64_e32 v[24:25], v[250:251], v[100:101]
	v_add_f64 v[10:11], v[10:11], v[22:23]
	v_fmac_f64_e32 v[26:27], v[254:255], v[108:109]
	v_add_f64 v[10:11], v[10:11], v[24:25]
	v_add_f64 v[10:11], v[10:11], v[26:27]
	s_waitcnt lgkmcnt(0)
	v_mul_f64 v[16:17], v[6:7], v[2:3]
	v_fmac_f64_e32 v[28:29], v[120:121], v[128:129]
	v_add_f64 v[14:15], v[10:11], v[28:29]
	ds_read_b128 v[10:13], v1 offset:1296
	v_fmac_f64_e32 v[16:17], v[8:9], v[122:123]
	v_add_f64 v[18:19], v[14:15], v[16:17]
	ds_read_b128 v[14:17], v1 offset:1312
	v_fma_f64 v[222:223], v[110:111], v[76:77], -v[74:75]
	s_waitcnt lgkmcnt(1)
	v_mul_f64 v[20:21], v[10:11], v[130:131]
	v_fmac_f64_e32 v[20:21], v[12:13], v[146:147]
	v_add_f64 v[22:23], v[18:19], v[20:21]
	ds_read_b128 v[18:21], v1 offset:1328
	s_waitcnt lgkmcnt(1)
	v_mul_f64 v[24:25], v[14:15], v[124:125]
	v_fmac_f64_e32 v[24:25], v[16:17], v[126:127]
	v_add_f64 v[26:27], v[22:23], v[24:25]
	ds_read_b128 v[22:25], v1 offset:1344
	;; [unrolled: 5-line block ×4, first 2 shown]
	s_waitcnt vmcnt(58) lgkmcnt(1)
	v_mul_f64 v[36:37], v[26:27], v[158:159]
	s_waitcnt vmcnt(56)
	v_fmac_f64_e32 v[36:37], v[28:29], v[162:163]
	v_add_f64 v[38:39], v[34:35], v[36:37]
	ds_read_b128 v[34:37], v1 offset:1392
	s_waitcnt lgkmcnt(1)
	v_mul_f64 v[40:41], v[30:31], v[136:137]
	v_fmac_f64_e32 v[40:41], v[32:33], v[138:139]
	v_add_f64 v[42:43], v[38:39], v[40:41]
	ds_read_b128 v[38:41], v1 offset:1408
	s_waitcnt vmcnt(50) lgkmcnt(1)
	v_mul_f64 v[44:45], v[34:35], v[166:167]
	s_waitcnt vmcnt(48)
	v_fmac_f64_e32 v[44:45], v[36:37], v[170:171]
	v_add_f64 v[46:47], v[42:43], v[44:45]
	ds_read_b128 v[42:45], v1 offset:1424
	s_waitcnt lgkmcnt(1)
	v_mul_f64 v[48:49], v[38:39], v[140:141]
	v_fmac_f64_e32 v[48:49], v[40:41], v[142:143]
	v_add_f64 v[50:51], v[46:47], v[48:49]
	ds_read_b128 v[46:49], v1 offset:1440
	s_waitcnt vmcnt(42) lgkmcnt(1)
	v_mul_f64 v[52:53], v[42:43], v[174:175]
	s_waitcnt vmcnt(40)
	v_fmac_f64_e32 v[52:53], v[44:45], v[178:179]
	v_add_f64 v[54:55], v[50:51], v[52:53]
	ds_read_b128 v[50:53], v1 offset:1456
	s_waitcnt lgkmcnt(1)
	v_mul_f64 v[56:57], v[46:47], v[144:145]
	buffer_load_dword v207, off, s[0:3], 0 offset:780
	buffer_load_dword v206, off, s[0:3], 0 offset:776
	;; [unrolled: 1-line block ×4, first 2 shown]
	v_fmac_f64_e32 v[56:57], v[48:49], v[148:149]
	v_add_f64 v[58:59], v[54:55], v[56:57]
	ds_read_b128 v[54:57], v1 offset:1472
	buffer_load_dword v212, off, s[0:3], 0 offset:792
	buffer_load_dword v214, off, s[0:3], 0 offset:784
	;; [unrolled: 1-line block ×16, first 2 shown]
	s_waitcnt vmcnt(54) lgkmcnt(1)
	v_mul_f64 v[60:61], v[50:51], v[182:183]
	s_waitcnt vmcnt(52)
	v_fmac_f64_e32 v[60:61], v[52:53], v[186:187]
	v_add_f64 v[216:217], v[58:59], v[60:61]
	ds_read_b128 v[58:61], v1 offset:1488
	buffer_load_dword v236, off, s[0:3], 0 offset:856
	buffer_load_dword v238, off, s[0:3], 0 offset:848
	;; [unrolled: 1-line block ×4, first 2 shown]
	ds_read_b128 v[62:65], v1 offset:1504
	s_waitcnt lgkmcnt(2)
	v_mul_f64 v[66:67], v[54:55], v[152:153]
	v_fmac_f64_e32 v[66:67], v[56:57], v[156:157]
	s_waitcnt vmcnt(50) lgkmcnt(1)
	v_mul_f64 v[68:69], v[58:59], v[190:191]
	v_add_f64 v[66:67], v[216:217], v[66:67]
	s_waitcnt vmcnt(48)
	v_fmac_f64_e32 v[68:69], v[60:61], v[192:193]
	v_add_f64 v[66:67], v[66:67], v[68:69]
	v_fma_f64 v[216:217], v[102:103], v[72:73], -v[70:71]
	ds_read_b128 v[70:73], v1 offset:1536
	s_waitcnt lgkmcnt(1)
	v_mul_f64 v[68:69], v[62:63], v[160:161]
	v_fmac_f64_e32 v[68:69], v[64:65], v[164:165]
	v_add_f64 v[78:79], v[66:67], v[68:69]
	ds_read_b128 v[66:69], v1 offset:1520
	ds_read_b128 v[74:77], v1 offset:1552
	ds_read_b128 v[82:85], v1 offset:1584
	v_accvgpr_write_b32 a163, v3
	v_accvgpr_write_b32 a162, v2
	s_waitcnt vmcnt(42) lgkmcnt(2)
	v_mul_f64 v[80:81], v[66:67], v[194:195]
	s_waitcnt vmcnt(40)
	v_fmac_f64_e32 v[80:81], v[68:69], v[196:197]
	v_add_f64 v[78:79], v[78:79], v[80:81]
	v_mul_f64 v[80:81], v[70:71], v[168:169]
	v_fmac_f64_e32 v[80:81], v[72:73], v[172:173]
	v_add_f64 v[90:91], v[78:79], v[80:81]
	ds_read_b128 v[78:81], v1 offset:1568
	s_waitcnt vmcnt(34) lgkmcnt(2)
	v_mul_f64 v[92:93], v[74:75], v[198:199]
	s_waitcnt vmcnt(32)
	v_fmac_f64_e32 v[92:93], v[76:77], v[200:201]
	v_fma_f64 v[2:3], v[240:241], v[88:89], -v[86:87]
	ds_read_b128 v[86:89], v1 offset:1600
	ds_read_b128 v[94:97], v1 offset:1632
	v_add_f64 v[90:91], v[90:91], v[92:93]
	s_waitcnt lgkmcnt(2)
	v_mul_f64 v[92:93], v[78:79], v[176:177]
	v_fmac_f64_e32 v[92:93], v[80:81], v[180:181]
	v_add_f64 v[90:91], v[90:91], v[92:93]
	s_waitcnt vmcnt(26)
	v_mul_f64 v[92:93], v[82:83], v[202:203]
	s_waitcnt vmcnt(24)
	v_fmac_f64_e32 v[92:93], v[84:85], v[204:205]
	v_add_f64 v[90:91], v[90:91], v[92:93]
	s_waitcnt lgkmcnt(1)
	v_mul_f64 v[92:93], v[86:87], v[184:185]
	v_fmac_f64_e32 v[92:93], v[88:89], v[188:189]
	v_add_f64 v[102:103], v[90:91], v[92:93]
	ds_read_b128 v[90:93], v1 offset:1616
	v_mul_f64 v[98:99], v[250:251], v[98:99]
	v_fma_f64 v[250:251], v[248:249], v[100:101], -v[98:99]
	ds_read_b128 v[98:101], v1 offset:1648
	v_mul_f64 v[106:107], v[254:255], v[106:107]
	v_fma_f64 v[252:253], v[252:253], v[108:109], -v[106:107]
	v_add_f64 v[218:219], v[218:219], 0
	v_add_f64 v[218:219], v[218:219], v[220:221]
	;; [unrolled: 1-line block ×8, first 2 shown]
	v_mul_f64 v[4:5], v[120:121], v[4:5]
	v_add_f64 v[2:3], v[2:3], v[252:253]
	v_fma_f64 v[4:5], v[118:119], v[128:129], -v[4:5]
	v_add_f64 v[2:3], v[2:3], v[4:5]
	v_accvgpr_read_b32 v4, a162
	v_accvgpr_read_b32 v5, a163
	v_mul_f64 v[4:5], v[8:9], v[4:5]
	ds_read_b128 v[106:109], v1 offset:1680
	v_fma_f64 v[4:5], v[6:7], v[122:123], -v[4:5]
	v_add_f64 v[2:3], v[2:3], v[4:5]
	v_mul_f64 v[4:5], v[12:13], v[130:131]
	v_fma_f64 v[4:5], v[10:11], v[146:147], -v[4:5]
	s_waitcnt vmcnt(13) lgkmcnt(1)
	v_mul_f64 v[112:113], v[98:99], v[226:227]
	v_add_f64 v[2:3], v[2:3], v[4:5]
	v_mul_f64 v[104:105], v[90:91], v[206:207]
	s_waitcnt vmcnt(11)
	v_fmac_f64_e32 v[112:113], v[100:101], v[232:233]
	v_fmac_f64_e32 v[104:105], v[92:93], v[208:209]
	v_add_f64 v[102:103], v[102:103], v[104:105]
	v_mul_f64 v[4:5], v[16:17], v[124:125]
	v_mul_f64 v[104:105], v[94:95], v[212:213]
	v_fmac_f64_e32 v[104:105], v[96:97], v[214:215]
	v_add_f64 v[110:111], v[102:103], v[104:105]
	ds_read_b128 v[102:105], v1 offset:1664
	v_add_f64 v[110:111], v[110:111], v[112:113]
	v_fma_f64 v[4:5], v[14:15], v[126:127], -v[4:5]
	v_add_f64 v[2:3], v[2:3], v[4:5]
	v_mul_f64 v[4:5], v[20:21], v[150:151]
	s_waitcnt vmcnt(10) lgkmcnt(0)
	v_mul_f64 v[112:113], v[102:103], v[210:211]
	s_waitcnt vmcnt(8)
	v_fmac_f64_e32 v[112:113], v[104:105], v[230:231]
	v_add_f64 v[110:111], v[110:111], v[112:113]
	s_waitcnt vmcnt(6)
	v_mul_f64 v[112:113], v[106:107], v[228:229]
	s_waitcnt vmcnt(4)
	v_fmac_f64_e32 v[112:113], v[108:109], v[234:235]
	v_add_f64 v[114:115], v[110:111], v[112:113]
	ds_read_b128 v[110:113], v1 offset:1696
	buffer_load_dword v243, off, s[0:3], 0 offset:876
	buffer_load_dword v242, off, s[0:3], 0 offset:872
	;; [unrolled: 1-line block ×4, first 2 shown]
	v_fma_f64 v[4:5], v[18:19], v[154:155], -v[4:5]
	v_add_f64 v[2:3], v[2:3], v[4:5]
	v_mul_f64 v[4:5], v[24:25], v[132:133]
	s_waitcnt vmcnt(5) lgkmcnt(0)
	v_mul_f64 v[116:117], v[110:111], v[236:237]
	s_waitcnt vmcnt(4)
	v_fmac_f64_e32 v[116:117], v[112:113], v[238:239]
	v_add_f64 v[240:241], v[114:115], v[116:117]
	ds_read_b128 v[114:117], v1 offset:1712
	v_fma_f64 v[4:5], v[22:23], v[134:135], -v[4:5]
	v_add_f64 v[2:3], v[2:3], v[4:5]
	v_mul_f64 v[4:5], v[28:29], v[158:159]
	v_fma_f64 v[4:5], v[26:27], v[162:163], -v[4:5]
	v_add_f64 v[2:3], v[2:3], v[4:5]
	v_mul_f64 v[4:5], v[32:33], v[136:137]
	;; [unrolled: 3-line block ×22, first 2 shown]
	v_fma_f64 v[4:5], v[110:111], v[238:239], -v[4:5]
	v_add_f64 v[2:3], v[2:3], v[4:5]
	s_waitcnt vmcnt(2) lgkmcnt(0)
	v_mul_f64 v[248:249], v[114:115], v[242:243]
	v_mul_f64 v[4:5], v[116:117], v[242:243]
	s_waitcnt vmcnt(0)
	v_fmac_f64_e32 v[248:249], v[116:117], v[244:245]
	v_add_f64 v[240:241], v[240:241], v[248:249]
	buffer_load_dword v248, off, s[0:3], 0 offset:256
	buffer_load_dword v249, off, s[0:3], 0 offset:260
	;; [unrolled: 1-line block ×4, first 2 shown]
	v_fma_f64 v[4:5], v[114:115], v[244:245], -v[4:5]
	v_add_f64 v[2:3], v[2:3], v[4:5]
	s_waitcnt vmcnt(2)
	v_add_f64 v[2:3], v[248:249], -v[2:3]
	s_waitcnt vmcnt(0)
	v_add_f64 v[4:5], v[246:247], -v[240:241]
	buffer_store_dword v3, off, s[0:3], 0 offset:260
	buffer_store_dword v2, off, s[0:3], 0 offset:256
	;; [unrolled: 1-line block ×4, first 2 shown]
	s_and_saveexec_b64 s[4:5], vcc
	s_cbranch_execz .LBB53_309
; %bb.308:
	v_accvgpr_read_b32 v1, a147
	buffer_load_dword v2, v1, s[0:3], 0 offen
	buffer_load_dword v3, v1, s[0:3], 0 offen offset:4
	buffer_load_dword v4, v1, s[0:3], 0 offen offset:8
	;; [unrolled: 1-line block ×3, first 2 shown]
	v_mov_b32_e32 v1, 0
	v_accvgpr_read_b32 v6, a161
	buffer_store_dword v1, off, s[0:3], 0 offset:240
	buffer_store_dword v1, off, s[0:3], 0 offset:244
	;; [unrolled: 1-line block ×4, first 2 shown]
	s_waitcnt vmcnt(4)
	ds_write_b128 v6, v[2:5]
.LBB53_309:
	s_or_b64 exec, exec, s[4:5]
	s_waitcnt lgkmcnt(0)
	; wave barrier
	s_waitcnt lgkmcnt(0)
	buffer_load_dword v54, off, s[0:3], 0 offset:256
	buffer_load_dword v55, off, s[0:3], 0 offset:260
	;; [unrolled: 1-line block ×49, first 2 shown]
	v_mov_b32_e32 v1, 0
	ds_read_b128 v[62:65], v1 offset:1104
	ds_read_b128 v[74:77], v1 offset:1120
	;; [unrolled: 1-line block ×11, first 2 shown]
	buffer_load_dword v126, off, s[0:3], 0 offset:440
	buffer_load_dword v143, off, s[0:3], 0 offset:436
	buffer_load_dword v142, off, s[0:3], 0 offset:432
	buffer_load_dword v129, off, s[0:3], 0 offset:492
	buffer_load_dword v128, off, s[0:3], 0 offset:488
	buffer_load_dword v131, off, s[0:3], 0 offset:484
	buffer_load_dword v130, off, s[0:3], 0 offset:480
	buffer_load_dword v147, off, s[0:3], 0 offset:476
	buffer_load_dword v146, off, s[0:3], 0 offset:472
	buffer_load_dword v151, off, s[0:3], 0 offset:468
	buffer_load_dword v150, off, s[0:3], 0 offset:464
	buffer_load_dword v133, off, s[0:3], 0 offset:524
	buffer_load_dword v132, off, s[0:3], 0 offset:520
	buffer_load_dword v135, off, s[0:3], 0 offset:516
	buffer_load_dword v134, off, s[0:3], 0 offset:512
	buffer_load_dword v155, off, s[0:3], 0 offset:508
	buffer_load_dword v154, off, s[0:3], 0 offset:504
	buffer_load_dword v159, off, s[0:3], 0 offset:500
	buffer_load_dword v158, off, s[0:3], 0 offset:496
	buffer_load_dword v137, off, s[0:3], 0 offset:556
	buffer_load_dword v136, off, s[0:3], 0 offset:552
	buffer_load_dword v139, off, s[0:3], 0 offset:548
	buffer_load_dword v138, off, s[0:3], 0 offset:544
	buffer_load_dword v163, off, s[0:3], 0 offset:540
	buffer_load_dword v162, off, s[0:3], 0 offset:536
	buffer_load_dword v167, off, s[0:3], 0 offset:532
	buffer_load_dword v166, off, s[0:3], 0 offset:528
	buffer_load_dword v141, off, s[0:3], 0 offset:588
	buffer_load_dword v140, off, s[0:3], 0 offset:584
	buffer_load_dword v145, off, s[0:3], 0 offset:580
	buffer_load_dword v144, off, s[0:3], 0 offset:576
	buffer_load_dword v171, off, s[0:3], 0 offset:572
	buffer_load_dword v170, off, s[0:3], 0 offset:568
	buffer_load_dword v175, off, s[0:3], 0 offset:564
	buffer_load_dword v174, off, s[0:3], 0 offset:560
	buffer_load_dword v149, off, s[0:3], 0 offset:620
	buffer_load_dword v148, off, s[0:3], 0 offset:616
	buffer_load_dword v153, off, s[0:3], 0 offset:612
	buffer_load_dword v152, off, s[0:3], 0 offset:608
	buffer_load_dword v179, off, s[0:3], 0 offset:604
	buffer_load_dword v178, off, s[0:3], 0 offset:600
	buffer_load_dword v183, off, s[0:3], 0 offset:596
	buffer_load_dword v182, off, s[0:3], 0 offset:592
	buffer_load_dword v157, off, s[0:3], 0 offset:652
	buffer_load_dword v156, off, s[0:3], 0 offset:648
	buffer_load_dword v161, off, s[0:3], 0 offset:644
	buffer_load_dword v160, off, s[0:3], 0 offset:640
	buffer_load_dword v187, off, s[0:3], 0 offset:636
	buffer_load_dword v186, off, s[0:3], 0 offset:632
	buffer_load_dword v189, off, s[0:3], 0 offset:628
	buffer_load_dword v188, off, s[0:3], 0 offset:624
	buffer_load_dword v165, off, s[0:3], 0 offset:684
	buffer_load_dword v164, off, s[0:3], 0 offset:680
	buffer_load_dword v169, off, s[0:3], 0 offset:676
	buffer_load_dword v168, off, s[0:3], 0 offset:672
	buffer_load_dword v191, off, s[0:3], 0 offset:668
	buffer_load_dword v190, off, s[0:3], 0 offset:664
	buffer_load_dword v193, off, s[0:3], 0 offset:660
	buffer_load_dword v192, off, s[0:3], 0 offset:656
	buffer_load_dword v173, off, s[0:3], 0 offset:716
	buffer_load_dword v172, off, s[0:3], 0 offset:712
	buffer_load_dword v177, off, s[0:3], 0 offset:708
	buffer_load_dword v176, off, s[0:3], 0 offset:704
	buffer_load_dword v195, off, s[0:3], 0 offset:700
	buffer_load_dword v194, off, s[0:3], 0 offset:696
	buffer_load_dword v197, off, s[0:3], 0 offset:692
	buffer_load_dword v196, off, s[0:3], 0 offset:688
	buffer_load_dword v181, off, s[0:3], 0 offset:748
	buffer_load_dword v180, off, s[0:3], 0 offset:744
	buffer_load_dword v185, off, s[0:3], 0 offset:740
	buffer_load_dword v184, off, s[0:3], 0 offset:736
	buffer_load_dword v199, off, s[0:3], 0 offset:732
	buffer_load_dword v198, off, s[0:3], 0 offset:728
	buffer_load_dword v201, off, s[0:3], 0 offset:724
	buffer_load_dword v200, off, s[0:3], 0 offset:720
	v_cmp_lt_u32_e32 vcc, 13, v0
	s_waitcnt vmcnt(62) lgkmcnt(10)
	v_mul_f64 v[6:7], v[62:63], v[56:57]
	v_fmac_f64_e32 v[6:7], v[64:65], v[54:55]
	v_add_f64 v[6:7], v[6:7], 0
	v_mul_f64 v[56:57], v[64:65], v[56:57]
	s_waitcnt lgkmcnt(9)
	v_mul_f64 v[8:9], v[74:75], v[60:61]
	v_fmac_f64_e32 v[8:9], v[76:77], v[58:59]
	s_waitcnt lgkmcnt(8)
	v_mul_f64 v[10:11], v[86:87], v[66:67]
	v_add_f64 v[6:7], v[6:7], v[8:9]
	s_waitcnt lgkmcnt(6)
	v_mul_f64 v[14:15], v[110:111], v[78:79]
	v_fma_f64 v[218:219], v[62:63], v[54:55], -v[56:57]
	v_fmac_f64_e32 v[14:15], v[112:113], v[80:81]
	v_mul_f64 v[60:61], v[76:77], v[60:61]
	v_mul_f64 v[12:13], v[98:99], v[70:71]
	v_fma_f64 v[220:221], v[74:75], v[58:59], -v[60:61]
	s_waitcnt lgkmcnt(4)
	v_mul_f64 v[18:19], v[236:237], v[90:91]
	v_mul_f64 v[66:67], v[88:89], v[66:67]
	v_fmac_f64_e32 v[18:19], v[238:239], v[92:93]
	v_mul_f64 v[70:71], v[100:101], v[70:71]
	v_mul_f64 v[16:17], v[114:115], v[82:83]
	;; [unrolled: 1-line block ×3, first 2 shown]
	s_waitcnt lgkmcnt(2)
	v_mul_f64 v[22:23], v[244:245], v[102:103]
	v_fma_f64 v[224:225], v[110:111], v[80:81], -v[78:79]
	v_mul_f64 v[82:83], v[116:117], v[82:83]
	v_mul_f64 v[20:21], v[240:241], v[94:95]
	;; [unrolled: 1-line block ×3, first 2 shown]
	s_waitcnt lgkmcnt(1)
	v_mul_f64 v[24:25], v[248:249], v[106:107]
	v_fma_f64 v[254:255], v[236:237], v[92:93], -v[90:91]
	v_fmac_f64_e32 v[10:11], v[88:89], v[68:69]
	v_add_f64 v[6:7], v[6:7], v[10:11]
	v_fmac_f64_e32 v[12:13], v[100:101], v[72:73]
	v_add_f64 v[6:7], v[6:7], v[12:13]
	;; [unrolled: 2-line block ×3, first 2 shown]
	v_add_f64 v[6:7], v[6:7], v[16:17]
	v_fmac_f64_e32 v[20:21], v[242:243], v[96:97]
	v_add_f64 v[6:7], v[6:7], v[18:19]
	v_fmac_f64_e32 v[22:23], v[246:247], v[104:105]
	v_add_f64 v[6:7], v[6:7], v[20:21]
	v_add_f64 v[6:7], v[6:7], v[22:23]
	v_fmac_f64_e32 v[24:25], v[250:251], v[108:109]
	v_add_f64 v[10:11], v[6:7], v[24:25]
	ds_read_b128 v[6:9], v1 offset:1280
	s_waitcnt lgkmcnt(1)
	v_mul_f64 v[12:13], v[118:119], v[4:5]
	v_fmac_f64_e32 v[12:13], v[120:121], v[2:3]
	v_add_f64 v[14:15], v[10:11], v[12:13]
	ds_read_b128 v[10:13], v1 offset:1296
	s_waitcnt lgkmcnt(1)
	v_mul_f64 v[16:17], v[6:7], v[126:127]
	;; [unrolled: 5-line block ×5, first 2 shown]
	v_fmac_f64_e32 v[28:29], v[20:21], v[130:131]
	v_add_f64 v[30:31], v[26:27], v[28:29]
	ds_read_b128 v[26:29], v1 offset:1360
	s_waitcnt vmcnt(58) lgkmcnt(1)
	v_mul_f64 v[32:33], v[22:23], v[154:155]
	s_waitcnt vmcnt(56)
	v_fmac_f64_e32 v[32:33], v[24:25], v[158:159]
	v_add_f64 v[34:35], v[30:31], v[32:33]
	ds_read_b128 v[30:33], v1 offset:1376
	s_waitcnt lgkmcnt(1)
	v_mul_f64 v[36:37], v[26:27], v[132:133]
	v_fmac_f64_e32 v[36:37], v[28:29], v[134:135]
	v_add_f64 v[38:39], v[34:35], v[36:37]
	ds_read_b128 v[34:37], v1 offset:1392
	s_waitcnt vmcnt(50) lgkmcnt(1)
	v_mul_f64 v[40:41], v[30:31], v[162:163]
	s_waitcnt vmcnt(48)
	v_fmac_f64_e32 v[40:41], v[32:33], v[166:167]
	v_add_f64 v[42:43], v[38:39], v[40:41]
	ds_read_b128 v[38:41], v1 offset:1408
	s_waitcnt lgkmcnt(1)
	v_mul_f64 v[44:45], v[34:35], v[136:137]
	;; [unrolled: 11-line block ×3, first 2 shown]
	buffer_load_dword v203, off, s[0:3], 0 offset:764
	buffer_load_dword v202, off, s[0:3], 0 offset:760
	buffer_load_dword v205, off, s[0:3], 0 offset:756
	buffer_load_dword v204, off, s[0:3], 0 offset:752
	v_fmac_f64_e32 v[52:53], v[44:45], v[144:145]
	v_add_f64 v[210:211], v[50:51], v[52:53]
	ds_read_b128 v[50:53], v1 offset:1456
	buffer_load_dword v206, off, s[0:3], 0 offset:776
	buffer_load_dword v208, off, s[0:3], 0 offset:768
	;; [unrolled: 1-line block ×4, first 2 shown]
	s_waitcnt vmcnt(42) lgkmcnt(1)
	v_mul_f64 v[212:213], v[46:47], v[178:179]
	s_waitcnt vmcnt(40)
	v_fmac_f64_e32 v[212:213], v[48:49], v[182:183]
	v_add_f64 v[216:217], v[210:211], v[212:213]
	buffer_load_dword v213, off, s[0:3], 0 offset:796
	buffer_load_dword v212, off, s[0:3], 0 offset:792
	;; [unrolled: 1-line block ×16, first 2 shown]
	ds_read_b128 v[54:57], v1 offset:1472
	ds_read_b128 v[58:61], v1 offset:1488
	s_waitcnt lgkmcnt(2)
	v_mul_f64 v[62:63], v[50:51], v[148:149]
	v_fmac_f64_e32 v[62:63], v[52:53], v[152:153]
	v_add_f64 v[62:63], v[216:217], v[62:63]
	s_waitcnt vmcnt(50) lgkmcnt(1)
	v_mul_f64 v[64:65], v[54:55], v[186:187]
	s_waitcnt vmcnt(48)
	v_fmac_f64_e32 v[64:65], v[56:57], v[188:189]
	v_add_f64 v[62:63], v[62:63], v[64:65]
	s_waitcnt lgkmcnt(0)
	v_mul_f64 v[64:65], v[58:59], v[156:157]
	v_fmac_f64_e32 v[64:65], v[60:61], v[160:161]
	v_add_f64 v[74:75], v[62:63], v[64:65]
	ds_read_b128 v[62:65], v1 offset:1504
	v_fma_f64 v[216:217], v[86:87], v[68:69], -v[66:67]
	ds_read_b128 v[66:69], v1 offset:1520
	v_fma_f64 v[222:223], v[98:99], v[72:73], -v[70:71]
	ds_read_b128 v[70:73], v1 offset:1536
	s_waitcnt vmcnt(42) lgkmcnt(2)
	v_mul_f64 v[76:77], v[62:63], v[190:191]
	s_waitcnt vmcnt(40)
	v_fmac_f64_e32 v[76:77], v[64:65], v[192:193]
	v_add_f64 v[74:75], v[74:75], v[76:77]
	s_waitcnt lgkmcnt(1)
	v_mul_f64 v[76:77], v[66:67], v[164:165]
	v_fmac_f64_e32 v[76:77], v[68:69], v[168:169]
	v_add_f64 v[86:87], v[74:75], v[76:77]
	ds_read_b128 v[74:77], v1 offset:1552
	ds_read_b128 v[78:81], v1 offset:1568
	s_waitcnt vmcnt(34) lgkmcnt(2)
	v_mul_f64 v[88:89], v[70:71], v[194:195]
	s_waitcnt vmcnt(32)
	v_fmac_f64_e32 v[88:89], v[72:73], v[196:197]
	v_fma_f64 v[252:253], v[114:115], v[84:85], -v[82:83]
	ds_read_b128 v[82:85], v1 offset:1584
	v_add_f64 v[86:87], v[86:87], v[88:89]
	s_waitcnt lgkmcnt(2)
	v_mul_f64 v[88:89], v[74:75], v[172:173]
	v_fmac_f64_e32 v[88:89], v[76:77], v[176:177]
	v_add_f64 v[86:87], v[86:87], v[88:89]
	s_waitcnt vmcnt(26) lgkmcnt(1)
	v_mul_f64 v[88:89], v[78:79], v[198:199]
	s_waitcnt vmcnt(24)
	v_fmac_f64_e32 v[88:89], v[80:81], v[200:201]
	v_add_f64 v[86:87], v[86:87], v[88:89]
	s_waitcnt lgkmcnt(0)
	v_mul_f64 v[88:89], v[82:83], v[180:181]
	v_fmac_f64_e32 v[88:89], v[84:85], v[184:185]
	v_add_f64 v[98:99], v[86:87], v[88:89]
	ds_read_b128 v[86:89], v1 offset:1600
	ds_read_b128 v[90:93], v1 offset:1616
	v_accvgpr_write_b32 a163, v3
	v_mul_f64 v[94:95], v[242:243], v[94:95]
	v_accvgpr_write_b32 a162, v2
	v_fma_f64 v[2:3], v[240:241], v[96:97], -v[94:95]
	ds_read_b128 v[94:97], v1 offset:1632
	v_mul_f64 v[102:103], v[246:247], v[102:103]
	v_fma_f64 v[246:247], v[244:245], v[104:105], -v[102:103]
	ds_read_b128 v[102:105], v1 offset:1664
	v_mul_f64 v[106:107], v[250:251], v[106:107]
	v_fma_f64 v[250:251], v[248:249], v[108:109], -v[106:107]
	ds_read_b128 v[106:109], v1 offset:1680
	v_add_f64 v[218:219], v[218:219], 0
	v_add_f64 v[218:219], v[218:219], v[220:221]
	;; [unrolled: 1-line block ×9, first 2 shown]
	v_mul_f64 v[4:5], v[120:121], v[4:5]
	v_accvgpr_read_b32 v120, a162
	v_accvgpr_read_b32 v121, a163
	v_add_f64 v[2:3], v[252:253], v[250:251]
	v_fma_f64 v[4:5], v[118:119], v[120:121], -v[4:5]
	v_add_f64 v[2:3], v[2:3], v[4:5]
	v_mul_f64 v[4:5], v[8:9], v[126:127]
	v_fma_f64 v[4:5], v[6:7], v[142:143], -v[4:5]
	s_waitcnt vmcnt(22) lgkmcnt(4)
	v_mul_f64 v[100:101], v[86:87], v[202:203]
	v_add_f64 v[2:3], v[2:3], v[4:5]
	s_waitcnt vmcnt(20)
	v_fmac_f64_e32 v[100:101], v[88:89], v[204:205]
	v_add_f64 v[98:99], v[98:99], v[100:101]
	v_mul_f64 v[4:5], v[12:13], v[122:123]
	s_waitcnt vmcnt(17) lgkmcnt(3)
	v_mul_f64 v[100:101], v[90:91], v[206:207]
	s_waitcnt vmcnt(16)
	v_fmac_f64_e32 v[100:101], v[92:93], v[208:209]
	v_add_f64 v[110:111], v[98:99], v[100:101]
	ds_read_b128 v[98:101], v1 offset:1648
	s_waitcnt vmcnt(14) lgkmcnt(3)
	v_mul_f64 v[112:113], v[94:95], v[212:213]
	s_waitcnt vmcnt(12)
	v_fmac_f64_e32 v[112:113], v[96:97], v[226:227]
	buffer_load_dword v237, off, s[0:3], 0 offset:860
	buffer_load_dword v236, off, s[0:3], 0 offset:856
	;; [unrolled: 1-line block ×4, first 2 shown]
	v_add_f64 v[110:111], v[110:111], v[112:113]
	s_waitcnt vmcnt(14) lgkmcnt(0)
	v_mul_f64 v[112:113], v[98:99], v[214:215]
	s_waitcnt vmcnt(12)
	v_fmac_f64_e32 v[112:113], v[100:101], v[228:229]
	v_add_f64 v[110:111], v[110:111], v[112:113]
	s_waitcnt vmcnt(9)
	v_mul_f64 v[112:113], v[102:103], v[232:233]
	s_waitcnt vmcnt(7)
	v_fmac_f64_e32 v[112:113], v[104:105], v[234:235]
	v_add_f64 v[110:111], v[110:111], v[112:113]
	s_waitcnt vmcnt(5)
	v_mul_f64 v[112:113], v[106:107], v[210:211]
	s_waitcnt vmcnt(4)
	v_fmac_f64_e32 v[112:113], v[108:109], v[230:231]
	v_add_f64 v[114:115], v[110:111], v[112:113]
	ds_read_b128 v[110:113], v1 offset:1696
	buffer_load_dword v242, off, s[0:3], 0 offset:872
	buffer_load_dword v243, off, s[0:3], 0 offset:876
	;; [unrolled: 1-line block ×4, first 2 shown]
	v_fma_f64 v[4:5], v[10:11], v[124:125], -v[4:5]
	v_add_f64 v[2:3], v[2:3], v[4:5]
	v_mul_f64 v[4:5], v[16:17], v[146:147]
	v_fma_f64 v[4:5], v[14:15], v[150:151], -v[4:5]
	v_add_f64 v[2:3], v[2:3], v[4:5]
	v_mul_f64 v[4:5], v[20:21], v[128:129]
	;; [unrolled: 3-line block ×21, first 2 shown]
	v_fma_f64 v[4:5], v[94:95], v[226:227], -v[4:5]
	v_add_f64 v[2:3], v[2:3], v[4:5]
	s_waitcnt vmcnt(6) lgkmcnt(0)
	v_mul_f64 v[116:117], v[110:111], v[236:237]
	v_mul_f64 v[4:5], v[100:101], v[214:215]
	s_waitcnt vmcnt(4)
	v_fmac_f64_e32 v[116:117], v[112:113], v[238:239]
	v_add_f64 v[240:241], v[114:115], v[116:117]
	ds_read_b128 v[114:117], v1 offset:1712
	v_fma_f64 v[4:5], v[98:99], v[228:229], -v[4:5]
	v_add_f64 v[2:3], v[2:3], v[4:5]
	v_mul_f64 v[4:5], v[104:105], v[232:233]
	v_fma_f64 v[4:5], v[102:103], v[234:235], -v[4:5]
	v_add_f64 v[2:3], v[2:3], v[4:5]
	v_mul_f64 v[4:5], v[108:109], v[210:211]
	v_fma_f64 v[4:5], v[106:107], v[230:231], -v[4:5]
	s_waitcnt vmcnt(2) lgkmcnt(0)
	v_mul_f64 v[248:249], v[114:115], v[242:243]
	v_add_f64 v[2:3], v[2:3], v[4:5]
	s_waitcnt vmcnt(0)
	v_fmac_f64_e32 v[248:249], v[116:117], v[244:245]
	v_add_f64 v[240:241], v[240:241], v[248:249]
	buffer_load_dword v248, off, s[0:3], 0 offset:240
	buffer_load_dword v249, off, s[0:3], 0 offset:244
	;; [unrolled: 1-line block ×4, first 2 shown]
	v_mul_f64 v[4:5], v[112:113], v[236:237]
	v_fma_f64 v[4:5], v[110:111], v[238:239], -v[4:5]
	v_add_f64 v[2:3], v[2:3], v[4:5]
	v_mul_f64 v[4:5], v[116:117], v[242:243]
	v_fma_f64 v[4:5], v[114:115], v[244:245], -v[4:5]
	v_add_f64 v[2:3], v[2:3], v[4:5]
	s_waitcnt vmcnt(2)
	v_add_f64 v[2:3], v[248:249], -v[2:3]
	s_waitcnt vmcnt(0)
	v_add_f64 v[4:5], v[246:247], -v[240:241]
	buffer_store_dword v3, off, s[0:3], 0 offset:244
	buffer_store_dword v2, off, s[0:3], 0 offset:240
	buffer_store_dword v5, off, s[0:3], 0 offset:252
	buffer_store_dword v4, off, s[0:3], 0 offset:248
	s_and_saveexec_b64 s[4:5], vcc
	s_cbranch_execz .LBB53_311
; %bb.310:
	v_accvgpr_read_b32 v5, a148
	buffer_load_dword v2, v5, s[0:3], 0 offen
	buffer_load_dword v3, v5, s[0:3], 0 offen offset:4
	buffer_load_dword v4, v5, s[0:3], 0 offen offset:8
	s_nop 0
	buffer_load_dword v5, v5, s[0:3], 0 offen offset:12
	v_accvgpr_read_b32 v6, a161
	buffer_store_dword v1, off, s[0:3], 0 offset:224
	buffer_store_dword v1, off, s[0:3], 0 offset:228
	;; [unrolled: 1-line block ×4, first 2 shown]
	s_waitcnt vmcnt(4)
	ds_write_b128 v6, v[2:5]
.LBB53_311:
	s_or_b64 exec, exec, s[4:5]
	s_waitcnt lgkmcnt(0)
	; wave barrier
	s_waitcnt lgkmcnt(0)
	buffer_load_dword v56, off, s[0:3], 0 offset:240
	buffer_load_dword v57, off, s[0:3], 0 offset:244
	;; [unrolled: 1-line block ×42, first 2 shown]
	ds_read_b128 v[78:81], v1 offset:1088
	ds_read_b128 v[90:93], v1 offset:1104
	;; [unrolled: 1-line block ×10, first 2 shown]
	buffer_load_dword v105, off, s[0:3], 0 offset:388
	buffer_load_dword v104, off, s[0:3], 0 offset:384
	ds_read_b128 v[106:109], v1 offset:1248
	buffer_load_dword v3, off, s[0:3], 0 offset:444
	buffer_load_dword v2, off, s[0:3], 0 offset:440
	v_cmp_lt_u32_e32 vcc, 12, v0
	s_waitcnt vmcnt(38) lgkmcnt(9)
	v_mul_f64 v[4:5], v[90:91], v[62:63]
	v_fmac_f64_e32 v[4:5], v[92:93], v[54:55]
	s_waitcnt vmcnt(36) lgkmcnt(8)
	v_mul_f64 v[6:7], v[114:115], v[58:59]
	v_mul_f64 v[58:59], v[116:117], v[58:59]
	s_waitcnt vmcnt(34) lgkmcnt(6)
	v_mul_f64 v[10:11], v[240:241], v[70:71]
	v_mul_f64 v[70:71], v[242:243], v[70:71]
	s_waitcnt vmcnt(32)
	v_fmac_f64_e32 v[10:11], v[242:243], v[72:73]
	v_fma_f64 v[240:241], v[240:241], v[72:73], -v[70:71]
	s_waitcnt vmcnt(30)
	v_mul_f64 v[8:9], v[236:237], v[64:65]
	s_waitcnt vmcnt(28) lgkmcnt(4)
	v_mul_f64 v[14:15], v[248:249], v[82:83]
	v_mul_f64 v[82:83], v[250:251], v[82:83]
	s_waitcnt vmcnt(26)
	v_fmac_f64_e32 v[14:15], v[250:251], v[84:85]
	v_fma_f64 v[248:249], v[248:249], v[84:85], -v[82:83]
	s_waitcnt vmcnt(24)
	v_mul_f64 v[12:13], v[244:245], v[74:75]
	v_mul_f64 v[74:75], v[246:247], v[74:75]
	s_waitcnt vmcnt(22) lgkmcnt(2)
	v_mul_f64 v[18:19], v[220:221], v[94:95]
	v_mul_f64 v[94:95], v[222:223], v[94:95]
	s_waitcnt vmcnt(19)
	v_mul_f64 v[16:17], v[252:253], v[86:87]
	v_mul_f64 v[86:87], v[254:255], v[86:87]
	s_waitcnt vmcnt(17) lgkmcnt(1)
	v_mul_f64 v[20:21], v[98:99], v[102:103]
	s_waitcnt vmcnt(15)
	v_fmac_f64_e32 v[6:7], v[116:117], v[68:69]
	s_waitcnt vmcnt(13)
	v_fmac_f64_e32 v[8:9], v[238:239], v[66:67]
	;; [unrolled: 2-line block ×3, first 2 shown]
	v_fma_f64 v[246:247], v[244:245], v[76:77], -v[74:75]
	s_waitcnt vmcnt(9)
	v_fmac_f64_e32 v[16:17], v[254:255], v[88:89]
	s_waitcnt vmcnt(8)
	v_fmac_f64_e32 v[18:19], v[222:223], v[96:97]
	v_fma_f64 v[254:255], v[252:253], v[88:89], -v[86:87]
	v_fma_f64 v[220:221], v[220:221], v[96:97], -v[94:95]
	s_waitcnt vmcnt(2)
	v_fmac_f64_e32 v[20:21], v[100:101], v[104:105]
	v_mul_f64 v[100:101], v[100:101], v[102:103]
	s_waitcnt vmcnt(0)
	v_pk_mov_b32 v[22:23], v[2:3], v[2:3] op_sel:[0,1]
	buffer_load_dword v3, off, s[0:3], 0 offset:436
	buffer_load_dword v2, off, s[0:3], 0 offset:432
	;; [unrolled: 1-line block ×78, first 2 shown]
	ds_read_b128 v[118:121], v1 offset:1264
	v_accvgpr_write_b32 a163, v23
	v_accvgpr_write_b32 a162, v22
	v_fma_f64 v[250:251], v[98:99], v[104:105], -v[100:101]
	s_waitcnt vmcnt(62)
	v_pk_mov_b32 v[24:25], v[2:3], v[2:3] op_sel:[0,1]
	v_mul_f64 v[2:3], v[78:79], v[60:61]
	v_fmac_f64_e32 v[2:3], v[80:81], v[56:57]
	v_add_f64 v[2:3], v[2:3], 0
	v_add_f64 v[2:3], v[2:3], v[4:5]
	v_add_f64 v[2:3], v[2:3], v[6:7]
	v_add_f64 v[2:3], v[2:3], v[8:9]
	v_add_f64 v[2:3], v[2:3], v[10:11]
	v_add_f64 v[2:3], v[2:3], v[12:13]
	v_add_f64 v[2:3], v[2:3], v[14:15]
	v_add_f64 v[2:3], v[2:3], v[16:17]
	v_add_f64 v[2:3], v[2:3], v[18:19]
	s_waitcnt lgkmcnt(1)
	v_mul_f64 v[8:9], v[106:107], v[110:111]
	v_add_f64 v[6:7], v[2:3], v[20:21]
	v_fmac_f64_e32 v[8:9], v[108:109], v[112:113]
	v_add_f64 v[10:11], v[6:7], v[8:9]
	ds_read_b128 v[6:9], v1 offset:1280
	s_waitcnt lgkmcnt(1)
	v_mul_f64 v[12:13], v[118:119], v[122:123]
	v_fmac_f64_e32 v[12:13], v[120:121], v[138:139]
	v_add_f64 v[14:15], v[10:11], v[12:13]
	ds_read_b128 v[10:13], v1 offset:1296
	s_waitcnt lgkmcnt(1)
	v_mul_f64 v[16:17], v[6:7], v[22:23]
	;; [unrolled: 5-line block ×3, first 2 shown]
	v_fmac_f64_e32 v[20:21], v[12:13], v[146:147]
	v_add_f64 v[22:23], v[18:19], v[20:21]
	ds_read_b128 v[18:21], v1 offset:1328
	v_accvgpr_write_b32 a165, v25
	v_accvgpr_write_b32 a164, v24
	s_waitcnt lgkmcnt(1)
	v_mul_f64 v[24:25], v[14:15], v[124:125]
	v_fmac_f64_e32 v[24:25], v[16:17], v[126:127]
	v_add_f64 v[26:27], v[22:23], v[24:25]
	ds_read_b128 v[22:25], v1 offset:1344
	s_waitcnt vmcnt(58) lgkmcnt(1)
	v_mul_f64 v[28:29], v[18:19], v[150:151]
	s_waitcnt vmcnt(56)
	v_fmac_f64_e32 v[28:29], v[20:21], v[154:155]
	v_add_f64 v[30:31], v[26:27], v[28:29]
	ds_read_b128 v[26:29], v1 offset:1360
	s_waitcnt lgkmcnt(1)
	v_mul_f64 v[32:33], v[22:23], v[128:129]
	v_fmac_f64_e32 v[32:33], v[24:25], v[130:131]
	v_add_f64 v[34:35], v[30:31], v[32:33]
	ds_read_b128 v[30:33], v1 offset:1376
	s_waitcnt vmcnt(50) lgkmcnt(1)
	v_mul_f64 v[36:37], v[26:27], v[158:159]
	s_waitcnt vmcnt(48)
	v_fmac_f64_e32 v[36:37], v[28:29], v[162:163]
	v_add_f64 v[38:39], v[34:35], v[36:37]
	ds_read_b128 v[34:37], v1 offset:1392
	s_waitcnt lgkmcnt(1)
	v_mul_f64 v[40:41], v[30:31], v[132:133]
	v_fmac_f64_e32 v[40:41], v[32:33], v[134:135]
	v_add_f64 v[42:43], v[38:39], v[40:41]
	ds_read_b128 v[38:41], v1 offset:1408
	s_waitcnt vmcnt(42) lgkmcnt(1)
	v_mul_f64 v[44:45], v[34:35], v[166:167]
	s_waitcnt vmcnt(40)
	v_fmac_f64_e32 v[44:45], v[36:37], v[170:171]
	v_add_f64 v[46:47], v[42:43], v[44:45]
	ds_read_b128 v[42:45], v1 offset:1424
	s_waitcnt lgkmcnt(1)
	v_mul_f64 v[48:49], v[38:39], v[136:137]
	v_fmac_f64_e32 v[48:49], v[40:41], v[140:141]
	v_add_f64 v[50:51], v[46:47], v[48:49]
	ds_read_b128 v[46:49], v1 offset:1440
	s_waitcnt vmcnt(34) lgkmcnt(1)
	v_mul_f64 v[52:53], v[42:43], v[174:175]
	s_waitcnt vmcnt(32)
	v_fmac_f64_e32 v[52:53], v[44:45], v[178:179]
	v_add_f64 v[206:207], v[50:51], v[52:53]
	ds_read_b128 v[50:53], v1 offset:1456
	buffer_load_dword v198, off, s[0:3], 0 offset:760
	buffer_load_dword v203, off, s[0:3], 0 offset:748
	buffer_load_dword v202, off, s[0:3], 0 offset:744
	buffer_load_dword v205, off, s[0:3], 0 offset:740
	buffer_load_dword v204, off, s[0:3], 0 offset:736
	buffer_load_dword v200, off, s[0:3], 0 offset:752
	buffer_load_dword v199, off, s[0:3], 0 offset:764
	buffer_load_dword v201, off, s[0:3], 0 offset:756
	s_waitcnt lgkmcnt(1)
	v_mul_f64 v[208:209], v[46:47], v[144:145]
	v_fmac_f64_e32 v[208:209], v[48:49], v[148:149]
	v_add_f64 v[216:217], v[206:207], v[208:209]
	buffer_load_dword v207, off, s[0:3], 0 offset:780
	buffer_load_dword v206, off, s[0:3], 0 offset:776
	;; [unrolled: 1-line block ×20, first 2 shown]
	v_mul_f64 v[60:61], v[80:81], v[60:61]
	s_waitcnt vmcnt(54) lgkmcnt(0)
	v_mul_f64 v[218:219], v[50:51], v[182:183]
	v_fma_f64 v[224:225], v[78:79], v[56:57], -v[60:61]
	v_mul_f64 v[56:57], v[92:93], v[62:63]
	v_fma_f64 v[2:3], v[90:91], v[54:55], -v[56:57]
	s_waitcnt vmcnt(52)
	v_fmac_f64_e32 v[218:219], v[52:53], v[184:185]
	ds_read_b128 v[54:57], v1 offset:1472
	v_add_f64 v[4:5], v[216:217], v[218:219]
	v_fma_f64 v[216:217], v[114:115], v[68:69], -v[58:59]
	ds_read_b128 v[58:61], v1 offset:1488
	v_mul_f64 v[62:63], v[238:239], v[64:65]
	v_fma_f64 v[218:219], v[236:237], v[66:67], -v[62:63]
	ds_read_b128 v[62:65], v1 offset:1504
	ds_read_b128 v[70:73], v1 offset:1536
	s_waitcnt lgkmcnt(3)
	v_mul_f64 v[68:69], v[54:55], v[152:153]
	v_fmac_f64_e32 v[68:69], v[56:57], v[156:157]
	s_waitcnt vmcnt(46) lgkmcnt(2)
	v_mul_f64 v[66:67], v[58:59], v[186:187]
	v_add_f64 v[4:5], v[4:5], v[68:69]
	s_waitcnt vmcnt(44)
	v_fmac_f64_e32 v[66:67], v[60:61], v[188:189]
	v_add_f64 v[4:5], v[4:5], v[66:67]
	s_waitcnt lgkmcnt(1)
	v_mul_f64 v[66:67], v[62:63], v[160:161]
	v_fmac_f64_e32 v[66:67], v[64:65], v[164:165]
	v_add_f64 v[4:5], v[4:5], v[66:67]
	ds_read_b128 v[66:69], v1 offset:1520
	ds_read_b128 v[74:77], v1 offset:1552
	;; [unrolled: 1-line block ×5, first 2 shown]
	s_waitcnt vmcnt(38) lgkmcnt(4)
	v_mul_f64 v[78:79], v[66:67], v[190:191]
	s_waitcnt vmcnt(36)
	v_fmac_f64_e32 v[78:79], v[68:69], v[192:193]
	v_add_f64 v[4:5], v[4:5], v[78:79]
	v_mul_f64 v[78:79], v[70:71], v[168:169]
	v_fmac_f64_e32 v[78:79], v[72:73], v[172:173]
	v_add_f64 v[4:5], v[4:5], v[78:79]
	s_waitcnt vmcnt(30) lgkmcnt(3)
	v_mul_f64 v[78:79], v[74:75], v[194:195]
	s_waitcnt vmcnt(28)
	v_fmac_f64_e32 v[78:79], v[76:77], v[196:197]
	v_add_f64 v[4:5], v[4:5], v[78:79]
	ds_read_b128 v[78:81], v1 offset:1568
	v_mul_f64 v[108:109], v[108:109], v[110:111]
	v_fma_f64 v[252:253], v[106:107], v[112:113], -v[108:109]
	v_mul_f64 v[120:121], v[120:121], v[122:123]
	v_fma_f64 v[118:119], v[118:119], v[138:139], -v[120:121]
	s_waitcnt lgkmcnt(0)
	v_mul_f64 v[90:91], v[78:79], v[176:177]
	v_fmac_f64_e32 v[90:91], v[80:81], v[180:181]
	v_add_f64 v[4:5], v[4:5], v[90:91]
	ds_read_b128 v[98:101], v1 offset:1648
	ds_read_b128 v[106:109], v1 offset:1680
	s_waitcnt vmcnt(25)
	v_mul_f64 v[90:91], v[82:83], v[202:203]
	s_waitcnt vmcnt(23)
	v_fmac_f64_e32 v[90:91], v[84:85], v[204:205]
	v_add_f64 v[4:5], v[4:5], v[90:91]
	s_waitcnt vmcnt(21)
	v_mul_f64 v[90:91], v[86:87], v[198:199]
	s_waitcnt vmcnt(20)
	v_fmac_f64_e32 v[90:91], v[88:89], v[200:201]
	v_add_f64 v[4:5], v[4:5], v[90:91]
	ds_read_b128 v[90:93], v1 offset:1616
	s_waitcnt vmcnt(14)
	v_mul_f64 v[102:103], v[94:95], v[212:213]
	s_waitcnt vmcnt(9) lgkmcnt(2)
	v_mul_f64 v[110:111], v[98:99], v[228:229]
	v_fmac_f64_e32 v[102:103], v[96:97], v[214:215]
	s_waitcnt vmcnt(7)
	v_fmac_f64_e32 v[110:111], v[100:101], v[232:233]
	s_waitcnt lgkmcnt(0)
	v_mul_f64 v[114:115], v[90:91], v[206:207]
	v_fmac_f64_e32 v[114:115], v[92:93], v[208:209]
	v_add_f64 v[4:5], v[4:5], v[114:115]
	v_add_f64 v[4:5], v[4:5], v[102:103]
	ds_read_b128 v[102:105], v1 offset:1664
	buffer_load_dword v236, off, s[0:3], 0 offset:856
	buffer_load_dword v237, off, s[0:3], 0 offset:860
	;; [unrolled: 1-line block ×4, first 2 shown]
	v_add_f64 v[4:5], v[4:5], v[110:111]
	s_waitcnt vmcnt(9) lgkmcnt(0)
	v_mul_f64 v[110:111], v[102:103], v[210:211]
	s_waitcnt vmcnt(8)
	v_fmac_f64_e32 v[110:111], v[104:105], v[226:227]
	v_add_f64 v[4:5], v[4:5], v[110:111]
	s_waitcnt vmcnt(6)
	v_mul_f64 v[110:111], v[106:107], v[230:231]
	s_waitcnt vmcnt(4)
	v_fmac_f64_e32 v[110:111], v[108:109], v[234:235]
	v_add_f64 v[4:5], v[4:5], v[110:111]
	ds_read_b128 v[110:113], v1 offset:1696
	buffer_load_dword v243, off, s[0:3], 0 offset:876
	buffer_load_dword v242, off, s[0:3], 0 offset:872
	;; [unrolled: 1-line block ×4, first 2 shown]
	s_waitcnt vmcnt(6) lgkmcnt(0)
	v_mul_f64 v[114:115], v[110:111], v[236:237]
	s_waitcnt vmcnt(4)
	v_fmac_f64_e32 v[114:115], v[112:113], v[238:239]
	v_add_f64 v[4:5], v[4:5], v[114:115]
	ds_read_b128 v[114:117], v1 offset:1712
	s_waitcnt vmcnt(2) lgkmcnt(0)
	v_mul_f64 v[222:223], v[114:115], v[242:243]
	s_waitcnt vmcnt(0)
	v_fmac_f64_e32 v[222:223], v[116:117], v[244:245]
	v_add_f64 v[4:5], v[4:5], v[222:223]
	v_add_f64 v[222:223], v[224:225], 0
	;; [unrolled: 1-line block ×8, first 2 shown]
	buffer_load_dword v248, off, s[0:3], 0 offset:224
	buffer_load_dword v249, off, s[0:3], 0 offset:228
	;; [unrolled: 1-line block ×4, first 2 shown]
	v_add_f64 v[2:3], v[2:3], v[254:255]
	v_add_f64 v[254:255], v[2:3], v[220:221]
	;; [unrolled: 1-line block ×5, first 2 shown]
	v_accvgpr_read_b32 v118, a162
	v_accvgpr_read_b32 v119, a163
	v_mul_f64 v[8:9], v[8:9], v[118:119]
	v_accvgpr_read_b32 v118, a164
	v_accvgpr_read_b32 v119, a165
	v_fma_f64 v[6:7], v[6:7], v[118:119], -v[8:9]
	v_add_f64 v[2:3], v[2:3], v[6:7]
	v_mul_f64 v[6:7], v[12:13], v[142:143]
	v_fma_f64 v[6:7], v[10:11], v[146:147], -v[6:7]
	v_add_f64 v[2:3], v[2:3], v[6:7]
	v_mul_f64 v[6:7], v[16:17], v[124:125]
	;; [unrolled: 3-line block ×27, first 2 shown]
	v_fma_f64 v[6:7], v[114:115], v[244:245], -v[6:7]
	v_add_f64 v[2:3], v[2:3], v[6:7]
	s_waitcnt vmcnt(2)
	v_add_f64 v[2:3], v[248:249], -v[2:3]
	s_waitcnt vmcnt(0)
	v_add_f64 v[4:5], v[246:247], -v[4:5]
	buffer_store_dword v3, off, s[0:3], 0 offset:228
	buffer_store_dword v2, off, s[0:3], 0 offset:224
	;; [unrolled: 1-line block ×4, first 2 shown]
	s_and_saveexec_b64 s[4:5], vcc
	s_cbranch_execz .LBB53_313
; %bb.312:
	v_accvgpr_read_b32 v1, a149
	buffer_load_dword v2, v1, s[0:3], 0 offen
	buffer_load_dword v3, v1, s[0:3], 0 offen offset:4
	buffer_load_dword v4, v1, s[0:3], 0 offen offset:8
	;; [unrolled: 1-line block ×3, first 2 shown]
	v_mov_b32_e32 v1, 0
	v_accvgpr_read_b32 v6, a161
	buffer_store_dword v1, off, s[0:3], 0 offset:208
	buffer_store_dword v1, off, s[0:3], 0 offset:212
	;; [unrolled: 1-line block ×4, first 2 shown]
	s_waitcnt vmcnt(4)
	ds_write_b128 v6, v[2:5]
.LBB53_313:
	s_or_b64 exec, exec, s[4:5]
	s_waitcnt lgkmcnt(0)
	; wave barrier
	s_waitcnt lgkmcnt(0)
	buffer_load_dword v54, off, s[0:3], 0 offset:224
	buffer_load_dword v55, off, s[0:3], 0 offset:228
	;; [unrolled: 1-line block ×46, first 2 shown]
	v_mov_b32_e32 v1, 0
	v_cmp_lt_u32_e32 vcc, 11, v0
	s_waitcnt vmcnt(0)
	v_pk_mov_b32 v[22:23], v[2:3], v[2:3] op_sel:[0,1]
	buffer_load_dword v3, off, s[0:3], 0 offset:420
	buffer_load_dword v2, off, s[0:3], 0 offset:416
	;; [unrolled: 1-line block ×3, first 2 shown]
	ds_read_b128 v[94:97], v1 offset:1072
	ds_read_b128 v[108:111], v1 offset:1088
	;; [unrolled: 1-line block ×11, first 2 shown]
	buffer_load_dword v106, off, s[0:3], 0 offset:408
	buffer_load_dword v117, off, s[0:3], 0 offset:404
	;; [unrolled: 1-line block ×75, first 2 shown]
	s_waitcnt lgkmcnt(9)
	v_mul_f64 v[4:5], v[108:109], v[62:63]
	s_waitcnt lgkmcnt(8)
	v_mul_f64 v[6:7], v[112:113], v[60:61]
	v_fmac_f64_e32 v[4:5], v[110:111], v[58:59]
	s_waitcnt lgkmcnt(7)
	v_mul_f64 v[8:9], v[220:221], v[68:69]
	v_fmac_f64_e32 v[6:7], v[114:115], v[84:85]
	;; [unrolled: 3-line block ×5, first 2 shown]
	ds_read_b128 v[232:235], v1 offset:1248
	ds_read_b128 v[118:121], v1 offset:1264
	s_waitcnt lgkmcnt(5)
	v_mul_f64 v[16:17], v[248:249], v[78:79]
	v_fmac_f64_e32 v[14:15], v[246:247], v[76:77]
	s_waitcnt lgkmcnt(4)
	v_mul_f64 v[18:19], v[252:253], v[86:87]
	v_fmac_f64_e32 v[16:17], v[250:251], v[80:81]
	;; [unrolled: 3-line block ×3, first 2 shown]
	v_fmac_f64_e32 v[20:21], v[218:219], v[92:93]
	v_accvgpr_write_b32 a163, v23
	v_accvgpr_write_b32 a162, v22
	v_mul_f64 v[62:63], v[110:111], v[62:63]
	v_mul_f64 v[74:75], v[246:247], v[74:75]
	v_fma_f64 v[246:247], v[244:245], v[76:77], -v[74:75]
	v_mul_f64 v[78:79], v[250:251], v[78:79]
	v_fma_f64 v[248:249], v[248:249], v[80:81], -v[78:79]
	v_mul_f64 v[86:87], v[254:255], v[86:87]
	v_mul_f64 v[90:91], v[218:219], v[90:91]
	v_fma_f64 v[252:253], v[252:253], v[88:89], -v[86:87]
	v_fma_f64 v[254:255], v[216:217], v[92:93], -v[90:91]
	s_waitcnt vmcnt(62)
	v_pk_mov_b32 v[24:25], v[2:3], v[2:3] op_sel:[0,1]
	v_mul_f64 v[2:3], v[94:95], v[56:57]
	v_fmac_f64_e32 v[2:3], v[96:97], v[54:55]
	v_add_f64 v[2:3], v[2:3], 0
	v_add_f64 v[2:3], v[2:3], v[4:5]
	;; [unrolled: 1-line block ×9, first 2 shown]
	s_waitcnt lgkmcnt(2)
	v_mul_f64 v[4:5], v[98:99], v[102:103]
	v_add_f64 v[2:3], v[2:3], v[20:21]
	v_fmac_f64_e32 v[4:5], v[100:101], v[104:105]
	s_waitcnt lgkmcnt(1)
	v_mul_f64 v[8:9], v[232:233], v[106:107]
	v_add_f64 v[6:7], v[2:3], v[4:5]
	v_fmac_f64_e32 v[8:9], v[234:235], v[116:117]
	s_waitcnt lgkmcnt(0)
	v_mul_f64 v[12:13], v[118:119], v[22:23]
	v_add_f64 v[10:11], v[6:7], v[8:9]
	ds_read_b128 v[6:9], v1 offset:1280
	v_fmac_f64_e32 v[12:13], v[120:121], v[24:25]
	v_add_f64 v[14:15], v[10:11], v[12:13]
	ds_read_b128 v[10:13], v1 offset:1296
	v_accvgpr_write_b32 a165, v25
	s_waitcnt lgkmcnt(1)
	v_mul_f64 v[16:17], v[6:7], v[138:139]
	v_fmac_f64_e32 v[16:17], v[8:9], v[142:143]
	v_add_f64 v[18:19], v[14:15], v[16:17]
	s_waitcnt lgkmcnt(0)
	v_mul_f64 v[20:21], v[10:11], v[122:123]
	ds_read_b128 v[14:17], v1 offset:1312
	v_fmac_f64_e32 v[20:21], v[12:13], v[124:125]
	v_add_f64 v[22:23], v[18:19], v[20:21]
	ds_read_b128 v[18:21], v1 offset:1328
	v_accvgpr_write_b32 a164, v24
	s_waitcnt vmcnt(58) lgkmcnt(1)
	v_mul_f64 v[24:25], v[14:15], v[146:147]
	s_waitcnt vmcnt(56)
	v_fmac_f64_e32 v[24:25], v[16:17], v[150:151]
	v_add_f64 v[26:27], v[22:23], v[24:25]
	s_waitcnt lgkmcnt(0)
	v_mul_f64 v[28:29], v[18:19], v[126:127]
	ds_read_b128 v[22:25], v1 offset:1344
	v_fmac_f64_e32 v[28:29], v[20:21], v[128:129]
	v_add_f64 v[30:31], v[26:27], v[28:29]
	ds_read_b128 v[26:29], v1 offset:1360
	v_mul_f64 v[56:57], v[96:97], v[56:57]
	s_waitcnt vmcnt(50) lgkmcnt(1)
	v_mul_f64 v[32:33], v[22:23], v[154:155]
	s_waitcnt vmcnt(48)
	v_fmac_f64_e32 v[32:33], v[24:25], v[158:159]
	v_add_f64 v[34:35], v[30:31], v[32:33]
	s_waitcnt lgkmcnt(0)
	v_mul_f64 v[36:37], v[26:27], v[130:131]
	ds_read_b128 v[30:33], v1 offset:1376
	v_fmac_f64_e32 v[36:37], v[28:29], v[132:133]
	v_add_f64 v[38:39], v[34:35], v[36:37]
	ds_read_b128 v[34:37], v1 offset:1392
	v_fma_f64 v[2:3], v[94:95], v[54:55], -v[56:57]
	s_waitcnt vmcnt(42) lgkmcnt(1)
	v_mul_f64 v[40:41], v[30:31], v[162:163]
	s_waitcnt vmcnt(40)
	v_fmac_f64_e32 v[40:41], v[32:33], v[166:167]
	v_add_f64 v[42:43], v[38:39], v[40:41]
	s_waitcnt lgkmcnt(0)
	v_mul_f64 v[44:45], v[34:35], v[134:135]
	ds_read_b128 v[38:41], v1 offset:1408
	v_fmac_f64_e32 v[44:45], v[36:37], v[136:137]
	v_add_f64 v[46:47], v[42:43], v[44:45]
	ds_read_b128 v[42:45], v1 offset:1424
	v_fma_f64 v[94:95], v[108:109], v[58:59], -v[62:63]
	s_waitcnt vmcnt(34) lgkmcnt(1)
	v_mul_f64 v[48:49], v[38:39], v[170:171]
	s_waitcnt vmcnt(32)
	v_fmac_f64_e32 v[48:49], v[40:41], v[174:175]
	v_add_f64 v[50:51], v[46:47], v[48:49]
	s_waitcnt lgkmcnt(0)
	v_mul_f64 v[52:53], v[42:43], v[140:141]
	v_fmac_f64_e32 v[52:53], v[44:45], v[144:145]
	ds_read_b128 v[46:49], v1 offset:1440
	v_add_f64 v[198:199], v[50:51], v[52:53]
	ds_read_b128 v[50:53], v1 offset:1456
	buffer_load_dword v195, off, s[0:3], 0 offset:732
	buffer_load_dword v194, off, s[0:3], 0 offset:728
	;; [unrolled: 1-line block ×4, first 2 shown]
	v_mul_f64 v[58:59], v[114:115], v[60:61]
	s_waitcnt vmcnt(30) lgkmcnt(1)
	v_mul_f64 v[200:201], v[46:47], v[178:179]
	s_waitcnt vmcnt(28)
	v_fmac_f64_e32 v[200:201], v[48:49], v[180:181]
	v_add_f64 v[224:225], v[198:199], v[200:201]
	buffer_load_dword v200, off, s[0:3], 0 offset:744
	buffer_load_dword v202, off, s[0:3], 0 offset:736
	buffer_load_dword v201, off, s[0:3], 0 offset:748
	buffer_load_dword v203, off, s[0:3], 0 offset:740
	buffer_load_dword v199, off, s[0:3], 0 offset:780
	buffer_load_dword v205, off, s[0:3], 0 offset:764
	buffer_load_dword v204, off, s[0:3], 0 offset:760
	buffer_load_dword v209, off, s[0:3], 0 offset:756
	buffer_load_dword v208, off, s[0:3], 0 offset:752
	buffer_load_dword v198, off, s[0:3], 0 offset:776
	buffer_load_dword v207, off, s[0:3], 0 offset:772
	buffer_load_dword v206, off, s[0:3], 0 offset:768
	ds_read_b128 v[54:57], v1 offset:1472
	s_waitcnt lgkmcnt(1)
	v_mul_f64 v[4:5], v[50:51], v[148:149]
	v_fma_f64 v[96:97], v[112:113], v[84:85], -v[58:59]
	v_fmac_f64_e32 v[4:5], v[52:53], v[152:153]
	v_mul_f64 v[58:59], v[222:223], v[68:69]
	v_add_f64 v[4:5], v[224:225], v[4:5]
	v_fma_f64 v[224:225], v[220:221], v[82:83], -v[58:59]
	s_waitcnt vmcnt(34) lgkmcnt(0)
	v_mul_f64 v[58:59], v[54:55], v[182:183]
	s_waitcnt vmcnt(32)
	v_fmac_f64_e32 v[58:59], v[56:57], v[184:185]
	buffer_load_dword v211, off, s[0:3], 0 offset:796
	buffer_load_dword v210, off, s[0:3], 0 offset:792
	;; [unrolled: 1-line block ×16, first 2 shown]
	v_add_f64 v[4:5], v[4:5], v[58:59]
	ds_read_b128 v[58:61], v1 offset:1488
	v_mul_f64 v[62:63], v[238:239], v[64:65]
	v_fma_f64 v[108:109], v[236:237], v[66:67], -v[62:63]
	ds_read_b128 v[62:65], v1 offset:1504
	v_mul_f64 v[66:67], v[242:243], v[70:71]
	v_fma_f64 v[240:241], v[240:241], v[72:73], -v[66:67]
	ds_read_b128 v[66:69], v1 offset:1520
	ds_read_b128 v[74:77], v1 offset:1552
	s_waitcnt lgkmcnt(3)
	v_mul_f64 v[82:83], v[58:59], v[156:157]
	v_fmac_f64_e32 v[82:83], v[60:61], v[160:161]
	s_waitcnt vmcnt(42) lgkmcnt(2)
	v_mul_f64 v[70:71], v[62:63], v[186:187]
	v_add_f64 v[4:5], v[4:5], v[82:83]
	s_waitcnt vmcnt(40)
	v_fmac_f64_e32 v[70:71], v[64:65], v[188:189]
	v_add_f64 v[4:5], v[4:5], v[70:71]
	s_waitcnt lgkmcnt(1)
	v_mul_f64 v[70:71], v[66:67], v[164:165]
	v_fmac_f64_e32 v[70:71], v[68:69], v[168:169]
	v_add_f64 v[4:5], v[4:5], v[70:71]
	ds_read_b128 v[70:73], v1 offset:1536
	ds_read_b128 v[78:81], v1 offset:1568
	v_mul_f64 v[100:101], v[100:101], v[102:103]
	v_mul_f64 v[102:103], v[234:235], v[106:107]
	v_fma_f64 v[102:103], v[232:233], v[116:117], -v[102:103]
	s_waitcnt vmcnt(34) lgkmcnt(1)
	v_mul_f64 v[82:83], v[70:71], v[190:191]
	s_waitcnt vmcnt(32)
	v_fmac_f64_e32 v[82:83], v[72:73], v[192:193]
	v_add_f64 v[4:5], v[4:5], v[82:83]
	v_mul_f64 v[82:83], v[74:75], v[172:173]
	v_fmac_f64_e32 v[82:83], v[76:77], v[176:177]
	v_add_f64 v[4:5], v[4:5], v[82:83]
	v_accvgpr_write_b32 a167, v103
	ds_read_b128 v[90:93], v1 offset:1616
	ds_read_b128 v[216:219], v1 offset:1632
	v_fma_f64 v[250:251], v[98:99], v[104:105], -v[100:101]
	ds_read_b128 v[98:101], v1 offset:1648
	v_accvgpr_write_b32 a166, v102
	ds_read_b128 v[102:105], v1 offset:1664
	ds_read_b128 v[232:235], v1 offset:1680
	v_add_f64 v[2:3], v[2:3], 0
	ds_read_b128 v[86:89], v1 offset:1600
	v_add_f64 v[2:3], v[2:3], v[94:95]
	v_add_f64 v[2:3], v[2:3], v[96:97]
	v_add_f64 v[2:3], v[2:3], v[224:225]
	v_add_f64 v[2:3], v[2:3], v[108:109]
	v_add_f64 v[2:3], v[2:3], v[240:241]
	v_add_f64 v[2:3], v[2:3], v[246:247]
	v_add_f64 v[2:3], v[2:3], v[248:249]
	v_add_f64 v[2:3], v[2:3], v[252:253]
	v_add_f64 v[2:3], v[2:3], v[254:255]
	v_accvgpr_read_b32 v94, a162
	v_add_f64 v[252:253], v[2:3], v[250:251]
	v_accvgpr_read_b32 v2, a166
	v_accvgpr_read_b32 v95, a163
	;; [unrolled: 1-line block ×4, first 2 shown]
	v_mul_f64 v[94:95], v[120:121], v[94:95]
	v_accvgpr_read_b32 v97, a165
	v_add_f64 v[2:3], v[252:253], v[2:3]
	v_fma_f64 v[94:95], v[118:119], v[96:97], -v[94:95]
	v_mul_f64 v[8:9], v[8:9], v[138:139]
	s_waitcnt vmcnt(30) lgkmcnt(6)
	v_mul_f64 v[82:83], v[78:79], v[194:195]
	v_add_f64 v[2:3], v[2:3], v[94:95]
	s_waitcnt vmcnt(28)
	v_fmac_f64_e32 v[82:83], v[80:81], v[196:197]
	v_add_f64 v[4:5], v[4:5], v[82:83]
	ds_read_b128 v[82:85], v1 offset:1584
	buffer_load_dword v237, off, s[0:3], 0 offset:860
	buffer_load_dword v236, off, s[0:3], 0 offset:856
	;; [unrolled: 1-line block ×4, first 2 shown]
	v_fma_f64 v[6:7], v[6:7], v[142:143], -v[8:9]
	v_add_f64 v[2:3], v[2:3], v[6:7]
	v_mul_f64 v[6:7], v[12:13], v[122:123]
	s_waitcnt vmcnt(29) lgkmcnt(0)
	v_mul_f64 v[110:111], v[82:83], v[200:201]
	s_waitcnt vmcnt(28)
	v_fmac_f64_e32 v[110:111], v[84:85], v[202:203]
	v_add_f64 v[4:5], v[4:5], v[110:111]
	s_waitcnt vmcnt(25)
	v_mul_f64 v[110:111], v[86:87], v[204:205]
	s_waitcnt vmcnt(23)
	v_fmac_f64_e32 v[110:111], v[88:89], v[208:209]
	v_add_f64 v[4:5], v[4:5], v[110:111]
	s_waitcnt vmcnt(22)
	;; [unrolled: 5-line block ×6, first 2 shown]
	v_mul_f64 v[110:111], v[232:233], v[220:221]
	s_waitcnt vmcnt(4)
	v_fmac_f64_e32 v[110:111], v[234:235], v[222:223]
	v_add_f64 v[4:5], v[4:5], v[110:111]
	ds_read_b128 v[110:113], v1 offset:1696
	buffer_load_dword v242, off, s[0:3], 0 offset:872
	buffer_load_dword v243, off, s[0:3], 0 offset:876
	;; [unrolled: 1-line block ×4, first 2 shown]
	v_fma_f64 v[6:7], v[10:11], v[124:125], -v[6:7]
	v_add_f64 v[2:3], v[2:3], v[6:7]
	v_mul_f64 v[6:7], v[16:17], v[146:147]
	v_fma_f64 v[6:7], v[14:15], v[150:151], -v[6:7]
	v_add_f64 v[2:3], v[2:3], v[6:7]
	v_mul_f64 v[6:7], v[20:21], v[126:127]
	;; [unrolled: 3-line block ×17, first 2 shown]
	s_waitcnt vmcnt(6) lgkmcnt(0)
	v_mul_f64 v[114:115], v[110:111], v[236:237]
	v_fma_f64 v[6:7], v[78:79], v[196:197], -v[6:7]
	s_waitcnt vmcnt(4)
	v_fmac_f64_e32 v[114:115], v[112:113], v[238:239]
	v_add_f64 v[4:5], v[4:5], v[114:115]
	ds_read_b128 v[114:117], v1 offset:1712
	buffer_load_dword v248, off, s[0:3], 0 offset:208
	buffer_load_dword v249, off, s[0:3], 0 offset:212
	;; [unrolled: 1-line block ×4, first 2 shown]
	v_add_f64 v[2:3], v[2:3], v[6:7]
	v_mul_f64 v[6:7], v[84:85], v[200:201]
	v_fma_f64 v[6:7], v[82:83], v[202:203], -v[6:7]
	v_add_f64 v[2:3], v[2:3], v[6:7]
	v_mul_f64 v[6:7], v[88:89], v[204:205]
	v_fma_f64 v[6:7], v[86:87], v[208:209], -v[6:7]
	;; [unrolled: 3-line block ×8, first 2 shown]
	v_add_f64 v[2:3], v[2:3], v[6:7]
	s_waitcnt vmcnt(6) lgkmcnt(0)
	v_mul_f64 v[6:7], v[116:117], v[242:243]
	v_mul_f64 v[106:107], v[114:115], v[242:243]
	s_waitcnt vmcnt(4)
	v_fma_f64 v[6:7], v[114:115], v[244:245], -v[6:7]
	v_fmac_f64_e32 v[106:107], v[116:117], v[244:245]
	v_add_f64 v[2:3], v[2:3], v[6:7]
	v_add_f64 v[4:5], v[4:5], v[106:107]
	s_waitcnt vmcnt(2)
	v_add_f64 v[2:3], v[248:249], -v[2:3]
	s_waitcnt vmcnt(0)
	v_add_f64 v[4:5], v[246:247], -v[4:5]
	buffer_store_dword v3, off, s[0:3], 0 offset:212
	buffer_store_dword v2, off, s[0:3], 0 offset:208
	;; [unrolled: 1-line block ×4, first 2 shown]
	s_and_saveexec_b64 s[4:5], vcc
	s_cbranch_execz .LBB53_315
; %bb.314:
	v_accvgpr_read_b32 v5, a150
	buffer_load_dword v2, v5, s[0:3], 0 offen
	buffer_load_dword v3, v5, s[0:3], 0 offen offset:4
	buffer_load_dword v4, v5, s[0:3], 0 offen offset:8
	s_nop 0
	buffer_load_dword v5, v5, s[0:3], 0 offen offset:12
	v_accvgpr_read_b32 v6, a161
	buffer_store_dword v1, off, s[0:3], 0 offset:192
	buffer_store_dword v1, off, s[0:3], 0 offset:196
	;; [unrolled: 1-line block ×4, first 2 shown]
	s_waitcnt vmcnt(4)
	ds_write_b128 v6, v[2:5]
.LBB53_315:
	s_or_b64 exec, exec, s[4:5]
	s_waitcnt lgkmcnt(0)
	; wave barrier
	s_waitcnt lgkmcnt(0)
	buffer_load_dword v58, off, s[0:3], 0 offset:208
	buffer_load_dword v59, off, s[0:3], 0 offset:212
	;; [unrolled: 1-line block ×42, first 2 shown]
	ds_read_b128 v[110:113], v1 offset:1056
	ds_read_b128 v[114:117], v1 offset:1072
	;; [unrolled: 1-line block ×10, first 2 shown]
	buffer_load_dword v227, off, s[0:3], 0 offset:356
	buffer_load_dword v226, off, s[0:3], 0 offset:352
	ds_read_b128 v[90:93], v1 offset:1216
	buffer_load_dword v105, off, s[0:3], 0 offset:412
	buffer_load_dword v104, off, s[0:3], 0 offset:408
	;; [unrolled: 1-line block ×6, first 2 shown]
	v_cmp_lt_u32_e32 vcc, 10, v0
	s_waitcnt vmcnt(46) lgkmcnt(10)
	v_mul_f64 v[2:3], v[110:111], v[60:61]
	v_fmac_f64_e32 v[2:3], v[112:113], v[58:59]
	v_add_f64 v[2:3], v[2:3], 0
	v_mul_f64 v[60:61], v[112:113], v[60:61]
	s_waitcnt vmcnt(42) lgkmcnt(9)
	v_mul_f64 v[4:5], v[114:115], v[62:63]
	v_fmac_f64_e32 v[4:5], v[116:117], v[56:57]
	v_add_f64 v[2:3], v[2:3], v[4:5]
	buffer_load_dword v233, off, s[0:3], 0 offset:388
	buffer_load_dword v232, off, s[0:3], 0 offset:384
	;; [unrolled: 1-line block ×4, first 2 shown]
	s_waitcnt vmcnt(44) lgkmcnt(8)
	v_mul_f64 v[6:7], v[210:211], v[228:229]
	s_waitcnt vmcnt(42) lgkmcnt(6)
	v_mul_f64 v[10:11], v[218:219], v[64:65]
	s_waitcnt vmcnt(40)
	v_fmac_f64_e32 v[10:11], v[220:221], v[66:67]
	s_waitcnt vmcnt(38)
	v_mul_f64 v[8:9], v[214:215], v[68:69]
	s_waitcnt vmcnt(36) lgkmcnt(4)
	v_mul_f64 v[14:15], v[240:241], v[70:71]
	s_waitcnt vmcnt(34)
	v_fmac_f64_e32 v[14:15], v[242:243], v[72:73]
	s_waitcnt vmcnt(32)
	v_mul_f64 v[12:13], v[236:237], v[74:75]
	s_waitcnt vmcnt(30) lgkmcnt(2)
	v_mul_f64 v[18:19], v[248:249], v[78:79]
	v_mul_f64 v[78:79], v[250:251], v[78:79]
	s_waitcnt vmcnt(27)
	v_mul_f64 v[16:17], v[244:245], v[76:77]
	s_waitcnt vmcnt(25) lgkmcnt(1)
	v_mul_f64 v[20:21], v[82:83], v[86:87]
	s_waitcnt vmcnt(23)
	v_fmac_f64_e32 v[6:7], v[212:213], v[100:101]
	v_add_f64 v[2:3], v[2:3], v[6:7]
	s_waitcnt vmcnt(21)
	v_fmac_f64_e32 v[8:9], v[216:217], v[98:99]
	v_add_f64 v[2:3], v[2:3], v[8:9]
	;; [unrolled: 3-line block ×3, first 2 shown]
	v_add_f64 v[2:3], v[2:3], v[12:13]
	s_waitcnt vmcnt(17)
	v_fmac_f64_e32 v[16:17], v[246:247], v[88:89]
	v_add_f64 v[2:3], v[2:3], v[14:15]
	s_waitcnt vmcnt(16)
	v_fmac_f64_e32 v[18:19], v[250:251], v[80:81]
	v_add_f64 v[2:3], v[2:3], v[16:17]
	v_add_f64 v[2:3], v[2:3], v[18:19]
	v_fma_f64 v[248:249], v[248:249], v[80:81], -v[78:79]
	s_waitcnt vmcnt(10)
	v_fmac_f64_e32 v[20:21], v[84:85], v[226:227]
	v_add_f64 v[2:3], v[2:3], v[20:21]
	v_mul_f64 v[84:85], v[84:85], v[86:87]
	s_waitcnt vmcnt(0)
	v_pk_mov_b32 v[18:19], v[4:5], v[4:5] op_sel:[0,1]
	buffer_load_dword v5, off, s[0:3], 0 offset:436
	buffer_load_dword v4, off, s[0:3], 0 offset:432
	v_accvgpr_write_b32 a163, v19
	v_accvgpr_write_b32 a162, v18
	s_waitcnt vmcnt(0)
	v_pk_mov_b32 v[22:23], v[4:5], v[4:5] op_sel:[0,1]
	buffer_load_dword v135, off, s[0:3], 0 offset:428
	buffer_load_dword v134, off, s[0:3], 0 offset:424
	;; [unrolled: 1-line block ×6, first 2 shown]
	v_accvgpr_write_b32 a165, v23
	v_accvgpr_write_b32 a164, v22
	s_waitcnt vmcnt(0)
	v_pk_mov_b32 v[26:27], v[4:5], v[4:5] op_sel:[0,1]
	buffer_load_dword v5, off, s[0:3], 0 offset:468
	buffer_load_dword v4, off, s[0:3], 0 offset:464
	;; [unrolled: 1-line block ×62, first 2 shown]
	ds_read_b128 v[252:255], v1 offset:1232
	ds_read_b128 v[222:225], v1 offset:1248
	ds_read_b128 v[118:121], v1 offset:1264
	ds_read_b128 v[190:193], v1 offset:1280
	v_accvgpr_write_b32 a167, v27
	v_accvgpr_write_b32 a166, v26
	s_waitcnt lgkmcnt(2)
	v_mul_f64 v[8:9], v[222:223], v[104:105]
	v_fmac_f64_e32 v[8:9], v[224:225], v[106:107]
	s_waitcnt lgkmcnt(1)
	v_mul_f64 v[12:13], v[118:119], v[134:135]
	v_fmac_f64_e32 v[12:13], v[120:121], v[138:139]
	;; [unrolled: 3-line block ×3, first 2 shown]
	s_waitcnt vmcnt(60)
	v_pk_mov_b32 v[28:29], v[4:5], v[4:5] op_sel:[0,1]
	v_mul_f64 v[4:5], v[90:91], v[96:97]
	v_fmac_f64_e32 v[4:5], v[92:93], v[102:103]
	v_add_f64 v[2:3], v[2:3], v[4:5]
	v_mul_f64 v[4:5], v[252:253], v[108:109]
	v_fmac_f64_e32 v[4:5], v[254:255], v[232:233]
	v_add_f64 v[6:7], v[2:3], v[4:5]
	v_add_f64 v[10:11], v[6:7], v[8:9]
	;; [unrolled: 1-line block ×3, first 2 shown]
	ds_read_b128 v[10:13], v1 offset:1296
	v_add_f64 v[18:19], v[14:15], v[16:17]
	ds_read_b128 v[14:17], v1 offset:1312
	v_accvgpr_write_b32 a169, v29
	v_accvgpr_write_b32 a168, v28
	s_waitcnt vmcnt(58) lgkmcnt(1)
	v_mul_f64 v[20:21], v[10:11], v[142:143]
	s_waitcnt vmcnt(56)
	v_fmac_f64_e32 v[20:21], v[12:13], v[146:147]
	v_add_f64 v[22:23], v[18:19], v[20:21]
	ds_read_b128 v[18:21], v1 offset:1328
	s_waitcnt lgkmcnt(1)
	v_mul_f64 v[24:25], v[14:15], v[26:27]
	v_fmac_f64_e32 v[24:25], v[16:17], v[28:29]
	v_add_f64 v[26:27], v[22:23], v[24:25]
	ds_read_b128 v[22:25], v1 offset:1344
	s_waitcnt vmcnt(50) lgkmcnt(1)
	v_mul_f64 v[28:29], v[18:19], v[150:151]
	s_waitcnt vmcnt(48)
	v_fmac_f64_e32 v[28:29], v[20:21], v[154:155]
	v_add_f64 v[30:31], v[26:27], v[28:29]
	ds_read_b128 v[26:29], v1 offset:1360
	s_waitcnt lgkmcnt(1)
	v_mul_f64 v[32:33], v[22:23], v[126:127]
	v_fmac_f64_e32 v[32:33], v[24:25], v[128:129]
	v_add_f64 v[34:35], v[30:31], v[32:33]
	ds_read_b128 v[30:33], v1 offset:1376
	;; [unrolled: 11-line block ×4, first 2 shown]
	s_waitcnt vmcnt(26) lgkmcnt(1)
	v_mul_f64 v[52:53], v[42:43], v[174:175]
	s_waitcnt vmcnt(24)
	v_fmac_f64_e32 v[52:53], v[44:45], v[176:177]
	v_add_f64 v[234:235], v[50:51], v[52:53]
	ds_read_b128 v[50:53], v1 offset:1456
	buffer_load_dword v125, off, s[0:3], 0 offset:716
	buffer_load_dword v124, off, s[0:3], 0 offset:712
	;; [unrolled: 1-line block ×20, first 2 shown]
	v_mul_f64 v[4:5], v[116:117], v[62:63]
	v_fma_f64 v[6:7], v[114:115], v[56:57], -v[4:5]
	v_mul_f64 v[56:57], v[212:213], v[228:229]
	v_fma_f64 v[8:9], v[110:111], v[58:59], -v[60:61]
	v_fma_f64 v[110:111], v[210:211], v[100:101], -v[56:57]
	v_mul_f64 v[56:57], v[216:217], v[68:69]
	v_fma_f64 v[112:113], v[214:215], v[98:99], -v[56:57]
	buffer_load_dword v212, off, s[0:3], 0 offset:792
	buffer_load_dword v214, off, s[0:3], 0 offset:784
	;; [unrolled: 1-line block ×12, first 2 shown]
	s_waitcnt lgkmcnt(1)
	v_mul_f64 v[54:55], v[46:47], v[144:145]
	v_fmac_f64_e32 v[54:55], v[48:49], v[148:149]
	v_add_f64 v[58:59], v[234:235], v[54:55]
	v_mul_f64 v[54:55], v[220:221], v[64:65]
	s_waitcnt vmcnt(50) lgkmcnt(0)
	v_mul_f64 v[60:61], v[50:51], v[178:179]
	v_fma_f64 v[220:221], v[218:219], v[66:67], -v[54:55]
	buffer_load_dword v219, off, s[0:3], 0 offset:844
	buffer_load_dword v218, off, s[0:3], 0 offset:840
	;; [unrolled: 1-line block ×4, first 2 shown]
	ds_read_b128 v[54:57], v1 offset:1472
	s_waitcnt vmcnt(52)
	v_fmac_f64_e32 v[60:61], v[52:53], v[180:181]
	v_add_f64 v[62:63], v[58:59], v[60:61]
	v_mul_f64 v[58:59], v[238:239], v[74:75]
	v_fma_f64 v[236:237], v[236:237], v[94:95], -v[58:59]
	ds_read_b128 v[58:61], v1 offset:1488
	s_waitcnt lgkmcnt(1)
	v_mul_f64 v[64:65], v[54:55], v[152:153]
	v_fmac_f64_e32 v[64:65], v[56:57], v[156:157]
	v_add_f64 v[74:75], v[62:63], v[64:65]
	ds_read_b128 v[62:65], v1 offset:1504
	v_mul_f64 v[66:67], v[242:243], v[70:71]
	s_waitcnt vmcnt(46) lgkmcnt(1)
	v_mul_f64 v[70:71], v[58:59], v[182:183]
	v_fma_f64 v[240:241], v[240:241], v[72:73], -v[66:67]
	ds_read_b128 v[66:69], v1 offset:1520
	s_waitcnt vmcnt(44)
	v_fmac_f64_e32 v[70:71], v[60:61], v[184:185]
	v_add_f64 v[74:75], v[74:75], v[70:71]
	v_mul_f64 v[70:71], v[246:247], v[76:77]
	v_fma_f64 v[246:247], v[244:245], v[88:89], -v[70:71]
	ds_read_b128 v[70:73], v1 offset:1536
	ds_read_b128 v[78:81], v1 offset:1568
	s_waitcnt lgkmcnt(3)
	v_mul_f64 v[94:95], v[62:63], v[160:161]
	v_fmac_f64_e32 v[94:95], v[64:65], v[164:165]
	s_waitcnt vmcnt(38) lgkmcnt(2)
	v_mul_f64 v[76:77], v[66:67], v[186:187]
	v_add_f64 v[74:75], v[74:75], v[94:95]
	s_waitcnt vmcnt(36)
	v_fmac_f64_e32 v[76:77], v[68:69], v[188:189]
	v_add_f64 v[74:75], v[74:75], v[76:77]
	s_waitcnt lgkmcnt(1)
	v_mul_f64 v[76:77], v[70:71], v[168:169]
	v_fmac_f64_e32 v[76:77], v[72:73], v[172:173]
	v_add_f64 v[88:89], v[74:75], v[76:77]
	ds_read_b128 v[74:77], v1 offset:1552
	v_fma_f64 v[4:5], v[82:83], v[226:227], -v[84:85]
	ds_read_b128 v[82:85], v1 offset:1584
	v_mul_f64 v[92:93], v[92:93], v[96:97]
	v_fma_f64 v[2:3], v[90:91], v[102:103], -v[92:93]
	v_mul_f64 v[98:99], v[254:255], v[108:109]
	v_fma_f64 v[250:251], v[252:253], v[232:233], -v[98:99]
	ds_read_b128 v[98:101], v1 offset:1632
	v_mul_f64 v[102:103], v[224:225], v[104:105]
	v_fma_f64 v[252:253], v[222:223], v[106:107], -v[102:103]
	ds_read_b128 v[102:105], v1 offset:1664
	v_add_f64 v[8:9], v[8:9], 0
	v_add_f64 v[6:7], v[8:9], v[6:7]
	;; [unrolled: 1-line block ×8, first 2 shown]
	ds_read_b128 v[90:93], v1 offset:1616
	v_add_f64 v[6:7], v[6:7], v[248:249]
	v_add_f64 v[4:5], v[6:7], v[4:5]
	v_accvgpr_read_b32 v6, a164
	v_accvgpr_read_b32 v7, a165
	s_waitcnt vmcnt(25) lgkmcnt(3)
	v_mul_f64 v[96:97], v[82:83], v[200:201]
	s_waitcnt vmcnt(23)
	v_fmac_f64_e32 v[96:97], v[84:85], v[206:207]
	v_mul_f64 v[94:95], v[74:75], v[124:125]
	v_fmac_f64_e32 v[94:95], v[76:77], v[122:123]
	v_mul_f64 v[86:87], v[78:79], v[196:197]
	v_add_f64 v[88:89], v[88:89], v[94:95]
	v_fmac_f64_e32 v[86:87], v[80:81], v[198:199]
	v_add_f64 v[94:95], v[88:89], v[86:87]
	ds_read_b128 v[86:89], v1 offset:1600
	v_add_f64 v[94:95], v[94:95], v[96:97]
	s_waitcnt vmcnt(22) lgkmcnt(0)
	v_mul_f64 v[96:97], v[86:87], v[194:195]
	s_waitcnt vmcnt(20)
	v_fmac_f64_e32 v[96:97], v[88:89], v[204:205]
	v_add_f64 v[94:95], v[94:95], v[96:97]
	s_waitcnt vmcnt(18)
	v_mul_f64 v[96:97], v[90:91], v[202:203]
	s_waitcnt vmcnt(16)
	v_fmac_f64_e32 v[96:97], v[92:93], v[208:209]
	v_add_f64 v[108:109], v[94:95], v[96:97]
	ds_read_b128 v[94:97], v1 offset:1648
	s_waitcnt vmcnt(13)
	v_mul_f64 v[106:107], v[98:99], v[212:213]
	s_waitcnt vmcnt(12)
	v_fmac_f64_e32 v[106:107], v[100:101], v[214:215]
	v_add_f64 v[106:107], v[108:109], v[106:107]
	s_waitcnt vmcnt(9) lgkmcnt(0)
	v_mul_f64 v[108:109], v[94:95], v[228:229]
	s_waitcnt vmcnt(7)
	v_fmac_f64_e32 v[108:109], v[96:97], v[230:231]
	v_add_f64 v[106:107], v[106:107], v[108:109]
	s_waitcnt vmcnt(5)
	v_mul_f64 v[108:109], v[102:103], v[210:211]
	s_waitcnt vmcnt(4)
	v_fmac_f64_e32 v[108:109], v[104:105], v[216:217]
	v_add_f64 v[114:115], v[106:107], v[108:109]
	ds_read_b128 v[106:109], v1 offset:1680
	buffer_load_dword v226, off, s[0:3], 0 offset:856
	buffer_load_dword v227, off, s[0:3], 0 offset:860
	;; [unrolled: 1-line block ×4, first 2 shown]
	ds_read_b128 v[222:225], v1 offset:1696
	buffer_load_dword v243, off, s[0:3], 0 offset:876
	buffer_load_dword v242, off, s[0:3], 0 offset:872
	;; [unrolled: 1-line block ×4, first 2 shown]
	s_waitcnt vmcnt(10) lgkmcnt(1)
	v_mul_f64 v[116:117], v[106:107], v[218:219]
	s_waitcnt vmcnt(8)
	v_fmac_f64_e32 v[116:117], v[108:109], v[234:235]
	v_add_f64 v[114:115], v[114:115], v[116:117]
	s_waitcnt vmcnt(6) lgkmcnt(0)
	v_mul_f64 v[116:117], v[222:223], v[226:227]
	s_waitcnt vmcnt(4)
	v_fmac_f64_e32 v[116:117], v[224:225], v[238:239]
	v_add_f64 v[232:233], v[114:115], v[116:117]
	ds_read_b128 v[114:117], v1 offset:1712
	buffer_load_dword v248, off, s[0:3], 0 offset:192
	buffer_load_dword v249, off, s[0:3], 0 offset:196
	;; [unrolled: 1-line block ×4, first 2 shown]
	s_waitcnt vmcnt(6) lgkmcnt(0)
	v_mul_f64 v[254:255], v[114:115], v[242:243]
	s_waitcnt vmcnt(4)
	v_fmac_f64_e32 v[254:255], v[116:117], v[244:245]
	v_add_f64 v[232:233], v[232:233], v[254:255]
	v_add_f64 v[254:255], v[4:5], v[2:3]
	;; [unrolled: 1-line block ×3, first 2 shown]
	v_mul_f64 v[4:5], v[120:121], v[134:135]
	v_add_f64 v[2:3], v[2:3], v[252:253]
	v_fma_f64 v[4:5], v[118:119], v[138:139], -v[4:5]
	v_add_f64 v[2:3], v[2:3], v[4:5]
	v_accvgpr_read_b32 v4, a162
	v_accvgpr_read_b32 v5, a163
	v_mul_f64 v[4:5], v[192:193], v[4:5]
	v_fma_f64 v[4:5], v[190:191], v[6:7], -v[4:5]
	v_add_f64 v[2:3], v[2:3], v[4:5]
	v_mul_f64 v[4:5], v[12:13], v[142:143]
	v_fma_f64 v[4:5], v[10:11], v[146:147], -v[4:5]
	v_add_f64 v[2:3], v[2:3], v[4:5]
	v_accvgpr_read_b32 v4, a166
	v_accvgpr_read_b32 v5, a167
	;; [unrolled: 1-line block ×3, first 2 shown]
	v_mul_f64 v[4:5], v[16:17], v[4:5]
	v_accvgpr_read_b32 v7, a169
	v_fma_f64 v[4:5], v[14:15], v[6:7], -v[4:5]
	v_add_f64 v[2:3], v[2:3], v[4:5]
	v_mul_f64 v[4:5], v[20:21], v[150:151]
	v_fma_f64 v[4:5], v[18:19], v[154:155], -v[4:5]
	v_add_f64 v[2:3], v[2:3], v[4:5]
	v_mul_f64 v[4:5], v[24:25], v[126:127]
	;; [unrolled: 3-line block ×25, first 2 shown]
	v_fma_f64 v[4:5], v[114:115], v[244:245], -v[4:5]
	v_add_f64 v[2:3], v[2:3], v[4:5]
	s_waitcnt vmcnt(2)
	v_add_f64 v[2:3], v[248:249], -v[2:3]
	s_waitcnt vmcnt(0)
	v_add_f64 v[4:5], v[246:247], -v[232:233]
	buffer_store_dword v3, off, s[0:3], 0 offset:196
	buffer_store_dword v2, off, s[0:3], 0 offset:192
	;; [unrolled: 1-line block ×4, first 2 shown]
	s_and_saveexec_b64 s[4:5], vcc
	s_cbranch_execz .LBB53_317
; %bb.316:
	v_accvgpr_read_b32 v1, a151
	buffer_load_dword v2, v1, s[0:3], 0 offen
	buffer_load_dword v3, v1, s[0:3], 0 offen offset:4
	buffer_load_dword v4, v1, s[0:3], 0 offen offset:8
	;; [unrolled: 1-line block ×3, first 2 shown]
	v_mov_b32_e32 v1, 0
	v_accvgpr_read_b32 v6, a161
	buffer_store_dword v1, off, s[0:3], 0 offset:176
	buffer_store_dword v1, off, s[0:3], 0 offset:180
	;; [unrolled: 1-line block ×4, first 2 shown]
	s_waitcnt vmcnt(4)
	ds_write_b128 v6, v[2:5]
.LBB53_317:
	s_or_b64 exec, exec, s[4:5]
	s_waitcnt lgkmcnt(0)
	; wave barrier
	s_waitcnt lgkmcnt(0)
	buffer_load_dword v50, off, s[0:3], 0 offset:192
	buffer_load_dword v51, off, s[0:3], 0 offset:196
	;; [unrolled: 1-line block ×54, first 2 shown]
	v_mov_b32_e32 v1, 0
	ds_read_b128 v[102:105], v1 offset:1040
	ds_read_b128 v[106:109], v1 offset:1056
	ds_read_b128 v[110:113], v1 offset:1072
	ds_read_b128 v[114:117], v1 offset:1088
	ds_read_b128 v[206:209], v1 offset:1104
	ds_read_b128 v[216:219], v1 offset:1120
	ds_read_b128 v[220:223], v1 offset:1136
	ds_read_b128 v[232:235], v1 offset:1152
	ds_read_b128 v[236:239], v1 offset:1168
	v_cmp_lt_u32_e32 vcc, 9, v0
	s_waitcnt vmcnt(46) lgkmcnt(7)
	v_mul_f64 v[4:5], v[106:107], v[58:59]
	v_fmac_f64_e32 v[4:5], v[108:109], v[52:53]
	s_waitcnt vmcnt(44) lgkmcnt(6)
	v_mul_f64 v[6:7], v[110:111], v[202:203]
	s_waitcnt vmcnt(42) lgkmcnt(4)
	v_mul_f64 v[10:11], v[206:207], v[62:63]
	s_waitcnt vmcnt(40)
	v_fmac_f64_e32 v[10:11], v[208:209], v[60:61]
	s_waitcnt vmcnt(38)
	v_mul_f64 v[8:9], v[114:115], v[64:65]
	s_waitcnt vmcnt(36) lgkmcnt(2)
	v_mul_f64 v[14:15], v[220:221], v[66:67]
	s_waitcnt vmcnt(34)
	v_fmac_f64_e32 v[14:15], v[222:223], v[70:71]
	s_waitcnt vmcnt(32)
	;; [unrolled: 6-line block ×3, first 2 shown]
	v_fmac_f64_e32 v[8:9], v[116:117], v[80:81]
	s_waitcnt vmcnt(24)
	v_fmac_f64_e32 v[12:13], v[218:219], v[78:79]
	s_waitcnt vmcnt(22)
	;; [unrolled: 2-line block ×3, first 2 shown]
	v_pk_mov_b32 v[18:19], v[2:3], v[2:3] op_sel:[0,1]
	v_mul_f64 v[2:3], v[102:103], v[56:57]
	v_fmac_f64_e32 v[2:3], v[104:105], v[50:51]
	v_add_f64 v[2:3], v[2:3], 0
	v_add_f64 v[2:3], v[2:3], v[4:5]
	buffer_load_dword v5, off, s[0:3], 0 offset:420
	buffer_load_dword v4, off, s[0:3], 0 offset:416
	v_add_f64 v[2:3], v[2:3], v[6:7]
	v_add_f64 v[2:3], v[2:3], v[8:9]
	;; [unrolled: 1-line block ×6, first 2 shown]
	v_accvgpr_write_b32 a163, v19
	v_accvgpr_write_b32 a162, v18
	s_waitcnt vmcnt(0)
	v_pk_mov_b32 v[14:15], v[4:5], v[4:5] op_sel:[0,1]
	buffer_load_dword v55, off, s[0:3], 0 offset:412
	buffer_load_dword v54, off, s[0:3], 0 offset:408
	;; [unrolled: 1-line block ×6, first 2 shown]
	v_accvgpr_write_b32 a165, v15
	v_accvgpr_write_b32 a164, v14
	s_waitcnt vmcnt(0)
	v_pk_mov_b32 v[22:23], v[4:5], v[4:5] op_sel:[0,1]
	buffer_load_dword v5, off, s[0:3], 0 offset:452
	buffer_load_dword v4, off, s[0:3], 0 offset:448
	v_accvgpr_write_b32 a167, v23
	v_accvgpr_write_b32 a166, v22
	s_waitcnt vmcnt(0)
	v_pk_mov_b32 v[24:25], v[4:5], v[4:5] op_sel:[0,1]
	buffer_load_dword v139, off, s[0:3], 0 offset:444
	buffer_load_dword v138, off, s[0:3], 0 offset:440
	;; [unrolled: 1-line block ×52, first 2 shown]
	ds_read_b128 v[240:243], v1 offset:1184
	ds_read_b128 v[244:247], v1 offset:1200
	ds_read_b128 v[248:251], v1 offset:1216
	ds_read_b128 v[252:255], v1 offset:1232
	ds_read_b128 v[118:121], v1 offset:1248
	ds_read_b128 v[126:129], v1 offset:1264
	ds_read_b128 v[122:125], v1 offset:1280
	v_accvgpr_write_b32 a169, v25
	v_accvgpr_write_b32 a168, v24
	s_waitcnt lgkmcnt(2)
	v_mul_f64 v[8:9], v[118:119], v[54:55]
	v_fmac_f64_e32 v[8:9], v[120:121], v[198:199]
	s_waitcnt lgkmcnt(1)
	v_mul_f64 v[12:13], v[126:127], v[18:19]
	v_fmac_f64_e32 v[12:13], v[128:129], v[14:15]
	v_mul_f64 v[54:55], v[120:121], v[54:55]
	s_waitcnt vmcnt(44)
	v_pk_mov_b32 v[30:31], v[4:5], v[4:5] op_sel:[0,1]
	v_mul_f64 v[4:5], v[236:237], v[74:75]
	v_fmac_f64_e32 v[4:5], v[238:239], v[84:85]
	v_add_f64 v[2:3], v[2:3], v[4:5]
	v_mul_f64 v[4:5], v[240:241], v[90:91]
	v_fmac_f64_e32 v[4:5], v[242:243], v[92:93]
	v_add_f64 v[2:3], v[2:3], v[4:5]
	;; [unrolled: 3-line block ×5, first 2 shown]
	v_add_f64 v[10:11], v[6:7], v[8:9]
	v_add_f64 v[14:15], v[10:11], v[12:13]
	ds_read_b128 v[10:13], v1 offset:1296
	s_waitcnt lgkmcnt(1)
	v_mul_f64 v[16:17], v[122:123], v[138:139]
	v_fmac_f64_e32 v[16:17], v[124:125], v[142:143]
	v_add_f64 v[18:19], v[14:15], v[16:17]
	ds_read_b128 v[14:17], v1 offset:1312
	s_waitcnt lgkmcnt(1)
	v_mul_f64 v[20:21], v[10:11], v[22:23]
	v_fmac_f64_e32 v[20:21], v[12:13], v[24:25]
	v_add_f64 v[22:23], v[18:19], v[20:21]
	ds_read_b128 v[18:21], v1 offset:1328
	s_waitcnt vmcnt(42) lgkmcnt(1)
	v_mul_f64 v[24:25], v[14:15], v[146:147]
	s_waitcnt vmcnt(40)
	v_fmac_f64_e32 v[24:25], v[16:17], v[150:151]
	v_add_f64 v[26:27], v[22:23], v[24:25]
	ds_read_b128 v[22:25], v1 offset:1344
	s_waitcnt lgkmcnt(1)
	v_mul_f64 v[28:29], v[18:19], v[224:225]
	v_fmac_f64_e32 v[28:29], v[20:21], v[30:31]
	v_accvgpr_write_b32 a171, v31
	v_accvgpr_write_b32 a170, v30
	v_add_f64 v[30:31], v[26:27], v[28:29]
	ds_read_b128 v[26:29], v1 offset:1360
	s_waitcnt vmcnt(34) lgkmcnt(1)
	v_mul_f64 v[32:33], v[22:23], v[154:155]
	s_waitcnt vmcnt(32)
	v_fmac_f64_e32 v[32:33], v[24:25], v[158:159]
	v_add_f64 v[34:35], v[30:31], v[32:33]
	ds_read_b128 v[30:33], v1 offset:1376
	s_waitcnt lgkmcnt(1)
	v_mul_f64 v[36:37], v[26:27], v[130:131]
	v_fmac_f64_e32 v[36:37], v[28:29], v[132:133]
	v_add_f64 v[38:39], v[34:35], v[36:37]
	ds_read_b128 v[34:37], v1 offset:1392
	s_waitcnt vmcnt(26) lgkmcnt(1)
	v_mul_f64 v[40:41], v[30:31], v[162:163]
	s_waitcnt vmcnt(24)
	v_fmac_f64_e32 v[40:41], v[32:33], v[164:165]
	v_add_f64 v[42:43], v[38:39], v[40:41]
	ds_read_b128 v[38:41], v1 offset:1408
	s_waitcnt lgkmcnt(1)
	v_mul_f64 v[44:45], v[34:35], v[134:135]
	v_fmac_f64_e32 v[44:45], v[36:37], v[136:137]
	v_add_f64 v[46:47], v[42:43], v[44:45]
	ds_read_b128 v[42:45], v1 offset:1424
	buffer_load_dword v179, off, s[0:3], 0 offset:684
	buffer_load_dword v181, off, s[0:3], 0 offset:668
	;; [unrolled: 1-line block ×8, first 2 shown]
	s_waitcnt vmcnt(26) lgkmcnt(1)
	v_mul_f64 v[48:49], v[38:39], v[166:167]
	s_waitcnt vmcnt(24)
	v_fmac_f64_e32 v[48:49], v[40:41], v[168:169]
	v_add_f64 v[190:191], v[46:47], v[48:49]
	ds_read_b128 v[46:49], v1 offset:1440
	buffer_load_dword v187, off, s[0:3], 0 offset:700
	buffer_load_dword v186, off, s[0:3], 0 offset:696
	;; [unrolled: 1-line block ×4, first 2 shown]
	s_waitcnt lgkmcnt(1)
	v_mul_f64 v[192:193], v[42:43], v[140:141]
	v_fmac_f64_e32 v[192:193], v[44:45], v[144:145]
	v_add_f64 v[2:3], v[190:191], v[192:193]
	buffer_load_dword v191, off, s[0:3], 0 offset:716
	buffer_load_dword v190, off, s[0:3], 0 offset:712
	buffer_load_dword v195, off, s[0:3], 0 offset:708
	buffer_load_dword v194, off, s[0:3], 0 offset:704
	buffer_load_dword v193, off, s[0:3], 0 offset:732
	buffer_load_dword v192, off, s[0:3], 0 offset:728
	buffer_load_dword v197, off, s[0:3], 0 offset:724
	buffer_load_dword v196, off, s[0:3], 0 offset:720
	v_mul_f64 v[4:5], v[104:105], v[56:57]
	buffer_load_dword v56, off, s[0:3], 0 offset:744
	buffer_load_dword v200, off, s[0:3], 0 offset:736
	;; [unrolled: 1-line block ×4, first 2 shown]
	v_fma_f64 v[6:7], v[102:103], v[50:51], -v[4:5]
	v_mul_f64 v[50:51], v[108:109], v[58:59]
	v_fma_f64 v[102:103], v[106:107], v[52:53], -v[50:51]
	v_mul_f64 v[50:51], v[112:113], v[202:203]
	v_fma_f64 v[104:105], v[110:111], v[82:83], -v[50:51]
	buffer_load_dword v203, off, s[0:3], 0 offset:764
	buffer_load_dword v202, off, s[0:3], 0 offset:760
	;; [unrolled: 1-line block ×4, first 2 shown]
	v_mul_f64 v[50:51], v[116:117], v[64:65]
	v_fma_f64 v[64:65], v[114:115], v[80:81], -v[50:51]
	v_mul_f64 v[50:51], v[208:209], v[62:63]
	buffer_load_dword v209, off, s[0:3], 0 offset:780
	buffer_load_dword v208, off, s[0:3], 0 offset:776
	buffer_load_dword v211, off, s[0:3], 0 offset:772
	buffer_load_dword v210, off, s[0:3], 0 offset:768
	v_fma_f64 v[62:63], v[206:207], v[60:61], -v[50:51]
	buffer_load_dword v207, off, s[0:3], 0 offset:812
	buffer_load_dword v213, off, s[0:3], 0 offset:796
	;; [unrolled: 1-line block ×12, first 2 shown]
	ds_read_b128 v[50:53], v1 offset:1456
	v_mul_f64 v[60:61], v[218:219], v[76:77]
	v_fma_f64 v[4:5], v[216:217], v[78:79], -v[60:61]
	ds_read_b128 v[216:219], v1 offset:1472
	s_waitcnt vmcnt(54) lgkmcnt(2)
	v_mul_f64 v[58:59], v[46:47], v[170:171]
	s_waitcnt vmcnt(52)
	v_fmac_f64_e32 v[58:59], v[48:49], v[172:173]
	s_waitcnt lgkmcnt(1)
	v_mul_f64 v[8:9], v[50:51], v[148:149]
	v_add_f64 v[2:3], v[2:3], v[58:59]
	v_fmac_f64_e32 v[8:9], v[52:53], v[152:153]
	v_add_f64 v[2:3], v[2:3], v[8:9]
	s_waitcnt vmcnt(46) lgkmcnt(0)
	v_mul_f64 v[8:9], v[216:217], v[174:175]
	s_waitcnt vmcnt(44)
	v_fmac_f64_e32 v[8:9], v[218:219], v[176:177]
	ds_read_b128 v[58:61], v1 offset:1488
	v_add_f64 v[2:3], v[2:3], v[8:9]
	v_mul_f64 v[8:9], v[222:223], v[66:67]
	v_fma_f64 v[8:9], v[220:221], v[70:71], -v[8:9]
	ds_read_b128 v[220:223], v1 offset:1504
	v_mul_f64 v[66:67], v[234:235], v[68:69]
	v_fma_f64 v[232:233], v[232:233], v[72:73], -v[66:67]
	ds_read_b128 v[66:69], v1 offset:1520
	s_waitcnt lgkmcnt(2)
	v_mul_f64 v[70:71], v[58:59], v[156:157]
	v_fmac_f64_e32 v[70:71], v[60:61], v[160:161]
	v_add_f64 v[2:3], v[2:3], v[70:71]
	v_mul_f64 v[74:75], v[238:239], v[74:75]
	v_fma_f64 v[234:235], v[236:237], v[84:85], -v[74:75]
	ds_read_b128 v[74:77], v1 offset:1552
	v_mul_f64 v[78:79], v[242:243], v[90:91]
	v_fma_f64 v[240:241], v[240:241], v[92:93], -v[78:79]
	v_mul_f64 v[86:87], v[246:247], v[86:87]
	v_fma_f64 v[246:247], v[244:245], v[88:89], -v[86:87]
	;; [unrolled: 2-line block ×3, first 2 shown]
	v_add_f64 v[6:7], v[6:7], 0
	v_add_f64 v[6:7], v[6:7], v[102:103]
	;; [unrolled: 1-line block ×3, first 2 shown]
	ds_read_b128 v[78:81], v1 offset:1568
	v_add_f64 v[6:7], v[6:7], v[64:65]
	v_add_f64 v[6:7], v[6:7], v[62:63]
	;; [unrolled: 1-line block ×8, first 2 shown]
	v_accvgpr_read_b32 v6, a162
	v_accvgpr_read_b32 v7, a163
	ds_read_b128 v[86:89], v1 offset:1600
	v_accvgpr_read_b32 v8, a164
	v_mul_f64 v[6:7], v[128:129], v[6:7]
	v_accvgpr_read_b32 v9, a165
	s_waitcnt vmcnt(41) lgkmcnt(4)
	v_mul_f64 v[70:71], v[220:221], v[180:181]
	v_fma_f64 v[6:7], v[126:127], v[8:9], -v[6:7]
	s_waitcnt vmcnt(39)
	v_fmac_f64_e32 v[70:71], v[222:223], v[184:185]
	v_add_f64 v[2:3], v[2:3], v[70:71]
	s_waitcnt vmcnt(38) lgkmcnt(3)
	v_mul_f64 v[70:71], v[66:67], v[178:179]
	s_waitcnt vmcnt(36)
	v_fmac_f64_e32 v[70:71], v[68:69], v[182:183]
	v_add_f64 v[2:3], v[2:3], v[70:71]
	ds_read_b128 v[70:73], v1 offset:1536
	ds_read_b128 v[94:97], v1 offset:1632
	v_accvgpr_read_b32 v8, a168
	v_accvgpr_read_b32 v9, a169
	s_waitcnt vmcnt(34) lgkmcnt(1)
	v_mul_f64 v[82:83], v[70:71], v[186:187]
	s_waitcnt vmcnt(32)
	v_fmac_f64_e32 v[82:83], v[72:73], v[188:189]
	v_add_f64 v[2:3], v[2:3], v[82:83]
	s_waitcnt vmcnt(30)
	v_mul_f64 v[82:83], v[74:75], v[190:191]
	s_waitcnt vmcnt(28)
	v_fmac_f64_e32 v[82:83], v[76:77], v[194:195]
	v_add_f64 v[2:3], v[2:3], v[82:83]
	s_waitcnt vmcnt(26)
	v_mul_f64 v[82:83], v[78:79], v[192:193]
	s_waitcnt vmcnt(24)
	v_fmac_f64_e32 v[82:83], v[80:81], v[196:197]
	v_add_f64 v[2:3], v[2:3], v[82:83]
	ds_read_b128 v[82:85], v1 offset:1584
	s_waitcnt vmcnt(21) lgkmcnt(0)
	v_mul_f64 v[90:91], v[82:83], v[56:57]
	s_waitcnt vmcnt(20)
	v_fmac_f64_e32 v[90:91], v[84:85], v[200:201]
	v_add_f64 v[106:107], v[2:3], v[90:91]
	v_mul_f64 v[90:91], v[250:251], v[98:99]
	v_fma_f64 v[248:249], v[248:249], v[100:101], -v[90:91]
	ds_read_b128 v[90:93], v1 offset:1616
	s_waitcnt vmcnt(18)
	v_mul_f64 v[98:99], v[86:87], v[202:203]
	s_waitcnt vmcnt(16)
	v_fmac_f64_e32 v[98:99], v[88:89], v[204:205]
	v_add_f64 v[98:99], v[106:107], v[98:99]
	v_fma_f64 v[250:251], v[118:119], v[198:199], -v[54:55]
	s_waitcnt vmcnt(14) lgkmcnt(0)
	v_mul_f64 v[100:101], v[90:91], v[208:209]
	s_waitcnt vmcnt(12)
	v_fmac_f64_e32 v[100:101], v[92:93], v[210:211]
	v_add_f64 v[106:107], v[98:99], v[100:101]
	ds_read_b128 v[98:101], v1 offset:1648
	ds_read_b128 v[118:121], v1 offset:1664
	s_waitcnt vmcnt(9)
	v_mul_f64 v[54:55], v[94:95], v[212:213]
	s_waitcnt vmcnt(7)
	v_fmac_f64_e32 v[54:55], v[96:97], v[228:229]
	v_add_f64 v[54:55], v[106:107], v[54:55]
	s_waitcnt vmcnt(6) lgkmcnt(1)
	v_mul_f64 v[106:107], v[98:99], v[206:207]
	s_waitcnt vmcnt(4)
	v_fmac_f64_e32 v[106:107], v[100:101], v[226:227]
	v_add_f64 v[54:55], v[54:55], v[106:107]
	s_waitcnt vmcnt(2) lgkmcnt(0)
	v_mul_f64 v[106:107], v[118:119], v[214:215]
	buffer_load_dword v2, off, s[0:3], 0 offset:840
	s_waitcnt vmcnt(1)
	v_fmac_f64_e32 v[106:107], v[120:121], v[230:231]
	v_add_f64 v[110:111], v[54:55], v[106:107]
	buffer_load_dword v54, off, s[0:3], 0 offset:832
	buffer_load_dword v3, off, s[0:3], 0 offset:844
	;; [unrolled: 1-line block ×3, first 2 shown]
	ds_read_b128 v[106:109], v1 offset:1680
	buffer_load_dword v237, off, s[0:3], 0 offset:860
	buffer_load_dword v236, off, s[0:3], 0 offset:856
	;; [unrolled: 1-line block ×4, first 2 shown]
	v_add_f64 v[4:5], v[4:5], v[248:249]
	v_add_f64 v[252:253], v[4:5], v[252:253]
	;; [unrolled: 1-line block ×4, first 2 shown]
	v_mul_f64 v[6:7], v[124:125], v[138:139]
	v_fma_f64 v[6:7], v[122:123], v[142:143], -v[6:7]
	v_add_f64 v[4:5], v[4:5], v[6:7]
	v_accvgpr_read_b32 v6, a166
	v_accvgpr_read_b32 v7, a167
	v_mul_f64 v[6:7], v[12:13], v[6:7]
	v_fma_f64 v[6:7], v[10:11], v[8:9], -v[6:7]
	v_add_f64 v[4:5], v[4:5], v[6:7]
	v_mul_f64 v[6:7], v[16:17], v[146:147]
	v_fma_f64 v[6:7], v[14:15], v[150:151], -v[6:7]
	v_accvgpr_read_b32 v8, a170
	v_add_f64 v[4:5], v[4:5], v[6:7]
	v_mul_f64 v[6:7], v[20:21], v[224:225]
	v_accvgpr_read_b32 v9, a171
	v_fma_f64 v[6:7], v[18:19], v[8:9], -v[6:7]
	v_add_f64 v[4:5], v[4:5], v[6:7]
	v_mul_f64 v[6:7], v[24:25], v[154:155]
	v_fma_f64 v[6:7], v[22:23], v[158:159], -v[6:7]
	v_add_f64 v[4:5], v[4:5], v[6:7]
	v_mul_f64 v[6:7], v[28:29], v[130:131]
	;; [unrolled: 3-line block ×19, first 2 shown]
	v_fma_f64 v[6:7], v[94:95], v[228:229], -v[6:7]
	s_waitcnt vmcnt(5) lgkmcnt(0)
	v_mul_f64 v[112:113], v[106:107], v[2:3]
	s_waitcnt vmcnt(4)
	v_fmac_f64_e32 v[112:113], v[108:109], v[54:55]
	v_add_f64 v[114:115], v[110:111], v[112:113]
	ds_read_b128 v[110:113], v1 offset:1696
	buffer_load_dword v242, off, s[0:3], 0 offset:872
	buffer_load_dword v243, off, s[0:3], 0 offset:876
	;; [unrolled: 1-line block ×4, first 2 shown]
	v_add_f64 v[4:5], v[4:5], v[6:7]
	v_mul_f64 v[6:7], v[100:101], v[206:207]
	v_fma_f64 v[6:7], v[98:99], v[226:227], -v[6:7]
	s_waitcnt vmcnt(6) lgkmcnt(0)
	v_mul_f64 v[116:117], v[110:111], v[236:237]
	s_waitcnt vmcnt(4)
	v_fmac_f64_e32 v[116:117], v[112:113], v[238:239]
	v_add_f64 v[198:199], v[114:115], v[116:117]
	ds_read_b128 v[114:117], v1 offset:1712
	buffer_load_dword v248, off, s[0:3], 0 offset:176
	buffer_load_dword v249, off, s[0:3], 0 offset:180
	buffer_load_dword v246, off, s[0:3], 0 offset:184
	buffer_load_dword v247, off, s[0:3], 0 offset:188
	v_add_f64 v[4:5], v[4:5], v[6:7]
	v_mul_f64 v[6:7], v[120:121], v[214:215]
	v_fma_f64 v[6:7], v[118:119], v[230:231], -v[6:7]
	v_mul_f64 v[2:3], v[108:109], v[2:3]
	v_add_f64 v[4:5], v[4:5], v[6:7]
	v_fma_f64 v[2:3], v[106:107], v[54:55], -v[2:3]
	v_add_f64 v[2:3], v[4:5], v[2:3]
	v_mul_f64 v[4:5], v[112:113], v[236:237]
	v_fma_f64 v[4:5], v[110:111], v[238:239], -v[4:5]
	v_add_f64 v[2:3], v[2:3], v[4:5]
	s_waitcnt vmcnt(6) lgkmcnt(0)
	v_mul_f64 v[4:5], v[116:117], v[242:243]
	v_mul_f64 v[254:255], v[114:115], v[242:243]
	s_waitcnt vmcnt(4)
	v_fma_f64 v[4:5], v[114:115], v[244:245], -v[4:5]
	v_fmac_f64_e32 v[254:255], v[116:117], v[244:245]
	v_add_f64 v[2:3], v[2:3], v[4:5]
	v_add_f64 v[198:199], v[198:199], v[254:255]
	s_waitcnt vmcnt(2)
	v_add_f64 v[2:3], v[248:249], -v[2:3]
	s_waitcnt vmcnt(0)
	v_add_f64 v[4:5], v[246:247], -v[198:199]
	buffer_store_dword v3, off, s[0:3], 0 offset:180
	buffer_store_dword v2, off, s[0:3], 0 offset:176
	;; [unrolled: 1-line block ×4, first 2 shown]
	s_and_saveexec_b64 s[4:5], vcc
	s_cbranch_execz .LBB53_319
; %bb.318:
	v_accvgpr_read_b32 v5, a152
	buffer_load_dword v2, v5, s[0:3], 0 offen
	buffer_load_dword v3, v5, s[0:3], 0 offen offset:4
	buffer_load_dword v4, v5, s[0:3], 0 offen offset:8
	s_nop 0
	buffer_load_dword v5, v5, s[0:3], 0 offen offset:12
	v_accvgpr_read_b32 v6, a161
	buffer_store_dword v1, off, s[0:3], 0 offset:160
	buffer_store_dword v1, off, s[0:3], 0 offset:164
	;; [unrolled: 1-line block ×4, first 2 shown]
	s_waitcnt vmcnt(4)
	ds_write_b128 v6, v[2:5]
.LBB53_319:
	s_or_b64 exec, exec, s[4:5]
	s_waitcnt lgkmcnt(0)
	; wave barrier
	s_waitcnt lgkmcnt(0)
	buffer_load_dword v184, off, s[0:3], 0 offset:176
	buffer_load_dword v185, off, s[0:3], 0 offset:180
	;; [unrolled: 1-line block ×36, first 2 shown]
	ds_read_b128 v[82:85], v1 offset:1024
	ds_read_b128 v[78:81], v1 offset:1040
	;; [unrolled: 1-line block ×9, first 2 shown]
	buffer_load_dword v235, off, s[0:3], 0 offset:348
	buffer_load_dword v234, off, s[0:3], 0 offset:344
	;; [unrolled: 1-line block ×19, first 2 shown]
	v_cmp_lt_u32_e32 vcc, 8, v0
	s_waitcnt vmcnt(51) lgkmcnt(8)
	v_mul_f64 v[2:3], v[82:83], v[192:193]
	v_fmac_f64_e32 v[2:3], v[84:85], v[184:185]
	v_add_f64 v[2:3], v[2:3], 0
	s_waitcnt vmcnt(47) lgkmcnt(7)
	v_mul_f64 v[4:5], v[78:79], v[196:197]
	v_fmac_f64_e32 v[4:5], v[80:81], v[194:195]
	v_add_f64 v[2:3], v[2:3], v[4:5]
	buffer_load_dword v244, off, s[0:3], 0 offset:400
	buffer_load_dword v99, off, s[0:3], 0 offset:396
	;; [unrolled: 1-line block ×7, first 2 shown]
	s_waitcnt vmcnt(52) lgkmcnt(6)
	v_mul_f64 v[6:7], v[74:75], v[200:201]
	s_waitcnt vmcnt(50) lgkmcnt(4)
	v_mul_f64 v[10:11], v[62:63], v[210:211]
	s_waitcnt vmcnt(48)
	v_fmac_f64_e32 v[10:11], v[64:65], v[212:213]
	v_mul_f64 v[80:81], v[80:81], v[196:197]
	s_waitcnt vmcnt(46)
	v_mul_f64 v[8:9], v[70:71], v[202:203]
	v_fma_f64 v[78:79], v[78:79], v[194:195], -v[80:81]
	s_waitcnt vmcnt(44) lgkmcnt(2)
	v_mul_f64 v[14:15], v[54:55], v[104:105]
	v_mul_f64 v[64:65], v[64:65], v[210:211]
	s_waitcnt vmcnt(42)
	v_fmac_f64_e32 v[14:15], v[56:57], v[108:109]
	v_fma_f64 v[210:211], v[62:63], v[212:213], -v[64:65]
	s_waitcnt vmcnt(40)
	v_mul_f64 v[12:13], v[50:51], v[112:113]
	s_waitcnt vmcnt(38) lgkmcnt(1)
	v_mul_f64 v[16:17], v[58:59], v[106:107]
	s_waitcnt vmcnt(36)
	v_fmac_f64_e32 v[6:7], v[76:77], v[198:199]
	v_add_f64 v[2:3], v[2:3], v[6:7]
	s_waitcnt vmcnt(34)
	v_fmac_f64_e32 v[8:9], v[72:73], v[116:117]
	v_add_f64 v[2:3], v[2:3], v[8:9]
	;; [unrolled: 3-line block ×3, first 2 shown]
	v_add_f64 v[2:3], v[2:3], v[12:13]
	s_waitcnt vmcnt(30)
	v_fmac_f64_e32 v[16:17], v[60:61], v[110:111]
	v_add_f64 v[2:3], v[2:3], v[14:15]
	v_add_f64 v[2:3], v[2:3], v[16:17]
	v_mul_f64 v[76:77], v[76:77], v[200:201]
	v_fma_f64 v[80:81], v[74:75], v[198:199], -v[76:77]
	v_mul_f64 v[72:73], v[72:73], v[202:203]
	v_mul_f64 v[52:53], v[52:53], v[112:113]
	;; [unrolled: 1-line block ×3, first 2 shown]
	v_fma_f64 v[116:117], v[70:71], v[116:117], -v[72:73]
	s_waitcnt vmcnt(0)
	v_pk_mov_b32 v[18:19], v[4:5], v[4:5] op_sel:[0,1]
	buffer_load_dword v5, off, s[0:3], 0 offset:436
	buffer_load_dword v4, off, s[0:3], 0 offset:432
	v_accvgpr_write_b32 a163, v19
	v_accvgpr_write_b32 a162, v18
	s_waitcnt vmcnt(0)
	v_pk_mov_b32 v[20:21], v[4:5], v[4:5] op_sel:[0,1]
	buffer_load_dword v135, off, s[0:3], 0 offset:428
	buffer_load_dword v134, off, s[0:3], 0 offset:424
	buffer_load_dword v139, off, s[0:3], 0 offset:420
	buffer_load_dword v138, off, s[0:3], 0 offset:416
	buffer_load_dword v5, off, s[0:3], 0 offset:476
	buffer_load_dword v4, off, s[0:3], 0 offset:472
	v_accvgpr_write_b32 a165, v21
	v_accvgpr_write_b32 a164, v20
	s_waitcnt vmcnt(0)
	v_pk_mov_b32 v[26:27], v[4:5], v[4:5] op_sel:[0,1]
	buffer_load_dword v5, off, s[0:3], 0 offset:468
	buffer_load_dword v4, off, s[0:3], 0 offset:464
	v_accvgpr_write_b32 a167, v27
	v_accvgpr_write_b32 a166, v26
	s_waitcnt vmcnt(0)
	v_pk_mov_b32 v[28:29], v[4:5], v[4:5] op_sel:[0,1]
	buffer_load_dword v143, off, s[0:3], 0 offset:460
	buffer_load_dword v142, off, s[0:3], 0 offset:456
	;; [unrolled: 1-line block ×6, first 2 shown]
	v_accvgpr_write_b32 a169, v29
	v_accvgpr_write_b32 a168, v28
	s_waitcnt vmcnt(0)
	v_pk_mov_b32 v[34:35], v[4:5], v[4:5] op_sel:[0,1]
	buffer_load_dword v5, off, s[0:3], 0 offset:500
	buffer_load_dword v4, off, s[0:3], 0 offset:496
	;; [unrolled: 1-line block ×38, first 2 shown]
	ds_read_b128 v[216:219], v1 offset:1168
	ds_read_b128 v[220:223], v1 offset:1184
	;; [unrolled: 1-line block ×9, first 2 shown]
	v_accvgpr_write_b32 a171, v35
	s_waitcnt lgkmcnt(3)
	v_mul_f64 v[8:9], v[94:95], v[242:243]
	v_fmac_f64_e32 v[8:9], v[96:97], v[244:245]
	s_waitcnt lgkmcnt(2)
	v_mul_f64 v[12:13], v[130:131], v[134:135]
	v_fmac_f64_e32 v[12:13], v[132:133], v[138:139]
	;; [unrolled: 3-line block ×3, first 2 shown]
	v_accvgpr_write_b32 a170, v34
	v_mul_f64 v[70:71], v[218:219], v[238:239]
	v_mul_f64 v[96:97], v[96:97], v[242:243]
	s_waitcnt vmcnt(36)
	v_pk_mov_b32 v[36:37], v[4:5], v[4:5] op_sel:[0,1]
	v_mul_f64 v[4:5], v[66:67], v[102:103]
	v_fmac_f64_e32 v[4:5], v[68:69], v[232:233]
	v_add_f64 v[2:3], v[2:3], v[4:5]
	v_mul_f64 v[4:5], v[216:217], v[238:239]
	v_fmac_f64_e32 v[4:5], v[218:219], v[240:241]
	v_add_f64 v[2:3], v[2:3], v[4:5]
	;; [unrolled: 3-line block ×6, first 2 shown]
	v_add_f64 v[10:11], v[6:7], v[8:9]
	v_add_f64 v[14:15], v[10:11], v[12:13]
	v_add_f64 v[18:19], v[14:15], v[16:17]
	ds_read_b128 v[14:17], v1 offset:1312
	s_waitcnt lgkmcnt(1)
	v_mul_f64 v[20:21], v[122:123], v[142:143]
	v_fmac_f64_e32 v[20:21], v[124:125], v[146:147]
	v_add_f64 v[22:23], v[18:19], v[20:21]
	ds_read_b128 v[18:21], v1 offset:1328
	s_waitcnt lgkmcnt(1)
	v_mul_f64 v[24:25], v[14:15], v[26:27]
	v_fmac_f64_e32 v[24:25], v[16:17], v[28:29]
	v_add_f64 v[26:27], v[22:23], v[24:25]
	ds_read_b128 v[22:25], v1 offset:1344
	s_waitcnt vmcnt(34) lgkmcnt(1)
	v_mul_f64 v[28:29], v[18:19], v[150:151]
	s_waitcnt vmcnt(32)
	v_fmac_f64_e32 v[28:29], v[20:21], v[154:155]
	v_add_f64 v[30:31], v[26:27], v[28:29]
	ds_read_b128 v[26:29], v1 offset:1360
	s_waitcnt lgkmcnt(1)
	v_mul_f64 v[32:33], v[22:23], v[34:35]
	v_fmac_f64_e32 v[32:33], v[24:25], v[36:37]
	v_accvgpr_write_b32 a173, v37
	v_accvgpr_write_b32 a172, v36
	v_add_f64 v[34:35], v[30:31], v[32:33]
	ds_read_b128 v[30:33], v1 offset:1376
	s_waitcnt vmcnt(26) lgkmcnt(1)
	v_mul_f64 v[36:37], v[26:27], v[158:159]
	s_waitcnt vmcnt(24)
	v_fmac_f64_e32 v[36:37], v[28:29], v[160:161]
	v_add_f64 v[38:39], v[34:35], v[36:37]
	ds_read_b128 v[34:37], v1 offset:1392
	s_waitcnt lgkmcnt(1)
	v_mul_f64 v[40:41], v[30:31], v[224:225]
	v_fmac_f64_e32 v[40:41], v[32:33], v[254:255]
	v_add_f64 v[42:43], v[38:39], v[40:41]
	ds_read_b128 v[38:41], v1 offset:1408
	s_waitcnt vmcnt(18) lgkmcnt(1)
	v_mul_f64 v[44:45], v[34:35], v[162:163]
	s_waitcnt vmcnt(16)
	v_fmac_f64_e32 v[44:45], v[36:37], v[164:165]
	v_add_f64 v[46:47], v[42:43], v[44:45]
	ds_read_b128 v[42:45], v1 offset:1424
	buffer_load_dword v175, off, s[0:3], 0 offset:652
	buffer_load_dword v174, off, s[0:3], 0 offset:648
	;; [unrolled: 1-line block ×4, first 2 shown]
	s_waitcnt lgkmcnt(1)
	v_mul_f64 v[48:49], v[38:39], v[136:137]
	v_fmac_f64_e32 v[48:49], v[40:41], v[140:141]
	v_add_f64 v[178:179], v[46:47], v[48:49]
	ds_read_b128 v[46:49], v1 offset:1440
	buffer_load_dword v181, off, s[0:3], 0 offset:668
	buffer_load_dword v180, off, s[0:3], 0 offset:664
	buffer_load_dword v183, off, s[0:3], 0 offset:660
	buffer_load_dword v182, off, s[0:3], 0 offset:656
	s_waitcnt vmcnt(18) lgkmcnt(1)
	v_mul_f64 v[186:187], v[42:43], v[166:167]
	s_waitcnt vmcnt(16)
	v_fmac_f64_e32 v[186:187], v[44:45], v[168:169]
	v_add_f64 v[2:3], v[178:179], v[186:187]
	buffer_load_dword v179, off, s[0:3], 0 offset:700
	buffer_load_dword v187, off, s[0:3], 0 offset:684
	;; [unrolled: 1-line block ×8, first 2 shown]
	v_mul_f64 v[4:5], v[84:85], v[192:193]
	v_fma_f64 v[10:11], v[82:83], v[184:185], -v[4:5]
	buffer_load_dword v184, off, s[0:3], 0 offset:728
	buffer_load_dword v193, off, s[0:3], 0 offset:716
	;; [unrolled: 1-line block ×20, first 2 shown]
	s_waitcnt lgkmcnt(0)
	v_mul_f64 v[8:9], v[46:47], v[144:145]
	v_fmac_f64_e32 v[8:9], v[48:49], v[148:149]
	v_fma_f64 v[6:7], v[50:51], v[114:115], -v[52:53]
	buffer_load_dword v213, off, s[0:3], 0 offset:796
	buffer_load_dword v212, off, s[0:3], 0 offset:792
	;; [unrolled: 1-line block ×12, first 2 shown]
	v_add_f64 v[2:3], v[2:3], v[8:9]
	ds_read_b128 v[50:53], v1 offset:1456
	v_mul_f64 v[8:9], v[56:57], v[104:105]
	v_fma_f64 v[8:9], v[54:55], v[108:109], -v[8:9]
	ds_read_b128 v[54:57], v1 offset:1472
	v_fma_f64 v[4:5], v[58:59], v[110:111], -v[60:61]
	ds_read_b128 v[58:61], v1 offset:1488
	s_waitcnt vmcnt(50) lgkmcnt(2)
	v_mul_f64 v[62:63], v[50:51], v[170:171]
	s_waitcnt vmcnt(48)
	v_fmac_f64_e32 v[62:63], v[52:53], v[172:173]
	s_waitcnt lgkmcnt(1)
	v_mul_f64 v[12:13], v[54:55], v[152:153]
	v_add_f64 v[2:3], v[2:3], v[62:63]
	ds_read_b128 v[62:65], v1 offset:1504
	v_fmac_f64_e32 v[12:13], v[56:57], v[156:157]
	v_add_f64 v[2:3], v[2:3], v[12:13]
	v_fma_f64 v[240:241], v[216:217], v[240:241], -v[70:71]
	v_mul_f64 v[82:83], v[222:223], v[234:235]
	v_mul_f64 v[88:89], v[88:89], v[246:247]
	v_fma_f64 v[246:247], v[86:87], v[248:249], -v[88:89]
	ds_read_b128 v[86:89], v1 offset:1616
	v_mul_f64 v[92:93], v[92:93], v[98:99]
	v_add_f64 v[10:11], v[10:11], 0
	v_add_f64 v[10:11], v[10:11], v[78:79]
	;; [unrolled: 1-line block ×8, first 2 shown]
	v_mul_f64 v[6:7], v[132:133], v[134:135]
	v_fma_f64 v[6:7], v[130:131], v[138:139], -v[6:7]
	v_accvgpr_read_b32 v8, a164
	v_accvgpr_read_b32 v9, a165
	ds_read_b128 v[70:73], v1 offset:1536
	ds_read_b128 v[216:219], v1 offset:1600
	s_waitcnt vmcnt(46) lgkmcnt(4)
	v_mul_f64 v[12:13], v[58:59], v[174:175]
	s_waitcnt vmcnt(44)
	v_fmac_f64_e32 v[12:13], v[60:61], v[176:177]
	v_add_f64 v[2:3], v[2:3], v[12:13]
	v_mul_f64 v[12:13], v[68:69], v[102:103]
	v_fma_f64 v[12:13], v[66:67], v[232:233], -v[12:13]
	ds_read_b128 v[66:69], v1 offset:1520
	s_waitcnt vmcnt(42) lgkmcnt(4)
	v_mul_f64 v[74:75], v[62:63], v[180:181]
	s_waitcnt vmcnt(40)
	v_fmac_f64_e32 v[74:75], v[64:65], v[182:183]
	v_add_f64 v[2:3], v[2:3], v[74:75]
	v_fma_f64 v[232:233], v[220:221], v[236:237], -v[82:83]
	s_waitcnt vmcnt(37) lgkmcnt(0)
	v_mul_f64 v[74:75], v[66:67], v[186:187]
	s_waitcnt vmcnt(35)
	v_fmac_f64_e32 v[74:75], v[68:69], v[190:191]
	v_add_f64 v[2:3], v[2:3], v[74:75]
	s_waitcnt vmcnt(34)
	v_mul_f64 v[74:75], v[70:71], v[178:179]
	s_waitcnt vmcnt(32)
	v_fmac_f64_e32 v[74:75], v[72:73], v[188:189]
	v_add_f64 v[2:3], v[2:3], v[74:75]
	ds_read_b128 v[74:77], v1 offset:1552
	ds_read_b128 v[220:223], v1 offset:1568
	v_add_f64 v[4:5], v[4:5], v[12:13]
	v_add_f64 v[4:5], v[4:5], v[240:241]
	v_add_f64 v[4:5], v[4:5], v[232:233]
	s_waitcnt vmcnt(29) lgkmcnt(1)
	v_mul_f64 v[82:83], v[74:75], v[192:193]
	s_waitcnt vmcnt(27)
	v_fmac_f64_e32 v[82:83], v[76:77], v[196:197]
	v_add_f64 v[2:3], v[2:3], v[82:83]
	v_mul_f64 v[82:83], v[120:121], v[250:251]
	v_fma_f64 v[118:119], v[118:119], v[252:253], -v[82:83]
	ds_read_b128 v[82:85], v1 offset:1584
	s_waitcnt vmcnt(25) lgkmcnt(1)
	v_mul_f64 v[102:103], v[220:221], v[184:185]
	s_waitcnt vmcnt(24)
	v_fmac_f64_e32 v[102:103], v[222:223], v[194:195]
	v_add_f64 v[2:3], v[2:3], v[102:103]
	v_fma_f64 v[250:251], v[90:91], v[100:101], -v[92:93]
	s_waitcnt vmcnt(21) lgkmcnt(0)
	v_mul_f64 v[102:103], v[82:83], v[200:201]
	s_waitcnt vmcnt(19)
	v_fmac_f64_e32 v[102:103], v[84:85], v[206:207]
	v_add_f64 v[2:3], v[2:3], v[102:103]
	s_waitcnt vmcnt(18)
	v_mul_f64 v[102:103], v[216:217], v[198:199]
	s_waitcnt vmcnt(16)
	v_fmac_f64_e32 v[102:103], v[218:219], v[204:205]
	v_add_f64 v[2:3], v[2:3], v[102:103]
	ds_read_b128 v[98:101], v1 offset:1632
	s_waitcnt vmcnt(14)
	v_mul_f64 v[102:103], v[86:87], v[202:203]
	s_waitcnt vmcnt(12)
	v_fmac_f64_e32 v[102:103], v[88:89], v[208:209]
	v_add_f64 v[2:3], v[2:3], v[102:103]
	ds_read_b128 v[90:93], v1 offset:1648
	ds_read_b128 v[102:105], v1 offset:1664
	buffer_load_dword v121, off, s[0:3], 0 offset:844
	buffer_load_dword v120, off, s[0:3], 0 offset:840
	;; [unrolled: 1-line block ×4, first 2 shown]
	ds_read_b128 v[106:109], v1 offset:1680
	buffer_load_dword v236, off, s[0:3], 0 offset:856
	buffer_load_dword v237, off, s[0:3], 0 offset:860
	buffer_load_dword v238, off, s[0:3], 0 offset:848
	buffer_load_dword v239, off, s[0:3], 0 offset:852
	v_fma_f64 v[252:253], v[94:95], v[244:245], -v[96:97]
	ds_read_b128 v[110:113], v1 offset:1696
	buffer_load_dword v243, off, s[0:3], 0 offset:876
	buffer_load_dword v242, off, s[0:3], 0 offset:872
	;; [unrolled: 1-line block ×4, first 2 shown]
	s_waitcnt vmcnt(22) lgkmcnt(4)
	v_mul_f64 v[94:95], v[98:99], v[212:213]
	s_waitcnt vmcnt(20)
	v_fmac_f64_e32 v[94:95], v[100:101], v[214:215]
	v_add_f64 v[2:3], v[2:3], v[94:95]
	s_waitcnt vmcnt(17) lgkmcnt(3)
	v_mul_f64 v[94:95], v[90:91], v[228:229]
	s_waitcnt vmcnt(15)
	v_fmac_f64_e32 v[94:95], v[92:93], v[230:231]
	v_add_f64 v[2:3], v[2:3], v[94:95]
	;; [unrolled: 5-line block ×3, first 2 shown]
	v_add_f64 v[4:5], v[4:5], v[118:119]
	v_add_f64 v[118:119], v[4:5], v[246:247]
	;; [unrolled: 1-line block ×5, first 2 shown]
	v_accvgpr_read_b32 v6, a162
	v_accvgpr_read_b32 v7, a163
	v_mul_f64 v[6:7], v[128:129], v[6:7]
	v_fma_f64 v[6:7], v[126:127], v[8:9], -v[6:7]
	v_add_f64 v[4:5], v[4:5], v[6:7]
	v_mul_f64 v[6:7], v[124:125], v[142:143]
	v_fma_f64 v[6:7], v[122:123], v[146:147], -v[6:7]
	v_add_f64 v[4:5], v[4:5], v[6:7]
	v_accvgpr_read_b32 v6, a166
	v_accvgpr_read_b32 v7, a167
	;; [unrolled: 1-line block ×3, first 2 shown]
	v_mul_f64 v[6:7], v[16:17], v[6:7]
	v_accvgpr_read_b32 v9, a169
	v_fma_f64 v[6:7], v[14:15], v[8:9], -v[6:7]
	v_add_f64 v[4:5], v[4:5], v[6:7]
	v_mul_f64 v[6:7], v[20:21], v[150:151]
	v_fma_f64 v[6:7], v[18:19], v[154:155], -v[6:7]
	v_add_f64 v[4:5], v[4:5], v[6:7]
	v_accvgpr_read_b32 v6, a170
	v_accvgpr_read_b32 v7, a171
	;; [unrolled: 1-line block ×3, first 2 shown]
	v_mul_f64 v[6:7], v[24:25], v[6:7]
	v_accvgpr_read_b32 v9, a173
	v_fma_f64 v[6:7], v[22:23], v[8:9], -v[6:7]
	v_add_f64 v[4:5], v[4:5], v[6:7]
	v_mul_f64 v[6:7], v[28:29], v[158:159]
	v_fma_f64 v[6:7], v[26:27], v[160:161], -v[6:7]
	v_add_f64 v[4:5], v[4:5], v[6:7]
	v_mul_f64 v[6:7], v[32:33], v[224:225]
	;; [unrolled: 3-line block ×11, first 2 shown]
	v_fma_f64 v[6:7], v[66:67], v[190:191], -v[6:7]
	v_add_f64 v[4:5], v[4:5], v[6:7]
	s_waitcnt vmcnt(10) lgkmcnt(1)
	v_mul_f64 v[94:95], v[106:107], v[120:121]
	v_mul_f64 v[6:7], v[72:73], v[178:179]
	s_waitcnt vmcnt(8)
	v_fmac_f64_e32 v[94:95], v[108:109], v[234:235]
	v_add_f64 v[2:3], v[2:3], v[94:95]
	s_waitcnt vmcnt(6) lgkmcnt(0)
	v_mul_f64 v[94:95], v[110:111], v[236:237]
	s_waitcnt vmcnt(4)
	v_fmac_f64_e32 v[94:95], v[112:113], v[238:239]
	v_add_f64 v[2:3], v[2:3], v[94:95]
	ds_read_b128 v[94:97], v1 offset:1712
	v_fma_f64 v[6:7], v[70:71], v[188:189], -v[6:7]
	v_add_f64 v[4:5], v[4:5], v[6:7]
	v_mul_f64 v[6:7], v[76:77], v[192:193]
	v_fma_f64 v[6:7], v[74:75], v[196:197], -v[6:7]
	s_waitcnt vmcnt(2) lgkmcnt(0)
	v_mul_f64 v[248:249], v[94:95], v[242:243]
	s_waitcnt vmcnt(0)
	v_fmac_f64_e32 v[248:249], v[96:97], v[244:245]
	v_add_f64 v[2:3], v[2:3], v[248:249]
	buffer_load_dword v248, off, s[0:3], 0 offset:160
	buffer_load_dword v249, off, s[0:3], 0 offset:164
	buffer_load_dword v246, off, s[0:3], 0 offset:168
	buffer_load_dword v247, off, s[0:3], 0 offset:172
	v_add_f64 v[4:5], v[4:5], v[6:7]
	v_mul_f64 v[6:7], v[222:223], v[184:185]
	v_fma_f64 v[6:7], v[220:221], v[194:195], -v[6:7]
	v_add_f64 v[4:5], v[4:5], v[6:7]
	v_mul_f64 v[6:7], v[84:85], v[200:201]
	v_fma_f64 v[6:7], v[82:83], v[206:207], -v[6:7]
	;; [unrolled: 3-line block ×10, first 2 shown]
	v_add_f64 v[4:5], v[4:5], v[6:7]
	s_waitcnt vmcnt(2)
	v_add_f64 v[4:5], v[248:249], -v[4:5]
	s_waitcnt vmcnt(0)
	v_add_f64 v[2:3], v[246:247], -v[2:3]
	buffer_store_dword v5, off, s[0:3], 0 offset:164
	buffer_store_dword v4, off, s[0:3], 0 offset:160
	;; [unrolled: 1-line block ×4, first 2 shown]
	s_and_saveexec_b64 s[4:5], vcc
	s_cbranch_execz .LBB53_321
; %bb.320:
	v_accvgpr_read_b32 v1, a153
	buffer_load_dword v2, v1, s[0:3], 0 offen
	buffer_load_dword v3, v1, s[0:3], 0 offen offset:4
	buffer_load_dword v4, v1, s[0:3], 0 offen offset:8
	;; [unrolled: 1-line block ×3, first 2 shown]
	v_mov_b32_e32 v1, 0
	v_accvgpr_read_b32 v6, a161
	buffer_store_dword v1, off, s[0:3], 0 offset:144
	buffer_store_dword v1, off, s[0:3], 0 offset:148
	;; [unrolled: 1-line block ×4, first 2 shown]
	s_waitcnt vmcnt(4)
	ds_write_b128 v6, v[2:5]
.LBB53_321:
	s_or_b64 exec, exec, s[4:5]
	s_waitcnt lgkmcnt(0)
	; wave barrier
	s_waitcnt lgkmcnt(0)
	buffer_load_dword v56, off, s[0:3], 0 offset:160
	buffer_load_dword v57, off, s[0:3], 0 offset:164
	buffer_load_dword v58, off, s[0:3], 0 offset:168
	buffer_load_dword v59, off, s[0:3], 0 offset:172
	buffer_load_dword v52, off, s[0:3], 0 offset:176
	buffer_load_dword v53, off, s[0:3], 0 offset:180
	buffer_load_dword v54, off, s[0:3], 0 offset:184
	buffer_load_dword v55, off, s[0:3], 0 offset:188
	buffer_load_dword v50, off, s[0:3], 0 offset:200
	buffer_load_dword v51, off, s[0:3], 0 offset:204
	buffer_load_dword v61, off, s[0:3], 0 offset:236
	buffer_load_dword v60, off, s[0:3], 0 offset:232
	buffer_load_dword v63, off, s[0:3], 0 offset:228
	buffer_load_dword v62, off, s[0:3], 0 offset:224
	buffer_load_dword v65, off, s[0:3], 0 offset:220
	buffer_load_dword v64, off, s[0:3], 0 offset:216
	buffer_load_dword v75, off, s[0:3], 0 offset:268
	buffer_load_dword v74, off, s[0:3], 0 offset:264
	buffer_load_dword v73, off, s[0:3], 0 offset:260
	buffer_load_dword v72, off, s[0:3], 0 offset:256
	buffer_load_dword v77, off, s[0:3], 0 offset:252
	buffer_load_dword v76, off, s[0:3], 0 offset:248
	buffer_load_dword v69, off, s[0:3], 0 offset:284
	buffer_load_dword v68, off, s[0:3], 0 offset:280
	buffer_load_dword v82, off, s[0:3], 0 offset:192
	buffer_load_dword v83, off, s[0:3], 0 offset:196
	buffer_load_dword v81, off, s[0:3], 0 offset:212
	buffer_load_dword v80, off, s[0:3], 0 offset:208
	buffer_load_dword v79, off, s[0:3], 0 offset:244
	buffer_load_dword v78, off, s[0:3], 0 offset:240
	buffer_load_dword v71, off, s[0:3], 0 offset:276
	buffer_load_dword v70, off, s[0:3], 0 offset:272
	buffer_load_dword v66, off, s[0:3], 0 offset:296
	buffer_load_dword v84, off, s[0:3], 0 offset:288
	buffer_load_dword v85, off, s[0:3], 0 offset:292
	buffer_load_dword v67, off, s[0:3], 0 offset:300
	v_mov_b32_e32 v1, 0
	buffer_load_dword v87, off, s[0:3], 0 offset:332
	buffer_load_dword v86, off, s[0:3], 0 offset:328
	;; [unrolled: 1-line block ×18, first 2 shown]
	ds_read_b128 v[110:113], v1 offset:1008
	ds_read_b128 v[114:117], v1 offset:1024
	;; [unrolled: 1-line block ×9, first 2 shown]
	v_cmp_lt_u32_e32 vcc, 7, v0
	s_waitcnt vmcnt(50) lgkmcnt(8)
	v_mul_f64 v[2:3], v[110:111], v[58:59]
	v_fmac_f64_e32 v[2:3], v[112:113], v[56:57]
	v_add_f64 v[2:3], v[2:3], 0
	s_waitcnt vmcnt(46) lgkmcnt(7)
	v_mul_f64 v[4:5], v[114:115], v[54:55]
	v_fmac_f64_e32 v[4:5], v[116:117], v[52:53]
	v_add_f64 v[2:3], v[2:3], v[4:5]
	buffer_load_dword v105, off, s[0:3], 0 offset:388
	buffer_load_dword v104, off, s[0:3], 0 offset:384
	;; [unrolled: 1-line block ×8, first 2 shown]
	s_waitcnt vmcnt(52) lgkmcnt(6)
	v_mul_f64 v[6:7], v[194:195], v[50:51]
	s_waitcnt vmcnt(50) lgkmcnt(4)
	v_mul_f64 v[10:11], v[202:203], v[60:61]
	s_waitcnt vmcnt(48)
	v_fmac_f64_e32 v[10:11], v[204:205], v[62:63]
	v_mul_f64 v[50:51], v[196:197], v[50:51]
	s_waitcnt vmcnt(46)
	v_mul_f64 v[8:9], v[198:199], v[64:65]
	v_mul_f64 v[54:55], v[116:117], v[54:55]
	s_waitcnt vmcnt(44) lgkmcnt(2)
	v_mul_f64 v[14:15], v[212:213], v[74:75]
	s_waitcnt vmcnt(42)
	v_fmac_f64_e32 v[14:15], v[214:215], v[72:73]
	s_waitcnt vmcnt(40)
	v_mul_f64 v[12:13], v[206:207], v[76:77]
	s_waitcnt vmcnt(38) lgkmcnt(1)
	v_mul_f64 v[16:17], v[216:217], v[68:69]
	s_waitcnt vmcnt(36)
	v_fmac_f64_e32 v[6:7], v[196:197], v[82:83]
	v_add_f64 v[2:3], v[2:3], v[6:7]
	s_waitcnt vmcnt(34)
	v_fmac_f64_e32 v[8:9], v[200:201], v[80:81]
	v_add_f64 v[2:3], v[2:3], v[8:9]
	;; [unrolled: 3-line block ×3, first 2 shown]
	v_add_f64 v[2:3], v[2:3], v[12:13]
	v_add_f64 v[2:3], v[2:3], v[14:15]
	s_waitcnt vmcnt(30)
	v_fmac_f64_e32 v[16:17], v[218:219], v[70:71]
	v_add_f64 v[2:3], v[2:3], v[16:17]
	v_fma_f64 v[210:211], v[194:195], v[82:83], -v[50:51]
	v_mul_f64 v[50:51], v[200:201], v[64:65]
	s_waitcnt vmcnt(0)
	v_pk_mov_b32 v[14:15], v[4:5], v[4:5] op_sel:[0,1]
	buffer_load_dword v5, off, s[0:3], 0 offset:420
	buffer_load_dword v4, off, s[0:3], 0 offset:416
	v_accvgpr_write_b32 a163, v15
	v_accvgpr_write_b32 a162, v14
	s_waitcnt vmcnt(0)
	v_pk_mov_b32 v[18:19], v[4:5], v[4:5] op_sel:[0,1]
	buffer_load_dword v107, off, s[0:3], 0 offset:412
	buffer_load_dword v106, off, s[0:3], 0 offset:408
	;; [unrolled: 1-line block ×6, first 2 shown]
	v_accvgpr_write_b32 a165, v19
	v_accvgpr_write_b32 a164, v18
	s_waitcnt vmcnt(0)
	v_pk_mov_b32 v[22:23], v[4:5], v[4:5] op_sel:[0,1]
	buffer_load_dword v5, off, s[0:3], 0 offset:452
	buffer_load_dword v4, off, s[0:3], 0 offset:448
	v_accvgpr_write_b32 a167, v23
	v_accvgpr_write_b32 a166, v22
	s_waitcnt vmcnt(0)
	v_pk_mov_b32 v[24:25], v[4:5], v[4:5] op_sel:[0,1]
	buffer_load_dword v139, off, s[0:3], 0 offset:444
	buffer_load_dword v138, off, s[0:3], 0 offset:440
	;; [unrolled: 1-line block ×6, first 2 shown]
	v_accvgpr_write_b32 a169, v25
	v_accvgpr_write_b32 a168, v24
	s_waitcnt vmcnt(0)
	v_pk_mov_b32 v[30:31], v[4:5], v[4:5] op_sel:[0,1]
	buffer_load_dword v5, off, s[0:3], 0 offset:484
	buffer_load_dword v4, off, s[0:3], 0 offset:480
	v_accvgpr_write_b32 a171, v31
	v_accvgpr_write_b32 a170, v30
	s_waitcnt vmcnt(0)
	v_pk_mov_b32 v[32:33], v[4:5], v[4:5] op_sel:[0,1]
	buffer_load_dword v147, off, s[0:3], 0 offset:476
	buffer_load_dword v146, off, s[0:3], 0 offset:472
	;; [unrolled: 1-line block ×36, first 2 shown]
	ds_read_b128 v[232:235], v1 offset:1152
	ds_read_b128 v[236:239], v1 offset:1168
	;; [unrolled: 1-line block ×10, first 2 shown]
	v_accvgpr_write_b32 a173, v33
	s_waitcnt lgkmcnt(3)
	v_mul_f64 v[8:9], v[118:119], v[106:107]
	v_fmac_f64_e32 v[8:9], v[120:121], v[108:109]
	s_waitcnt lgkmcnt(2)
	v_mul_f64 v[12:13], v[130:131], v[14:15]
	v_fmac_f64_e32 v[12:13], v[132:133], v[18:19]
	s_waitcnt lgkmcnt(1)
	v_mul_f64 v[16:17], v[126:127], v[138:139]
	v_fmac_f64_e32 v[16:17], v[128:129], v[142:143]
	s_waitcnt lgkmcnt(0)
	v_mul_f64 v[20:21], v[122:123], v[22:23]
	v_fmac_f64_e32 v[20:21], v[124:125], v[24:25]
	v_accvgpr_write_b32 a172, v32
	s_waitcnt vmcnt(28)
	v_pk_mov_b32 v[38:39], v[4:5], v[4:5] op_sel:[0,1]
	v_mul_f64 v[4:5], v[220:221], v[66:67]
	v_fmac_f64_e32 v[4:5], v[222:223], v[84:85]
	v_add_f64 v[2:3], v[2:3], v[4:5]
	v_mul_f64 v[4:5], v[232:233], v[90:91]
	v_fmac_f64_e32 v[4:5], v[234:235], v[92:93]
	v_add_f64 v[2:3], v[2:3], v[4:5]
	;; [unrolled: 3-line block ×7, first 2 shown]
	v_add_f64 v[10:11], v[6:7], v[8:9]
	v_add_f64 v[14:15], v[10:11], v[12:13]
	;; [unrolled: 1-line block ×3, first 2 shown]
	ds_read_b128 v[14:17], v1 offset:1312
	v_add_f64 v[22:23], v[18:19], v[20:21]
	ds_read_b128 v[18:21], v1 offset:1328
	v_accvgpr_write_b32 a175, v39
	v_accvgpr_write_b32 a174, v38
	s_waitcnt lgkmcnt(1)
	v_mul_f64 v[24:25], v[14:15], v[146:147]
	v_fmac_f64_e32 v[24:25], v[16:17], v[150:151]
	v_add_f64 v[26:27], v[22:23], v[24:25]
	ds_read_b128 v[22:25], v1 offset:1344
	s_waitcnt lgkmcnt(1)
	v_mul_f64 v[28:29], v[18:19], v[30:31]
	v_fmac_f64_e32 v[28:29], v[20:21], v[32:33]
	v_add_f64 v[30:31], v[26:27], v[28:29]
	ds_read_b128 v[26:29], v1 offset:1360
	s_waitcnt vmcnt(26) lgkmcnt(1)
	v_mul_f64 v[32:33], v[22:23], v[154:155]
	s_waitcnt vmcnt(24)
	v_fmac_f64_e32 v[32:33], v[24:25], v[156:157]
	v_add_f64 v[34:35], v[30:31], v[32:33]
	ds_read_b128 v[30:33], v1 offset:1376
	s_waitcnt lgkmcnt(1)
	v_mul_f64 v[36:37], v[26:27], v[224:225]
	v_fmac_f64_e32 v[36:37], v[28:29], v[38:39]
	v_add_f64 v[38:39], v[34:35], v[36:37]
	ds_read_b128 v[34:37], v1 offset:1392
	s_waitcnt vmcnt(18) lgkmcnt(1)
	v_mul_f64 v[40:41], v[30:31], v[158:159]
	s_waitcnt vmcnt(16)
	;; [unrolled: 11-line block ×3, first 2 shown]
	v_fmac_f64_e32 v[48:49], v[40:41], v[164:165]
	v_add_f64 v[172:173], v[46:47], v[48:49]
	ds_read_b128 v[46:49], v1 offset:1440
	buffer_load_dword v171, off, s[0:3], 0 offset:636
	buffer_load_dword v170, off, s[0:3], 0 offset:632
	;; [unrolled: 1-line block ×4, first 2 shown]
	s_waitcnt lgkmcnt(1)
	v_mul_f64 v[176:177], v[42:43], v[140:141]
	v_fmac_f64_e32 v[176:177], v[44:45], v[144:145]
	v_add_f64 v[2:3], v[172:173], v[176:177]
	buffer_load_dword v177, off, s[0:3], 0 offset:652
	buffer_load_dword v176, off, s[0:3], 0 offset:648
	;; [unrolled: 1-line block ×24, first 2 shown]
	v_mul_f64 v[4:5], v[112:113], v[58:59]
	v_fma_f64 v[10:11], v[110:111], v[56:57], -v[4:5]
	v_fma_f64 v[110:111], v[198:199], v[80:81], -v[50:51]
	v_mul_f64 v[50:51], v[204:205], v[60:61]
	v_fma_f64 v[112:113], v[202:203], v[62:63], -v[50:51]
	buffer_load_dword v199, off, s[0:3], 0 offset:748
	buffer_load_dword v198, off, s[0:3], 0 offset:744
	;; [unrolled: 1-line block ×8, first 2 shown]
	v_fma_f64 v[58:59], v[114:115], v[52:53], -v[54:55]
	ds_read_b128 v[50:53], v1 offset:1456
	v_mul_f64 v[54:55], v[208:209], v[76:77]
	buffer_load_dword v209, off, s[0:3], 0 offset:780
	buffer_load_dword v208, off, s[0:3], 0 offset:776
	;; [unrolled: 1-line block ×4, first 2 shown]
	v_fma_f64 v[114:115], v[206:207], v[78:79], -v[54:55]
	v_mul_f64 v[54:55], v[214:215], v[74:75]
	v_fma_f64 v[116:117], v[212:213], v[72:73], -v[54:55]
	buffer_load_dword v206, off, s[0:3], 0 offset:808
	buffer_load_dword v215, off, s[0:3], 0 offset:796
	;; [unrolled: 1-line block ×8, first 2 shown]
	v_mul_f64 v[56:57], v[218:219], v[68:69]
	v_fma_f64 v[6:7], v[216:217], v[70:71], -v[56:57]
	buffer_load_dword v217, off, s[0:3], 0 offset:828
	buffer_load_dword v216, off, s[0:3], 0 offset:824
	;; [unrolled: 1-line block ×4, first 2 shown]
	s_waitcnt vmcnt(54) lgkmcnt(1)
	v_mul_f64 v[54:55], v[46:47], v[166:167]
	s_waitcnt vmcnt(52)
	v_fmac_f64_e32 v[54:55], v[48:49], v[168:169]
	v_add_f64 v[2:3], v[2:3], v[54:55]
	ds_read_b128 v[54:57], v1 offset:1472
	s_waitcnt lgkmcnt(1)
	v_mul_f64 v[8:9], v[50:51], v[148:149]
	v_fmac_f64_e32 v[8:9], v[52:53], v[152:153]
	v_add_f64 v[2:3], v[2:3], v[8:9]
	v_mul_f64 v[8:9], v[222:223], v[66:67]
	v_fma_f64 v[8:9], v[220:221], v[84:85], -v[8:9]
	ds_read_b128 v[220:223], v1 offset:1488
	v_mul_f64 v[70:71], v[238:239], v[86:87]
	v_mul_f64 v[86:87], v[250:251], v[228:229]
	;; [unrolled: 1-line block ×3, first 2 shown]
	v_fma_f64 v[252:253], v[252:253], v[104:105], -v[94:95]
	v_add_f64 v[10:11], v[10:11], 0
	v_add_f64 v[10:11], v[10:11], v[58:59]
	;; [unrolled: 1-line block ×9, first 2 shown]
	v_accvgpr_read_b32 v8, a164
	v_accvgpr_read_b32 v9, a165
	ds_read_b128 v[82:85], v1 offset:1584
	s_waitcnt vmcnt(50) lgkmcnt(2)
	v_mul_f64 v[62:63], v[54:55], v[170:171]
	s_waitcnt vmcnt(48)
	v_fmac_f64_e32 v[62:63], v[56:57], v[174:175]
	v_add_f64 v[2:3], v[2:3], v[62:63]
	v_mul_f64 v[62:63], v[234:235], v[90:91]
	v_fma_f64 v[232:233], v[232:233], v[92:93], -v[62:63]
	ds_read_b128 v[62:65], v1 offset:1504
	s_waitcnt vmcnt(46) lgkmcnt(2)
	v_mul_f64 v[66:67], v[220:221], v[176:177]
	s_waitcnt vmcnt(44)
	v_fmac_f64_e32 v[66:67], v[222:223], v[178:179]
	v_add_f64 v[2:3], v[2:3], v[66:67]
	ds_read_b128 v[66:69], v1 offset:1520
	s_waitcnt vmcnt(41) lgkmcnt(1)
	v_mul_f64 v[74:75], v[62:63], v[182:183]
	v_fma_f64 v[234:235], v[236:237], v[88:89], -v[70:71]
	s_waitcnt vmcnt(39)
	v_fmac_f64_e32 v[74:75], v[64:65], v[186:187]
	ds_read_b128 v[70:73], v1 offset:1536
	v_add_f64 v[2:3], v[2:3], v[74:75]
	v_mul_f64 v[74:75], v[242:243], v[100:101]
	v_fma_f64 v[4:5], v[240:241], v[102:103], -v[74:75]
	ds_read_b128 v[74:77], v1 offset:1552
	s_waitcnt vmcnt(38) lgkmcnt(2)
	v_mul_f64 v[78:79], v[66:67], v[172:173]
	s_waitcnt vmcnt(36)
	v_fmac_f64_e32 v[78:79], v[68:69], v[184:185]
	v_add_f64 v[2:3], v[2:3], v[78:79]
	s_waitcnt vmcnt(33) lgkmcnt(1)
	v_mul_f64 v[12:13], v[70:71], v[190:191]
	ds_read_b128 v[78:81], v1 offset:1568
	s_waitcnt vmcnt(31)
	v_fmac_f64_e32 v[12:13], v[72:73], v[192:193]
	v_add_f64 v[2:3], v[2:3], v[12:13]
	s_waitcnt vmcnt(29) lgkmcnt(1)
	v_mul_f64 v[12:13], v[74:75], v[180:181]
	s_waitcnt vmcnt(28)
	v_fmac_f64_e32 v[12:13], v[76:77], v[188:189]
	v_add_f64 v[2:3], v[2:3], v[12:13]
	v_mul_f64 v[12:13], v[246:247], v[96:97]
	v_fma_f64 v[246:247], v[248:249], v[230:231], -v[86:87]
	ds_read_b128 v[86:89], v1 offset:1600
	ds_read_b128 v[94:97], v1 offset:1632
	s_waitcnt vmcnt(26) lgkmcnt(2)
	v_mul_f64 v[90:91], v[78:79], v[194:195]
	s_waitcnt vmcnt(24)
	v_fmac_f64_e32 v[90:91], v[80:81], v[196:197]
	v_add_f64 v[2:3], v[2:3], v[90:91]
	s_waitcnt vmcnt(22)
	v_mul_f64 v[90:91], v[82:83], v[198:199]
	s_waitcnt vmcnt(20)
	v_fmac_f64_e32 v[90:91], v[84:85], v[202:203]
	v_add_f64 v[2:3], v[2:3], v[90:91]
	s_waitcnt vmcnt(18) lgkmcnt(1)
	v_mul_f64 v[90:91], v[86:87], v[200:201]
	s_waitcnt vmcnt(16)
	v_fmac_f64_e32 v[90:91], v[88:89], v[204:205]
	v_add_f64 v[2:3], v[2:3], v[90:91]
	ds_read_b128 v[90:93], v1 offset:1616
	v_fma_f64 v[12:13], v[244:245], v[98:99], -v[12:13]
	v_mul_f64 v[98:99], v[120:121], v[106:107]
	v_fma_f64 v[250:251], v[118:119], v[108:109], -v[98:99]
	ds_read_b128 v[98:101], v1 offset:1648
	s_waitcnt vmcnt(14) lgkmcnt(1)
	v_mul_f64 v[102:103], v[90:91], v[208:209]
	s_waitcnt vmcnt(12)
	v_fmac_f64_e32 v[102:103], v[92:93], v[60:61]
	v_add_f64 v[2:3], v[2:3], v[102:103]
	s_waitcnt vmcnt(9)
	v_mul_f64 v[102:103], v[94:95], v[214:215]
	s_waitcnt vmcnt(7)
	v_fmac_f64_e32 v[102:103], v[96:97], v[226:227]
	v_add_f64 v[2:3], v[2:3], v[102:103]
	s_waitcnt vmcnt(5) lgkmcnt(0)
	v_mul_f64 v[102:103], v[98:99], v[206:207]
	s_waitcnt vmcnt(4)
	v_fmac_f64_e32 v[102:103], v[100:101], v[212:213]
	v_add_f64 v[2:3], v[2:3], v[102:103]
	ds_read_b128 v[102:105], v1 offset:1664
	v_add_f64 v[6:7], v[6:7], v[232:233]
	v_add_f64 v[6:7], v[6:7], v[234:235]
	;; [unrolled: 1-line block ×4, first 2 shown]
	s_waitcnt vmcnt(2) lgkmcnt(0)
	v_mul_f64 v[106:107], v[102:103], v[216:217]
	s_waitcnt vmcnt(0)
	v_fmac_f64_e32 v[106:107], v[104:105], v[218:219]
	v_add_f64 v[118:119], v[2:3], v[106:107]
	buffer_load_dword v2, off, s[0:3], 0 offset:840
	buffer_load_dword v3, off, s[0:3], 0 offset:844
	;; [unrolled: 1-line block ×4, first 2 shown]
	ds_read_b128 v[106:109], v1 offset:1680
	buffer_load_dword v237, off, s[0:3], 0 offset:860
	buffer_load_dword v236, off, s[0:3], 0 offset:856
	buffer_load_dword v239, off, s[0:3], 0 offset:852
	buffer_load_dword v238, off, s[0:3], 0 offset:848
	v_add_f64 v[4:5], v[4:5], v[246:247]
	v_accvgpr_read_b32 v6, a162
	v_accvgpr_read_b32 v7, a163
	v_add_f64 v[252:253], v[4:5], v[252:253]
	v_mul_f64 v[6:7], v[132:133], v[6:7]
	v_add_f64 v[4:5], v[252:253], v[250:251]
	v_fma_f64 v[6:7], v[130:131], v[8:9], -v[6:7]
	v_add_f64 v[4:5], v[4:5], v[6:7]
	v_mul_f64 v[6:7], v[128:129], v[138:139]
	v_fma_f64 v[6:7], v[126:127], v[142:143], -v[6:7]
	v_add_f64 v[4:5], v[4:5], v[6:7]
	v_accvgpr_read_b32 v6, a166
	v_accvgpr_read_b32 v7, a167
	;; [unrolled: 1-line block ×3, first 2 shown]
	v_mul_f64 v[6:7], v[124:125], v[6:7]
	v_accvgpr_read_b32 v9, a169
	v_fma_f64 v[6:7], v[122:123], v[8:9], -v[6:7]
	v_add_f64 v[4:5], v[4:5], v[6:7]
	v_mul_f64 v[6:7], v[16:17], v[146:147]
	v_fma_f64 v[6:7], v[14:15], v[150:151], -v[6:7]
	v_add_f64 v[4:5], v[4:5], v[6:7]
	v_accvgpr_read_b32 v6, a170
	v_accvgpr_read_b32 v7, a171
	;; [unrolled: 1-line block ×3, first 2 shown]
	v_mul_f64 v[6:7], v[20:21], v[6:7]
	v_accvgpr_read_b32 v9, a173
	v_fma_f64 v[6:7], v[18:19], v[8:9], -v[6:7]
	v_add_f64 v[4:5], v[4:5], v[6:7]
	v_mul_f64 v[6:7], v[24:25], v[154:155]
	v_fma_f64 v[6:7], v[22:23], v[156:157], -v[6:7]
	v_accvgpr_read_b32 v8, a174
	v_add_f64 v[4:5], v[4:5], v[6:7]
	v_mul_f64 v[6:7], v[28:29], v[224:225]
	v_accvgpr_read_b32 v9, a175
	v_fma_f64 v[6:7], v[26:27], v[8:9], -v[6:7]
	v_add_f64 v[4:5], v[4:5], v[6:7]
	v_mul_f64 v[6:7], v[32:33], v[158:159]
	v_fma_f64 v[6:7], v[30:31], v[160:161], -v[6:7]
	v_add_f64 v[4:5], v[4:5], v[6:7]
	v_mul_f64 v[6:7], v[36:37], v[134:135]
	v_fma_f64 v[6:7], v[34:35], v[136:137], -v[6:7]
	v_add_f64 v[4:5], v[4:5], v[6:7]
	v_mul_f64 v[6:7], v[40:41], v[162:163]
	v_fma_f64 v[6:7], v[38:39], v[164:165], -v[6:7]
	v_add_f64 v[4:5], v[4:5], v[6:7]
	v_mul_f64 v[6:7], v[44:45], v[140:141]
	v_fma_f64 v[6:7], v[42:43], v[144:145], -v[6:7]
	v_add_f64 v[4:5], v[4:5], v[6:7]
	v_mul_f64 v[6:7], v[48:49], v[166:167]
	v_fma_f64 v[6:7], v[46:47], v[168:169], -v[6:7]
	v_add_f64 v[4:5], v[4:5], v[6:7]
	v_mul_f64 v[6:7], v[52:53], v[148:149]
	v_fma_f64 v[6:7], v[50:51], v[152:153], -v[6:7]
	v_add_f64 v[4:5], v[4:5], v[6:7]
	v_mul_f64 v[6:7], v[56:57], v[170:171]
	v_fma_f64 v[6:7], v[54:55], v[174:175], -v[6:7]
	v_add_f64 v[4:5], v[4:5], v[6:7]
	v_mul_f64 v[6:7], v[222:223], v[176:177]
	v_fma_f64 v[6:7], v[220:221], v[178:179], -v[6:7]
	v_add_f64 v[4:5], v[4:5], v[6:7]
	v_mul_f64 v[6:7], v[64:65], v[182:183]
	v_fma_f64 v[6:7], v[62:63], v[186:187], -v[6:7]
	v_add_f64 v[4:5], v[4:5], v[6:7]
	v_mul_f64 v[6:7], v[68:69], v[172:173]
	v_fma_f64 v[6:7], v[66:67], v[184:185], -v[6:7]
	v_add_f64 v[4:5], v[4:5], v[6:7]
	v_mul_f64 v[6:7], v[72:73], v[190:191]
	v_fma_f64 v[6:7], v[70:71], v[192:193], -v[6:7]
	v_add_f64 v[4:5], v[4:5], v[6:7]
	v_mul_f64 v[6:7], v[76:77], v[180:181]
	v_fma_f64 v[6:7], v[74:75], v[188:189], -v[6:7]
	v_add_f64 v[4:5], v[4:5], v[6:7]
	v_mul_f64 v[6:7], v[80:81], v[194:195]
	v_fma_f64 v[6:7], v[78:79], v[196:197], -v[6:7]
	v_add_f64 v[4:5], v[4:5], v[6:7]
	s_waitcnt vmcnt(6) lgkmcnt(0)
	v_mul_f64 v[120:121], v[106:107], v[2:3]
	v_mul_f64 v[6:7], v[84:85], v[198:199]
	s_waitcnt vmcnt(4)
	v_fmac_f64_e32 v[120:121], v[108:109], v[254:255]
	v_add_f64 v[228:229], v[118:119], v[120:121]
	ds_read_b128 v[118:121], v1 offset:1696
	buffer_load_dword v242, off, s[0:3], 0 offset:872
	buffer_load_dword v243, off, s[0:3], 0 offset:876
	;; [unrolled: 1-line block ×4, first 2 shown]
	v_fma_f64 v[6:7], v[82:83], v[202:203], -v[6:7]
	v_add_f64 v[4:5], v[4:5], v[6:7]
	v_mul_f64 v[6:7], v[88:89], v[200:201]
	s_waitcnt vmcnt(6) lgkmcnt(0)
	v_mul_f64 v[230:231], v[118:119], v[236:237]
	s_waitcnt vmcnt(4)
	v_fmac_f64_e32 v[230:231], v[120:121], v[238:239]
	v_add_f64 v[240:241], v[228:229], v[230:231]
	ds_read_b128 v[228:231], v1 offset:1712
	v_fma_f64 v[6:7], v[86:87], v[204:205], -v[6:7]
	v_add_f64 v[4:5], v[4:5], v[6:7]
	v_mul_f64 v[6:7], v[92:93], v[208:209]
	v_fma_f64 v[6:7], v[90:91], v[60:61], -v[6:7]
	v_add_f64 v[4:5], v[4:5], v[6:7]
	v_mul_f64 v[6:7], v[96:97], v[214:215]
	;; [unrolled: 3-line block ×4, first 2 shown]
	v_fma_f64 v[6:7], v[102:103], v[218:219], -v[6:7]
	v_mul_f64 v[2:3], v[108:109], v[2:3]
	v_add_f64 v[4:5], v[4:5], v[6:7]
	v_fma_f64 v[2:3], v[106:107], v[254:255], -v[2:3]
	v_add_f64 v[2:3], v[4:5], v[2:3]
	v_mul_f64 v[4:5], v[120:121], v[236:237]
	v_fma_f64 v[4:5], v[118:119], v[238:239], -v[4:5]
	v_add_f64 v[2:3], v[2:3], v[4:5]
	s_waitcnt vmcnt(2) lgkmcnt(0)
	v_mul_f64 v[248:249], v[228:229], v[242:243]
	v_mul_f64 v[4:5], v[230:231], v[242:243]
	s_waitcnt vmcnt(0)
	v_fmac_f64_e32 v[248:249], v[230:231], v[244:245]
	v_add_f64 v[240:241], v[240:241], v[248:249]
	buffer_load_dword v248, off, s[0:3], 0 offset:144
	buffer_load_dword v249, off, s[0:3], 0 offset:148
	;; [unrolled: 1-line block ×4, first 2 shown]
	v_fma_f64 v[4:5], v[228:229], v[244:245], -v[4:5]
	v_add_f64 v[2:3], v[2:3], v[4:5]
	s_waitcnt vmcnt(2)
	v_add_f64 v[2:3], v[248:249], -v[2:3]
	s_waitcnt vmcnt(0)
	v_add_f64 v[4:5], v[246:247], -v[240:241]
	buffer_store_dword v3, off, s[0:3], 0 offset:148
	buffer_store_dword v2, off, s[0:3], 0 offset:144
	;; [unrolled: 1-line block ×4, first 2 shown]
	s_and_saveexec_b64 s[4:5], vcc
	s_cbranch_execz .LBB53_323
; %bb.322:
	v_accvgpr_read_b32 v5, a154
	buffer_load_dword v2, v5, s[0:3], 0 offen
	buffer_load_dword v3, v5, s[0:3], 0 offen offset:4
	buffer_load_dword v4, v5, s[0:3], 0 offen offset:8
	s_nop 0
	buffer_load_dword v5, v5, s[0:3], 0 offen offset:12
	v_accvgpr_read_b32 v6, a161
	buffer_store_dword v1, off, s[0:3], 0 offset:128
	buffer_store_dword v1, off, s[0:3], 0 offset:132
	;; [unrolled: 1-line block ×4, first 2 shown]
	s_waitcnt vmcnt(4)
	ds_write_b128 v6, v[2:5]
.LBB53_323:
	s_or_b64 exec, exec, s[4:5]
	s_waitcnt lgkmcnt(0)
	; wave barrier
	s_waitcnt lgkmcnt(0)
	buffer_load_dword v60, off, s[0:3], 0 offset:144
	buffer_load_dword v61, off, s[0:3], 0 offset:148
	;; [unrolled: 1-line block ×42, first 2 shown]
	ds_read_b128 v[114:117], v1 offset:992
	ds_read_b128 v[180:183], v1 offset:1008
	;; [unrolled: 1-line block ×10, first 2 shown]
	buffer_load_dword v225, off, s[0:3], 0 offset:292
	buffer_load_dword v224, off, s[0:3], 0 offset:288
	ds_read_b128 v[62:65], v1 offset:1152
	buffer_load_dword v101, off, s[0:3], 0 offset:348
	buffer_load_dword v100, off, s[0:3], 0 offset:344
	;; [unrolled: 1-line block ×6, first 2 shown]
	v_cmp_lt_u32_e32 vcc, 6, v0
	s_waitcnt vmcnt(46) lgkmcnt(10)
	v_mul_f64 v[2:3], v[114:115], v[174:175]
	v_fmac_f64_e32 v[2:3], v[116:117], v[60:61]
	v_add_f64 v[2:3], v[2:3], 0
	s_waitcnt vmcnt(42) lgkmcnt(9)
	v_mul_f64 v[4:5], v[180:181], v[58:59]
	v_fmac_f64_e32 v[4:5], v[182:183], v[50:51]
	v_add_f64 v[2:3], v[2:3], v[4:5]
	buffer_load_dword v249, off, s[0:3], 0 offset:324
	buffer_load_dword v248, off, s[0:3], 0 offset:320
	;; [unrolled: 1-line block ×20, first 2 shown]
	s_waitcnt vmcnt(60) lgkmcnt(8)
	v_mul_f64 v[6:7], v[184:185], v[52:53]
	s_waitcnt vmcnt(58) lgkmcnt(6)
	v_mul_f64 v[10:11], v[198:199], v[68:69]
	s_waitcnt vmcnt(56)
	v_fmac_f64_e32 v[10:11], v[200:201], v[70:71]
	v_mul_f64 v[58:59], v[182:183], v[58:59]
	s_waitcnt vmcnt(54)
	v_mul_f64 v[8:9], v[192:193], v[72:73]
	v_fma_f64 v[214:215], v[180:181], v[50:51], -v[58:59]
	s_waitcnt vmcnt(52) lgkmcnt(4)
	v_mul_f64 v[14:15], v[206:207], v[74:75]
	v_mul_f64 v[50:51], v[186:187], v[52:53]
	s_waitcnt vmcnt(50)
	v_fmac_f64_e32 v[14:15], v[208:209], v[76:77]
	s_waitcnt vmcnt(48)
	v_mul_f64 v[12:13], v[202:203], v[78:79]
	s_waitcnt vmcnt(46) lgkmcnt(2)
	v_mul_f64 v[18:19], v[216:217], v[82:83]
	s_waitcnt vmcnt(43)
	v_mul_f64 v[16:17], v[210:211], v[86:87]
	s_waitcnt vmcnt(41) lgkmcnt(1)
	v_mul_f64 v[20:21], v[54:55], v[80:81]
	s_waitcnt vmcnt(39)
	v_fmac_f64_e32 v[6:7], v[186:187], v[96:97]
	v_add_f64 v[2:3], v[2:3], v[6:7]
	s_waitcnt vmcnt(37)
	v_fmac_f64_e32 v[8:9], v[194:195], v[92:93]
	v_add_f64 v[2:3], v[2:3], v[8:9]
	;; [unrolled: 3-line block ×3, first 2 shown]
	v_add_f64 v[2:3], v[2:3], v[12:13]
	s_waitcnt vmcnt(33)
	v_fmac_f64_e32 v[16:17], v[212:213], v[88:89]
	v_add_f64 v[2:3], v[2:3], v[14:15]
	s_waitcnt vmcnt(32)
	v_fmac_f64_e32 v[18:19], v[218:219], v[84:85]
	v_add_f64 v[2:3], v[2:3], v[16:17]
	v_add_f64 v[2:3], v[2:3], v[18:19]
	v_fma_f64 v[96:97], v[184:185], v[96:97], -v[50:51]
	s_waitcnt vmcnt(26)
	v_fmac_f64_e32 v[20:21], v[56:57], v[224:225]
	v_add_f64 v[2:3], v[2:3], v[20:21]
	v_mul_f64 v[50:51], v[194:195], v[72:73]
	v_mul_f64 v[56:57], v[56:57], v[80:81]
	v_fma_f64 v[224:225], v[54:55], v[224:225], -v[56:57]
	s_waitcnt vmcnt(0)
	v_pk_mov_b32 v[18:19], v[4:5], v[4:5] op_sel:[0,1]
	buffer_load_dword v5, off, s[0:3], 0 offset:436
	buffer_load_dword v4, off, s[0:3], 0 offset:432
	v_accvgpr_write_b32 a165, v19
	v_accvgpr_write_b32 a164, v18
	s_waitcnt vmcnt(0)
	v_pk_mov_b32 v[22:23], v[4:5], v[4:5] op_sel:[0,1]
	buffer_load_dword v5, off, s[0:3], 0 offset:428
	buffer_load_dword v4, off, s[0:3], 0 offset:424
	v_accvgpr_write_b32 a167, v23
	v_accvgpr_write_b32 a166, v22
	s_waitcnt vmcnt(0)
	v_pk_mov_b32 v[14:15], v[4:5], v[4:5] op_sel:[0,1]
	buffer_load_dword v139, off, s[0:3], 0 offset:420
	buffer_load_dword v138, off, s[0:3], 0 offset:416
	buffer_load_dword v5, off, s[0:3], 0 offset:476
	buffer_load_dword v4, off, s[0:3], 0 offset:472
	v_accvgpr_write_b32 a163, v15
	v_accvgpr_write_b32 a162, v14
	s_waitcnt vmcnt(0)
	v_pk_mov_b32 v[26:27], v[4:5], v[4:5] op_sel:[0,1]
	buffer_load_dword v5, off, s[0:3], 0 offset:468
	buffer_load_dword v4, off, s[0:3], 0 offset:464
	v_accvgpr_write_b32 a169, v27
	v_accvgpr_write_b32 a168, v26
	s_waitcnt vmcnt(0)
	v_pk_mov_b32 v[28:29], v[4:5], v[4:5] op_sel:[0,1]
	buffer_load_dword v143, off, s[0:3], 0 offset:460
	buffer_load_dword v142, off, s[0:3], 0 offset:456
	buffer_load_dword v147, off, s[0:3], 0 offset:452
	buffer_load_dword v146, off, s[0:3], 0 offset:448
	buffer_load_dword v5, off, s[0:3], 0 offset:508
	buffer_load_dword v4, off, s[0:3], 0 offset:504
	v_accvgpr_write_b32 a171, v29
	v_accvgpr_write_b32 a170, v28
	s_waitcnt vmcnt(0)
	v_pk_mov_b32 v[34:35], v[4:5], v[4:5] op_sel:[0,1]
	buffer_load_dword v5, off, s[0:3], 0 offset:500
	buffer_load_dword v4, off, s[0:3], 0 offset:496
	v_accvgpr_write_b32 a173, v35
	v_accvgpr_write_b32 a172, v34
	s_waitcnt vmcnt(0)
	v_pk_mov_b32 v[36:37], v[4:5], v[4:5] op_sel:[0,1]
	buffer_load_dword v151, off, s[0:3], 0 offset:492
	buffer_load_dword v150, off, s[0:3], 0 offset:488
	;; [unrolled: 16-line block ×3, first 2 shown]
	buffer_load_dword v161, off, s[0:3], 0 offset:516
	buffer_load_dword v160, off, s[0:3], 0 offset:512
	;; [unrolled: 1-line block ×26, first 2 shown]
	ds_read_b128 v[220:223], v1 offset:1168
	ds_read_b128 v[232:235], v1 offset:1184
	;; [unrolled: 1-line block ×10, first 2 shown]
	s_waitcnt lgkmcnt(4)
	v_mul_f64 v[8:9], v[252:253], v[106:107]
	v_fmac_f64_e32 v[8:9], v[254:255], v[108:109]
	s_waitcnt lgkmcnt(3)
	v_mul_f64 v[12:13], v[134:135], v[14:15]
	v_fmac_f64_e32 v[12:13], v[136:137], v[138:139]
	;; [unrolled: 3-line block ×4, first 2 shown]
	ds_read_b128 v[118:121], v1 offset:1328
	s_waitcnt lgkmcnt(1)
	v_mul_f64 v[24:25], v[122:123], v[26:27]
	v_fmac_f64_e32 v[24:25], v[124:125], v[28:29]
	v_accvgpr_write_b32 a179, v45
	v_accvgpr_write_b32 a178, v44
	s_waitcnt vmcnt(22)
	v_pk_mov_b32 v[176:177], v[4:5], v[4:5] op_sel:[0,1]
	v_mul_f64 v[4:5], v[62:63], v[94:95]
	v_fmac_f64_e32 v[4:5], v[64:65], v[98:99]
	v_add_f64 v[2:3], v[2:3], v[4:5]
	v_mul_f64 v[4:5], v[220:221], v[104:105]
	v_fmac_f64_e32 v[4:5], v[222:223], v[248:249]
	v_add_f64 v[2:3], v[2:3], v[4:5]
	;; [unrolled: 3-line block ×6, first 2 shown]
	v_add_f64 v[10:11], v[6:7], v[8:9]
	v_add_f64 v[14:15], v[10:11], v[12:13]
	;; [unrolled: 1-line block ×5, first 2 shown]
	ds_read_b128 v[22:25], v1 offset:1344
	s_waitcnt lgkmcnt(1)
	v_mul_f64 v[28:29], v[118:119], v[150:151]
	v_fmac_f64_e32 v[28:29], v[120:121], v[154:155]
	v_add_f64 v[30:31], v[26:27], v[28:29]
	ds_read_b128 v[26:29], v1 offset:1360
	s_waitcnt lgkmcnt(1)
	v_mul_f64 v[32:33], v[22:23], v[34:35]
	v_fmac_f64_e32 v[32:33], v[24:25], v[36:37]
	v_add_f64 v[34:35], v[30:31], v[32:33]
	;; [unrolled: 5-line block ×4, first 2 shown]
	ds_read_b128 v[38:41], v1 offset:1408
	ds_read_b128 v[42:45], v1 offset:1424
	s_waitcnt vmcnt(18) lgkmcnt(2)
	v_mul_f64 v[48:49], v[34:35], v[162:163]
	s_waitcnt vmcnt(16)
	v_fmac_f64_e32 v[48:49], v[36:37], v[164:165]
	v_add_f64 v[46:47], v[46:47], v[48:49]
	s_waitcnt lgkmcnt(1)
	v_mul_f64 v[48:49], v[38:39], v[176:177]
	v_fmac_f64_e32 v[48:49], v[40:41], v[140:141]
	v_add_f64 v[46:47], v[46:47], v[48:49]
	s_waitcnt vmcnt(10) lgkmcnt(0)
	v_mul_f64 v[48:49], v[42:43], v[166:167]
	v_accvgpr_write_b32 a181, v177
	s_waitcnt vmcnt(8)
	v_fmac_f64_e32 v[48:49], v[44:45], v[168:169]
	v_accvgpr_write_b32 a180, v176
	v_add_f64 v[2:3], v[46:47], v[48:49]
	ds_read_b128 v[46:49], v1 offset:1440
	v_mul_f64 v[4:5], v[116:117], v[174:175]
	buffer_load_dword v175, off, s[0:3], 0 offset:652
	buffer_load_dword v174, off, s[0:3], 0 offset:648
	;; [unrolled: 1-line block ×16, first 2 shown]
	v_fma_f64 v[14:15], v[192:193], v[92:93], -v[50:51]
	buffer_load_dword v182, off, s[0:3], 0 offset:728
	buffer_load_dword v195, off, s[0:3], 0 offset:716
	;; [unrolled: 1-line block ×8, first 2 shown]
	v_mul_f64 v[8:9], v[200:201], v[68:69]
	v_fma_f64 v[10:11], v[198:199], v[70:71], -v[8:9]
	buffer_load_dword v199, off, s[0:3], 0 offset:748
	buffer_load_dword v198, off, s[0:3], 0 offset:744
	;; [unrolled: 1-line block ×4, first 2 shown]
	v_mul_f64 v[12:13], v[208:209], v[74:75]
	v_mul_f64 v[50:51], v[204:205], v[78:79]
	v_fma_f64 v[12:13], v[206:207], v[76:77], -v[12:13]
	buffer_load_dword v204, off, s[0:3], 0 offset:760
	buffer_load_dword v206, off, s[0:3], 0 offset:752
	;; [unrolled: 1-line block ×4, first 2 shown]
	v_fma_f64 v[8:9], v[202:203], v[90:91], -v[50:51]
	v_mul_f64 v[50:51], v[212:213], v[86:87]
	v_fma_f64 v[6:7], v[210:211], v[88:89], -v[50:51]
	buffer_load_dword v203, off, s[0:3], 0 offset:796
	buffer_load_dword v209, off, s[0:3], 0 offset:780
	;; [unrolled: 1-line block ×12, first 2 shown]
	v_mul_f64 v[16:17], v[218:219], v[82:83]
	ds_read_b128 v[50:53], v1 offset:1456
	v_fma_f64 v[16:17], v[216:217], v[84:85], -v[16:17]
	buffer_load_dword v216, off, s[0:3], 0 offset:824
	buffer_load_dword v218, off, s[0:3], 0 offset:816
	;; [unrolled: 1-line block ×4, first 2 shown]
	ds_read_b128 v[54:57], v1 offset:1472
	s_waitcnt lgkmcnt(2)
	v_mul_f64 v[58:59], v[46:47], v[144:145]
	v_fmac_f64_e32 v[58:59], v[48:49], v[148:149]
	v_add_f64 v[2:3], v[2:3], v[58:59]
	s_waitcnt vmcnt(50) lgkmcnt(1)
	v_mul_f64 v[58:59], v[50:51], v[170:171]
	s_waitcnt vmcnt(48)
	v_fmac_f64_e32 v[58:59], v[52:53], v[172:173]
	v_mul_f64 v[64:65], v[64:65], v[94:95]
	v_add_f64 v[2:3], v[2:3], v[58:59]
	v_fma_f64 v[94:95], v[62:63], v[98:99], -v[64:65]
	ds_read_b128 v[62:65], v1 offset:1504
	s_waitcnt lgkmcnt(1)
	v_mul_f64 v[58:59], v[54:55], v[152:153]
	v_fmac_f64_e32 v[58:59], v[56:57], v[156:157]
	v_fma_f64 v[18:19], v[114:115], v[60:61], -v[4:5]
	v_add_f64 v[2:3], v[2:3], v[58:59]
	ds_read_b128 v[58:61], v1 offset:1488
	v_mul_f64 v[74:75], v[234:235], v[100:101]
	v_fma_f64 v[232:233], v[232:233], v[102:103], -v[74:75]
	ds_read_b128 v[74:77], v1 offset:1552
	v_mul_f64 v[86:87], v[242:243], v[110:111]
	v_fma_f64 v[4:5], v[240:241], v[112:113], -v[86:87]
	v_add_f64 v[18:19], v[18:19], 0
	v_add_f64 v[18:19], v[18:19], v[214:215]
	;; [unrolled: 1-line block ×11, first 2 shown]
	v_accvgpr_read_b32 v8, a166
	v_accvgpr_read_b32 v9, a167
	ds_read_b128 v[86:89], v1 offset:1600
	ds_read_b128 v[90:93], v1 offset:1616
	;; [unrolled: 1-line block ×3, first 2 shown]
	s_waitcnt vmcnt(46) lgkmcnt(4)
	v_mul_f64 v[70:71], v[58:59], v[174:175]
	s_waitcnt vmcnt(44)
	v_fmac_f64_e32 v[70:71], v[60:61], v[178:179]
	v_add_f64 v[2:3], v[2:3], v[70:71]
	v_mul_f64 v[70:71], v[222:223], v[104:105]
	v_fma_f64 v[248:249], v[220:221], v[248:249], -v[70:71]
	ds_read_b128 v[220:223], v1 offset:1520
	s_waitcnt vmcnt(41)
	v_mul_f64 v[70:71], v[62:63], v[176:177]
	s_waitcnt vmcnt(40)
	v_fmac_f64_e32 v[70:71], v[64:65], v[180:181]
	v_add_f64 v[2:3], v[2:3], v[70:71]
	ds_read_b128 v[70:73], v1 offset:1536
	s_waitcnt vmcnt(38) lgkmcnt(1)
	v_mul_f64 v[78:79], v[220:221], v[184:185]
	s_waitcnt vmcnt(36)
	v_fmac_f64_e32 v[78:79], v[222:223], v[188:189]
	v_add_f64 v[2:3], v[2:3], v[78:79]
	v_mul_f64 v[78:79], v[238:239], v[250:251]
	v_fma_f64 v[250:251], v[236:237], v[228:229], -v[78:79]
	ds_read_b128 v[78:81], v1 offset:1568
	s_waitcnt vmcnt(34) lgkmcnt(1)
	v_mul_f64 v[82:83], v[70:71], v[186:187]
	s_waitcnt vmcnt(32)
	v_fmac_f64_e32 v[82:83], v[72:73], v[190:191]
	v_add_f64 v[2:3], v[2:3], v[82:83]
	s_waitcnt vmcnt(29)
	v_mul_f64 v[82:83], v[74:75], v[194:195]
	s_waitcnt vmcnt(27)
	v_fmac_f64_e32 v[82:83], v[76:77], v[196:197]
	v_add_f64 v[2:3], v[2:3], v[82:83]
	s_waitcnt vmcnt(25) lgkmcnt(0)
	v_mul_f64 v[82:83], v[78:79], v[182:183]
	s_waitcnt vmcnt(24)
	v_fmac_f64_e32 v[82:83], v[80:81], v[192:193]
	v_add_f64 v[2:3], v[2:3], v[82:83]
	ds_read_b128 v[82:85], v1 offset:1584
	ds_read_b128 v[102:105], v1 offset:1664
	v_add_f64 v[6:7], v[6:7], v[248:249]
	v_add_f64 v[6:7], v[6:7], v[232:233]
	;; [unrolled: 1-line block ×3, first 2 shown]
	s_waitcnt vmcnt(22) lgkmcnt(1)
	v_mul_f64 v[20:21], v[82:83], v[198:199]
	s_waitcnt vmcnt(20)
	v_fmac_f64_e32 v[20:21], v[84:85], v[200:201]
	v_add_f64 v[2:3], v[2:3], v[20:21]
	v_mul_f64 v[20:21], v[246:247], v[230:231]
	v_fma_f64 v[66:67], v[244:245], v[66:67], -v[20:21]
	s_waitcnt vmcnt(17)
	v_mul_f64 v[20:21], v[86:87], v[204:205]
	ds_read_b128 v[228:231], v1 offset:1632
	s_waitcnt vmcnt(16)
	v_fmac_f64_e32 v[20:21], v[88:89], v[206:207]
	v_add_f64 v[2:3], v[2:3], v[20:21]
	v_mul_f64 v[20:21], v[254:255], v[106:107]
	v_fma_f64 v[252:253], v[252:253], v[108:109], -v[20:21]
	s_waitcnt vmcnt(13)
	v_mul_f64 v[20:21], v[90:91], v[208:209]
	s_waitcnt vmcnt(11)
	v_fmac_f64_e32 v[20:21], v[92:93], v[68:69]
	v_add_f64 v[2:3], v[2:3], v[20:21]
	s_waitcnt vmcnt(10) lgkmcnt(0)
	v_mul_f64 v[20:21], v[228:229], v[202:203]
	s_waitcnt vmcnt(8)
	v_fmac_f64_e32 v[20:21], v[230:231], v[212:213]
	v_add_f64 v[2:3], v[2:3], v[20:21]
	s_waitcnt vmcnt(6)
	v_mul_f64 v[20:21], v[98:99], v[210:211]
	s_waitcnt vmcnt(4)
	v_fmac_f64_e32 v[20:21], v[100:101], v[226:227]
	v_add_f64 v[2:3], v[2:3], v[20:21]
	s_waitcnt vmcnt(1)
	v_mul_f64 v[20:21], v[102:103], v[216:217]
	s_waitcnt vmcnt(0)
	v_fmac_f64_e32 v[20:21], v[104:105], v[218:219]
	v_add_f64 v[20:21], v[2:3], v[20:21]
	buffer_load_dword v3, off, s[0:3], 0 offset:844
	buffer_load_dword v2, off, s[0:3], 0 offset:840
	;; [unrolled: 1-line block ×4, first 2 shown]
	ds_read_b128 v[106:109], v1 offset:1680
	buffer_load_dword v236, off, s[0:3], 0 offset:856
	buffer_load_dword v237, off, s[0:3], 0 offset:860
	;; [unrolled: 1-line block ×4, first 2 shown]
	v_add_f64 v[254:255], v[6:7], v[4:5]
	v_accvgpr_read_b32 v6, a162
	v_accvgpr_read_b32 v7, a163
	v_add_f64 v[4:5], v[254:255], v[66:67]
	v_mul_f64 v[6:7], v[136:137], v[6:7]
	v_add_f64 v[4:5], v[4:5], v[252:253]
	v_fma_f64 v[6:7], v[134:135], v[138:139], -v[6:7]
	v_add_f64 v[4:5], v[4:5], v[6:7]
	v_accvgpr_read_b32 v6, a164
	v_accvgpr_read_b32 v7, a165
	v_mul_f64 v[6:7], v[132:133], v[6:7]
	v_fma_f64 v[6:7], v[130:131], v[8:9], -v[6:7]
	v_add_f64 v[4:5], v[4:5], v[6:7]
	v_mul_f64 v[6:7], v[128:129], v[142:143]
	v_fma_f64 v[6:7], v[126:127], v[146:147], -v[6:7]
	v_add_f64 v[4:5], v[4:5], v[6:7]
	v_accvgpr_read_b32 v6, a168
	v_accvgpr_read_b32 v7, a169
	v_accvgpr_read_b32 v8, a170
	v_mul_f64 v[6:7], v[124:125], v[6:7]
	v_accvgpr_read_b32 v9, a171
	v_fma_f64 v[6:7], v[122:123], v[8:9], -v[6:7]
	v_add_f64 v[4:5], v[4:5], v[6:7]
	v_mul_f64 v[6:7], v[120:121], v[150:151]
	v_fma_f64 v[6:7], v[118:119], v[154:155], -v[6:7]
	v_add_f64 v[4:5], v[4:5], v[6:7]
	v_accvgpr_read_b32 v6, a172
	v_accvgpr_read_b32 v7, a173
	v_accvgpr_read_b32 v8, a174
	v_mul_f64 v[6:7], v[24:25], v[6:7]
	v_accvgpr_read_b32 v9, a175
	;; [unrolled: 10-line block ×3, first 2 shown]
	v_fma_f64 v[6:7], v[30:31], v[8:9], -v[6:7]
	v_add_f64 v[4:5], v[4:5], v[6:7]
	v_mul_f64 v[6:7], v[36:37], v[162:163]
	v_fma_f64 v[6:7], v[34:35], v[164:165], -v[6:7]
	v_add_f64 v[4:5], v[4:5], v[6:7]
	v_accvgpr_read_b32 v6, a180
	v_accvgpr_read_b32 v7, a181
	v_mul_f64 v[6:7], v[40:41], v[6:7]
	v_fma_f64 v[6:7], v[38:39], v[140:141], -v[6:7]
	v_add_f64 v[4:5], v[4:5], v[6:7]
	v_mul_f64 v[6:7], v[44:45], v[166:167]
	v_fma_f64 v[6:7], v[42:43], v[168:169], -v[6:7]
	v_add_f64 v[4:5], v[4:5], v[6:7]
	;; [unrolled: 3-line block ×9, first 2 shown]
	s_waitcnt vmcnt(6) lgkmcnt(0)
	v_mul_f64 v[110:111], v[106:107], v[2:3]
	v_mul_f64 v[6:7], v[76:77], v[194:195]
	s_waitcnt vmcnt(4)
	v_fmac_f64_e32 v[110:111], v[108:109], v[234:235]
	v_add_f64 v[20:21], v[20:21], v[110:111]
	ds_read_b128 v[110:113], v1 offset:1696
	buffer_load_dword v243, off, s[0:3], 0 offset:876
	buffer_load_dword v242, off, s[0:3], 0 offset:872
	;; [unrolled: 1-line block ×4, first 2 shown]
	v_fma_f64 v[6:7], v[74:75], v[196:197], -v[6:7]
	v_add_f64 v[4:5], v[4:5], v[6:7]
	v_mul_f64 v[6:7], v[80:81], v[182:183]
	s_waitcnt vmcnt(6) lgkmcnt(0)
	v_mul_f64 v[114:115], v[110:111], v[236:237]
	s_waitcnt vmcnt(4)
	v_fmac_f64_e32 v[114:115], v[112:113], v[238:239]
	v_add_f64 v[20:21], v[20:21], v[114:115]
	ds_read_b128 v[114:117], v1 offset:1712
	buffer_load_dword v248, off, s[0:3], 0 offset:128
	buffer_load_dword v249, off, s[0:3], 0 offset:132
	;; [unrolled: 1-line block ×4, first 2 shown]
	v_fma_f64 v[6:7], v[78:79], v[192:193], -v[6:7]
	v_add_f64 v[4:5], v[4:5], v[6:7]
	v_mul_f64 v[6:7], v[84:85], v[198:199]
	v_fma_f64 v[6:7], v[82:83], v[200:201], -v[6:7]
	v_add_f64 v[4:5], v[4:5], v[6:7]
	v_mul_f64 v[6:7], v[88:89], v[204:205]
	;; [unrolled: 3-line block ×6, first 2 shown]
	v_fma_f64 v[6:7], v[102:103], v[218:219], -v[6:7]
	v_mul_f64 v[2:3], v[108:109], v[2:3]
	v_add_f64 v[4:5], v[4:5], v[6:7]
	v_fma_f64 v[2:3], v[106:107], v[234:235], -v[2:3]
	v_add_f64 v[2:3], v[4:5], v[2:3]
	v_mul_f64 v[4:5], v[112:113], v[236:237]
	v_fma_f64 v[4:5], v[110:111], v[238:239], -v[4:5]
	v_add_f64 v[2:3], v[2:3], v[4:5]
	s_waitcnt vmcnt(6) lgkmcnt(0)
	v_mul_f64 v[4:5], v[116:117], v[242:243]
	v_mul_f64 v[240:241], v[114:115], v[242:243]
	s_waitcnt vmcnt(4)
	v_fma_f64 v[4:5], v[114:115], v[244:245], -v[4:5]
	v_fmac_f64_e32 v[240:241], v[116:117], v[244:245]
	v_add_f64 v[2:3], v[2:3], v[4:5]
	v_add_f64 v[240:241], v[20:21], v[240:241]
	s_waitcnt vmcnt(2)
	v_add_f64 v[2:3], v[248:249], -v[2:3]
	s_waitcnt vmcnt(0)
	v_add_f64 v[4:5], v[246:247], -v[240:241]
	buffer_store_dword v3, off, s[0:3], 0 offset:132
	buffer_store_dword v2, off, s[0:3], 0 offset:128
	;; [unrolled: 1-line block ×4, first 2 shown]
	s_and_saveexec_b64 s[4:5], vcc
	s_cbranch_execz .LBB53_325
; %bb.324:
	v_accvgpr_read_b32 v1, a155
	buffer_load_dword v2, v1, s[0:3], 0 offen
	buffer_load_dword v3, v1, s[0:3], 0 offen offset:4
	buffer_load_dword v4, v1, s[0:3], 0 offen offset:8
	;; [unrolled: 1-line block ×3, first 2 shown]
	v_mov_b32_e32 v1, 0
	v_accvgpr_read_b32 v6, a161
	buffer_store_dword v1, off, s[0:3], 0 offset:112
	buffer_store_dword v1, off, s[0:3], 0 offset:116
	;; [unrolled: 1-line block ×4, first 2 shown]
	s_waitcnt vmcnt(4)
	ds_write_b128 v6, v[2:5]
.LBB53_325:
	s_or_b64 exec, exec, s[4:5]
	s_waitcnt lgkmcnt(0)
	; wave barrier
	s_waitcnt lgkmcnt(0)
	buffer_load_dword v48, off, s[0:3], 0 offset:128
	buffer_load_dword v49, off, s[0:3], 0 offset:132
	;; [unrolled: 1-line block ×42, first 2 shown]
	v_mov_b32_e32 v1, 0
	buffer_load_dword v99, off, s[0:3], 0 offset:276
	buffer_load_dword v98, off, s[0:3], 0 offset:272
	;; [unrolled: 1-line block ×7, first 2 shown]
	ds_read_b128 v[112:115], v1 offset:976
	ds_read_b128 v[170:173], v1 offset:992
	ds_read_b128 v[178:181], v1 offset:1008
	ds_read_b128 v[182:185], v1 offset:1024
	ds_read_b128 v[188:191], v1 offset:1040
	ds_read_b128 v[194:197], v1 offset:1056
	ds_read_b128 v[198:201], v1 offset:1072
	ds_read_b128 v[202:205], v1 offset:1088
	ds_read_b128 v[212:215], v1 offset:1104
	ds_read_b128 v[216:219], v1 offset:1120
	ds_read_b128 v[58:61], v1 offset:1136
	v_cmp_lt_u32_e32 vcc, 5, v0
	s_waitcnt vmcnt(45) lgkmcnt(10)
	v_mul_f64 v[2:3], v[112:113], v[52:53]
	v_fmac_f64_e32 v[2:3], v[114:115], v[48:49]
	v_add_f64 v[2:3], v[2:3], 0
	s_waitcnt vmcnt(41) lgkmcnt(9)
	v_mul_f64 v[4:5], v[170:171], v[54:55]
	v_fmac_f64_e32 v[4:5], v[172:173], v[174:175]
	v_add_f64 v[2:3], v[2:3], v[4:5]
	buffer_load_dword v96, off, s[0:3], 0 offset:312
	buffer_load_dword v117, off, s[0:3], 0 offset:308
	;; [unrolled: 1-line block ×21, first 2 shown]
	s_waitcnt vmcnt(60) lgkmcnt(8)
	v_mul_f64 v[6:7], v[178:179], v[46:47]
	s_waitcnt vmcnt(58) lgkmcnt(6)
	v_mul_f64 v[10:11], v[188:189], v[62:63]
	s_waitcnt vmcnt(56)
	v_fmac_f64_e32 v[10:11], v[190:191], v[192:193]
	v_mul_f64 v[46:47], v[180:181], v[46:47]
	s_waitcnt vmcnt(54)
	v_mul_f64 v[8:9], v[182:183], v[64:65]
	s_waitcnt vmcnt(52) lgkmcnt(4)
	v_mul_f64 v[14:15], v[198:199], v[66:67]
	s_waitcnt vmcnt(50)
	v_fmac_f64_e32 v[14:15], v[200:201], v[68:69]
	s_waitcnt vmcnt(48)
	v_mul_f64 v[12:13], v[194:195], v[70:71]
	s_waitcnt vmcnt(46) lgkmcnt(2)
	v_mul_f64 v[18:19], v[212:213], v[76:77]
	s_waitcnt vmcnt(43)
	v_mul_f64 v[16:17], v[202:203], v[78:79]
	s_waitcnt vmcnt(41) lgkmcnt(1)
	v_mul_f64 v[20:21], v[216:217], v[72:73]
	s_waitcnt vmcnt(39)
	v_fmac_f64_e32 v[6:7], v[180:181], v[90:91]
	v_add_f64 v[2:3], v[2:3], v[6:7]
	s_waitcnt vmcnt(37)
	v_fmac_f64_e32 v[8:9], v[184:185], v[88:89]
	v_add_f64 v[2:3], v[2:3], v[8:9]
	;; [unrolled: 3-line block ×3, first 2 shown]
	v_add_f64 v[2:3], v[2:3], v[12:13]
	v_add_f64 v[2:3], v[2:3], v[14:15]
	s_waitcnt vmcnt(33)
	v_fmac_f64_e32 v[16:17], v[204:205], v[80:81]
	v_add_f64 v[2:3], v[2:3], v[16:17]
	s_waitcnt vmcnt(32)
	v_fmac_f64_e32 v[18:19], v[214:215], v[74:75]
	;; [unrolled: 3-line block ×3, first 2 shown]
	v_add_f64 v[2:3], v[2:3], v[20:21]
	v_fma_f64 v[90:91], v[178:179], v[90:91], -v[46:47]
	v_mul_f64 v[46:47], v[184:185], v[64:65]
	s_waitcnt vmcnt(0)
	v_pk_mov_b32 v[14:15], v[4:5], v[4:5] op_sel:[0,1]
	buffer_load_dword v5, off, s[0:3], 0 offset:420
	buffer_load_dword v4, off, s[0:3], 0 offset:416
	v_accvgpr_write_b32 a163, v15
	v_accvgpr_write_b32 a162, v14
	s_waitcnt vmcnt(0)
	v_pk_mov_b32 v[16:17], v[4:5], v[4:5] op_sel:[0,1]
	buffer_load_dword v105, off, s[0:3], 0 offset:412
	buffer_load_dword v104, off, s[0:3], 0 offset:408
	;; [unrolled: 1-line block ×6, first 2 shown]
	v_accvgpr_write_b32 a165, v17
	v_accvgpr_write_b32 a164, v16
	s_waitcnt vmcnt(0)
	v_pk_mov_b32 v[22:23], v[4:5], v[4:5] op_sel:[0,1]
	buffer_load_dword v5, off, s[0:3], 0 offset:452
	buffer_load_dword v4, off, s[0:3], 0 offset:448
	v_accvgpr_write_b32 a169, v23
	v_accvgpr_write_b32 a168, v22
	s_waitcnt vmcnt(0)
	v_pk_mov_b32 v[24:25], v[4:5], v[4:5] op_sel:[0,1]
	buffer_load_dword v5, off, s[0:3], 0 offset:444
	buffer_load_dword v4, off, s[0:3], 0 offset:440
	;; [unrolled: 6-line block ×3, first 2 shown]
	buffer_load_dword v5, off, s[0:3], 0 offset:492
	buffer_load_dword v4, off, s[0:3], 0 offset:488
	v_accvgpr_write_b32 a167, v19
	v_accvgpr_write_b32 a166, v18
	s_waitcnt vmcnt(0)
	v_pk_mov_b32 v[30:31], v[4:5], v[4:5] op_sel:[0,1]
	buffer_load_dword v5, off, s[0:3], 0 offset:484
	buffer_load_dword v4, off, s[0:3], 0 offset:480
	v_accvgpr_write_b32 a173, v31
	v_accvgpr_write_b32 a172, v30
	s_waitcnt vmcnt(0)
	v_pk_mov_b32 v[32:33], v[4:5], v[4:5] op_sel:[0,1]
	buffer_load_dword v147, off, s[0:3], 0 offset:476
	buffer_load_dword v146, off, s[0:3], 0 offset:472
	;; [unrolled: 1-line block ×6, first 2 shown]
	v_accvgpr_write_b32 a175, v33
	v_accvgpr_write_b32 a174, v32
	s_waitcnt vmcnt(0)
	v_pk_mov_b32 v[38:39], v[4:5], v[4:5] op_sel:[0,1]
	buffer_load_dword v5, off, s[0:3], 0 offset:516
	buffer_load_dword v4, off, s[0:3], 0 offset:512
	v_accvgpr_write_b32 a177, v39
	v_accvgpr_write_b32 a176, v38
	s_waitcnt vmcnt(0)
	v_pk_mov_b32 v[40:41], v[4:5], v[4:5] op_sel:[0,1]
	buffer_load_dword v155, off, s[0:3], 0 offset:508
	buffer_load_dword v154, off, s[0:3], 0 offset:504
	;; [unrolled: 1-line block ×6, first 2 shown]
	v_accvgpr_write_b32 a179, v41
	v_accvgpr_write_b32 a178, v40
	s_waitcnt vmcnt(0)
	v_pk_mov_b32 v[176:177], v[4:5], v[4:5] op_sel:[0,1]
	buffer_load_dword v5, off, s[0:3], 0 offset:548
	buffer_load_dword v4, off, s[0:3], 0 offset:544
	;; [unrolled: 1-line block ×22, first 2 shown]
	ds_read_b128 v[220:223], v1 offset:1152
	ds_read_b128 v[228:231], v1 offset:1168
	;; [unrolled: 1-line block ×12, first 2 shown]
	s_waitcnt lgkmcnt(5)
	v_mul_f64 v[8:9], v[248:249], v[104:105]
	v_fmac_f64_e32 v[8:9], v[250:251], v[106:107]
	s_waitcnt lgkmcnt(4)
	v_mul_f64 v[12:13], v[138:139], v[14:15]
	v_fmac_f64_e32 v[12:13], v[140:141], v[16:17]
	;; [unrolled: 3-line block ×5, first 2 shown]
	s_waitcnt lgkmcnt(0)
	v_mul_f64 v[28:29], v[122:123], v[30:31]
	ds_read_b128 v[118:121], v1 offset:1344
	v_fmac_f64_e32 v[28:29], v[124:125], v[32:33]
	v_accvgpr_write_b32 a181, v177
	v_accvgpr_write_b32 a180, v176
	s_waitcnt vmcnt(14)
	v_accvgpr_write_b32 a185, v57
	v_accvgpr_write_b32 a184, v56
	v_pk_mov_b32 v[186:187], v[4:5], v[4:5] op_sel:[0,1]
	v_mul_f64 v[4:5], v[58:59], v[84:85]
	v_fmac_f64_e32 v[4:5], v[60:61], v[86:87]
	v_add_f64 v[2:3], v[2:3], v[4:5]
	v_mul_f64 v[4:5], v[220:221], v[96:97]
	v_fmac_f64_e32 v[4:5], v[222:223], v[116:117]
	v_add_f64 v[2:3], v[2:3], v[4:5]
	;; [unrolled: 3-line block ×7, first 2 shown]
	v_add_f64 v[10:11], v[6:7], v[8:9]
	v_add_f64 v[14:15], v[10:11], v[12:13]
	;; [unrolled: 1-line block ×6, first 2 shown]
	ds_read_b128 v[26:29], v1 offset:1360
	s_waitcnt lgkmcnt(1)
	v_mul_f64 v[32:33], v[118:119], v[154:155]
	v_fmac_f64_e32 v[32:33], v[120:121], v[156:157]
	v_add_f64 v[34:35], v[30:31], v[32:33]
	ds_read_b128 v[30:33], v1 offset:1376
	s_waitcnt lgkmcnt(1)
	v_mul_f64 v[36:37], v[26:27], v[38:39]
	v_fmac_f64_e32 v[36:37], v[28:29], v[40:41]
	v_add_f64 v[38:39], v[34:35], v[36:37]
	ds_read_b128 v[34:37], v1 offset:1392
	s_waitcnt lgkmcnt(1)
	v_mul_f64 v[40:41], v[30:31], v[158:159]
	v_fmac_f64_e32 v[40:41], v[32:33], v[160:161]
	v_mul_f64 v[4:5], v[114:115], v[52:53]
	v_add_f64 v[42:43], v[38:39], v[40:41]
	s_waitcnt lgkmcnt(0)
	v_mul_f64 v[44:45], v[34:35], v[176:177]
	v_fmac_f64_e32 v[44:45], v[36:37], v[186:187]
	v_fma_f64 v[22:23], v[112:113], v[48:49], -v[4:5]
	v_mul_f64 v[48:49], v[172:173], v[54:55]
	ds_read_b128 v[38:41], v1 offset:1408
	v_add_f64 v[2:3], v[42:43], v[44:45]
	ds_read_b128 v[42:45], v1 offset:1424
	v_fma_f64 v[112:113], v[170:171], v[174:175], -v[48:49]
	buffer_load_dword v171, off, s[0:3], 0 offset:636
	buffer_load_dword v170, off, s[0:3], 0 offset:632
	;; [unrolled: 1-line block ×8, first 2 shown]
	v_accvgpr_write_b32 a182, v186
	v_fma_f64 v[18:19], v[182:183], v[88:89], -v[46:47]
	buffer_load_dword v179, off, s[0:3], 0 offset:684
	buffer_load_dword v183, off, s[0:3], 0 offset:668
	;; [unrolled: 1-line block ×6, first 2 shown]
	v_accvgpr_write_b32 a183, v187
	buffer_load_dword v187, off, s[0:3], 0 offset:676
	buffer_load_dword v186, off, s[0:3], 0 offset:672
	v_mul_f64 v[8:9], v[190:191], v[62:63]
	v_fma_f64 v[14:15], v[188:189], v[192:193], -v[8:9]
	buffer_load_dword v180, off, s[0:3], 0 offset:712
	buffer_load_dword v191, off, s[0:3], 0 offset:700
	;; [unrolled: 1-line block ×8, first 2 shown]
	v_mul_f64 v[54:55], v[196:197], v[70:71]
	ds_read_b128 v[46:49], v1 offset:1440
	v_fma_f64 v[10:11], v[194:195], v[82:83], -v[54:55]
	buffer_load_dword v195, off, s[0:3], 0 offset:732
	buffer_load_dword v194, off, s[0:3], 0 offset:728
	;; [unrolled: 1-line block ×4, first 2 shown]
	v_mul_f64 v[12:13], v[200:201], v[66:67]
	v_fma_f64 v[12:13], v[198:199], v[68:69], -v[12:13]
	buffer_load_dword v198, off, s[0:3], 0 offset:744
	buffer_load_dword v200, off, s[0:3], 0 offset:736
	;; [unrolled: 1-line block ×4, first 2 shown]
	v_mul_f64 v[54:55], v[204:205], v[78:79]
	v_fma_f64 v[8:9], v[202:203], v[80:81], -v[54:55]
	v_mul_f64 v[16:17], v[214:215], v[76:77]
	v_mul_f64 v[54:55], v[218:219], v[72:73]
	s_waitcnt vmcnt(42) lgkmcnt(2)
	v_mul_f64 v[52:53], v[38:39], v[162:163]
	buffer_load_dword v205, off, s[0:3], 0 offset:764
	buffer_load_dword v204, off, s[0:3], 0 offset:760
	;; [unrolled: 1-line block ×8, first 2 shown]
	v_fma_f64 v[16:17], v[212:213], v[74:75], -v[16:17]
	buffer_load_dword v202, off, s[0:3], 0 offset:808
	buffer_load_dword v215, off, s[0:3], 0 offset:796
	;; [unrolled: 1-line block ×8, first 2 shown]
	v_fma_f64 v[6:7], v[216:217], v[98:99], -v[54:55]
	ds_read_b128 v[216:219], v1 offset:1456
	s_waitcnt vmcnt(56)
	v_fmac_f64_e32 v[52:53], v[40:41], v[164:165]
	v_add_f64 v[2:3], v[2:3], v[52:53]
	s_waitcnt lgkmcnt(2)
	v_mul_f64 v[52:53], v[42:43], v[56:57]
	ds_read_b128 v[54:57], v1 offset:1472
	v_fmac_f64_e32 v[52:53], v[44:45], v[144:145]
	s_waitcnt vmcnt(50) lgkmcnt(2)
	v_mul_f64 v[20:21], v[46:47], v[166:167]
	v_add_f64 v[2:3], v[2:3], v[52:53]
	s_waitcnt vmcnt(48)
	v_fmac_f64_e32 v[20:21], v[48:49], v[168:169]
	v_add_f64 v[2:3], v[2:3], v[20:21]
	s_waitcnt lgkmcnt(1)
	v_mul_f64 v[20:21], v[216:217], v[148:149]
	v_fmac_f64_e32 v[20:21], v[218:219], v[152:153]
	v_add_f64 v[2:3], v[2:3], v[20:21]
	v_mul_f64 v[20:21], v[60:61], v[84:85]
	v_fma_f64 v[20:21], v[58:59], v[86:87], -v[20:21]
	ds_read_b128 v[58:61], v1 offset:1488
	ds_read_b128 v[62:65], v1 offset:1504
	;; [unrolled: 1-line block ×4, first 2 shown]
	v_mul_f64 v[74:75], v[234:235], v[224:225]
	ds_read_b128 v[82:85], v1 offset:1584
	ds_read_b128 v[86:89], v1 offset:1600
	;; [unrolled: 1-line block ×3, first 2 shown]
	s_waitcnt vmcnt(46) lgkmcnt(7)
	v_mul_f64 v[52:53], v[54:55], v[170:171]
	s_waitcnt vmcnt(44)
	v_fmac_f64_e32 v[52:53], v[56:57], v[176:177]
	v_add_f64 v[2:3], v[2:3], v[52:53]
	v_mul_f64 v[52:53], v[222:223], v[96:97]
	s_waitcnt vmcnt(41) lgkmcnt(6)
	v_mul_f64 v[24:25], v[58:59], v[172:173]
	v_fma_f64 v[4:5], v[220:221], v[116:117], -v[52:53]
	s_waitcnt vmcnt(40)
	v_fmac_f64_e32 v[24:25], v[60:61], v[174:175]
	s_waitcnt vmcnt(37) lgkmcnt(5)
	v_mul_f64 v[52:53], v[62:63], v[182:183]
	v_add_f64 v[2:3], v[2:3], v[24:25]
	v_mul_f64 v[24:25], v[230:231], v[92:93]
	s_waitcnt vmcnt(35)
	v_fmac_f64_e32 v[52:53], v[64:65], v[184:185]
	v_fma_f64 v[92:93], v[232:233], v[252:253], -v[74:75]
	ds_read_b128 v[74:77], v1 offset:1552
	v_add_f64 v[2:3], v[2:3], v[52:53]
	s_waitcnt vmcnt(34) lgkmcnt(5)
	v_mul_f64 v[52:53], v[66:67], v[178:179]
	s_waitcnt vmcnt(32)
	v_fmac_f64_e32 v[52:53], v[68:69], v[186:187]
	v_add_f64 v[2:3], v[2:3], v[52:53]
	s_waitcnt vmcnt(29) lgkmcnt(4)
	v_mul_f64 v[52:53], v[70:71], v[190:191]
	s_waitcnt vmcnt(27)
	v_fmac_f64_e32 v[52:53], v[72:73], v[192:193]
	v_add_f64 v[2:3], v[2:3], v[52:53]
	s_waitcnt vmcnt(25) lgkmcnt(0)
	v_mul_f64 v[52:53], v[74:75], v[180:181]
	s_waitcnt vmcnt(24)
	v_fmac_f64_e32 v[52:53], v[76:77], v[188:189]
	v_add_f64 v[2:3], v[2:3], v[52:53]
	v_mul_f64 v[52:53], v[238:239], v[108:109]
	v_fma_f64 v[110:111], v[236:237], v[110:111], -v[52:53]
	s_waitcnt vmcnt(22)
	v_mul_f64 v[52:53], v[78:79], v[194:195]
	s_waitcnt vmcnt(20)
	v_fmac_f64_e32 v[52:53], v[80:81], v[196:197]
	v_add_f64 v[2:3], v[2:3], v[52:53]
	v_mul_f64 v[52:53], v[242:243], v[254:255]
	v_fma_f64 v[224:225], v[240:241], v[50:51], -v[52:53]
	s_waitcnt vmcnt(17)
	v_mul_f64 v[50:51], v[82:83], v[198:199]
	s_waitcnt vmcnt(16)
	v_fmac_f64_e32 v[50:51], v[84:85], v[200:201]
	v_fma_f64 v[24:25], v[228:229], v[94:95], -v[24:25]
	v_add_f64 v[2:3], v[2:3], v[50:51]
	ds_read_b128 v[220:223], v1 offset:1616
	ds_read_b128 v[94:97], v1 offset:1632
	v_mul_f64 v[50:51], v[246:247], v[100:101]
	ds_read_b128 v[98:101], v1 offset:1648
	buffer_load_dword v229, off, s[0:3], 0 offset:828
	buffer_load_dword v228, off, s[0:3], 0 offset:824
	;; [unrolled: 1-line block ×4, first 2 shown]
	v_fma_f64 v[246:247], v[244:245], v[102:103], -v[50:51]
	v_mul_f64 v[52:53], v[250:251], v[104:105]
	ds_read_b128 v[102:105], v1 offset:1664
	buffer_load_dword v232, off, s[0:3], 0 offset:840
	buffer_load_dword v233, off, s[0:3], 0 offset:844
	;; [unrolled: 1-line block ×4, first 2 shown]
	s_waitcnt vmcnt(22)
	v_mul_f64 v[50:51], v[86:87], v[204:205]
	s_waitcnt vmcnt(20)
	v_fmac_f64_e32 v[50:51], v[88:89], v[208:209]
	v_add_f64 v[2:3], v[2:3], v[50:51]
	s_waitcnt vmcnt(18) lgkmcnt(3)
	v_mul_f64 v[50:51], v[220:221], v[206:207]
	s_waitcnt vmcnt(16)
	v_fmac_f64_e32 v[50:51], v[222:223], v[210:211]
	v_add_f64 v[2:3], v[2:3], v[50:51]
	s_waitcnt vmcnt(13) lgkmcnt(2)
	v_mul_f64 v[50:51], v[94:95], v[214:215]
	v_fma_f64 v[250:251], v[248:249], v[106:107], -v[52:53]
	s_waitcnt vmcnt(11)
	v_fmac_f64_e32 v[50:51], v[96:97], v[226:227]
	ds_read_b128 v[106:109], v1 offset:1680
	buffer_load_dword v237, off, s[0:3], 0 offset:860
	buffer_load_dword v236, off, s[0:3], 0 offset:856
	;; [unrolled: 1-line block ×4, first 2 shown]
	v_add_f64 v[2:3], v[2:3], v[50:51]
	s_waitcnt vmcnt(13) lgkmcnt(2)
	v_mul_f64 v[50:51], v[98:99], v[202:203]
	s_waitcnt vmcnt(12)
	v_fmac_f64_e32 v[50:51], v[100:101], v[212:213]
	v_add_f64 v[2:3], v[2:3], v[50:51]
	s_waitcnt vmcnt(10) lgkmcnt(1)
	v_mul_f64 v[50:51], v[102:103], v[228:229]
	s_waitcnt vmcnt(8)
	v_fmac_f64_e32 v[50:51], v[104:105], v[230:231]
	;; [unrolled: 5-line block ×3, first 2 shown]
	v_add_f64 v[2:3], v[2:3], v[50:51]
	ds_read_b128 v[50:53], v1 offset:1696
	buffer_load_dword v242, off, s[0:3], 0 offset:872
	buffer_load_dword v243, off, s[0:3], 0 offset:876
	;; [unrolled: 1-line block ×4, first 2 shown]
	s_waitcnt vmcnt(6) lgkmcnt(0)
	v_mul_f64 v[114:115], v[50:51], v[236:237]
	s_waitcnt vmcnt(4)
	v_fmac_f64_e32 v[114:115], v[52:53], v[238:239]
	v_add_f64 v[2:3], v[2:3], v[114:115]
	ds_read_b128 v[114:117], v1 offset:1712
	buffer_load_dword v248, off, s[0:3], 0 offset:112
	buffer_load_dword v249, off, s[0:3], 0 offset:116
	s_waitcnt vmcnt(4) lgkmcnt(0)
	v_mul_f64 v[240:241], v[114:115], v[242:243]
	s_waitcnt vmcnt(2)
	v_fmac_f64_e32 v[240:241], v[116:117], v[244:245]
	v_add_f64 v[240:241], v[2:3], v[240:241]
	v_add_f64 v[2:3], v[22:23], 0
	;; [unrolled: 1-line block ×18, first 2 shown]
	buffer_load_dword v246, off, s[0:3], 0 offset:120
	buffer_load_dword v247, off, s[0:3], 0 offset:124
	v_accvgpr_read_b32 v4, a162
	v_accvgpr_read_b32 v5, a163
	;; [unrolled: 1-line block ×3, first 2 shown]
	v_mul_f64 v[4:5], v[140:141], v[4:5]
	v_accvgpr_read_b32 v7, a165
	v_add_f64 v[2:3], v[252:253], v[250:251]
	v_fma_f64 v[4:5], v[138:139], v[6:7], -v[4:5]
	v_add_f64 v[2:3], v[2:3], v[4:5]
	v_accvgpr_read_b32 v4, a166
	v_accvgpr_read_b32 v5, a167
	v_mul_f64 v[4:5], v[136:137], v[4:5]
	v_fma_f64 v[4:5], v[134:135], v[142:143], -v[4:5]
	v_add_f64 v[2:3], v[2:3], v[4:5]
	v_accvgpr_read_b32 v4, a168
	v_accvgpr_read_b32 v5, a169
	v_accvgpr_read_b32 v6, a170
	v_mul_f64 v[4:5], v[132:133], v[4:5]
	v_accvgpr_read_b32 v7, a171
	v_fma_f64 v[4:5], v[130:131], v[6:7], -v[4:5]
	v_add_f64 v[2:3], v[2:3], v[4:5]
	v_mul_f64 v[4:5], v[128:129], v[146:147]
	v_fma_f64 v[4:5], v[126:127], v[150:151], -v[4:5]
	v_add_f64 v[2:3], v[2:3], v[4:5]
	v_accvgpr_read_b32 v4, a172
	v_accvgpr_read_b32 v5, a173
	v_accvgpr_read_b32 v6, a174
	v_mul_f64 v[4:5], v[124:125], v[4:5]
	v_accvgpr_read_b32 v7, a175
	v_fma_f64 v[4:5], v[122:123], v[6:7], -v[4:5]
	v_add_f64 v[2:3], v[2:3], v[4:5]
	v_mul_f64 v[4:5], v[120:121], v[154:155]
	v_fma_f64 v[4:5], v[118:119], v[156:157], -v[4:5]
	v_add_f64 v[2:3], v[2:3], v[4:5]
	v_accvgpr_read_b32 v4, a176
	v_accvgpr_read_b32 v5, a177
	v_accvgpr_read_b32 v6, a178
	v_mul_f64 v[4:5], v[28:29], v[4:5]
	v_accvgpr_read_b32 v7, a179
	v_fma_f64 v[4:5], v[26:27], v[6:7], -v[4:5]
	v_add_f64 v[2:3], v[2:3], v[4:5]
	v_mul_f64 v[4:5], v[32:33], v[158:159]
	v_fma_f64 v[4:5], v[30:31], v[160:161], -v[4:5]
	v_add_f64 v[2:3], v[2:3], v[4:5]
	v_accvgpr_read_b32 v4, a180
	v_accvgpr_read_b32 v5, a181
	v_accvgpr_read_b32 v6, a182
	v_mul_f64 v[4:5], v[36:37], v[4:5]
	v_accvgpr_read_b32 v7, a183
	v_fma_f64 v[4:5], v[34:35], v[6:7], -v[4:5]
	v_add_f64 v[2:3], v[2:3], v[4:5]
	v_mul_f64 v[4:5], v[40:41], v[162:163]
	v_fma_f64 v[4:5], v[38:39], v[164:165], -v[4:5]
	v_add_f64 v[2:3], v[2:3], v[4:5]
	v_accvgpr_read_b32 v4, a184
	v_accvgpr_read_b32 v5, a185
	v_mul_f64 v[4:5], v[44:45], v[4:5]
	v_fma_f64 v[4:5], v[42:43], v[144:145], -v[4:5]
	v_add_f64 v[2:3], v[2:3], v[4:5]
	v_mul_f64 v[4:5], v[48:49], v[166:167]
	v_fma_f64 v[4:5], v[46:47], v[168:169], -v[4:5]
	v_add_f64 v[2:3], v[2:3], v[4:5]
	;; [unrolled: 3-line block ×19, first 2 shown]
	s_waitcnt vmcnt(2)
	v_add_f64 v[2:3], v[248:249], -v[2:3]
	s_waitcnt vmcnt(0)
	v_add_f64 v[4:5], v[246:247], -v[240:241]
	buffer_store_dword v3, off, s[0:3], 0 offset:116
	buffer_store_dword v2, off, s[0:3], 0 offset:112
	;; [unrolled: 1-line block ×4, first 2 shown]
	s_and_saveexec_b64 s[4:5], vcc
	s_cbranch_execz .LBB53_327
; %bb.326:
	v_accvgpr_read_b32 v5, a156
	buffer_load_dword v2, v5, s[0:3], 0 offen
	buffer_load_dword v3, v5, s[0:3], 0 offen offset:4
	buffer_load_dword v4, v5, s[0:3], 0 offen offset:8
	s_nop 0
	buffer_load_dword v5, v5, s[0:3], 0 offen offset:12
	v_accvgpr_read_b32 v6, a161
	buffer_store_dword v1, off, s[0:3], 0 offset:96
	buffer_store_dword v1, off, s[0:3], 0 offset:100
	;; [unrolled: 1-line block ×4, first 2 shown]
	s_waitcnt vmcnt(4)
	ds_write_b128 v6, v[2:5]
.LBB53_327:
	s_or_b64 exec, exec, s[4:5]
	s_waitcnt lgkmcnt(0)
	; wave barrier
	s_waitcnt lgkmcnt(0)
	buffer_load_dword v42, off, s[0:3], 0 offset:112
	buffer_load_dword v43, off, s[0:3], 0 offset:116
	;; [unrolled: 1-line block ×42, first 2 shown]
	ds_read_b128 v[110:113], v1 offset:960
	ds_read_b128 v[114:117], v1 offset:976
	;; [unrolled: 1-line block ×10, first 2 shown]
	buffer_load_dword v213, off, s[0:3], 0 offset:260
	buffer_load_dword v212, off, s[0:3], 0 offset:256
	ds_read_b128 v[50:53], v1 offset:1120
	buffer_load_dword v89, off, s[0:3], 0 offset:316
	buffer_load_dword v88, off, s[0:3], 0 offset:312
	;; [unrolled: 1-line block ×8, first 2 shown]
	v_cmp_lt_u32_e32 vcc, 4, v0
	s_waitcnt vmcnt(48) lgkmcnt(10)
	v_mul_f64 v[2:3], v[110:111], v[48:49]
	v_fmac_f64_e32 v[2:3], v[112:113], v[42:43]
	v_add_f64 v[2:3], v[2:3], 0
	s_waitcnt vmcnt(44) lgkmcnt(9)
	v_mul_f64 v[4:5], v[114:115], v[168:169]
	v_fmac_f64_e32 v[4:5], v[116:117], v[44:45]
	v_add_f64 v[2:3], v[2:3], v[4:5]
	buffer_load_dword v107, off, s[0:3], 0 offset:348
	buffer_load_dword v106, off, s[0:3], 0 offset:344
	buffer_load_dword v109, off, s[0:3], 0 offset:340
	buffer_load_dword v249, off, s[0:3], 0 offset:332
	buffer_load_dword v248, off, s[0:3], 0 offset:328
	buffer_load_dword v251, off, s[0:3], 0 offset:324
	buffer_load_dword v250, off, s[0:3], 0 offset:320
	buffer_load_dword v108, off, s[0:3], 0 offset:336
	buffer_load_dword v93, off, s[0:3], 0 offset:380
	buffer_load_dword v92, off, s[0:3], 0 offset:376
	buffer_load_dword v95, off, s[0:3], 0 offset:372
	buffer_load_dword v55, off, s[0:3], 0 offset:364
	buffer_load_dword v54, off, s[0:3], 0 offset:360
	buffer_load_dword v207, off, s[0:3], 0 offset:356
	buffer_load_dword v206, off, s[0:3], 0 offset:352
	buffer_load_dword v94, off, s[0:3], 0 offset:368
	buffer_load_dword v99, off, s[0:3], 0 offset:412
	buffer_load_dword v98, off, s[0:3], 0 offset:408
	buffer_load_dword v101, off, s[0:3], 0 offset:404
	buffer_load_dword v103, off, s[0:3], 0 offset:396
	buffer_load_dword v102, off, s[0:3], 0 offset:392
	buffer_load_dword v105, off, s[0:3], 0 offset:388
	buffer_load_dword v104, off, s[0:3], 0 offset:384
	buffer_load_dword v100, off, s[0:3], 0 offset:400
	buffer_load_dword v5, off, s[0:3], 0 offset:444
	buffer_load_dword v4, off, s[0:3], 0 offset:440
	s_waitcnt vmcnt(62) lgkmcnt(8)
	v_mul_f64 v[6:7], v[174:175], v[46:47]
	s_waitcnt lgkmcnt(6)
	v_mul_f64 v[10:11], v[186:187], v[58:59]
	v_fmac_f64_e32 v[10:11], v[188:189], v[56:57]
	v_mul_f64 v[46:47], v[176:177], v[46:47]
	v_mul_f64 v[8:9], v[178:179], v[60:61]
	s_waitcnt vmcnt(60) lgkmcnt(4)
	v_mul_f64 v[14:15], v[194:195], v[62:63]
	s_waitcnt vmcnt(58)
	v_fmac_f64_e32 v[14:15], v[196:197], v[64:65]
	s_waitcnt vmcnt(56)
	v_mul_f64 v[12:13], v[190:191], v[66:67]
	s_waitcnt vmcnt(54) lgkmcnt(2)
	v_mul_f64 v[18:19], v[202:203], v[68:69]
	s_waitcnt vmcnt(51)
	v_mul_f64 v[16:17], v[198:199], v[74:75]
	s_waitcnt vmcnt(49) lgkmcnt(1)
	v_mul_f64 v[20:21], v[208:209], v[72:73]
	s_waitcnt vmcnt(47)
	v_fmac_f64_e32 v[6:7], v[176:177], v[82:83]
	v_add_f64 v[2:3], v[2:3], v[6:7]
	s_waitcnt vmcnt(45)
	v_fmac_f64_e32 v[8:9], v[180:181], v[80:81]
	v_add_f64 v[2:3], v[2:3], v[8:9]
	;; [unrolled: 3-line block ×3, first 2 shown]
	v_add_f64 v[2:3], v[2:3], v[12:13]
	s_waitcnt vmcnt(41)
	v_fmac_f64_e32 v[16:17], v[200:201], v[76:77]
	v_add_f64 v[2:3], v[2:3], v[14:15]
	s_waitcnt vmcnt(40)
	v_fmac_f64_e32 v[18:19], v[204:205], v[70:71]
	v_add_f64 v[2:3], v[2:3], v[16:17]
	v_add_f64 v[2:3], v[2:3], v[18:19]
	s_waitcnt vmcnt(34)
	v_fmac_f64_e32 v[20:21], v[210:211], v[212:213]
	v_add_f64 v[2:3], v[2:3], v[20:21]
	s_waitcnt vmcnt(0)
	v_pk_mov_b32 v[18:19], v[4:5], v[4:5] op_sel:[0,1]
	buffer_load_dword v5, off, s[0:3], 0 offset:436
	buffer_load_dword v7, off, s[0:3], 0 offset:428
	;; [unrolled: 1-line block ×3, first 2 shown]
	v_accvgpr_write_b32 a167, v19
	v_accvgpr_write_b32 a166, v18
	s_waitcnt vmcnt(0)
	v_pk_mov_b32 v[14:15], v[6:7], v[6:7] op_sel:[0,1]
	buffer_load_dword v7, off, s[0:3], 0 offset:420
	buffer_load_dword v6, off, s[0:3], 0 offset:416
	;; [unrolled: 1-line block ×3, first 2 shown]
	v_accvgpr_write_b32 a163, v15
	v_accvgpr_write_b32 a162, v14
	s_waitcnt vmcnt(1)
	v_pk_mov_b32 v[16:17], v[6:7], v[6:7] op_sel:[0,1]
	s_waitcnt vmcnt(0)
	v_pk_mov_b32 v[22:23], v[4:5], v[4:5] op_sel:[0,1]
	buffer_load_dword v5, off, s[0:3], 0 offset:476
	buffer_load_dword v4, off, s[0:3], 0 offset:472
	v_accvgpr_write_b32 a165, v17
	v_accvgpr_write_b32 a164, v16
	;; [unrolled: 1-line block ×4, first 2 shown]
	s_waitcnt vmcnt(0)
	v_pk_mov_b32 v[26:27], v[4:5], v[4:5] op_sel:[0,1]
	buffer_load_dword v5, off, s[0:3], 0 offset:468
	buffer_load_dword v7, off, s[0:3], 0 offset:460
	;; [unrolled: 1-line block ×6, first 2 shown]
	v_accvgpr_write_b32 a173, v27
	v_accvgpr_write_b32 a172, v26
	s_waitcnt vmcnt(3)
	v_pk_mov_b32 v[24:25], v[6:7], v[6:7] op_sel:[0,1]
	s_waitcnt vmcnt(0)
	v_pk_mov_b32 v[28:29], v[4:5], v[4:5] op_sel:[0,1]
	buffer_load_dword v5, off, s[0:3], 0 offset:508
	buffer_load_dword v4, off, s[0:3], 0 offset:504
	v_accvgpr_write_b32 a171, v25
	v_accvgpr_write_b32 a170, v24
	;; [unrolled: 1-line block ×4, first 2 shown]
	s_waitcnt vmcnt(0)
	v_pk_mov_b32 v[34:35], v[4:5], v[4:5] op_sel:[0,1]
	buffer_load_dword v5, off, s[0:3], 0 offset:500
	buffer_load_dword v149, off, s[0:3], 0 offset:492
	;; [unrolled: 1-line block ×6, first 2 shown]
	v_accvgpr_write_b32 a177, v35
	v_accvgpr_write_b32 a176, v34
	s_waitcnt vmcnt(0)
	v_pk_mov_b32 v[36:37], v[4:5], v[4:5] op_sel:[0,1]
	buffer_load_dword v5, off, s[0:3], 0 offset:540
	buffer_load_dword v4, off, s[0:3], 0 offset:536
	v_accvgpr_write_b32 a179, v37
	v_accvgpr_write_b32 a178, v36
	s_waitcnt vmcnt(0)
	v_pk_mov_b32 v[38:39], v[4:5], v[4:5] op_sel:[0,1]
	buffer_load_dword v5, off, s[0:3], 0 offset:532
	buffer_load_dword v153, off, s[0:3], 0 offset:524
	;; [unrolled: 1-line block ×6, first 2 shown]
	v_accvgpr_write_b32 a181, v39
	v_accvgpr_write_b32 a180, v38
	s_waitcnt vmcnt(0)
	v_pk_mov_b32 v[40:41], v[4:5], v[4:5] op_sel:[0,1]
	buffer_load_dword v5, off, s[0:3], 0 offset:572
	buffer_load_dword v4, off, s[0:3], 0 offset:568
	;; [unrolled: 1-line block ×14, first 2 shown]
	ds_read_b128 v[216:219], v1 offset:1136
	ds_read_b128 v[220:223], v1 offset:1152
	;; [unrolled: 1-line block ×12, first 2 shown]
	s_waitcnt lgkmcnt(4)
	v_mul_f64 v[8:9], v[252:253], v[98:99]
	ds_read_b128 v[122:125], v1 offset:1328
	ds_read_b128 v[118:121], v1 offset:1344
	v_fmac_f64_e32 v[8:9], v[254:255], v[100:101]
	s_waitcnt lgkmcnt(5)
	v_mul_f64 v[12:13], v[138:139], v[14:15]
	v_fmac_f64_e32 v[12:13], v[140:141], v[16:17]
	s_waitcnt lgkmcnt(4)
	v_mul_f64 v[16:17], v[134:135], v[18:19]
	v_fmac_f64_e32 v[16:17], v[136:137], v[22:23]
	s_waitcnt lgkmcnt(3)
	v_mul_f64 v[20:21], v[130:131], v[24:25]
	v_fmac_f64_e32 v[20:21], v[132:133], v[144:145]
	s_waitcnt lgkmcnt(2)
	v_mul_f64 v[24:25], v[126:127], v[26:27]
	v_fmac_f64_e32 v[24:25], v[128:129], v[28:29]
	s_waitcnt lgkmcnt(1)
	v_mul_f64 v[28:29], v[122:123], v[148:149]
	v_fmac_f64_e32 v[28:29], v[124:125], v[150:151]
	s_waitcnt lgkmcnt(0)
	v_mul_f64 v[32:33], v[118:119], v[34:35]
	v_fmac_f64_e32 v[32:33], v[120:121], v[36:37]
	v_accvgpr_write_b32 a183, v41
	v_accvgpr_write_b32 a182, v40
	v_mul_f64 v[98:99], v[254:255], v[98:99]
	v_fma_f64 v[252:253], v[252:253], v[100:101], -v[98:99]
	s_waitcnt vmcnt(12)
	v_pk_mov_b32 v[170:171], v[4:5], v[4:5] op_sel:[0,1]
	v_mul_f64 v[4:5], v[50:51], v[84:85]
	v_fmac_f64_e32 v[4:5], v[52:53], v[86:87]
	v_add_f64 v[2:3], v[2:3], v[4:5]
	v_mul_f64 v[4:5], v[216:217], v[96:97]
	v_fmac_f64_e32 v[4:5], v[218:219], v[224:225]
	v_add_f64 v[2:3], v[2:3], v[4:5]
	;; [unrolled: 3-line block ×8, first 2 shown]
	v_add_f64 v[10:11], v[6:7], v[8:9]
	v_add_f64 v[14:15], v[10:11], v[12:13]
	;; [unrolled: 1-line block ×6, first 2 shown]
	ds_read_b128 v[26:29], v1 offset:1360
	v_add_f64 v[34:35], v[30:31], v[32:33]
	ds_read_b128 v[30:33], v1 offset:1376
	v_accvgpr_write_b32 a185, v171
	v_mul_f64 v[4:5], v[112:113], v[48:49]
	s_waitcnt lgkmcnt(1)
	v_mul_f64 v[36:37], v[26:27], v[152:153]
	v_fmac_f64_e32 v[36:37], v[28:29], v[154:155]
	v_add_f64 v[164:165], v[34:35], v[36:37]
	ds_read_b128 v[34:37], v1 offset:1392
	s_waitcnt lgkmcnt(1)
	v_mul_f64 v[166:167], v[30:31], v[38:39]
	v_fmac_f64_e32 v[166:167], v[32:33], v[40:41]
	ds_read_b128 v[38:41], v1 offset:1408
	v_add_f64 v[164:165], v[164:165], v[166:167]
	s_waitcnt vmcnt(9) lgkmcnt(1)
	v_mul_f64 v[166:167], v[34:35], v[156:157]
	s_waitcnt vmcnt(7)
	v_fmac_f64_e32 v[166:167], v[36:37], v[160:161]
	v_add_f64 v[164:165], v[164:165], v[166:167]
	s_waitcnt lgkmcnt(0)
	v_mul_f64 v[166:167], v[38:39], v[170:171]
	s_waitcnt vmcnt(6)
	v_fmac_f64_e32 v[166:167], v[40:41], v[142:143]
	v_add_f64 v[2:3], v[164:165], v[166:167]
	buffer_load_dword v167, off, s[0:3], 0 offset:596
	buffer_load_dword v166, off, s[0:3], 0 offset:592
	;; [unrolled: 1-line block ×3, first 2 shown]
	v_accvgpr_write_b32 a184, v170
	v_fma_f64 v[22:23], v[110:111], v[42:43], -v[4:5]
	v_mul_f64 v[42:43], v[116:117], v[168:169]
	buffer_load_dword v171, off, s[0:3], 0 offset:620
	buffer_load_dword v170, off, s[0:3], 0 offset:616
	;; [unrolled: 1-line block ×7, first 2 shown]
	v_fma_f64 v[110:111], v[114:115], v[44:45], -v[42:43]
	ds_read_b128 v[42:45], v1 offset:1424
	v_fma_f64 v[112:113], v[174:175], v[82:83], -v[46:47]
	v_mul_f64 v[46:47], v[180:181], v[60:61]
	buffer_load_dword v175, off, s[0:3], 0 offset:652
	buffer_load_dword v174, off, s[0:3], 0 offset:648
	;; [unrolled: 1-line block ×4, first 2 shown]
	v_fma_f64 v[18:19], v[178:179], v[80:81], -v[46:47]
	buffer_load_dword v179, off, s[0:3], 0 offset:668
	buffer_load_dword v178, off, s[0:3], 0 offset:664
	v_mul_f64 v[8:9], v[188:189], v[58:59]
	buffer_load_dword v183, off, s[0:3], 0 offset:660
	buffer_load_dword v182, off, s[0:3], 0 offset:656
	;; [unrolled: 1-line block ×6, first 2 shown]
	v_fma_f64 v[14:15], v[186:187], v[56:57], -v[8:9]
	buffer_load_dword v186, off, s[0:3], 0 offset:696
	v_mul_f64 v[46:47], v[192:193], v[66:67]
	v_fma_f64 v[10:11], v[190:191], v[78:79], -v[46:47]
	buffer_load_dword v190, off, s[0:3], 0 offset:688
	buffer_load_dword v187, off, s[0:3], 0 offset:700
	;; [unrolled: 1-line block ×3, first 2 shown]
	v_mul_f64 v[12:13], v[196:197], v[62:63]
	v_fma_f64 v[12:13], v[194:195], v[64:65], -v[12:13]
	buffer_load_dword v188, off, s[0:3], 0 offset:728
	buffer_load_dword v195, off, s[0:3], 0 offset:716
	;; [unrolled: 1-line block ×8, first 2 shown]
	v_mul_f64 v[48:49], v[200:201], v[74:75]
	v_fma_f64 v[8:9], v[198:199], v[76:77], -v[48:49]
	buffer_load_dword v199, off, s[0:3], 0 offset:748
	buffer_load_dword v198, off, s[0:3], 0 offset:744
	;; [unrolled: 1-line block ×4, first 2 shown]
	v_mul_f64 v[16:17], v[204:205], v[68:69]
	buffer_load_dword v205, off, s[0:3], 0 offset:764
	buffer_load_dword v204, off, s[0:3], 0 offset:760
	;; [unrolled: 1-line block ×4, first 2 shown]
	s_waitcnt vmcnt(44) lgkmcnt(0)
	v_mul_f64 v[46:47], v[42:43], v[158:159]
	s_waitcnt vmcnt(42)
	v_fmac_f64_e32 v[46:47], v[44:45], v[162:163]
	v_mul_f64 v[48:49], v[210:211], v[72:73]
	v_fma_f64 v[16:17], v[202:203], v[70:71], -v[16:17]
	v_fma_f64 v[6:7], v[208:209], v[212:213], -v[48:49]
	buffer_load_dword v202, off, s[0:3], 0 offset:792
	buffer_load_dword v211, off, s[0:3], 0 offset:780
	;; [unrolled: 1-line block ×12, first 2 shown]
	v_add_f64 v[2:3], v[2:3], v[46:47]
	ds_read_b128 v[46:49], v1 offset:1440
	v_mul_f64 v[20:21], v[52:53], v[84:85]
	v_fma_f64 v[20:21], v[50:51], v[86:87], -v[20:21]
	ds_read_b128 v[50:53], v1 offset:1456
	v_mul_f64 v[60:61], v[218:219], v[96:97]
	v_fma_f64 v[224:225], v[216:217], v[224:225], -v[60:61]
	ds_read_b128 v[216:219], v1 offset:1472
	s_waitcnt lgkmcnt(2)
	v_mul_f64 v[58:59], v[46:47], v[146:147]
	v_mul_f64 v[62:63], v[222:223], v[88:89]
	v_fma_f64 v[4:5], v[220:221], v[90:91], -v[62:63]
	ds_read_b128 v[62:65], v1 offset:1504
	v_mul_f64 v[66:67], v[230:231], v[248:249]
	v_fma_f64 v[248:249], v[228:229], v[250:251], -v[66:67]
	ds_read_b128 v[70:73], v1 offset:1536
	ds_read_b128 v[74:77], v1 offset:1552
	;; [unrolled: 1-line block ×3, first 2 shown]
	v_mul_f64 v[54:55], v[238:239], v[54:55]
	v_mul_f64 v[86:87], v[242:243], v[92:93]
	v_fma_f64 v[54:55], v[236:237], v[206:207], -v[54:55]
	v_fma_f64 v[206:207], v[240:241], v[94:95], -v[86:87]
	ds_read_b128 v[86:89], v1 offset:1600
	v_mul_f64 v[90:91], v[246:247], v[102:103]
	v_fma_f64 v[250:251], v[244:245], v[104:105], -v[90:91]
	ds_read_b128 v[66:69], v1 offset:1520
	ds_read_b128 v[90:93], v1 offset:1616
	;; [unrolled: 1-line block ×3, first 2 shown]
	s_waitcnt vmcnt(52)
	v_fmac_f64_e32 v[58:59], v[48:49], v[166:167]
	v_add_f64 v[2:3], v[2:3], v[58:59]
	s_waitcnt vmcnt(49) lgkmcnt(9)
	v_mul_f64 v[58:59], v[50:51], v[170:171]
	s_waitcnt vmcnt(47)
	v_fmac_f64_e32 v[58:59], v[52:53], v[172:173]
	v_add_f64 v[2:3], v[2:3], v[58:59]
	s_waitcnt vmcnt(45) lgkmcnt(8)
	v_mul_f64 v[58:59], v[216:217], v[164:165]
	s_waitcnt vmcnt(44)
	v_fmac_f64_e32 v[58:59], v[218:219], v[168:169]
	v_add_f64 v[2:3], v[2:3], v[58:59]
	ds_read_b128 v[58:61], v1 offset:1488
	s_waitcnt vmcnt(42) lgkmcnt(0)
	v_mul_f64 v[24:25], v[58:59], v[174:175]
	s_waitcnt vmcnt(40)
	v_fmac_f64_e32 v[24:25], v[60:61], v[176:177]
	v_add_f64 v[2:3], v[2:3], v[24:25]
	s_waitcnt vmcnt(38)
	v_mul_f64 v[24:25], v[62:63], v[178:179]
	s_waitcnt vmcnt(36)
	v_fmac_f64_e32 v[24:25], v[64:65], v[182:183]
	v_add_f64 v[2:3], v[2:3], v[24:25]
	s_waitcnt vmcnt(34)
	v_mul_f64 v[24:25], v[66:67], v[180:181]
	s_waitcnt vmcnt(32)
	v_fmac_f64_e32 v[24:25], v[68:69], v[184:185]
	s_waitcnt vmcnt(29)
	v_mul_f64 v[82:83], v[70:71], v[186:187]
	v_add_f64 v[2:3], v[2:3], v[24:25]
	s_waitcnt vmcnt(28)
	v_fmac_f64_e32 v[82:83], v[72:73], v[190:191]
	v_add_f64 v[2:3], v[2:3], v[82:83]
	s_waitcnt vmcnt(25)
	v_mul_f64 v[82:83], v[74:75], v[194:195]
	s_waitcnt vmcnt(23)
	v_fmac_f64_e32 v[82:83], v[76:77], v[196:197]
	v_add_f64 v[2:3], v[2:3], v[82:83]
	s_waitcnt vmcnt(21)
	v_mul_f64 v[82:83], v[78:79], v[188:189]
	s_waitcnt vmcnt(20)
	v_fmac_f64_e32 v[82:83], v[80:81], v[192:193]
	v_add_f64 v[2:3], v[2:3], v[82:83]
	ds_read_b128 v[82:85], v1 offset:1584
	s_waitcnt vmcnt(9)
	v_mul_f64 v[102:103], v[90:91], v[210:211]
	s_waitcnt vmcnt(7)
	v_fmac_f64_e32 v[102:103], v[92:93], v[214:215]
	v_mul_f64 v[24:25], v[234:235], v[106:107]
	v_fma_f64 v[24:25], v[232:233], v[108:109], -v[24:25]
	s_waitcnt lgkmcnt(0)
	v_mul_f64 v[94:95], v[82:83], v[198:199]
	v_fmac_f64_e32 v[94:95], v[84:85], v[200:201]
	v_add_f64 v[2:3], v[2:3], v[94:95]
	v_mul_f64 v[94:95], v[86:87], v[204:205]
	v_fmac_f64_e32 v[94:95], v[88:89], v[56:57]
	v_add_f64 v[2:3], v[2:3], v[94:95]
	ds_read_b128 v[94:97], v1 offset:1632
	buffer_load_dword v228, off, s[0:3], 0 offset:824
	buffer_load_dword v229, off, s[0:3], 0 offset:828
	buffer_load_dword v230, off, s[0:3], 0 offset:816
	buffer_load_dword v231, off, s[0:3], 0 offset:820
	v_add_f64 v[2:3], v[2:3], v[102:103]
	s_waitcnt vmcnt(9) lgkmcnt(0)
	v_mul_f64 v[102:103], v[94:95], v[202:203]
	s_waitcnt vmcnt(8)
	v_fmac_f64_e32 v[102:103], v[96:97], v[208:209]
	v_add_f64 v[2:3], v[2:3], v[102:103]
	s_waitcnt vmcnt(6)
	v_mul_f64 v[102:103], v[98:99], v[212:213]
	s_waitcnt vmcnt(4)
	v_fmac_f64_e32 v[102:103], v[100:101], v[226:227]
	v_add_f64 v[2:3], v[2:3], v[102:103]
	ds_read_b128 v[102:105], v1 offset:1664
	buffer_load_dword v233, off, s[0:3], 0 offset:844
	buffer_load_dword v232, off, s[0:3], 0 offset:840
	buffer_load_dword v235, off, s[0:3], 0 offset:836
	buffer_load_dword v234, off, s[0:3], 0 offset:832
	s_waitcnt vmcnt(6) lgkmcnt(0)
	v_mul_f64 v[106:107], v[102:103], v[228:229]
	s_waitcnt vmcnt(4)
	v_fmac_f64_e32 v[106:107], v[104:105], v[230:231]
	v_add_f64 v[2:3], v[2:3], v[106:107]
	ds_read_b128 v[106:109], v1 offset:1680
	buffer_load_dword v236, off, s[0:3], 0 offset:856
	buffer_load_dword v237, off, s[0:3], 0 offset:860
	;; [unrolled: 1-line block ×4, first 2 shown]
	ds_read_b128 v[220:223], v1 offset:1696
	buffer_load_dword v243, off, s[0:3], 0 offset:876
	buffer_load_dword v242, off, s[0:3], 0 offset:872
	;; [unrolled: 1-line block ×4, first 2 shown]
	s_waitcnt vmcnt(10) lgkmcnt(1)
	v_mul_f64 v[114:115], v[106:107], v[232:233]
	s_waitcnt vmcnt(8)
	v_fmac_f64_e32 v[114:115], v[108:109], v[234:235]
	v_add_f64 v[2:3], v[2:3], v[114:115]
	s_waitcnt vmcnt(6) lgkmcnt(0)
	v_mul_f64 v[114:115], v[220:221], v[236:237]
	s_waitcnt vmcnt(4)
	v_fmac_f64_e32 v[114:115], v[222:223], v[238:239]
	v_add_f64 v[2:3], v[2:3], v[114:115]
	ds_read_b128 v[114:117], v1 offset:1712
	s_waitcnt vmcnt(2) lgkmcnt(0)
	v_mul_f64 v[240:241], v[114:115], v[242:243]
	s_waitcnt vmcnt(0)
	v_fmac_f64_e32 v[240:241], v[116:117], v[244:245]
	v_add_f64 v[240:241], v[2:3], v[240:241]
	v_add_f64 v[2:3], v[22:23], 0
	;; [unrolled: 1-line block ×15, first 2 shown]
	buffer_load_dword v248, off, s[0:3], 0 offset:96
	buffer_load_dword v249, off, s[0:3], 0 offset:100
	buffer_load_dword v246, off, s[0:3], 0 offset:104
	buffer_load_dword v247, off, s[0:3], 0 offset:108
	v_add_f64 v[2:3], v[2:3], v[24:25]
	v_add_f64 v[2:3], v[2:3], v[54:55]
	v_accvgpr_read_b32 v4, a162
	v_add_f64 v[254:255], v[2:3], v[206:207]
	v_accvgpr_read_b32 v5, a163
	v_accvgpr_read_b32 v6, a164
	v_add_f64 v[2:3], v[254:255], v[250:251]
	v_mul_f64 v[4:5], v[140:141], v[4:5]
	v_accvgpr_read_b32 v7, a165
	v_add_f64 v[2:3], v[2:3], v[252:253]
	v_fma_f64 v[4:5], v[138:139], v[6:7], -v[4:5]
	v_add_f64 v[2:3], v[2:3], v[4:5]
	v_accvgpr_read_b32 v4, a166
	v_accvgpr_read_b32 v5, a167
	;; [unrolled: 1-line block ×3, first 2 shown]
	v_mul_f64 v[4:5], v[136:137], v[4:5]
	v_accvgpr_read_b32 v7, a169
	v_fma_f64 v[4:5], v[134:135], v[6:7], -v[4:5]
	v_add_f64 v[2:3], v[2:3], v[4:5]
	v_accvgpr_read_b32 v4, a170
	v_accvgpr_read_b32 v5, a171
	v_mul_f64 v[4:5], v[132:133], v[4:5]
	v_fma_f64 v[4:5], v[130:131], v[144:145], -v[4:5]
	v_add_f64 v[2:3], v[2:3], v[4:5]
	v_accvgpr_read_b32 v4, a172
	v_accvgpr_read_b32 v5, a173
	v_accvgpr_read_b32 v6, a174
	v_mul_f64 v[4:5], v[128:129], v[4:5]
	v_accvgpr_read_b32 v7, a175
	v_fma_f64 v[4:5], v[126:127], v[6:7], -v[4:5]
	v_add_f64 v[2:3], v[2:3], v[4:5]
	v_mul_f64 v[4:5], v[124:125], v[148:149]
	v_fma_f64 v[4:5], v[122:123], v[150:151], -v[4:5]
	v_add_f64 v[2:3], v[2:3], v[4:5]
	v_accvgpr_read_b32 v4, a176
	v_accvgpr_read_b32 v5, a177
	v_accvgpr_read_b32 v6, a178
	v_mul_f64 v[4:5], v[120:121], v[4:5]
	v_accvgpr_read_b32 v7, a179
	v_fma_f64 v[4:5], v[118:119], v[6:7], -v[4:5]
	v_add_f64 v[2:3], v[2:3], v[4:5]
	;; [unrolled: 10-line block ×3, first 2 shown]
	v_mul_f64 v[4:5], v[36:37], v[156:157]
	v_fma_f64 v[4:5], v[34:35], v[160:161], -v[4:5]
	v_add_f64 v[2:3], v[2:3], v[4:5]
	v_accvgpr_read_b32 v4, a184
	v_accvgpr_read_b32 v5, a185
	v_mul_f64 v[4:5], v[40:41], v[4:5]
	v_fma_f64 v[4:5], v[38:39], v[142:143], -v[4:5]
	v_add_f64 v[2:3], v[2:3], v[4:5]
	v_mul_f64 v[4:5], v[44:45], v[158:159]
	v_fma_f64 v[4:5], v[42:43], v[162:163], -v[4:5]
	v_add_f64 v[2:3], v[2:3], v[4:5]
	;; [unrolled: 3-line block ×20, first 2 shown]
	s_waitcnt vmcnt(2)
	v_add_f64 v[2:3], v[248:249], -v[2:3]
	s_waitcnt vmcnt(0)
	v_add_f64 v[4:5], v[246:247], -v[240:241]
	buffer_store_dword v3, off, s[0:3], 0 offset:100
	buffer_store_dword v2, off, s[0:3], 0 offset:96
	;; [unrolled: 1-line block ×4, first 2 shown]
	s_and_saveexec_b64 s[4:5], vcc
	s_cbranch_execz .LBB53_329
; %bb.328:
	v_accvgpr_read_b32 v1, a157
	buffer_load_dword v2, v1, s[0:3], 0 offen
	buffer_load_dword v3, v1, s[0:3], 0 offen offset:4
	buffer_load_dword v4, v1, s[0:3], 0 offen offset:8
	;; [unrolled: 1-line block ×3, first 2 shown]
	v_mov_b32_e32 v1, 0
	v_accvgpr_read_b32 v6, a161
	buffer_store_dword v1, off, s[0:3], 0 offset:80
	buffer_store_dword v1, off, s[0:3], 0 offset:84
	;; [unrolled: 1-line block ×4, first 2 shown]
	s_waitcnt vmcnt(4)
	ds_write_b128 v6, v[2:5]
.LBB53_329:
	s_or_b64 exec, exec, s[4:5]
	s_waitcnt lgkmcnt(0)
	; wave barrier
	s_waitcnt lgkmcnt(0)
	buffer_load_dword v38, off, s[0:3], 0 offset:96
	buffer_load_dword v39, off, s[0:3], 0 offset:100
	;; [unrolled: 1-line block ×42, first 2 shown]
	v_mov_b32_e32 v1, 0
	buffer_load_dword v99, off, s[0:3], 0 offset:244
	buffer_load_dword v98, off, s[0:3], 0 offset:240
	;; [unrolled: 1-line block ×7, first 2 shown]
	ds_read_b128 v[108:111], v1 offset:944
	ds_read_b128 v[112:115], v1 offset:960
	;; [unrolled: 1-line block ×11, first 2 shown]
	v_cmp_lt_u32_e32 vcc, 3, v0
	s_waitcnt vmcnt(45) lgkmcnt(10)
	v_mul_f64 v[2:3], v[108:109], v[40:41]
	v_fmac_f64_e32 v[2:3], v[110:111], v[38:39]
	v_add_f64 v[2:3], v[2:3], 0
	v_mul_f64 v[40:41], v[110:111], v[40:41]
	s_waitcnt vmcnt(41) lgkmcnt(9)
	v_mul_f64 v[4:5], v[112:113], v[46:47]
	v_fmac_f64_e32 v[4:5], v[114:115], v[44:45]
	v_add_f64 v[2:3], v[2:3], v[4:5]
	buffer_load_dword v84, off, s[0:3], 0 offset:280
	buffer_load_dword v117, off, s[0:3], 0 offset:276
	;; [unrolled: 1-line block ×29, first 2 shown]
	s_waitcnt vmcnt(62) lgkmcnt(8)
	v_mul_f64 v[6:7], v[170:171], v[42:43]
	s_waitcnt lgkmcnt(6)
	v_mul_f64 v[10:11], v[180:181], v[48:49]
	v_fmac_f64_e32 v[10:11], v[182:183], v[50:51]
	v_mul_f64 v[42:43], v[172:173], v[42:43]
	v_mul_f64 v[8:9], v[174:175], v[52:53]
	;; [unrolled: 1-line block ×3, first 2 shown]
	s_waitcnt vmcnt(60) lgkmcnt(4)
	v_mul_f64 v[14:15], v[190:191], v[56:57]
	s_waitcnt vmcnt(58)
	v_fmac_f64_e32 v[14:15], v[192:193], v[210:211]
	s_waitcnt vmcnt(56)
	v_mul_f64 v[12:13], v[184:185], v[226:227]
	s_waitcnt vmcnt(54) lgkmcnt(2)
	v_mul_f64 v[18:19], v[198:199], v[64:65]
	s_waitcnt vmcnt(51)
	v_mul_f64 v[16:17], v[194:195], v[66:67]
	s_waitcnt vmcnt(49) lgkmcnt(1)
	v_mul_f64 v[20:21], v[202:203], v[60:61]
	s_waitcnt vmcnt(47)
	v_fmac_f64_e32 v[6:7], v[172:173], v[74:75]
	v_add_f64 v[2:3], v[2:3], v[6:7]
	s_waitcnt vmcnt(45)
	v_fmac_f64_e32 v[8:9], v[176:177], v[72:73]
	v_add_f64 v[2:3], v[2:3], v[8:9]
	;; [unrolled: 3-line block ×3, first 2 shown]
	v_add_f64 v[2:3], v[2:3], v[12:13]
	v_add_f64 v[2:3], v[2:3], v[14:15]
	s_waitcnt vmcnt(41)
	v_fmac_f64_e32 v[16:17], v[196:197], v[68:69]
	v_add_f64 v[2:3], v[2:3], v[16:17]
	s_waitcnt vmcnt(40)
	v_fmac_f64_e32 v[18:19], v[200:201], v[62:63]
	;; [unrolled: 3-line block ×3, first 2 shown]
	v_add_f64 v[2:3], v[2:3], v[20:21]
	v_fma_f64 v[228:229], v[170:171], v[74:75], -v[42:43]
	v_mul_f64 v[42:43], v[176:177], v[52:53]
	v_mul_f64 v[52:53], v[204:205], v[60:61]
	s_waitcnt vmcnt(0)
	v_pk_mov_b32 v[14:15], v[4:5], v[4:5] op_sel:[0,1]
	buffer_load_dword v5, off, s[0:3], 0 offset:420
	buffer_load_dword v4, off, s[0:3], 0 offset:416
	v_accvgpr_write_b32 a163, v15
	v_accvgpr_write_b32 a162, v14
	s_waitcnt vmcnt(0)
	v_pk_mov_b32 v[16:17], v[4:5], v[4:5] op_sel:[0,1]
	buffer_load_dword v95, off, s[0:3], 0 offset:412
	buffer_load_dword v94, off, s[0:3], 0 offset:408
	;; [unrolled: 1-line block ×6, first 2 shown]
	v_accvgpr_write_b32 a165, v17
	v_accvgpr_write_b32 a164, v16
	s_waitcnt vmcnt(0)
	v_pk_mov_b32 v[22:23], v[4:5], v[4:5] op_sel:[0,1]
	buffer_load_dword v5, off, s[0:3], 0 offset:452
	buffer_load_dword v4, off, s[0:3], 0 offset:448
	v_accvgpr_write_b32 a169, v23
	v_accvgpr_write_b32 a168, v22
	s_waitcnt vmcnt(0)
	v_pk_mov_b32 v[24:25], v[4:5], v[4:5] op_sel:[0,1]
	buffer_load_dword v5, off, s[0:3], 0 offset:444
	buffer_load_dword v4, off, s[0:3], 0 offset:440
	;; [unrolled: 6-line block ×3, first 2 shown]
	buffer_load_dword v5, off, s[0:3], 0 offset:492
	buffer_load_dword v4, off, s[0:3], 0 offset:488
	v_accvgpr_write_b32 a167, v19
	v_accvgpr_write_b32 a166, v18
	s_waitcnt vmcnt(0)
	v_pk_mov_b32 v[30:31], v[4:5], v[4:5] op_sel:[0,1]
	buffer_load_dword v5, off, s[0:3], 0 offset:484
	buffer_load_dword v4, off, s[0:3], 0 offset:480
	v_accvgpr_write_b32 a173, v31
	v_accvgpr_write_b32 a172, v30
	s_waitcnt vmcnt(0)
	v_pk_mov_b32 v[32:33], v[4:5], v[4:5] op_sel:[0,1]
	buffer_load_dword v147, off, s[0:3], 0 offset:476
	buffer_load_dword v146, off, s[0:3], 0 offset:472
	buffer_load_dword v149, off, s[0:3], 0 offset:468
	buffer_load_dword v148, off, s[0:3], 0 offset:464
	buffer_load_dword v5, off, s[0:3], 0 offset:524
	buffer_load_dword v4, off, s[0:3], 0 offset:520
	v_accvgpr_write_b32 a175, v33
	v_accvgpr_write_b32 a174, v32
	s_waitcnt vmcnt(0)
	v_pk_mov_b32 v[162:163], v[4:5], v[4:5] op_sel:[0,1]
	buffer_load_dword v5, off, s[0:3], 0 offset:516
	buffer_load_dword v4, off, s[0:3], 0 offset:512
	v_accvgpr_write_b32 a177, v163
	v_accvgpr_write_b32 a176, v162
	s_waitcnt vmcnt(0)
	v_pk_mov_b32 v[164:165], v[4:5], v[4:5] op_sel:[0,1]
	buffer_load_dword v151, off, s[0:3], 0 offset:508
	buffer_load_dword v150, off, s[0:3], 0 offset:504
	buffer_load_dword v153, off, s[0:3], 0 offset:500
	buffer_load_dword v152, off, s[0:3], 0 offset:496
	;; [unrolled: 16-line block ×3, first 2 shown]
	buffer_load_dword v5, off, s[0:3], 0 offset:588
	buffer_load_dword v4, off, s[0:3], 0 offset:584
	;; [unrolled: 1-line block ×8, first 2 shown]
	ds_read_b128 v[212:215], v1 offset:1120
	ds_read_b128 v[216:219], v1 offset:1136
	;; [unrolled: 1-line block ×14, first 2 shown]
	s_waitcnt lgkmcnt(5)
	v_mul_f64 v[8:9], v[252:253], v[94:95]
	v_fmac_f64_e32 v[8:9], v[254:255], v[96:97]
	s_waitcnt lgkmcnt(4)
	v_mul_f64 v[12:13], v[138:139], v[14:15]
	v_fmac_f64_e32 v[12:13], v[140:141], v[16:17]
	s_waitcnt lgkmcnt(3)
	v_mul_f64 v[16:17], v[134:135], v[18:19]
	ds_read_b128 v[118:121], v1 offset:1344
	v_fmac_f64_e32 v[16:17], v[136:137], v[142:143]
	s_waitcnt lgkmcnt(3)
	v_mul_f64 v[20:21], v[130:131], v[22:23]
	v_fmac_f64_e32 v[20:21], v[132:133], v[24:25]
	s_waitcnt lgkmcnt(2)
	v_mul_f64 v[24:25], v[126:127], v[146:147]
	;; [unrolled: 3-line block ×3, first 2 shown]
	v_fmac_f64_e32 v[28:29], v[124:125], v[32:33]
	v_accvgpr_write_b32 a183, v169
	v_accvgpr_write_b32 a182, v168
	s_waitcnt vmcnt(6)
	v_pk_mov_b32 v[230:231], v[4:5], v[4:5] op_sel:[0,1]
	v_mul_f64 v[4:5], v[206:207], v[76:77]
	v_fmac_f64_e32 v[4:5], v[208:209], v[82:83]
	v_add_f64 v[2:3], v[2:3], v[4:5]
	v_mul_f64 v[4:5], v[212:213], v[84:85]
	v_fmac_f64_e32 v[4:5], v[214:215], v[116:117]
	v_add_f64 v[2:3], v[2:3], v[4:5]
	v_mul_f64 v[4:5], v[216:217], v[78:79]
	v_fmac_f64_e32 v[4:5], v[218:219], v[80:81]
	v_add_f64 v[2:3], v[2:3], v[4:5]
	v_mul_f64 v[4:5], v[220:221], v[224:225]
	v_fmac_f64_e32 v[4:5], v[222:223], v[54:55]
	v_add_f64 v[2:3], v[2:3], v[4:5]
	v_mul_f64 v[4:5], v[232:233], v[104:105]
	v_fmac_f64_e32 v[4:5], v[234:235], v[106:107]
	v_add_f64 v[2:3], v[2:3], v[4:5]
	v_mul_f64 v[4:5], v[236:237], v[188:189]
	v_fmac_f64_e32 v[4:5], v[238:239], v[58:59]
	v_add_f64 v[2:3], v[2:3], v[4:5]
	v_mul_f64 v[4:5], v[240:241], v[86:87]
	v_fmac_f64_e32 v[4:5], v[242:243], v[88:89]
	v_add_f64 v[2:3], v[2:3], v[4:5]
	v_mul_f64 v[4:5], v[244:245], v[100:101]
	v_fmac_f64_e32 v[4:5], v[246:247], v[102:103]
	v_add_f64 v[2:3], v[2:3], v[4:5]
	v_mul_f64 v[4:5], v[248:249], v[90:91]
	v_fmac_f64_e32 v[4:5], v[250:251], v[92:93]
	v_add_f64 v[6:7], v[2:3], v[4:5]
	v_add_f64 v[10:11], v[6:7], v[8:9]
	v_add_f64 v[14:15], v[10:11], v[12:13]
	;; [unrolled: 1-line block ×6, first 2 shown]
	ds_read_b128 v[26:29], v1 offset:1360
	s_waitcnt lgkmcnt(1)
	v_mul_f64 v[32:33], v[118:119], v[150:151]
	v_fmac_f64_e32 v[32:33], v[120:121], v[152:153]
	v_add_f64 v[34:35], v[30:31], v[32:33]
	ds_read_b128 v[30:33], v1 offset:1376
	s_waitcnt lgkmcnt(1)
	v_mul_f64 v[36:37], v[26:27], v[162:163]
	v_fmac_f64_e32 v[36:37], v[28:29], v[164:165]
	v_add_f64 v[162:163], v[34:35], v[36:37]
	ds_read_b128 v[34:37], v1 offset:1392
	s_waitcnt lgkmcnt(1)
	v_mul_f64 v[4:5], v[30:31], v[154:155]
	v_fmac_f64_e32 v[4:5], v[32:33], v[156:157]
	v_fma_f64 v[18:19], v[108:109], v[38:39], -v[40:41]
	ds_read_b128 v[38:41], v1 offset:1408
	v_add_f64 v[4:5], v[162:163], v[4:5]
	buffer_load_dword v163, off, s[0:3], 0 offset:604
	buffer_load_dword v162, off, s[0:3], 0 offset:600
	;; [unrolled: 1-line block ×4, first 2 shown]
	s_waitcnt lgkmcnt(1)
	v_mul_f64 v[108:109], v[34:35], v[166:167]
	v_fmac_f64_e32 v[108:109], v[36:37], v[168:169]
	buffer_load_dword v22, off, s[0:3], 0 offset:616
	buffer_load_dword v168, off, s[0:3], 0 offset:608
	;; [unrolled: 1-line block ×12, first 2 shown]
	v_mul_f64 v[8:9], v[182:183], v[48:49]
	v_fma_f64 v[166:167], v[112:113], v[44:45], -v[46:47]
	v_fma_f64 v[14:15], v[174:175], v[72:73], -v[42:43]
	ds_read_b128 v[42:45], v1 offset:1424
	v_fma_f64 v[10:11], v[180:181], v[50:51], -v[8:9]
	buffer_load_dword v174, off, s[0:3], 0 offset:680
	buffer_load_dword v181, off, s[0:3], 0 offset:668
	;; [unrolled: 1-line block ×5, first 2 shown]
	v_mul_f64 v[46:47], v[186:187], v[226:227]
	v_fma_f64 v[8:9], v[184:185], v[70:71], -v[46:47]
	buffer_load_dword v184, off, s[0:3], 0 offset:672
	buffer_load_dword v175, off, s[0:3], 0 offset:684
	;; [unrolled: 1-line block ×3, first 2 shown]
	v_mul_f64 v[12:13], v[192:193], v[56:57]
	buffer_load_dword v187, off, s[0:3], 0 offset:700
	buffer_load_dword v186, off, s[0:3], 0 offset:696
	;; [unrolled: 1-line block ×4, first 2 shown]
	v_mul_f64 v[46:47], v[196:197], v[66:67]
	v_fma_f64 v[6:7], v[194:195], v[68:69], -v[46:47]
	buffer_load_dword v192, off, s[0:3], 0 offset:712
	buffer_load_dword v194, off, s[0:3], 0 offset:704
	;; [unrolled: 1-line block ×4, first 2 shown]
	v_mul_f64 v[16:17], v[200:201], v[64:65]
	v_fma_f64 v[12:13], v[190:191], v[210:211], -v[12:13]
	v_fma_f64 v[16:17], v[198:199], v[62:63], -v[16:17]
	buffer_load_dword v191, off, s[0:3], 0 offset:748
	buffer_load_dword v197, off, s[0:3], 0 offset:732
	;; [unrolled: 1-line block ×8, first 2 shown]
	v_add_f64 v[4:5], v[4:5], v[108:109]
	s_waitcnt vmcnt(42) lgkmcnt(1)
	v_mul_f64 v[108:109], v[38:39], v[158:159]
	s_waitcnt vmcnt(40)
	v_fmac_f64_e32 v[108:109], v[40:41], v[160:161]
	v_add_f64 v[108:109], v[4:5], v[108:109]
	ds_read_b128 v[46:49], v1 offset:1440
	v_fma_f64 v[4:5], v[202:203], v[98:99], -v[52:53]
	buffer_load_dword v203, off, s[0:3], 0 offset:764
	buffer_load_dword v202, off, s[0:3], 0 offset:760
	;; [unrolled: 1-line block ×4, first 2 shown]
	v_mul_f64 v[20:21], v[208:209], v[76:77]
	v_fma_f64 v[20:21], v[206:207], v[82:83], -v[20:21]
	buffer_load_dword v206, off, s[0:3], 0 offset:776
	buffer_load_dword v208, off, s[0:3], 0 offset:768
	;; [unrolled: 1-line block ×8, first 2 shown]
	v_accvgpr_write_b32 a184, v230
	s_waitcnt lgkmcnt(1)
	v_mul_f64 v[50:51], v[42:43], v[230:231]
	v_accvgpr_write_b32 a185, v231
	buffer_load_dword v60, off, s[0:3], 0 offset:808
	buffer_load_dword v230, off, s[0:3], 0 offset:800
	;; [unrolled: 1-line block ×4, first 2 shown]
	v_mul_f64 v[52:53], v[214:215], v[84:85]
	v_fmac_f64_e32 v[50:51], v[44:45], v[144:145]
	v_fma_f64 v[214:215], v[212:213], v[116:117], -v[52:53]
	v_add_f64 v[50:51], v[108:109], v[50:51]
	v_mul_f64 v[64:65], v[218:219], v[78:79]
	v_fma_f64 v[212:213], v[216:217], v[80:81], -v[64:65]
	v_mul_f64 v[66:67], v[222:223], v[224:225]
	v_fma_f64 v[224:225], v[220:221], v[54:55], -v[66:67]
	ds_read_b128 v[220:223], v1 offset:1488
	v_mul_f64 v[66:67], v[234:235], v[104:105]
	v_fma_f64 v[232:233], v[232:233], v[106:107], -v[66:67]
	ds_read_b128 v[66:69], v1 offset:1520
	v_mul_f64 v[70:71], v[238:239], v[188:189]
	v_fma_f64 v[188:189], v[236:237], v[58:59], -v[70:71]
	v_mul_f64 v[82:83], v[246:247], v[100:101]
	ds_read_b128 v[216:219], v1 offset:1472
	v_fma_f64 v[2:3], v[244:245], v[102:103], -v[82:83]
	ds_read_b128 v[82:85], v1 offset:1584
	ds_read_b128 v[98:101], v1 offset:1648
	v_add_f64 v[18:19], v[18:19], 0
	v_add_f64 v[18:19], v[18:19], v[166:167]
	;; [unrolled: 1-line block ×7, first 2 shown]
	ds_read_b128 v[70:73], v1 offset:1536
	v_add_f64 v[6:7], v[8:9], v[6:7]
	v_add_f64 v[6:7], v[6:7], v[16:17]
	;; [unrolled: 1-line block ×6, first 2 shown]
	ds_read_b128 v[78:81], v1 offset:1568
	v_add_f64 v[4:5], v[4:5], v[224:225]
	v_add_f64 v[4:5], v[4:5], v[232:233]
	;; [unrolled: 1-line block ×3, first 2 shown]
	v_accvgpr_read_b32 v6, a162
	v_accvgpr_read_b32 v7, a163
	v_accvgpr_read_b32 v8, a164
	v_mul_f64 v[6:7], v[140:141], v[6:7]
	s_waitcnt vmcnt(54) lgkmcnt(7)
	v_mul_f64 v[52:53], v[46:47], v[162:163]
	v_accvgpr_read_b32 v9, a165
	s_waitcnt vmcnt(52)
	v_fmac_f64_e32 v[52:53], v[48:49], v[164:165]
	v_add_f64 v[62:63], v[50:51], v[52:53]
	ds_read_b128 v[50:53], v1 offset:1456
	v_fma_f64 v[6:7], v[138:139], v[8:9], -v[6:7]
	v_accvgpr_read_b32 v8, a170
	v_accvgpr_read_b32 v9, a171
	s_waitcnt vmcnt(49) lgkmcnt(0)
	v_mul_f64 v[64:65], v[50:51], v[22:23]
	s_waitcnt vmcnt(48)
	v_fmac_f64_e32 v[64:65], v[52:53], v[168:169]
	v_add_f64 v[54:55], v[62:63], v[64:65]
	s_waitcnt vmcnt(45)
	v_mul_f64 v[62:63], v[216:217], v[172:173]
	s_waitcnt vmcnt(43)
	v_fmac_f64_e32 v[62:63], v[218:219], v[178:179]
	v_add_f64 v[54:55], v[54:55], v[62:63]
	s_waitcnt vmcnt(42)
	v_mul_f64 v[62:63], v[220:221], v[170:171]
	s_waitcnt vmcnt(40)
	v_fmac_f64_e32 v[62:63], v[222:223], v[176:177]
	v_add_f64 v[54:55], v[54:55], v[62:63]
	ds_read_b128 v[62:65], v1 offset:1504
	s_waitcnt vmcnt(33)
	v_mul_f64 v[58:59], v[66:67], v[174:175]
	s_waitcnt vmcnt(32)
	v_fmac_f64_e32 v[58:59], v[68:69], v[184:185]
	s_waitcnt lgkmcnt(0)
	v_mul_f64 v[74:75], v[62:63], v[180:181]
	v_fmac_f64_e32 v[74:75], v[64:65], v[182:183]
	v_add_f64 v[54:55], v[54:55], v[74:75]
	ds_read_b128 v[74:77], v1 offset:1552
	v_add_f64 v[54:55], v[54:55], v[58:59]
	s_waitcnt vmcnt(30)
	v_mul_f64 v[58:59], v[70:71], v[186:187]
	s_waitcnt vmcnt(28)
	v_fmac_f64_e32 v[58:59], v[72:73], v[56:57]
	v_add_f64 v[54:55], v[54:55], v[58:59]
	v_mul_f64 v[58:59], v[242:243], v[86:87]
	v_fma_f64 v[242:243], v[240:241], v[88:89], -v[58:59]
	s_waitcnt vmcnt(25) lgkmcnt(0)
	v_mul_f64 v[58:59], v[74:75], v[192:193]
	s_waitcnt vmcnt(24)
	v_fmac_f64_e32 v[58:59], v[76:77], v[194:195]
	v_add_f64 v[24:25], v[54:55], v[58:59]
	s_waitcnt vmcnt(21)
	v_mul_f64 v[54:55], v[78:79], v[196:197]
	s_waitcnt vmcnt(19)
	v_fmac_f64_e32 v[54:55], v[80:81], v[200:201]
	v_add_f64 v[24:25], v[24:25], v[54:55]
	ds_read_b128 v[86:89], v1 offset:1600
	s_waitcnt vmcnt(18)
	v_mul_f64 v[54:55], v[82:83], v[190:191]
	s_waitcnt vmcnt(16)
	v_fmac_f64_e32 v[54:55], v[84:85], v[198:199]
	v_add_f64 v[24:25], v[24:25], v[54:55]
	v_mul_f64 v[54:55], v[250:251], v[90:91]
	v_fma_f64 v[248:249], v[248:249], v[92:93], -v[54:55]
	ds_read_b128 v[90:93], v1 offset:1616
	v_mul_f64 v[58:59], v[254:255], v[94:95]
	v_fma_f64 v[250:251], v[252:253], v[96:97], -v[58:59]
	ds_read_b128 v[94:97], v1 offset:1632
	s_waitcnt vmcnt(14) lgkmcnt(2)
	v_mul_f64 v[54:55], v[86:87], v[202:203]
	s_waitcnt vmcnt(12)
	v_fmac_f64_e32 v[54:55], v[88:89], v[204:205]
	v_add_f64 v[24:25], v[24:25], v[54:55]
	s_waitcnt vmcnt(9) lgkmcnt(1)
	v_mul_f64 v[54:55], v[90:91], v[206:207]
	s_waitcnt vmcnt(8)
	v_fmac_f64_e32 v[54:55], v[92:93], v[208:209]
	v_add_f64 v[24:25], v[24:25], v[54:55]
	;; [unrolled: 5-line block ×3, first 2 shown]
	s_waitcnt vmcnt(1)
	v_mul_f64 v[54:55], v[98:99], v[60:61]
	s_waitcnt vmcnt(0)
	v_fmac_f64_e32 v[54:55], v[100:101], v[230:231]
	v_add_f64 v[24:25], v[24:25], v[54:55]
	buffer_load_dword v55, off, s[0:3], 0 offset:828
	buffer_load_dword v54, off, s[0:3], 0 offset:824
	;; [unrolled: 1-line block ×4, first 2 shown]
	ds_read_b128 v[102:105], v1 offset:1664
	buffer_load_dword v234, off, s[0:3], 0 offset:840
	buffer_load_dword v235, off, s[0:3], 0 offset:844
	;; [unrolled: 1-line block ×4, first 2 shown]
	v_add_f64 v[4:5], v[4:5], v[242:243]
	v_add_f64 v[4:5], v[4:5], v[2:3]
	s_waitcnt vmcnt(6) lgkmcnt(0)
	v_mul_f64 v[106:107], v[102:103], v[54:55]
	s_waitcnt vmcnt(4)
	v_fmac_f64_e32 v[106:107], v[104:105], v[58:59]
	v_add_f64 v[24:25], v[24:25], v[106:107]
	ds_read_b128 v[106:109], v1 offset:1680
	buffer_load_dword v239, off, s[0:3], 0 offset:860
	buffer_load_dword v238, off, s[0:3], 0 offset:856
	buffer_load_dword v241, off, s[0:3], 0 offset:852
	buffer_load_dword v240, off, s[0:3], 0 offset:848
	s_waitcnt vmcnt(6) lgkmcnt(0)
	v_mul_f64 v[110:111], v[106:107], v[234:235]
	s_waitcnt vmcnt(4)
	v_fmac_f64_e32 v[110:111], v[108:109], v[236:237]
	v_add_f64 v[24:25], v[24:25], v[110:111]
	ds_read_b128 v[110:113], v1 offset:1696
	buffer_load_dword v244, off, s[0:3], 0 offset:872
	buffer_load_dword v245, off, s[0:3], 0 offset:876
	buffer_load_dword v246, off, s[0:3], 0 offset:864
	buffer_load_dword v247, off, s[0:3], 0 offset:868
	;; [unrolled: 10-line block ×3, first 2 shown]
	s_waitcnt vmcnt(6) lgkmcnt(0)
	v_mul_f64 v[252:253], v[114:115], v[244:245]
	s_waitcnt vmcnt(4)
	v_fmac_f64_e32 v[252:253], v[116:117], v[246:247]
	v_add_f64 v[254:255], v[24:25], v[252:253]
	v_add_f64 v[252:253], v[4:5], v[248:249]
	;; [unrolled: 1-line block ×4, first 2 shown]
	v_accvgpr_read_b32 v6, a166
	v_accvgpr_read_b32 v7, a167
	v_mul_f64 v[6:7], v[136:137], v[6:7]
	v_fma_f64 v[6:7], v[134:135], v[142:143], -v[6:7]
	v_add_f64 v[4:5], v[4:5], v[6:7]
	v_accvgpr_read_b32 v6, a168
	v_accvgpr_read_b32 v7, a169
	v_mul_f64 v[6:7], v[132:133], v[6:7]
	v_fma_f64 v[6:7], v[130:131], v[8:9], -v[6:7]
	v_add_f64 v[4:5], v[4:5], v[6:7]
	v_mul_f64 v[6:7], v[128:129], v[146:147]
	v_fma_f64 v[6:7], v[126:127], v[148:149], -v[6:7]
	v_add_f64 v[4:5], v[4:5], v[6:7]
	v_accvgpr_read_b32 v6, a172
	v_accvgpr_read_b32 v7, a173
	v_accvgpr_read_b32 v8, a174
	v_mul_f64 v[6:7], v[124:125], v[6:7]
	v_accvgpr_read_b32 v9, a175
	v_fma_f64 v[6:7], v[122:123], v[8:9], -v[6:7]
	v_add_f64 v[4:5], v[4:5], v[6:7]
	v_mul_f64 v[6:7], v[120:121], v[150:151]
	v_fma_f64 v[6:7], v[118:119], v[152:153], -v[6:7]
	v_add_f64 v[4:5], v[4:5], v[6:7]
	v_accvgpr_read_b32 v6, a176
	v_accvgpr_read_b32 v7, a177
	v_accvgpr_read_b32 v8, a178
	v_mul_f64 v[6:7], v[28:29], v[6:7]
	v_accvgpr_read_b32 v9, a179
	;; [unrolled: 10-line block ×3, first 2 shown]
	v_fma_f64 v[6:7], v[34:35], v[8:9], -v[6:7]
	v_add_f64 v[4:5], v[4:5], v[6:7]
	v_mul_f64 v[6:7], v[40:41], v[158:159]
	v_fma_f64 v[6:7], v[38:39], v[160:161], -v[6:7]
	v_add_f64 v[4:5], v[4:5], v[6:7]
	v_accvgpr_read_b32 v6, a184
	v_accvgpr_read_b32 v7, a185
	v_mul_f64 v[6:7], v[44:45], v[6:7]
	v_fma_f64 v[6:7], v[42:43], v[144:145], -v[6:7]
	v_add_f64 v[4:5], v[4:5], v[6:7]
	v_mul_f64 v[6:7], v[48:49], v[162:163]
	v_fma_f64 v[6:7], v[46:47], v[164:165], -v[6:7]
	v_add_f64 v[4:5], v[4:5], v[6:7]
	;; [unrolled: 3-line block ×19, first 2 shown]
	s_waitcnt vmcnt(2)
	v_add_f64 v[2:3], v[2:3], -v[4:5]
	s_waitcnt vmcnt(0)
	v_add_f64 v[4:5], v[214:215], -v[254:255]
	buffer_store_dword v3, off, s[0:3], 0 offset:84
	buffer_store_dword v2, off, s[0:3], 0 offset:80
	;; [unrolled: 1-line block ×4, first 2 shown]
	s_and_saveexec_b64 s[4:5], vcc
	s_cbranch_execz .LBB53_331
; %bb.330:
	v_accvgpr_read_b32 v5, a158
	buffer_load_dword v2, v5, s[0:3], 0 offen
	buffer_load_dword v3, v5, s[0:3], 0 offen offset:4
	buffer_load_dword v4, v5, s[0:3], 0 offen offset:8
	s_nop 0
	buffer_load_dword v5, v5, s[0:3], 0 offen offset:12
	v_accvgpr_read_b32 v6, a161
	buffer_store_dword v1, off, s[0:3], 0 offset:64
	buffer_store_dword v1, off, s[0:3], 0 offset:68
	;; [unrolled: 1-line block ×4, first 2 shown]
	s_waitcnt vmcnt(4)
	ds_write_b128 v6, v[2:5]
.LBB53_331:
	s_or_b64 exec, exec, s[4:5]
	s_waitcnt lgkmcnt(0)
	; wave barrier
	s_waitcnt lgkmcnt(0)
	buffer_load_dword v228, off, s[0:3], 0 offset:80
	buffer_load_dword v229, off, s[0:3], 0 offset:84
	;; [unrolled: 1-line block ×42, first 2 shown]
	ds_read_b128 v[42:45], v1 offset:928
	ds_read_b128 v[108:111], v1 offset:944
	;; [unrolled: 1-line block ×10, first 2 shown]
	buffer_load_dword v117, off, s[0:3], 0 offset:228
	buffer_load_dword v116, off, s[0:3], 0 offset:224
	ds_read_b128 v[46:49], v1 offset:1088
	buffer_load_dword v85, off, s[0:3], 0 offset:284
	buffer_load_dword v84, off, s[0:3], 0 offset:280
	;; [unrolled: 1-line block ×6, first 2 shown]
	v_cmp_lt_u32_e32 vcc, 2, v0
	s_waitcnt vmcnt(46) lgkmcnt(10)
	v_mul_f64 v[2:3], v[42:43], v[36:37]
	v_fmac_f64_e32 v[2:3], v[44:45], v[228:229]
	v_add_f64 v[2:3], v[2:3], 0
	v_mul_f64 v[36:37], v[44:45], v[36:37]
	s_waitcnt vmcnt(42) lgkmcnt(9)
	v_mul_f64 v[4:5], v[108:109], v[40:41]
	v_fmac_f64_e32 v[4:5], v[110:111], v[38:39]
	v_add_f64 v[2:3], v[2:3], v[4:5]
	buffer_load_dword v209, off, s[0:3], 0 offset:260
	buffer_load_dword v208, off, s[0:3], 0 offset:256
	;; [unrolled: 1-line block ×36, first 2 shown]
	s_waitcnt vmcnt(62) lgkmcnt(8)
	v_mul_f64 v[6:7], v[112:113], v[158:159]
	s_waitcnt lgkmcnt(6)
	v_mul_f64 v[10:11], v[170:171], v[52:53]
	v_fmac_f64_e32 v[10:11], v[172:173], v[176:177]
	v_mul_f64 v[40:41], v[110:111], v[40:41]
	v_mul_f64 v[8:9], v[166:167], v[56:57]
	;; [unrolled: 1-line block ×3, first 2 shown]
	s_waitcnt lgkmcnt(4)
	v_mul_f64 v[14:15], v[182:183], v[198:199]
	v_fmac_f64_e32 v[14:15], v[184:185], v[60:61]
	v_mul_f64 v[12:13], v[178:179], v[62:63]
	s_waitcnt lgkmcnt(2)
	v_mul_f64 v[18:19], v[190:191], v[64:65]
	s_waitcnt vmcnt(59)
	v_mul_f64 v[16:17], v[186:187], v[70:71]
	s_waitcnt vmcnt(57) lgkmcnt(1)
	v_mul_f64 v[20:21], v[194:195], v[68:69]
	s_waitcnt vmcnt(55)
	v_fmac_f64_e32 v[6:7], v[114:115], v[78:79]
	v_add_f64 v[2:3], v[2:3], v[6:7]
	s_waitcnt vmcnt(53)
	v_fmac_f64_e32 v[8:9], v[168:169], v[76:77]
	v_add_f64 v[2:3], v[2:3], v[8:9]
	;; [unrolled: 3-line block ×3, first 2 shown]
	v_add_f64 v[2:3], v[2:3], v[12:13]
	s_waitcnt vmcnt(49)
	v_fmac_f64_e32 v[16:17], v[188:189], v[72:73]
	v_add_f64 v[2:3], v[2:3], v[14:15]
	s_waitcnt vmcnt(48)
	v_fmac_f64_e32 v[18:19], v[192:193], v[66:67]
	v_add_f64 v[2:3], v[2:3], v[16:17]
	v_add_f64 v[2:3], v[2:3], v[18:19]
	s_waitcnt vmcnt(42)
	v_fmac_f64_e32 v[20:21], v[196:197], v[116:117]
	v_add_f64 v[2:3], v[2:3], v[20:21]
	s_waitcnt vmcnt(0)
	v_pk_mov_b32 v[18:19], v[4:5], v[4:5] op_sel:[0,1]
	buffer_load_dword v5, off, s[0:3], 0 offset:436
	buffer_load_dword v4, off, s[0:3], 0 offset:432
	v_accvgpr_write_b32 a167, v19
	v_accvgpr_write_b32 a166, v18
	s_waitcnt vmcnt(0)
	v_pk_mov_b32 v[22:23], v[4:5], v[4:5] op_sel:[0,1]
	buffer_load_dword v5, off, s[0:3], 0 offset:428
	buffer_load_dword v4, off, s[0:3], 0 offset:424
	v_accvgpr_write_b32 a169, v23
	v_accvgpr_write_b32 a168, v22
	;; [unrolled: 6-line block ×12, first 2 shown]
	s_waitcnt vmcnt(0)
	v_pk_mov_b32 v[164:165], v[4:5], v[4:5] op_sel:[0,1]
	buffer_load_dword v5, off, s[0:3], 0 offset:532
	buffer_load_dword v4, off, s[0:3], 0 offset:528
	s_waitcnt vmcnt(0)
	v_pk_mov_b32 v[210:211], v[4:5], v[4:5] op_sel:[0,1]
	buffer_load_dword v151, off, s[0:3], 0 offset:524
	buffer_load_dword v150, off, s[0:3], 0 offset:520
	;; [unrolled: 1-line block ×12, first 2 shown]
	ds_read_b128 v[202:205], v1 offset:1104
	ds_read_b128 v[212:215], v1 offset:1120
	;; [unrolled: 1-line block ×14, first 2 shown]
	s_waitcnt lgkmcnt(4)
	v_mul_f64 v[8:9], v[252:253], v[94:95]
	ds_read_b128 v[130:133], v1 offset:1328
	ds_read_b128 v[126:129], v1 offset:1344
	v_fmac_f64_e32 v[8:9], v[254:255], v[96:97]
	s_waitcnt lgkmcnt(5)
	v_mul_f64 v[12:13], v[146:147], v[14:15]
	v_fmac_f64_e32 v[12:13], v[148:149], v[16:17]
	s_waitcnt lgkmcnt(4)
	v_mul_f64 v[16:17], v[142:143], v[18:19]
	;; [unrolled: 3-line block ×5, first 2 shown]
	ds_read_b128 v[122:125], v1 offset:1360
	v_fmac_f64_e32 v[28:29], v[132:133], v[118:119]
	ds_read_b128 v[118:121], v1 offset:1376
	s_waitcnt lgkmcnt(2)
	v_mul_f64 v[32:33], v[126:127], v[160:161]
	v_fmac_f64_e32 v[32:33], v[128:129], v[162:163]
	v_accvgpr_write_b32 a186, v210
	v_accvgpr_write_b32 a187, v211
	s_waitcnt vmcnt(6)
	v_pk_mov_b32 v[226:227], v[4:5], v[4:5] op_sel:[0,1]
	v_mul_f64 v[4:5], v[46:47], v[80:81]
	v_fmac_f64_e32 v[4:5], v[48:49], v[82:83]
	v_add_f64 v[2:3], v[2:3], v[4:5]
	v_mul_f64 v[4:5], v[202:203], v[206:207]
	v_fmac_f64_e32 v[4:5], v[204:205], v[208:209]
	v_add_f64 v[2:3], v[2:3], v[4:5]
	;; [unrolled: 3-line block ×10, first 2 shown]
	v_add_f64 v[10:11], v[6:7], v[8:9]
	v_add_f64 v[14:15], v[10:11], v[12:13]
	;; [unrolled: 1-line block ×7, first 2 shown]
	ds_read_b128 v[30:33], v1 offset:1392
	s_waitcnt lgkmcnt(2)
	v_mul_f64 v[4:5], v[122:123], v[150:151]
	v_fma_f64 v[26:27], v[42:43], v[228:229], -v[36:37]
	v_fmac_f64_e32 v[4:5], v[124:125], v[152:153]
	s_waitcnt lgkmcnt(1)
	v_mul_f64 v[42:43], v[118:119], v[164:165]
	v_add_f64 v[4:5], v[160:161], v[4:5]
	v_fmac_f64_e32 v[42:43], v[120:121], v[210:211]
	v_add_f64 v[4:5], v[4:5], v[42:43]
	s_waitcnt vmcnt(2) lgkmcnt(0)
	v_mul_f64 v[42:43], v[30:31], v[154:155]
	s_waitcnt vmcnt(0)
	v_fmac_f64_e32 v[42:43], v[32:33], v[156:157]
	v_pk_mov_b32 v[36:37], v[164:165], v[164:165] op_sel:[0,1]
	v_add_f64 v[4:5], v[4:5], v[42:43]
	v_fma_f64 v[228:229], v[108:109], v[38:39], -v[40:41]
	ds_read_b128 v[42:45], v1 offset:1408
	ds_read_b128 v[38:41], v1 offset:1424
	v_mul_f64 v[108:109], v[114:115], v[158:159]
	buffer_load_dword v158, off, s[0:3], 0 offset:600
	buffer_load_dword v163, off, s[0:3], 0 offset:588
	;; [unrolled: 1-line block ×5, first 2 shown]
	v_mul_f64 v[8:9], v[168:169], v[56:57]
	v_fma_f64 v[18:19], v[166:167], v[76:77], -v[8:9]
	buffer_load_dword v166, off, s[0:3], 0 offset:592
	buffer_load_dword v159, off, s[0:3], 0 offset:604
	;; [unrolled: 1-line block ×5, first 2 shown]
	v_fma_f64 v[14:15], v[170:171], v[176:177], -v[52:53]
	buffer_load_dword v53, off, s[0:3], 0 offset:620
	buffer_load_dword v52, off, s[0:3], 0 offset:616
	buffer_load_dword v177, off, s[0:3], 0 offset:612
	buffer_load_dword v176, off, s[0:3], 0 offset:608
	buffer_load_dword v173, off, s[0:3], 0 offset:628
	buffer_load_dword v172, off, s[0:3], 0 offset:624
	buffer_load_dword v168, off, s[0:3], 0 offset:664
	v_mul_f64 v[12:13], v[180:181], v[62:63]
	v_fma_f64 v[12:13], v[178:179], v[74:75], -v[12:13]
	buffer_load_dword v170, off, s[0:3], 0 offset:656
	buffer_load_dword v179, off, s[0:3], 0 offset:652
	buffer_load_dword v178, off, s[0:3], 0 offset:648
	buffer_load_dword v181, off, s[0:3], 0 offset:644
	buffer_load_dword v180, off, s[0:3], 0 offset:640
	buffer_load_dword v169, off, s[0:3], 0 offset:668
	buffer_load_dword v171, off, s[0:3], 0 offset:660
	v_mul_f64 v[56:57], v[184:185], v[198:199]
	v_fma_f64 v[10:11], v[182:183], v[60:61], -v[56:57]
	buffer_load_dword v183, off, s[0:3], 0 offset:684
	buffer_load_dword v182, off, s[0:3], 0 offset:680
	;; [unrolled: 1-line block ×4, first 2 shown]
	v_mul_f64 v[56:57], v[188:189], v[70:71]
	v_fma_f64 v[230:231], v[186:187], v[72:73], -v[56:57]
	v_mul_f64 v[56:57], v[192:193], v[64:65]
	buffer_load_dword v188, off, s[0:3], 0 offset:696
	v_fma_f64 v[8:9], v[190:191], v[66:67], -v[56:57]
	buffer_load_dword v190, off, s[0:3], 0 offset:688
	buffer_load_dword v189, off, s[0:3], 0 offset:700
	;; [unrolled: 1-line block ×3, first 2 shown]
	v_mul_f64 v[20:21], v[196:197], v[68:69]
	v_fma_f64 v[20:21], v[194:195], v[116:117], -v[20:21]
	buffer_load_dword v187, off, s[0:3], 0 offset:732
	buffer_load_dword v193, off, s[0:3], 0 offset:716
	;; [unrolled: 1-line block ×12, first 2 shown]
	s_waitcnt lgkmcnt(1)
	v_mul_f64 v[16:17], v[42:43], v[226:227]
	v_accvgpr_write_b32 a188, v226
	v_mul_f64 v[24:25], v[204:205], v[206:207]
	v_accvgpr_write_b32 a189, v227
	v_fma_f64 v[24:25], v[202:203], v[208:209], -v[24:25]
	buffer_load_dword v204, off, s[0:3], 0 offset:760
	buffer_load_dword v206, off, s[0:3], 0 offset:752
	;; [unrolled: 1-line block ×12, first 2 shown]
	v_fmac_f64_e32 v[16:17], v[44:45], v[34:35]
	v_add_f64 v[56:57], v[4:5], v[16:17]
	v_mul_f64 v[4:5], v[214:215], v[84:85]
	v_fma_f64 v[212:213], v[212:213], v[86:87], -v[4:5]
	buffer_load_dword v5, off, s[0:3], 0 offset:812
	buffer_load_dword v4, off, s[0:3], 0 offset:808
	;; [unrolled: 1-line block ×4, first 2 shown]
	v_mul_f64 v[48:49], v[48:49], v[80:81]
	v_fma_f64 v[6:7], v[46:47], v[82:83], -v[48:49]
	ds_read_b128 v[46:49], v1 offset:1440
	v_mul_f64 v[64:65], v[222:223], v[224:225]
	v_fma_f64 v[224:225], v[220:221], v[50:51], -v[64:65]
	v_mul_f64 v[58:59], v[234:235], v[58:59]
	v_mul_f64 v[70:71], v[238:239], v[100:101]
	v_fma_f64 v[58:59], v[232:233], v[200:201], -v[58:59]
	v_fma_f64 v[200:201], v[236:237], v[102:103], -v[70:71]
	;; [unrolled: 1-line block ×3, first 2 shown]
	v_mul_f64 v[86:87], v[250:251], v[90:91]
	v_fma_f64 v[250:251], v[248:249], v[98:99], -v[86:87]
	v_add_f64 v[26:27], v[26:27], 0
	v_add_f64 v[26:27], v[26:27], v[228:229]
	;; [unrolled: 1-line block ×4, first 2 shown]
	ds_read_b128 v[220:223], v1 offset:1488
	v_add_f64 v[14:15], v[18:19], v[14:15]
	v_add_f64 v[12:13], v[14:15], v[12:13]
	;; [unrolled: 1-line block ×4, first 2 shown]
	ds_read_b128 v[70:73], v1 offset:1536
	v_add_f64 v[8:9], v[10:11], v[8:9]
	v_add_f64 v[8:9], v[8:9], v[20:21]
	;; [unrolled: 1-line block ×5, first 2 shown]
	v_accvgpr_read_b32 v8, a164
	ds_read_b128 v[78:81], v1 offset:1568
	v_accvgpr_read_b32 v9, a165
	ds_read_b128 v[82:85], v1 offset:1584
	ds_read_b128 v[98:101], v1 offset:1648
	s_waitcnt vmcnt(57) lgkmcnt(6)
	v_mul_f64 v[62:63], v[38:39], v[162:163]
	s_waitcnt vmcnt(55)
	v_fmac_f64_e32 v[62:63], v[40:41], v[164:165]
	v_add_f64 v[56:57], v[56:57], v[62:63]
	v_mul_f64 v[62:63], v[218:219], v[174:175]
	v_fma_f64 v[174:175], v[216:217], v[54:55], -v[62:63]
	ds_read_b128 v[216:219], v1 offset:1456
	s_waitcnt vmcnt(53) lgkmcnt(6)
	v_mul_f64 v[54:55], v[46:47], v[158:159]
	s_waitcnt vmcnt(52)
	v_fmac_f64_e32 v[54:55], v[48:49], v[166:167]
	v_add_f64 v[62:63], v[56:57], v[54:55]
	ds_read_b128 v[54:57], v1 offset:1472
	s_waitcnt vmcnt(48) lgkmcnt(1)
	v_mul_f64 v[50:51], v[216:217], v[52:53]
	s_waitcnt vmcnt(46)
	v_fmac_f64_e32 v[50:51], v[218:219], v[176:177]
	v_add_f64 v[50:51], v[62:63], v[50:51]
	ds_read_b128 v[62:65], v1 offset:1504
	s_waitcnt lgkmcnt(1)
	v_mul_f64 v[66:67], v[54:55], v[160:161]
	s_waitcnt vmcnt(44)
	v_fmac_f64_e32 v[66:67], v[56:57], v[172:173]
	v_add_f64 v[50:51], v[50:51], v[66:67]
	s_waitcnt vmcnt(40)
	v_mul_f64 v[66:67], v[220:221], v[178:179]
	s_waitcnt vmcnt(38)
	v_fmac_f64_e32 v[66:67], v[222:223], v[180:181]
	v_add_f64 v[50:51], v[50:51], v[66:67]
	s_waitcnt vmcnt(37) lgkmcnt(0)
	v_mul_f64 v[66:67], v[62:63], v[168:169]
	s_waitcnt vmcnt(36)
	v_fmac_f64_e32 v[66:67], v[64:65], v[170:171]
	v_add_f64 v[50:51], v[50:51], v[66:67]
	ds_read_b128 v[66:69], v1 offset:1520
	s_waitcnt vmcnt(29)
	v_mul_f64 v[28:29], v[70:71], v[188:189]
	s_waitcnt vmcnt(28)
	v_fmac_f64_e32 v[28:29], v[72:73], v[190:191]
	v_add_f64 v[6:7], v[6:7], v[174:175]
	v_add_f64 v[6:7], v[6:7], v[224:225]
	s_waitcnt lgkmcnt(0)
	v_mul_f64 v[74:75], v[66:67], v[182:183]
	v_fmac_f64_e32 v[74:75], v[68:69], v[184:185]
	v_add_f64 v[50:51], v[50:51], v[74:75]
	v_mul_f64 v[74:75], v[242:243], v[104:105]
	v_fma_f64 v[2:3], v[240:241], v[106:107], -v[74:75]
	ds_read_b128 v[74:77], v1 offset:1552
	v_add_f64 v[28:29], v[50:51], v[28:29]
	v_mul_f64 v[50:51], v[246:247], v[88:89]
	v_fma_f64 v[246:247], v[244:245], v[92:93], -v[50:51]
	ds_read_b128 v[90:93], v1 offset:1600
	ds_read_b128 v[86:89], v1 offset:1616
	s_waitcnt vmcnt(25) lgkmcnt(2)
	v_mul_f64 v[50:51], v[74:75], v[192:193]
	s_waitcnt vmcnt(23)
	v_fmac_f64_e32 v[50:51], v[76:77], v[198:199]
	v_add_f64 v[28:29], v[28:29], v[50:51]
	s_waitcnt vmcnt(22)
	v_mul_f64 v[50:51], v[78:79], v[186:187]
	s_waitcnt vmcnt(20)
	v_fmac_f64_e32 v[50:51], v[80:81], v[196:197]
	v_add_f64 v[28:29], v[28:29], v[50:51]
	s_waitcnt vmcnt(18)
	v_mul_f64 v[50:51], v[82:83], v[194:195]
	s_waitcnt vmcnt(16)
	v_fmac_f64_e32 v[50:51], v[84:85], v[60:61]
	v_add_f64 v[28:29], v[28:29], v[50:51]
	v_mul_f64 v[50:51], v[254:255], v[94:95]
	v_fma_f64 v[252:253], v[252:253], v[96:97], -v[50:51]
	ds_read_b128 v[94:97], v1 offset:1632
	s_waitcnt vmcnt(13) lgkmcnt(2)
	v_mul_f64 v[50:51], v[90:91], v[204:205]
	s_waitcnt vmcnt(12)
	v_fmac_f64_e32 v[50:51], v[92:93], v[206:207]
	v_add_f64 v[28:29], v[28:29], v[50:51]
	s_waitcnt vmcnt(9) lgkmcnt(1)
	v_mul_f64 v[50:51], v[86:87], v[210:211]
	s_waitcnt vmcnt(7)
	v_fmac_f64_e32 v[50:51], v[88:89], v[226:227]
	v_add_f64 v[28:29], v[28:29], v[50:51]
	s_waitcnt vmcnt(5) lgkmcnt(0)
	v_mul_f64 v[50:51], v[94:95], v[202:203]
	s_waitcnt vmcnt(4)
	v_fmac_f64_e32 v[50:51], v[96:97], v[208:209]
	v_add_f64 v[28:29], v[28:29], v[50:51]
	s_waitcnt vmcnt(2)
	v_mul_f64 v[50:51], v[98:99], v[4:5]
	s_waitcnt vmcnt(0)
	v_fmac_f64_e32 v[50:51], v[100:101], v[16:17]
	v_add_f64 v[28:29], v[28:29], v[50:51]
	buffer_load_dword v50, off, s[0:3], 0 offset:824
	buffer_load_dword v51, off, s[0:3], 0 offset:828
	;; [unrolled: 1-line block ×4, first 2 shown]
	ds_read_b128 v[102:105], v1 offset:1664
	buffer_load_dword v215, off, s[0:3], 0 offset:844
	buffer_load_dword v214, off, s[0:3], 0 offset:840
	;; [unrolled: 1-line block ×4, first 2 shown]
	v_add_f64 v[6:7], v[6:7], v[58:59]
	v_add_f64 v[6:7], v[6:7], v[200:201]
	;; [unrolled: 1-line block ×4, first 2 shown]
	v_accvgpr_read_b32 v6, a162
	v_accvgpr_read_b32 v7, a163
	v_add_f64 v[2:3], v[254:255], v[250:251]
	v_mul_f64 v[6:7], v[148:149], v[6:7]
	v_add_f64 v[2:3], v[2:3], v[252:253]
	v_fma_f64 v[6:7], v[146:147], v[8:9], -v[6:7]
	v_add_f64 v[2:3], v[2:3], v[6:7]
	v_accvgpr_read_b32 v6, a166
	v_accvgpr_read_b32 v7, a167
	v_accvgpr_read_b32 v8, a168
	v_mul_f64 v[6:7], v[144:145], v[6:7]
	v_accvgpr_read_b32 v9, a169
	v_fma_f64 v[6:7], v[142:143], v[8:9], -v[6:7]
	v_add_f64 v[2:3], v[2:3], v[6:7]
	v_accvgpr_read_b32 v6, a170
	v_accvgpr_read_b32 v7, a171
	v_accvgpr_read_b32 v8, a172
	v_mul_f64 v[6:7], v[140:141], v[6:7]
	v_accvgpr_read_b32 v9, a173
	;; [unrolled: 7-line block ×5, first 2 shown]
	v_fma_f64 v[6:7], v[126:127], v[8:9], -v[6:7]
	v_add_f64 v[2:3], v[2:3], v[6:7]
	v_mul_f64 v[6:7], v[124:125], v[150:151]
	v_fma_f64 v[6:7], v[122:123], v[152:153], -v[6:7]
	v_accvgpr_read_b32 v8, a186
	v_add_f64 v[2:3], v[2:3], v[6:7]
	v_mul_f64 v[6:7], v[120:121], v[36:37]
	v_accvgpr_read_b32 v9, a187
	v_fma_f64 v[6:7], v[118:119], v[8:9], -v[6:7]
	v_add_f64 v[2:3], v[2:3], v[6:7]
	v_mul_f64 v[6:7], v[32:33], v[154:155]
	v_fma_f64 v[6:7], v[30:31], v[156:157], -v[6:7]
	v_add_f64 v[2:3], v[2:3], v[6:7]
	v_accvgpr_read_b32 v6, a188
	v_accvgpr_read_b32 v7, a189
	v_mul_f64 v[6:7], v[44:45], v[6:7]
	v_fma_f64 v[6:7], v[42:43], v[34:35], -v[6:7]
	v_add_f64 v[2:3], v[2:3], v[6:7]
	v_mul_f64 v[6:7], v[40:41], v[162:163]
	v_fma_f64 v[6:7], v[38:39], v[164:165], -v[6:7]
	v_add_f64 v[2:3], v[2:3], v[6:7]
	;; [unrolled: 3-line block ×5, first 2 shown]
	v_mul_f64 v[6:7], v[222:223], v[178:179]
	s_waitcnt vmcnt(6) lgkmcnt(0)
	v_mul_f64 v[106:107], v[102:103], v[50:51]
	v_fma_f64 v[6:7], v[220:221], v[180:181], -v[6:7]
	s_waitcnt vmcnt(4)
	v_fmac_f64_e32 v[106:107], v[104:105], v[232:233]
	v_add_f64 v[28:29], v[28:29], v[106:107]
	ds_read_b128 v[106:109], v1 offset:1680
	buffer_load_dword v236, off, s[0:3], 0 offset:856
	buffer_load_dword v237, off, s[0:3], 0 offset:860
	;; [unrolled: 1-line block ×4, first 2 shown]
	v_add_f64 v[2:3], v[2:3], v[6:7]
	v_mul_f64 v[6:7], v[64:65], v[168:169]
	v_fma_f64 v[6:7], v[62:63], v[170:171], -v[6:7]
	s_waitcnt vmcnt(6) lgkmcnt(0)
	v_mul_f64 v[110:111], v[106:107], v[214:215]
	s_waitcnt vmcnt(4)
	v_fmac_f64_e32 v[110:111], v[108:109], v[234:235]
	v_add_f64 v[28:29], v[28:29], v[110:111]
	ds_read_b128 v[110:113], v1 offset:1696
	buffer_load_dword v243, off, s[0:3], 0 offset:876
	buffer_load_dword v242, off, s[0:3], 0 offset:872
	;; [unrolled: 1-line block ×4, first 2 shown]
	v_add_f64 v[2:3], v[2:3], v[6:7]
	v_mul_f64 v[6:7], v[68:69], v[182:183]
	v_fma_f64 v[6:7], v[66:67], v[184:185], -v[6:7]
	v_add_f64 v[2:3], v[2:3], v[6:7]
	v_mul_f64 v[6:7], v[72:73], v[188:189]
	v_fma_f64 v[6:7], v[70:71], v[190:191], -v[6:7]
	;; [unrolled: 3-line block ×8, first 2 shown]
	v_mul_f64 v[4:5], v[100:101], v[4:5]
	v_add_f64 v[2:3], v[2:3], v[6:7]
	v_fma_f64 v[4:5], v[98:99], v[16:17], -v[4:5]
	v_add_f64 v[2:3], v[2:3], v[4:5]
	v_mul_f64 v[4:5], v[104:105], v[50:51]
	v_fma_f64 v[4:5], v[102:103], v[232:233], -v[4:5]
	v_add_f64 v[2:3], v[2:3], v[4:5]
	v_mul_f64 v[4:5], v[108:109], v[214:215]
	v_fma_f64 v[4:5], v[106:107], v[234:235], -v[4:5]
	v_add_f64 v[2:3], v[2:3], v[4:5]
	v_accvgpr_write_b32 a162, v0
	s_waitcnt vmcnt(6) lgkmcnt(0)
	v_mul_f64 v[114:115], v[110:111], v[236:237]
	v_mul_f64 v[4:5], v[112:113], v[236:237]
	s_waitcnt vmcnt(4)
	v_fmac_f64_e32 v[114:115], v[112:113], v[238:239]
	v_add_f64 v[28:29], v[28:29], v[114:115]
	ds_read_b128 v[114:117], v1 offset:1712
	buffer_load_dword v248, off, s[0:3], 0 offset:64
	buffer_load_dword v249, off, s[0:3], 0 offset:68
	;; [unrolled: 1-line block ×4, first 2 shown]
	v_fma_f64 v[4:5], v[110:111], v[238:239], -v[4:5]
	v_add_f64 v[2:3], v[2:3], v[4:5]
	s_waitcnt vmcnt(6) lgkmcnt(0)
	v_mul_f64 v[4:5], v[116:117], v[242:243]
	v_mul_f64 v[240:241], v[114:115], v[242:243]
	s_waitcnt vmcnt(4)
	v_fma_f64 v[4:5], v[114:115], v[244:245], -v[4:5]
	v_fmac_f64_e32 v[240:241], v[116:117], v[244:245]
	v_add_f64 v[2:3], v[2:3], v[4:5]
	v_add_f64 v[240:241], v[28:29], v[240:241]
	s_waitcnt vmcnt(2)
	v_add_f64 v[2:3], v[248:249], -v[2:3]
	s_waitcnt vmcnt(0)
	v_add_f64 v[4:5], v[246:247], -v[240:241]
	buffer_store_dword v3, off, s[0:3], 0 offset:68
	buffer_store_dword v2, off, s[0:3], 0 offset:64
	;; [unrolled: 1-line block ×4, first 2 shown]
	s_and_saveexec_b64 s[4:5], vcc
	s_cbranch_execz .LBB53_333
; %bb.332:
	v_accvgpr_read_b32 v1, a159
	buffer_load_dword v2, v1, s[0:3], 0 offen
	buffer_load_dword v3, v1, s[0:3], 0 offen offset:4
	buffer_load_dword v4, v1, s[0:3], 0 offen offset:8
	;; [unrolled: 1-line block ×3, first 2 shown]
	v_mov_b32_e32 v1, 0
	v_accvgpr_read_b32 v6, a161
	buffer_store_dword v1, off, s[0:3], 0 offset:48
	buffer_store_dword v1, off, s[0:3], 0 offset:52
	;; [unrolled: 1-line block ×4, first 2 shown]
	s_waitcnt vmcnt(4)
	ds_write_b128 v6, v[2:5]
.LBB53_333:
	s_or_b64 exec, exec, s[4:5]
	v_mov_b32_e32 v226, 0
	s_waitcnt lgkmcnt(0)
	; wave barrier
	s_waitcnt lgkmcnt(0)
	buffer_load_dword v30, off, s[0:3], 0 offset:64
	buffer_load_dword v31, off, s[0:3], 0 offset:68
	;; [unrolled: 1-line block ×54, first 2 shown]
	ds_read_b128 v[114:117], v226 offset:912
	ds_read_b128 v[140:143], v226 offset:928
	;; [unrolled: 1-line block ×9, first 2 shown]
	buffer_load_dword v109, off, s[0:3], 0 offset:292
	buffer_load_dword v108, off, s[0:3], 0 offset:288
	buffer_load_dword v251, off, s[0:3], 0 offset:284
	buffer_load_dword v250, off, s[0:3], 0 offset:280
	buffer_load_dword v253, off, s[0:3], 0 offset:276
	buffer_load_dword v252, off, s[0:3], 0 offset:272
	buffer_load_dword v91, off, s[0:3], 0 offset:332
	buffer_load_dword v90, off, s[0:3], 0 offset:328
	buffer_load_dword v99, off, s[0:3], 0 offset:324
	buffer_load_dword v98, off, s[0:3], 0 offset:320
	buffer_load_dword v111, off, s[0:3], 0 offset:316
	buffer_load_dword v110, off, s[0:3], 0 offset:312
	buffer_load_dword v113, off, s[0:3], 0 offset:308
	buffer_load_dword v112, off, s[0:3], 0 offset:304
	buffer_load_dword v79, off, s[0:3], 0 offset:364
	buffer_load_dword v78, off, s[0:3], 0 offset:360
	buffer_load_dword v81, off, s[0:3], 0 offset:356
	buffer_load_dword v80, off, s[0:3], 0 offset:352
	buffer_load_dword v103, off, s[0:3], 0 offset:348
	buffer_load_dword v102, off, s[0:3], 0 offset:344
	buffer_load_dword v107, off, s[0:3], 0 offset:340
	buffer_load_dword v106, off, s[0:3], 0 offset:336
	buffer_load_dword v87, off, s[0:3], 0 offset:396
	buffer_load_dword v86, off, s[0:3], 0 offset:392
	buffer_load_dword v89, off, s[0:3], 0 offset:388
	buffer_load_dword v88, off, s[0:3], 0 offset:384
	buffer_load_dword v83, off, s[0:3], 0 offset:380
	buffer_load_dword v82, off, s[0:3], 0 offset:376
	buffer_load_dword v85, off, s[0:3], 0 offset:372
	buffer_load_dword v84, off, s[0:3], 0 offset:368
	buffer_load_dword v1, off, s[0:3], 0 offset:428
	buffer_load_dword v0, off, s[0:3], 0 offset:424
	s_waitcnt vmcnt(62) lgkmcnt(8)
	v_mul_f64 v[2:3], v[114:115], v[32:33]
	v_fmac_f64_e32 v[2:3], v[116:117], v[30:31]
	v_add_f64 v[2:3], v[2:3], 0
	v_mul_f64 v[32:33], v[116:117], v[32:33]
	s_waitcnt lgkmcnt(7)
	v_mul_f64 v[4:5], v[140:141], v[38:39]
	v_fmac_f64_e32 v[4:5], v[142:143], v[36:37]
	s_waitcnt lgkmcnt(6)
	v_mul_f64 v[6:7], v[150:151], v[34:35]
	v_add_f64 v[2:3], v[2:3], v[4:5]
	s_waitcnt lgkmcnt(4)
	v_mul_f64 v[10:11], v[158:159], v[40:41]
	v_fma_f64 v[254:255], v[114:115], v[30:31], -v[32:33]
	v_fmac_f64_e32 v[10:11], v[160:161], v[42:43]
	v_mul_f64 v[38:39], v[142:143], v[38:39]
	v_mul_f64 v[8:9], v[154:155], v[44:45]
	s_waitcnt lgkmcnt(2)
	v_mul_f64 v[14:15], v[166:167], v[48:49]
	v_fmac_f64_e32 v[14:15], v[168:169], v[50:51]
	v_mul_f64 v[12:13], v[162:163], v[56:57]
	s_waitcnt lgkmcnt(1)
	v_mul_f64 v[16:17], v[170:171], v[52:53]
	s_waitcnt vmcnt(60)
	v_fmac_f64_e32 v[6:7], v[152:153], v[62:63]
	v_add_f64 v[2:3], v[2:3], v[6:7]
	s_waitcnt vmcnt(58)
	v_fmac_f64_e32 v[8:9], v[156:157], v[60:61]
	v_add_f64 v[2:3], v[2:3], v[8:9]
	;; [unrolled: 3-line block ×3, first 2 shown]
	v_add_f64 v[2:3], v[2:3], v[12:13]
	v_add_f64 v[2:3], v[2:3], v[14:15]
	s_waitcnt vmcnt(54)
	v_fmac_f64_e32 v[16:17], v[172:173], v[54:55]
	v_add_f64 v[2:3], v[2:3], v[16:17]
	s_waitcnt vmcnt(50) lgkmcnt(0)
	v_mul_f64 v[4:5], v[174:175], v[46:47]
	v_fmac_f64_e32 v[4:5], v[176:177], v[64:65]
	v_add_f64 v[2:3], v[2:3], v[4:5]
	s_waitcnt vmcnt(0)
	v_pk_mov_b32 v[14:15], v[0:1], v[0:1] op_sel:[0,1]
	buffer_load_dword v1, off, s[0:3], 0 offset:420
	buffer_load_dword v0, off, s[0:3], 0 offset:416
	v_accvgpr_write_b32 a165, v15
	v_accvgpr_write_b32 a164, v14
	s_waitcnt vmcnt(0)
	v_pk_mov_b32 v[18:19], v[0:1], v[0:1] op_sel:[0,1]
	buffer_load_dword v95, off, s[0:3], 0 offset:412
	buffer_load_dword v94, off, s[0:3], 0 offset:408
	;; [unrolled: 1-line block ×6, first 2 shown]
	v_accvgpr_write_b32 a167, v19
	v_accvgpr_write_b32 a166, v18
	s_waitcnt vmcnt(0)
	v_pk_mov_b32 v[22:23], v[0:1], v[0:1] op_sel:[0,1]
	buffer_load_dword v1, off, s[0:3], 0 offset:452
	buffer_load_dword v0, off, s[0:3], 0 offset:448
	v_accvgpr_write_b32 a173, v23
	v_accvgpr_write_b32 a172, v22
	s_waitcnt vmcnt(0)
	v_pk_mov_b32 v[24:25], v[0:1], v[0:1] op_sel:[0,1]
	buffer_load_dword v1, off, s[0:3], 0 offset:444
	buffer_load_dword v0, off, s[0:3], 0 offset:440
	;; [unrolled: 6-line block ×10, first 2 shown]
	buffer_load_dword v229, off, s[0:3], 0 offset:500
	buffer_load_dword v228, off, s[0:3], 0 offset:496
	ds_read_b128 v[178:181], v226 offset:1056
	ds_read_b128 v[182:185], v226 offset:1072
	;; [unrolled: 1-line block ×6, first 2 shown]
	s_waitcnt lgkmcnt(5)
	v_mul_f64 v[4:5], v[178:179], v[70:71]
	v_fmac_f64_e32 v[4:5], v[180:181], v[72:73]
	v_add_f64 v[2:3], v[2:3], v[4:5]
	s_waitcnt lgkmcnt(4)
	v_mul_f64 v[4:5], v[182:183], v[66:67]
	v_fmac_f64_e32 v[4:5], v[184:185], v[68:69]
	v_add_f64 v[2:3], v[2:3], v[4:5]
	;; [unrolled: 4-line block ×3, first 2 shown]
	s_waitcnt lgkmcnt(2)
	v_mul_f64 v[4:5], v[190:191], v[92:93]
	v_fmac_f64_e32 v[4:5], v[192:193], v[76:77]
	ds_read_b128 v[206:209], v226 offset:1152
	ds_read_b128 v[210:213], v226 offset:1168
	v_add_f64 v[2:3], v[2:3], v[4:5]
	s_waitcnt lgkmcnt(3)
	v_mul_f64 v[4:5], v[198:199], v[250:251]
	v_fmac_f64_e32 v[4:5], v[200:201], v[252:253]
	v_add_f64 v[2:3], v[2:3], v[4:5]
	s_waitcnt lgkmcnt(2)
	v_mul_f64 v[4:5], v[202:203], v[74:75]
	v_fmac_f64_e32 v[4:5], v[204:205], v[108:109]
	;; [unrolled: 4-line block ×3, first 2 shown]
	v_add_f64 v[2:3], v[2:3], v[4:5]
	v_accvgpr_write_b32 a189, v147
	v_accvgpr_write_b32 a188, v146
	s_waitcnt vmcnt(2)
	v_pk_mov_b32 v[194:195], v[0:1], v[0:1] op_sel:[0,1]
	buffer_load_dword v1, off, s[0:3], 0 offset:556
	buffer_load_dword v5, off, s[0:3], 0 offset:540
	;; [unrolled: 1-line block ×8, first 2 shown]
	ds_read_b128 v[214:217], v226 offset:1184
	ds_read_b128 v[218:221], v226 offset:1200
	;; [unrolled: 1-line block ×10, first 2 shown]
	s_waitcnt lgkmcnt(5)
	v_mul_f64 v[8:9], v[246:247], v[94:95]
	v_fmac_f64_e32 v[8:9], v[248:249], v[96:97]
	s_waitcnt lgkmcnt(4)
	v_mul_f64 v[12:13], v[232:233], v[14:15]
	v_fmac_f64_e32 v[12:13], v[234:235], v[18:19]
	;; [unrolled: 3-line block ×5, first 2 shown]
	ds_read_b128 v[236:239], v226 offset:1344
	ds_read_b128 v[30:33], v226 offset:1376
	v_accvgpr_write_b32 a184, v194
	v_accvgpr_write_b32 a185, v195
	s_waitcnt vmcnt(5)
	v_pk_mov_b32 v[196:197], v[4:5], v[4:5] op_sel:[0,1]
	v_mul_f64 v[4:5], v[210:211], v[90:91]
	v_fmac_f64_e32 v[4:5], v[212:213], v[98:99]
	v_add_f64 v[2:3], v[2:3], v[4:5]
	v_mul_f64 v[4:5], v[214:215], v[102:103]
	v_fmac_f64_e32 v[4:5], v[216:217], v[106:107]
	v_add_f64 v[2:3], v[2:3], v[4:5]
	;; [unrolled: 3-line block ×5, first 2 shown]
	v_add_f64 v[10:11], v[6:7], v[8:9]
	v_add_f64 v[14:15], v[10:11], v[12:13]
	;; [unrolled: 1-line block ×5, first 2 shown]
	s_waitcnt lgkmcnt(2)
	v_mul_f64 v[28:29], v[122:123], v[118:119]
	v_fmac_f64_e32 v[28:29], v[124:125], v[120:121]
	ds_read_b128 v[118:121], v226 offset:1360
	v_add_f64 v[26:27], v[26:27], v[28:29]
	s_waitcnt lgkmcnt(2)
	v_mul_f64 v[28:29], v[236:237], v[194:195]
	v_fmac_f64_e32 v[28:29], v[238:239], v[228:229]
	v_add_f64 v[138:139], v[26:27], v[28:29]
	s_waitcnt lgkmcnt(0)
	v_mul_f64 v[114:115], v[118:119], v[144:145]
	v_fmac_f64_e32 v[114:115], v[120:121], v[146:147]
	v_add_f64 v[114:115], v[138:139], v[114:115]
	buffer_load_dword v139, off, s[0:3], 0 offset:588
	buffer_load_dword v138, off, s[0:3], 0 offset:584
	v_fma_f64 v[26:27], v[140:141], v[36:37], -v[38:39]
	buffer_load_dword v141, off, s[0:3], 0 offset:580
	buffer_load_dword v140, off, s[0:3], 0 offset:576
	;; [unrolled: 1-line block ×6, first 2 shown]
	v_mul_f64 v[4:5], v[152:153], v[34:35]
	v_fma_f64 v[24:25], v[150:151], v[62:63], -v[4:5]
	buffer_load_dword v142, off, s[0:3], 0 offset:616
	buffer_load_dword v147, off, s[0:3], 0 offset:604
	;; [unrolled: 1-line block ×5, first 2 shown]
	v_mul_f64 v[34:35], v[156:157], v[44:45]
	v_fma_f64 v[116:117], v[154:155], v[60:61], -v[34:35]
	ds_read_b128 v[34:37], v226 offset:1392
	v_mul_f64 v[38:39], v[30:31], v[196:197]
	buffer_load_dword v152, off, s[0:3], 0 offset:608
	buffer_load_dword v143, off, s[0:3], 0 offset:620
	;; [unrolled: 1-line block ×3, first 2 shown]
	s_waitcnt vmcnt(19)
	v_fmac_f64_e32 v[38:39], v[32:33], v[240:241]
	v_add_f64 v[38:39], v[114:115], v[38:39]
	s_waitcnt vmcnt(18) lgkmcnt(0)
	v_mul_f64 v[44:45], v[34:35], v[0:1]
	s_waitcnt vmcnt(16)
	v_fmac_f64_e32 v[44:45], v[36:37], v[230:231]
	v_add_f64 v[60:61], v[38:39], v[44:45]
	v_mul_f64 v[38:39], v[160:161], v[40:41]
	v_fma_f64 v[114:115], v[158:159], v[42:43], -v[38:39]
	buffer_load_dword v155, off, s[0:3], 0 offset:652
	buffer_load_dword v157, off, s[0:3], 0 offset:636
	;; [unrolled: 1-line block ×8, first 2 shown]
	v_mul_f64 v[38:39], v[164:165], v[56:57]
	v_fma_f64 v[22:23], v[162:163], v[58:59], -v[38:39]
	ds_read_b128 v[38:41], v226 offset:1408
	buffer_load_dword v163, off, s[0:3], 0 offset:668
	buffer_load_dword v162, off, s[0:3], 0 offset:664
	;; [unrolled: 1-line block ×4, first 2 shown]
	v_mul_f64 v[8:9], v[168:169], v[48:49]
	v_mul_f64 v[42:43], v[172:173], v[52:53]
	v_fma_f64 v[18:19], v[166:167], v[50:51], -v[8:9]
	v_fma_f64 v[14:15], v[170:171], v[54:55], -v[42:43]
	buffer_load_dword v167, off, s[0:3], 0 offset:684
	buffer_load_dword v166, off, s[0:3], 0 offset:680
	buffer_load_dword v171, off, s[0:3], 0 offset:676
	buffer_load_dword v170, off, s[0:3], 0 offset:672
	buffer_load_dword v169, off, s[0:3], 0 offset:700
	buffer_load_dword v168, off, s[0:3], 0 offset:696
	buffer_load_dword v173, off, s[0:3], 0 offset:692
	buffer_load_dword v172, off, s[0:3], 0 offset:688
	v_mul_f64 v[12:13], v[176:177], v[46:47]
	v_fma_f64 v[12:13], v[174:175], v[64:65], -v[12:13]
	buffer_load_dword v174, off, s[0:3], 0 offset:712
	buffer_load_dword v176, off, s[0:3], 0 offset:704
	buffer_load_dword v175, off, s[0:3], 0 offset:716
	buffer_load_dword v177, off, s[0:3], 0 offset:708
	v_mul_f64 v[42:43], v[180:181], v[70:71]
	v_fma_f64 v[10:11], v[178:179], v[72:73], -v[42:43]
	buffer_load_dword v179, off, s[0:3], 0 offset:732
	buffer_load_dword v178, off, s[0:3], 0 offset:728
	buffer_load_dword v181, off, s[0:3], 0 offset:724
	buffer_load_dword v180, off, s[0:3], 0 offset:720
	v_mul_f64 v[42:43], v[188:189], v[100:101]
	v_mul_f64 v[16:17], v[184:185], v[66:67]
	v_fma_f64 v[100:101], v[186:187], v[104:105], -v[42:43]
	buffer_load_dword v185, off, s[0:3], 0 offset:748
	buffer_load_dword v184, off, s[0:3], 0 offset:744
	;; [unrolled: 1-line block ×4, first 2 shown]
	v_accvgpr_write_b32 a190, v196
	v_mul_f64 v[42:43], v[192:193], v[92:93]
	v_accvgpr_write_b32 a191, v197
	v_fma_f64 v[16:17], v[182:183], v[68:69], -v[16:17]
	v_fma_f64 v[8:9], v[190:191], v[76:77], -v[42:43]
	buffer_load_dword v183, off, s[0:3], 0 offset:780
	buffer_load_dword v189, off, s[0:3], 0 offset:764
	;; [unrolled: 1-line block ×12, first 2 shown]
	ds_read_b128 v[42:45], v226 offset:1424
	v_mul_f64 v[46:47], v[200:201], v[250:251]
	v_fma_f64 v[250:251], v[198:199], v[252:253], -v[46:47]
	ds_read_b128 v[46:49], v226 offset:1440
	v_mul_f64 v[54:55], v[204:205], v[74:75]
	v_fma_f64 v[252:253], v[202:203], v[108:109], -v[54:55]
	v_mul_f64 v[58:59], v[208:209], v[110:111]
	v_fma_f64 v[198:199], v[206:207], v[112:113], -v[58:59]
	;; [unrolled: 2-line block ×3, first 2 shown]
	ds_read_b128 v[66:69], v226 offset:1520
	v_mul_f64 v[70:71], v[216:217], v[102:103]
	ds_read_b128 v[54:57], v226 offset:1472
	v_fma_f64 v[214:215], v[214:215], v[106:107], -v[70:71]
	v_mul_f64 v[78:79], v[220:221], v[78:79]
	v_fma_f64 v[6:7], v[218:219], v[80:81], -v[78:79]
	v_mul_f64 v[82:83], v[224:225], v[82:83]
	v_fma_f64 v[4:5], v[222:223], v[84:85], -v[82:83]
	ds_read_b128 v[82:85], v226 offset:1584
	v_mul_f64 v[86:87], v[244:245], v[86:87]
	v_fma_f64 v[2:3], v[242:243], v[88:89], -v[86:87]
	ds_read_b128 v[86:89], v226 offset:1600
	buffer_load_dword v98, off, s[0:3], 0 offset:808
	ds_read_b128 v[70:73], v226 offset:1536
	ds_read_b128 v[78:81], v226 offset:1568
	s_waitcnt vmcnt(55) lgkmcnt(8)
	v_mul_f64 v[20:21], v[38:39], v[144:145]
	s_waitcnt lgkmcnt(7)
	v_mul_f64 v[50:51], v[42:43], v[138:139]
	s_waitcnt vmcnt(53)
	v_fmac_f64_e32 v[20:21], v[40:41], v[148:149]
	v_add_f64 v[20:21], v[60:61], v[20:21]
	v_fmac_f64_e32 v[50:51], v[44:45], v[140:141]
	v_add_f64 v[20:21], v[20:21], v[50:51]
	s_waitcnt vmcnt(50) lgkmcnt(6)
	v_mul_f64 v[50:51], v[46:47], v[146:147]
	s_waitcnt vmcnt(48)
	v_fmac_f64_e32 v[50:51], v[48:49], v[150:151]
	v_add_f64 v[20:21], v[20:21], v[50:51]
	ds_read_b128 v[50:53], v226 offset:1456
	ds_read_b128 v[58:61], v226 offset:1488
	s_waitcnt vmcnt(46) lgkmcnt(1)
	v_mul_f64 v[62:63], v[50:51], v[142:143]
	s_waitcnt vmcnt(45)
	v_fmac_f64_e32 v[62:63], v[52:53], v[152:153]
	v_add_f64 v[20:21], v[20:21], v[62:63]
	s_waitcnt vmcnt(42)
	v_mul_f64 v[62:63], v[54:55], v[156:157]
	s_waitcnt vmcnt(40)
	v_fmac_f64_e32 v[62:63], v[56:57], v[160:161]
	v_add_f64 v[20:21], v[20:21], v[62:63]
	s_waitcnt vmcnt(39) lgkmcnt(0)
	v_mul_f64 v[62:63], v[58:59], v[154:155]
	s_waitcnt vmcnt(37)
	v_fmac_f64_e32 v[62:63], v[60:61], v[158:159]
	v_add_f64 v[20:21], v[20:21], v[62:63]
	ds_read_b128 v[62:65], v226 offset:1504
	s_waitcnt vmcnt(35) lgkmcnt(0)
	v_mul_f64 v[74:75], v[62:63], v[162:163]
	s_waitcnt vmcnt(33)
	v_fmac_f64_e32 v[74:75], v[64:65], v[164:165]
	v_add_f64 v[20:21], v[20:21], v[74:75]
	s_waitcnt vmcnt(31)
	v_mul_f64 v[74:75], v[66:67], v[166:167]
	s_waitcnt vmcnt(29)
	v_fmac_f64_e32 v[74:75], v[68:69], v[170:171]
	v_add_f64 v[20:21], v[20:21], v[74:75]
	s_waitcnt vmcnt(27)
	v_mul_f64 v[74:75], v[70:71], v[168:169]
	s_waitcnt vmcnt(25)
	v_fmac_f64_e32 v[74:75], v[72:73], v[172:173]
	v_add_f64 v[20:21], v[20:21], v[74:75]
	ds_read_b128 v[74:77], v226 offset:1552
	s_waitcnt vmcnt(15)
	v_mul_f64 v[28:29], v[82:83], v[184:185]
	s_waitcnt vmcnt(13)
	v_fmac_f64_e32 v[28:29], v[84:85], v[186:187]
	s_waitcnt vmcnt(10)
	v_mul_f64 v[102:103], v[86:87], v[188:189]
	s_waitcnt vmcnt(8)
	v_fmac_f64_e32 v[102:103], v[88:89], v[194:195]
	s_waitcnt lgkmcnt(0)
	v_mul_f64 v[90:91], v[74:75], v[174:175]
	v_fmac_f64_e32 v[90:91], v[76:77], v[176:177]
	v_add_f64 v[20:21], v[20:21], v[90:91]
	v_mul_f64 v[90:91], v[78:79], v[178:179]
	v_fmac_f64_e32 v[90:91], v[80:81], v[180:181]
	v_add_f64 v[20:21], v[20:21], v[90:91]
	v_add_f64 v[28:29], v[20:21], v[28:29]
	v_mul_f64 v[20:21], v[248:249], v[94:95]
	ds_read_b128 v[90:93], v226 offset:1616
	v_fma_f64 v[20:21], v[246:247], v[96:97], -v[20:21]
	ds_read_b128 v[94:97], v226 offset:1632
	buffer_load_dword v224, off, s[0:3], 0 offset:800
	buffer_load_dword v99, off, s[0:3], 0 offset:812
	;; [unrolled: 1-line block ×3, first 2 shown]
	ds_read_b128 v[220:223], v226 offset:1648
	buffer_load_dword v203, off, s[0:3], 0 offset:828
	buffer_load_dword v202, off, s[0:3], 0 offset:824
	buffer_load_dword v205, off, s[0:3], 0 offset:820
	buffer_load_dword v204, off, s[0:3], 0 offset:816
	v_add_f64 v[28:29], v[28:29], v[102:103]
	s_waitcnt vmcnt(14) lgkmcnt(2)
	v_mul_f64 v[102:103], v[90:91], v[182:183]
	s_waitcnt vmcnt(12)
	v_fmac_f64_e32 v[102:103], v[92:93], v[192:193]
	v_add_f64 v[28:29], v[28:29], v[102:103]
	s_waitcnt vmcnt(10) lgkmcnt(1)
	v_mul_f64 v[102:103], v[94:95], v[190:191]
	s_waitcnt vmcnt(8)
	v_fmac_f64_e32 v[102:103], v[96:97], v[196:197]
	;; [unrolled: 5-line block ×3, first 2 shown]
	v_add_f64 v[28:29], v[28:29], v[102:103]
	ds_read_b128 v[102:105], v226 offset:1664
	buffer_load_dword v206, off, s[0:3], 0 offset:840
	buffer_load_dword v207, off, s[0:3], 0 offset:844
	buffer_load_dword v208, off, s[0:3], 0 offset:832
	buffer_load_dword v209, off, s[0:3], 0 offset:836
	s_waitcnt vmcnt(6) lgkmcnt(0)
	v_mul_f64 v[106:107], v[102:103], v[202:203]
	s_waitcnt vmcnt(4)
	v_fmac_f64_e32 v[106:107], v[104:105], v[204:205]
	v_add_f64 v[28:29], v[28:29], v[106:107]
	ds_read_b128 v[106:109], v226 offset:1680
	buffer_load_dword v211, off, s[0:3], 0 offset:860
	buffer_load_dword v210, off, s[0:3], 0 offset:856
	buffer_load_dword v213, off, s[0:3], 0 offset:852
	buffer_load_dword v212, off, s[0:3], 0 offset:848
	s_waitcnt vmcnt(6) lgkmcnt(0)
	v_mul_f64 v[110:111], v[106:107], v[206:207]
	s_waitcnt vmcnt(4)
	v_fmac_f64_e32 v[110:111], v[108:109], v[208:209]
	;; [unrolled: 10-line block ×3, first 2 shown]
	v_add_f64 v[28:29], v[28:29], v[216:217]
	ds_read_b128 v[216:219], v226 offset:1712
	s_waitcnt vmcnt(2) lgkmcnt(0)
	v_mul_f64 v[242:243], v[216:217], v[244:245]
	s_waitcnt vmcnt(0)
	v_fmac_f64_e32 v[242:243], v[218:219], v[246:247]
	v_add_f64 v[242:243], v[28:29], v[242:243]
	v_add_f64 v[28:29], v[254:255], 0
	;; [unrolled: 1-line block ×17, first 2 shown]
	buffer_load_dword v250, off, s[0:3], 0 offset:48
	buffer_load_dword v251, off, s[0:3], 0 offset:52
	v_add_f64 v[8:9], v[8:9], v[200:201]
	buffer_load_dword v248, off, s[0:3], 0 offset:56
	buffer_load_dword v249, off, s[0:3], 0 offset:60
	v_add_f64 v[8:9], v[8:9], v[214:215]
	v_add_f64 v[6:7], v[8:9], v[6:7]
	;; [unrolled: 1-line block ×4, first 2 shown]
	v_accvgpr_read_b32 v4, a164
	v_accvgpr_read_b32 v5, a165
	;; [unrolled: 1-line block ×3, first 2 shown]
	v_mul_f64 v[4:5], v[234:235], v[4:5]
	v_accvgpr_read_b32 v7, a167
	v_add_f64 v[2:3], v[214:215], v[20:21]
	v_fma_f64 v[4:5], v[232:233], v[6:7], -v[4:5]
	v_add_f64 v[2:3], v[2:3], v[4:5]
	v_accvgpr_read_b32 v4, a168
	v_accvgpr_read_b32 v5, a169
	v_accvgpr_read_b32 v6, a170
	v_mul_f64 v[4:5], v[136:137], v[4:5]
	v_accvgpr_read_b32 v7, a171
	v_fma_f64 v[4:5], v[134:135], v[6:7], -v[4:5]
	v_add_f64 v[2:3], v[2:3], v[4:5]
	v_accvgpr_read_b32 v4, a172
	v_accvgpr_read_b32 v5, a173
	v_accvgpr_read_b32 v6, a174
	v_mul_f64 v[4:5], v[132:133], v[4:5]
	v_accvgpr_read_b32 v7, a175
	;; [unrolled: 7-line block ×4, first 2 shown]
	v_fma_f64 v[4:5], v[122:123], v[6:7], -v[4:5]
	v_add_f64 v[2:3], v[2:3], v[4:5]
	v_accvgpr_read_b32 v4, a184
	v_accvgpr_read_b32 v5, a185
	v_mul_f64 v[4:5], v[238:239], v[4:5]
	v_fma_f64 v[4:5], v[236:237], v[228:229], -v[4:5]
	v_add_f64 v[2:3], v[2:3], v[4:5]
	v_accvgpr_read_b32 v4, a186
	v_accvgpr_read_b32 v5, a187
	;; [unrolled: 1-line block ×3, first 2 shown]
	v_mul_f64 v[4:5], v[120:121], v[4:5]
	v_accvgpr_read_b32 v7, a189
	v_fma_f64 v[4:5], v[118:119], v[6:7], -v[4:5]
	v_add_f64 v[2:3], v[2:3], v[4:5]
	v_accvgpr_read_b32 v4, a190
	v_accvgpr_read_b32 v5, a191
	v_mul_f64 v[4:5], v[32:33], v[4:5]
	v_fma_f64 v[4:5], v[30:31], v[240:241], -v[4:5]
	v_add_f64 v[2:3], v[2:3], v[4:5]
	v_mul_f64 v[4:5], v[36:37], v[0:1]
	v_fma_f64 v[4:5], v[34:35], v[230:231], -v[4:5]
	v_add_f64 v[2:3], v[2:3], v[4:5]
	v_mul_f64 v[4:5], v[40:41], v[144:145]
	v_fma_f64 v[4:5], v[38:39], v[148:149], -v[4:5]
	v_add_f64 v[2:3], v[2:3], v[4:5]
	v_mul_f64 v[4:5], v[44:45], v[138:139]
	v_fma_f64 v[4:5], v[42:43], v[140:141], -v[4:5]
	v_add_f64 v[2:3], v[2:3], v[4:5]
	v_mul_f64 v[4:5], v[48:49], v[146:147]
	v_fma_f64 v[4:5], v[46:47], v[150:151], -v[4:5]
	v_add_f64 v[2:3], v[2:3], v[4:5]
	v_mul_f64 v[4:5], v[52:53], v[142:143]
	v_fma_f64 v[4:5], v[50:51], v[152:153], -v[4:5]
	v_add_f64 v[2:3], v[2:3], v[4:5]
	v_mul_f64 v[4:5], v[56:57], v[156:157]
	v_fma_f64 v[4:5], v[54:55], v[160:161], -v[4:5]
	v_add_f64 v[2:3], v[2:3], v[4:5]
	v_mul_f64 v[4:5], v[60:61], v[154:155]
	v_fma_f64 v[4:5], v[58:59], v[158:159], -v[4:5]
	v_add_f64 v[2:3], v[2:3], v[4:5]
	v_mul_f64 v[4:5], v[64:65], v[162:163]
	v_fma_f64 v[4:5], v[62:63], v[164:165], -v[4:5]
	v_add_f64 v[2:3], v[2:3], v[4:5]
	v_mul_f64 v[4:5], v[68:69], v[166:167]
	v_fma_f64 v[4:5], v[66:67], v[170:171], -v[4:5]
	v_add_f64 v[2:3], v[2:3], v[4:5]
	v_mul_f64 v[4:5], v[72:73], v[168:169]
	v_fma_f64 v[4:5], v[70:71], v[172:173], -v[4:5]
	v_add_f64 v[2:3], v[2:3], v[4:5]
	v_mul_f64 v[4:5], v[76:77], v[174:175]
	v_fma_f64 v[4:5], v[74:75], v[176:177], -v[4:5]
	v_add_f64 v[2:3], v[2:3], v[4:5]
	v_mul_f64 v[4:5], v[80:81], v[178:179]
	v_fma_f64 v[4:5], v[78:79], v[180:181], -v[4:5]
	v_add_f64 v[2:3], v[2:3], v[4:5]
	v_mul_f64 v[4:5], v[84:85], v[184:185]
	v_fma_f64 v[4:5], v[82:83], v[186:187], -v[4:5]
	v_add_f64 v[2:3], v[2:3], v[4:5]
	v_mul_f64 v[4:5], v[88:89], v[188:189]
	v_fma_f64 v[4:5], v[86:87], v[194:195], -v[4:5]
	v_add_f64 v[2:3], v[2:3], v[4:5]
	v_mul_f64 v[4:5], v[92:93], v[182:183]
	v_fma_f64 v[4:5], v[90:91], v[192:193], -v[4:5]
	v_add_f64 v[2:3], v[2:3], v[4:5]
	v_mul_f64 v[4:5], v[96:97], v[190:191]
	v_fma_f64 v[4:5], v[94:95], v[196:197], -v[4:5]
	v_add_f64 v[2:3], v[2:3], v[4:5]
	v_mul_f64 v[4:5], v[222:223], v[98:99]
	v_fma_f64 v[4:5], v[220:221], v[224:225], -v[4:5]
	v_add_f64 v[2:3], v[2:3], v[4:5]
	v_mul_f64 v[4:5], v[104:105], v[202:203]
	v_fma_f64 v[4:5], v[102:103], v[204:205], -v[4:5]
	v_add_f64 v[2:3], v[2:3], v[4:5]
	v_mul_f64 v[4:5], v[108:109], v[206:207]
	v_fma_f64 v[4:5], v[106:107], v[208:209], -v[4:5]
	v_add_f64 v[2:3], v[2:3], v[4:5]
	v_mul_f64 v[4:5], v[112:113], v[210:211]
	v_fma_f64 v[4:5], v[110:111], v[212:213], -v[4:5]
	v_add_f64 v[2:3], v[2:3], v[4:5]
	v_mul_f64 v[4:5], v[218:219], v[244:245]
	v_fma_f64 v[4:5], v[216:217], v[246:247], -v[4:5]
	v_add_f64 v[2:3], v[2:3], v[4:5]
	v_accvgpr_read_b32 v0, a162
	s_waitcnt vmcnt(2)
	v_add_f64 v[2:3], v[250:251], -v[2:3]
	v_cmp_lt_u32_e32 vcc, 1, v0
	s_waitcnt vmcnt(0)
	v_add_f64 v[4:5], v[248:249], -v[242:243]
	buffer_store_dword v3, off, s[0:3], 0 offset:52
	buffer_store_dword v2, off, s[0:3], 0 offset:48
	;; [unrolled: 1-line block ×4, first 2 shown]
	s_and_saveexec_b64 s[4:5], vcc
	s_cbranch_execz .LBB53_335
; %bb.334:
	v_accvgpr_read_b32 v5, a160
	buffer_load_dword v2, v5, s[0:3], 0 offen
	buffer_load_dword v3, v5, s[0:3], 0 offen offset:4
	buffer_load_dword v4, v5, s[0:3], 0 offen offset:8
	s_nop 0
	buffer_load_dword v5, v5, s[0:3], 0 offen offset:12
	v_accvgpr_read_b32 v6, a161
	buffer_store_dword v226, off, s[0:3], 0 offset:32
	buffer_store_dword v226, off, s[0:3], 0 offset:36
	;; [unrolled: 1-line block ×4, first 2 shown]
	s_waitcnt vmcnt(4)
	ds_write_b128 v6, v[2:5]
.LBB53_335:
	s_or_b64 exec, exec, s[4:5]
	s_waitcnt lgkmcnt(0)
	; wave barrier
	s_waitcnt lgkmcnt(0)
	buffer_load_dword v22, off, s[0:3], 0 offset:48
	buffer_load_dword v23, off, s[0:3], 0 offset:52
	;; [unrolled: 1-line block ×36, first 2 shown]
	ds_read_b128 v[18:21], v226 offset:896
	ds_read_b128 v[26:29], v226 offset:912
	;; [unrolled: 1-line block ×9, first 2 shown]
	buffer_load_dword v91, off, s[0:3], 0 offset:220
	buffer_load_dword v90, off, s[0:3], 0 offset:216
	;; [unrolled: 1-line block ×19, first 2 shown]
	s_waitcnt vmcnt(51) lgkmcnt(8)
	v_mul_f64 v[2:3], v[18:19], v[24:25]
	v_fmac_f64_e32 v[2:3], v[20:21], v[22:23]
	v_add_f64 v[2:3], v[2:3], 0
	v_mul_f64 v[20:21], v[20:21], v[24:25]
	s_waitcnt vmcnt(47) lgkmcnt(7)
	v_mul_f64 v[4:5], v[26:27], v[130:131]
	v_fmac_f64_e32 v[4:5], v[28:29], v[60:61]
	v_add_f64 v[2:3], v[2:3], v[4:5]
	buffer_load_dword v104, off, s[0:3], 0 offset:272
	buffer_load_dword v253, off, s[0:3], 0 offset:268
	;; [unrolled: 1-line block ×39, first 2 shown]
	s_waitcnt vmcnt(62) lgkmcnt(6)
	v_mul_f64 v[6:7], v[54:55], v[58:59]
	s_waitcnt lgkmcnt(4)
	v_mul_f64 v[10:11], v[34:35], v[140:141]
	v_fmac_f64_e32 v[10:11], v[36:37], v[66:67]
	v_fma_f64 v[24:25], v[18:19], v[22:23], -v[20:21]
	v_mul_f64 v[8:9], v[30:31], v[68:69]
	v_mul_f64 v[28:29], v[28:29], v[130:131]
	s_waitcnt lgkmcnt(2)
	v_mul_f64 v[14:15], v[50:51], v[146:147]
	v_fma_f64 v[130:131], v[26:27], v[60:61], -v[28:29]
	v_fmac_f64_e32 v[14:15], v[52:53], v[148:149]
	v_mul_f64 v[36:37], v[36:37], v[140:141]
	v_mul_f64 v[12:13], v[38:39], v[80:81]
	v_fma_f64 v[20:21], v[34:35], v[66:67], -v[36:37]
	s_waitcnt lgkmcnt(1)
	v_mul_f64 v[16:17], v[46:47], v[144:145]
	v_mul_f64 v[52:53], v[52:53], v[146:147]
	v_fmac_f64_e32 v[6:7], v[56:57], v[86:87]
	v_add_f64 v[2:3], v[2:3], v[6:7]
	v_fmac_f64_e32 v[8:9], v[32:33], v[84:85]
	v_add_f64 v[2:3], v[2:3], v[8:9]
	;; [unrolled: 2-line block ×3, first 2 shown]
	v_add_f64 v[2:3], v[2:3], v[12:13]
	v_add_f64 v[2:3], v[2:3], v[14:15]
	v_fmac_f64_e32 v[16:17], v[48:49], v[78:79]
	v_add_f64 v[2:3], v[2:3], v[16:17]
	v_mul_f64 v[32:33], v[32:33], v[68:69]
	v_mul_f64 v[40:41], v[40:41], v[80:81]
	v_fma_f64 v[18:19], v[38:39], v[82:83], -v[40:41]
	v_add_f64 v[24:25], v[24:25], 0
	v_add_f64 v[24:25], v[24:25], v[130:131]
	s_waitcnt vmcnt(0)
	v_pk_mov_b32 v[122:123], v[4:5], v[4:5] op_sel:[0,1]
	buffer_load_dword v5, off, s[0:3], 0 offset:436
	buffer_load_dword v4, off, s[0:3], 0 offset:432
	v_accvgpr_write_b32 a171, v123
	v_accvgpr_write_b32 a170, v122
	s_waitcnt vmcnt(0)
	v_pk_mov_b32 v[124:125], v[4:5], v[4:5] op_sel:[0,1]
	buffer_load_dword v5, off, s[0:3], 0 offset:428
	buffer_load_dword v4, off, s[0:3], 0 offset:424
	v_accvgpr_write_b32 a173, v125
	v_accvgpr_write_b32 a172, v124
	s_waitcnt vmcnt(0)
	v_pk_mov_b32 v[14:15], v[4:5], v[4:5] op_sel:[0,1]
	buffer_load_dword v5, off, s[0:3], 0 offset:420
	buffer_load_dword v4, off, s[0:3], 0 offset:416
	v_pk_mov_b32 v[224:225], v[14:15], v[14:15] op_sel:[0,1]
	s_waitcnt vmcnt(0)
	v_pk_mov_b32 v[126:127], v[4:5], v[4:5] op_sel:[0,1]
	buffer_load_dword v5, off, s[0:3], 0 offset:476
	buffer_load_dword v4, off, s[0:3], 0 offset:472
	v_accvgpr_write_b32 a169, v127
	v_accvgpr_write_b32 a168, v126
	s_waitcnt vmcnt(0)
	v_pk_mov_b32 v[136:137], v[4:5], v[4:5] op_sel:[0,1]
	buffer_load_dword v5, off, s[0:3], 0 offset:468
	buffer_load_dword v4, off, s[0:3], 0 offset:464
	v_accvgpr_write_b32 a179, v137
	v_accvgpr_write_b32 a178, v136
	;; [unrolled: 6-line block ×7, first 2 shown]
	s_waitcnt vmcnt(0)
	v_pk_mov_b32 v[154:155], v[4:5], v[4:5] op_sel:[0,1]
	buffer_load_dword v5, off, s[0:3], 0 offset:484
	buffer_load_dword v4, off, s[0:3], 0 offset:480
	ds_read_b128 v[156:159], v226 offset:1040
	ds_read_b128 v[168:171], v226 offset:1056
	;; [unrolled: 1-line block ×9, first 2 shown]
	buffer_load_dword v1, off, s[0:3], 0 offset:524
	buffer_load_dword v0, off, s[0:3], 0 offset:520
	;; [unrolled: 1-line block ×4, first 2 shown]
	ds_read_b128 v[220:223], v226 offset:1184
	buffer_load_dword v231, off, s[0:3], 0 offset:540
	buffer_load_dword v230, off, s[0:3], 0 offset:536
	;; [unrolled: 1-line block ×8, first 2 shown]
	ds_read_b128 v[118:121], v226 offset:1200
	ds_read_b128 v[62:65], v226 offset:1216
	;; [unrolled: 1-line block ×4, first 2 shown]
	v_accvgpr_write_b32 a183, v155
	v_accvgpr_write_b32 a182, v154
	s_waitcnt lgkmcnt(5)
	v_mul_f64 v[68:69], v[218:219], v[192:193]
	ds_read_b128 v[248:251], v226 offset:1280
	s_waitcnt lgkmcnt(1)
	v_mul_f64 v[8:9], v[74:75], v[96:97]
	v_fmac_f64_e32 v[8:9], v[76:77], v[100:101]
	s_waitcnt lgkmcnt(0)
	v_mul_f64 v[16:17], v[248:249], v[122:123]
	v_fmac_f64_e32 v[16:17], v[250:251], v[124:125]
	s_waitcnt vmcnt(12)
	v_pk_mov_b32 v[162:163], v[4:5], v[4:5] op_sel:[0,1]
	v_mul_f64 v[4:5], v[42:43], v[160:161]
	v_fmac_f64_e32 v[4:5], v[44:45], v[88:89]
	v_add_f64 v[2:3], v[2:3], v[4:5]
	v_mul_f64 v[4:5], v[156:157], v[94:95]
	v_fmac_f64_e32 v[4:5], v[158:159], v[98:99]
	v_add_f64 v[2:3], v[2:3], v[4:5]
	v_mul_f64 v[4:5], v[168:169], v[90:91]
	v_fmac_f64_e32 v[4:5], v[170:171], v[92:93]
	v_add_f64 v[2:3], v[2:3], v[4:5]
	v_mul_f64 v[4:5], v[172:173], v[164:165]
	v_fmac_f64_e32 v[4:5], v[174:175], v[166:167]
	v_add_f64 v[2:3], v[2:3], v[4:5]
	v_mul_f64 v[4:5], v[180:181], v[176:177]
	v_fmac_f64_e32 v[4:5], v[182:183], v[178:179]
	v_add_f64 v[2:3], v[2:3], v[4:5]
	v_mul_f64 v[4:5], v[200:201], v[252:253]
	v_fmac_f64_e32 v[4:5], v[202:203], v[254:255]
	v_add_f64 v[2:3], v[2:3], v[4:5]
	v_mul_f64 v[4:5], v[204:205], v[102:103]
	v_fmac_f64_e32 v[4:5], v[206:207], v[104:105]
	v_add_f64 v[2:3], v[2:3], v[4:5]
	v_mul_f64 v[4:5], v[208:209], v[196:197]
	v_fmac_f64_e32 v[4:5], v[210:211], v[198:199]
	v_add_f64 v[2:3], v[2:3], v[4:5]
	v_mul_f64 v[4:5], v[212:213], v[188:189]
	v_fmac_f64_e32 v[4:5], v[214:215], v[190:191]
	v_add_f64 v[2:3], v[2:3], v[4:5]
	v_mul_f64 v[4:5], v[216:217], v[192:193]
	v_fmac_f64_e32 v[4:5], v[218:219], v[194:195]
	v_add_f64 v[2:3], v[2:3], v[4:5]
	v_mul_f64 v[4:5], v[220:221], v[114:115]
	v_fmac_f64_e32 v[4:5], v[222:223], v[116:117]
	v_add_f64 v[2:3], v[2:3], v[4:5]
	v_mul_f64 v[4:5], v[118:119], v[184:185]
	v_fmac_f64_e32 v[4:5], v[120:121], v[186:187]
	v_add_f64 v[2:3], v[2:3], v[4:5]
	v_mul_f64 v[4:5], v[62:63], v[106:107]
	v_fmac_f64_e32 v[4:5], v[64:65], v[110:111]
	v_add_f64 v[2:3], v[2:3], v[4:5]
	v_mul_f64 v[4:5], v[70:71], v[108:109]
	v_fmac_f64_e32 v[4:5], v[72:73], v[112:113]
	v_add_f64 v[6:7], v[2:3], v[4:5]
	ds_read_b128 v[2:5], v226 offset:1264
	buffer_load_dword v229, off, s[0:3], 0 offset:572
	buffer_load_dword v228, off, s[0:3], 0 offset:568
	ds_read_b128 v[244:247], v226 offset:1296
	ds_read_b128 v[236:239], v226 offset:1312
	v_add_f64 v[10:11], v[6:7], v[8:9]
	s_waitcnt lgkmcnt(2)
	v_mul_f64 v[12:13], v[2:3], v[14:15]
	v_fmac_f64_e32 v[12:13], v[4:5], v[126:127]
	s_waitcnt lgkmcnt(1)
	v_mul_f64 v[134:135], v[244:245], v[128:129]
	ds_read_b128 v[126:129], v226 offset:1328
	ds_read_b128 v[122:125], v226 offset:1344
	v_add_f64 v[14:15], v[10:11], v[12:13]
	v_accvgpr_write_b32 a167, v5
	v_add_f64 v[132:133], v[14:15], v[16:17]
	v_fmac_f64_e32 v[134:135], v[246:247], v[152:153]
	s_waitcnt lgkmcnt(2)
	v_mul_f64 v[22:23], v[236:237], v[136:137]
	v_accvgpr_write_b32 a166, v4
	v_accvgpr_write_b32 a165, v3
	;; [unrolled: 1-line block ×3, first 2 shown]
	v_add_f64 v[4:5], v[132:133], v[134:135]
	v_fmac_f64_e32 v[22:23], v[238:239], v[138:139]
	v_add_f64 v[4:5], v[4:5], v[22:23]
	s_waitcnt lgkmcnt(1)
	v_mul_f64 v[22:23], v[126:127], v[154:155]
	ds_read_b128 v[26:29], v226 offset:1360
	v_fmac_f64_e32 v[22:23], v[128:129], v[162:163]
	buffer_load_dword v135, off, s[0:3], 0 offset:564
	buffer_load_dword v134, off, s[0:3], 0 offset:560
	v_add_f64 v[4:5], v[4:5], v[22:23]
	buffer_load_dword v22, off, s[0:3], 0 offset:600
	buffer_load_dword v132, off, s[0:3], 0 offset:592
	;; [unrolled: 1-line block ×4, first 2 shown]
	v_accvgpr_write_b32 a185, v163
	s_waitcnt lgkmcnt(1)
	v_mul_f64 v[60:61], v[122:123], v[142:143]
	buffer_load_dword v139, off, s[0:3], 0 offset:580
	buffer_load_dword v138, off, s[0:3], 0 offset:576
	;; [unrolled: 1-line block ×3, first 2 shown]
	v_accvgpr_write_b32 a184, v162
	v_fmac_f64_e32 v[60:61], v[124:125], v[150:151]
	v_fma_f64 v[162:163], v[30:31], v[84:85], -v[32:33]
	s_waitcnt vmcnt(21) lgkmcnt(0)
	v_mul_f64 v[30:31], v[26:27], v[0:1]
	buffer_load_dword v133, off, s[0:3], 0 offset:596
	v_add_f64 v[60:61], v[4:5], v[60:61]
	v_mul_f64 v[4:5], v[56:57], v[58:59]
	s_waitcnt vmcnt(20)
	v_fmac_f64_e32 v[30:31], v[28:29], v[232:233]
	v_fma_f64 v[86:87], v[54:55], v[86:87], -v[4:5]
	v_add_f64 v[54:55], v[60:61], v[30:31]
	ds_read_b128 v[30:33], v226 offset:1376
	ds_read_b128 v[34:37], v226 offset:1392
	;; [unrolled: 1-line block ×3, first 2 shown]
	buffer_load_dword v141, off, s[0:3], 0 offset:620
	buffer_load_dword v140, off, s[0:3], 0 offset:616
	;; [unrolled: 1-line block ×4, first 2 shown]
	v_fma_f64 v[14:15], v[50:51], v[148:149], -v[52:53]
	buffer_load_dword v147, off, s[0:3], 0 offset:636
	buffer_load_dword v146, off, s[0:3], 0 offset:632
	;; [unrolled: 1-line block ×4, first 2 shown]
	v_mul_f64 v[12:13], v[48:49], v[144:145]
	buffer_load_dword v145, off, s[0:3], 0 offset:668
	buffer_load_dword v144, off, s[0:3], 0 offset:664
	;; [unrolled: 1-line block ×8, first 2 shown]
	v_mul_f64 v[44:45], v[44:45], v[160:161]
	v_fma_f64 v[10:11], v[42:43], v[88:89], -v[44:45]
	v_mul_f64 v[42:43], v[158:159], v[94:95]
	v_fma_f64 v[94:95], v[156:157], v[98:99], -v[42:43]
	buffer_load_dword v157, off, s[0:3], 0 offset:684
	buffer_load_dword v156, off, s[0:3], 0 offset:680
	;; [unrolled: 1-line block ×8, first 2 shown]
	v_mul_f64 v[42:43], v[170:171], v[90:91]
	v_fma_f64 v[98:99], v[168:169], v[92:93], -v[42:43]
	v_mul_f64 v[42:43], v[174:175], v[164:165]
	v_fma_f64 v[8:9], v[172:173], v[166:167], -v[42:43]
	buffer_load_dword v165, off, s[0:3], 0 offset:732
	buffer_load_dword v167, off, s[0:3], 0 offset:716
	;; [unrolled: 1-line block ×12, first 2 shown]
	v_mul_f64 v[42:43], v[182:183], v[176:177]
	v_fma_f64 v[6:7], v[180:181], v[178:179], -v[42:43]
	v_mul_f64 v[42:43], v[202:203], v[252:253]
	s_waitcnt vmcnt(54) lgkmcnt(2)
	v_mul_f64 v[56:57], v[30:31], v[230:231]
	v_fma_f64 v[200:201], v[200:201], v[254:255], -v[42:43]
	buffer_load_dword v179, off, s[0:3], 0 offset:764
	buffer_load_dword v178, off, s[0:3], 0 offset:760
	buffer_load_dword v181, off, s[0:3], 0 offset:756
	buffer_load_dword v180, off, s[0:3], 0 offset:752
	buffer_load_dword v176, off, s[0:3], 0 offset:792
	buffer_load_dword v255, off, s[0:3], 0 offset:780
	buffer_load_dword v254, off, s[0:3], 0 offset:776
	buffer_load_dword v183, off, s[0:3], 0 offset:772
	buffer_load_dword v182, off, s[0:3], 0 offset:768
	buffer_load_dword v252, off, s[0:3], 0 offset:784
	buffer_load_dword v177, off, s[0:3], 0 offset:796
	buffer_load_dword v253, off, s[0:3], 0 offset:788
	ds_read_b128 v[42:45], v226 offset:1424
	s_waitcnt vmcnt(62)
	v_fmac_f64_e32 v[56:57], v[32:33], v[240:241]
	v_fma_f64 v[12:13], v[46:47], v[78:79], -v[12:13]
	v_mul_f64 v[46:47], v[206:207], v[102:103]
	v_add_f64 v[54:55], v[54:55], v[56:57]
	s_waitcnt lgkmcnt(2)
	v_mul_f64 v[56:57], v[34:35], v[234:235]
	v_fma_f64 v[206:207], v[204:205], v[104:105], -v[46:47]
	ds_read_b128 v[46:49], v226 offset:1440
	s_waitcnt vmcnt(60)
	v_fmac_f64_e32 v[56:57], v[36:37], v[242:243]
	v_mul_f64 v[50:51], v[210:211], v[196:197]
	v_add_f64 v[54:55], v[54:55], v[56:57]
	v_fma_f64 v[208:209], v[208:209], v[198:199], -v[50:51]
	ds_read_b128 v[50:53], v226 offset:1456
	v_mul_f64 v[58:59], v[214:215], v[188:189]
	v_fma_f64 v[214:215], v[212:213], v[190:191], -v[58:59]
	ds_read_b128 v[58:61], v226 offset:1488
	v_fma_f64 v[212:213], v[216:217], v[194:195], -v[68:69]
	s_waitcnt vmcnt(58) lgkmcnt(4)
	v_mul_f64 v[16:17], v[38:39], v[228:229]
	ds_read_b128 v[216:219], v226 offset:1504
	v_mul_f64 v[78:79], v[222:223], v[114:115]
	v_fma_f64 v[188:189], v[220:221], v[116:117], -v[78:79]
	ds_read_b128 v[220:223], v226 offset:1536
	v_mul_f64 v[64:65], v[64:65], v[106:107]
	ds_read_b128 v[82:85], v226 offset:1584
	ds_read_b128 v[90:93], v226 offset:1600
	v_fma_f64 v[2:3], v[62:63], v[110:111], -v[64:65]
	v_mul_f64 v[64:65], v[72:73], v[108:109]
	v_fma_f64 v[64:65], v[70:71], v[112:113], -v[64:65]
	v_accvgpr_write_b32 a191, v65
	v_mul_f64 v[70:71], v[76:77], v[96:97]
	v_accvgpr_write_b32 a190, v64
	v_fma_f64 v[96:97], v[74:75], v[100:101], -v[70:71]
	v_add_f64 v[24:25], v[24:25], v[86:87]
	v_add_f64 v[24:25], v[24:25], v[162:163]
	;; [unrolled: 1-line block ×4, first 2 shown]
	ds_read_b128 v[70:73], v226 offset:1632
	v_add_f64 v[14:15], v[18:19], v[14:15]
	v_add_f64 v[12:13], v[14:15], v[12:13]
	;; [unrolled: 1-line block ×3, first 2 shown]
	s_waitcnt vmcnt(56)
	v_fmac_f64_e32 v[16:17], v[40:41], v[134:135]
	v_add_f64 v[16:17], v[54:55], v[16:17]
	s_waitcnt vmcnt(52) lgkmcnt(8)
	v_mul_f64 v[54:55], v[42:43], v[136:137]
	v_add_f64 v[10:11], v[10:11], v[94:95]
	s_waitcnt vmcnt(50)
	v_fmac_f64_e32 v[54:55], v[44:45], v[138:139]
	v_add_f64 v[16:17], v[16:17], v[54:55]
	s_waitcnt vmcnt(49) lgkmcnt(7)
	v_mul_f64 v[54:55], v[46:47], v[22:23]
	v_add_f64 v[10:11], v[10:11], v[98:99]
	v_add_f64 v[8:9], v[10:11], v[8:9]
	;; [unrolled: 1-line block ×3, first 2 shown]
	s_waitcnt vmcnt(48)
	v_fmac_f64_e32 v[54:55], v[48:49], v[132:133]
	v_add_f64 v[16:17], v[16:17], v[54:55]
	v_add_f64 v[6:7], v[6:7], v[200:201]
	;; [unrolled: 1-line block ×6, first 2 shown]
	s_waitcnt vmcnt(46) lgkmcnt(6)
	v_mul_f64 v[54:55], v[50:51], v[140:141]
	v_add_f64 v[6:7], v[6:7], v[188:189]
	s_waitcnt vmcnt(44)
	v_fmac_f64_e32 v[54:55], v[52:53], v[142:143]
	v_add_f64 v[16:17], v[16:17], v[54:55]
	ds_read_b128 v[54:57], v226 offset:1472
	s_waitcnt vmcnt(42) lgkmcnt(0)
	v_mul_f64 v[66:67], v[54:55], v[146:147]
	s_waitcnt vmcnt(40)
	v_fmac_f64_e32 v[66:67], v[56:57], v[148:149]
	v_add_f64 v[16:17], v[16:17], v[66:67]
	s_waitcnt vmcnt(36)
	v_mul_f64 v[66:67], v[58:59], v[152:153]
	s_waitcnt vmcnt(34)
	v_fmac_f64_e32 v[66:67], v[60:61], v[154:155]
	v_add_f64 v[16:17], v[16:17], v[66:67]
	v_mul_f64 v[66:67], v[216:217], v[144:145]
	s_waitcnt vmcnt(32)
	v_fmac_f64_e32 v[66:67], v[218:219], v[150:151]
	v_add_f64 v[16:17], v[16:17], v[66:67]
	ds_read_b128 v[66:69], v226 offset:1520
	s_waitcnt vmcnt(10)
	v_mul_f64 v[74:75], v[90:91], v[178:179]
	s_waitcnt vmcnt(8)
	v_fmac_f64_e32 v[74:75], v[92:93], v[180:181]
	s_waitcnt lgkmcnt(0)
	v_mul_f64 v[78:79], v[66:67], v[156:157]
	v_fmac_f64_e32 v[78:79], v[68:69], v[88:89]
	v_add_f64 v[16:17], v[16:17], v[78:79]
	v_mul_f64 v[78:79], v[120:121], v[184:185]
	v_fma_f64 v[4:5], v[118:119], v[186:187], -v[78:79]
	ds_read_b128 v[118:121], v226 offset:1552
	v_mul_f64 v[78:79], v[220:221], v[158:159]
	v_fmac_f64_e32 v[78:79], v[222:223], v[160:161]
	v_add_f64 v[16:17], v[16:17], v[78:79]
	ds_read_b128 v[78:81], v226 offset:1568
	s_waitcnt lgkmcnt(1)
	v_mul_f64 v[62:63], v[118:119], v[166:167]
	v_fmac_f64_e32 v[62:63], v[120:121], v[172:173]
	v_add_f64 v[16:17], v[16:17], v[62:63]
	v_add_f64 v[4:5], v[6:7], v[4:5]
	s_waitcnt lgkmcnt(0)
	v_mul_f64 v[62:63], v[78:79], v[164:165]
	v_fmac_f64_e32 v[62:63], v[80:81], v[170:171]
	v_add_f64 v[16:17], v[16:17], v[62:63]
	v_mul_f64 v[62:63], v[82:83], v[168:169]
	v_fmac_f64_e32 v[62:63], v[84:85], v[174:175]
	v_add_f64 v[16:17], v[16:17], v[62:63]
	ds_read_b128 v[62:65], v226 offset:1616
	buffer_load_dword v185, off, s[0:3], 0 offset:812
	buffer_load_dword v184, off, s[0:3], 0 offset:808
	;; [unrolled: 1-line block ×4, first 2 shown]
	v_add_f64 v[16:17], v[16:17], v[74:75]
	v_accvgpr_read_b32 v6, a164
	v_add_f64 v[214:215], v[4:5], v[2:3]
	s_waitcnt vmcnt(9) lgkmcnt(0)
	v_mul_f64 v[74:75], v[62:63], v[254:255]
	s_waitcnt vmcnt(7)
	v_fmac_f64_e32 v[74:75], v[64:65], v[182:183]
	v_add_f64 v[16:17], v[16:17], v[74:75]
	s_waitcnt vmcnt(5)
	v_mul_f64 v[74:75], v[70:71], v[176:177]
	s_waitcnt vmcnt(4)
	v_fmac_f64_e32 v[74:75], v[72:73], v[252:253]
	v_add_f64 v[16:17], v[16:17], v[74:75]
	ds_read_b128 v[74:77], v226 offset:1648
	v_accvgpr_read_b32 v2, a190
	v_accvgpr_read_b32 v8, a166
	;; [unrolled: 1-line block ×4, first 2 shown]
	v_mul_f64 v[4:5], v[8:9], v[224:225]
	v_accvgpr_read_b32 v8, a168
	v_add_f64 v[2:3], v[214:215], v[2:3]
	v_accvgpr_read_b32 v7, a165
	v_accvgpr_read_b32 v9, a169
	v_add_f64 v[2:3], v[2:3], v[96:97]
	v_fma_f64 v[4:5], v[6:7], v[8:9], -v[4:5]
	v_add_f64 v[2:3], v[2:3], v[4:5]
	v_accvgpr_read_b32 v4, a170
	v_accvgpr_read_b32 v5, a171
	v_accvgpr_read_b32 v6, a172
	v_mul_f64 v[4:5], v[250:251], v[4:5]
	v_accvgpr_read_b32 v7, a173
	v_fma_f64 v[4:5], v[248:249], v[6:7], -v[4:5]
	v_add_f64 v[2:3], v[2:3], v[4:5]
	v_accvgpr_read_b32 v4, a174
	v_accvgpr_read_b32 v5, a175
	v_accvgpr_read_b32 v6, a176
	v_mul_f64 v[4:5], v[246:247], v[4:5]
	v_accvgpr_read_b32 v7, a177
	;; [unrolled: 7-line block ×5, first 2 shown]
	v_fma_f64 v[4:5], v[122:123], v[6:7], -v[4:5]
	v_add_f64 v[2:3], v[2:3], v[4:5]
	v_mul_f64 v[4:5], v[28:29], v[0:1]
	v_fma_f64 v[4:5], v[26:27], v[232:233], -v[4:5]
	v_add_f64 v[2:3], v[2:3], v[4:5]
	v_mul_f64 v[4:5], v[32:33], v[230:231]
	;; [unrolled: 3-line block ×7, first 2 shown]
	v_fma_f64 v[4:5], v[50:51], v[142:143], -v[4:5]
	s_waitcnt vmcnt(2) lgkmcnt(0)
	v_mul_f64 v[100:101], v[74:75], v[184:185]
	v_add_f64 v[2:3], v[2:3], v[4:5]
	s_waitcnt vmcnt(0)
	v_fmac_f64_e32 v[100:101], v[76:77], v[186:187]
	v_add_f64 v[16:17], v[16:17], v[100:101]
	buffer_load_dword v100, off, s[0:3], 0 offset:824
	buffer_load_dword v101, off, s[0:3], 0 offset:828
	;; [unrolled: 1-line block ×4, first 2 shown]
	ds_read_b128 v[102:105], v226 offset:1664
	buffer_load_dword v193, off, s[0:3], 0 offset:844
	buffer_load_dword v192, off, s[0:3], 0 offset:840
	;; [unrolled: 1-line block ×4, first 2 shown]
	v_mul_f64 v[4:5], v[56:57], v[146:147]
	v_fma_f64 v[4:5], v[54:55], v[148:149], -v[4:5]
	v_add_f64 v[2:3], v[2:3], v[4:5]
	v_mul_f64 v[4:5], v[60:61], v[152:153]
	v_fma_f64 v[4:5], v[58:59], v[154:155], -v[4:5]
	v_add_f64 v[2:3], v[2:3], v[4:5]
	;; [unrolled: 3-line block ×12, first 2 shown]
	v_accvgpr_read_b32 v233, a162
	v_cmp_ne_u32_e32 vcc, 0, v233
	s_waitcnt vmcnt(6) lgkmcnt(0)
	v_mul_f64 v[106:107], v[102:103], v[100:101]
	v_mul_f64 v[4:5], v[104:105], v[100:101]
	s_waitcnt vmcnt(4)
	v_fmac_f64_e32 v[106:107], v[104:105], v[190:191]
	v_add_f64 v[16:17], v[16:17], v[106:107]
	ds_read_b128 v[106:109], v226 offset:1680
	buffer_load_dword v196, off, s[0:3], 0 offset:856
	buffer_load_dword v197, off, s[0:3], 0 offset:860
	;; [unrolled: 1-line block ×4, first 2 shown]
	v_fma_f64 v[4:5], v[102:103], v[190:191], -v[4:5]
	v_add_f64 v[2:3], v[2:3], v[4:5]
	s_waitcnt vmcnt(6) lgkmcnt(0)
	v_mul_f64 v[110:111], v[106:107], v[192:193]
	s_waitcnt vmcnt(4)
	v_fmac_f64_e32 v[110:111], v[108:109], v[194:195]
	v_add_f64 v[16:17], v[16:17], v[110:111]
	ds_read_b128 v[110:113], v226 offset:1696
	buffer_load_dword v203, off, s[0:3], 0 offset:876
	buffer_load_dword v202, off, s[0:3], 0 offset:872
	;; [unrolled: 1-line block ×4, first 2 shown]
	v_mul_f64 v[4:5], v[108:109], v[192:193]
	v_fma_f64 v[4:5], v[106:107], v[194:195], -v[4:5]
	v_add_f64 v[2:3], v[2:3], v[4:5]
	s_waitcnt vmcnt(6) lgkmcnt(0)
	v_mul_f64 v[114:115], v[110:111], v[196:197]
	v_mul_f64 v[4:5], v[112:113], v[196:197]
	s_waitcnt vmcnt(4)
	v_fmac_f64_e32 v[114:115], v[112:113], v[198:199]
	v_add_f64 v[16:17], v[16:17], v[114:115]
	ds_read_b128 v[114:117], v226 offset:1712
	buffer_load_dword v208, off, s[0:3], 0 offset:32
	buffer_load_dword v209, off, s[0:3], 0 offset:36
	;; [unrolled: 1-line block ×4, first 2 shown]
	v_fma_f64 v[4:5], v[110:111], v[198:199], -v[4:5]
	v_add_f64 v[2:3], v[2:3], v[4:5]
	s_waitcnt vmcnt(6) lgkmcnt(0)
	v_mul_f64 v[4:5], v[116:117], v[202:203]
	v_mul_f64 v[210:211], v[114:115], v[202:203]
	s_waitcnt vmcnt(4)
	v_fma_f64 v[4:5], v[114:115], v[204:205], -v[4:5]
	v_fmac_f64_e32 v[210:211], v[116:117], v[204:205]
	v_add_f64 v[2:3], v[2:3], v[4:5]
	v_add_f64 v[16:17], v[16:17], v[210:211]
	s_waitcnt vmcnt(2)
	v_add_f64 v[2:3], v[208:209], -v[2:3]
	s_waitcnt vmcnt(0)
	v_add_f64 v[4:5], v[206:207], -v[16:17]
	buffer_store_dword v3, off, s[0:3], 0 offset:36
	buffer_store_dword v2, off, s[0:3], 0 offset:32
	;; [unrolled: 1-line block ×4, first 2 shown]
	s_and_saveexec_b64 s[4:5], vcc
	s_cbranch_execz .LBB53_337
; %bb.336:
	buffer_load_dword v0, off, s[0:3], 0 offset:16
	buffer_load_dword v1, off, s[0:3], 0 offset:20
	;; [unrolled: 1-line block ×4, first 2 shown]
	v_mov_b32_e32 v4, 0
	v_accvgpr_read_b32 v5, a161
	buffer_store_dword v4, off, s[0:3], 0 offset:16
	buffer_store_dword v4, off, s[0:3], 0 offset:20
	;; [unrolled: 1-line block ×4, first 2 shown]
	s_waitcnt vmcnt(4)
	ds_write_b128 v5, v[0:3]
.LBB53_337:
	s_or_b64 exec, exec, s[4:5]
	s_waitcnt lgkmcnt(0)
	; wave barrier
	s_waitcnt lgkmcnt(0)
	buffer_load_dword v16, off, s[0:3], 0 offset:32
	buffer_load_dword v17, off, s[0:3], 0 offset:36
	;; [unrolled: 1-line block ×36, first 2 shown]
	v_mov_b32_e32 v112, 0
	buffer_load_dword v53, off, s[0:3], 0 offset:204
	buffer_load_dword v52, off, s[0:3], 0 offset:200
	;; [unrolled: 1-line block ×18, first 2 shown]
	ds_read_b128 v[236:239], v112 offset:880
	ds_read_b128 v[108:111], v112 offset:896
	;; [unrolled: 1-line block ×9, first 2 shown]
	s_and_b64 vcc, exec, s[20:21]
	s_waitcnt vmcnt(50) lgkmcnt(8)
	v_mul_f64 v[0:1], v[236:237], v[14:15]
	v_fmac_f64_e32 v[0:1], v[238:239], v[16:17]
	v_add_f64 v[0:1], v[0:1], 0
	v_mul_f64 v[14:15], v[238:239], v[14:15]
	s_waitcnt vmcnt(46) lgkmcnt(7)
	v_mul_f64 v[2:3], v[108:109], v[22:23]
	v_fmac_f64_e32 v[2:3], v[110:111], v[20:21]
	s_waitcnt vmcnt(44) lgkmcnt(6)
	v_mul_f64 v[4:5], v[124:125], v[234:235]
	v_add_f64 v[0:1], v[0:1], v[2:3]
	s_waitcnt vmcnt(42) lgkmcnt(4)
	v_mul_f64 v[8:9], v[132:133], v[230:231]
	v_mul_f64 v[22:23], v[110:111], v[22:23]
	s_waitcnt vmcnt(40)
	v_fmac_f64_e32 v[8:9], v[134:135], v[226:227]
	s_waitcnt vmcnt(38)
	v_mul_f64 v[6:7], v[128:129], v[26:27]
	v_mul_f64 v[26:27], v[130:131], v[26:27]
	s_waitcnt vmcnt(36) lgkmcnt(2)
	v_mul_f64 v[66:67], v[140:141], v[36:37]
	v_mul_f64 v[36:37], v[142:143], v[36:37]
	s_waitcnt vmcnt(34)
	v_fmac_f64_e32 v[66:67], v[142:143], v[38:39]
	v_fma_f64 v[110:111], v[140:141], v[38:39], -v[36:37]
	s_waitcnt vmcnt(32)
	v_mul_f64 v[10:11], v[136:137], v[46:47]
	v_mul_f64 v[46:47], v[138:139], v[46:47]
	s_waitcnt vmcnt(30) lgkmcnt(1)
	v_mul_f64 v[114:115], v[144:145], v[40:41]
	v_mul_f64 v[40:41], v[146:147], v[40:41]
	s_waitcnt vmcnt(28)
	v_fmac_f64_e32 v[4:5], v[126:127], v[240:241]
	v_add_f64 v[0:1], v[0:1], v[4:5]
	s_waitcnt vmcnt(26)
	v_fmac_f64_e32 v[6:7], v[130:131], v[32:33]
	v_add_f64 v[0:1], v[0:1], v[6:7]
	;; [unrolled: 3-line block ×3, first 2 shown]
	v_add_f64 v[0:1], v[0:1], v[10:11]
	v_add_f64 v[0:1], v[0:1], v[66:67]
	buffer_load_dword v107, off, s[0:3], 0 offset:260
	buffer_load_dword v106, off, s[0:3], 0 offset:256
	;; [unrolled: 1-line block ×40, first 2 shown]
	s_waitcnt vmcnt(62)
	v_fmac_f64_e32 v[114:115], v[146:147], v[44:45]
	v_add_f64 v[0:1], v[0:1], v[114:115]
	s_waitcnt vmcnt(0)
	v_pk_mov_b32 v[122:123], v[2:3], v[2:3] op_sel:[0,1]
	buffer_load_dword v3, off, s[0:3], 0 offset:420
	buffer_load_dword v2, off, s[0:3], 0 offset:416
	v_accvgpr_write_b32 a167, v123
	v_accvgpr_write_b32 a166, v122
	s_waitcnt vmcnt(0)
	v_pk_mov_b32 v[118:119], v[2:3], v[2:3] op_sel:[0,1]
	buffer_load_dword v93, off, s[0:3], 0 offset:412
	buffer_load_dword v92, off, s[0:3], 0 offset:408
	;; [unrolled: 1-line block ×6, first 2 shown]
	v_accvgpr_write_b32 a169, v119
	v_accvgpr_write_b32 a168, v118
	s_waitcnt vmcnt(0)
	v_pk_mov_b32 v[120:121], v[2:3], v[2:3] op_sel:[0,1]
	buffer_load_dword v3, off, s[0:3], 0 offset:452
	buffer_load_dword v2, off, s[0:3], 0 offset:448
	v_accvgpr_write_b32 a175, v121
	v_accvgpr_write_b32 a174, v120
	s_waitcnt vmcnt(0)
	v_pk_mov_b32 v[228:229], v[2:3], v[2:3] op_sel:[0,1]
	buffer_load_dword v3, off, s[0:3], 0 offset:444
	buffer_load_dword v2, off, s[0:3], 0 offset:440
	s_waitcnt vmcnt(0)
	v_pk_mov_b32 v[218:219], v[2:3], v[2:3] op_sel:[0,1]
	buffer_load_dword v3, off, s[0:3], 0 offset:436
	buffer_load_dword v2, off, s[0:3], 0 offset:432
	v_accvgpr_write_b32 a170, v218
	v_accvgpr_write_b32 a171, v219
	s_waitcnt vmcnt(0)
	v_pk_mov_b32 v[220:221], v[2:3], v[2:3] op_sel:[0,1]
	buffer_load_dword v3, off, s[0:3], 0 offset:492
	buffer_load_dword v2, off, s[0:3], 0 offset:488
	v_accvgpr_write_b32 a172, v220
	v_accvgpr_write_b32 a173, v221
	;; [unrolled: 6-line block ×3, first 2 shown]
	s_waitcnt vmcnt(0)
	v_pk_mov_b32 v[224:225], v[2:3], v[2:3] op_sel:[0,1]
	buffer_load_dword v3, off, s[0:3], 0 offset:476
	buffer_load_dword v2, off, s[0:3], 0 offset:472
	;; [unrolled: 1-line block ×4, first 2 shown]
	ds_read_b128 v[152:155], v112 offset:1024
	ds_read_b128 v[156:159], v112 offset:1040
	;; [unrolled: 1-line block ×8, first 2 shown]
	buffer_load_dword v161, off, s[0:3], 0 offset:508
	buffer_load_dword v160, off, s[0:3], 0 offset:504
	;; [unrolled: 1-line block ×4, first 2 shown]
	ds_read_b128 v[190:193], v112 offset:1152
	buffer_load_dword v35, off, s[0:3], 0 offset:524
	buffer_load_dword v34, off, s[0:3], 0 offset:520
	;; [unrolled: 1-line block ×12, first 2 shown]
	ds_read_b128 v[194:197], v112 offset:1168
	ds_read_b128 v[198:201], v112 offset:1184
	;; [unrolled: 1-line block ×8, first 2 shown]
	v_accvgpr_write_b32 a182, v224
	v_accvgpr_write_b32 a183, v225
	s_waitcnt lgkmcnt(2)
	v_mul_f64 v[6:7], v[214:215], v[92:93]
	v_fmac_f64_e32 v[6:7], v[216:217], v[94:95]
	v_mul_f64 v[92:93], v[216:217], v[92:93]
	ds_read_b128 v[248:251], v112 offset:1280
	s_waitcnt vmcnt(18)
	v_pk_mov_b32 v[246:247], v[2:3], v[2:3] op_sel:[0,1]
	v_mul_f64 v[2:3], v[148:149], v[42:43]
	v_fmac_f64_e32 v[2:3], v[150:151], v[50:51]
	v_add_f64 v[0:1], v[0:1], v[2:3]
	v_mul_f64 v[2:3], v[152:153], v[56:57]
	v_fmac_f64_e32 v[2:3], v[154:155], v[58:59]
	v_add_f64 v[0:1], v[0:1], v[2:3]
	;; [unrolled: 3-line block ×15, first 2 shown]
	ds_read_b128 v[0:3], v112 offset:1264
	v_add_f64 v[8:9], v[4:5], v[6:7]
	v_accvgpr_write_b32 a176, v246
	v_accvgpr_write_b32 a177, v247
	s_waitcnt vmcnt(16)
	v_accvgpr_write_b32 a179, v25
	s_waitcnt lgkmcnt(0)
	v_mul_f64 v[10:11], v[0:1], v[122:123]
	v_fmac_f64_e32 v[10:11], v[2:3], v[118:119]
	v_mul_f64 v[122:123], v[248:249], v[218:219]
	v_fma_f64 v[218:219], v[236:237], v[16:17], -v[14:15]
	ds_read_b128 v[236:239], v112 offset:1328
	v_add_f64 v[114:115], v[8:9], v[10:11]
	v_fmac_f64_e32 v[122:123], v[250:251], v[220:221]
	v_add_f64 v[114:115], v[114:115], v[122:123]
	v_mul_f64 v[16:17], v[252:253], v[120:121]
	v_fma_f64 v[220:221], v[108:109], v[20:21], -v[22:23]
	v_mul_f64 v[20:21], v[242:243], v[246:247]
	buffer_load_dword v247, off, s[0:3], 0 offset:572
	buffer_load_dword v246, off, s[0:3], 0 offset:568
	ds_read_b128 v[120:123], v112 offset:1344
	v_fmac_f64_e32 v[20:21], v[244:245], v[24:25]
	v_accvgpr_write_b32 a178, v24
	v_mul_f64 v[24:25], v[126:127], v[234:235]
	s_waitcnt lgkmcnt(1)
	v_mul_f64 v[22:23], v[236:237], v[222:223]
	v_fma_f64 v[222:223], v[124:125], v[240:241], -v[24:25]
	buffer_load_dword v240, off, s[0:3], 0 offset:584
	buffer_load_dword v235, off, s[0:3], 0 offset:564
	;; [unrolled: 1-line block ×3, first 2 shown]
	ds_read_b128 v[124:127], v112 offset:1360
	v_fmac_f64_e32 v[16:17], v[254:255], v[228:229]
	v_add_f64 v[114:115], v[114:115], v[16:17]
	s_waitcnt vmcnt(19) lgkmcnt(1)
	v_mul_f64 v[24:25], v[120:121], v[160:161]
	s_waitcnt vmcnt(17)
	v_accvgpr_write_b32 a187, v117
	v_add_f64 v[20:21], v[114:115], v[20:21]
	v_fmac_f64_e32 v[22:23], v[238:239], v[224:225]
	v_fmac_f64_e32 v[24:25], v[122:123], v[116:117]
	v_accvgpr_write_b32 a186, v116
	ds_read_b128 v[116:119], v112 offset:1376
	v_accvgpr_write_b32 a165, v3
	v_add_f64 v[108:109], v[20:21], v[22:23]
	v_fma_f64 v[224:225], v[128:129], v[32:33], -v[26:27]
	v_mul_f64 v[32:33], v[134:135], v[230:231]
	v_accvgpr_write_b32 a164, v2
	v_accvgpr_write_b32 a163, v1
	;; [unrolled: 1-line block ×3, first 2 shown]
	v_add_f64 v[108:109], v[108:109], v[24:25]
	v_fma_f64 v[24:25], v[132:133], v[226:227], -v[32:33]
	s_waitcnt vmcnt(15) lgkmcnt(1)
	v_mul_f64 v[2:3], v[124:125], v[34:35]
	v_pk_mov_b32 v[230:231], v[34:35], v[34:35] op_sel:[0,1]
	ds_read_b128 v[32:35], v112 offset:1392
	s_waitcnt vmcnt(13)
	v_fmac_f64_e32 v[2:3], v[126:127], v[30:31]
	v_add_f64 v[2:3], v[108:109], v[2:3]
	s_waitcnt vmcnt(10) lgkmcnt(1)
	v_mul_f64 v[108:109], v[116:117], v[18:19]
	buffer_load_dword v128, off, s[0:3], 0 offset:576
	buffer_load_dword v241, off, s[0:3], 0 offset:588
	;; [unrolled: 1-line block ×3, first 2 shown]
	s_waitcnt vmcnt(11)
	v_fmac_f64_e32 v[108:109], v[118:119], v[12:13]
	v_add_f64 v[2:3], v[2:3], v[108:109]
	s_waitcnt vmcnt(10) lgkmcnt(0)
	v_mul_f64 v[108:109], v[32:33], v[28:29]
	s_waitcnt vmcnt(8)
	v_fmac_f64_e32 v[108:109], v[34:35], v[232:233]
	v_add_f64 v[2:3], v[2:3], v[108:109]
	v_fma_f64 v[108:109], v[136:137], v[48:49], -v[46:47]
	buffer_load_dword v131, off, s[0:3], 0 offset:620
	buffer_load_dword v133, off, s[0:3], 0 offset:604
	;; [unrolled: 1-line block ×8, first 2 shown]
	ds_read_b128 v[36:39], v112 offset:1408
	buffer_load_dword v135, off, s[0:3], 0 offset:652
	buffer_load_dword v141, off, s[0:3], 0 offset:636
	;; [unrolled: 1-line block ×6, first 2 shown]
	v_mul_f64 v[6:7], v[150:151], v[42:43]
	v_pk_mov_b32 v[226:227], v[18:19], v[18:19] op_sel:[0,1]
	v_fma_f64 v[20:21], v[144:145], v[44:45], -v[40:41]
	v_fma_f64 v[18:19], v[148:149], v[50:51], -v[6:7]
	buffer_load_dword v147, off, s[0:3], 0 offset:644
	buffer_load_dword v146, off, s[0:3], 0 offset:640
	;; [unrolled: 1-line block ×6, first 2 shown]
	v_mul_f64 v[40:41], v[154:155], v[56:57]
	v_fma_f64 v[16:17], v[152:153], v[58:59], -v[40:41]
	buffer_load_dword v150, off, s[0:3], 0 offset:680
	buffer_load_dword v152, off, s[0:3], 0 offset:672
	;; [unrolled: 1-line block ×4, first 2 shown]
	v_accvgpr_write_b32 a185, v161
	v_accvgpr_write_b32 a189, v31
	v_mul_f64 v[10:11], v[158:159], v[52:53]
	v_accvgpr_write_b32 a184, v160
	v_accvgpr_write_b32 a188, v30
	v_pk_mov_b32 v[30:31], v[12:13], v[12:13] op_sel:[0,1]
	v_fma_f64 v[12:13], v[156:157], v[54:55], -v[10:11]
	buffer_load_dword v155, off, s[0:3], 0 offset:716
	buffer_load_dword v157, off, s[0:3], 0 offset:700
	;; [unrolled: 1-line block ×8, first 2 shown]
	v_mul_f64 v[40:41], v[164:165], v[98:99]
	v_fma_f64 v[10:11], v[162:163], v[78:79], -v[40:41]
	v_mul_f64 v[40:41], v[168:169], v[62:63]
	buffer_load_dword v163, off, s[0:3], 0 offset:732
	buffer_load_dword v162, off, s[0:3], 0 offset:728
	buffer_load_dword v165, off, s[0:3], 0 offset:724
	buffer_load_dword v164, off, s[0:3], 0 offset:720
	v_fma_f64 v[8:9], v[166:167], v[64:65], -v[40:41]
	v_mul_f64 v[40:41], v[172:173], v[178:179]
	v_fma_f64 v[6:7], v[170:171], v[180:181], -v[40:41]
	buffer_load_dword v169, off, s[0:3], 0 offset:748
	buffer_load_dword v168, off, s[0:3], 0 offset:744
	;; [unrolled: 1-line block ×4, first 2 shown]
	v_mul_f64 v[40:41], v[176:177], v[60:61]
	v_fma_f64 v[4:5], v[174:175], v[106:107], -v[40:41]
	buffer_load_dword v166, off, s[0:3], 0 offset:776
	buffer_load_dword v175, off, s[0:3], 0 offset:764
	;; [unrolled: 1-line block ×12, first 2 shown]
	ds_read_b128 v[40:43], v112 offset:1424
	ds_read_b128 v[44:47], v112 offset:1440
	v_mul_f64 v[48:49], v[188:189], v[88:89]
	ds_read_b128 v[52:55], v112 offset:1472
	ds_read_b128 v[56:59], v112 offset:1488
	v_mul_f64 v[60:61], v[196:197], v[66:67]
	v_fma_f64 v[0:1], v[194:195], v[70:71], -v[60:61]
	ds_read_b128 v[60:63], v112 offset:1504
	v_mul_f64 v[72:73], v[204:205], v[72:73]
	v_fma_f64 v[204:205], v[202:203], v[74:75], -v[72:73]
	s_waitcnt vmcnt(58) lgkmcnt(5)
	v_mul_f64 v[14:15], v[36:37], v[246:247]
	ds_read_b128 v[72:75], v112 offset:1552
	v_mul_f64 v[80:81], v[208:209], v[80:81]
	v_fma_f64 v[206:207], v[206:207], v[82:83], -v[80:81]
	ds_read_b128 v[80:83], v112 offset:1584
	v_mul_f64 v[84:85], v[212:213], v[84:85]
	v_fma_f64 v[208:209], v[210:211], v[86:87], -v[84:85]
	s_waitcnt vmcnt(55)
	v_fmac_f64_e32 v[14:15], v[38:39], v[234:235]
	v_add_f64 v[2:3], v[2:3], v[14:15]
	v_mul_f64 v[14:15], v[184:185], v[102:103]
	v_fma_f64 v[14:15], v[182:183], v[104:105], -v[14:15]
	v_fma_f64 v[182:183], v[186:187], v[96:97], -v[48:49]
	ds_read_b128 v[48:51], v112 offset:1456
	ds_read_b128 v[84:87], v112 offset:1600
	v_fma_f64 v[210:211], v[214:215], v[94:95], -v[92:93]
	ds_read_b128 v[92:95], v112 offset:1632
	s_waitcnt vmcnt(53) lgkmcnt(9)
	v_mul_f64 v[22:23], v[40:41], v[240:241]
	s_waitcnt vmcnt(52)
	v_fmac_f64_e32 v[22:23], v[42:43], v[128:129]
	v_add_f64 v[2:3], v[2:3], v[22:23]
	s_waitcnt vmcnt(49) lgkmcnt(8)
	v_mul_f64 v[22:23], v[44:45], v[132:133]
	s_waitcnt vmcnt(47)
	v_fmac_f64_e32 v[22:23], v[46:47], v[138:139]
	v_add_f64 v[2:3], v[2:3], v[22:23]
	s_waitcnt vmcnt(46) lgkmcnt(2)
	v_mul_f64 v[22:23], v[48:49], v[130:131]
	s_waitcnt vmcnt(44)
	v_fmac_f64_e32 v[22:23], v[50:51], v[136:137]
	s_waitcnt vmcnt(41)
	v_mul_f64 v[64:65], v[52:53], v[140:141]
	v_add_f64 v[2:3], v[2:3], v[22:23]
	s_waitcnt vmcnt(39)
	v_fmac_f64_e32 v[64:65], v[54:55], v[142:143]
	s_waitcnt vmcnt(38)
	v_mul_f64 v[26:27], v[56:57], v[134:135]
	v_add_f64 v[2:3], v[2:3], v[64:65]
	s_waitcnt vmcnt(36)
	v_fmac_f64_e32 v[26:27], v[58:59], v[146:147]
	v_add_f64 v[2:3], v[2:3], v[26:27]
	s_waitcnt vmcnt(34)
	v_mul_f64 v[26:27], v[60:61], v[144:145]
	ds_read_b128 v[64:67], v112 offset:1520
	s_waitcnt vmcnt(32)
	v_fmac_f64_e32 v[26:27], v[62:63], v[148:149]
	v_add_f64 v[2:3], v[2:3], v[26:27]
	v_mul_f64 v[26:27], v[200:201], v[68:69]
	ds_read_b128 v[68:71], v112 offset:1536
	v_fma_f64 v[26:27], v[198:199], v[76:77], -v[26:27]
	s_waitcnt vmcnt(29) lgkmcnt(1)
	v_mul_f64 v[76:77], v[64:65], v[150:151]
	s_waitcnt vmcnt(28)
	v_fmac_f64_e32 v[76:77], v[66:67], v[152:153]
	v_add_f64 v[2:3], v[2:3], v[76:77]
	s_waitcnt vmcnt(25) lgkmcnt(0)
	v_mul_f64 v[76:77], v[68:69], v[156:157]
	s_waitcnt vmcnt(23)
	v_fmac_f64_e32 v[76:77], v[70:71], v[160:161]
	v_add_f64 v[2:3], v[2:3], v[76:77]
	s_waitcnt vmcnt(22)
	v_mul_f64 v[76:77], v[72:73], v[154:155]
	s_waitcnt vmcnt(20)
	v_fmac_f64_e32 v[76:77], v[74:75], v[158:159]
	v_add_f64 v[2:3], v[2:3], v[76:77]
	ds_read_b128 v[76:79], v112 offset:1568
	v_mul_f64 v[22:23], v[192:193], v[90:91]
	s_waitcnt vmcnt(9)
	v_mul_f64 v[96:97], v[84:85], v[174:175]
	s_waitcnt vmcnt(7)
	v_fmac_f64_e32 v[96:97], v[86:87], v[178:179]
	v_fma_f64 v[22:23], v[190:191], v[100:101], -v[22:23]
	s_waitcnt lgkmcnt(0)
	v_mul_f64 v[88:89], v[76:77], v[162:163]
	v_fmac_f64_e32 v[88:89], v[78:79], v[164:165]
	v_add_f64 v[2:3], v[2:3], v[88:89]
	v_mul_f64 v[88:89], v[80:81], v[168:169]
	v_fmac_f64_e32 v[88:89], v[82:83], v[170:171]
	v_add_f64 v[2:3], v[2:3], v[88:89]
	ds_read_b128 v[88:91], v112 offset:1616
	v_add_f64 v[2:3], v[2:3], v[96:97]
	s_waitcnt vmcnt(5) lgkmcnt(0)
	v_mul_f64 v[96:97], v[88:89], v[166:167]
	s_waitcnt vmcnt(4)
	v_fmac_f64_e32 v[96:97], v[90:91], v[172:173]
	v_add_f64 v[2:3], v[2:3], v[96:97]
	s_waitcnt vmcnt(2)
	v_mul_f64 v[96:97], v[92:93], v[176:177]
	s_waitcnt vmcnt(0)
	v_fmac_f64_e32 v[96:97], v[94:95], v[180:181]
	v_add_f64 v[100:101], v[2:3], v[96:97]
	buffer_load_dword v2, off, s[0:3], 0 offset:808
	buffer_load_dword v3, off, s[0:3], 0 offset:812
	;; [unrolled: 1-line block ×4, first 2 shown]
	ds_read_b128 v[96:99], v112 offset:1648
	buffer_load_dword v187, off, s[0:3], 0 offset:828
	buffer_load_dword v186, off, s[0:3], 0 offset:824
	;; [unrolled: 1-line block ×4, first 2 shown]
	s_waitcnt vmcnt(6) lgkmcnt(0)
	v_mul_f64 v[102:103], v[96:97], v[2:3]
	v_mul_f64 v[2:3], v[98:99], v[2:3]
	s_waitcnt vmcnt(4)
	v_fmac_f64_e32 v[102:103], v[98:99], v[184:185]
	v_add_f64 v[104:105], v[100:101], v[102:103]
	ds_read_b128 v[100:103], v112 offset:1664
	buffer_load_dword v190, off, s[0:3], 0 offset:840
	buffer_load_dword v191, off, s[0:3], 0 offset:844
	;; [unrolled: 1-line block ×4, first 2 shown]
	v_fma_f64 v[2:3], v[96:97], v[184:185], -v[2:3]
	s_waitcnt vmcnt(6) lgkmcnt(0)
	v_mul_f64 v[106:107], v[100:101], v[186:187]
	s_waitcnt vmcnt(4)
	v_fmac_f64_e32 v[106:107], v[102:103], v[188:189]
	v_add_f64 v[114:115], v[104:105], v[106:107]
	ds_read_b128 v[104:107], v112 offset:1680
	s_waitcnt vmcnt(2) lgkmcnt(0)
	v_mul_f64 v[194:195], v[104:105], v[190:191]
	s_waitcnt vmcnt(0)
	v_fmac_f64_e32 v[194:195], v[106:107], v[192:193]
	v_add_f64 v[114:115], v[114:115], v[194:195]
	buffer_load_dword v195, off, s[0:3], 0 offset:860
	buffer_load_dword v194, off, s[0:3], 0 offset:856
	;; [unrolled: 1-line block ×4, first 2 shown]
	ds_read_b128 v[214:217], v112 offset:1696
	buffer_load_dword v200, off, s[0:3], 0 offset:872
	buffer_load_dword v201, off, s[0:3], 0 offset:876
	;; [unrolled: 1-line block ×4, first 2 shown]
	s_waitcnt vmcnt(6) lgkmcnt(0)
	v_mul_f64 v[198:199], v[214:215], v[194:195]
	s_waitcnt vmcnt(4)
	v_fmac_f64_e32 v[198:199], v[216:217], v[196:197]
	v_add_f64 v[198:199], v[114:115], v[198:199]
	ds_read_b128 v[112:115], v112 offset:1712
	s_waitcnt vmcnt(2) lgkmcnt(0)
	v_mul_f64 v[212:213], v[112:113], v[200:201]
	s_waitcnt vmcnt(0)
	v_fmac_f64_e32 v[212:213], v[114:115], v[202:203]
	v_add_f64 v[198:199], v[198:199], v[212:213]
	v_add_f64 v[212:213], v[218:219], 0
	;; [unrolled: 1-line block ×22, first 2 shown]
	buffer_load_dword v0, off, s[0:3], 0 offset:16
	buffer_load_dword v1, off, s[0:3], 0 offset:20
	;; [unrolled: 1-line block ×4, first 2 shown]
	v_accvgpr_read_b32 v8, a162
	v_accvgpr_read_b32 v6, a166
	;; [unrolled: 1-line block ×5, first 2 shown]
	v_add_f64 v[212:213], v[4:5], v[206:207]
	v_mul_f64 v[6:7], v[10:11], v[6:7]
	v_accvgpr_read_b32 v10, a168
	v_add_f64 v[4:5], v[212:213], v[208:209]
	v_accvgpr_read_b32 v9, a163
	v_accvgpr_read_b32 v11, a169
	v_add_f64 v[4:5], v[4:5], v[210:211]
	v_fma_f64 v[6:7], v[8:9], v[10:11], -v[6:7]
	v_add_f64 v[4:5], v[4:5], v[6:7]
	v_accvgpr_read_b32 v6, a170
	v_accvgpr_read_b32 v7, a171
	;; [unrolled: 1-line block ×3, first 2 shown]
	v_mul_f64 v[6:7], v[250:251], v[6:7]
	v_accvgpr_read_b32 v9, a173
	v_fma_f64 v[6:7], v[248:249], v[8:9], -v[6:7]
	v_add_f64 v[4:5], v[4:5], v[6:7]
	v_accvgpr_read_b32 v6, a174
	v_accvgpr_read_b32 v7, a175
	v_mul_f64 v[6:7], v[254:255], v[6:7]
	v_fma_f64 v[6:7], v[252:253], v[228:229], -v[6:7]
	v_add_f64 v[4:5], v[4:5], v[6:7]
	v_accvgpr_read_b32 v6, a176
	v_accvgpr_read_b32 v7, a177
	v_accvgpr_read_b32 v8, a178
	v_mul_f64 v[6:7], v[244:245], v[6:7]
	v_accvgpr_read_b32 v9, a179
	v_fma_f64 v[6:7], v[242:243], v[8:9], -v[6:7]
	v_add_f64 v[4:5], v[4:5], v[6:7]
	v_accvgpr_read_b32 v6, a180
	v_accvgpr_read_b32 v7, a181
	v_accvgpr_read_b32 v8, a182
	v_mul_f64 v[6:7], v[238:239], v[6:7]
	v_accvgpr_read_b32 v9, a183
	;; [unrolled: 7-line block ×3, first 2 shown]
	v_fma_f64 v[6:7], v[120:121], v[8:9], -v[6:7]
	v_accvgpr_read_b32 v8, a188
	v_add_f64 v[4:5], v[4:5], v[6:7]
	v_mul_f64 v[6:7], v[126:127], v[230:231]
	v_accvgpr_read_b32 v9, a189
	v_fma_f64 v[6:7], v[124:125], v[8:9], -v[6:7]
	v_add_f64 v[4:5], v[4:5], v[6:7]
	v_mul_f64 v[6:7], v[118:119], v[226:227]
	v_fma_f64 v[6:7], v[116:117], v[30:31], -v[6:7]
	v_add_f64 v[4:5], v[4:5], v[6:7]
	v_mul_f64 v[6:7], v[34:35], v[28:29]
	;; [unrolled: 3-line block ×17, first 2 shown]
	v_fma_f64 v[6:7], v[92:93], v[180:181], -v[6:7]
	v_add_f64 v[4:5], v[4:5], v[6:7]
	v_add_f64 v[2:3], v[4:5], v[2:3]
	v_mul_f64 v[4:5], v[102:103], v[186:187]
	v_fma_f64 v[4:5], v[100:101], v[188:189], -v[4:5]
	v_add_f64 v[2:3], v[2:3], v[4:5]
	v_mul_f64 v[4:5], v[106:107], v[190:191]
	v_fma_f64 v[4:5], v[104:105], v[192:193], -v[4:5]
	;; [unrolled: 3-line block ×4, first 2 shown]
	v_add_f64 v[2:3], v[2:3], v[4:5]
	s_waitcnt vmcnt(2)
	v_add_f64 v[0:1], v[0:1], -v[2:3]
	s_waitcnt vmcnt(0)
	v_add_f64 v[2:3], v[204:205], -v[198:199]
	buffer_store_dword v1, off, s[0:3], 0 offset:20
	buffer_store_dword v0, off, s[0:3], 0 offset:16
	;; [unrolled: 1-line block ×4, first 2 shown]
	s_cbranch_vccz .LBB53_445
; %bb.338:
	v_pk_mov_b32 v[0:1], s[10:11], s[10:11] op_sel:[0,1]
	flat_load_dword v0, v[0:1] offset:208
	s_waitcnt vmcnt(0) lgkmcnt(0)
	v_add_u32_e32 v0, -1, v0
	v_cmp_ne_u32_e32 vcc, 52, v0
	s_and_saveexec_b64 s[4:5], vcc
	s_cbranch_execz .LBB53_340
; %bb.339:
	v_mov_b32_e32 v1, 16
	v_accvgpr_read_b32 v9, a109
	v_lshl_add_u32 v0, v0, 4, v1
	buffer_load_dword v1, v9, s[0:3], 0 offen offset:4
	buffer_load_dword v2, v9, s[0:3], 0 offen offset:8
	buffer_load_dword v3, v9, s[0:3], 0 offen offset:12
	buffer_load_dword v4, v0, s[0:3], 0 offen
	buffer_load_dword v5, v0, s[0:3], 0 offen offset:4
	buffer_load_dword v6, v0, s[0:3], 0 offen offset:8
	buffer_load_dword v7, v0, s[0:3], 0 offen offset:12
	buffer_load_dword v8, v9, s[0:3], 0 offen
	s_waitcnt vmcnt(4)
	buffer_store_dword v4, v9, s[0:3], 0 offen
	s_waitcnt vmcnt(4)
	buffer_store_dword v5, v9, s[0:3], 0 offen offset:4
	s_waitcnt vmcnt(4)
	buffer_store_dword v6, v9, s[0:3], 0 offen offset:8
	s_waitcnt vmcnt(4)
	buffer_store_dword v7, v9, s[0:3], 0 offen offset:12
	buffer_store_dword v3, v0, s[0:3], 0 offen offset:12
	buffer_store_dword v2, v0, s[0:3], 0 offen offset:8
	buffer_store_dword v1, v0, s[0:3], 0 offen offset:4
	s_waitcnt vmcnt(7)
	buffer_store_dword v8, v0, s[0:3], 0 offen
.LBB53_340:
	s_or_b64 exec, exec, s[4:5]
	v_pk_mov_b32 v[0:1], s[10:11], s[10:11] op_sel:[0,1]
	flat_load_dword v0, v[0:1] offset:204
	s_waitcnt vmcnt(0) lgkmcnt(0)
	v_add_u32_e32 v0, -1, v0
	v_cmp_ne_u32_e32 vcc, 51, v0
	s_and_saveexec_b64 s[4:5], vcc
	s_cbranch_execz .LBB53_342
; %bb.341:
	v_mov_b32_e32 v1, 16
	v_accvgpr_read_b32 v9, a110
	v_lshl_add_u32 v0, v0, 4, v1
	buffer_load_dword v1, v9, s[0:3], 0 offen offset:4
	buffer_load_dword v2, v9, s[0:3], 0 offen offset:8
	buffer_load_dword v3, v9, s[0:3], 0 offen offset:12
	buffer_load_dword v4, v0, s[0:3], 0 offen
	buffer_load_dword v5, v0, s[0:3], 0 offen offset:4
	buffer_load_dword v6, v0, s[0:3], 0 offen offset:8
	buffer_load_dword v7, v0, s[0:3], 0 offen offset:12
	buffer_load_dword v8, v9, s[0:3], 0 offen
	s_waitcnt vmcnt(4)
	buffer_store_dword v4, v9, s[0:3], 0 offen
	s_waitcnt vmcnt(4)
	buffer_store_dword v5, v9, s[0:3], 0 offen offset:4
	s_waitcnt vmcnt(4)
	buffer_store_dword v6, v9, s[0:3], 0 offen offset:8
	s_waitcnt vmcnt(4)
	buffer_store_dword v7, v9, s[0:3], 0 offen offset:12
	buffer_store_dword v3, v0, s[0:3], 0 offen offset:12
	buffer_store_dword v2, v0, s[0:3], 0 offen offset:8
	buffer_store_dword v1, v0, s[0:3], 0 offen offset:4
	s_waitcnt vmcnt(7)
	buffer_store_dword v8, v0, s[0:3], 0 offen
.LBB53_342:
	s_or_b64 exec, exec, s[4:5]
	;; [unrolled: 34-line block ×52, first 2 shown]
	v_pk_mov_b32 v[0:1], s[10:11], s[10:11] op_sel:[0,1]
	flat_load_dword v0, v[0:1]
	s_waitcnt vmcnt(0) lgkmcnt(0)
	v_add_u32_e32 v0, -1, v0
	v_cmp_ne_u32_e32 vcc, 0, v0
	s_and_saveexec_b64 s[4:5], vcc
	s_cbranch_execz .LBB53_444
; %bb.443:
	v_mov_b32_e32 v1, 16
	v_lshl_add_u32 v0, v0, 4, v1
	buffer_load_dword v1, v0, s[0:3], 0 offen
	buffer_load_dword v2, v0, s[0:3], 0 offen offset:4
	buffer_load_dword v3, v0, s[0:3], 0 offen offset:8
	;; [unrolled: 1-line block ×3, first 2 shown]
	buffer_load_dword v5, off, s[0:3], 0 offset:28
	buffer_load_dword v6, off, s[0:3], 0 offset:24
	buffer_load_dword v7, off, s[0:3], 0 offset:20
	buffer_load_dword v8, off, s[0:3], 0 offset:16
	s_waitcnt vmcnt(7)
	buffer_store_dword v1, off, s[0:3], 0 offset:16
	s_waitcnt vmcnt(7)
	buffer_store_dword v2, off, s[0:3], 0 offset:20
	;; [unrolled: 2-line block ×4, first 2 shown]
	s_waitcnt vmcnt(7)
	buffer_store_dword v5, v0, s[0:3], 0 offen offset:12
	s_waitcnt vmcnt(7)
	buffer_store_dword v6, v0, s[0:3], 0 offen offset:8
	;; [unrolled: 2-line block ×3, first 2 shown]
	s_waitcnt vmcnt(7)
	buffer_store_dword v8, v0, s[0:3], 0 offen
.LBB53_444:
	s_or_b64 exec, exec, s[4:5]
.LBB53_445:
	buffer_load_dword v0, off, s[0:3], 0 offset:16
	buffer_load_dword v1, off, s[0:3], 0 offset:20
	;; [unrolled: 1-line block ×4, first 2 shown]
	v_accvgpr_read_b32 v4, a100
	v_accvgpr_read_b32 v5, a101
	s_waitcnt vmcnt(0)
	global_store_dwordx4 v[4:5], v[0:3], off
	s_nop 0
	v_accvgpr_read_b32 v3, a160
	buffer_load_dword v0, v3, s[0:3], 0 offen
	buffer_load_dword v1, v3, s[0:3], 0 offen offset:4
	buffer_load_dword v2, v3, s[0:3], 0 offen offset:8
	s_nop 0
	buffer_load_dword v3, v3, s[0:3], 0 offen offset:12
	v_accvgpr_read_b32 v4, a94
	v_accvgpr_read_b32 v5, a95
	s_waitcnt vmcnt(0)
	global_store_dwordx4 v[4:5], v[0:3], off
	s_nop 0
	v_accvgpr_read_b32 v3, a159
	buffer_load_dword v0, v3, s[0:3], 0 offen
	buffer_load_dword v1, v3, s[0:3], 0 offen offset:4
	buffer_load_dword v2, v3, s[0:3], 0 offen offset:8
	s_nop 0
	buffer_load_dword v3, v3, s[0:3], 0 offen offset:12
	;; [unrolled: 11-line block ×12, first 2 shown]
	v_accvgpr_read_b32 v4, a34
	v_accvgpr_read_b32 v5, a35
	s_waitcnt vmcnt(0)
	global_store_dwordx4 v[4:5], v[0:3], off
	v_accvgpr_read_b32 v4, a148
	buffer_load_dword v0, v4, s[0:3], 0 offen
	buffer_load_dword v1, v4, s[0:3], 0 offen offset:4
	buffer_load_dword v2, v4, s[0:3], 0 offen offset:8
	buffer_load_dword v3, v4, s[0:3], 0 offen offset:12
	v_accvgpr_read_b32 v4, a106
	v_accvgpr_read_b32 v5, a107
	s_waitcnt vmcnt(0)
	global_store_dwordx4 v[4:5], v[0:3], off
	v_accvgpr_read_b32 v4, a147
	buffer_load_dword v0, v4, s[0:3], 0 offen
	buffer_load_dword v1, v4, s[0:3], 0 offen offset:4
	buffer_load_dword v2, v4, s[0:3], 0 offen offset:8
	buffer_load_dword v3, v4, s[0:3], 0 offen offset:12
	;; [unrolled: 9-line block ×41, first 2 shown]
	v_accvgpr_read_b32 v5, a1
	v_accvgpr_read_b32 v4, a0
	s_waitcnt vmcnt(0)
	global_store_dwordx4 v[4:5], v[0:3], off
	s_endpgm
	.section	.rodata,"a",@progbits
	.p2align	6, 0x0
	.amdhsa_kernel _ZN9rocsolver6v33100L18getri_kernel_smallILi54E19rocblas_complex_numIdEPS3_EEvT1_iilPiilS6_bb
		.amdhsa_group_segment_fixed_size 1736
		.amdhsa_private_segment_fixed_size 896
		.amdhsa_kernarg_size 60
		.amdhsa_user_sgpr_count 8
		.amdhsa_user_sgpr_private_segment_buffer 1
		.amdhsa_user_sgpr_dispatch_ptr 0
		.amdhsa_user_sgpr_queue_ptr 0
		.amdhsa_user_sgpr_kernarg_segment_ptr 1
		.amdhsa_user_sgpr_dispatch_id 0
		.amdhsa_user_sgpr_flat_scratch_init 1
		.amdhsa_user_sgpr_kernarg_preload_length 0
		.amdhsa_user_sgpr_kernarg_preload_offset 0
		.amdhsa_user_sgpr_private_segment_size 0
		.amdhsa_uses_dynamic_stack 0
		.amdhsa_system_sgpr_private_segment_wavefront_offset 1
		.amdhsa_system_sgpr_workgroup_id_x 1
		.amdhsa_system_sgpr_workgroup_id_y 0
		.amdhsa_system_sgpr_workgroup_id_z 0
		.amdhsa_system_sgpr_workgroup_info 0
		.amdhsa_system_vgpr_workitem_id 0
		.amdhsa_next_free_vgpr 448
		.amdhsa_next_free_sgpr 23
		.amdhsa_accum_offset 256
		.amdhsa_reserve_vcc 1
		.amdhsa_reserve_flat_scratch 1
		.amdhsa_float_round_mode_32 0
		.amdhsa_float_round_mode_16_64 0
		.amdhsa_float_denorm_mode_32 3
		.amdhsa_float_denorm_mode_16_64 3
		.amdhsa_dx10_clamp 1
		.amdhsa_ieee_mode 1
		.amdhsa_fp16_overflow 0
		.amdhsa_tg_split 0
		.amdhsa_exception_fp_ieee_invalid_op 0
		.amdhsa_exception_fp_denorm_src 0
		.amdhsa_exception_fp_ieee_div_zero 0
		.amdhsa_exception_fp_ieee_overflow 0
		.amdhsa_exception_fp_ieee_underflow 0
		.amdhsa_exception_fp_ieee_inexact 0
		.amdhsa_exception_int_div_zero 0
	.end_amdhsa_kernel
	.section	.text._ZN9rocsolver6v33100L18getri_kernel_smallILi54E19rocblas_complex_numIdEPS3_EEvT1_iilPiilS6_bb,"axG",@progbits,_ZN9rocsolver6v33100L18getri_kernel_smallILi54E19rocblas_complex_numIdEPS3_EEvT1_iilPiilS6_bb,comdat
.Lfunc_end53:
	.size	_ZN9rocsolver6v33100L18getri_kernel_smallILi54E19rocblas_complex_numIdEPS3_EEvT1_iilPiilS6_bb, .Lfunc_end53-_ZN9rocsolver6v33100L18getri_kernel_smallILi54E19rocblas_complex_numIdEPS3_EEvT1_iilPiilS6_bb
                                        ; -- End function
	.section	.AMDGPU.csdata,"",@progbits
; Kernel info:
; codeLenInByte = 183048
; NumSgprs: 29
; NumVgprs: 256
; NumAgprs: 192
; TotalNumVgprs: 448
; ScratchSize: 896
; MemoryBound: 0
; FloatMode: 240
; IeeeMode: 1
; LDSByteSize: 1736 bytes/workgroup (compile time only)
; SGPRBlocks: 3
; VGPRBlocks: 55
; NumSGPRsForWavesPerEU: 29
; NumVGPRsForWavesPerEU: 448
; AccumOffset: 256
; Occupancy: 1
; WaveLimiterHint : 1
; COMPUTE_PGM_RSRC2:SCRATCH_EN: 1
; COMPUTE_PGM_RSRC2:USER_SGPR: 8
; COMPUTE_PGM_RSRC2:TRAP_HANDLER: 0
; COMPUTE_PGM_RSRC2:TGID_X_EN: 1
; COMPUTE_PGM_RSRC2:TGID_Y_EN: 0
; COMPUTE_PGM_RSRC2:TGID_Z_EN: 0
; COMPUTE_PGM_RSRC2:TIDIG_COMP_CNT: 0
; COMPUTE_PGM_RSRC3_GFX90A:ACCUM_OFFSET: 63
; COMPUTE_PGM_RSRC3_GFX90A:TG_SPLIT: 0
	.section	.text._ZN9rocsolver6v33100L18getri_kernel_smallILi55E19rocblas_complex_numIdEPS3_EEvT1_iilPiilS6_bb,"axG",@progbits,_ZN9rocsolver6v33100L18getri_kernel_smallILi55E19rocblas_complex_numIdEPS3_EEvT1_iilPiilS6_bb,comdat
	.globl	_ZN9rocsolver6v33100L18getri_kernel_smallILi55E19rocblas_complex_numIdEPS3_EEvT1_iilPiilS6_bb ; -- Begin function _ZN9rocsolver6v33100L18getri_kernel_smallILi55E19rocblas_complex_numIdEPS3_EEvT1_iilPiilS6_bb
	.p2align	8
	.type	_ZN9rocsolver6v33100L18getri_kernel_smallILi55E19rocblas_complex_numIdEPS3_EEvT1_iilPiilS6_bb,@function
_ZN9rocsolver6v33100L18getri_kernel_smallILi55E19rocblas_complex_numIdEPS3_EEvT1_iilPiilS6_bb: ; @_ZN9rocsolver6v33100L18getri_kernel_smallILi55E19rocblas_complex_numIdEPS3_EEvT1_iilPiilS6_bb
; %bb.0:
	s_add_u32 flat_scratch_lo, s6, s9
	s_addc_u32 flat_scratch_hi, s7, 0
	s_add_u32 s0, s0, s9
	v_mov_b32_e32 v254, v0
	s_addc_u32 s1, s1, 0
	v_cmp_gt_u32_e32 vcc, 55, v254
	s_and_saveexec_b64 s[6:7], vcc
	s_cbranch_execz .LBB54_234
; %bb.1:
	s_load_dword s22, s[4:5], 0x38
	s_load_dwordx4 s[16:19], s[4:5], 0x10
	s_load_dwordx4 s[12:15], s[4:5], 0x28
                                        ; implicit-def: $sgpr10_sgpr11
	s_waitcnt lgkmcnt(0)
	s_bitcmp1_b32 s22, 8
	s_cselect_b64 s[20:21], -1, 0
	s_ashr_i32 s9, s8, 31
	s_bfe_u32 s6, s22, 0x10008
	s_cmp_eq_u32 s6, 0
	s_cbranch_scc1 .LBB54_3
; %bb.2:
	s_load_dword s6, s[4:5], 0x20
	s_mul_i32 s7, s8, s13
	s_mul_hi_u32 s10, s8, s12
	s_mul_i32 s11, s9, s12
	s_add_i32 s10, s10, s7
	s_add_i32 s11, s10, s11
	s_mul_i32 s10, s8, s12
	s_waitcnt lgkmcnt(0)
	s_ashr_i32 s7, s6, 31
	s_lshl_b64 s[10:11], s[10:11], 2
	s_add_u32 s10, s18, s10
	s_addc_u32 s11, s19, s11
	s_lshl_b64 s[6:7], s[6:7], 2
	s_add_u32 s10, s10, s6
	s_addc_u32 s11, s11, s7
.LBB54_3:
	s_load_dwordx4 s[4:7], s[4:5], 0x0
	s_mul_i32 s12, s8, s17
	s_mul_hi_u32 s13, s8, s16
	s_add_i32 s17, s13, s12
	v_lshlrev_b32_e32 v1, 4, v254
	s_waitcnt lgkmcnt(0)
	s_ashr_i32 s13, s6, 31
	s_mov_b32 s12, s6
	s_mul_i32 s6, s9, s16
	s_add_i32 s17, s17, s6
	s_mul_i32 s16, s8, s16
	s_lshl_b64 s[16:17], s[16:17], 4
	s_add_u32 s6, s4, s16
	s_addc_u32 s16, s5, s17
	s_lshl_b64 s[4:5], s[12:13], 4
	s_add_u32 s4, s6, s4
	s_addc_u32 s5, s16, s5
	global_load_dwordx4 v[2:5], v1, s[4:5]
	v_mov_b32_e32 v0, s5
	v_add_co_u32_e32 v6, vcc, s4, v1
	s_ashr_i32 s13, s7, 31
	s_mov_b32 s12, s7
	v_addc_co_u32_e32 v7, vcc, 0, v0, vcc
	s_lshl_b64 s[12:13], s[12:13], 4
	v_accvgpr_write_b32 a0, v6
	s_add_i32 s6, s7, s7
	v_mov_b32_e32 v0, s13
	v_add_co_u32_e32 v10, vcc, s12, v6
	v_accvgpr_write_b32 a1, v7
	v_add_u32_e32 v6, s6, v254
	v_addc_co_u32_e32 v11, vcc, v7, v0, vcc
	v_ashrrev_i32_e32 v7, 31, v6
	v_lshlrev_b64 v[8:9], 4, v[6:7]
	v_mov_b32_e32 v0, s5
	v_add_co_u32_e32 v8, vcc, s4, v8
	v_add_u32_e32 v6, s7, v6
	v_addc_co_u32_e32 v9, vcc, v0, v9, vcc
	global_load_dwordx4 v[14:17], v[8:9], off
	v_accvgpr_write_b32 a4, v8
	v_ashrrev_i32_e32 v7, 31, v6
	v_accvgpr_write_b32 a5, v9
	v_lshlrev_b64 v[8:9], 4, v[6:7]
	v_add_u32_e32 v6, s7, v6
	v_add_co_u32_e32 v18, vcc, s4, v8
	v_ashrrev_i32_e32 v7, 31, v6
	v_addc_co_u32_e32 v19, vcc, v0, v9, vcc
	v_add_u32_e32 v8, s7, v6
	v_lshlrev_b64 v[6:7], 4, v[6:7]
	v_ashrrev_i32_e32 v9, 31, v8
	v_add_co_u32_e32 v22, vcc, s4, v6
	v_add_u32_e32 v26, s7, v8
	v_addc_co_u32_e32 v23, vcc, v0, v7, vcc
	v_lshlrev_b64 v[6:7], 4, v[8:9]
	v_mov_b32_e32 v28, s5
	v_ashrrev_i32_e32 v27, 31, v26
	v_add_co_u32_e32 v32, vcc, s4, v6
	v_add_u32_e32 v8, s7, v26
	v_addc_co_u32_e32 v33, vcc, v28, v7, vcc
	v_lshlrev_b64 v[6:7], 4, v[26:27]
	v_mov_b32_e32 v29, s5
	v_ashrrev_i32_e32 v9, 31, v8
	v_add_co_u32_e32 v30, vcc, s4, v6
	v_addc_co_u32_e32 v31, vcc, v29, v7, vcc
	v_lshlrev_b64 v[6:7], 4, v[8:9]
	v_add_co_u32_e32 v34, vcc, s4, v6
	v_add_u32_e32 v6, s7, v8
	v_addc_co_u32_e32 v35, vcc, v0, v7, vcc
	v_ashrrev_i32_e32 v7, 31, v6
	v_lshlrev_b64 v[8:9], 4, v[6:7]
	v_add_co_u32_e32 v8, vcc, s4, v8
	v_addc_co_u32_e32 v9, vcc, v0, v9, vcc
	v_add_u32_e32 v6, s7, v6
	v_accvgpr_write_b32 a2, v10
	v_accvgpr_write_b32 a17, v9
	v_ashrrev_i32_e32 v7, 31, v6
	v_accvgpr_write_b32 a3, v11
	global_load_dwordx4 v[10:13], v[10:11], off
	v_accvgpr_write_b32 a16, v8
	global_load_dwordx4 v[38:41], v[8:9], off
	v_lshlrev_b64 v[8:9], 4, v[6:7]
	v_add_u32_e32 v6, s7, v6
	v_add_co_u32_e32 v42, vcc, s4, v8
	v_ashrrev_i32_e32 v7, 31, v6
	v_addc_co_u32_e32 v43, vcc, v0, v9, vcc
	v_lshlrev_b64 v[8:9], 4, v[6:7]
	v_add_co_u32_e32 v8, vcc, s4, v8
	v_addc_co_u32_e32 v9, vcc, v0, v9, vcc
	v_add_u32_e32 v6, s7, v6
	v_accvgpr_write_b32 a6, v18
	v_accvgpr_write_b32 a21, v9
	v_ashrrev_i32_e32 v7, 31, v6
	v_accvgpr_write_b32 a7, v19
	global_load_dwordx4 v[18:21], v[18:19], off
	v_accvgpr_write_b32 a20, v8
	global_load_dwordx4 v[46:49], v[8:9], off
	v_lshlrev_b64 v[8:9], 4, v[6:7]
	v_add_co_u32_e32 v8, vcc, s4, v8
	v_accvgpr_write_b32 a10, v22
	v_accvgpr_write_b32 a12, v32
	;; [unrolled: 1-line block ×5, first 2 shown]
	v_addc_co_u32_e32 v9, vcc, v0, v9, vcc
	v_accvgpr_write_b32 a11, v23
	global_load_dwordx4 v[22:25], v[22:23], off
	v_accvgpr_write_b32 a13, v33
	global_load_dwordx4 v[50:53], v[8:9], off
	global_load_dwordx4 v[26:29], v[32:33], off
	v_accvgpr_write_b32 a9, v31
	v_accvgpr_write_b32 a15, v35
	global_load_dwordx4 v[34:37], v[34:35], off
	v_accvgpr_write_b32 a19, v43
	global_load_dwordx4 v[42:45], v[42:43], off
	;; [unrolled: 2-line block ×3, first 2 shown]
	s_waitcnt vmcnt(11)
	buffer_store_dword v5, off, s[0:3], 0 offset:28
	buffer_store_dword v4, off, s[0:3], 0 offset:24
	;; [unrolled: 1-line block ×3, first 2 shown]
	v_add_u32_e32 v4, s7, v6
	v_ashrrev_i32_e32 v5, 31, v4
	v_lshlrev_b64 v[6:7], 4, v[4:5]
	v_add_co_u32_e32 v6, vcc, s4, v6
	v_addc_co_u32_e32 v7, vcc, v0, v7, vcc
	v_add_u32_e32 v4, s7, v4
	v_accvgpr_write_b32 a25, v7
	v_ashrrev_i32_e32 v5, 31, v4
	v_accvgpr_write_b32 a24, v6
	global_load_dwordx4 v[54:57], v[6:7], off
	v_lshlrev_b64 v[6:7], 4, v[4:5]
	v_accvgpr_write_b32 a22, v8
	v_add_co_u32_e32 v8, vcc, s4, v6
	v_add_u32_e32 v4, s7, v4
	v_addc_co_u32_e32 v9, vcc, v0, v7, vcc
	v_ashrrev_i32_e32 v5, 31, v4
	v_lshlrev_b64 v[6:7], 4, v[4:5]
	global_load_dwordx4 v[58:61], v[8:9], off
	v_add_co_u32_e32 v6, vcc, s4, v6
	v_addc_co_u32_e32 v7, vcc, v0, v7, vcc
	v_accvgpr_write_b32 a27, v9
	v_accvgpr_write_b32 a29, v7
	;; [unrolled: 1-line block ×4, first 2 shown]
	global_load_dwordx4 v[6:9], v[6:7], off
	s_nop 0
	buffer_store_dword v2, off, s[0:3], 0 offset:16
	s_waitcnt vmcnt(16)
	buffer_store_dword v13, off, s[0:3], 0 offset:44
	buffer_store_dword v12, off, s[0:3], 0 offset:40
	buffer_store_dword v11, off, s[0:3], 0 offset:36
	buffer_store_dword v10, off, s[0:3], 0 offset:32
	buffer_store_dword v17, off, s[0:3], 0 offset:60
	buffer_store_dword v16, off, s[0:3], 0 offset:56
	buffer_store_dword v15, off, s[0:3], 0 offset:52
	buffer_store_dword v14, off, s[0:3], 0 offset:48
	s_waitcnt vmcnt(22)
	buffer_store_dword v21, off, s[0:3], 0 offset:76
	buffer_store_dword v20, off, s[0:3], 0 offset:72
	buffer_store_dword v19, off, s[0:3], 0 offset:68
	buffer_store_dword v18, off, s[0:3], 0 offset:64
	s_waitcnt vmcnt(24)
	buffer_store_dword v25, off, s[0:3], 0 offset:92
	buffer_store_dword v24, off, s[0:3], 0 offset:88
	buffer_store_dword v23, off, s[0:3], 0 offset:84
	buffer_store_dword v22, off, s[0:3], 0 offset:80
	;; [unrolled: 5-line block ×4, first 2 shown]
	buffer_store_dword v37, off, s[0:3], 0 offset:140
	buffer_store_dword v36, off, s[0:3], 0 offset:136
	;; [unrolled: 1-line block ×20, first 2 shown]
	v_add_u32_e32 v2, s7, v4
	v_ashrrev_i32_e32 v3, 31, v2
	v_lshlrev_b64 v[4:5], 4, v[2:3]
	v_add_co_u32_e32 v10, vcc, s4, v4
	v_addc_co_u32_e32 v11, vcc, v0, v5, vcc
	v_add_u32_e32 v2, s7, v2
	v_ashrrev_i32_e32 v3, 31, v2
	v_accvgpr_write_b32 a31, v11
	v_lshlrev_b64 v[4:5], 4, v[2:3]
	v_accvgpr_write_b32 a30, v10
	global_load_dwordx4 v[10:13], v[10:11], off
	v_add_co_u32_e32 v4, vcc, s4, v4
	v_addc_co_u32_e32 v5, vcc, v0, v5, vcc
	global_load_dwordx4 v[14:17], v[4:5], off
	v_add_u32_e32 v2, s7, v2
	v_accvgpr_write_b32 a33, v5
	v_ashrrev_i32_e32 v3, 31, v2
	v_accvgpr_write_b32 a32, v4
	v_lshlrev_b64 v[4:5], 4, v[2:3]
	v_add_co_u32_e32 v18, vcc, s4, v4
	v_addc_co_u32_e32 v19, vcc, v0, v5, vcc
	v_add_u32_e32 v2, s7, v2
	s_waitcnt vmcnt(49)
	buffer_store_dword v57, off, s[0:3], 0 offset:220
	buffer_store_dword v56, off, s[0:3], 0 offset:216
	;; [unrolled: 1-line block ×4, first 2 shown]
	s_waitcnt vmcnt(52)
	buffer_store_dword v61, off, s[0:3], 0 offset:236
	buffer_store_dword v60, off, s[0:3], 0 offset:232
	buffer_store_dword v59, off, s[0:3], 0 offset:228
	buffer_store_dword v58, off, s[0:3], 0 offset:224
	s_waitcnt vmcnt(55)
	buffer_store_dword v9, off, s[0:3], 0 offset:252
	v_ashrrev_i32_e32 v3, 31, v2
	v_accvgpr_write_b32 a35, v19
	v_lshlrev_b64 v[4:5], 4, v[2:3]
	v_accvgpr_write_b32 a34, v18
	global_load_dwordx4 v[18:21], v[18:19], off
	v_add_co_u32_e32 v4, vcc, s4, v4
	v_addc_co_u32_e32 v5, vcc, v0, v5, vcc
	v_add_u32_e32 v2, s7, v2
	v_accvgpr_write_b32 a37, v5
	v_ashrrev_i32_e32 v3, 31, v2
	v_accvgpr_write_b32 a36, v4
	global_load_dwordx4 v[22:25], v[4:5], off
	v_lshlrev_b64 v[4:5], 4, v[2:3]
	v_add_co_u32_e32 v26, vcc, s4, v4
	v_addc_co_u32_e32 v27, vcc, v0, v5, vcc
	v_add_u32_e32 v2, s7, v2
	v_ashrrev_i32_e32 v3, 31, v2
	v_accvgpr_write_b32 a39, v27
	v_lshlrev_b64 v[4:5], 4, v[2:3]
	v_accvgpr_write_b32 a38, v26
	global_load_dwordx4 v[26:29], v[26:27], off
	v_add_co_u32_e32 v4, vcc, s4, v4
	v_addc_co_u32_e32 v5, vcc, v0, v5, vcc
	global_load_dwordx4 v[30:33], v[4:5], off
	v_add_u32_e32 v2, s7, v2
	v_accvgpr_write_b32 a41, v5
	v_ashrrev_i32_e32 v3, 31, v2
	v_accvgpr_write_b32 a40, v4
	v_lshlrev_b64 v[4:5], 4, v[2:3]
	v_add_co_u32_e32 v34, vcc, s4, v4
	v_addc_co_u32_e32 v35, vcc, v0, v5, vcc
	v_add_u32_e32 v2, s7, v2
	v_ashrrev_i32_e32 v3, 31, v2
	v_accvgpr_write_b32 a43, v35
	v_lshlrev_b64 v[4:5], 4, v[2:3]
	v_accvgpr_write_b32 a42, v34
	global_load_dwordx4 v[34:37], v[34:35], off
	v_add_co_u32_e32 v4, vcc, s4, v4
	v_addc_co_u32_e32 v5, vcc, v0, v5, vcc
	global_load_dwordx4 v[38:41], v[4:5], off
	v_add_u32_e32 v2, s7, v2
	v_accvgpr_write_b32 a45, v5
	v_ashrrev_i32_e32 v3, 31, v2
	v_accvgpr_write_b32 a44, v4
	v_lshlrev_b64 v[4:5], 4, v[2:3]
	v_add_co_u32_e32 v42, vcc, s4, v4
	v_addc_co_u32_e32 v43, vcc, v0, v5, vcc
	v_add_u32_e32 v2, s7, v2
	v_accvgpr_write_b32 a47, v43
	v_ashrrev_i32_e32 v3, 31, v2
	v_accvgpr_write_b32 a46, v42
	global_load_dwordx4 v[42:45], v[42:43], off
	v_lshlrev_b64 v[4:5], 4, v[2:3]
	v_add_co_u32_e32 v4, vcc, s4, v4
	v_addc_co_u32_e32 v5, vcc, v0, v5, vcc
	global_load_dwordx4 v[46:49], v[4:5], off
	v_add_u32_e32 v2, s7, v2
	v_accvgpr_write_b32 a49, v5
	v_ashrrev_i32_e32 v3, 31, v2
	v_accvgpr_write_b32 a48, v4
	v_lshlrev_b64 v[4:5], 4, v[2:3]
	v_add_co_u32_e32 v50, vcc, s4, v4
	v_addc_co_u32_e32 v51, vcc, v0, v5, vcc
	v_add_u32_e32 v2, s7, v2
	v_accvgpr_write_b32 a50, v50
	v_ashrrev_i32_e32 v3, 31, v2
	v_accvgpr_write_b32 a51, v51
	global_load_dwordx4 v[50:53], v[50:51], off
	v_lshlrev_b64 v[4:5], 4, v[2:3]
	;; [unrolled: 16-line block ×5, first 2 shown]
	v_add_co_u32_e32 v4, vcc, s4, v4
	v_addc_co_u32_e32 v5, vcc, v0, v5, vcc
	global_load_dwordx4 v[78:81], v[4:5], off
	v_add_u32_e32 v2, s7, v2
	v_accvgpr_write_b32 a65, v5
	v_ashrrev_i32_e32 v3, 31, v2
	v_accvgpr_write_b32 a64, v4
	v_lshlrev_b64 v[4:5], 4, v[2:3]
	v_add_co_u32_e32 v4, vcc, s4, v4
	v_add_u32_e32 v86, s7, v2
	v_addc_co_u32_e32 v5, vcc, v0, v5, vcc
	v_ashrrev_i32_e32 v87, 31, v86
	v_lshlrev_b64 v[2:3], 4, v[86:87]
	global_load_dwordx4 v[82:85], v[4:5], off
	v_add_co_u32_e32 v2, vcc, s4, v2
	v_addc_co_u32_e32 v3, vcc, v0, v3, vcc
	v_accvgpr_write_b32 a67, v5
	v_accvgpr_write_b32 a69, v3
	;; [unrolled: 1-line block ×4, first 2 shown]
	global_load_dwordx4 v[2:5], v[2:3], off
	s_nop 0
	buffer_store_dword v8, off, s[0:3], 0 offset:248
	buffer_store_dword v7, off, s[0:3], 0 offset:244
	buffer_store_dword v6, off, s[0:3], 0 offset:240
	s_waitcnt vmcnt(31)
	buffer_store_dword v13, off, s[0:3], 0 offset:268
	buffer_store_dword v12, off, s[0:3], 0 offset:264
	buffer_store_dword v11, off, s[0:3], 0 offset:260
	buffer_store_dword v10, off, s[0:3], 0 offset:256
	s_waitcnt vmcnt(34)
	buffer_store_dword v17, off, s[0:3], 0 offset:284
	;; [unrolled: 5-line block ×15, first 2 shown]
	buffer_store_dword v68, off, s[0:3], 0 offset:488
	buffer_store_dword v67, off, s[0:3], 0 offset:484
	;; [unrolled: 1-line block ×11, first 2 shown]
	s_waitcnt vmcnt(62)
	buffer_store_dword v81, off, s[0:3], 0 offset:540
	buffer_store_dword v80, off, s[0:3], 0 offset:536
	;; [unrolled: 1-line block ×9, first 2 shown]
	v_add_u32_e32 v6, s7, v86
	v_ashrrev_i32_e32 v7, 31, v6
	v_lshlrev_b64 v[8:9], 4, v[6:7]
	v_add_u32_e32 v14, s7, v6
	v_add_co_u32_e32 v8, vcc, s4, v8
	v_ashrrev_i32_e32 v15, 31, v14
	v_addc_co_u32_e32 v9, vcc, v0, v9, vcc
	v_lshlrev_b64 v[6:7], 4, v[14:15]
	v_add_co_u32_e32 v10, vcc, s4, v6
	v_accvgpr_write_b32 a73, v9
	v_addc_co_u32_e32 v11, vcc, v0, v7, vcc
	v_accvgpr_write_b32 a72, v8
	global_load_dwordx4 v[6:9], v[8:9], off
	v_add_u32_e32 v14, s7, v14
	v_accvgpr_write_b32 a75, v11
	v_ashrrev_i32_e32 v15, 31, v14
	v_accvgpr_write_b32 a74, v10
	global_load_dwordx4 v[10:13], v[10:11], off
	v_lshlrev_b64 v[16:17], 4, v[14:15]
	v_add_u32_e32 v22, s7, v14
	v_add_co_u32_e32 v16, vcc, s4, v16
	v_ashrrev_i32_e32 v23, 31, v22
	v_addc_co_u32_e32 v17, vcc, v0, v17, vcc
	v_lshlrev_b64 v[14:15], 4, v[22:23]
	v_add_co_u32_e32 v18, vcc, s4, v14
	v_accvgpr_write_b32 a77, v17
	v_addc_co_u32_e32 v19, vcc, v0, v15, vcc
	v_accvgpr_write_b32 a76, v16
	global_load_dwordx4 v[14:17], v[16:17], off
	v_add_u32_e32 v22, s7, v22
	v_accvgpr_write_b32 a79, v19
	v_ashrrev_i32_e32 v23, 31, v22
	v_accvgpr_write_b32 a78, v18
	global_load_dwordx4 v[18:21], v[18:19], off
	;; [unrolled: 16-line block ×9, first 2 shown]
	v_lshlrev_b64 v[80:81], 4, v[78:79]
	v_add_co_u32_e32 v80, vcc, s4, v80
	v_addc_co_u32_e32 v81, vcc, v0, v81, vcc
	v_add_u32_e32 v78, s7, v78
	v_ashrrev_i32_e32 v79, 31, v78
	v_accvgpr_write_b32 a109, v81
	v_lshlrev_b64 v[82:83], 4, v[78:79]
	v_accvgpr_write_b32 a108, v80
	global_load_dwordx4 v[78:81], v[80:81], off
	v_add_co_u32_e32 v82, vcc, s4, v82
	v_addc_co_u32_e32 v83, vcc, v0, v83, vcc
	v_accvgpr_write_b32 a70, v82
	v_accvgpr_write_b32 a71, v83
	global_load_dwordx4 v[82:85], v[82:83], off
	v_mov_b32_e32 v0, 16
	buffer_store_dword v4, off, s[0:3], 0 offset:568
	buffer_store_dword v3, off, s[0:3], 0 offset:564
	buffer_store_dword v2, off, s[0:3], 0 offset:560
	s_waitcnt vmcnt(22)
	buffer_store_dword v9, off, s[0:3], 0 offset:588
	buffer_store_dword v8, off, s[0:3], 0 offset:584
	buffer_store_dword v7, off, s[0:3], 0 offset:580
	buffer_store_dword v6, off, s[0:3], 0 offset:576
	s_waitcnt vmcnt(25)
	buffer_store_dword v13, off, s[0:3], 0 offset:604
	;; [unrolled: 5-line block ×15, first 2 shown]
	buffer_store_dword v64, off, s[0:3], 0 offset:808
	buffer_store_dword v63, off, s[0:3], 0 offset:804
	;; [unrolled: 1-line block ×11, first 2 shown]
	s_waitcnt vmcnt(62)
	buffer_store_dword v77, off, s[0:3], 0 offset:860
	buffer_store_dword v76, off, s[0:3], 0 offset:856
	;; [unrolled: 1-line block ×12, first 2 shown]
	v_add_u32_e32 v2, 16, v0
	v_accvgpr_write_b32 a163, v2
	v_add_u32_e32 v2, 32, v0
	v_accvgpr_write_b32 a162, v2
	;; [unrolled: 2-line block ×52, first 2 shown]
	v_add_u32_e32 v2, 0x350, v0
	v_add_u32_e32 v0, 0x360, v0
	s_bitcmp0_b32 s22, 0
	v_accvgpr_write_b32 a111, v2
	v_accvgpr_write_b32 a110, v0
	s_mov_b64 s[6:7], -1
	s_cbranch_scc1 .LBB54_232
; %bb.4:
	v_cmp_eq_u32_e64 s[4:5], 0, v254
	s_and_saveexec_b64 s[6:7], s[4:5]
	s_cbranch_execz .LBB54_6
; %bb.5:
	v_mov_b32_e32 v0, 0
	ds_write_b32 v0, v0 offset:1760
.LBB54_6:
	s_or_b64 exec, exec, s[6:7]
	v_mov_b32_e32 v0, 16
	v_lshl_add_u32 v12, v254, 4, v0
	s_waitcnt lgkmcnt(0)
	; wave barrier
	s_waitcnt lgkmcnt(0)
	buffer_load_dword v2, v12, s[0:3], 0 offen
	buffer_load_dword v3, v12, s[0:3], 0 offen offset:4
	buffer_load_dword v4, v12, s[0:3], 0 offen offset:8
	;; [unrolled: 1-line block ×3, first 2 shown]
	s_waitcnt vmcnt(2)
	v_cmp_eq_f64_e32 vcc, 0, v[2:3]
	s_waitcnt vmcnt(0)
	v_cmp_eq_f64_e64 s[6:7], 0, v[4:5]
	s_and_b64 s[6:7], vcc, s[6:7]
	s_and_saveexec_b64 s[12:13], s[6:7]
	s_cbranch_execz .LBB54_10
; %bb.7:
	v_mov_b32_e32 v2, 0
	ds_read_b32 v0, v2 offset:1760
	v_add_u32_e32 v3, 1, v254
	s_waitcnt lgkmcnt(0)
	v_readfirstlane_b32 s6, v0
	s_cmp_eq_u32 s6, 0
	s_cselect_b64 s[16:17], -1, 0
	v_cmp_gt_i32_e32 vcc, s6, v3
	s_or_b64 s[16:17], s[16:17], vcc
	s_and_b64 exec, exec, s[16:17]
	s_cbranch_execz .LBB54_10
; %bb.8:
	s_mov_b64 s[16:17], 0
	v_mov_b32_e32 v4, s6
.LBB54_9:                               ; =>This Inner Loop Header: Depth=1
	ds_cmpst_rtn_b32 v4, v2, v4, v3 offset:1760
	s_waitcnt lgkmcnt(0)
	v_cmp_ne_u32_e32 vcc, 0, v4
	v_cmp_le_i32_e64 s[6:7], v4, v3
	s_and_b64 s[6:7], vcc, s[6:7]
	s_and_b64 s[6:7], exec, s[6:7]
	s_or_b64 s[16:17], s[6:7], s[16:17]
	s_andn2_b64 exec, exec, s[16:17]
	s_cbranch_execnz .LBB54_9
.LBB54_10:
	s_or_b64 exec, exec, s[12:13]
	v_mov_b32_e32 v3, 0
	s_waitcnt lgkmcnt(0)
	; wave barrier
	ds_read_b32 v2, v3 offset:1760
	s_and_saveexec_b64 s[6:7], s[4:5]
	s_cbranch_execz .LBB54_12
; %bb.11:
	s_lshl_b64 s[12:13], s[8:9], 2
	s_add_u32 s12, s14, s12
	s_addc_u32 s13, s15, s13
	s_waitcnt lgkmcnt(0)
	global_store_dword v3, v2, s[12:13]
.LBB54_12:
	s_or_b64 exec, exec, s[6:7]
	s_waitcnt lgkmcnt(0)
	v_cmp_ne_u32_e32 vcc, 0, v2
	s_mov_b64 s[6:7], 0
	s_cbranch_vccnz .LBB54_232
; %bb.13:
	buffer_load_dword v7, v12, s[0:3], 0 offen offset:4
	buffer_load_dword v6, v12, s[0:3], 0 offen
	buffer_load_dword v9, v12, s[0:3], 0 offen offset:12
	buffer_load_dword v8, v12, s[0:3], 0 offen offset:8
                                        ; implicit-def: $vgpr10_vgpr11
	s_waitcnt vmcnt(3)
	v_xor_b32_e32 v0, 0x80000000, v7
	s_waitcnt vmcnt(2)
	v_cmp_gt_f64_e32 vcc, 0, v[6:7]
	s_waitcnt vmcnt(1)
	v_xor_b32_e32 v4, 0x80000000, v9
	v_cndmask_b32_e32 v3, v7, v0, vcc
	s_waitcnt vmcnt(0)
	v_cmp_gt_f64_e32 vcc, 0, v[8:9]
	v_mov_b32_e32 v2, v6
	v_cndmask_b32_e32 v5, v9, v4, vcc
	v_mov_b32_e32 v4, v8
	v_cmp_ngt_f64_e32 vcc, v[2:3], v[4:5]
                                        ; implicit-def: $vgpr4_vgpr5
	s_and_saveexec_b64 s[6:7], vcc
	s_xor_b64 s[6:7], exec, s[6:7]
	s_cbranch_execz .LBB54_15
; %bb.14:
	v_div_scale_f64 v[2:3], s[12:13], v[8:9], v[8:9], v[6:7]
	v_rcp_f64_e32 v[4:5], v[2:3]
	v_div_scale_f64 v[10:11], vcc, v[6:7], v[8:9], v[6:7]
	v_fma_f64 v[14:15], -v[2:3], v[4:5], 1.0
	v_fmac_f64_e32 v[4:5], v[4:5], v[14:15]
	v_fma_f64 v[14:15], -v[2:3], v[4:5], 1.0
	v_fmac_f64_e32 v[4:5], v[4:5], v[14:15]
	v_mul_f64 v[14:15], v[10:11], v[4:5]
	v_fma_f64 v[2:3], -v[2:3], v[14:15], v[10:11]
	v_div_fmas_f64 v[2:3], v[2:3], v[4:5], v[14:15]
	v_div_fixup_f64 v[2:3], v[2:3], v[8:9], v[6:7]
	v_fmac_f64_e32 v[8:9], v[6:7], v[2:3]
	v_div_scale_f64 v[4:5], s[12:13], v[8:9], v[8:9], 1.0
	v_rcp_f64_e32 v[6:7], v[4:5]
	v_fma_f64 v[10:11], -v[4:5], v[6:7], 1.0
	v_fmac_f64_e32 v[6:7], v[6:7], v[10:11]
	v_fma_f64 v[10:11], -v[4:5], v[6:7], 1.0
	v_fmac_f64_e32 v[6:7], v[6:7], v[10:11]
	v_div_scale_f64 v[10:11], vcc, 1.0, v[8:9], 1.0
	v_mul_f64 v[14:15], v[10:11], v[6:7]
	v_fma_f64 v[4:5], -v[4:5], v[14:15], v[10:11]
	s_nop 1
	v_div_fmas_f64 v[4:5], v[4:5], v[6:7], v[14:15]
	v_div_fixup_f64 v[4:5], v[4:5], v[8:9], 1.0
	v_mul_f64 v[10:11], v[2:3], v[4:5]
	v_xor_b32_e32 v5, 0x80000000, v5
	v_xor_b32_e32 v3, 0x80000000, v11
	v_mov_b32_e32 v2, v10
                                        ; implicit-def: $vgpr6_vgpr7
                                        ; implicit-def: $vgpr8_vgpr9
.LBB54_15:
	s_andn2_saveexec_b64 s[6:7], s[6:7]
	s_cbranch_execz .LBB54_17
; %bb.16:
	v_div_scale_f64 v[2:3], s[12:13], v[6:7], v[6:7], v[8:9]
	v_rcp_f64_e32 v[4:5], v[2:3]
	v_div_scale_f64 v[10:11], vcc, v[8:9], v[6:7], v[8:9]
	v_fma_f64 v[14:15], -v[2:3], v[4:5], 1.0
	v_fmac_f64_e32 v[4:5], v[4:5], v[14:15]
	v_fma_f64 v[14:15], -v[2:3], v[4:5], 1.0
	v_fmac_f64_e32 v[4:5], v[4:5], v[14:15]
	v_mul_f64 v[14:15], v[10:11], v[4:5]
	v_fma_f64 v[2:3], -v[2:3], v[14:15], v[10:11]
	v_div_fmas_f64 v[2:3], v[2:3], v[4:5], v[14:15]
	v_div_fixup_f64 v[4:5], v[2:3], v[6:7], v[8:9]
	v_fmac_f64_e32 v[6:7], v[8:9], v[4:5]
	v_div_scale_f64 v[2:3], s[12:13], v[6:7], v[6:7], 1.0
	v_rcp_f64_e32 v[8:9], v[2:3]
	v_fma_f64 v[10:11], -v[2:3], v[8:9], 1.0
	v_fmac_f64_e32 v[8:9], v[8:9], v[10:11]
	v_fma_f64 v[10:11], -v[2:3], v[8:9], 1.0
	v_fmac_f64_e32 v[8:9], v[8:9], v[10:11]
	v_div_scale_f64 v[10:11], vcc, 1.0, v[6:7], 1.0
	v_mul_f64 v[14:15], v[10:11], v[8:9]
	v_fma_f64 v[2:3], -v[2:3], v[14:15], v[10:11]
	s_nop 1
	v_div_fmas_f64 v[2:3], v[2:3], v[8:9], v[14:15]
	v_div_fixup_f64 v[10:11], v[2:3], v[6:7], 1.0
	v_xor_b32_e32 v3, 0x80000000, v11
	v_mov_b32_e32 v2, v10
	v_mul_f64 v[4:5], v[4:5], -v[10:11]
.LBB54_17:
	s_or_b64 exec, exec, s[6:7]
	buffer_store_dword v11, v12, s[0:3], 0 offen offset:4
	buffer_store_dword v10, v12, s[0:3], 0 offen
	buffer_store_dword v5, v12, s[0:3], 0 offen offset:12
	buffer_store_dword v4, v12, s[0:3], 0 offen offset:8
	v_accvgpr_read_b32 v0, a163
	buffer_load_dword v11, v0, s[0:3], 0 offen offset:12
	buffer_load_dword v10, v0, s[0:3], 0 offen offset:8
	buffer_load_dword v9, v0, s[0:3], 0 offen offset:4
	buffer_load_dword v8, v0, s[0:3], 0 offen
	v_xor_b32_e32 v5, 0x80000000, v5
	v_add_u32_e32 v6, 0x370, v1
	ds_write_b128 v1, v[2:5]
	s_waitcnt vmcnt(0)
	ds_write_b128 v1, v[8:11] offset:880
	s_waitcnt lgkmcnt(0)
	; wave barrier
	s_waitcnt lgkmcnt(0)
	s_and_saveexec_b64 s[6:7], s[4:5]
	s_cbranch_execz .LBB54_19
; %bb.18:
	buffer_load_dword v14, v12, s[0:3], 0 offen offset:8
	buffer_load_dword v15, v12, s[0:3], 0 offen offset:12
	buffer_load_dword v16, v12, s[0:3], 0 offen
	buffer_load_dword v17, v12, s[0:3], 0 offen offset:4
	ds_read_b128 v[2:5], v6
	v_mov_b32_e32 v0, 0
	ds_read_b128 v[8:11], v0 offset:16
	s_waitcnt vmcnt(2) lgkmcnt(1)
	v_mul_f64 v[18:19], v[4:5], v[14:15]
	v_mul_f64 v[14:15], v[2:3], v[14:15]
	s_waitcnt vmcnt(0)
	v_fmac_f64_e32 v[14:15], v[4:5], v[16:17]
	v_fma_f64 v[2:3], v[2:3], v[16:17], -v[18:19]
	v_add_f64 v[4:5], v[14:15], 0
	v_add_f64 v[2:3], v[2:3], 0
	s_waitcnt lgkmcnt(0)
	v_mul_f64 v[14:15], v[4:5], v[10:11]
	v_mul_f64 v[10:11], v[2:3], v[10:11]
	v_fma_f64 v[2:3], v[2:3], v[8:9], -v[14:15]
	v_fmac_f64_e32 v[10:11], v[4:5], v[8:9]
	buffer_store_dword v2, off, s[0:3], 0 offset:32
	buffer_store_dword v3, off, s[0:3], 0 offset:36
	;; [unrolled: 1-line block ×4, first 2 shown]
.LBB54_19:
	s_or_b64 exec, exec, s[6:7]
	v_accvgpr_read_b32 v0, a162
	s_waitcnt lgkmcnt(0)
	; wave barrier
	buffer_load_dword v2, v0, s[0:3], 0 offen
	buffer_load_dword v3, v0, s[0:3], 0 offen offset:4
	buffer_load_dword v4, v0, s[0:3], 0 offen offset:8
	;; [unrolled: 1-line block ×3, first 2 shown]
	v_cmp_gt_u32_e32 vcc, 2, v254
	s_waitcnt vmcnt(0)
	ds_write_b128 v6, v[2:5]
	s_waitcnt lgkmcnt(0)
	; wave barrier
	s_waitcnt lgkmcnt(0)
	s_and_saveexec_b64 s[6:7], vcc
	s_cbranch_execz .LBB54_23
; %bb.20:
	buffer_load_dword v8, v12, s[0:3], 0 offen offset:8
	buffer_load_dword v9, v12, s[0:3], 0 offen offset:12
	buffer_load_dword v10, v12, s[0:3], 0 offen
	buffer_load_dword v11, v12, s[0:3], 0 offen offset:4
	ds_read_b128 v[2:5], v6
	s_waitcnt vmcnt(2) lgkmcnt(0)
	v_mul_f64 v[12:13], v[4:5], v[8:9]
	v_mul_f64 v[8:9], v[2:3], v[8:9]
	s_waitcnt vmcnt(0)
	v_fma_f64 v[2:3], v[2:3], v[10:11], -v[12:13]
	v_fmac_f64_e32 v[8:9], v[4:5], v[10:11]
	v_add_f64 v[4:5], v[2:3], 0
	v_add_f64 v[2:3], v[8:9], 0
	s_and_saveexec_b64 s[12:13], s[4:5]
	s_cbranch_execz .LBB54_22
; %bb.21:
	buffer_load_dword v12, off, s[0:3], 0 offset:40
	buffer_load_dword v13, off, s[0:3], 0 offset:44
	;; [unrolled: 1-line block ×4, first 2 shown]
	v_mov_b32_e32 v0, 0
	ds_read_b128 v[8:11], v0 offset:896
	s_waitcnt vmcnt(2) lgkmcnt(0)
	v_mul_f64 v[16:17], v[8:9], v[12:13]
	v_mul_f64 v[12:13], v[10:11], v[12:13]
	s_waitcnt vmcnt(0)
	v_fmac_f64_e32 v[16:17], v[10:11], v[14:15]
	v_fma_f64 v[8:9], v[8:9], v[14:15], -v[12:13]
	v_add_f64 v[2:3], v[2:3], v[16:17]
	v_add_f64 v[4:5], v[4:5], v[8:9]
.LBB54_22:
	s_or_b64 exec, exec, s[12:13]
	v_mov_b32_e32 v0, 0
	ds_read_b128 v[8:11], v0 offset:32
	s_waitcnt lgkmcnt(0)
	v_mul_f64 v[12:13], v[2:3], v[10:11]
	v_mul_f64 v[10:11], v[4:5], v[10:11]
	v_fma_f64 v[4:5], v[4:5], v[8:9], -v[12:13]
	v_fmac_f64_e32 v[10:11], v[2:3], v[8:9]
	buffer_store_dword v5, off, s[0:3], 0 offset:52
	buffer_store_dword v4, off, s[0:3], 0 offset:48
	;; [unrolled: 1-line block ×4, first 2 shown]
.LBB54_23:
	s_or_b64 exec, exec, s[6:7]
	v_accvgpr_read_b32 v0, a161
	s_waitcnt lgkmcnt(0)
	; wave barrier
	buffer_load_dword v2, v0, s[0:3], 0 offen
	buffer_load_dword v3, v0, s[0:3], 0 offen offset:4
	buffer_load_dword v4, v0, s[0:3], 0 offen offset:8
	;; [unrolled: 1-line block ×3, first 2 shown]
	v_cmp_gt_u32_e32 vcc, 3, v254
	v_add_u32_e32 v7, -1, v254
	s_waitcnt vmcnt(0)
	ds_write_b128 v6, v[2:5]
	s_waitcnt lgkmcnt(0)
	; wave barrier
	s_waitcnt lgkmcnt(0)
	s_and_saveexec_b64 s[4:5], vcc
	s_cbranch_execz .LBB54_27
; %bb.24:
	v_pk_mov_b32 v[2:3], 0, 0
	v_add_u32_e32 v8, -1, v254
	v_add_u32_e32 v9, 0x370, v1
	v_add_u32_e32 v10, 16, v1
	s_mov_b64 s[6:7], 0
	v_pk_mov_b32 v[4:5], v[2:3], v[2:3] op_sel:[0,1]
.LBB54_25:                              ; =>This Inner Loop Header: Depth=1
	buffer_load_dword v16, v10, s[0:3], 0 offen offset:8
	buffer_load_dword v17, v10, s[0:3], 0 offen offset:12
	buffer_load_dword v18, v10, s[0:3], 0 offen
	buffer_load_dword v19, v10, s[0:3], 0 offen offset:4
	ds_read_b128 v[12:15], v9
	v_add_u32_e32 v8, 1, v8
	v_cmp_lt_u32_e32 vcc, 1, v8
	v_add_u32_e32 v9, 16, v9
	v_add_u32_e32 v10, 16, v10
	s_or_b64 s[6:7], vcc, s[6:7]
	s_waitcnt vmcnt(2) lgkmcnt(0)
	v_mul_f64 v[20:21], v[14:15], v[16:17]
	v_mul_f64 v[16:17], v[12:13], v[16:17]
	s_waitcnt vmcnt(0)
	v_fma_f64 v[12:13], v[12:13], v[18:19], -v[20:21]
	v_fmac_f64_e32 v[16:17], v[14:15], v[18:19]
	v_add_f64 v[4:5], v[4:5], v[12:13]
	v_add_f64 v[2:3], v[2:3], v[16:17]
	s_andn2_b64 exec, exec, s[6:7]
	s_cbranch_execnz .LBB54_25
; %bb.26:
	s_or_b64 exec, exec, s[6:7]
	v_mov_b32_e32 v0, 0
	ds_read_b128 v[8:11], v0 offset:48
	s_waitcnt lgkmcnt(0)
	v_mul_f64 v[12:13], v[2:3], v[10:11]
	v_mul_f64 v[10:11], v[4:5], v[10:11]
	v_fma_f64 v[4:5], v[4:5], v[8:9], -v[12:13]
	v_fmac_f64_e32 v[10:11], v[2:3], v[8:9]
	buffer_store_dword v5, off, s[0:3], 0 offset:68
	buffer_store_dword v4, off, s[0:3], 0 offset:64
	buffer_store_dword v11, off, s[0:3], 0 offset:76
	buffer_store_dword v10, off, s[0:3], 0 offset:72
.LBB54_27:
	s_or_b64 exec, exec, s[4:5]
	v_accvgpr_read_b32 v0, a160
	s_waitcnt lgkmcnt(0)
	; wave barrier
	buffer_load_dword v2, v0, s[0:3], 0 offen
	buffer_load_dword v3, v0, s[0:3], 0 offen offset:4
	buffer_load_dword v4, v0, s[0:3], 0 offen offset:8
	buffer_load_dword v5, v0, s[0:3], 0 offen offset:12
	v_cmp_gt_u32_e32 vcc, 4, v254
	s_waitcnt vmcnt(0)
	ds_write_b128 v6, v[2:5]
	s_waitcnt lgkmcnt(0)
	; wave barrier
	s_waitcnt lgkmcnt(0)
	s_and_saveexec_b64 s[4:5], vcc
	s_cbranch_execz .LBB54_31
; %bb.28:
	v_pk_mov_b32 v[2:3], 0, 0
	v_add_u32_e32 v8, -1, v254
	v_add_u32_e32 v9, 0x370, v1
	v_add_u32_e32 v10, 16, v1
	s_mov_b64 s[6:7], 0
	v_pk_mov_b32 v[4:5], v[2:3], v[2:3] op_sel:[0,1]
.LBB54_29:                              ; =>This Inner Loop Header: Depth=1
	buffer_load_dword v16, v10, s[0:3], 0 offen offset:8
	buffer_load_dword v17, v10, s[0:3], 0 offen offset:12
	buffer_load_dword v18, v10, s[0:3], 0 offen
	buffer_load_dword v19, v10, s[0:3], 0 offen offset:4
	ds_read_b128 v[12:15], v9
	v_add_u32_e32 v8, 1, v8
	v_cmp_lt_u32_e32 vcc, 2, v8
	v_add_u32_e32 v9, 16, v9
	v_add_u32_e32 v10, 16, v10
	s_or_b64 s[6:7], vcc, s[6:7]
	s_waitcnt vmcnt(2) lgkmcnt(0)
	v_mul_f64 v[20:21], v[14:15], v[16:17]
	v_mul_f64 v[16:17], v[12:13], v[16:17]
	s_waitcnt vmcnt(0)
	v_fma_f64 v[12:13], v[12:13], v[18:19], -v[20:21]
	v_fmac_f64_e32 v[16:17], v[14:15], v[18:19]
	v_add_f64 v[4:5], v[4:5], v[12:13]
	v_add_f64 v[2:3], v[2:3], v[16:17]
	s_andn2_b64 exec, exec, s[6:7]
	s_cbranch_execnz .LBB54_29
; %bb.30:
	s_or_b64 exec, exec, s[6:7]
	v_mov_b32_e32 v0, 0
	ds_read_b128 v[8:11], v0 offset:64
	s_waitcnt lgkmcnt(0)
	v_mul_f64 v[12:13], v[2:3], v[10:11]
	v_mul_f64 v[10:11], v[4:5], v[10:11]
	v_fma_f64 v[4:5], v[4:5], v[8:9], -v[12:13]
	v_fmac_f64_e32 v[10:11], v[2:3], v[8:9]
	buffer_store_dword v5, off, s[0:3], 0 offset:84
	buffer_store_dword v4, off, s[0:3], 0 offset:80
	buffer_store_dword v11, off, s[0:3], 0 offset:92
	buffer_store_dword v10, off, s[0:3], 0 offset:88
.LBB54_31:
	s_or_b64 exec, exec, s[4:5]
	v_accvgpr_read_b32 v0, a159
	s_waitcnt lgkmcnt(0)
	; wave barrier
	buffer_load_dword v2, v0, s[0:3], 0 offen
	buffer_load_dword v3, v0, s[0:3], 0 offen offset:4
	buffer_load_dword v4, v0, s[0:3], 0 offen offset:8
	buffer_load_dword v5, v0, s[0:3], 0 offen offset:12
	v_cmp_gt_u32_e32 vcc, 5, v254
	;; [unrolled: 58-line block ×19, first 2 shown]
	s_waitcnt vmcnt(0)
	ds_write_b128 v6, v[2:5]
	s_waitcnt lgkmcnt(0)
	; wave barrier
	s_waitcnt lgkmcnt(0)
	s_and_saveexec_b64 s[4:5], vcc
	s_cbranch_execz .LBB54_103
; %bb.100:
	v_pk_mov_b32 v[2:3], 0, 0
	v_add_u32_e32 v8, -1, v254
	v_add_u32_e32 v9, 0x370, v1
	v_add_u32_e32 v10, 16, v1
	s_mov_b64 s[6:7], 0
	v_pk_mov_b32 v[4:5], v[2:3], v[2:3] op_sel:[0,1]
.LBB54_101:                             ; =>This Inner Loop Header: Depth=1
	buffer_load_dword v16, v10, s[0:3], 0 offen offset:8
	buffer_load_dword v17, v10, s[0:3], 0 offen offset:12
	buffer_load_dword v18, v10, s[0:3], 0 offen
	buffer_load_dword v19, v10, s[0:3], 0 offen offset:4
	ds_read_b128 v[12:15], v9
	v_add_u32_e32 v8, 1, v8
	v_cmp_lt_u32_e32 vcc, 20, v8
	v_add_u32_e32 v9, 16, v9
	v_add_u32_e32 v10, 16, v10
	s_or_b64 s[6:7], vcc, s[6:7]
	s_waitcnt vmcnt(2) lgkmcnt(0)
	v_mul_f64 v[20:21], v[14:15], v[16:17]
	v_mul_f64 v[16:17], v[12:13], v[16:17]
	s_waitcnt vmcnt(0)
	v_fma_f64 v[12:13], v[12:13], v[18:19], -v[20:21]
	v_fmac_f64_e32 v[16:17], v[14:15], v[18:19]
	v_add_f64 v[4:5], v[4:5], v[12:13]
	v_add_f64 v[2:3], v[2:3], v[16:17]
	s_andn2_b64 exec, exec, s[6:7]
	s_cbranch_execnz .LBB54_101
; %bb.102:
	s_or_b64 exec, exec, s[6:7]
	v_mov_b32_e32 v0, 0
	ds_read_b128 v[8:11], v0 offset:352
	s_waitcnt lgkmcnt(0)
	v_mul_f64 v[12:13], v[2:3], v[10:11]
	v_mul_f64 v[10:11], v[4:5], v[10:11]
	v_fma_f64 v[4:5], v[4:5], v[8:9], -v[12:13]
	v_fmac_f64_e32 v[10:11], v[2:3], v[8:9]
	buffer_store_dword v5, off, s[0:3], 0 offset:372
	buffer_store_dword v4, off, s[0:3], 0 offset:368
	buffer_store_dword v11, off, s[0:3], 0 offset:380
	buffer_store_dword v10, off, s[0:3], 0 offset:376
.LBB54_103:
	s_or_b64 exec, exec, s[4:5]
	v_accvgpr_read_b32 v0, a141
	s_waitcnt lgkmcnt(0)
	; wave barrier
	buffer_load_dword v2, v0, s[0:3], 0 offen
	buffer_load_dword v3, v0, s[0:3], 0 offen offset:4
	buffer_load_dword v4, v0, s[0:3], 0 offen offset:8
	buffer_load_dword v5, v0, s[0:3], 0 offen offset:12
	v_cmp_gt_u32_e32 vcc, 23, v254
	s_waitcnt vmcnt(0)
	ds_write_b128 v6, v[2:5]
	s_waitcnt lgkmcnt(0)
	; wave barrier
	s_waitcnt lgkmcnt(0)
	s_and_saveexec_b64 s[4:5], vcc
	s_cbranch_execz .LBB54_107
; %bb.104:
	v_pk_mov_b32 v[2:3], 0, 0
	v_add_u32_e32 v8, -1, v254
	v_add_u32_e32 v9, 0x370, v1
	v_add_u32_e32 v10, 16, v1
	s_mov_b64 s[6:7], 0
	v_pk_mov_b32 v[4:5], v[2:3], v[2:3] op_sel:[0,1]
.LBB54_105:                             ; =>This Inner Loop Header: Depth=1
	buffer_load_dword v16, v10, s[0:3], 0 offen offset:8
	buffer_load_dword v17, v10, s[0:3], 0 offen offset:12
	buffer_load_dword v18, v10, s[0:3], 0 offen
	buffer_load_dword v19, v10, s[0:3], 0 offen offset:4
	ds_read_b128 v[12:15], v9
	v_add_u32_e32 v8, 1, v8
	v_cmp_lt_u32_e32 vcc, 21, v8
	v_add_u32_e32 v9, 16, v9
	v_add_u32_e32 v10, 16, v10
	s_or_b64 s[6:7], vcc, s[6:7]
	s_waitcnt vmcnt(2) lgkmcnt(0)
	v_mul_f64 v[20:21], v[14:15], v[16:17]
	v_mul_f64 v[16:17], v[12:13], v[16:17]
	s_waitcnt vmcnt(0)
	v_fma_f64 v[12:13], v[12:13], v[18:19], -v[20:21]
	v_fmac_f64_e32 v[16:17], v[14:15], v[18:19]
	v_add_f64 v[4:5], v[4:5], v[12:13]
	v_add_f64 v[2:3], v[2:3], v[16:17]
	s_andn2_b64 exec, exec, s[6:7]
	s_cbranch_execnz .LBB54_105
; %bb.106:
	s_or_b64 exec, exec, s[6:7]
	v_mov_b32_e32 v0, 0
	ds_read_b128 v[8:11], v0 offset:368
	s_waitcnt lgkmcnt(0)
	v_mul_f64 v[12:13], v[2:3], v[10:11]
	v_mul_f64 v[10:11], v[4:5], v[10:11]
	v_fma_f64 v[4:5], v[4:5], v[8:9], -v[12:13]
	v_fmac_f64_e32 v[10:11], v[2:3], v[8:9]
	buffer_store_dword v5, off, s[0:3], 0 offset:388
	buffer_store_dword v4, off, s[0:3], 0 offset:384
	buffer_store_dword v11, off, s[0:3], 0 offset:396
	buffer_store_dword v10, off, s[0:3], 0 offset:392
.LBB54_107:
	s_or_b64 exec, exec, s[4:5]
	v_accvgpr_read_b32 v0, a140
	s_waitcnt lgkmcnt(0)
	; wave barrier
	buffer_load_dword v2, v0, s[0:3], 0 offen
	buffer_load_dword v3, v0, s[0:3], 0 offen offset:4
	buffer_load_dword v4, v0, s[0:3], 0 offen offset:8
	buffer_load_dword v5, v0, s[0:3], 0 offen offset:12
	v_cmp_gt_u32_e32 vcc, 24, v254
	;; [unrolled: 58-line block ×31, first 2 shown]
	s_waitcnt vmcnt(0)
	ds_write_b128 v6, v[2:5]
	s_waitcnt lgkmcnt(0)
	; wave barrier
	s_waitcnt lgkmcnt(0)
	s_and_saveexec_b64 s[4:5], vcc
	s_cbranch_execz .LBB54_227
; %bb.224:
	v_pk_mov_b32 v[2:3], 0, 0
	v_add_u32_e32 v8, -1, v254
	v_add_u32_e32 v9, 0x370, v1
	v_add_u32_e32 v10, 16, v1
	s_mov_b64 s[6:7], 0
	v_pk_mov_b32 v[4:5], v[2:3], v[2:3] op_sel:[0,1]
.LBB54_225:                             ; =>This Inner Loop Header: Depth=1
	buffer_load_dword v16, v10, s[0:3], 0 offen offset:8
	buffer_load_dword v17, v10, s[0:3], 0 offen offset:12
	buffer_load_dword v18, v10, s[0:3], 0 offen
	buffer_load_dword v19, v10, s[0:3], 0 offen offset:4
	ds_read_b128 v[12:15], v9
	v_add_u32_e32 v8, 1, v8
	v_cmp_lt_u32_e32 vcc, 51, v8
	v_add_u32_e32 v9, 16, v9
	v_add_u32_e32 v10, 16, v10
	s_or_b64 s[6:7], vcc, s[6:7]
	s_waitcnt vmcnt(2) lgkmcnt(0)
	v_mul_f64 v[20:21], v[14:15], v[16:17]
	v_mul_f64 v[16:17], v[12:13], v[16:17]
	s_waitcnt vmcnt(0)
	v_fma_f64 v[12:13], v[12:13], v[18:19], -v[20:21]
	v_fmac_f64_e32 v[16:17], v[14:15], v[18:19]
	v_add_f64 v[4:5], v[4:5], v[12:13]
	v_add_f64 v[2:3], v[2:3], v[16:17]
	s_andn2_b64 exec, exec, s[6:7]
	s_cbranch_execnz .LBB54_225
; %bb.226:
	s_or_b64 exec, exec, s[6:7]
	v_mov_b32_e32 v0, 0
	ds_read_b128 v[8:11], v0 offset:848
	s_waitcnt lgkmcnt(0)
	v_mul_f64 v[12:13], v[2:3], v[10:11]
	v_mul_f64 v[10:11], v[4:5], v[10:11]
	v_fma_f64 v[4:5], v[4:5], v[8:9], -v[12:13]
	v_fmac_f64_e32 v[10:11], v[2:3], v[8:9]
	buffer_store_dword v5, off, s[0:3], 0 offset:868
	buffer_store_dword v4, off, s[0:3], 0 offset:864
	;; [unrolled: 1-line block ×4, first 2 shown]
.LBB54_227:
	s_or_b64 exec, exec, s[4:5]
	v_accvgpr_read_b32 v0, a110
	s_waitcnt lgkmcnt(0)
	; wave barrier
	buffer_load_dword v2, v0, s[0:3], 0 offen
	buffer_load_dword v3, v0, s[0:3], 0 offen offset:4
	buffer_load_dword v4, v0, s[0:3], 0 offen offset:8
	;; [unrolled: 1-line block ×3, first 2 shown]
	v_cmp_ne_u32_e32 vcc, 54, v254
	s_waitcnt vmcnt(0)
	ds_write_b128 v6, v[2:5]
	s_waitcnt lgkmcnt(0)
	; wave barrier
	s_waitcnt lgkmcnt(0)
	s_and_saveexec_b64 s[4:5], vcc
	s_cbranch_execz .LBB54_231
; %bb.228:
	v_pk_mov_b32 v[2:3], 0, 0
	v_add_u32_e32 v6, 0x370, v1
	v_add_u32_e32 v1, 16, v1
	s_mov_b64 s[6:7], 0
	v_pk_mov_b32 v[4:5], v[2:3], v[2:3] op_sel:[0,1]
.LBB54_229:                             ; =>This Inner Loop Header: Depth=1
	buffer_load_dword v12, v1, s[0:3], 0 offen offset:8
	buffer_load_dword v13, v1, s[0:3], 0 offen offset:12
	buffer_load_dword v14, v1, s[0:3], 0 offen
	buffer_load_dword v15, v1, s[0:3], 0 offen offset:4
	ds_read_b128 v[8:11], v6
	v_add_u32_e32 v7, 1, v7
	v_cmp_lt_u32_e32 vcc, 52, v7
	v_add_u32_e32 v6, 16, v6
	v_add_u32_e32 v1, 16, v1
	s_or_b64 s[6:7], vcc, s[6:7]
	s_waitcnt vmcnt(2) lgkmcnt(0)
	v_mul_f64 v[16:17], v[10:11], v[12:13]
	v_mul_f64 v[12:13], v[8:9], v[12:13]
	s_waitcnt vmcnt(0)
	v_fma_f64 v[8:9], v[8:9], v[14:15], -v[16:17]
	v_fmac_f64_e32 v[12:13], v[10:11], v[14:15]
	v_add_f64 v[4:5], v[4:5], v[8:9]
	v_add_f64 v[2:3], v[2:3], v[12:13]
	s_andn2_b64 exec, exec, s[6:7]
	s_cbranch_execnz .LBB54_229
; %bb.230:
	s_or_b64 exec, exec, s[6:7]
	v_mov_b32_e32 v0, 0
	ds_read_b128 v[6:9], v0 offset:864
	s_waitcnt lgkmcnt(0)
	v_mul_f64 v[10:11], v[2:3], v[8:9]
	v_mul_f64 v[8:9], v[4:5], v[8:9]
	v_fma_f64 v[4:5], v[4:5], v[6:7], -v[10:11]
	v_fmac_f64_e32 v[8:9], v[2:3], v[6:7]
	buffer_store_dword v5, off, s[0:3], 0 offset:884
	buffer_store_dword v4, off, s[0:3], 0 offset:880
	;; [unrolled: 1-line block ×4, first 2 shown]
.LBB54_231:
	s_or_b64 exec, exec, s[4:5]
	s_mov_b64 s[6:7], -1
	s_waitcnt lgkmcnt(0)
	; wave barrier
.LBB54_232:
	s_and_b64 vcc, exec, s[6:7]
	s_cbranch_vccz .LBB54_234
; %bb.233:
	s_lshl_b64 s[4:5], s[8:9], 2
	s_add_u32 s4, s14, s4
	s_addc_u32 s5, s15, s5
	v_mov_b32_e32 v0, 0
	global_load_dword v0, v0, s[4:5]
	s_waitcnt vmcnt(0)
	v_cmp_ne_u32_e32 vcc, 0, v0
	s_cbranch_vccz .LBB54_235
.LBB54_234:
	s_endpgm
.LBB54_235:
	v_mov_b32_e32 v0, 0x370
	v_lshl_add_u32 v0, v254, 4, v0
	v_accvgpr_write_b32 a165, v0
	v_cmp_eq_u32_e32 vcc, 54, v254
	s_and_saveexec_b64 s[4:5], vcc
	s_cbranch_execz .LBB54_237
; %bb.236:
	v_accvgpr_read_b32 v0, a111
	buffer_load_dword v2, v0, s[0:3], 0 offen
	buffer_load_dword v3, v0, s[0:3], 0 offen offset:4
	buffer_load_dword v4, v0, s[0:3], 0 offen offset:8
	;; [unrolled: 1-line block ×3, first 2 shown]
	v_mov_b32_e32 v0, 0
	v_accvgpr_read_b32 v1, a165
	buffer_store_dword v0, off, s[0:3], 0 offset:864
	buffer_store_dword v0, off, s[0:3], 0 offset:868
	;; [unrolled: 1-line block ×4, first 2 shown]
	s_waitcnt vmcnt(4)
	ds_write_b128 v1, v[2:5]
.LBB54_237:
	s_or_b64 exec, exec, s[4:5]
	s_waitcnt lgkmcnt(0)
	; wave barrier
	s_waitcnt lgkmcnt(0)
	buffer_load_dword v6, off, s[0:3], 0 offset:888
	buffer_load_dword v7, off, s[0:3], 0 offset:892
	;; [unrolled: 1-line block ×8, first 2 shown]
	v_mov_b32_e32 v1, 0
	ds_read_b128 v[2:5], v1 offset:1744
	v_cmp_lt_u32_e32 vcc, 52, v254
	s_waitcnt vmcnt(6) lgkmcnt(0)
	v_mul_f64 v[14:15], v[2:3], v[6:7]
	v_mul_f64 v[6:7], v[4:5], v[6:7]
	s_waitcnt vmcnt(4)
	v_fma_f64 v[2:3], v[2:3], v[8:9], -v[6:7]
	v_fmac_f64_e32 v[14:15], v[4:5], v[8:9]
	v_add_f64 v[2:3], v[2:3], 0
	v_add_f64 v[4:5], v[14:15], 0
	s_waitcnt vmcnt(2)
	v_add_f64 v[2:3], v[10:11], -v[2:3]
	s_waitcnt vmcnt(0)
	v_add_f64 v[4:5], v[12:13], -v[4:5]
	buffer_store_dword v2, off, s[0:3], 0 offset:864
	buffer_store_dword v3, off, s[0:3], 0 offset:868
	;; [unrolled: 1-line block ×4, first 2 shown]
	s_and_saveexec_b64 s[4:5], vcc
	s_cbranch_execz .LBB54_239
; %bb.238:
	v_accvgpr_read_b32 v0, a112
	buffer_load_dword v2, v0, s[0:3], 0 offen
	buffer_load_dword v3, v0, s[0:3], 0 offen offset:4
	buffer_load_dword v4, v0, s[0:3], 0 offen offset:8
	;; [unrolled: 1-line block ×3, first 2 shown]
	v_accvgpr_read_b32 v0, a165
	buffer_store_dword v1, off, s[0:3], 0 offset:848
	buffer_store_dword v1, off, s[0:3], 0 offset:852
	;; [unrolled: 1-line block ×4, first 2 shown]
	s_waitcnt vmcnt(4)
	ds_write_b128 v0, v[2:5]
.LBB54_239:
	s_or_b64 exec, exec, s[4:5]
	s_waitcnt lgkmcnt(0)
	; wave barrier
	s_waitcnt lgkmcnt(0)
	buffer_load_dword v10, off, s[0:3], 0 offset:872
	buffer_load_dword v11, off, s[0:3], 0 offset:876
	;; [unrolled: 1-line block ×12, first 2 shown]
	ds_read_b128 v[2:5], v1 offset:1728
	ds_read_b128 v[6:9], v1 offset:1744
	v_cmp_lt_u32_e32 vcc, 51, v254
	s_waitcnt vmcnt(10) lgkmcnt(1)
	v_mul_f64 v[22:23], v[2:3], v[10:11]
	v_mul_f64 v[10:11], v[4:5], v[10:11]
	s_waitcnt vmcnt(8) lgkmcnt(0)
	v_mul_f64 v[24:25], v[6:7], v[12:13]
	v_mul_f64 v[12:13], v[8:9], v[12:13]
	s_waitcnt vmcnt(6)
	v_fma_f64 v[2:3], v[2:3], v[14:15], -v[10:11]
	v_fmac_f64_e32 v[22:23], v[4:5], v[14:15]
	s_waitcnt vmcnt(4)
	v_fma_f64 v[4:5], v[6:7], v[16:17], -v[12:13]
	v_add_f64 v[2:3], v[2:3], 0
	v_fmac_f64_e32 v[24:25], v[8:9], v[16:17]
	v_add_f64 v[6:7], v[22:23], 0
	v_add_f64 v[2:3], v[2:3], v[4:5]
	;; [unrolled: 1-line block ×3, first 2 shown]
	s_waitcnt vmcnt(2)
	v_add_f64 v[2:3], v[18:19], -v[2:3]
	s_waitcnt vmcnt(0)
	v_add_f64 v[4:5], v[20:21], -v[6:7]
	buffer_store_dword v2, off, s[0:3], 0 offset:848
	buffer_store_dword v3, off, s[0:3], 0 offset:852
	;; [unrolled: 1-line block ×4, first 2 shown]
	s_and_saveexec_b64 s[4:5], vcc
	s_cbranch_execz .LBB54_241
; %bb.240:
	v_accvgpr_read_b32 v0, a113
	buffer_load_dword v2, v0, s[0:3], 0 offen
	buffer_load_dword v3, v0, s[0:3], 0 offen offset:4
	buffer_load_dword v4, v0, s[0:3], 0 offen offset:8
	;; [unrolled: 1-line block ×3, first 2 shown]
	v_mov_b32_e32 v0, 0
	v_accvgpr_read_b32 v1, a165
	buffer_store_dword v0, off, s[0:3], 0 offset:832
	buffer_store_dword v0, off, s[0:3], 0 offset:836
	;; [unrolled: 1-line block ×4, first 2 shown]
	s_waitcnt vmcnt(4)
	ds_write_b128 v1, v[2:5]
.LBB54_241:
	s_or_b64 exec, exec, s[4:5]
	s_waitcnt lgkmcnt(0)
	; wave barrier
	s_waitcnt lgkmcnt(0)
	buffer_load_dword v14, off, s[0:3], 0 offset:856
	buffer_load_dword v15, off, s[0:3], 0 offset:860
	;; [unrolled: 1-line block ×16, first 2 shown]
	v_mov_b32_e32 v1, 0
	ds_read_b128 v[2:5], v1 offset:1712
	ds_read_b128 v[6:9], v1 offset:1728
	;; [unrolled: 1-line block ×3, first 2 shown]
	v_cmp_lt_u32_e32 vcc, 50, v254
	s_waitcnt vmcnt(14) lgkmcnt(2)
	v_mul_f64 v[30:31], v[2:3], v[14:15]
	v_mul_f64 v[14:15], v[4:5], v[14:15]
	s_waitcnt vmcnt(12) lgkmcnt(1)
	v_mul_f64 v[32:33], v[6:7], v[16:17]
	v_mul_f64 v[16:17], v[8:9], v[16:17]
	;; [unrolled: 3-line block ×3, first 2 shown]
	s_waitcnt vmcnt(8)
	v_fma_f64 v[2:3], v[2:3], v[20:21], -v[14:15]
	v_fmac_f64_e32 v[30:31], v[4:5], v[20:21]
	s_waitcnt vmcnt(6)
	v_fma_f64 v[4:5], v[6:7], v[22:23], -v[16:17]
	v_add_f64 v[2:3], v[2:3], 0
	v_fmac_f64_e32 v[32:33], v[8:9], v[22:23]
	s_waitcnt vmcnt(4)
	v_fma_f64 v[6:7], v[10:11], v[24:25], -v[18:19]
	v_add_f64 v[8:9], v[30:31], 0
	v_add_f64 v[2:3], v[2:3], v[4:5]
	v_fmac_f64_e32 v[34:35], v[12:13], v[24:25]
	v_add_f64 v[8:9], v[8:9], v[32:33]
	v_add_f64 v[2:3], v[2:3], v[6:7]
	;; [unrolled: 1-line block ×3, first 2 shown]
	s_waitcnt vmcnt(2)
	v_add_f64 v[2:3], v[26:27], -v[2:3]
	s_waitcnt vmcnt(0)
	v_add_f64 v[4:5], v[28:29], -v[4:5]
	buffer_store_dword v2, off, s[0:3], 0 offset:832
	buffer_store_dword v3, off, s[0:3], 0 offset:836
	;; [unrolled: 1-line block ×4, first 2 shown]
	s_and_saveexec_b64 s[4:5], vcc
	s_cbranch_execz .LBB54_243
; %bb.242:
	v_accvgpr_read_b32 v0, a114
	buffer_load_dword v2, v0, s[0:3], 0 offen
	buffer_load_dword v3, v0, s[0:3], 0 offen offset:4
	buffer_load_dword v4, v0, s[0:3], 0 offen offset:8
	;; [unrolled: 1-line block ×3, first 2 shown]
	v_accvgpr_read_b32 v0, a165
	buffer_store_dword v1, off, s[0:3], 0 offset:816
	buffer_store_dword v1, off, s[0:3], 0 offset:820
	;; [unrolled: 1-line block ×4, first 2 shown]
	s_waitcnt vmcnt(4)
	ds_write_b128 v0, v[2:5]
.LBB54_243:
	s_or_b64 exec, exec, s[4:5]
	s_waitcnt lgkmcnt(0)
	; wave barrier
	s_waitcnt lgkmcnt(0)
	buffer_load_dword v18, off, s[0:3], 0 offset:840
	buffer_load_dword v19, off, s[0:3], 0 offset:844
	;; [unrolled: 1-line block ×20, first 2 shown]
	ds_read_b128 v[2:5], v1 offset:1696
	ds_read_b128 v[6:9], v1 offset:1712
	;; [unrolled: 1-line block ×4, first 2 shown]
	v_cmp_lt_u32_e32 vcc, 49, v254
	s_waitcnt vmcnt(18) lgkmcnt(3)
	v_mul_f64 v[38:39], v[2:3], v[18:19]
	v_mul_f64 v[18:19], v[4:5], v[18:19]
	s_waitcnt vmcnt(16) lgkmcnt(2)
	v_mul_f64 v[40:41], v[6:7], v[20:21]
	v_mul_f64 v[20:21], v[8:9], v[20:21]
	;; [unrolled: 3-line block ×4, first 2 shown]
	s_waitcnt vmcnt(10)
	v_fma_f64 v[2:3], v[2:3], v[26:27], -v[18:19]
	v_fmac_f64_e32 v[38:39], v[4:5], v[26:27]
	s_waitcnt vmcnt(8)
	v_fma_f64 v[4:5], v[6:7], v[28:29], -v[20:21]
	v_add_f64 v[2:3], v[2:3], 0
	v_fmac_f64_e32 v[40:41], v[8:9], v[28:29]
	s_waitcnt vmcnt(6)
	v_fma_f64 v[6:7], v[10:11], v[30:31], -v[22:23]
	v_add_f64 v[10:11], v[38:39], 0
	v_add_f64 v[2:3], v[2:3], v[4:5]
	v_fmac_f64_e32 v[42:43], v[12:13], v[30:31]
	s_waitcnt vmcnt(4)
	v_fma_f64 v[8:9], v[14:15], v[32:33], -v[24:25]
	v_add_f64 v[10:11], v[10:11], v[40:41]
	v_add_f64 v[2:3], v[2:3], v[6:7]
	v_fmac_f64_e32 v[44:45], v[16:17], v[32:33]
	v_add_f64 v[4:5], v[10:11], v[42:43]
	v_add_f64 v[2:3], v[2:3], v[8:9]
	;; [unrolled: 1-line block ×3, first 2 shown]
	s_waitcnt vmcnt(2)
	v_add_f64 v[2:3], v[34:35], -v[2:3]
	s_waitcnt vmcnt(0)
	v_add_f64 v[4:5], v[36:37], -v[4:5]
	buffer_store_dword v2, off, s[0:3], 0 offset:816
	buffer_store_dword v3, off, s[0:3], 0 offset:820
	;; [unrolled: 1-line block ×4, first 2 shown]
	s_and_saveexec_b64 s[4:5], vcc
	s_cbranch_execz .LBB54_245
; %bb.244:
	v_accvgpr_read_b32 v0, a115
	buffer_load_dword v2, v0, s[0:3], 0 offen
	buffer_load_dword v3, v0, s[0:3], 0 offen offset:4
	buffer_load_dword v4, v0, s[0:3], 0 offen offset:8
	;; [unrolled: 1-line block ×3, first 2 shown]
	v_mov_b32_e32 v0, 0
	v_accvgpr_read_b32 v1, a165
	buffer_store_dword v0, off, s[0:3], 0 offset:800
	buffer_store_dword v0, off, s[0:3], 0 offset:804
	;; [unrolled: 1-line block ×4, first 2 shown]
	s_waitcnt vmcnt(4)
	ds_write_b128 v1, v[2:5]
.LBB54_245:
	s_or_b64 exec, exec, s[4:5]
	s_waitcnt lgkmcnt(0)
	; wave barrier
	s_waitcnt lgkmcnt(0)
	buffer_load_dword v22, off, s[0:3], 0 offset:824
	buffer_load_dword v23, off, s[0:3], 0 offset:828
	buffer_load_dword v24, off, s[0:3], 0 offset:840
	buffer_load_dword v25, off, s[0:3], 0 offset:844
	buffer_load_dword v26, off, s[0:3], 0 offset:856
	buffer_load_dword v27, off, s[0:3], 0 offset:860
	buffer_load_dword v28, off, s[0:3], 0 offset:888
	buffer_load_dword v30, off, s[0:3], 0 offset:880
	buffer_load_dword v33, off, s[0:3], 0 offset:876
	buffer_load_dword v32, off, s[0:3], 0 offset:872
	buffer_load_dword v29, off, s[0:3], 0 offset:892
	buffer_load_dword v34, off, s[0:3], 0 offset:816
	buffer_load_dword v35, off, s[0:3], 0 offset:820
	buffer_load_dword v36, off, s[0:3], 0 offset:832
	buffer_load_dword v37, off, s[0:3], 0 offset:836
	buffer_load_dword v38, off, s[0:3], 0 offset:848
	buffer_load_dword v39, off, s[0:3], 0 offset:852
	buffer_load_dword v41, off, s[0:3], 0 offset:868
	buffer_load_dword v40, off, s[0:3], 0 offset:864
	buffer_load_dword v31, off, s[0:3], 0 offset:884
	buffer_load_dword v42, off, s[0:3], 0 offset:800
	buffer_load_dword v43, off, s[0:3], 0 offset:804
	buffer_load_dword v44, off, s[0:3], 0 offset:808
	buffer_load_dword v45, off, s[0:3], 0 offset:812
	v_mov_b32_e32 v1, 0
	ds_read_b128 v[2:5], v1 offset:1680
	ds_read_b128 v[6:9], v1 offset:1696
	;; [unrolled: 1-line block ×5, first 2 shown]
	v_cmp_lt_u32_e32 vcc, 48, v254
	s_waitcnt vmcnt(22) lgkmcnt(4)
	v_mul_f64 v[46:47], v[2:3], v[22:23]
	v_mul_f64 v[22:23], v[4:5], v[22:23]
	s_waitcnt vmcnt(20) lgkmcnt(3)
	v_mul_f64 v[48:49], v[6:7], v[24:25]
	v_mul_f64 v[24:25], v[8:9], v[24:25]
	;; [unrolled: 3-line block ×4, first 2 shown]
	s_waitcnt vmcnt(13) lgkmcnt(0)
	v_mul_f64 v[54:55], v[18:19], v[28:29]
	s_waitcnt vmcnt(11)
	v_fma_f64 v[2:3], v[2:3], v[34:35], -v[22:23]
	v_fmac_f64_e32 v[46:47], v[4:5], v[34:35]
	s_waitcnt vmcnt(9)
	v_fma_f64 v[4:5], v[6:7], v[36:37], -v[24:25]
	v_add_f64 v[2:3], v[2:3], 0
	v_fmac_f64_e32 v[48:49], v[8:9], v[36:37]
	s_waitcnt vmcnt(7)
	v_fmac_f64_e32 v[50:51], v[12:13], v[38:39]
	v_fma_f64 v[6:7], v[10:11], v[38:39], -v[26:27]
	v_add_f64 v[12:13], v[46:47], 0
	v_add_f64 v[2:3], v[2:3], v[4:5]
	v_mul_f64 v[28:29], v[20:21], v[28:29]
	s_waitcnt vmcnt(5)
	v_fma_f64 v[8:9], v[14:15], v[40:41], -v[32:33]
	v_add_f64 v[12:13], v[12:13], v[48:49]
	v_add_f64 v[2:3], v[2:3], v[6:7]
	v_fmac_f64_e32 v[52:53], v[16:17], v[40:41]
	s_waitcnt vmcnt(4)
	v_fma_f64 v[10:11], v[18:19], v[30:31], -v[28:29]
	v_add_f64 v[4:5], v[12:13], v[50:51]
	v_add_f64 v[2:3], v[2:3], v[8:9]
	v_fmac_f64_e32 v[54:55], v[20:21], v[30:31]
	v_add_f64 v[4:5], v[4:5], v[52:53]
	v_add_f64 v[2:3], v[2:3], v[10:11]
	;; [unrolled: 1-line block ×3, first 2 shown]
	s_waitcnt vmcnt(2)
	v_add_f64 v[2:3], v[42:43], -v[2:3]
	s_waitcnt vmcnt(0)
	v_add_f64 v[4:5], v[44:45], -v[4:5]
	buffer_store_dword v3, off, s[0:3], 0 offset:804
	buffer_store_dword v2, off, s[0:3], 0 offset:800
	buffer_store_dword v5, off, s[0:3], 0 offset:812
	buffer_store_dword v4, off, s[0:3], 0 offset:808
	s_and_saveexec_b64 s[4:5], vcc
	s_cbranch_execz .LBB54_247
; %bb.246:
	v_accvgpr_read_b32 v0, a116
	buffer_load_dword v2, v0, s[0:3], 0 offen
	buffer_load_dword v3, v0, s[0:3], 0 offen offset:4
	buffer_load_dword v4, v0, s[0:3], 0 offen offset:8
	;; [unrolled: 1-line block ×3, first 2 shown]
	v_accvgpr_read_b32 v0, a165
	buffer_store_dword v1, off, s[0:3], 0 offset:784
	buffer_store_dword v1, off, s[0:3], 0 offset:788
	;; [unrolled: 1-line block ×4, first 2 shown]
	s_waitcnt vmcnt(4)
	ds_write_b128 v0, v[2:5]
.LBB54_247:
	s_or_b64 exec, exec, s[4:5]
	s_waitcnt lgkmcnt(0)
	; wave barrier
	s_waitcnt lgkmcnt(0)
	buffer_load_dword v26, off, s[0:3], 0 offset:808
	buffer_load_dword v27, off, s[0:3], 0 offset:812
	;; [unrolled: 1-line block ×28, first 2 shown]
	ds_read_b128 v[2:5], v1 offset:1664
	ds_read_b128 v[6:9], v1 offset:1680
	;; [unrolled: 1-line block ×6, first 2 shown]
	v_cmp_lt_u32_e32 vcc, 47, v254
	s_waitcnt vmcnt(26) lgkmcnt(5)
	v_mul_f64 v[54:55], v[2:3], v[26:27]
	v_mul_f64 v[26:27], v[4:5], v[26:27]
	s_waitcnt vmcnt(24) lgkmcnt(4)
	v_mul_f64 v[56:57], v[6:7], v[28:29]
	v_mul_f64 v[28:29], v[8:9], v[28:29]
	;; [unrolled: 3-line block ×4, first 2 shown]
	s_waitcnt vmcnt(17)
	v_mul_f64 v[60:61], v[14:15], v[36:37]
	v_mul_f64 v[36:37], v[16:17], v[36:37]
	s_waitcnt vmcnt(15) lgkmcnt(0)
	v_mul_f64 v[64:65], v[22:23], v[38:39]
	v_mul_f64 v[38:39], v[24:25], v[38:39]
	s_waitcnt vmcnt(14)
	v_fmac_f64_e32 v[62:63], v[20:21], v[34:35]
	s_waitcnt vmcnt(12)
	v_fma_f64 v[2:3], v[2:3], v[40:41], -v[26:27]
	v_fmac_f64_e32 v[54:55], v[4:5], v[40:41]
	s_waitcnt vmcnt(10)
	v_fma_f64 v[4:5], v[6:7], v[42:43], -v[28:29]
	v_add_f64 v[2:3], v[2:3], 0
	v_fmac_f64_e32 v[56:57], v[8:9], v[42:43]
	s_waitcnt vmcnt(8)
	v_fma_f64 v[6:7], v[10:11], v[44:45], -v[30:31]
	s_waitcnt vmcnt(6)
	v_fma_f64 v[8:9], v[14:15], v[46:47], -v[36:37]
	v_add_f64 v[14:15], v[54:55], 0
	v_add_f64 v[2:3], v[2:3], v[4:5]
	v_fmac_f64_e32 v[58:59], v[12:13], v[44:45]
	v_add_f64 v[14:15], v[14:15], v[56:57]
	v_add_f64 v[2:3], v[2:3], v[6:7]
	v_fmac_f64_e32 v[60:61], v[16:17], v[46:47]
	v_fma_f64 v[10:11], v[18:19], v[34:35], -v[32:33]
	v_add_f64 v[4:5], v[14:15], v[58:59]
	v_add_f64 v[2:3], v[2:3], v[8:9]
	s_waitcnt vmcnt(4)
	v_fma_f64 v[12:13], v[22:23], v[48:49], -v[38:39]
	v_add_f64 v[4:5], v[4:5], v[60:61]
	v_add_f64 v[2:3], v[2:3], v[10:11]
	v_fmac_f64_e32 v[64:65], v[24:25], v[48:49]
	v_add_f64 v[4:5], v[4:5], v[62:63]
	v_add_f64 v[2:3], v[2:3], v[12:13]
	;; [unrolled: 1-line block ×3, first 2 shown]
	s_waitcnt vmcnt(2)
	v_add_f64 v[2:3], v[50:51], -v[2:3]
	s_waitcnt vmcnt(0)
	v_add_f64 v[4:5], v[52:53], -v[4:5]
	buffer_store_dword v3, off, s[0:3], 0 offset:788
	buffer_store_dword v2, off, s[0:3], 0 offset:784
	;; [unrolled: 1-line block ×4, first 2 shown]
	s_and_saveexec_b64 s[4:5], vcc
	s_cbranch_execz .LBB54_249
; %bb.248:
	v_accvgpr_read_b32 v0, a117
	buffer_load_dword v2, v0, s[0:3], 0 offen
	buffer_load_dword v3, v0, s[0:3], 0 offen offset:4
	buffer_load_dword v4, v0, s[0:3], 0 offen offset:8
	buffer_load_dword v5, v0, s[0:3], 0 offen offset:12
	v_mov_b32_e32 v0, 0
	v_accvgpr_read_b32 v1, a165
	buffer_store_dword v0, off, s[0:3], 0 offset:768
	buffer_store_dword v0, off, s[0:3], 0 offset:772
	;; [unrolled: 1-line block ×4, first 2 shown]
	s_waitcnt vmcnt(4)
	ds_write_b128 v1, v[2:5]
.LBB54_249:
	s_or_b64 exec, exec, s[4:5]
	s_waitcnt lgkmcnt(0)
	; wave barrier
	s_waitcnt lgkmcnt(0)
	buffer_load_dword v30, off, s[0:3], 0 offset:792
	buffer_load_dword v31, off, s[0:3], 0 offset:796
	;; [unrolled: 1-line block ×32, first 2 shown]
	v_mov_b32_e32 v1, 0
	ds_read_b128 v[2:5], v1 offset:1648
	ds_read_b128 v[6:9], v1 offset:1664
	;; [unrolled: 1-line block ×7, first 2 shown]
	v_cmp_lt_u32_e32 vcc, 46, v254
	s_waitcnt vmcnt(30) lgkmcnt(6)
	v_mul_f64 v[62:63], v[2:3], v[30:31]
	v_mul_f64 v[30:31], v[4:5], v[30:31]
	s_waitcnt vmcnt(28) lgkmcnt(5)
	v_mul_f64 v[64:65], v[6:7], v[32:33]
	v_mul_f64 v[32:33], v[8:9], v[32:33]
	;; [unrolled: 3-line block ×4, first 2 shown]
	s_waitcnt vmcnt(21)
	v_mul_f64 v[68:69], v[14:15], v[40:41]
	v_mul_f64 v[40:41], v[16:17], v[40:41]
	s_waitcnt vmcnt(17) lgkmcnt(1)
	v_mul_f64 v[72:73], v[22:23], v[46:47]
	v_mul_f64 v[46:47], v[24:25], v[46:47]
	s_waitcnt vmcnt(16) lgkmcnt(0)
	v_mul_f64 v[74:75], v[26:27], v[42:43]
	v_mul_f64 v[42:43], v[28:29], v[42:43]
	s_waitcnt vmcnt(13)
	v_fma_f64 v[2:3], v[2:3], v[48:49], -v[30:31]
	v_fmac_f64_e32 v[62:63], v[4:5], v[48:49]
	s_waitcnt vmcnt(11)
	v_fma_f64 v[4:5], v[6:7], v[50:51], -v[32:33]
	v_add_f64 v[2:3], v[2:3], 0
	v_fmac_f64_e32 v[64:65], v[8:9], v[50:51]
	s_waitcnt vmcnt(9)
	v_fma_f64 v[6:7], v[10:11], v[52:53], -v[34:35]
	s_waitcnt vmcnt(7)
	v_fmac_f64_e32 v[68:69], v[16:17], v[54:55]
	v_add_f64 v[16:17], v[62:63], 0
	v_add_f64 v[2:3], v[2:3], v[4:5]
	v_fmac_f64_e32 v[66:67], v[12:13], v[52:53]
	v_fma_f64 v[8:9], v[14:15], v[54:55], -v[40:41]
	v_add_f64 v[16:17], v[16:17], v[64:65]
	v_add_f64 v[2:3], v[2:3], v[6:7]
	v_fma_f64 v[10:11], v[18:19], v[38:39], -v[36:37]
	v_add_f64 v[4:5], v[16:17], v[66:67]
	v_add_f64 v[2:3], v[2:3], v[8:9]
	v_fmac_f64_e32 v[70:71], v[20:21], v[38:39]
	s_waitcnt vmcnt(5)
	v_fma_f64 v[12:13], v[22:23], v[56:57], -v[46:47]
	v_add_f64 v[4:5], v[4:5], v[68:69]
	v_add_f64 v[2:3], v[2:3], v[10:11]
	v_fmac_f64_e32 v[72:73], v[24:25], v[56:57]
	s_waitcnt vmcnt(4)
	v_fma_f64 v[14:15], v[26:27], v[44:45], -v[42:43]
	v_add_f64 v[4:5], v[4:5], v[70:71]
	v_add_f64 v[2:3], v[2:3], v[12:13]
	v_fmac_f64_e32 v[74:75], v[28:29], v[44:45]
	v_add_f64 v[4:5], v[4:5], v[72:73]
	v_add_f64 v[2:3], v[2:3], v[14:15]
	;; [unrolled: 1-line block ×3, first 2 shown]
	s_waitcnt vmcnt(2)
	v_add_f64 v[2:3], v[58:59], -v[2:3]
	s_waitcnt vmcnt(0)
	v_add_f64 v[4:5], v[60:61], -v[4:5]
	buffer_store_dword v3, off, s[0:3], 0 offset:772
	buffer_store_dword v2, off, s[0:3], 0 offset:768
	;; [unrolled: 1-line block ×4, first 2 shown]
	s_and_saveexec_b64 s[4:5], vcc
	s_cbranch_execz .LBB54_251
; %bb.250:
	v_accvgpr_read_b32 v0, a118
	buffer_load_dword v2, v0, s[0:3], 0 offen
	buffer_load_dword v3, v0, s[0:3], 0 offen offset:4
	buffer_load_dword v4, v0, s[0:3], 0 offen offset:8
	buffer_load_dword v5, v0, s[0:3], 0 offen offset:12
	v_accvgpr_read_b32 v0, a165
	buffer_store_dword v1, off, s[0:3], 0 offset:752
	buffer_store_dword v1, off, s[0:3], 0 offset:756
	;; [unrolled: 1-line block ×4, first 2 shown]
	s_waitcnt vmcnt(4)
	ds_write_b128 v0, v[2:5]
.LBB54_251:
	s_or_b64 exec, exec, s[4:5]
	s_waitcnt lgkmcnt(0)
	; wave barrier
	s_waitcnt lgkmcnt(0)
	buffer_load_dword v34, off, s[0:3], 0 offset:776
	buffer_load_dword v35, off, s[0:3], 0 offset:780
	;; [unrolled: 1-line block ×36, first 2 shown]
	ds_read_b128 v[2:5], v1 offset:1632
	ds_read_b128 v[6:9], v1 offset:1648
	;; [unrolled: 1-line block ×8, first 2 shown]
	v_cmp_lt_u32_e32 vcc, 45, v254
	s_waitcnt vmcnt(34) lgkmcnt(7)
	v_mul_f64 v[70:71], v[2:3], v[34:35]
	v_mul_f64 v[34:35], v[4:5], v[34:35]
	s_waitcnt vmcnt(32) lgkmcnt(6)
	v_mul_f64 v[72:73], v[6:7], v[36:37]
	v_mul_f64 v[36:37], v[8:9], v[36:37]
	;; [unrolled: 3-line block ×4, first 2 shown]
	s_waitcnt vmcnt(25)
	v_mul_f64 v[76:77], v[14:15], v[44:45]
	v_mul_f64 v[44:45], v[16:17], v[44:45]
	s_waitcnt vmcnt(23) lgkmcnt(1)
	v_mul_f64 v[82:83], v[26:27], v[46:47]
	v_mul_f64 v[46:47], v[28:29], v[46:47]
	s_waitcnt vmcnt(20)
	v_mul_f64 v[80:81], v[22:23], v[50:51]
	v_mul_f64 v[50:51], v[24:25], v[50:51]
	s_waitcnt vmcnt(18) lgkmcnt(0)
	v_mul_f64 v[84:85], v[30:31], v[52:53]
	s_waitcnt vmcnt(17)
	v_fmac_f64_e32 v[78:79], v[20:21], v[42:43]
	s_waitcnt vmcnt(16)
	v_fmac_f64_e32 v[82:83], v[28:29], v[48:49]
	s_waitcnt vmcnt(14)
	v_fma_f64 v[2:3], v[2:3], v[54:55], -v[34:35]
	v_fmac_f64_e32 v[70:71], v[4:5], v[54:55]
	s_waitcnt vmcnt(12)
	v_fma_f64 v[4:5], v[6:7], v[56:57], -v[36:37]
	v_add_f64 v[2:3], v[2:3], 0
	v_fmac_f64_e32 v[72:73], v[8:9], v[56:57]
	s_waitcnt vmcnt(10)
	v_fma_f64 v[6:7], v[10:11], v[58:59], -v[38:39]
	s_waitcnt vmcnt(8)
	v_fmac_f64_e32 v[76:77], v[16:17], v[60:61]
	v_add_f64 v[16:17], v[70:71], 0
	v_add_f64 v[2:3], v[2:3], v[4:5]
	v_fmac_f64_e32 v[74:75], v[12:13], v[58:59]
	v_fma_f64 v[8:9], v[14:15], v[60:61], -v[44:45]
	v_add_f64 v[16:17], v[16:17], v[72:73]
	v_add_f64 v[2:3], v[2:3], v[6:7]
	v_fma_f64 v[10:11], v[18:19], v[42:43], -v[40:41]
	v_add_f64 v[4:5], v[16:17], v[74:75]
	v_add_f64 v[2:3], v[2:3], v[8:9]
	s_waitcnt vmcnt(6)
	v_fma_f64 v[12:13], v[22:23], v[62:63], -v[50:51]
	v_add_f64 v[4:5], v[4:5], v[76:77]
	v_add_f64 v[2:3], v[2:3], v[10:11]
	v_fmac_f64_e32 v[80:81], v[24:25], v[62:63]
	v_fma_f64 v[14:15], v[26:27], v[48:49], -v[46:47]
	v_add_f64 v[4:5], v[4:5], v[78:79]
	v_add_f64 v[2:3], v[2:3], v[12:13]
	v_mul_f64 v[6:7], v[32:33], v[52:53]
	v_add_f64 v[4:5], v[4:5], v[80:81]
	v_add_f64 v[2:3], v[2:3], v[14:15]
	s_waitcnt vmcnt(4)
	v_fma_f64 v[6:7], v[30:31], v[64:65], -v[6:7]
	v_fmac_f64_e32 v[84:85], v[32:33], v[64:65]
	v_add_f64 v[4:5], v[4:5], v[82:83]
	v_add_f64 v[2:3], v[2:3], v[6:7]
	;; [unrolled: 1-line block ×3, first 2 shown]
	s_waitcnt vmcnt(2)
	v_add_f64 v[2:3], v[66:67], -v[2:3]
	s_waitcnt vmcnt(0)
	v_add_f64 v[4:5], v[68:69], -v[4:5]
	buffer_store_dword v3, off, s[0:3], 0 offset:756
	buffer_store_dword v2, off, s[0:3], 0 offset:752
	;; [unrolled: 1-line block ×4, first 2 shown]
	s_and_saveexec_b64 s[4:5], vcc
	s_cbranch_execz .LBB54_253
; %bb.252:
	v_accvgpr_read_b32 v0, a119
	buffer_load_dword v2, v0, s[0:3], 0 offen
	buffer_load_dword v3, v0, s[0:3], 0 offen offset:4
	buffer_load_dword v4, v0, s[0:3], 0 offen offset:8
	;; [unrolled: 1-line block ×3, first 2 shown]
	v_mov_b32_e32 v0, 0
	v_accvgpr_read_b32 v1, a165
	buffer_store_dword v0, off, s[0:3], 0 offset:736
	buffer_store_dword v0, off, s[0:3], 0 offset:740
	;; [unrolled: 1-line block ×4, first 2 shown]
	s_waitcnt vmcnt(4)
	ds_write_b128 v1, v[2:5]
.LBB54_253:
	s_or_b64 exec, exec, s[4:5]
	v_mov_b32_e32 v1, 0
	s_waitcnt lgkmcnt(0)
	; wave barrier
	s_waitcnt lgkmcnt(0)
	ds_read_b128 v[18:21], v1 offset:1616
	ds_read_b128 v[14:17], v1 offset:1632
	;; [unrolled: 1-line block ×4, first 2 shown]
	buffer_load_dword v40, off, s[0:3], 0 offset:736
	buffer_load_dword v41, off, s[0:3], 0 offset:740
	;; [unrolled: 1-line block ×20, first 2 shown]
	v_cmp_lt_u32_e32 vcc, 44, v254
	s_waitcnt vmcnt(12) lgkmcnt(3)
	v_mul_f64 v[6:7], v[18:19], v[56:57]
	v_fmac_f64_e32 v[6:7], v[20:21], v[44:45]
	v_add_f64 v[6:7], v[6:7], 0
	v_mul_f64 v[20:21], v[20:21], v[56:57]
	s_waitcnt vmcnt(8) lgkmcnt(2)
	v_mul_f64 v[8:9], v[14:15], v[54:55]
	v_fmac_f64_e32 v[8:9], v[16:17], v[50:51]
	v_add_f64 v[6:7], v[6:7], v[8:9]
	v_fma_f64 v[18:19], v[18:19], v[44:45], -v[20:21]
	s_waitcnt vmcnt(4) lgkmcnt(1)
	v_mul_f64 v[8:9], v[10:11], v[52:53]
	v_fmac_f64_e32 v[8:9], v[12:13], v[48:49]
	v_add_f64 v[6:7], v[6:7], v[8:9]
	s_waitcnt vmcnt(0) lgkmcnt(0)
	v_mul_f64 v[8:9], v[2:3], v[58:59]
	v_fmac_f64_e32 v[8:9], v[4:5], v[46:47]
	v_add_f64 v[22:23], v[6:7], v[8:9]
	ds_read_b128 v[6:9], v1 offset:1680
	buffer_load_dword v43, off, s[0:3], 0 offset:820
	buffer_load_dword v42, off, s[0:3], 0 offset:816
	buffer_load_dword v61, off, s[0:3], 0 offset:828
	buffer_load_dword v60, off, s[0:3], 0 offset:824
	v_mul_f64 v[16:17], v[16:17], v[54:55]
	v_add_f64 v[18:19], v[18:19], 0
	v_fma_f64 v[14:15], v[14:15], v[50:51], -v[16:17]
	v_mul_f64 v[12:13], v[12:13], v[52:53]
	v_add_f64 v[14:15], v[18:19], v[14:15]
	v_fma_f64 v[10:11], v[10:11], v[48:49], -v[12:13]
	;; [unrolled: 3-line block ×3, first 2 shown]
	v_add_f64 v[2:3], v[10:11], v[2:3]
	s_waitcnt vmcnt(0) lgkmcnt(0)
	v_mul_f64 v[24:25], v[6:7], v[60:61]
	v_fmac_f64_e32 v[24:25], v[8:9], v[42:43]
	v_add_f64 v[26:27], v[22:23], v[24:25]
	ds_read_b128 v[22:25], v1 offset:1696
	buffer_load_dword v63, off, s[0:3], 0 offset:836
	buffer_load_dword v62, off, s[0:3], 0 offset:832
	buffer_load_dword v65, off, s[0:3], 0 offset:844
	buffer_load_dword v64, off, s[0:3], 0 offset:840
	v_mul_f64 v[4:5], v[8:9], v[60:61]
	v_fma_f64 v[4:5], v[6:7], v[42:43], -v[4:5]
	v_add_f64 v[2:3], v[2:3], v[4:5]
	s_waitcnt vmcnt(0) lgkmcnt(0)
	v_mul_f64 v[28:29], v[22:23], v[64:65]
	v_fmac_f64_e32 v[28:29], v[24:25], v[62:63]
	v_add_f64 v[30:31], v[26:27], v[28:29]
	ds_read_b128 v[26:29], v1 offset:1712
	buffer_load_dword v67, off, s[0:3], 0 offset:852
	buffer_load_dword v66, off, s[0:3], 0 offset:848
	buffer_load_dword v69, off, s[0:3], 0 offset:860
	buffer_load_dword v68, off, s[0:3], 0 offset:856
	v_mul_f64 v[4:5], v[24:25], v[64:65]
	v_fma_f64 v[4:5], v[22:23], v[62:63], -v[4:5]
	;; [unrolled: 12-line block ×4, first 2 shown]
	v_add_f64 v[2:3], v[2:3], v[4:5]
	s_waitcnt vmcnt(0) lgkmcnt(0)
	v_mul_f64 v[4:5], v[36:37], v[76:77]
	v_mul_f64 v[80:81], v[34:35], v[76:77]
	v_fma_f64 v[4:5], v[34:35], v[74:75], -v[4:5]
	v_fmac_f64_e32 v[80:81], v[36:37], v[74:75]
	v_add_f64 v[2:3], v[2:3], v[4:5]
	v_add_f64 v[78:79], v[78:79], v[80:81]
	v_add_f64 v[2:3], v[40:41], -v[2:3]
	v_add_f64 v[4:5], v[38:39], -v[78:79]
	buffer_store_dword v3, off, s[0:3], 0 offset:740
	buffer_store_dword v2, off, s[0:3], 0 offset:736
	;; [unrolled: 1-line block ×4, first 2 shown]
	s_and_saveexec_b64 s[4:5], vcc
	s_cbranch_execz .LBB54_255
; %bb.254:
	v_accvgpr_read_b32 v0, a120
	buffer_load_dword v2, v0, s[0:3], 0 offen
	buffer_load_dword v3, v0, s[0:3], 0 offen offset:4
	buffer_load_dword v4, v0, s[0:3], 0 offen offset:8
	;; [unrolled: 1-line block ×3, first 2 shown]
	v_accvgpr_read_b32 v0, a165
	buffer_store_dword v1, off, s[0:3], 0 offset:720
	buffer_store_dword v1, off, s[0:3], 0 offset:724
	;; [unrolled: 1-line block ×4, first 2 shown]
	s_waitcnt vmcnt(4)
	ds_write_b128 v0, v[2:5]
.LBB54_255:
	s_or_b64 exec, exec, s[4:5]
	s_waitcnt lgkmcnt(0)
	; wave barrier
	s_waitcnt lgkmcnt(0)
	ds_read_b128 v[18:21], v1 offset:1600
	ds_read_b128 v[10:13], v1 offset:1616
	;; [unrolled: 1-line block ×4, first 2 shown]
	buffer_load_dword v44, off, s[0:3], 0 offset:720
	buffer_load_dword v45, off, s[0:3], 0 offset:724
	;; [unrolled: 1-line block ×20, first 2 shown]
	v_cmp_lt_u32_e32 vcc, 43, v254
	s_waitcnt vmcnt(12) lgkmcnt(3)
	v_mul_f64 v[14:15], v[18:19], v[62:63]
	v_fmac_f64_e32 v[14:15], v[20:21], v[58:59]
	v_add_f64 v[14:15], v[14:15], 0
	v_mul_f64 v[20:21], v[20:21], v[62:63]
	s_waitcnt vmcnt(8) lgkmcnt(2)
	v_mul_f64 v[16:17], v[10:11], v[60:61]
	v_fmac_f64_e32 v[16:17], v[12:13], v[56:57]
	v_add_f64 v[14:15], v[14:15], v[16:17]
	v_fma_f64 v[18:19], v[18:19], v[58:59], -v[20:21]
	s_waitcnt vmcnt(4) lgkmcnt(1)
	v_mul_f64 v[16:17], v[6:7], v[48:49]
	v_fmac_f64_e32 v[16:17], v[8:9], v[46:47]
	v_add_f64 v[14:15], v[14:15], v[16:17]
	s_waitcnt vmcnt(0) lgkmcnt(0)
	v_mul_f64 v[16:17], v[2:3], v[52:53]
	v_fmac_f64_e32 v[16:17], v[4:5], v[50:51]
	v_add_f64 v[22:23], v[14:15], v[16:17]
	ds_read_b128 v[14:17], v1 offset:1664
	buffer_load_dword v55, off, s[0:3], 0 offset:804
	buffer_load_dword v54, off, s[0:3], 0 offset:800
	;; [unrolled: 1-line block ×4, first 2 shown]
	v_mul_f64 v[12:13], v[12:13], v[60:61]
	v_add_f64 v[18:19], v[18:19], 0
	v_fma_f64 v[10:11], v[10:11], v[56:57], -v[12:13]
	v_mul_f64 v[8:9], v[8:9], v[48:49]
	v_add_f64 v[10:11], v[18:19], v[10:11]
	v_fma_f64 v[6:7], v[6:7], v[46:47], -v[8:9]
	;; [unrolled: 3-line block ×3, first 2 shown]
	v_add_f64 v[2:3], v[6:7], v[2:3]
	s_waitcnt vmcnt(0) lgkmcnt(0)
	v_mul_f64 v[24:25], v[14:15], v[64:65]
	v_fmac_f64_e32 v[24:25], v[16:17], v[54:55]
	v_add_f64 v[26:27], v[22:23], v[24:25]
	ds_read_b128 v[22:25], v1 offset:1680
	buffer_load_dword v67, off, s[0:3], 0 offset:820
	buffer_load_dword v66, off, s[0:3], 0 offset:816
	buffer_load_dword v69, off, s[0:3], 0 offset:828
	buffer_load_dword v68, off, s[0:3], 0 offset:824
	v_mul_f64 v[4:5], v[16:17], v[64:65]
	v_fma_f64 v[4:5], v[14:15], v[54:55], -v[4:5]
	v_add_f64 v[2:3], v[2:3], v[4:5]
	s_waitcnt vmcnt(0) lgkmcnt(0)
	v_mul_f64 v[28:29], v[22:23], v[68:69]
	v_fmac_f64_e32 v[28:29], v[24:25], v[66:67]
	v_add_f64 v[30:31], v[26:27], v[28:29]
	ds_read_b128 v[26:29], v1 offset:1696
	buffer_load_dword v71, off, s[0:3], 0 offset:836
	buffer_load_dword v70, off, s[0:3], 0 offset:832
	buffer_load_dword v73, off, s[0:3], 0 offset:844
	buffer_load_dword v72, off, s[0:3], 0 offset:840
	v_mul_f64 v[4:5], v[24:25], v[68:69]
	v_fma_f64 v[4:5], v[22:23], v[66:67], -v[4:5]
	;; [unrolled: 12-line block ×5, first 2 shown]
	v_add_f64 v[2:3], v[2:3], v[4:5]
	s_waitcnt vmcnt(0) lgkmcnt(0)
	v_mul_f64 v[4:5], v[40:41], v[86:87]
	v_mul_f64 v[88:89], v[38:39], v[86:87]
	v_fma_f64 v[4:5], v[38:39], v[82:83], -v[4:5]
	v_fmac_f64_e32 v[88:89], v[40:41], v[82:83]
	v_add_f64 v[2:3], v[2:3], v[4:5]
	v_add_f64 v[84:85], v[84:85], v[88:89]
	v_add_f64 v[2:3], v[44:45], -v[2:3]
	v_add_f64 v[4:5], v[42:43], -v[84:85]
	buffer_store_dword v3, off, s[0:3], 0 offset:724
	buffer_store_dword v2, off, s[0:3], 0 offset:720
	;; [unrolled: 1-line block ×4, first 2 shown]
	s_and_saveexec_b64 s[4:5], vcc
	s_cbranch_execz .LBB54_257
; %bb.256:
	v_accvgpr_read_b32 v0, a121
	buffer_load_dword v2, v0, s[0:3], 0 offen
	buffer_load_dword v3, v0, s[0:3], 0 offen offset:4
	buffer_load_dword v4, v0, s[0:3], 0 offen offset:8
	;; [unrolled: 1-line block ×3, first 2 shown]
	v_mov_b32_e32 v0, 0
	v_accvgpr_read_b32 v1, a165
	buffer_store_dword v0, off, s[0:3], 0 offset:704
	buffer_store_dword v0, off, s[0:3], 0 offset:708
	;; [unrolled: 1-line block ×4, first 2 shown]
	s_waitcnt vmcnt(4)
	ds_write_b128 v1, v[2:5]
.LBB54_257:
	s_or_b64 exec, exec, s[4:5]
	v_mov_b32_e32 v1, 0
	s_waitcnt lgkmcnt(0)
	; wave barrier
	s_waitcnt lgkmcnt(0)
	ds_read_b128 v[14:17], v1 offset:1584
	ds_read_b128 v[10:13], v1 offset:1600
	;; [unrolled: 1-line block ×4, first 2 shown]
	buffer_load_dword v48, off, s[0:3], 0 offset:704
	buffer_load_dword v49, off, s[0:3], 0 offset:708
	;; [unrolled: 1-line block ×20, first 2 shown]
	v_cmp_lt_u32_e32 vcc, 42, v254
	s_waitcnt vmcnt(12) lgkmcnt(3)
	v_mul_f64 v[18:19], v[14:15], v[56:57]
	v_fmac_f64_e32 v[18:19], v[16:17], v[50:51]
	v_add_f64 v[18:19], v[18:19], 0
	v_mul_f64 v[16:17], v[16:17], v[56:57]
	s_waitcnt vmcnt(8) lgkmcnt(2)
	v_mul_f64 v[20:21], v[10:11], v[58:59]
	v_fmac_f64_e32 v[20:21], v[12:13], v[52:53]
	v_add_f64 v[18:19], v[18:19], v[20:21]
	v_fma_f64 v[14:15], v[14:15], v[50:51], -v[16:17]
	s_waitcnt vmcnt(4) lgkmcnt(1)
	v_mul_f64 v[20:21], v[6:7], v[60:61]
	v_fmac_f64_e32 v[20:21], v[8:9], v[54:55]
	v_add_f64 v[18:19], v[18:19], v[20:21]
	s_waitcnt vmcnt(0) lgkmcnt(0)
	v_mul_f64 v[20:21], v[2:3], v[64:65]
	v_fmac_f64_e32 v[20:21], v[4:5], v[62:63]
	v_add_f64 v[22:23], v[18:19], v[20:21]
	ds_read_b128 v[18:21], v1 offset:1648
	buffer_load_dword v67, off, s[0:3], 0 offset:788
	buffer_load_dword v66, off, s[0:3], 0 offset:784
	;; [unrolled: 1-line block ×4, first 2 shown]
	v_mul_f64 v[12:13], v[12:13], v[58:59]
	v_add_f64 v[14:15], v[14:15], 0
	v_fma_f64 v[10:11], v[10:11], v[52:53], -v[12:13]
	v_mul_f64 v[8:9], v[8:9], v[60:61]
	v_add_f64 v[10:11], v[14:15], v[10:11]
	v_fma_f64 v[6:7], v[6:7], v[54:55], -v[8:9]
	;; [unrolled: 3-line block ×3, first 2 shown]
	v_add_f64 v[2:3], v[6:7], v[2:3]
	s_waitcnt vmcnt(0) lgkmcnt(0)
	v_mul_f64 v[24:25], v[18:19], v[68:69]
	v_fmac_f64_e32 v[24:25], v[20:21], v[66:67]
	v_add_f64 v[26:27], v[22:23], v[24:25]
	ds_read_b128 v[22:25], v1 offset:1664
	buffer_load_dword v71, off, s[0:3], 0 offset:804
	buffer_load_dword v70, off, s[0:3], 0 offset:800
	buffer_load_dword v73, off, s[0:3], 0 offset:812
	buffer_load_dword v72, off, s[0:3], 0 offset:808
	v_mul_f64 v[4:5], v[20:21], v[68:69]
	v_fma_f64 v[4:5], v[18:19], v[66:67], -v[4:5]
	v_add_f64 v[2:3], v[2:3], v[4:5]
	s_waitcnt vmcnt(0) lgkmcnt(0)
	v_mul_f64 v[28:29], v[22:23], v[72:73]
	v_fmac_f64_e32 v[28:29], v[24:25], v[70:71]
	v_add_f64 v[30:31], v[26:27], v[28:29]
	ds_read_b128 v[26:29], v1 offset:1680
	buffer_load_dword v75, off, s[0:3], 0 offset:820
	buffer_load_dword v74, off, s[0:3], 0 offset:816
	buffer_load_dword v77, off, s[0:3], 0 offset:828
	buffer_load_dword v76, off, s[0:3], 0 offset:824
	v_mul_f64 v[4:5], v[24:25], v[72:73]
	v_fma_f64 v[4:5], v[22:23], v[70:71], -v[4:5]
	;; [unrolled: 12-line block ×6, first 2 shown]
	v_add_f64 v[2:3], v[2:3], v[4:5]
	s_waitcnt vmcnt(0) lgkmcnt(0)
	v_mul_f64 v[4:5], v[44:45], v[92:93]
	v_mul_f64 v[96:97], v[42:43], v[92:93]
	v_fma_f64 v[4:5], v[42:43], v[90:91], -v[4:5]
	v_fmac_f64_e32 v[96:97], v[44:45], v[90:91]
	v_add_f64 v[2:3], v[2:3], v[4:5]
	v_add_f64 v[94:95], v[94:95], v[96:97]
	v_add_f64 v[2:3], v[48:49], -v[2:3]
	v_add_f64 v[4:5], v[46:47], -v[94:95]
	buffer_store_dword v3, off, s[0:3], 0 offset:708
	buffer_store_dword v2, off, s[0:3], 0 offset:704
	;; [unrolled: 1-line block ×4, first 2 shown]
	s_and_saveexec_b64 s[4:5], vcc
	s_cbranch_execz .LBB54_259
; %bb.258:
	v_accvgpr_read_b32 v0, a122
	buffer_load_dword v2, v0, s[0:3], 0 offen
	buffer_load_dword v3, v0, s[0:3], 0 offen offset:4
	buffer_load_dword v4, v0, s[0:3], 0 offen offset:8
	;; [unrolled: 1-line block ×3, first 2 shown]
	v_accvgpr_read_b32 v0, a165
	buffer_store_dword v1, off, s[0:3], 0 offset:688
	buffer_store_dword v1, off, s[0:3], 0 offset:692
	;; [unrolled: 1-line block ×4, first 2 shown]
	s_waitcnt vmcnt(4)
	ds_write_b128 v0, v[2:5]
.LBB54_259:
	s_or_b64 exec, exec, s[4:5]
	s_waitcnt lgkmcnt(0)
	; wave barrier
	s_waitcnt lgkmcnt(0)
	ds_read_b128 v[14:17], v1 offset:1568
	ds_read_b128 v[10:13], v1 offset:1584
	ds_read_b128 v[6:9], v1 offset:1600
	ds_read_b128 v[2:5], v1 offset:1616
	buffer_load_dword v48, off, s[0:3], 0 offset:688
	buffer_load_dword v49, off, s[0:3], 0 offset:692
	;; [unrolled: 1-line block ×20, first 2 shown]
	v_cmp_lt_u32_e32 vcc, 41, v254
	s_waitcnt vmcnt(12) lgkmcnt(3)
	v_mul_f64 v[18:19], v[14:15], v[56:57]
	v_fmac_f64_e32 v[18:19], v[16:17], v[50:51]
	v_add_f64 v[18:19], v[18:19], 0
	v_mul_f64 v[16:17], v[16:17], v[56:57]
	s_waitcnt vmcnt(8) lgkmcnt(2)
	v_mul_f64 v[20:21], v[10:11], v[58:59]
	v_fmac_f64_e32 v[20:21], v[12:13], v[52:53]
	v_add_f64 v[18:19], v[18:19], v[20:21]
	v_fma_f64 v[14:15], v[14:15], v[50:51], -v[16:17]
	s_waitcnt vmcnt(4) lgkmcnt(1)
	v_mul_f64 v[20:21], v[6:7], v[60:61]
	v_fmac_f64_e32 v[20:21], v[8:9], v[54:55]
	v_add_f64 v[18:19], v[18:19], v[20:21]
	s_waitcnt vmcnt(0) lgkmcnt(0)
	v_mul_f64 v[20:21], v[2:3], v[64:65]
	v_fmac_f64_e32 v[20:21], v[4:5], v[62:63]
	v_add_f64 v[22:23], v[18:19], v[20:21]
	ds_read_b128 v[18:21], v1 offset:1632
	buffer_load_dword v67, off, s[0:3], 0 offset:772
	buffer_load_dword v66, off, s[0:3], 0 offset:768
	;; [unrolled: 1-line block ×4, first 2 shown]
	v_mul_f64 v[12:13], v[12:13], v[58:59]
	v_add_f64 v[14:15], v[14:15], 0
	v_fma_f64 v[10:11], v[10:11], v[52:53], -v[12:13]
	v_mul_f64 v[8:9], v[8:9], v[60:61]
	v_add_f64 v[10:11], v[14:15], v[10:11]
	v_fma_f64 v[6:7], v[6:7], v[54:55], -v[8:9]
	;; [unrolled: 3-line block ×3, first 2 shown]
	v_add_f64 v[2:3], v[6:7], v[2:3]
	s_waitcnt vmcnt(0) lgkmcnt(0)
	v_mul_f64 v[24:25], v[18:19], v[68:69]
	v_fmac_f64_e32 v[24:25], v[20:21], v[66:67]
	v_add_f64 v[26:27], v[22:23], v[24:25]
	ds_read_b128 v[22:25], v1 offset:1648
	buffer_load_dword v71, off, s[0:3], 0 offset:788
	buffer_load_dword v70, off, s[0:3], 0 offset:784
	buffer_load_dword v73, off, s[0:3], 0 offset:796
	buffer_load_dword v72, off, s[0:3], 0 offset:792
	v_mul_f64 v[4:5], v[20:21], v[68:69]
	v_fma_f64 v[4:5], v[18:19], v[66:67], -v[4:5]
	v_add_f64 v[2:3], v[2:3], v[4:5]
	s_waitcnt vmcnt(0) lgkmcnt(0)
	v_mul_f64 v[28:29], v[22:23], v[72:73]
	v_fmac_f64_e32 v[28:29], v[24:25], v[70:71]
	v_add_f64 v[30:31], v[26:27], v[28:29]
	ds_read_b128 v[26:29], v1 offset:1664
	buffer_load_dword v75, off, s[0:3], 0 offset:804
	buffer_load_dword v74, off, s[0:3], 0 offset:800
	buffer_load_dword v77, off, s[0:3], 0 offset:812
	buffer_load_dword v76, off, s[0:3], 0 offset:808
	v_mul_f64 v[4:5], v[24:25], v[72:73]
	v_fma_f64 v[4:5], v[22:23], v[70:71], -v[4:5]
	;; [unrolled: 12-line block ×7, first 2 shown]
	v_add_f64 v[2:3], v[2:3], v[4:5]
	s_waitcnt vmcnt(0) lgkmcnt(0)
	v_mul_f64 v[4:5], v[96:97], v[102:103]
	v_mul_f64 v[104:105], v[94:95], v[102:103]
	v_fma_f64 v[4:5], v[94:95], v[100:101], -v[4:5]
	v_fmac_f64_e32 v[104:105], v[96:97], v[100:101]
	v_add_f64 v[2:3], v[2:3], v[4:5]
	v_add_f64 v[98:99], v[98:99], v[104:105]
	v_add_f64 v[2:3], v[48:49], -v[2:3]
	v_add_f64 v[4:5], v[46:47], -v[98:99]
	buffer_store_dword v3, off, s[0:3], 0 offset:692
	buffer_store_dword v2, off, s[0:3], 0 offset:688
	;; [unrolled: 1-line block ×4, first 2 shown]
	s_and_saveexec_b64 s[4:5], vcc
	s_cbranch_execz .LBB54_261
; %bb.260:
	v_accvgpr_read_b32 v0, a123
	buffer_load_dword v2, v0, s[0:3], 0 offen
	buffer_load_dword v3, v0, s[0:3], 0 offen offset:4
	buffer_load_dword v4, v0, s[0:3], 0 offen offset:8
	;; [unrolled: 1-line block ×3, first 2 shown]
	v_mov_b32_e32 v0, 0
	v_accvgpr_read_b32 v1, a165
	buffer_store_dword v0, off, s[0:3], 0 offset:672
	buffer_store_dword v0, off, s[0:3], 0 offset:676
	;; [unrolled: 1-line block ×4, first 2 shown]
	s_waitcnt vmcnt(4)
	ds_write_b128 v1, v[2:5]
.LBB54_261:
	s_or_b64 exec, exec, s[4:5]
	s_waitcnt lgkmcnt(0)
	; wave barrier
	s_waitcnt lgkmcnt(0)
	buffer_load_dword v2, off, s[0:3], 0 offset:688
	buffer_load_dword v3, off, s[0:3], 0 offset:692
	;; [unrolled: 1-line block ×56, first 2 shown]
	v_mov_b32_e32 v1, 0
	ds_read_b128 v[30:33], v1 offset:1552
	ds_read_b128 v[34:37], v1 offset:1568
	;; [unrolled: 1-line block ×9, first 2 shown]
	v_cmp_lt_u32_e32 vcc, 40, v254
	s_waitcnt vmcnt(52) lgkmcnt(8)
	v_mul_f64 v[62:63], v[30:31], v[6:7]
	v_fmac_f64_e32 v[62:63], v[32:33], v[2:3]
	v_mul_f64 v[6:7], v[32:33], v[6:7]
	v_add_f64 v[62:63], v[62:63], 0
	s_waitcnt vmcnt(48) lgkmcnt(7)
	v_mul_f64 v[64:65], v[34:35], v[8:9]
	v_fmac_f64_e32 v[64:65], v[36:37], v[4:5]
	s_waitcnt vmcnt(46) lgkmcnt(6)
	v_mul_f64 v[66:67], v[38:39], v[10:11]
	v_fma_f64 v[2:3], v[30:31], v[2:3], -v[6:7]
	v_mul_f64 v[6:7], v[36:37], v[8:9]
	s_waitcnt vmcnt(44) lgkmcnt(5)
	v_mul_f64 v[68:69], v[42:43], v[12:13]
	v_add_f64 v[62:63], v[62:63], v[64:65]
	v_add_f64 v[2:3], v[2:3], 0
	v_fma_f64 v[4:5], v[34:35], v[4:5], -v[6:7]
	v_add_f64 v[2:3], v[2:3], v[4:5]
	v_mul_f64 v[4:5], v[40:41], v[10:11]
	s_waitcnt vmcnt(37) lgkmcnt(4)
	v_mul_f64 v[70:71], v[46:47], v[20:21]
	s_waitcnt lgkmcnt(3)
	v_mul_f64 v[72:73], v[50:51], v[18:19]
	s_waitcnt vmcnt(35)
	v_fmac_f64_e32 v[70:71], v[48:49], v[22:23]
	s_waitcnt lgkmcnt(2)
	v_mul_f64 v[74:75], v[54:55], v[14:15]
	s_waitcnt vmcnt(33)
	v_fmac_f64_e32 v[66:67], v[40:41], v[28:29]
	v_add_f64 v[62:63], v[62:63], v[66:67]
	s_waitcnt vmcnt(31)
	v_fmac_f64_e32 v[68:69], v[44:45], v[26:27]
	v_add_f64 v[62:63], v[62:63], v[68:69]
	v_fma_f64 v[4:5], v[38:39], v[28:29], -v[4:5]
	s_waitcnt vmcnt(29)
	v_fmac_f64_e32 v[72:73], v[52:53], v[24:25]
	v_add_f64 v[62:63], v[62:63], v[70:71]
	v_add_f64 v[2:3], v[2:3], v[4:5]
	v_mul_f64 v[4:5], v[44:45], v[12:13]
	s_waitcnt vmcnt(28)
	v_fmac_f64_e32 v[74:75], v[56:57], v[16:17]
	v_add_f64 v[62:63], v[62:63], v[72:73]
	v_fma_f64 v[4:5], v[42:43], v[26:27], -v[4:5]
	v_add_f64 v[66:67], v[62:63], v[74:75]
	ds_read_b128 v[62:65], v1 offset:1680
	s_waitcnt vmcnt(24) lgkmcnt(2)
	v_mul_f64 v[68:69], v[58:59], v[86:87]
	v_add_f64 v[2:3], v[2:3], v[4:5]
	v_mul_f64 v[4:5], v[48:49], v[20:21]
	s_waitcnt vmcnt(22)
	v_fmac_f64_e32 v[68:69], v[60:61], v[88:89]
	v_fma_f64 v[4:5], v[46:47], v[22:23], -v[4:5]
	v_add_f64 v[70:71], v[66:67], v[68:69]
	ds_read_b128 v[66:69], v1 offset:1696
	v_add_f64 v[2:3], v[2:3], v[4:5]
	v_mul_f64 v[4:5], v[52:53], v[18:19]
	v_fma_f64 v[4:5], v[50:51], v[24:25], -v[4:5]
	v_add_f64 v[2:3], v[2:3], v[4:5]
	v_mul_f64 v[4:5], v[56:57], v[14:15]
	s_waitcnt vmcnt(21) lgkmcnt(1)
	v_mul_f64 v[72:73], v[62:63], v[82:83]
	v_fma_f64 v[4:5], v[54:55], v[16:17], -v[4:5]
	s_waitcnt vmcnt(20)
	v_fmac_f64_e32 v[72:73], v[64:65], v[84:85]
	v_add_f64 v[2:3], v[2:3], v[4:5]
	v_mul_f64 v[4:5], v[60:61], v[86:87]
	v_add_f64 v[74:75], v[70:71], v[72:73]
	ds_read_b128 v[70:73], v1 offset:1712
	s_waitcnt vmcnt(16) lgkmcnt(1)
	v_mul_f64 v[76:77], v[66:67], v[94:95]
	v_fma_f64 v[4:5], v[58:59], v[88:89], -v[4:5]
	s_waitcnt vmcnt(14)
	v_fmac_f64_e32 v[76:77], v[68:69], v[96:97]
	v_add_f64 v[2:3], v[2:3], v[4:5]
	v_mul_f64 v[4:5], v[64:65], v[82:83]
	v_add_f64 v[110:111], v[74:75], v[76:77]
	ds_read_b128 v[74:77], v1 offset:1728
	v_fma_f64 v[4:5], v[62:63], v[84:85], -v[4:5]
	v_add_f64 v[2:3], v[2:3], v[4:5]
	v_mul_f64 v[4:5], v[68:69], v[94:95]
	v_fma_f64 v[4:5], v[66:67], v[96:97], -v[4:5]
	v_add_f64 v[2:3], v[2:3], v[4:5]
	s_waitcnt vmcnt(13) lgkmcnt(1)
	v_mul_f64 v[4:5], v[72:73], v[90:91]
	v_mul_f64 v[112:113], v[70:71], v[90:91]
	s_waitcnt vmcnt(12)
	v_fma_f64 v[4:5], v[70:71], v[92:93], -v[4:5]
	v_fmac_f64_e32 v[112:113], v[72:73], v[92:93]
	v_add_f64 v[2:3], v[2:3], v[4:5]
	s_waitcnt vmcnt(8) lgkmcnt(0)
	v_mul_f64 v[4:5], v[76:77], v[102:103]
	v_add_f64 v[110:111], v[110:111], v[112:113]
	v_mul_f64 v[112:113], v[74:75], v[102:103]
	s_waitcnt vmcnt(6)
	v_fma_f64 v[4:5], v[74:75], v[104:105], -v[4:5]
	v_fmac_f64_e32 v[112:113], v[76:77], v[104:105]
	v_add_f64 v[2:3], v[2:3], v[4:5]
	s_waitcnt vmcnt(5)
	v_mul_f64 v[4:5], v[80:81], v[98:99]
	v_add_f64 v[110:111], v[110:111], v[112:113]
	v_mul_f64 v[112:113], v[78:79], v[98:99]
	s_waitcnt vmcnt(4)
	v_fma_f64 v[4:5], v[78:79], v[100:101], -v[4:5]
	v_fmac_f64_e32 v[112:113], v[80:81], v[100:101]
	v_add_f64 v[2:3], v[2:3], v[4:5]
	v_add_f64 v[110:111], v[110:111], v[112:113]
	s_waitcnt vmcnt(2)
	v_add_f64 v[2:3], v[106:107], -v[2:3]
	s_waitcnt vmcnt(0)
	v_add_f64 v[4:5], v[108:109], -v[110:111]
	buffer_store_dword v3, off, s[0:3], 0 offset:676
	buffer_store_dword v2, off, s[0:3], 0 offset:672
	;; [unrolled: 1-line block ×4, first 2 shown]
	s_and_saveexec_b64 s[4:5], vcc
	s_cbranch_execz .LBB54_263
; %bb.262:
	v_accvgpr_read_b32 v0, a124
	buffer_load_dword v2, v0, s[0:3], 0 offen
	buffer_load_dword v3, v0, s[0:3], 0 offen offset:4
	buffer_load_dword v4, v0, s[0:3], 0 offen offset:8
	;; [unrolled: 1-line block ×3, first 2 shown]
	v_accvgpr_read_b32 v0, a165
	buffer_store_dword v1, off, s[0:3], 0 offset:656
	buffer_store_dword v1, off, s[0:3], 0 offset:660
	;; [unrolled: 1-line block ×4, first 2 shown]
	s_waitcnt vmcnt(4)
	ds_write_b128 v0, v[2:5]
.LBB54_263:
	s_or_b64 exec, exec, s[4:5]
	s_waitcnt lgkmcnt(0)
	; wave barrier
	s_waitcnt lgkmcnt(0)
	buffer_load_dword v2, off, s[0:3], 0 offset:672
	buffer_load_dword v3, off, s[0:3], 0 offset:676
	;; [unrolled: 1-line block ×60, first 2 shown]
	ds_read_b128 v[30:33], v1 offset:1536
	ds_read_b128 v[34:37], v1 offset:1552
	;; [unrolled: 1-line block ×8, first 2 shown]
	v_cmp_lt_u32_e32 vcc, 39, v254
	ds_read_b128 v[82:85], v1 offset:1744
	s_waitcnt vmcnt(56) lgkmcnt(8)
	v_mul_f64 v[62:63], v[30:31], v[6:7]
	v_fmac_f64_e32 v[62:63], v[32:33], v[2:3]
	v_add_f64 v[62:63], v[62:63], 0
	v_mul_f64 v[6:7], v[32:33], v[6:7]
	s_waitcnt vmcnt(52) lgkmcnt(7)
	v_mul_f64 v[64:65], v[34:35], v[8:9]
	v_fmac_f64_e32 v[64:65], v[36:37], v[4:5]
	s_waitcnt vmcnt(50) lgkmcnt(6)
	v_mul_f64 v[66:67], v[38:39], v[10:11]
	v_add_f64 v[62:63], v[62:63], v[64:65]
	s_waitcnt vmcnt(48) lgkmcnt(4)
	v_mul_f64 v[70:71], v[46:47], v[12:13]
	v_fma_f64 v[2:3], v[30:31], v[2:3], -v[6:7]
	s_waitcnt vmcnt(46)
	v_fmac_f64_e32 v[70:71], v[48:49], v[14:15]
	v_mul_f64 v[6:7], v[36:37], v[8:9]
	s_waitcnt vmcnt(44)
	v_mul_f64 v[68:69], v[42:43], v[16:17]
	v_add_f64 v[2:3], v[2:3], 0
	v_fma_f64 v[4:5], v[34:35], v[4:5], -v[6:7]
	v_add_f64 v[2:3], v[2:3], v[4:5]
	s_waitcnt vmcnt(40) lgkmcnt(3)
	v_mul_f64 v[72:73], v[50:51], v[22:23]
	v_mul_f64 v[4:5], v[40:41], v[10:11]
	s_waitcnt vmcnt(38)
	v_fmac_f64_e32 v[66:67], v[40:41], v[28:29]
	v_add_f64 v[62:63], v[62:63], v[66:67]
	s_waitcnt vmcnt(36)
	v_fmac_f64_e32 v[68:69], v[44:45], v[26:27]
	v_add_f64 v[62:63], v[62:63], v[68:69]
	;; [unrolled: 3-line block ×3, first 2 shown]
	s_waitcnt vmcnt(33) lgkmcnt(2)
	v_mul_f64 v[64:65], v[54:55], v[18:19]
	v_add_f64 v[62:63], v[62:63], v[72:73]
	s_waitcnt vmcnt(32)
	v_fmac_f64_e32 v[64:65], v[56:57], v[20:21]
	v_add_f64 v[66:67], v[62:63], v[64:65]
	ds_read_b128 v[62:65], v1 offset:1664
	v_fma_f64 v[4:5], v[38:39], v[28:29], -v[4:5]
	v_add_f64 v[2:3], v[2:3], v[4:5]
	v_mul_f64 v[4:5], v[44:45], v[16:17]
	v_fma_f64 v[4:5], v[42:43], v[26:27], -v[4:5]
	s_waitcnt vmcnt(28) lgkmcnt(2)
	v_mul_f64 v[68:69], v[58:59], v[90:91]
	v_add_f64 v[2:3], v[2:3], v[4:5]
	v_mul_f64 v[4:5], v[48:49], v[12:13]
	s_waitcnt vmcnt(26)
	v_fmac_f64_e32 v[68:69], v[60:61], v[92:93]
	v_fma_f64 v[4:5], v[46:47], v[14:15], -v[4:5]
	v_add_f64 v[70:71], v[66:67], v[68:69]
	ds_read_b128 v[66:69], v1 offset:1680
	s_waitcnt vmcnt(25) lgkmcnt(1)
	v_mul_f64 v[72:73], v[62:63], v[86:87]
	v_add_f64 v[2:3], v[2:3], v[4:5]
	v_mul_f64 v[4:5], v[52:53], v[22:23]
	s_waitcnt vmcnt(24)
	v_fmac_f64_e32 v[72:73], v[64:65], v[88:89]
	v_fma_f64 v[4:5], v[50:51], v[24:25], -v[4:5]
	v_add_f64 v[74:75], v[70:71], v[72:73]
	ds_read_b128 v[70:73], v1 offset:1696
	v_add_f64 v[2:3], v[2:3], v[4:5]
	v_mul_f64 v[4:5], v[56:57], v[18:19]
	v_fma_f64 v[4:5], v[54:55], v[20:21], -v[4:5]
	v_add_f64 v[2:3], v[2:3], v[4:5]
	v_mul_f64 v[4:5], v[60:61], v[90:91]
	s_waitcnt vmcnt(20) lgkmcnt(1)
	v_mul_f64 v[76:77], v[66:67], v[98:99]
	v_fma_f64 v[4:5], v[58:59], v[92:93], -v[4:5]
	s_waitcnt vmcnt(18)
	v_fmac_f64_e32 v[76:77], v[68:69], v[100:101]
	v_add_f64 v[2:3], v[2:3], v[4:5]
	v_mul_f64 v[4:5], v[64:65], v[86:87]
	v_add_f64 v[78:79], v[74:75], v[76:77]
	ds_read_b128 v[74:77], v1 offset:1712
	s_waitcnt vmcnt(17) lgkmcnt(1)
	v_mul_f64 v[80:81], v[70:71], v[94:95]
	v_fma_f64 v[4:5], v[62:63], v[88:89], -v[4:5]
	s_waitcnt vmcnt(16)
	v_fmac_f64_e32 v[80:81], v[72:73], v[96:97]
	v_add_f64 v[2:3], v[2:3], v[4:5]
	v_mul_f64 v[4:5], v[68:69], v[98:99]
	v_add_f64 v[118:119], v[78:79], v[80:81]
	ds_read_b128 v[78:81], v1 offset:1728
	v_fma_f64 v[4:5], v[66:67], v[100:101], -v[4:5]
	v_add_f64 v[2:3], v[2:3], v[4:5]
	v_mul_f64 v[4:5], v[72:73], v[94:95]
	v_fma_f64 v[4:5], v[70:71], v[96:97], -v[4:5]
	v_add_f64 v[2:3], v[2:3], v[4:5]
	s_waitcnt vmcnt(12) lgkmcnt(1)
	v_mul_f64 v[4:5], v[76:77], v[106:107]
	v_mul_f64 v[120:121], v[74:75], v[106:107]
	s_waitcnt vmcnt(10)
	v_fma_f64 v[4:5], v[74:75], v[108:109], -v[4:5]
	v_fmac_f64_e32 v[120:121], v[76:77], v[108:109]
	v_add_f64 v[2:3], v[2:3], v[4:5]
	s_waitcnt vmcnt(9) lgkmcnt(0)
	v_mul_f64 v[4:5], v[80:81], v[102:103]
	v_add_f64 v[118:119], v[118:119], v[120:121]
	v_mul_f64 v[120:121], v[78:79], v[102:103]
	s_waitcnt vmcnt(8)
	v_fma_f64 v[4:5], v[78:79], v[104:105], -v[4:5]
	v_fmac_f64_e32 v[120:121], v[80:81], v[104:105]
	v_add_f64 v[2:3], v[2:3], v[4:5]
	s_waitcnt vmcnt(6)
	v_mul_f64 v[4:5], v[84:85], v[110:111]
	v_add_f64 v[118:119], v[118:119], v[120:121]
	v_mul_f64 v[120:121], v[82:83], v[110:111]
	s_waitcnt vmcnt(4)
	v_fma_f64 v[4:5], v[82:83], v[112:113], -v[4:5]
	v_fmac_f64_e32 v[120:121], v[84:85], v[112:113]
	v_add_f64 v[2:3], v[2:3], v[4:5]
	v_add_f64 v[118:119], v[118:119], v[120:121]
	s_waitcnt vmcnt(2)
	v_add_f64 v[2:3], v[114:115], -v[2:3]
	s_waitcnt vmcnt(0)
	v_add_f64 v[4:5], v[116:117], -v[118:119]
	buffer_store_dword v3, off, s[0:3], 0 offset:660
	buffer_store_dword v2, off, s[0:3], 0 offset:656
	;; [unrolled: 1-line block ×4, first 2 shown]
	s_and_saveexec_b64 s[4:5], vcc
	s_cbranch_execz .LBB54_265
; %bb.264:
	v_accvgpr_read_b32 v0, a125
	buffer_load_dword v2, v0, s[0:3], 0 offen
	buffer_load_dword v3, v0, s[0:3], 0 offen offset:4
	buffer_load_dword v4, v0, s[0:3], 0 offen offset:8
	;; [unrolled: 1-line block ×3, first 2 shown]
	v_mov_b32_e32 v0, 0
	v_accvgpr_read_b32 v1, a165
	buffer_store_dword v0, off, s[0:3], 0 offset:640
	buffer_store_dword v0, off, s[0:3], 0 offset:644
	;; [unrolled: 1-line block ×4, first 2 shown]
	s_waitcnt vmcnt(4)
	ds_write_b128 v1, v[2:5]
.LBB54_265:
	s_or_b64 exec, exec, s[4:5]
	s_waitcnt lgkmcnt(0)
	; wave barrier
	s_waitcnt lgkmcnt(0)
	buffer_load_dword v2, off, s[0:3], 0 offset:656
	buffer_load_dword v3, off, s[0:3], 0 offset:660
	;; [unrolled: 1-line block ×64, first 2 shown]
	v_mov_b32_e32 v1, 0
	ds_read_b128 v[38:41], v1 offset:1520
	ds_read_b128 v[42:45], v1 offset:1536
	;; [unrolled: 1-line block ×7, first 2 shown]
	v_cmp_lt_u32_e32 vcc, 38, v254
	s_waitcnt vmcnt(60) lgkmcnt(6)
	v_mul_f64 v[62:63], v[38:39], v[4:5]
	v_fmac_f64_e32 v[62:63], v[40:41], v[2:3]
	s_waitcnt vmcnt(58) lgkmcnt(5)
	v_mul_f64 v[64:65], v[42:43], v[6:7]
	v_add_f64 v[62:63], v[62:63], 0
	s_waitcnt vmcnt(56) lgkmcnt(4)
	v_mul_f64 v[66:67], v[46:47], v[8:9]
	v_mul_f64 v[4:5], v[40:41], v[4:5]
	s_waitcnt vmcnt(54) lgkmcnt(2)
	v_mul_f64 v[70:71], v[54:55], v[10:11]
	v_fma_f64 v[2:3], v[38:39], v[2:3], -v[4:5]
	v_mul_f64 v[4:5], v[44:45], v[6:7]
	s_waitcnt vmcnt(51)
	v_mul_f64 v[68:69], v[50:51], v[14:15]
	v_add_f64 v[2:3], v[2:3], 0
	s_waitcnt vmcnt(49)
	v_fmac_f64_e32 v[64:65], v[44:45], v[20:21]
	v_add_f64 v[62:63], v[62:63], v[64:65]
	s_waitcnt vmcnt(47)
	v_fmac_f64_e32 v[66:67], v[48:49], v[18:19]
	;; [unrolled: 3-line block ×4, first 2 shown]
	v_add_f64 v[66:67], v[62:63], v[70:71]
	ds_read_b128 v[62:65], v1 offset:1616
	s_waitcnt vmcnt(40) lgkmcnt(2)
	v_mul_f64 v[68:69], v[58:59], v[26:27]
	v_fma_f64 v[4:5], v[42:43], v[20:21], -v[4:5]
	s_waitcnt vmcnt(38)
	v_fmac_f64_e32 v[68:69], v[60:61], v[28:29]
	v_add_f64 v[70:71], v[66:67], v[68:69]
	ds_read_b128 v[66:69], v1 offset:1632
	s_waitcnt vmcnt(37) lgkmcnt(1)
	v_mul_f64 v[72:73], v[62:63], v[22:23]
	s_waitcnt vmcnt(36)
	v_fmac_f64_e32 v[72:73], v[64:65], v[24:25]
	v_add_f64 v[2:3], v[2:3], v[4:5]
	v_mul_f64 v[4:5], v[48:49], v[8:9]
	v_add_f64 v[74:75], v[70:71], v[72:73]
	ds_read_b128 v[70:73], v1 offset:1648
	s_waitcnt vmcnt(32) lgkmcnt(1)
	v_mul_f64 v[76:77], v[66:67], v[34:35]
	v_fma_f64 v[4:5], v[46:47], v[18:19], -v[4:5]
	s_waitcnt vmcnt(30)
	v_fmac_f64_e32 v[76:77], v[68:69], v[36:37]
	v_add_f64 v[2:3], v[2:3], v[4:5]
	v_mul_f64 v[4:5], v[52:53], v[14:15]
	v_add_f64 v[78:79], v[74:75], v[76:77]
	ds_read_b128 v[74:77], v1 offset:1664
	v_fma_f64 v[4:5], v[50:51], v[16:17], -v[4:5]
	v_add_f64 v[2:3], v[2:3], v[4:5]
	v_mul_f64 v[4:5], v[56:57], v[10:11]
	v_fma_f64 v[4:5], v[54:55], v[12:13], -v[4:5]
	s_waitcnt vmcnt(29) lgkmcnt(1)
	v_mul_f64 v[80:81], v[70:71], v[30:31]
	v_add_f64 v[2:3], v[2:3], v[4:5]
	v_mul_f64 v[4:5], v[60:61], v[26:27]
	s_waitcnt vmcnt(28)
	v_fmac_f64_e32 v[80:81], v[72:73], v[32:33]
	v_fma_f64 v[4:5], v[58:59], v[28:29], -v[4:5]
	v_add_f64 v[82:83], v[78:79], v[80:81]
	ds_read_b128 v[78:81], v1 offset:1680
	s_waitcnt vmcnt(24) lgkmcnt(1)
	v_mul_f64 v[84:85], v[74:75], v[102:103]
	v_add_f64 v[2:3], v[2:3], v[4:5]
	v_mul_f64 v[4:5], v[64:65], v[22:23]
	s_waitcnt vmcnt(22)
	v_fmac_f64_e32 v[84:85], v[76:77], v[104:105]
	v_fma_f64 v[4:5], v[62:63], v[24:25], -v[4:5]
	v_add_f64 v[86:87], v[82:83], v[84:85]
	ds_read_b128 v[82:85], v1 offset:1696
	v_add_f64 v[2:3], v[2:3], v[4:5]
	v_mul_f64 v[4:5], v[68:69], v[34:35]
	v_fma_f64 v[4:5], v[66:67], v[36:37], -v[4:5]
	v_add_f64 v[2:3], v[2:3], v[4:5]
	v_mul_f64 v[4:5], v[72:73], v[30:31]
	s_waitcnt vmcnt(21) lgkmcnt(1)
	v_mul_f64 v[88:89], v[78:79], v[98:99]
	v_fma_f64 v[4:5], v[70:71], v[32:33], -v[4:5]
	s_waitcnt vmcnt(20)
	v_fmac_f64_e32 v[88:89], v[80:81], v[100:101]
	v_add_f64 v[2:3], v[2:3], v[4:5]
	v_mul_f64 v[4:5], v[76:77], v[102:103]
	v_add_f64 v[90:91], v[86:87], v[88:89]
	ds_read_b128 v[86:89], v1 offset:1712
	s_waitcnt vmcnt(16) lgkmcnt(1)
	v_mul_f64 v[92:93], v[82:83], v[110:111]
	v_fma_f64 v[4:5], v[74:75], v[104:105], -v[4:5]
	s_waitcnt vmcnt(14)
	v_fmac_f64_e32 v[92:93], v[84:85], v[112:113]
	v_add_f64 v[2:3], v[2:3], v[4:5]
	v_mul_f64 v[4:5], v[80:81], v[98:99]
	v_add_f64 v[126:127], v[90:91], v[92:93]
	ds_read_b128 v[90:93], v1 offset:1728
	v_fma_f64 v[4:5], v[78:79], v[100:101], -v[4:5]
	v_add_f64 v[2:3], v[2:3], v[4:5]
	v_mul_f64 v[4:5], v[84:85], v[110:111]
	v_fma_f64 v[4:5], v[82:83], v[112:113], -v[4:5]
	v_add_f64 v[2:3], v[2:3], v[4:5]
	s_waitcnt vmcnt(13) lgkmcnt(1)
	v_mul_f64 v[4:5], v[88:89], v[106:107]
	v_mul_f64 v[128:129], v[86:87], v[106:107]
	s_waitcnt vmcnt(12)
	v_fma_f64 v[4:5], v[86:87], v[108:109], -v[4:5]
	v_fmac_f64_e32 v[128:129], v[88:89], v[108:109]
	v_add_f64 v[2:3], v[2:3], v[4:5]
	s_waitcnt vmcnt(8) lgkmcnt(0)
	v_mul_f64 v[4:5], v[92:93], v[118:119]
	v_add_f64 v[126:127], v[126:127], v[128:129]
	v_mul_f64 v[128:129], v[90:91], v[118:119]
	s_waitcnt vmcnt(6)
	v_fma_f64 v[4:5], v[90:91], v[120:121], -v[4:5]
	v_fmac_f64_e32 v[128:129], v[92:93], v[120:121]
	v_add_f64 v[2:3], v[2:3], v[4:5]
	s_waitcnt vmcnt(5)
	v_mul_f64 v[4:5], v[96:97], v[114:115]
	v_add_f64 v[126:127], v[126:127], v[128:129]
	v_mul_f64 v[128:129], v[94:95], v[114:115]
	s_waitcnt vmcnt(4)
	v_fma_f64 v[4:5], v[94:95], v[116:117], -v[4:5]
	v_fmac_f64_e32 v[128:129], v[96:97], v[116:117]
	v_add_f64 v[2:3], v[2:3], v[4:5]
	v_add_f64 v[126:127], v[126:127], v[128:129]
	s_waitcnt vmcnt(2)
	v_add_f64 v[2:3], v[122:123], -v[2:3]
	s_waitcnt vmcnt(0)
	v_add_f64 v[4:5], v[124:125], -v[126:127]
	buffer_store_dword v3, off, s[0:3], 0 offset:644
	buffer_store_dword v2, off, s[0:3], 0 offset:640
	;; [unrolled: 1-line block ×4, first 2 shown]
	s_and_saveexec_b64 s[4:5], vcc
	s_cbranch_execz .LBB54_267
; %bb.266:
	v_accvgpr_read_b32 v0, a126
	buffer_load_dword v2, v0, s[0:3], 0 offen
	buffer_load_dword v3, v0, s[0:3], 0 offen offset:4
	buffer_load_dword v4, v0, s[0:3], 0 offen offset:8
	buffer_load_dword v5, v0, s[0:3], 0 offen offset:12
	v_accvgpr_read_b32 v0, a165
	buffer_store_dword v1, off, s[0:3], 0 offset:624
	buffer_store_dword v1, off, s[0:3], 0 offset:628
	;; [unrolled: 1-line block ×4, first 2 shown]
	s_waitcnt vmcnt(4)
	ds_write_b128 v0, v[2:5]
.LBB54_267:
	s_or_b64 exec, exec, s[4:5]
	s_waitcnt lgkmcnt(0)
	; wave barrier
	s_waitcnt lgkmcnt(0)
	buffer_load_dword v2, off, s[0:3], 0 offset:640
	buffer_load_dword v3, off, s[0:3], 0 offset:644
	;; [unrolled: 1-line block ×64, first 2 shown]
	ds_read_b128 v[46:49], v1 offset:1504
	ds_read_b128 v[50:53], v1 offset:1520
	;; [unrolled: 1-line block ×4, first 2 shown]
	buffer_load_dword v130, off, s[0:3], 0 offset:624
	buffer_load_dword v131, off, s[0:3], 0 offset:628
	;; [unrolled: 1-line block ×4, first 2 shown]
	v_cmp_lt_u32_e32 vcc, 37, v254
	ds_read_b128 v[106:109], v1 offset:1744
	s_waitcnt vmcnt(62) lgkmcnt(4)
	v_mul_f64 v[62:63], v[46:47], v[4:5]
	v_fmac_f64_e32 v[62:63], v[48:49], v[2:3]
	v_add_f64 v[62:63], v[62:63], 0
	s_waitcnt lgkmcnt(2)
	v_mul_f64 v[66:67], v[54:55], v[6:7]
	v_mul_f64 v[4:5], v[48:49], v[4:5]
	v_fma_f64 v[2:3], v[46:47], v[2:3], -v[4:5]
	s_waitcnt vmcnt(58) lgkmcnt(1)
	v_mul_f64 v[68:69], v[58:59], v[12:13]
	v_add_f64 v[2:3], v[2:3], 0
	s_waitcnt vmcnt(56)
	v_mul_f64 v[64:65], v[50:51], v[18:19]
	v_mul_f64 v[4:5], v[52:53], v[18:19]
	s_waitcnt vmcnt(53)
	v_fmac_f64_e32 v[66:67], v[56:57], v[16:17]
	s_waitcnt vmcnt(52)
	v_fmac_f64_e32 v[64:65], v[52:53], v[20:21]
	v_add_f64 v[70:71], v[62:63], v[64:65]
	ds_read_b128 v[62:65], v1 offset:1568
	v_add_f64 v[66:67], v[70:71], v[66:67]
	s_waitcnt vmcnt(50)
	v_fmac_f64_e32 v[68:69], v[60:61], v[14:15]
	v_add_f64 v[70:71], v[66:67], v[68:69]
	ds_read_b128 v[66:69], v1 offset:1584
	s_waitcnt vmcnt(49) lgkmcnt(1)
	v_mul_f64 v[72:73], v[62:63], v[8:9]
	s_waitcnt vmcnt(48)
	v_fmac_f64_e32 v[72:73], v[64:65], v[10:11]
	v_add_f64 v[74:75], v[70:71], v[72:73]
	ds_read_b128 v[70:73], v1 offset:1600
	s_waitcnt vmcnt(44) lgkmcnt(1)
	v_mul_f64 v[76:77], v[66:67], v[26:27]
	;; [unrolled: 6-line block ×3, first 2 shown]
	s_waitcnt vmcnt(40)
	v_fmac_f64_e32 v[80:81], v[72:73], v[24:25]
	v_add_f64 v[82:83], v[78:79], v[80:81]
	ds_read_b128 v[78:81], v1 offset:1632
	v_fma_f64 v[4:5], v[50:51], v[20:21], -v[4:5]
	v_add_f64 v[2:3], v[2:3], v[4:5]
	v_mul_f64 v[4:5], v[56:57], v[6:7]
	s_waitcnt vmcnt(36) lgkmcnt(1)
	v_mul_f64 v[84:85], v[74:75], v[34:35]
	v_fma_f64 v[4:5], v[54:55], v[16:17], -v[4:5]
	s_waitcnt vmcnt(34)
	v_fmac_f64_e32 v[84:85], v[76:77], v[36:37]
	v_add_f64 v[2:3], v[2:3], v[4:5]
	v_mul_f64 v[4:5], v[60:61], v[12:13]
	v_add_f64 v[86:87], v[82:83], v[84:85]
	ds_read_b128 v[82:85], v1 offset:1648
	s_waitcnt vmcnt(33) lgkmcnt(1)
	v_mul_f64 v[88:89], v[78:79], v[30:31]
	v_fma_f64 v[4:5], v[58:59], v[14:15], -v[4:5]
	s_waitcnt vmcnt(32)
	v_fmac_f64_e32 v[88:89], v[80:81], v[32:33]
	v_add_f64 v[2:3], v[2:3], v[4:5]
	v_mul_f64 v[4:5], v[64:65], v[8:9]
	v_add_f64 v[90:91], v[86:87], v[88:89]
	ds_read_b128 v[86:89], v1 offset:1664
	v_fma_f64 v[4:5], v[62:63], v[10:11], -v[4:5]
	v_add_f64 v[2:3], v[2:3], v[4:5]
	v_mul_f64 v[4:5], v[68:69], v[26:27]
	v_fma_f64 v[4:5], v[66:67], v[28:29], -v[4:5]
	s_waitcnt vmcnt(28) lgkmcnt(1)
	v_mul_f64 v[92:93], v[82:83], v[42:43]
	v_add_f64 v[2:3], v[2:3], v[4:5]
	v_mul_f64 v[4:5], v[72:73], v[22:23]
	s_waitcnt vmcnt(26)
	v_fmac_f64_e32 v[92:93], v[84:85], v[44:45]
	v_fma_f64 v[4:5], v[70:71], v[24:25], -v[4:5]
	v_add_f64 v[94:95], v[90:91], v[92:93]
	ds_read_b128 v[90:93], v1 offset:1680
	s_waitcnt vmcnt(25) lgkmcnt(1)
	v_mul_f64 v[96:97], v[86:87], v[38:39]
	v_add_f64 v[2:3], v[2:3], v[4:5]
	v_mul_f64 v[4:5], v[76:77], v[34:35]
	s_waitcnt vmcnt(24)
	v_fmac_f64_e32 v[96:97], v[88:89], v[40:41]
	v_fma_f64 v[4:5], v[74:75], v[36:37], -v[4:5]
	v_add_f64 v[98:99], v[94:95], v[96:97]
	ds_read_b128 v[94:97], v1 offset:1696
	v_add_f64 v[2:3], v[2:3], v[4:5]
	v_mul_f64 v[4:5], v[80:81], v[30:31]
	v_fma_f64 v[4:5], v[78:79], v[32:33], -v[4:5]
	v_add_f64 v[2:3], v[2:3], v[4:5]
	v_mul_f64 v[4:5], v[84:85], v[42:43]
	s_waitcnt vmcnt(20) lgkmcnt(1)
	v_mul_f64 v[100:101], v[90:91], v[114:115]
	v_fma_f64 v[4:5], v[82:83], v[44:45], -v[4:5]
	s_waitcnt vmcnt(18)
	v_fmac_f64_e32 v[100:101], v[92:93], v[116:117]
	v_add_f64 v[2:3], v[2:3], v[4:5]
	v_mul_f64 v[4:5], v[88:89], v[38:39]
	v_add_f64 v[102:103], v[98:99], v[100:101]
	ds_read_b128 v[98:101], v1 offset:1712
	s_waitcnt vmcnt(17) lgkmcnt(1)
	v_mul_f64 v[104:105], v[94:95], v[110:111]
	v_fma_f64 v[4:5], v[86:87], v[40:41], -v[4:5]
	s_waitcnt vmcnt(16)
	v_fmac_f64_e32 v[104:105], v[96:97], v[112:113]
	v_add_f64 v[2:3], v[2:3], v[4:5]
	v_mul_f64 v[4:5], v[92:93], v[114:115]
	v_add_f64 v[134:135], v[102:103], v[104:105]
	ds_read_b128 v[102:105], v1 offset:1728
	v_fma_f64 v[4:5], v[90:91], v[116:117], -v[4:5]
	v_add_f64 v[2:3], v[2:3], v[4:5]
	v_mul_f64 v[4:5], v[96:97], v[110:111]
	v_fma_f64 v[4:5], v[94:95], v[112:113], -v[4:5]
	v_add_f64 v[2:3], v[2:3], v[4:5]
	s_waitcnt vmcnt(12) lgkmcnt(1)
	v_mul_f64 v[4:5], v[100:101], v[122:123]
	v_mul_f64 v[136:137], v[98:99], v[122:123]
	s_waitcnt vmcnt(10)
	v_fma_f64 v[4:5], v[98:99], v[124:125], -v[4:5]
	v_fmac_f64_e32 v[136:137], v[100:101], v[124:125]
	v_add_f64 v[2:3], v[2:3], v[4:5]
	s_waitcnt vmcnt(9) lgkmcnt(0)
	v_mul_f64 v[4:5], v[104:105], v[118:119]
	v_add_f64 v[134:135], v[134:135], v[136:137]
	v_mul_f64 v[136:137], v[102:103], v[118:119]
	s_waitcnt vmcnt(8)
	v_fma_f64 v[4:5], v[102:103], v[120:121], -v[4:5]
	v_fmac_f64_e32 v[136:137], v[104:105], v[120:121]
	v_add_f64 v[2:3], v[2:3], v[4:5]
	s_waitcnt vmcnt(6)
	v_mul_f64 v[4:5], v[108:109], v[126:127]
	v_add_f64 v[134:135], v[134:135], v[136:137]
	v_mul_f64 v[136:137], v[106:107], v[126:127]
	s_waitcnt vmcnt(4)
	v_fma_f64 v[4:5], v[106:107], v[128:129], -v[4:5]
	v_fmac_f64_e32 v[136:137], v[108:109], v[128:129]
	v_add_f64 v[2:3], v[2:3], v[4:5]
	v_add_f64 v[134:135], v[134:135], v[136:137]
	s_waitcnt vmcnt(2)
	v_add_f64 v[2:3], v[130:131], -v[2:3]
	s_waitcnt vmcnt(0)
	v_add_f64 v[4:5], v[132:133], -v[134:135]
	buffer_store_dword v3, off, s[0:3], 0 offset:628
	buffer_store_dword v2, off, s[0:3], 0 offset:624
	;; [unrolled: 1-line block ×4, first 2 shown]
	s_and_saveexec_b64 s[4:5], vcc
	s_cbranch_execz .LBB54_269
; %bb.268:
	v_accvgpr_read_b32 v0, a127
	buffer_load_dword v2, v0, s[0:3], 0 offen
	buffer_load_dword v3, v0, s[0:3], 0 offen offset:4
	buffer_load_dword v4, v0, s[0:3], 0 offen offset:8
	;; [unrolled: 1-line block ×3, first 2 shown]
	v_mov_b32_e32 v0, 0
	v_accvgpr_read_b32 v1, a165
	buffer_store_dword v0, off, s[0:3], 0 offset:608
	buffer_store_dword v0, off, s[0:3], 0 offset:612
	;; [unrolled: 1-line block ×4, first 2 shown]
	s_waitcnt vmcnt(4)
	ds_write_b128 v1, v[2:5]
.LBB54_269:
	s_or_b64 exec, exec, s[4:5]
	s_waitcnt lgkmcnt(0)
	; wave barrier
	s_waitcnt lgkmcnt(0)
	buffer_load_dword v2, off, s[0:3], 0 offset:624
	buffer_load_dword v3, off, s[0:3], 0 offset:628
	;; [unrolled: 1-line block ×68, first 2 shown]
	v_mov_b32_e32 v1, 0
	buffer_load_dword v138, off, s[0:3], 0 offset:608
	buffer_load_dword v139, off, s[0:3], 0 offset:612
	;; [unrolled: 1-line block ×3, first 2 shown]
	ds_read_b128 v[46:49], v1 offset:1488
	ds_read_b128 v[50:53], v1 offset:1504
	buffer_load_dword v141, off, s[0:3], 0 offset:620
	ds_read_b128 v[54:57], v1 offset:1520
	ds_read_b128 v[58:61], v1 offset:1536
	;; [unrolled: 1-line block ×3, first 2 shown]
	v_cmp_lt_u32_e32 vcc, 36, v254
	s_waitcnt vmcnt(62) lgkmcnt(4)
	v_mul_f64 v[62:63], v[46:47], v[6:7]
	v_fmac_f64_e32 v[62:63], v[48:49], v[2:3]
	v_add_f64 v[62:63], v[62:63], 0
	v_mul_f64 v[6:7], v[48:49], v[6:7]
	s_waitcnt lgkmcnt(3)
	v_mul_f64 v[64:65], v[50:51], v[10:11]
	v_fmac_f64_e32 v[64:65], v[52:53], v[4:5]
	v_add_f64 v[62:63], v[62:63], v[64:65]
	v_fma_f64 v[2:3], v[46:47], v[2:3], -v[6:7]
	s_waitcnt vmcnt(60) lgkmcnt(2)
	v_mul_f64 v[64:65], v[54:55], v[12:13]
	v_fmac_f64_e32 v[64:65], v[56:57], v[8:9]
	v_add_f64 v[66:67], v[62:63], v[64:65]
	ds_read_b128 v[62:65], v1 offset:1552
	s_waitcnt vmcnt(56) lgkmcnt(2)
	v_mul_f64 v[68:69], v[58:59], v[18:19]
	v_mul_f64 v[6:7], v[52:53], v[10:11]
	s_waitcnt vmcnt(54)
	v_fmac_f64_e32 v[68:69], v[60:61], v[20:21]
	v_add_f64 v[70:71], v[66:67], v[68:69]
	ds_read_b128 v[66:69], v1 offset:1568
	s_waitcnt vmcnt(53) lgkmcnt(1)
	v_mul_f64 v[72:73], v[62:63], v[14:15]
	s_waitcnt vmcnt(52)
	v_fmac_f64_e32 v[72:73], v[64:65], v[16:17]
	v_add_f64 v[74:75], v[70:71], v[72:73]
	ds_read_b128 v[70:73], v1 offset:1584
	s_waitcnt vmcnt(48) lgkmcnt(1)
	v_mul_f64 v[76:77], v[66:67], v[26:27]
	s_waitcnt vmcnt(46)
	v_fmac_f64_e32 v[76:77], v[68:69], v[28:29]
	v_add_f64 v[78:79], v[74:75], v[76:77]
	ds_read_b128 v[74:77], v1 offset:1600
	s_waitcnt vmcnt(45) lgkmcnt(1)
	v_mul_f64 v[80:81], v[70:71], v[22:23]
	s_waitcnt vmcnt(44)
	v_fmac_f64_e32 v[80:81], v[72:73], v[24:25]
	v_add_f64 v[82:83], v[78:79], v[80:81]
	ds_read_b128 v[78:81], v1 offset:1616
	s_waitcnt vmcnt(40) lgkmcnt(1)
	v_mul_f64 v[84:85], v[74:75], v[34:35]
	s_waitcnt vmcnt(38)
	v_fmac_f64_e32 v[84:85], v[76:77], v[36:37]
	v_add_f64 v[2:3], v[2:3], 0
	v_fma_f64 v[4:5], v[50:51], v[4:5], -v[6:7]
	v_add_f64 v[86:87], v[82:83], v[84:85]
	ds_read_b128 v[82:85], v1 offset:1632
	v_add_f64 v[2:3], v[2:3], v[4:5]
	v_mul_f64 v[4:5], v[56:57], v[12:13]
	v_fma_f64 v[4:5], v[54:55], v[8:9], -v[4:5]
	v_add_f64 v[2:3], v[2:3], v[4:5]
	v_mul_f64 v[4:5], v[60:61], v[18:19]
	s_waitcnt vmcnt(37) lgkmcnt(1)
	v_mul_f64 v[88:89], v[78:79], v[30:31]
	v_fma_f64 v[4:5], v[58:59], v[20:21], -v[4:5]
	s_waitcnt vmcnt(36)
	v_fmac_f64_e32 v[88:89], v[80:81], v[32:33]
	v_add_f64 v[2:3], v[2:3], v[4:5]
	v_mul_f64 v[4:5], v[64:65], v[14:15]
	v_add_f64 v[90:91], v[86:87], v[88:89]
	ds_read_b128 v[86:89], v1 offset:1648
	s_waitcnt vmcnt(32) lgkmcnt(1)
	v_mul_f64 v[92:93], v[82:83], v[42:43]
	v_fma_f64 v[4:5], v[62:63], v[16:17], -v[4:5]
	s_waitcnt vmcnt(30)
	v_fmac_f64_e32 v[92:93], v[84:85], v[44:45]
	v_add_f64 v[2:3], v[2:3], v[4:5]
	v_mul_f64 v[4:5], v[68:69], v[26:27]
	v_add_f64 v[94:95], v[90:91], v[92:93]
	ds_read_b128 v[90:93], v1 offset:1664
	v_fma_f64 v[4:5], v[66:67], v[28:29], -v[4:5]
	v_add_f64 v[2:3], v[2:3], v[4:5]
	v_mul_f64 v[4:5], v[72:73], v[22:23]
	v_fma_f64 v[4:5], v[70:71], v[24:25], -v[4:5]
	s_waitcnt vmcnt(29) lgkmcnt(1)
	v_mul_f64 v[96:97], v[86:87], v[38:39]
	v_add_f64 v[2:3], v[2:3], v[4:5]
	v_mul_f64 v[4:5], v[76:77], v[34:35]
	s_waitcnt vmcnt(28)
	v_fmac_f64_e32 v[96:97], v[88:89], v[40:41]
	v_fma_f64 v[4:5], v[74:75], v[36:37], -v[4:5]
	v_add_f64 v[98:99], v[94:95], v[96:97]
	ds_read_b128 v[94:97], v1 offset:1680
	s_waitcnt vmcnt(24) lgkmcnt(1)
	v_mul_f64 v[100:101], v[90:91], v[118:119]
	v_add_f64 v[2:3], v[2:3], v[4:5]
	v_mul_f64 v[4:5], v[80:81], v[30:31]
	s_waitcnt vmcnt(22)
	v_fmac_f64_e32 v[100:101], v[92:93], v[120:121]
	v_fma_f64 v[4:5], v[78:79], v[32:33], -v[4:5]
	v_add_f64 v[102:103], v[98:99], v[100:101]
	ds_read_b128 v[98:101], v1 offset:1696
	v_add_f64 v[2:3], v[2:3], v[4:5]
	v_mul_f64 v[4:5], v[84:85], v[42:43]
	v_fma_f64 v[4:5], v[82:83], v[44:45], -v[4:5]
	v_add_f64 v[2:3], v[2:3], v[4:5]
	v_mul_f64 v[4:5], v[88:89], v[38:39]
	s_waitcnt vmcnt(21) lgkmcnt(1)
	v_mul_f64 v[104:105], v[94:95], v[114:115]
	v_fma_f64 v[4:5], v[86:87], v[40:41], -v[4:5]
	s_waitcnt vmcnt(20)
	v_fmac_f64_e32 v[104:105], v[96:97], v[116:117]
	v_add_f64 v[2:3], v[2:3], v[4:5]
	v_mul_f64 v[4:5], v[92:93], v[118:119]
	v_add_f64 v[106:107], v[102:103], v[104:105]
	ds_read_b128 v[102:105], v1 offset:1712
	s_waitcnt vmcnt(16) lgkmcnt(1)
	v_mul_f64 v[108:109], v[98:99], v[126:127]
	v_fma_f64 v[4:5], v[90:91], v[120:121], -v[4:5]
	s_waitcnt vmcnt(14)
	v_fmac_f64_e32 v[108:109], v[100:101], v[128:129]
	v_add_f64 v[2:3], v[2:3], v[4:5]
	v_mul_f64 v[4:5], v[96:97], v[114:115]
	v_add_f64 v[142:143], v[106:107], v[108:109]
	ds_read_b128 v[106:109], v1 offset:1728
	v_fma_f64 v[4:5], v[94:95], v[116:117], -v[4:5]
	v_add_f64 v[2:3], v[2:3], v[4:5]
	v_mul_f64 v[4:5], v[100:101], v[126:127]
	v_fma_f64 v[4:5], v[98:99], v[128:129], -v[4:5]
	v_add_f64 v[2:3], v[2:3], v[4:5]
	s_waitcnt vmcnt(13) lgkmcnt(1)
	v_mul_f64 v[4:5], v[104:105], v[122:123]
	v_mul_f64 v[144:145], v[102:103], v[122:123]
	s_waitcnt vmcnt(12)
	v_fma_f64 v[4:5], v[102:103], v[124:125], -v[4:5]
	v_fmac_f64_e32 v[144:145], v[104:105], v[124:125]
	v_add_f64 v[2:3], v[2:3], v[4:5]
	s_waitcnt vmcnt(8) lgkmcnt(0)
	v_mul_f64 v[4:5], v[108:109], v[134:135]
	v_add_f64 v[142:143], v[142:143], v[144:145]
	v_mul_f64 v[144:145], v[106:107], v[134:135]
	s_waitcnt vmcnt(6)
	v_fma_f64 v[4:5], v[106:107], v[136:137], -v[4:5]
	v_fmac_f64_e32 v[144:145], v[108:109], v[136:137]
	v_add_f64 v[2:3], v[2:3], v[4:5]
	s_waitcnt vmcnt(5)
	v_mul_f64 v[4:5], v[112:113], v[130:131]
	v_add_f64 v[142:143], v[142:143], v[144:145]
	v_mul_f64 v[144:145], v[110:111], v[130:131]
	s_waitcnt vmcnt(4)
	v_fma_f64 v[4:5], v[110:111], v[132:133], -v[4:5]
	v_fmac_f64_e32 v[144:145], v[112:113], v[132:133]
	v_add_f64 v[2:3], v[2:3], v[4:5]
	v_add_f64 v[142:143], v[142:143], v[144:145]
	s_waitcnt vmcnt(2)
	v_add_f64 v[2:3], v[138:139], -v[2:3]
	s_waitcnt vmcnt(0)
	v_add_f64 v[4:5], v[140:141], -v[142:143]
	buffer_store_dword v3, off, s[0:3], 0 offset:612
	buffer_store_dword v2, off, s[0:3], 0 offset:608
	;; [unrolled: 1-line block ×4, first 2 shown]
	s_and_saveexec_b64 s[4:5], vcc
	s_cbranch_execz .LBB54_271
; %bb.270:
	v_accvgpr_read_b32 v0, a128
	buffer_load_dword v2, v0, s[0:3], 0 offen
	buffer_load_dword v3, v0, s[0:3], 0 offen offset:4
	buffer_load_dword v4, v0, s[0:3], 0 offen offset:8
	;; [unrolled: 1-line block ×3, first 2 shown]
	v_accvgpr_read_b32 v0, a165
	buffer_store_dword v1, off, s[0:3], 0 offset:592
	buffer_store_dword v1, off, s[0:3], 0 offset:596
	;; [unrolled: 1-line block ×4, first 2 shown]
	s_waitcnt vmcnt(4)
	ds_write_b128 v0, v[2:5]
.LBB54_271:
	s_or_b64 exec, exec, s[4:5]
	s_waitcnt lgkmcnt(0)
	; wave barrier
	s_waitcnt lgkmcnt(0)
	buffer_load_dword v2, off, s[0:3], 0 offset:608
	buffer_load_dword v3, off, s[0:3], 0 offset:612
	;; [unrolled: 1-line block ×72, first 2 shown]
	ds_read_b128 v[52:55], v1 offset:1472
	buffer_load_dword v146, off, s[0:3], 0 offset:592
	buffer_load_dword v147, off, s[0:3], 0 offset:596
	;; [unrolled: 1-line block ×4, first 2 shown]
	ds_read_b128 v[56:59], v1 offset:1488
	ds_read_b128 v[60:63], v1 offset:1504
	;; [unrolled: 1-line block ×3, first 2 shown]
	v_cmp_lt_u32_e32 vcc, 35, v254
	ds_read_b128 v[124:127], v1 offset:1744
	s_waitcnt vmcnt(62) lgkmcnt(4)
	v_mul_f64 v[68:69], v[52:53], v[8:9]
	v_fmac_f64_e32 v[68:69], v[54:55], v[2:3]
	v_add_f64 v[68:69], v[68:69], 0
	v_mul_f64 v[8:9], v[54:55], v[8:9]
	s_waitcnt lgkmcnt(3)
	v_mul_f64 v[70:71], v[56:57], v[10:11]
	v_fmac_f64_e32 v[70:71], v[58:59], v[4:5]
	v_add_f64 v[68:69], v[68:69], v[70:71]
	v_fma_f64 v[2:3], v[52:53], v[2:3], -v[8:9]
	s_waitcnt lgkmcnt(2)
	v_mul_f64 v[70:71], v[60:61], v[12:13]
	v_fmac_f64_e32 v[70:71], v[62:63], v[6:7]
	v_add_f64 v[72:73], v[68:69], v[70:71]
	ds_read_b128 v[68:71], v1 offset:1536
	s_waitcnt vmcnt(60) lgkmcnt(2)
	v_mul_f64 v[74:75], v[64:65], v[18:19]
	v_mul_f64 v[8:9], v[58:59], v[10:11]
	s_waitcnt vmcnt(58)
	v_fmac_f64_e32 v[74:75], v[66:67], v[20:21]
	v_add_f64 v[76:77], v[72:73], v[74:75]
	ds_read_b128 v[72:75], v1 offset:1552
	s_waitcnt vmcnt(57) lgkmcnt(1)
	v_mul_f64 v[78:79], v[68:69], v[14:15]
	s_waitcnt vmcnt(56)
	v_fmac_f64_e32 v[78:79], v[70:71], v[16:17]
	v_add_f64 v[80:81], v[76:77], v[78:79]
	ds_read_b128 v[76:79], v1 offset:1568
	s_waitcnt vmcnt(52) lgkmcnt(1)
	;; [unrolled: 6-line block ×4, first 2 shown]
	v_mul_f64 v[90:91], v[80:81], v[34:35]
	s_waitcnt vmcnt(42)
	v_fmac_f64_e32 v[90:91], v[82:83], v[36:37]
	v_add_f64 v[2:3], v[2:3], 0
	v_fma_f64 v[4:5], v[56:57], v[4:5], -v[8:9]
	v_add_f64 v[92:93], v[88:89], v[90:91]
	ds_read_b128 v[88:91], v1 offset:1616
	s_waitcnt vmcnt(41) lgkmcnt(1)
	v_mul_f64 v[94:95], v[84:85], v[30:31]
	v_add_f64 v[2:3], v[2:3], v[4:5]
	v_mul_f64 v[4:5], v[62:63], v[12:13]
	s_waitcnt vmcnt(40)
	v_fmac_f64_e32 v[94:95], v[86:87], v[32:33]
	v_fma_f64 v[4:5], v[60:61], v[6:7], -v[4:5]
	v_add_f64 v[96:97], v[92:93], v[94:95]
	ds_read_b128 v[92:95], v1 offset:1632
	v_add_f64 v[2:3], v[2:3], v[4:5]
	v_mul_f64 v[4:5], v[66:67], v[18:19]
	v_fma_f64 v[4:5], v[64:65], v[20:21], -v[4:5]
	v_add_f64 v[2:3], v[2:3], v[4:5]
	v_mul_f64 v[4:5], v[70:71], v[14:15]
	s_waitcnt vmcnt(36) lgkmcnt(1)
	v_mul_f64 v[98:99], v[88:89], v[42:43]
	v_fma_f64 v[4:5], v[68:69], v[16:17], -v[4:5]
	s_waitcnt vmcnt(34)
	v_fmac_f64_e32 v[98:99], v[90:91], v[44:45]
	v_add_f64 v[2:3], v[2:3], v[4:5]
	v_mul_f64 v[4:5], v[74:75], v[26:27]
	v_add_f64 v[100:101], v[96:97], v[98:99]
	ds_read_b128 v[96:99], v1 offset:1648
	s_waitcnt vmcnt(33) lgkmcnt(1)
	v_mul_f64 v[102:103], v[92:93], v[38:39]
	v_fma_f64 v[4:5], v[72:73], v[28:29], -v[4:5]
	s_waitcnt vmcnt(32)
	v_fmac_f64_e32 v[102:103], v[94:95], v[40:41]
	v_add_f64 v[2:3], v[2:3], v[4:5]
	v_mul_f64 v[4:5], v[78:79], v[22:23]
	v_add_f64 v[104:105], v[100:101], v[102:103]
	ds_read_b128 v[100:103], v1 offset:1664
	v_fma_f64 v[4:5], v[76:77], v[24:25], -v[4:5]
	v_add_f64 v[2:3], v[2:3], v[4:5]
	v_mul_f64 v[4:5], v[82:83], v[34:35]
	v_fma_f64 v[4:5], v[80:81], v[36:37], -v[4:5]
	s_waitcnt vmcnt(28) lgkmcnt(1)
	v_mul_f64 v[106:107], v[96:97], v[50:51]
	v_add_f64 v[2:3], v[2:3], v[4:5]
	v_mul_f64 v[4:5], v[86:87], v[30:31]
	s_waitcnt vmcnt(26)
	v_fmac_f64_e32 v[106:107], v[98:99], v[116:117]
	v_fma_f64 v[4:5], v[84:85], v[32:33], -v[4:5]
	v_add_f64 v[108:109], v[104:105], v[106:107]
	ds_read_b128 v[104:107], v1 offset:1680
	s_waitcnt vmcnt(25) lgkmcnt(1)
	v_mul_f64 v[110:111], v[100:101], v[46:47]
	v_add_f64 v[2:3], v[2:3], v[4:5]
	v_mul_f64 v[4:5], v[90:91], v[42:43]
	s_waitcnt vmcnt(24)
	v_fmac_f64_e32 v[110:111], v[102:103], v[48:49]
	v_fma_f64 v[4:5], v[88:89], v[44:45], -v[4:5]
	v_add_f64 v[112:113], v[108:109], v[110:111]
	ds_read_b128 v[108:111], v1 offset:1696
	v_add_f64 v[2:3], v[2:3], v[4:5]
	v_mul_f64 v[4:5], v[94:95], v[38:39]
	v_fma_f64 v[4:5], v[92:93], v[40:41], -v[4:5]
	v_add_f64 v[2:3], v[2:3], v[4:5]
	v_mul_f64 v[4:5], v[98:99], v[50:51]
	s_waitcnt vmcnt(20) lgkmcnt(1)
	v_mul_f64 v[114:115], v[104:105], v[130:131]
	v_fma_f64 v[4:5], v[96:97], v[116:117], -v[4:5]
	s_waitcnt vmcnt(18)
	v_fmac_f64_e32 v[114:115], v[106:107], v[132:133]
	v_add_f64 v[2:3], v[2:3], v[4:5]
	v_mul_f64 v[4:5], v[102:103], v[46:47]
	v_add_f64 v[120:121], v[112:113], v[114:115]
	ds_read_b128 v[112:115], v1 offset:1712
	s_waitcnt vmcnt(17) lgkmcnt(1)
	v_mul_f64 v[122:123], v[108:109], v[118:119]
	v_fma_f64 v[4:5], v[100:101], v[48:49], -v[4:5]
	s_waitcnt vmcnt(16)
	v_fmac_f64_e32 v[122:123], v[110:111], v[128:129]
	v_add_f64 v[2:3], v[2:3], v[4:5]
	v_mul_f64 v[4:5], v[106:107], v[130:131]
	v_add_f64 v[150:151], v[120:121], v[122:123]
	ds_read_b128 v[120:123], v1 offset:1728
	v_fma_f64 v[4:5], v[104:105], v[132:133], -v[4:5]
	v_add_f64 v[2:3], v[2:3], v[4:5]
	v_mul_f64 v[4:5], v[110:111], v[118:119]
	v_fma_f64 v[4:5], v[108:109], v[128:129], -v[4:5]
	v_add_f64 v[2:3], v[2:3], v[4:5]
	s_waitcnt vmcnt(12) lgkmcnt(1)
	v_mul_f64 v[4:5], v[114:115], v[138:139]
	v_mul_f64 v[152:153], v[112:113], v[138:139]
	s_waitcnt vmcnt(10)
	v_fma_f64 v[4:5], v[112:113], v[140:141], -v[4:5]
	v_fmac_f64_e32 v[152:153], v[114:115], v[140:141]
	v_add_f64 v[2:3], v[2:3], v[4:5]
	s_waitcnt vmcnt(9) lgkmcnt(0)
	v_mul_f64 v[4:5], v[122:123], v[134:135]
	v_add_f64 v[150:151], v[150:151], v[152:153]
	v_mul_f64 v[152:153], v[120:121], v[134:135]
	s_waitcnt vmcnt(8)
	v_fma_f64 v[4:5], v[120:121], v[136:137], -v[4:5]
	v_fmac_f64_e32 v[152:153], v[122:123], v[136:137]
	v_add_f64 v[2:3], v[2:3], v[4:5]
	s_waitcnt vmcnt(6)
	v_mul_f64 v[4:5], v[126:127], v[142:143]
	v_add_f64 v[150:151], v[150:151], v[152:153]
	v_mul_f64 v[152:153], v[124:125], v[142:143]
	s_waitcnt vmcnt(4)
	v_fma_f64 v[4:5], v[124:125], v[144:145], -v[4:5]
	v_fmac_f64_e32 v[152:153], v[126:127], v[144:145]
	v_add_f64 v[2:3], v[2:3], v[4:5]
	v_add_f64 v[150:151], v[150:151], v[152:153]
	s_waitcnt vmcnt(2)
	v_add_f64 v[2:3], v[146:147], -v[2:3]
	s_waitcnt vmcnt(0)
	v_add_f64 v[4:5], v[148:149], -v[150:151]
	buffer_store_dword v3, off, s[0:3], 0 offset:596
	buffer_store_dword v2, off, s[0:3], 0 offset:592
	;; [unrolled: 1-line block ×4, first 2 shown]
	s_and_saveexec_b64 s[4:5], vcc
	s_cbranch_execz .LBB54_273
; %bb.272:
	v_accvgpr_read_b32 v0, a129
	buffer_load_dword v2, v0, s[0:3], 0 offen
	buffer_load_dword v3, v0, s[0:3], 0 offen offset:4
	buffer_load_dword v4, v0, s[0:3], 0 offen offset:8
	;; [unrolled: 1-line block ×3, first 2 shown]
	v_mov_b32_e32 v0, 0
	v_accvgpr_read_b32 v1, a165
	buffer_store_dword v0, off, s[0:3], 0 offset:576
	buffer_store_dword v0, off, s[0:3], 0 offset:580
	buffer_store_dword v0, off, s[0:3], 0 offset:584
	buffer_store_dword v0, off, s[0:3], 0 offset:588
	s_waitcnt vmcnt(4)
	ds_write_b128 v1, v[2:5]
.LBB54_273:
	s_or_b64 exec, exec, s[4:5]
	s_waitcnt lgkmcnt(0)
	; wave barrier
	s_waitcnt lgkmcnt(0)
	buffer_load_dword v2, off, s[0:3], 0 offset:592
	buffer_load_dword v3, off, s[0:3], 0 offset:596
	;; [unrolled: 1-line block ×76, first 2 shown]
	v_mov_b32_e32 v1, 0
	ds_read_b128 v[54:57], v1 offset:1456
	buffer_load_dword v154, off, s[0:3], 0 offset:576
	buffer_load_dword v155, off, s[0:3], 0 offset:580
	;; [unrolled: 1-line block ×4, first 2 shown]
	ds_read_b128 v[58:61], v1 offset:1472
	ds_read_b128 v[62:65], v1 offset:1488
	;; [unrolled: 1-line block ×4, first 2 shown]
	v_cmp_lt_u32_e32 vcc, 34, v254
	s_waitcnt vmcnt(62) lgkmcnt(4)
	v_mul_f64 v[70:71], v[54:55], v[8:9]
	v_fmac_f64_e32 v[70:71], v[56:57], v[2:3]
	v_add_f64 v[70:71], v[70:71], 0
	v_mul_f64 v[8:9], v[56:57], v[8:9]
	s_waitcnt lgkmcnt(3)
	v_mul_f64 v[72:73], v[58:59], v[10:11]
	v_fmac_f64_e32 v[72:73], v[60:61], v[4:5]
	v_add_f64 v[70:71], v[70:71], v[72:73]
	v_fma_f64 v[2:3], v[54:55], v[2:3], -v[8:9]
	s_waitcnt lgkmcnt(2)
	v_mul_f64 v[72:73], v[62:63], v[12:13]
	v_fmac_f64_e32 v[72:73], v[64:65], v[6:7]
	v_add_f64 v[74:75], v[70:71], v[72:73]
	ds_read_b128 v[70:73], v1 offset:1520
	s_waitcnt lgkmcnt(2)
	v_mul_f64 v[76:77], v[66:67], v[18:19]
	v_mul_f64 v[8:9], v[60:61], v[10:11]
	v_fmac_f64_e32 v[76:77], v[68:69], v[20:21]
	v_add_f64 v[78:79], v[74:75], v[76:77]
	ds_read_b128 v[74:77], v1 offset:1536
	s_waitcnt vmcnt(61) lgkmcnt(1)
	v_mul_f64 v[80:81], v[70:71], v[14:15]
	s_waitcnt vmcnt(60)
	v_fmac_f64_e32 v[80:81], v[72:73], v[16:17]
	v_add_f64 v[82:83], v[78:79], v[80:81]
	ds_read_b128 v[78:81], v1 offset:1552
	s_waitcnt vmcnt(56) lgkmcnt(1)
	v_mul_f64 v[84:85], v[74:75], v[26:27]
	s_waitcnt vmcnt(54)
	;; [unrolled: 6-line block ×4, first 2 shown]
	v_fmac_f64_e32 v[92:93], v[84:85], v[36:37]
	v_add_f64 v[94:95], v[90:91], v[92:93]
	ds_read_b128 v[90:93], v1 offset:1600
	v_add_f64 v[2:3], v[2:3], 0
	v_fma_f64 v[4:5], v[58:59], v[4:5], -v[8:9]
	s_waitcnt vmcnt(45) lgkmcnt(1)
	v_mul_f64 v[96:97], v[86:87], v[30:31]
	v_add_f64 v[2:3], v[2:3], v[4:5]
	v_mul_f64 v[4:5], v[64:65], v[12:13]
	s_waitcnt vmcnt(44)
	v_fmac_f64_e32 v[96:97], v[88:89], v[32:33]
	v_fma_f64 v[4:5], v[62:63], v[6:7], -v[4:5]
	v_add_f64 v[98:99], v[94:95], v[96:97]
	ds_read_b128 v[94:97], v1 offset:1616
	s_waitcnt vmcnt(40) lgkmcnt(1)
	v_mul_f64 v[100:101], v[90:91], v[42:43]
	v_add_f64 v[2:3], v[2:3], v[4:5]
	v_mul_f64 v[4:5], v[68:69], v[18:19]
	s_waitcnt vmcnt(38)
	v_fmac_f64_e32 v[100:101], v[92:93], v[44:45]
	v_fma_f64 v[4:5], v[66:67], v[20:21], -v[4:5]
	v_add_f64 v[102:103], v[98:99], v[100:101]
	ds_read_b128 v[98:101], v1 offset:1632
	v_add_f64 v[2:3], v[2:3], v[4:5]
	v_mul_f64 v[4:5], v[72:73], v[14:15]
	v_fma_f64 v[4:5], v[70:71], v[16:17], -v[4:5]
	v_add_f64 v[2:3], v[2:3], v[4:5]
	v_mul_f64 v[4:5], v[76:77], v[26:27]
	s_waitcnt vmcnt(37) lgkmcnt(1)
	v_mul_f64 v[104:105], v[94:95], v[38:39]
	v_fma_f64 v[4:5], v[74:75], v[28:29], -v[4:5]
	s_waitcnt vmcnt(36)
	v_fmac_f64_e32 v[104:105], v[96:97], v[40:41]
	v_add_f64 v[2:3], v[2:3], v[4:5]
	v_mul_f64 v[4:5], v[80:81], v[22:23]
	v_add_f64 v[106:107], v[102:103], v[104:105]
	ds_read_b128 v[102:105], v1 offset:1648
	s_waitcnt vmcnt(32) lgkmcnt(1)
	v_mul_f64 v[108:109], v[98:99], v[50:51]
	v_fma_f64 v[4:5], v[78:79], v[24:25], -v[4:5]
	s_waitcnt vmcnt(30)
	v_fmac_f64_e32 v[108:109], v[100:101], v[52:53]
	v_add_f64 v[2:3], v[2:3], v[4:5]
	v_mul_f64 v[4:5], v[84:85], v[34:35]
	v_add_f64 v[110:111], v[106:107], v[108:109]
	ds_read_b128 v[106:109], v1 offset:1664
	v_fma_f64 v[4:5], v[82:83], v[36:37], -v[4:5]
	v_add_f64 v[2:3], v[2:3], v[4:5]
	v_mul_f64 v[4:5], v[88:89], v[30:31]
	v_fma_f64 v[4:5], v[86:87], v[32:33], -v[4:5]
	s_waitcnt vmcnt(29) lgkmcnt(1)
	v_mul_f64 v[112:113], v[102:103], v[46:47]
	v_add_f64 v[2:3], v[2:3], v[4:5]
	v_mul_f64 v[4:5], v[92:93], v[42:43]
	s_waitcnt vmcnt(28)
	v_fmac_f64_e32 v[112:113], v[104:105], v[48:49]
	v_fma_f64 v[4:5], v[90:91], v[44:45], -v[4:5]
	v_add_f64 v[114:115], v[110:111], v[112:113]
	ds_read_b128 v[110:113], v1 offset:1680
	s_waitcnt vmcnt(24) lgkmcnt(1)
	v_mul_f64 v[116:117], v[106:107], v[134:135]
	v_add_f64 v[2:3], v[2:3], v[4:5]
	v_mul_f64 v[4:5], v[96:97], v[38:39]
	s_waitcnt vmcnt(22)
	v_fmac_f64_e32 v[116:117], v[108:109], v[136:137]
	v_fma_f64 v[4:5], v[94:95], v[40:41], -v[4:5]
	v_add_f64 v[120:121], v[114:115], v[116:117]
	ds_read_b128 v[114:117], v1 offset:1696
	v_add_f64 v[2:3], v[2:3], v[4:5]
	v_mul_f64 v[4:5], v[100:101], v[50:51]
	v_fma_f64 v[4:5], v[98:99], v[52:53], -v[4:5]
	v_add_f64 v[2:3], v[2:3], v[4:5]
	v_mul_f64 v[4:5], v[104:105], v[46:47]
	s_waitcnt vmcnt(21) lgkmcnt(1)
	v_mul_f64 v[122:123], v[110:111], v[118:119]
	v_fma_f64 v[4:5], v[102:103], v[48:49], -v[4:5]
	s_waitcnt vmcnt(20)
	v_fmac_f64_e32 v[122:123], v[112:113], v[132:133]
	v_add_f64 v[2:3], v[2:3], v[4:5]
	v_mul_f64 v[4:5], v[108:109], v[134:135]
	v_add_f64 v[124:125], v[120:121], v[122:123]
	ds_read_b128 v[120:123], v1 offset:1712
	s_waitcnt vmcnt(16) lgkmcnt(1)
	v_mul_f64 v[126:127], v[114:115], v[142:143]
	v_fma_f64 v[4:5], v[106:107], v[136:137], -v[4:5]
	s_waitcnt vmcnt(14)
	v_fmac_f64_e32 v[126:127], v[116:117], v[144:145]
	v_add_f64 v[2:3], v[2:3], v[4:5]
	v_mul_f64 v[4:5], v[112:113], v[118:119]
	v_add_f64 v[158:159], v[124:125], v[126:127]
	ds_read_b128 v[124:127], v1 offset:1728
	v_fma_f64 v[4:5], v[110:111], v[132:133], -v[4:5]
	v_add_f64 v[2:3], v[2:3], v[4:5]
	v_mul_f64 v[4:5], v[116:117], v[142:143]
	v_fma_f64 v[4:5], v[114:115], v[144:145], -v[4:5]
	v_add_f64 v[2:3], v[2:3], v[4:5]
	s_waitcnt vmcnt(13) lgkmcnt(1)
	v_mul_f64 v[4:5], v[122:123], v[138:139]
	v_mul_f64 v[160:161], v[120:121], v[138:139]
	s_waitcnt vmcnt(12)
	v_fma_f64 v[4:5], v[120:121], v[140:141], -v[4:5]
	v_fmac_f64_e32 v[160:161], v[122:123], v[140:141]
	v_add_f64 v[2:3], v[2:3], v[4:5]
	s_waitcnt vmcnt(8) lgkmcnt(0)
	v_mul_f64 v[4:5], v[126:127], v[150:151]
	v_add_f64 v[158:159], v[158:159], v[160:161]
	v_mul_f64 v[160:161], v[124:125], v[150:151]
	s_waitcnt vmcnt(6)
	v_fma_f64 v[4:5], v[124:125], v[152:153], -v[4:5]
	v_fmac_f64_e32 v[160:161], v[126:127], v[152:153]
	v_add_f64 v[2:3], v[2:3], v[4:5]
	s_waitcnt vmcnt(5)
	v_mul_f64 v[4:5], v[130:131], v[146:147]
	v_add_f64 v[158:159], v[158:159], v[160:161]
	v_mul_f64 v[160:161], v[128:129], v[146:147]
	s_waitcnt vmcnt(4)
	v_fma_f64 v[4:5], v[128:129], v[148:149], -v[4:5]
	v_fmac_f64_e32 v[160:161], v[130:131], v[148:149]
	v_add_f64 v[2:3], v[2:3], v[4:5]
	v_add_f64 v[158:159], v[158:159], v[160:161]
	s_waitcnt vmcnt(2)
	v_add_f64 v[2:3], v[154:155], -v[2:3]
	s_waitcnt vmcnt(0)
	v_add_f64 v[4:5], v[156:157], -v[158:159]
	buffer_store_dword v3, off, s[0:3], 0 offset:580
	buffer_store_dword v2, off, s[0:3], 0 offset:576
	;; [unrolled: 1-line block ×4, first 2 shown]
	s_and_saveexec_b64 s[4:5], vcc
	s_cbranch_execz .LBB54_275
; %bb.274:
	v_accvgpr_read_b32 v0, a130
	buffer_load_dword v2, v0, s[0:3], 0 offen
	buffer_load_dword v3, v0, s[0:3], 0 offen offset:4
	buffer_load_dword v4, v0, s[0:3], 0 offen offset:8
	;; [unrolled: 1-line block ×3, first 2 shown]
	v_accvgpr_read_b32 v0, a165
	buffer_store_dword v1, off, s[0:3], 0 offset:560
	buffer_store_dword v1, off, s[0:3], 0 offset:564
	;; [unrolled: 1-line block ×4, first 2 shown]
	s_waitcnt vmcnt(4)
	ds_write_b128 v0, v[2:5]
.LBB54_275:
	s_or_b64 exec, exec, s[4:5]
	s_waitcnt lgkmcnt(0)
	; wave barrier
	s_waitcnt lgkmcnt(0)
	buffer_load_dword v2, off, s[0:3], 0 offset:576
	buffer_load_dword v3, off, s[0:3], 0 offset:580
	;; [unrolled: 1-line block ×76, first 2 shown]
	ds_read_b128 v[54:57], v1 offset:1440
	buffer_load_dword v159, off, s[0:3], 0 offset:892
	buffer_load_dword v158, off, s[0:3], 0 offset:888
	;; [unrolled: 1-line block ×8, first 2 shown]
	ds_read_b128 v[58:61], v1 offset:1456
	ds_read_b128 v[62:65], v1 offset:1472
	;; [unrolled: 1-line block ×3, first 2 shown]
	v_cmp_lt_u32_e32 vcc, 33, v254
	ds_read_b128 v[132:135], v1 offset:1744
	s_waitcnt vmcnt(62) lgkmcnt(4)
	v_mul_f64 v[70:71], v[54:55], v[8:9]
	v_fmac_f64_e32 v[70:71], v[56:57], v[2:3]
	v_add_f64 v[70:71], v[70:71], 0
	v_mul_f64 v[8:9], v[56:57], v[8:9]
	s_waitcnt lgkmcnt(3)
	v_mul_f64 v[72:73], v[58:59], v[10:11]
	v_fmac_f64_e32 v[72:73], v[60:61], v[4:5]
	v_add_f64 v[70:71], v[70:71], v[72:73]
	v_fma_f64 v[2:3], v[54:55], v[2:3], -v[8:9]
	s_waitcnt lgkmcnt(2)
	v_mul_f64 v[72:73], v[62:63], v[12:13]
	v_fmac_f64_e32 v[72:73], v[64:65], v[6:7]
	v_add_f64 v[74:75], v[70:71], v[72:73]
	ds_read_b128 v[70:73], v1 offset:1504
	v_mul_f64 v[8:9], v[60:61], v[10:11]
	v_add_f64 v[2:3], v[2:3], 0
	s_waitcnt lgkmcnt(2)
	v_mul_f64 v[76:77], v[66:67], v[18:19]
	v_fma_f64 v[4:5], v[58:59], v[4:5], -v[8:9]
	v_fmac_f64_e32 v[76:77], v[68:69], v[20:21]
	v_add_f64 v[78:79], v[74:75], v[76:77]
	ds_read_b128 v[74:77], v1 offset:1520
	s_waitcnt lgkmcnt(1)
	v_mul_f64 v[80:81], v[70:71], v[14:15]
	v_fmac_f64_e32 v[80:81], v[72:73], v[16:17]
	v_add_f64 v[82:83], v[78:79], v[80:81]
	ds_read_b128 v[78:81], v1 offset:1536
	s_waitcnt vmcnt(58) lgkmcnt(1)
	v_mul_f64 v[84:85], v[74:75], v[26:27]
	s_waitcnt vmcnt(56)
	v_fmac_f64_e32 v[84:85], v[76:77], v[28:29]
	v_add_f64 v[86:87], v[82:83], v[84:85]
	ds_read_b128 v[82:85], v1 offset:1552
	s_waitcnt lgkmcnt(1)
	v_mul_f64 v[88:89], v[78:79], v[22:23]
	v_fmac_f64_e32 v[88:89], v[80:81], v[24:25]
	v_add_f64 v[90:91], v[86:87], v[88:89]
	ds_read_b128 v[86:89], v1 offset:1568
	s_waitcnt vmcnt(50) lgkmcnt(1)
	v_mul_f64 v[92:93], v[82:83], v[34:35]
	s_waitcnt vmcnt(48)
	v_fmac_f64_e32 v[92:93], v[84:85], v[36:37]
	v_add_f64 v[94:95], v[90:91], v[92:93]
	ds_read_b128 v[90:93], v1 offset:1584
	s_waitcnt lgkmcnt(1)
	v_mul_f64 v[96:97], v[86:87], v[30:31]
	v_fmac_f64_e32 v[96:97], v[88:89], v[32:33]
	v_add_f64 v[98:99], v[94:95], v[96:97]
	ds_read_b128 v[94:97], v1 offset:1600
	v_add_f64 v[2:3], v[2:3], v[4:5]
	v_mul_f64 v[4:5], v[64:65], v[12:13]
	v_fma_f64 v[4:5], v[62:63], v[6:7], -v[4:5]
	s_waitcnt vmcnt(42) lgkmcnt(1)
	v_mul_f64 v[100:101], v[90:91], v[42:43]
	v_add_f64 v[2:3], v[2:3], v[4:5]
	v_mul_f64 v[4:5], v[68:69], v[18:19]
	s_waitcnt vmcnt(40)
	v_fmac_f64_e32 v[100:101], v[92:93], v[44:45]
	v_fma_f64 v[4:5], v[66:67], v[20:21], -v[4:5]
	v_add_f64 v[102:103], v[98:99], v[100:101]
	ds_read_b128 v[98:101], v1 offset:1616
	s_waitcnt lgkmcnt(1)
	v_mul_f64 v[104:105], v[94:95], v[38:39]
	v_add_f64 v[2:3], v[2:3], v[4:5]
	v_mul_f64 v[4:5], v[72:73], v[14:15]
	v_fmac_f64_e32 v[104:105], v[96:97], v[40:41]
	v_fma_f64 v[4:5], v[70:71], v[16:17], -v[4:5]
	v_add_f64 v[106:107], v[102:103], v[104:105]
	ds_read_b128 v[102:105], v1 offset:1632
	v_add_f64 v[2:3], v[2:3], v[4:5]
	v_mul_f64 v[4:5], v[76:77], v[26:27]
	v_fma_f64 v[4:5], v[74:75], v[28:29], -v[4:5]
	v_add_f64 v[2:3], v[2:3], v[4:5]
	v_mul_f64 v[4:5], v[80:81], v[22:23]
	s_waitcnt vmcnt(34) lgkmcnt(1)
	v_mul_f64 v[108:109], v[98:99], v[50:51]
	v_fma_f64 v[4:5], v[78:79], v[24:25], -v[4:5]
	s_waitcnt vmcnt(32)
	v_fmac_f64_e32 v[108:109], v[100:101], v[52:53]
	v_add_f64 v[2:3], v[2:3], v[4:5]
	v_mul_f64 v[4:5], v[84:85], v[34:35]
	v_add_f64 v[110:111], v[106:107], v[108:109]
	ds_read_b128 v[106:109], v1 offset:1648
	s_waitcnt lgkmcnt(1)
	v_mul_f64 v[112:113], v[102:103], v[46:47]
	v_fma_f64 v[4:5], v[82:83], v[36:37], -v[4:5]
	v_fmac_f64_e32 v[112:113], v[104:105], v[48:49]
	v_add_f64 v[2:3], v[2:3], v[4:5]
	v_mul_f64 v[4:5], v[88:89], v[30:31]
	v_add_f64 v[114:115], v[110:111], v[112:113]
	ds_read_b128 v[110:113], v1 offset:1664
	v_fma_f64 v[4:5], v[86:87], v[32:33], -v[4:5]
	v_add_f64 v[2:3], v[2:3], v[4:5]
	v_mul_f64 v[4:5], v[92:93], v[42:43]
	v_fma_f64 v[4:5], v[90:91], v[44:45], -v[4:5]
	s_waitcnt vmcnt(26) lgkmcnt(1)
	v_mul_f64 v[116:117], v[106:107], v[138:139]
	v_add_f64 v[2:3], v[2:3], v[4:5]
	v_mul_f64 v[4:5], v[96:97], v[38:39]
	s_waitcnt vmcnt(24)
	v_fmac_f64_e32 v[116:117], v[108:109], v[140:141]
	v_fma_f64 v[4:5], v[94:95], v[40:41], -v[4:5]
	v_add_f64 v[120:121], v[114:115], v[116:117]
	ds_read_b128 v[114:117], v1 offset:1680
	s_waitcnt lgkmcnt(1)
	v_mul_f64 v[122:123], v[110:111], v[118:119]
	v_add_f64 v[2:3], v[2:3], v[4:5]
	v_mul_f64 v[4:5], v[100:101], v[50:51]
	v_fmac_f64_e32 v[122:123], v[112:113], v[136:137]
	v_fma_f64 v[4:5], v[98:99], v[52:53], -v[4:5]
	v_add_f64 v[124:125], v[120:121], v[122:123]
	ds_read_b128 v[120:123], v1 offset:1696
	v_add_f64 v[2:3], v[2:3], v[4:5]
	v_mul_f64 v[4:5], v[104:105], v[46:47]
	v_fma_f64 v[4:5], v[102:103], v[48:49], -v[4:5]
	v_add_f64 v[2:3], v[2:3], v[4:5]
	v_mul_f64 v[4:5], v[108:109], v[138:139]
	s_waitcnt vmcnt(18) lgkmcnt(1)
	v_mul_f64 v[126:127], v[114:115], v[146:147]
	v_fma_f64 v[4:5], v[106:107], v[140:141], -v[4:5]
	s_waitcnt vmcnt(16)
	v_fmac_f64_e32 v[126:127], v[116:117], v[148:149]
	v_add_f64 v[2:3], v[2:3], v[4:5]
	v_mul_f64 v[4:5], v[112:113], v[118:119]
	v_add_f64 v[128:129], v[124:125], v[126:127]
	ds_read_b128 v[124:127], v1 offset:1712
	s_waitcnt lgkmcnt(1)
	v_mul_f64 v[130:131], v[120:121], v[142:143]
	v_fma_f64 v[4:5], v[110:111], v[136:137], -v[4:5]
	v_fmac_f64_e32 v[130:131], v[122:123], v[144:145]
	v_add_f64 v[2:3], v[2:3], v[4:5]
	v_mul_f64 v[4:5], v[116:117], v[146:147]
	v_add_f64 v[166:167], v[128:129], v[130:131]
	ds_read_b128 v[128:131], v1 offset:1728
	v_fma_f64 v[4:5], v[114:115], v[148:149], -v[4:5]
	v_add_f64 v[2:3], v[2:3], v[4:5]
	v_mul_f64 v[4:5], v[122:123], v[142:143]
	v_fma_f64 v[4:5], v[120:121], v[144:145], -v[4:5]
	v_add_f64 v[2:3], v[2:3], v[4:5]
	s_waitcnt vmcnt(10) lgkmcnt(1)
	v_mul_f64 v[4:5], v[126:127], v[154:155]
	v_mul_f64 v[168:169], v[124:125], v[154:155]
	s_waitcnt vmcnt(8)
	v_fma_f64 v[4:5], v[124:125], v[156:157], -v[4:5]
	v_fmac_f64_e32 v[168:169], v[126:127], v[156:157]
	v_add_f64 v[2:3], v[2:3], v[4:5]
	s_waitcnt lgkmcnt(0)
	v_mul_f64 v[4:5], v[130:131], v[150:151]
	v_add_f64 v[166:167], v[166:167], v[168:169]
	v_mul_f64 v[168:169], v[128:129], v[150:151]
	v_fma_f64 v[4:5], v[128:129], v[152:153], -v[4:5]
	v_fmac_f64_e32 v[168:169], v[130:131], v[152:153]
	v_add_f64 v[2:3], v[2:3], v[4:5]
	s_waitcnt vmcnt(6)
	v_mul_f64 v[4:5], v[134:135], v[158:159]
	v_add_f64 v[166:167], v[166:167], v[168:169]
	v_mul_f64 v[168:169], v[132:133], v[158:159]
	s_waitcnt vmcnt(4)
	v_fma_f64 v[4:5], v[132:133], v[160:161], -v[4:5]
	v_fmac_f64_e32 v[168:169], v[134:135], v[160:161]
	v_add_f64 v[2:3], v[2:3], v[4:5]
	v_add_f64 v[166:167], v[166:167], v[168:169]
	s_waitcnt vmcnt(2)
	v_add_f64 v[2:3], v[162:163], -v[2:3]
	s_waitcnt vmcnt(0)
	v_add_f64 v[4:5], v[164:165], -v[166:167]
	buffer_store_dword v3, off, s[0:3], 0 offset:564
	buffer_store_dword v2, off, s[0:3], 0 offset:560
	;; [unrolled: 1-line block ×4, first 2 shown]
	s_and_saveexec_b64 s[4:5], vcc
	s_cbranch_execz .LBB54_277
; %bb.276:
	v_accvgpr_read_b32 v0, a131
	buffer_load_dword v2, v0, s[0:3], 0 offen
	buffer_load_dword v3, v0, s[0:3], 0 offen offset:4
	buffer_load_dword v4, v0, s[0:3], 0 offen offset:8
	;; [unrolled: 1-line block ×3, first 2 shown]
	v_mov_b32_e32 v0, 0
	v_accvgpr_read_b32 v1, a165
	buffer_store_dword v0, off, s[0:3], 0 offset:544
	buffer_store_dword v0, off, s[0:3], 0 offset:548
	;; [unrolled: 1-line block ×4, first 2 shown]
	s_waitcnt vmcnt(4)
	ds_write_b128 v1, v[2:5]
.LBB54_277:
	s_or_b64 exec, exec, s[4:5]
	s_waitcnt lgkmcnt(0)
	; wave barrier
	s_waitcnt lgkmcnt(0)
	buffer_load_dword v4, off, s[0:3], 0 offset:544
	buffer_load_dword v5, off, s[0:3], 0 offset:548
	;; [unrolled: 1-line block ×84, first 2 shown]
	v_mov_b32_e32 v1, 0
	ds_read_b128 v[66:69], v1 offset:1424
	buffer_load_dword v171, off, s[0:3], 0 offset:892
	buffer_load_dword v170, off, s[0:3], 0 offset:888
	;; [unrolled: 1-line block ×4, first 2 shown]
	ds_read_b128 v[70:73], v1 offset:1440
	ds_read_b128 v[74:77], v1 offset:1456
	;; [unrolled: 1-line block ×4, first 2 shown]
	v_cmp_lt_u32_e32 vcc, 32, v254
	s_waitcnt vmcnt(62) lgkmcnt(4)
	v_mul_f64 v[82:83], v[66:67], v[12:13]
	v_fmac_f64_e32 v[82:83], v[68:69], v[6:7]
	s_waitcnt lgkmcnt(3)
	v_mul_f64 v[84:85], v[70:71], v[14:15]
	v_add_f64 v[82:83], v[82:83], 0
	v_fmac_f64_e32 v[84:85], v[72:73], v[8:9]
	v_add_f64 v[82:83], v[82:83], v[84:85]
	s_waitcnt lgkmcnt(2)
	v_mul_f64 v[84:85], v[74:75], v[16:17]
	v_fmac_f64_e32 v[84:85], v[76:77], v[10:11]
	v_add_f64 v[86:87], v[82:83], v[84:85]
	ds_read_b128 v[82:85], v1 offset:1488
	v_mul_f64 v[12:13], v[68:69], v[12:13]
	s_waitcnt lgkmcnt(2)
	v_mul_f64 v[88:89], v[78:79], v[22:23]
	v_fma_f64 v[6:7], v[66:67], v[6:7], -v[12:13]
	v_fmac_f64_e32 v[88:89], v[80:81], v[24:25]
	v_add_f64 v[90:91], v[86:87], v[88:89]
	ds_read_b128 v[86:89], v1 offset:1504
	s_waitcnt lgkmcnt(1)
	v_mul_f64 v[92:93], v[82:83], v[18:19]
	v_fmac_f64_e32 v[92:93], v[84:85], v[20:21]
	v_add_f64 v[94:95], v[90:91], v[92:93]
	ds_read_b128 v[90:93], v1 offset:1520
	s_waitcnt vmcnt(58) lgkmcnt(1)
	v_mul_f64 v[96:97], v[86:87], v[30:31]
	s_waitcnt vmcnt(56)
	v_fmac_f64_e32 v[96:97], v[88:89], v[32:33]
	v_add_f64 v[98:99], v[94:95], v[96:97]
	ds_read_b128 v[94:97], v1 offset:1536
	s_waitcnt lgkmcnt(1)
	v_mul_f64 v[100:101], v[90:91], v[26:27]
	v_fmac_f64_e32 v[100:101], v[92:93], v[28:29]
	v_add_f64 v[102:103], v[98:99], v[100:101]
	ds_read_b128 v[98:101], v1 offset:1552
	s_waitcnt vmcnt(50) lgkmcnt(1)
	v_mul_f64 v[104:105], v[94:95], v[38:39]
	s_waitcnt vmcnt(48)
	v_fmac_f64_e32 v[104:105], v[96:97], v[40:41]
	v_add_f64 v[106:107], v[102:103], v[104:105]
	ds_read_b128 v[102:105], v1 offset:1568
	s_waitcnt lgkmcnt(1)
	v_mul_f64 v[108:109], v[98:99], v[34:35]
	v_fmac_f64_e32 v[108:109], v[100:101], v[36:37]
	v_mul_f64 v[12:13], v[72:73], v[14:15]
	v_add_f64 v[110:111], v[106:107], v[108:109]
	ds_read_b128 v[106:109], v1 offset:1584
	s_waitcnt vmcnt(42) lgkmcnt(1)
	v_mul_f64 v[112:113], v[102:103], v[46:47]
	v_add_f64 v[6:7], v[6:7], 0
	v_fma_f64 v[8:9], v[70:71], v[8:9], -v[12:13]
	s_waitcnt vmcnt(40)
	v_fmac_f64_e32 v[112:113], v[104:105], v[48:49]
	v_add_f64 v[6:7], v[6:7], v[8:9]
	v_mul_f64 v[8:9], v[76:77], v[16:17]
	v_add_f64 v[114:115], v[110:111], v[112:113]
	ds_read_b128 v[110:113], v1 offset:1600
	v_fma_f64 v[8:9], v[74:75], v[10:11], -v[8:9]
	v_add_f64 v[6:7], v[6:7], v[8:9]
	v_mul_f64 v[8:9], v[80:81], v[22:23]
	v_fma_f64 v[8:9], v[78:79], v[24:25], -v[8:9]
	s_waitcnt lgkmcnt(1)
	v_mul_f64 v[116:117], v[106:107], v[42:43]
	v_add_f64 v[6:7], v[6:7], v[8:9]
	v_mul_f64 v[8:9], v[84:85], v[18:19]
	v_fmac_f64_e32 v[116:117], v[108:109], v[44:45]
	v_fma_f64 v[8:9], v[82:83], v[20:21], -v[8:9]
	v_add_f64 v[120:121], v[114:115], v[116:117]
	ds_read_b128 v[114:117], v1 offset:1616
	s_waitcnt vmcnt(34) lgkmcnt(1)
	v_mul_f64 v[122:123], v[110:111], v[54:55]
	v_add_f64 v[6:7], v[6:7], v[8:9]
	v_mul_f64 v[8:9], v[88:89], v[30:31]
	s_waitcnt vmcnt(32)
	v_fmac_f64_e32 v[122:123], v[112:113], v[56:57]
	v_fma_f64 v[8:9], v[86:87], v[32:33], -v[8:9]
	v_add_f64 v[124:125], v[120:121], v[122:123]
	ds_read_b128 v[120:123], v1 offset:1632
	v_add_f64 v[6:7], v[6:7], v[8:9]
	v_mul_f64 v[8:9], v[92:93], v[26:27]
	v_fma_f64 v[8:9], v[90:91], v[28:29], -v[8:9]
	v_add_f64 v[6:7], v[6:7], v[8:9]
	v_mul_f64 v[8:9], v[96:97], v[38:39]
	s_waitcnt lgkmcnt(1)
	v_mul_f64 v[126:127], v[114:115], v[50:51]
	v_fma_f64 v[8:9], v[94:95], v[40:41], -v[8:9]
	v_fmac_f64_e32 v[126:127], v[116:117], v[52:53]
	v_add_f64 v[6:7], v[6:7], v[8:9]
	v_mul_f64 v[8:9], v[100:101], v[34:35]
	v_add_f64 v[128:129], v[124:125], v[126:127]
	ds_read_b128 v[124:127], v1 offset:1648
	s_waitcnt vmcnt(26) lgkmcnt(1)
	v_mul_f64 v[130:131], v[120:121], v[62:63]
	v_fma_f64 v[8:9], v[98:99], v[36:37], -v[8:9]
	s_waitcnt vmcnt(24)
	v_fmac_f64_e32 v[130:131], v[122:123], v[64:65]
	v_add_f64 v[6:7], v[6:7], v[8:9]
	v_mul_f64 v[8:9], v[104:105], v[46:47]
	v_add_f64 v[132:133], v[128:129], v[130:131]
	ds_read_b128 v[128:131], v1 offset:1664
	v_fma_f64 v[8:9], v[102:103], v[48:49], -v[8:9]
	v_add_f64 v[6:7], v[6:7], v[8:9]
	v_mul_f64 v[8:9], v[108:109], v[42:43]
	v_fma_f64 v[8:9], v[106:107], v[44:45], -v[8:9]
	s_waitcnt lgkmcnt(1)
	v_mul_f64 v[134:135], v[124:125], v[58:59]
	v_add_f64 v[6:7], v[6:7], v[8:9]
	v_mul_f64 v[8:9], v[112:113], v[54:55]
	v_fmac_f64_e32 v[134:135], v[126:127], v[60:61]
	v_fma_f64 v[8:9], v[110:111], v[56:57], -v[8:9]
	v_add_f64 v[136:137], v[132:133], v[134:135]
	ds_read_b128 v[132:135], v1 offset:1680
	s_waitcnt vmcnt(18) lgkmcnt(1)
	v_mul_f64 v[138:139], v[128:129], v[154:155]
	v_add_f64 v[6:7], v[6:7], v[8:9]
	v_mul_f64 v[8:9], v[116:117], v[50:51]
	s_waitcnt vmcnt(16)
	v_fmac_f64_e32 v[138:139], v[130:131], v[156:157]
	v_fma_f64 v[8:9], v[114:115], v[52:53], -v[8:9]
	v_add_f64 v[140:141], v[136:137], v[138:139]
	ds_read_b128 v[136:139], v1 offset:1696
	v_add_f64 v[6:7], v[6:7], v[8:9]
	v_mul_f64 v[8:9], v[122:123], v[62:63]
	v_fma_f64 v[8:9], v[120:121], v[64:65], -v[8:9]
	v_add_f64 v[6:7], v[6:7], v[8:9]
	v_mul_f64 v[8:9], v[126:127], v[58:59]
	s_waitcnt lgkmcnt(1)
	v_mul_f64 v[142:143], v[132:133], v[118:119]
	v_fma_f64 v[8:9], v[124:125], v[60:61], -v[8:9]
	v_fmac_f64_e32 v[142:143], v[134:135], v[152:153]
	v_add_f64 v[6:7], v[6:7], v[8:9]
	v_mul_f64 v[8:9], v[130:131], v[154:155]
	v_add_f64 v[144:145], v[140:141], v[142:143]
	ds_read_b128 v[140:143], v1 offset:1712
	s_waitcnt vmcnt(10) lgkmcnt(1)
	v_mul_f64 v[146:147], v[136:137], v[162:163]
	v_fma_f64 v[8:9], v[128:129], v[156:157], -v[8:9]
	s_waitcnt vmcnt(8)
	v_fmac_f64_e32 v[146:147], v[138:139], v[164:165]
	v_add_f64 v[6:7], v[6:7], v[8:9]
	v_mul_f64 v[8:9], v[134:135], v[118:119]
	v_add_f64 v[174:175], v[144:145], v[146:147]
	ds_read_b128 v[144:147], v1 offset:1728
	v_fma_f64 v[8:9], v[132:133], v[152:153], -v[8:9]
	v_add_f64 v[6:7], v[6:7], v[8:9]
	v_mul_f64 v[8:9], v[138:139], v[162:163]
	v_fma_f64 v[8:9], v[136:137], v[164:165], -v[8:9]
	v_add_f64 v[6:7], v[6:7], v[8:9]
	s_waitcnt lgkmcnt(1)
	v_mul_f64 v[8:9], v[142:143], v[158:159]
	v_mul_f64 v[176:177], v[140:141], v[158:159]
	v_fma_f64 v[8:9], v[140:141], v[160:161], -v[8:9]
	v_fmac_f64_e32 v[176:177], v[142:143], v[160:161]
	v_add_f64 v[6:7], v[6:7], v[8:9]
	s_waitcnt vmcnt(6) lgkmcnt(0)
	v_mul_f64 v[8:9], v[146:147], v[166:167]
	v_add_f64 v[174:175], v[174:175], v[176:177]
	v_mul_f64 v[176:177], v[144:145], v[166:167]
	s_waitcnt vmcnt(4)
	v_fma_f64 v[8:9], v[144:145], v[168:169], -v[8:9]
	v_fmac_f64_e32 v[176:177], v[146:147], v[168:169]
	v_add_f64 v[6:7], v[6:7], v[8:9]
	s_waitcnt vmcnt(2)
	v_mul_f64 v[8:9], v[150:151], v[170:171]
	v_add_f64 v[174:175], v[174:175], v[176:177]
	v_mul_f64 v[176:177], v[148:149], v[170:171]
	s_waitcnt vmcnt(0)
	v_fma_f64 v[8:9], v[148:149], v[172:173], -v[8:9]
	v_fmac_f64_e32 v[176:177], v[150:151], v[172:173]
	v_add_f64 v[6:7], v[6:7], v[8:9]
	v_add_f64 v[174:175], v[174:175], v[176:177]
	v_add_f64 v[4:5], v[4:5], -v[6:7]
	v_add_f64 v[2:3], v[2:3], -v[174:175]
	buffer_store_dword v5, off, s[0:3], 0 offset:548
	buffer_store_dword v4, off, s[0:3], 0 offset:544
	;; [unrolled: 1-line block ×4, first 2 shown]
	s_and_saveexec_b64 s[4:5], vcc
	s_cbranch_execz .LBB54_279
; %bb.278:
	v_accvgpr_read_b32 v0, a132
	buffer_load_dword v2, v0, s[0:3], 0 offen
	buffer_load_dword v3, v0, s[0:3], 0 offen offset:4
	buffer_load_dword v4, v0, s[0:3], 0 offen offset:8
	buffer_load_dword v5, v0, s[0:3], 0 offen offset:12
	v_accvgpr_read_b32 v0, a165
	buffer_store_dword v1, off, s[0:3], 0 offset:528
	buffer_store_dword v1, off, s[0:3], 0 offset:532
	;; [unrolled: 1-line block ×4, first 2 shown]
	s_waitcnt vmcnt(4)
	ds_write_b128 v0, v[2:5]
.LBB54_279:
	s_or_b64 exec, exec, s[4:5]
	s_waitcnt lgkmcnt(0)
	; wave barrier
	s_waitcnt lgkmcnt(0)
	ds_read_b128 v[14:17], v1 offset:1408
	ds_read_b128 v[10:13], v1 offset:1424
	;; [unrolled: 1-line block ×4, first 2 shown]
	buffer_load_dword v20, off, s[0:3], 0 offset:528
	buffer_load_dword v21, off, s[0:3], 0 offset:532
	;; [unrolled: 1-line block ×92, first 2 shown]
	s_waitcnt vmcnt(62) lgkmcnt(3)
	v_mul_f64 v[86:87], v[14:15], v[28:29]
	v_fmac_f64_e32 v[86:87], v[16:17], v[22:23]
	s_waitcnt lgkmcnt(2)
	v_mul_f64 v[88:89], v[10:11], v[30:31]
	v_add_f64 v[86:87], v[86:87], 0
	v_fmac_f64_e32 v[88:89], v[12:13], v[24:25]
	v_add_f64 v[86:87], v[86:87], v[88:89]
	s_waitcnt lgkmcnt(1)
	v_mul_f64 v[88:89], v[6:7], v[32:33]
	v_fmac_f64_e32 v[88:89], v[8:9], v[26:27]
	v_add_f64 v[90:91], v[86:87], v[88:89]
	ds_read_b128 v[86:89], v1 offset:1472
	v_mul_f64 v[16:17], v[16:17], v[28:29]
	v_fma_f64 v[14:15], v[14:15], v[22:23], -v[16:17]
	s_waitcnt lgkmcnt(1)
	v_mul_f64 v[92:93], v[2:3], v[38:39]
	v_mul_f64 v[12:13], v[12:13], v[30:31]
	v_fmac_f64_e32 v[92:93], v[4:5], v[40:41]
	v_add_f64 v[94:95], v[90:91], v[92:93]
	ds_read_b128 v[90:93], v1 offset:1488
	s_waitcnt lgkmcnt(1)
	v_mul_f64 v[96:97], v[86:87], v[34:35]
	v_fmac_f64_e32 v[96:97], v[88:89], v[36:37]
	v_add_f64 v[98:99], v[94:95], v[96:97]
	ds_read_b128 v[94:97], v1 offset:1504
	s_waitcnt lgkmcnt(1)
	v_mul_f64 v[100:101], v[90:91], v[46:47]
	s_waitcnt vmcnt(60)
	v_fmac_f64_e32 v[100:101], v[92:93], v[48:49]
	v_add_f64 v[102:103], v[98:99], v[100:101]
	ds_read_b128 v[98:101], v1 offset:1520
	s_waitcnt lgkmcnt(1)
	v_mul_f64 v[104:105], v[94:95], v[42:43]
	v_fmac_f64_e32 v[104:105], v[96:97], v[44:45]
	v_add_f64 v[106:107], v[102:103], v[104:105]
	ds_read_b128 v[102:105], v1 offset:1536
	s_waitcnt vmcnt(54) lgkmcnt(1)
	v_mul_f64 v[108:109], v[98:99], v[54:55]
	s_waitcnt vmcnt(52)
	v_fmac_f64_e32 v[108:109], v[100:101], v[56:57]
	v_add_f64 v[110:111], v[106:107], v[108:109]
	ds_read_b128 v[106:109], v1 offset:1552
	s_waitcnt lgkmcnt(1)
	v_mul_f64 v[112:113], v[102:103], v[50:51]
	v_fmac_f64_e32 v[112:113], v[104:105], v[52:53]
	v_add_f64 v[114:115], v[110:111], v[112:113]
	ds_read_b128 v[110:113], v1 offset:1568
	s_waitcnt vmcnt(46) lgkmcnt(1)
	v_mul_f64 v[116:117], v[106:107], v[62:63]
	s_waitcnt vmcnt(44)
	v_fmac_f64_e32 v[116:117], v[108:109], v[64:65]
	v_add_f64 v[120:121], v[114:115], v[116:117]
	ds_read_b128 v[114:117], v1 offset:1584
	s_waitcnt lgkmcnt(1)
	v_mul_f64 v[122:123], v[110:111], v[58:59]
	v_fmac_f64_e32 v[122:123], v[112:113], v[60:61]
	v_add_f64 v[14:15], v[14:15], 0
	v_fma_f64 v[10:11], v[10:11], v[24:25], -v[12:13]
	v_mul_f64 v[8:9], v[8:9], v[32:33]
	v_add_f64 v[124:125], v[120:121], v[122:123]
	ds_read_b128 v[120:123], v1 offset:1600
	v_add_f64 v[10:11], v[14:15], v[10:11]
	v_fma_f64 v[6:7], v[6:7], v[26:27], -v[8:9]
	v_mul_f64 v[4:5], v[4:5], v[38:39]
	v_add_f64 v[6:7], v[10:11], v[6:7]
	v_fma_f64 v[2:3], v[2:3], v[40:41], -v[4:5]
	v_mul_f64 v[4:5], v[88:89], v[34:35]
	v_add_f64 v[2:3], v[6:7], v[2:3]
	v_fma_f64 v[4:5], v[86:87], v[36:37], -v[4:5]
	s_waitcnt vmcnt(38) lgkmcnt(1)
	v_mul_f64 v[126:127], v[114:115], v[70:71]
	v_add_f64 v[2:3], v[2:3], v[4:5]
	v_mul_f64 v[4:5], v[92:93], v[46:47]
	s_waitcnt vmcnt(36)
	v_fmac_f64_e32 v[126:127], v[116:117], v[72:73]
	v_fma_f64 v[4:5], v[90:91], v[48:49], -v[4:5]
	v_add_f64 v[128:129], v[124:125], v[126:127]
	ds_read_b128 v[124:127], v1 offset:1616
	s_waitcnt lgkmcnt(1)
	v_mul_f64 v[130:131], v[120:121], v[66:67]
	v_add_f64 v[2:3], v[2:3], v[4:5]
	v_mul_f64 v[4:5], v[96:97], v[42:43]
	v_fmac_f64_e32 v[130:131], v[122:123], v[68:69]
	v_fma_f64 v[4:5], v[94:95], v[44:45], -v[4:5]
	v_add_f64 v[132:133], v[128:129], v[130:131]
	ds_read_b128 v[128:131], v1 offset:1632
	v_add_f64 v[2:3], v[2:3], v[4:5]
	v_mul_f64 v[4:5], v[100:101], v[54:55]
	v_fma_f64 v[4:5], v[98:99], v[56:57], -v[4:5]
	v_add_f64 v[2:3], v[2:3], v[4:5]
	v_mul_f64 v[4:5], v[104:105], v[50:51]
	s_waitcnt vmcnt(30) lgkmcnt(1)
	v_mul_f64 v[134:135], v[124:125], v[78:79]
	v_fma_f64 v[4:5], v[102:103], v[52:53], -v[4:5]
	s_waitcnt vmcnt(28)
	v_fmac_f64_e32 v[134:135], v[126:127], v[80:81]
	v_add_f64 v[2:3], v[2:3], v[4:5]
	v_mul_f64 v[4:5], v[108:109], v[62:63]
	v_add_f64 v[136:137], v[132:133], v[134:135]
	ds_read_b128 v[132:135], v1 offset:1648
	s_waitcnt lgkmcnt(1)
	v_mul_f64 v[138:139], v[128:129], v[74:75]
	v_fma_f64 v[4:5], v[106:107], v[64:65], -v[4:5]
	v_fmac_f64_e32 v[138:139], v[130:131], v[76:77]
	v_add_f64 v[2:3], v[2:3], v[4:5]
	v_mul_f64 v[4:5], v[112:113], v[58:59]
	v_add_f64 v[140:141], v[136:137], v[138:139]
	ds_read_b128 v[136:139], v1 offset:1664
	v_fma_f64 v[4:5], v[110:111], v[60:61], -v[4:5]
	v_add_f64 v[2:3], v[2:3], v[4:5]
	v_mul_f64 v[4:5], v[116:117], v[70:71]
	v_fma_f64 v[4:5], v[114:115], v[72:73], -v[4:5]
	s_waitcnt vmcnt(22) lgkmcnt(1)
	v_mul_f64 v[142:143], v[132:133], v[118:119]
	v_add_f64 v[2:3], v[2:3], v[4:5]
	v_mul_f64 v[4:5], v[122:123], v[66:67]
	s_waitcnt vmcnt(20)
	v_fmac_f64_e32 v[142:143], v[134:135], v[160:161]
	v_fma_f64 v[4:5], v[120:121], v[68:69], -v[4:5]
	v_add_f64 v[144:145], v[140:141], v[142:143]
	ds_read_b128 v[140:143], v1 offset:1680
	s_waitcnt lgkmcnt(1)
	v_mul_f64 v[146:147], v[136:137], v[82:83]
	v_add_f64 v[2:3], v[2:3], v[4:5]
	v_mul_f64 v[4:5], v[126:127], v[78:79]
	v_fmac_f64_e32 v[146:147], v[138:139], v[84:85]
	v_fma_f64 v[4:5], v[124:125], v[80:81], -v[4:5]
	v_add_f64 v[148:149], v[144:145], v[146:147]
	ds_read_b128 v[144:147], v1 offset:1696
	v_add_f64 v[2:3], v[2:3], v[4:5]
	v_mul_f64 v[4:5], v[130:131], v[74:75]
	v_fma_f64 v[4:5], v[128:129], v[76:77], -v[4:5]
	v_add_f64 v[2:3], v[2:3], v[4:5]
	v_mul_f64 v[4:5], v[134:135], v[118:119]
	s_waitcnt vmcnt(14) lgkmcnt(1)
	v_mul_f64 v[150:151], v[140:141], v[166:167]
	v_fma_f64 v[4:5], v[132:133], v[160:161], -v[4:5]
	s_waitcnt vmcnt(12)
	v_fmac_f64_e32 v[150:151], v[142:143], v[168:169]
	v_add_f64 v[2:3], v[2:3], v[4:5]
	v_mul_f64 v[4:5], v[138:139], v[82:83]
	v_add_f64 v[152:153], v[148:149], v[150:151]
	ds_read_b128 v[148:151], v1 offset:1712
	s_waitcnt lgkmcnt(1)
	v_mul_f64 v[154:155], v[144:145], v[162:163]
	v_fma_f64 v[4:5], v[136:137], v[84:85], -v[4:5]
	v_fmac_f64_e32 v[154:155], v[146:147], v[164:165]
	v_add_f64 v[2:3], v[2:3], v[4:5]
	v_mul_f64 v[4:5], v[142:143], v[166:167]
	v_add_f64 v[182:183], v[152:153], v[154:155]
	ds_read_b128 v[152:155], v1 offset:1728
	ds_read_b128 v[156:159], v1 offset:1744
	v_fma_f64 v[4:5], v[140:141], v[168:169], -v[4:5]
	v_add_f64 v[2:3], v[2:3], v[4:5]
	v_mul_f64 v[4:5], v[146:147], v[162:163]
	v_fma_f64 v[4:5], v[144:145], v[164:165], -v[4:5]
	v_add_f64 v[2:3], v[2:3], v[4:5]
	s_waitcnt vmcnt(6) lgkmcnt(2)
	v_mul_f64 v[4:5], v[150:151], v[174:175]
	v_mul_f64 v[184:185], v[148:149], v[174:175]
	s_waitcnt vmcnt(4)
	v_fma_f64 v[4:5], v[148:149], v[176:177], -v[4:5]
	v_fmac_f64_e32 v[184:185], v[150:151], v[176:177]
	v_add_f64 v[2:3], v[2:3], v[4:5]
	s_waitcnt lgkmcnt(1)
	v_mul_f64 v[4:5], v[154:155], v[170:171]
	v_add_f64 v[182:183], v[182:183], v[184:185]
	v_mul_f64 v[184:185], v[152:153], v[170:171]
	v_fma_f64 v[4:5], v[152:153], v[172:173], -v[4:5]
	v_fmac_f64_e32 v[184:185], v[154:155], v[172:173]
	v_add_f64 v[2:3], v[2:3], v[4:5]
	s_waitcnt vmcnt(2) lgkmcnt(0)
	v_mul_f64 v[4:5], v[158:159], v[178:179]
	v_add_f64 v[182:183], v[182:183], v[184:185]
	v_mul_f64 v[184:185], v[156:157], v[178:179]
	s_waitcnt vmcnt(0)
	v_fma_f64 v[4:5], v[156:157], v[180:181], -v[4:5]
	v_fmac_f64_e32 v[184:185], v[158:159], v[180:181]
	v_add_f64 v[2:3], v[2:3], v[4:5]
	v_add_f64 v[182:183], v[182:183], v[184:185]
	v_add_f64 v[2:3], v[20:21], -v[2:3]
	v_cmp_lt_u32_e32 vcc, 31, v254
	v_add_f64 v[4:5], v[18:19], -v[182:183]
	buffer_store_dword v3, off, s[0:3], 0 offset:532
	buffer_store_dword v2, off, s[0:3], 0 offset:528
	;; [unrolled: 1-line block ×4, first 2 shown]
	s_and_saveexec_b64 s[4:5], vcc
	s_cbranch_execz .LBB54_281
; %bb.280:
	v_accvgpr_read_b32 v0, a133
	buffer_load_dword v2, v0, s[0:3], 0 offen
	buffer_load_dword v3, v0, s[0:3], 0 offen offset:4
	buffer_load_dword v4, v0, s[0:3], 0 offen offset:8
	;; [unrolled: 1-line block ×3, first 2 shown]
	v_mov_b32_e32 v0, 0
	v_accvgpr_read_b32 v1, a165
	buffer_store_dword v0, off, s[0:3], 0 offset:512
	buffer_store_dword v0, off, s[0:3], 0 offset:516
	;; [unrolled: 1-line block ×4, first 2 shown]
	s_waitcnt vmcnt(4)
	ds_write_b128 v1, v[2:5]
.LBB54_281:
	s_or_b64 exec, exec, s[4:5]
	s_waitcnt lgkmcnt(0)
	; wave barrier
	s_waitcnt lgkmcnt(0)
	buffer_load_dword v9, off, s[0:3], 0 offset:540
	buffer_load_dword v6, off, s[0:3], 0 offset:552
	;; [unrolled: 1-line block ×64, first 2 shown]
	v_mov_b32_e32 v1, 0
	ds_read_b128 v[74:77], v1 offset:1392
	ds_read_b128 v[78:81], v1 offset:1408
	buffer_load_dword v67, off, s[0:3], 0 offset:796
	buffer_load_dword v66, off, s[0:3], 0 offset:792
	;; [unrolled: 1-line block ×8, first 2 shown]
	ds_read_b128 v[82:85], v1 offset:1424
	ds_read_b128 v[86:89], v1 offset:1440
	buffer_load_dword v119, off, s[0:3], 0 offset:828
	buffer_load_dword v118, off, s[0:3], 0 offset:824
	;; [unrolled: 1-line block ×24, first 2 shown]
	ds_read_b128 v[164:167], v1 offset:1744
	v_cmp_lt_u32_e32 vcc, 30, v254
	s_waitcnt vmcnt(62) lgkmcnt(1)
	v_mul_f64 v[96:97], v[86:87], v[22:23]
	v_fmac_f64_e32 v[96:97], v[88:89], v[24:25]
	v_mul_f64 v[92:93], v[78:79], v[6:7]
	v_mul_f64 v[90:91], v[74:75], v[8:9]
	;; [unrolled: 1-line block ×3, first 2 shown]
	v_fmac_f64_e32 v[90:91], v[76:77], v[10:11]
	v_add_f64 v[90:91], v[90:91], 0
	v_fma_f64 v[8:9], v[74:75], v[10:11], -v[8:9]
	v_mul_f64 v[6:7], v[80:81], v[6:7]
	v_add_f64 v[8:9], v[8:9], 0
	v_fmac_f64_e32 v[92:93], v[80:81], v[14:15]
	v_add_f64 v[90:91], v[90:91], v[92:93]
	v_mul_f64 v[92:93], v[82:83], v[16:17]
	v_fmac_f64_e32 v[92:93], v[84:85], v[12:13]
	v_add_f64 v[94:95], v[90:91], v[92:93]
	ds_read_b128 v[90:93], v1 offset:1456
	v_add_f64 v[98:99], v[94:95], v[96:97]
	ds_read_b128 v[94:97], v1 offset:1472
	v_fma_f64 v[6:7], v[78:79], v[14:15], -v[6:7]
	v_add_f64 v[6:7], v[8:9], v[6:7]
	s_waitcnt lgkmcnt(1)
	v_mul_f64 v[100:101], v[90:91], v[18:19]
	v_fmac_f64_e32 v[100:101], v[92:93], v[20:21]
	v_add_f64 v[102:103], v[98:99], v[100:101]
	ds_read_b128 v[98:101], v1 offset:1488
	s_waitcnt lgkmcnt(1)
	v_mul_f64 v[104:105], v[94:95], v[30:31]
	v_fmac_f64_e32 v[104:105], v[96:97], v[32:33]
	v_add_f64 v[106:107], v[102:103], v[104:105]
	ds_read_b128 v[102:105], v1 offset:1504
	;; [unrolled: 5-line block ×3, first 2 shown]
	s_waitcnt vmcnt(58) lgkmcnt(1)
	v_mul_f64 v[112:113], v[102:103], v[38:39]
	s_waitcnt vmcnt(56)
	v_fmac_f64_e32 v[112:113], v[104:105], v[40:41]
	v_add_f64 v[114:115], v[110:111], v[112:113]
	ds_read_b128 v[110:113], v1 offset:1536
	s_waitcnt lgkmcnt(1)
	v_mul_f64 v[116:117], v[106:107], v[34:35]
	v_fmac_f64_e32 v[116:117], v[108:109], v[36:37]
	v_add_f64 v[120:121], v[114:115], v[116:117]
	ds_read_b128 v[114:117], v1 offset:1552
	s_waitcnt vmcnt(50) lgkmcnt(1)
	v_mul_f64 v[122:123], v[110:111], v[46:47]
	s_waitcnt vmcnt(48)
	v_fmac_f64_e32 v[122:123], v[112:113], v[48:49]
	v_add_f64 v[124:125], v[120:121], v[122:123]
	ds_read_b128 v[120:123], v1 offset:1568
	v_mul_f64 v[8:9], v[84:85], v[16:17]
	s_waitcnt lgkmcnt(1)
	v_mul_f64 v[126:127], v[114:115], v[42:43]
	v_fma_f64 v[8:9], v[82:83], v[12:13], -v[8:9]
	v_fmac_f64_e32 v[126:127], v[116:117], v[44:45]
	v_add_f64 v[6:7], v[6:7], v[8:9]
	v_mul_f64 v[8:9], v[88:89], v[22:23]
	v_add_f64 v[128:129], v[124:125], v[126:127]
	ds_read_b128 v[124:127], v1 offset:1584
	s_waitcnt vmcnt(42) lgkmcnt(1)
	v_mul_f64 v[130:131], v[120:121], v[54:55]
	v_fma_f64 v[8:9], v[86:87], v[24:25], -v[8:9]
	s_waitcnt vmcnt(40)
	v_fmac_f64_e32 v[130:131], v[122:123], v[56:57]
	v_add_f64 v[6:7], v[6:7], v[8:9]
	v_mul_f64 v[8:9], v[92:93], v[18:19]
	v_add_f64 v[132:133], v[128:129], v[130:131]
	ds_read_b128 v[128:131], v1 offset:1600
	v_fma_f64 v[8:9], v[90:91], v[20:21], -v[8:9]
	v_add_f64 v[6:7], v[6:7], v[8:9]
	v_mul_f64 v[8:9], v[96:97], v[30:31]
	v_fma_f64 v[8:9], v[94:95], v[32:33], -v[8:9]
	s_waitcnt lgkmcnt(1)
	v_mul_f64 v[134:135], v[124:125], v[50:51]
	v_add_f64 v[6:7], v[6:7], v[8:9]
	v_mul_f64 v[8:9], v[100:101], v[26:27]
	v_fmac_f64_e32 v[134:135], v[126:127], v[52:53]
	v_fma_f64 v[8:9], v[98:99], v[28:29], -v[8:9]
	v_add_f64 v[136:137], v[132:133], v[134:135]
	ds_read_b128 v[132:135], v1 offset:1616
	s_waitcnt vmcnt(34) lgkmcnt(1)
	v_mul_f64 v[138:139], v[128:129], v[62:63]
	v_add_f64 v[6:7], v[6:7], v[8:9]
	v_mul_f64 v[8:9], v[104:105], v[38:39]
	s_waitcnt vmcnt(32)
	v_fmac_f64_e32 v[138:139], v[130:131], v[64:65]
	v_fma_f64 v[8:9], v[102:103], v[40:41], -v[8:9]
	v_add_f64 v[140:141], v[136:137], v[138:139]
	ds_read_b128 v[136:139], v1 offset:1632
	v_add_f64 v[6:7], v[6:7], v[8:9]
	v_mul_f64 v[8:9], v[108:109], v[34:35]
	v_fma_f64 v[8:9], v[106:107], v[36:37], -v[8:9]
	v_add_f64 v[6:7], v[6:7], v[8:9]
	v_mul_f64 v[8:9], v[112:113], v[46:47]
	s_waitcnt lgkmcnt(1)
	v_mul_f64 v[142:143], v[132:133], v[58:59]
	v_fma_f64 v[8:9], v[110:111], v[48:49], -v[8:9]
	v_fmac_f64_e32 v[142:143], v[134:135], v[60:61]
	v_add_f64 v[6:7], v[6:7], v[8:9]
	v_mul_f64 v[8:9], v[116:117], v[42:43]
	v_add_f64 v[144:145], v[140:141], v[142:143]
	ds_read_b128 v[140:143], v1 offset:1648
	s_waitcnt vmcnt(26) lgkmcnt(1)
	v_mul_f64 v[146:147], v[136:137], v[70:71]
	v_fma_f64 v[8:9], v[114:115], v[44:45], -v[8:9]
	s_waitcnt vmcnt(24)
	v_fmac_f64_e32 v[146:147], v[138:139], v[72:73]
	v_add_f64 v[6:7], v[6:7], v[8:9]
	v_mul_f64 v[8:9], v[122:123], v[54:55]
	v_add_f64 v[148:149], v[144:145], v[146:147]
	ds_read_b128 v[144:147], v1 offset:1664
	v_fma_f64 v[8:9], v[120:121], v[56:57], -v[8:9]
	v_add_f64 v[6:7], v[6:7], v[8:9]
	v_mul_f64 v[8:9], v[126:127], v[50:51]
	v_fma_f64 v[8:9], v[124:125], v[52:53], -v[8:9]
	s_waitcnt lgkmcnt(1)
	v_mul_f64 v[150:151], v[140:141], v[66:67]
	v_add_f64 v[6:7], v[6:7], v[8:9]
	v_mul_f64 v[8:9], v[130:131], v[62:63]
	v_fmac_f64_e32 v[150:151], v[142:143], v[68:69]
	v_fma_f64 v[8:9], v[128:129], v[64:65], -v[8:9]
	v_add_f64 v[152:153], v[148:149], v[150:151]
	ds_read_b128 v[148:151], v1 offset:1680
	s_waitcnt vmcnt(18) lgkmcnt(1)
	v_mul_f64 v[154:155], v[144:145], v[170:171]
	v_add_f64 v[6:7], v[6:7], v[8:9]
	v_mul_f64 v[8:9], v[134:135], v[58:59]
	s_waitcnt vmcnt(16)
	v_fmac_f64_e32 v[154:155], v[146:147], v[172:173]
	v_fma_f64 v[8:9], v[132:133], v[60:61], -v[8:9]
	v_add_f64 v[156:157], v[152:153], v[154:155]
	ds_read_b128 v[152:155], v1 offset:1696
	v_add_f64 v[6:7], v[6:7], v[8:9]
	v_mul_f64 v[8:9], v[138:139], v[70:71]
	v_fma_f64 v[8:9], v[136:137], v[72:73], -v[8:9]
	v_add_f64 v[6:7], v[6:7], v[8:9]
	v_mul_f64 v[8:9], v[142:143], v[66:67]
	s_waitcnt lgkmcnt(1)
	v_mul_f64 v[158:159], v[148:149], v[118:119]
	v_fma_f64 v[8:9], v[140:141], v[68:69], -v[8:9]
	v_fmac_f64_e32 v[158:159], v[150:151], v[168:169]
	v_add_f64 v[6:7], v[6:7], v[8:9]
	v_mul_f64 v[8:9], v[146:147], v[170:171]
	v_add_f64 v[160:161], v[156:157], v[158:159]
	ds_read_b128 v[156:159], v1 offset:1712
	s_waitcnt vmcnt(10) lgkmcnt(1)
	v_mul_f64 v[162:163], v[152:153], v[178:179]
	v_fma_f64 v[8:9], v[144:145], v[172:173], -v[8:9]
	s_waitcnt vmcnt(8)
	v_fmac_f64_e32 v[162:163], v[154:155], v[180:181]
	v_add_f64 v[6:7], v[6:7], v[8:9]
	v_mul_f64 v[8:9], v[150:151], v[118:119]
	v_add_f64 v[190:191], v[160:161], v[162:163]
	ds_read_b128 v[160:163], v1 offset:1728
	v_fma_f64 v[8:9], v[148:149], v[168:169], -v[8:9]
	v_add_f64 v[6:7], v[6:7], v[8:9]
	v_mul_f64 v[8:9], v[154:155], v[178:179]
	v_fma_f64 v[8:9], v[152:153], v[180:181], -v[8:9]
	v_add_f64 v[6:7], v[6:7], v[8:9]
	s_waitcnt lgkmcnt(1)
	v_mul_f64 v[8:9], v[158:159], v[174:175]
	v_mul_f64 v[192:193], v[156:157], v[174:175]
	v_fma_f64 v[8:9], v[156:157], v[176:177], -v[8:9]
	v_fmac_f64_e32 v[192:193], v[158:159], v[176:177]
	v_add_f64 v[6:7], v[6:7], v[8:9]
	s_waitcnt vmcnt(2) lgkmcnt(0)
	v_mul_f64 v[8:9], v[162:163], v[186:187]
	v_add_f64 v[190:191], v[190:191], v[192:193]
	v_mul_f64 v[192:193], v[160:161], v[186:187]
	s_waitcnt vmcnt(0)
	v_fma_f64 v[8:9], v[160:161], v[188:189], -v[8:9]
	v_fmac_f64_e32 v[192:193], v[162:163], v[188:189]
	v_add_f64 v[6:7], v[6:7], v[8:9]
	v_mul_f64 v[8:9], v[166:167], v[182:183]
	v_add_f64 v[190:191], v[190:191], v[192:193]
	v_mul_f64 v[192:193], v[164:165], v[182:183]
	v_fma_f64 v[8:9], v[164:165], v[184:185], -v[8:9]
	v_fmac_f64_e32 v[192:193], v[166:167], v[184:185]
	v_add_f64 v[6:7], v[6:7], v[8:9]
	v_add_f64 v[190:191], v[190:191], v[192:193]
	v_add_f64 v[4:5], v[4:5], -v[6:7]
	v_add_f64 v[2:3], v[2:3], -v[190:191]
	buffer_store_dword v5, off, s[0:3], 0 offset:516
	buffer_store_dword v4, off, s[0:3], 0 offset:512
	;; [unrolled: 1-line block ×4, first 2 shown]
	s_and_saveexec_b64 s[4:5], vcc
	s_cbranch_execz .LBB54_283
; %bb.282:
	v_accvgpr_read_b32 v0, a134
	buffer_load_dword v2, v0, s[0:3], 0 offen
	buffer_load_dword v3, v0, s[0:3], 0 offen offset:4
	buffer_load_dword v4, v0, s[0:3], 0 offen offset:8
	;; [unrolled: 1-line block ×3, first 2 shown]
	v_accvgpr_read_b32 v0, a165
	buffer_store_dword v1, off, s[0:3], 0 offset:496
	buffer_store_dword v1, off, s[0:3], 0 offset:500
	;; [unrolled: 1-line block ×4, first 2 shown]
	s_waitcnt vmcnt(4)
	ds_write_b128 v0, v[2:5]
.LBB54_283:
	s_or_b64 exec, exec, s[4:5]
	s_waitcnt lgkmcnt(0)
	; wave barrier
	s_waitcnt lgkmcnt(0)
	buffer_load_dword v22, off, s[0:3], 0 offset:512
	buffer_load_dword v23, off, s[0:3], 0 offset:516
	;; [unrolled: 1-line block ×16, first 2 shown]
	ds_read_b128 v[2:5], v1 offset:1376
	ds_read_b128 v[6:9], v1 offset:1392
	;; [unrolled: 1-line block ×4, first 2 shown]
	buffer_load_dword v35, off, s[0:3], 0 offset:588
	buffer_load_dword v34, off, s[0:3], 0 offset:584
	;; [unrolled: 1-line block ×48, first 2 shown]
	v_cmp_lt_u32_e32 vcc, 29, v254
	s_waitcnt vmcnt(42) lgkmcnt(0)
	v_mul_f64 v[104:105], v[14:15], v[38:39]
	s_waitcnt vmcnt(40)
	v_fmac_f64_e32 v[104:105], v[16:17], v[40:41]
	v_mul_f64 v[82:83], v[2:3], v[24:25]
	v_fmac_f64_e32 v[82:83], v[4:5], v[22:23]
	v_add_f64 v[82:83], v[82:83], 0
	v_mul_f64 v[4:5], v[4:5], v[24:25]
	v_mul_f64 v[84:85], v[6:7], v[32:33]
	v_fma_f64 v[2:3], v[2:3], v[22:23], -v[4:5]
	v_mul_f64 v[98:99], v[10:11], v[26:27]
	v_fmac_f64_e32 v[98:99], v[12:13], v[30:31]
	v_fmac_f64_e32 v[84:85], v[8:9], v[28:29]
	v_add_f64 v[100:101], v[82:83], v[84:85]
	buffer_load_dword v83, off, s[0:3], 0 offset:780
	buffer_load_dword v82, off, s[0:3], 0 offset:776
	;; [unrolled: 1-line block ×32, first 2 shown]
	v_add_f64 v[102:103], v[100:101], v[98:99]
	ds_read_b128 v[98:101], v1 offset:1440
	buffer_load_dword v195, off, s[0:3], 0 offset:892
	buffer_load_dword v194, off, s[0:3], 0 offset:888
	;; [unrolled: 1-line block ×4, first 2 shown]
	v_add_f64 v[106:107], v[102:103], v[104:105]
	ds_read_b128 v[102:105], v1 offset:1456
	v_mul_f64 v[4:5], v[8:9], v[32:33]
	s_waitcnt lgkmcnt(1)
	v_mul_f64 v[108:109], v[98:99], v[34:35]
	v_fmac_f64_e32 v[108:109], v[100:101], v[36:37]
	v_add_f64 v[110:111], v[106:107], v[108:109]
	ds_read_b128 v[106:109], v1 offset:1472
	s_waitcnt vmcnt(62) lgkmcnt(1)
	v_mul_f64 v[112:113], v[102:103], v[46:47]
	v_fmac_f64_e32 v[112:113], v[104:105], v[48:49]
	v_add_f64 v[114:115], v[110:111], v[112:113]
	ds_read_b128 v[110:113], v1 offset:1488
	s_waitcnt lgkmcnt(1)
	v_mul_f64 v[116:117], v[106:107], v[42:43]
	v_fmac_f64_e32 v[116:117], v[108:109], v[44:45]
	v_add_f64 v[120:121], v[114:115], v[116:117]
	ds_read_b128 v[114:117], v1 offset:1504
	s_waitcnt lgkmcnt(1)
	v_mul_f64 v[122:123], v[110:111], v[54:55]
	s_waitcnt vmcnt(60)
	v_fmac_f64_e32 v[122:123], v[112:113], v[56:57]
	v_add_f64 v[124:125], v[120:121], v[122:123]
	ds_read_b128 v[120:123], v1 offset:1520
	s_waitcnt lgkmcnt(1)
	v_mul_f64 v[126:127], v[114:115], v[50:51]
	v_fmac_f64_e32 v[126:127], v[116:117], v[52:53]
	v_add_f64 v[128:129], v[124:125], v[126:127]
	ds_read_b128 v[124:127], v1 offset:1536
	s_waitcnt vmcnt(54) lgkmcnt(1)
	v_mul_f64 v[130:131], v[120:121], v[62:63]
	s_waitcnt vmcnt(52)
	v_fmac_f64_e32 v[130:131], v[122:123], v[64:65]
	v_add_f64 v[132:133], v[128:129], v[130:131]
	ds_read_b128 v[128:131], v1 offset:1552
	s_waitcnt lgkmcnt(1)
	v_mul_f64 v[134:135], v[124:125], v[58:59]
	v_fmac_f64_e32 v[134:135], v[126:127], v[60:61]
	v_add_f64 v[2:3], v[2:3], 0
	v_fma_f64 v[4:5], v[6:7], v[28:29], -v[4:5]
	v_add_f64 v[136:137], v[132:133], v[134:135]
	ds_read_b128 v[132:135], v1 offset:1568
	v_add_f64 v[2:3], v[2:3], v[4:5]
	v_mul_f64 v[4:5], v[12:13], v[26:27]
	v_fma_f64 v[4:5], v[10:11], v[30:31], -v[4:5]
	v_add_f64 v[2:3], v[2:3], v[4:5]
	v_mul_f64 v[4:5], v[16:17], v[38:39]
	s_waitcnt vmcnt(46) lgkmcnt(1)
	v_mul_f64 v[138:139], v[128:129], v[70:71]
	v_fma_f64 v[4:5], v[14:15], v[40:41], -v[4:5]
	s_waitcnt vmcnt(44)
	v_fmac_f64_e32 v[138:139], v[130:131], v[72:73]
	v_add_f64 v[2:3], v[2:3], v[4:5]
	v_mul_f64 v[4:5], v[100:101], v[34:35]
	v_add_f64 v[140:141], v[136:137], v[138:139]
	ds_read_b128 v[136:139], v1 offset:1584
	s_waitcnt lgkmcnt(1)
	v_mul_f64 v[142:143], v[132:133], v[66:67]
	v_fma_f64 v[4:5], v[98:99], v[36:37], -v[4:5]
	v_fmac_f64_e32 v[142:143], v[134:135], v[68:69]
	v_add_f64 v[2:3], v[2:3], v[4:5]
	v_mul_f64 v[4:5], v[104:105], v[46:47]
	v_add_f64 v[144:145], v[140:141], v[142:143]
	ds_read_b128 v[140:143], v1 offset:1600
	v_fma_f64 v[4:5], v[102:103], v[48:49], -v[4:5]
	v_add_f64 v[2:3], v[2:3], v[4:5]
	v_mul_f64 v[4:5], v[108:109], v[42:43]
	v_fma_f64 v[4:5], v[106:107], v[44:45], -v[4:5]
	s_waitcnt vmcnt(38) lgkmcnt(1)
	v_mul_f64 v[146:147], v[136:137], v[78:79]
	v_add_f64 v[2:3], v[2:3], v[4:5]
	v_mul_f64 v[4:5], v[112:113], v[54:55]
	s_waitcnt vmcnt(36)
	v_fmac_f64_e32 v[146:147], v[138:139], v[80:81]
	v_fma_f64 v[4:5], v[110:111], v[56:57], -v[4:5]
	v_add_f64 v[148:149], v[144:145], v[146:147]
	ds_read_b128 v[144:147], v1 offset:1616
	s_waitcnt lgkmcnt(1)
	v_mul_f64 v[150:151], v[140:141], v[74:75]
	v_add_f64 v[2:3], v[2:3], v[4:5]
	v_mul_f64 v[4:5], v[116:117], v[50:51]
	v_fmac_f64_e32 v[150:151], v[142:143], v[76:77]
	v_fma_f64 v[4:5], v[114:115], v[52:53], -v[4:5]
	v_add_f64 v[152:153], v[148:149], v[150:151]
	ds_read_b128 v[148:151], v1 offset:1632
	v_add_f64 v[2:3], v[2:3], v[4:5]
	v_mul_f64 v[4:5], v[122:123], v[62:63]
	v_fma_f64 v[4:5], v[120:121], v[64:65], -v[4:5]
	v_add_f64 v[2:3], v[2:3], v[4:5]
	v_mul_f64 v[4:5], v[126:127], v[58:59]
	s_waitcnt vmcnt(30) lgkmcnt(1)
	v_mul_f64 v[154:155], v[144:145], v[86:87]
	v_fma_f64 v[4:5], v[124:125], v[60:61], -v[4:5]
	s_waitcnt vmcnt(28)
	v_fmac_f64_e32 v[154:155], v[146:147], v[88:89]
	v_add_f64 v[2:3], v[2:3], v[4:5]
	v_mul_f64 v[4:5], v[130:131], v[70:71]
	v_add_f64 v[156:157], v[152:153], v[154:155]
	ds_read_b128 v[152:155], v1 offset:1648
	s_waitcnt lgkmcnt(1)
	v_mul_f64 v[158:159], v[148:149], v[82:83]
	v_fma_f64 v[4:5], v[128:129], v[72:73], -v[4:5]
	v_fmac_f64_e32 v[158:159], v[150:151], v[84:85]
	v_add_f64 v[2:3], v[2:3], v[4:5]
	v_mul_f64 v[4:5], v[134:135], v[66:67]
	v_add_f64 v[160:161], v[156:157], v[158:159]
	ds_read_b128 v[156:159], v1 offset:1664
	v_fma_f64 v[4:5], v[132:133], v[68:69], -v[4:5]
	v_add_f64 v[2:3], v[2:3], v[4:5]
	v_mul_f64 v[4:5], v[138:139], v[78:79]
	v_fma_f64 v[4:5], v[136:137], v[80:81], -v[4:5]
	s_waitcnt vmcnt(22) lgkmcnt(1)
	v_mul_f64 v[162:163], v[152:153], v[94:95]
	v_add_f64 v[2:3], v[2:3], v[4:5]
	v_mul_f64 v[4:5], v[142:143], v[74:75]
	s_waitcnt vmcnt(20)
	v_fmac_f64_e32 v[162:163], v[154:155], v[96:97]
	v_fma_f64 v[4:5], v[140:141], v[76:77], -v[4:5]
	v_add_f64 v[164:165], v[160:161], v[162:163]
	ds_read_b128 v[160:163], v1 offset:1680
	s_waitcnt lgkmcnt(1)
	v_mul_f64 v[166:167], v[156:157], v[90:91]
	v_add_f64 v[2:3], v[2:3], v[4:5]
	v_mul_f64 v[4:5], v[146:147], v[86:87]
	v_fmac_f64_e32 v[166:167], v[158:159], v[92:93]
	v_fma_f64 v[4:5], v[144:145], v[88:89], -v[4:5]
	v_add_f64 v[168:169], v[164:165], v[166:167]
	ds_read_b128 v[164:167], v1 offset:1696
	v_add_f64 v[2:3], v[2:3], v[4:5]
	v_mul_f64 v[4:5], v[150:151], v[82:83]
	v_fma_f64 v[4:5], v[148:149], v[84:85], -v[4:5]
	v_add_f64 v[2:3], v[2:3], v[4:5]
	v_mul_f64 v[4:5], v[154:155], v[94:95]
	s_waitcnt vmcnt(14) lgkmcnt(1)
	v_mul_f64 v[170:171], v[160:161], v[182:183]
	v_fma_f64 v[4:5], v[152:153], v[96:97], -v[4:5]
	s_waitcnt vmcnt(12)
	v_fmac_f64_e32 v[170:171], v[162:163], v[184:185]
	v_add_f64 v[2:3], v[2:3], v[4:5]
	v_mul_f64 v[4:5], v[158:159], v[90:91]
	v_add_f64 v[172:173], v[168:169], v[170:171]
	ds_read_b128 v[168:171], v1 offset:1712
	s_waitcnt lgkmcnt(1)
	v_mul_f64 v[174:175], v[164:165], v[118:119]
	v_fma_f64 v[4:5], v[156:157], v[92:93], -v[4:5]
	v_fmac_f64_e32 v[174:175], v[166:167], v[180:181]
	v_add_f64 v[2:3], v[2:3], v[4:5]
	v_mul_f64 v[4:5], v[162:163], v[182:183]
	v_add_f64 v[198:199], v[172:173], v[174:175]
	ds_read_b128 v[172:175], v1 offset:1728
	v_fma_f64 v[4:5], v[160:161], v[184:185], -v[4:5]
	v_add_f64 v[2:3], v[2:3], v[4:5]
	v_mul_f64 v[4:5], v[166:167], v[118:119]
	ds_read_b128 v[176:179], v1 offset:1744
	v_fma_f64 v[4:5], v[164:165], v[180:181], -v[4:5]
	v_add_f64 v[2:3], v[2:3], v[4:5]
	s_waitcnt vmcnt(6) lgkmcnt(2)
	v_mul_f64 v[4:5], v[170:171], v[190:191]
	v_mul_f64 v[200:201], v[168:169], v[190:191]
	s_waitcnt vmcnt(4)
	v_fma_f64 v[4:5], v[168:169], v[192:193], -v[4:5]
	v_fmac_f64_e32 v[200:201], v[170:171], v[192:193]
	v_add_f64 v[2:3], v[2:3], v[4:5]
	s_waitcnt lgkmcnt(1)
	v_mul_f64 v[4:5], v[174:175], v[186:187]
	v_add_f64 v[198:199], v[198:199], v[200:201]
	v_mul_f64 v[200:201], v[172:173], v[186:187]
	v_fma_f64 v[4:5], v[172:173], v[188:189], -v[4:5]
	v_fmac_f64_e32 v[200:201], v[174:175], v[188:189]
	v_add_f64 v[2:3], v[2:3], v[4:5]
	s_waitcnt vmcnt(2) lgkmcnt(0)
	v_mul_f64 v[4:5], v[178:179], v[194:195]
	v_add_f64 v[198:199], v[198:199], v[200:201]
	v_mul_f64 v[200:201], v[176:177], v[194:195]
	s_waitcnt vmcnt(0)
	v_fma_f64 v[4:5], v[176:177], v[196:197], -v[4:5]
	v_fmac_f64_e32 v[200:201], v[178:179], v[196:197]
	v_add_f64 v[2:3], v[2:3], v[4:5]
	v_add_f64 v[198:199], v[198:199], v[200:201]
	v_add_f64 v[2:3], v[20:21], -v[2:3]
	v_add_f64 v[4:5], v[18:19], -v[198:199]
	buffer_store_dword v3, off, s[0:3], 0 offset:500
	buffer_store_dword v2, off, s[0:3], 0 offset:496
	;; [unrolled: 1-line block ×4, first 2 shown]
	s_and_saveexec_b64 s[4:5], vcc
	s_cbranch_execz .LBB54_285
; %bb.284:
	v_accvgpr_read_b32 v0, a135
	buffer_load_dword v2, v0, s[0:3], 0 offen
	buffer_load_dword v3, v0, s[0:3], 0 offen offset:4
	buffer_load_dword v4, v0, s[0:3], 0 offen offset:8
	;; [unrolled: 1-line block ×3, first 2 shown]
	v_mov_b32_e32 v0, 0
	v_accvgpr_read_b32 v1, a165
	buffer_store_dword v0, off, s[0:3], 0 offset:480
	buffer_store_dword v0, off, s[0:3], 0 offset:484
	;; [unrolled: 1-line block ×4, first 2 shown]
	s_waitcnt vmcnt(4)
	ds_write_b128 v1, v[2:5]
.LBB54_285:
	s_or_b64 exec, exec, s[4:5]
	s_waitcnt lgkmcnt(0)
	; wave barrier
	s_waitcnt lgkmcnt(0)
	buffer_load_dword v22, off, s[0:3], 0 offset:496
	buffer_load_dword v23, off, s[0:3], 0 offset:500
	;; [unrolled: 1-line block ×64, first 2 shown]
	v_mov_b32_e32 v1, 0
	ds_read_b128 v[18:21], v1 offset:1360
	ds_read_b128 v[14:17], v1 offset:1376
	;; [unrolled: 1-line block ×5, first 2 shown]
	v_cmp_lt_u32_e32 vcc, 28, v254
	s_waitcnt vmcnt(60) lgkmcnt(4)
	v_mul_f64 v[86:87], v[18:19], v[26:27]
	v_fmac_f64_e32 v[86:87], v[20:21], v[22:23]
	v_add_f64 v[86:87], v[86:87], 0
	v_mul_f64 v[20:21], v[20:21], v[26:27]
	s_waitcnt vmcnt(56) lgkmcnt(3)
	v_mul_f64 v[88:89], v[14:15], v[28:29]
	v_fmac_f64_e32 v[88:89], v[16:17], v[24:25]
	s_waitcnt vmcnt(54) lgkmcnt(2)
	v_mul_f64 v[90:91], v[10:11], v[30:31]
	v_add_f64 v[86:87], v[86:87], v[88:89]
	v_fma_f64 v[18:19], v[18:19], v[22:23], -v[20:21]
	v_mul_f64 v[16:17], v[16:17], v[28:29]
	s_waitcnt vmcnt(50) lgkmcnt(1)
	v_mul_f64 v[102:103], v[6:7], v[40:41]
	v_add_f64 v[18:19], v[18:19], 0
	s_waitcnt vmcnt(48)
	v_fmac_f64_e32 v[90:91], v[12:13], v[44:45]
	v_add_f64 v[104:105], v[86:87], v[90:91]
	buffer_load_dword v87, off, s[0:3], 0 offset:764
	buffer_load_dword v86, off, s[0:3], 0 offset:760
	;; [unrolled: 1-line block ×40, first 2 shown]
	s_waitcnt vmcnt(62)
	v_fmac_f64_e32 v[102:103], v[8:9], v[42:43]
	v_add_f64 v[106:107], v[104:105], v[102:103]
	ds_read_b128 v[102:105], v1 offset:1440
	s_waitcnt lgkmcnt(1)
	v_mul_f64 v[108:109], v[2:3], v[36:37]
	v_fmac_f64_e32 v[108:109], v[4:5], v[38:39]
	v_add_f64 v[110:111], v[106:107], v[108:109]
	ds_read_b128 v[106:109], v1 offset:1456
	s_waitcnt lgkmcnt(1)
	v_mul_f64 v[112:113], v[102:103], v[50:51]
	;; [unrolled: 5-line block ×5, first 2 shown]
	v_fmac_f64_e32 v[126:127], v[116:117], v[56:57]
	v_add_f64 v[128:129], v[124:125], v[126:127]
	ds_read_b128 v[124:127], v1 offset:1520
	s_waitcnt vmcnt(58) lgkmcnt(1)
	v_mul_f64 v[130:131], v[120:121], v[66:67]
	s_waitcnt vmcnt(56)
	v_fmac_f64_e32 v[130:131], v[122:123], v[68:69]
	v_add_f64 v[132:133], v[128:129], v[130:131]
	ds_read_b128 v[128:131], v1 offset:1536
	s_waitcnt lgkmcnt(1)
	v_mul_f64 v[134:135], v[124:125], v[62:63]
	v_fmac_f64_e32 v[134:135], v[126:127], v[64:65]
	v_add_f64 v[136:137], v[132:133], v[134:135]
	ds_read_b128 v[132:135], v1 offset:1552
	s_waitcnt vmcnt(50) lgkmcnt(1)
	v_mul_f64 v[138:139], v[128:129], v[74:75]
	s_waitcnt vmcnt(48)
	v_fmac_f64_e32 v[138:139], v[130:131], v[76:77]
	v_add_f64 v[140:141], v[136:137], v[138:139]
	ds_read_b128 v[136:139], v1 offset:1568
	v_fma_f64 v[14:15], v[14:15], v[24:25], -v[16:17]
	v_mul_f64 v[12:13], v[12:13], v[30:31]
	v_add_f64 v[14:15], v[18:19], v[14:15]
	v_fma_f64 v[10:11], v[10:11], v[44:45], -v[12:13]
	v_mul_f64 v[8:9], v[8:9], v[40:41]
	s_waitcnt lgkmcnt(1)
	v_mul_f64 v[142:143], v[132:133], v[70:71]
	v_add_f64 v[10:11], v[14:15], v[10:11]
	v_fma_f64 v[6:7], v[6:7], v[42:43], -v[8:9]
	v_mul_f64 v[4:5], v[4:5], v[36:37]
	v_fmac_f64_e32 v[142:143], v[134:135], v[72:73]
	v_add_f64 v[6:7], v[10:11], v[6:7]
	v_fma_f64 v[2:3], v[2:3], v[38:39], -v[4:5]
	v_mul_f64 v[4:5], v[104:105], v[50:51]
	v_add_f64 v[144:145], v[140:141], v[142:143]
	ds_read_b128 v[140:143], v1 offset:1584
	s_waitcnt vmcnt(42) lgkmcnt(1)
	v_mul_f64 v[146:147], v[136:137], v[82:83]
	v_add_f64 v[2:3], v[6:7], v[2:3]
	v_fma_f64 v[4:5], v[102:103], v[52:53], -v[4:5]
	s_waitcnt vmcnt(40)
	v_fmac_f64_e32 v[146:147], v[138:139], v[84:85]
	v_add_f64 v[2:3], v[2:3], v[4:5]
	v_mul_f64 v[4:5], v[108:109], v[46:47]
	v_add_f64 v[148:149], v[144:145], v[146:147]
	ds_read_b128 v[144:147], v1 offset:1600
	v_fma_f64 v[4:5], v[106:107], v[48:49], -v[4:5]
	v_add_f64 v[2:3], v[2:3], v[4:5]
	v_mul_f64 v[4:5], v[112:113], v[58:59]
	v_fma_f64 v[4:5], v[110:111], v[60:61], -v[4:5]
	s_waitcnt lgkmcnt(1)
	v_mul_f64 v[150:151], v[140:141], v[78:79]
	v_add_f64 v[2:3], v[2:3], v[4:5]
	v_mul_f64 v[4:5], v[116:117], v[54:55]
	v_fmac_f64_e32 v[150:151], v[142:143], v[80:81]
	v_fma_f64 v[4:5], v[114:115], v[56:57], -v[4:5]
	v_add_f64 v[152:153], v[148:149], v[150:151]
	ds_read_b128 v[148:151], v1 offset:1616
	s_waitcnt vmcnt(34) lgkmcnt(1)
	v_mul_f64 v[154:155], v[144:145], v[90:91]
	v_add_f64 v[2:3], v[2:3], v[4:5]
	v_mul_f64 v[4:5], v[122:123], v[66:67]
	s_waitcnt vmcnt(32)
	v_fmac_f64_e32 v[154:155], v[146:147], v[92:93]
	v_fma_f64 v[4:5], v[120:121], v[68:69], -v[4:5]
	v_add_f64 v[156:157], v[152:153], v[154:155]
	ds_read_b128 v[152:155], v1 offset:1632
	v_add_f64 v[2:3], v[2:3], v[4:5]
	v_mul_f64 v[4:5], v[126:127], v[62:63]
	v_fma_f64 v[4:5], v[124:125], v[64:65], -v[4:5]
	v_add_f64 v[2:3], v[2:3], v[4:5]
	v_mul_f64 v[4:5], v[130:131], v[74:75]
	s_waitcnt lgkmcnt(1)
	v_mul_f64 v[158:159], v[148:149], v[86:87]
	v_fma_f64 v[4:5], v[128:129], v[76:77], -v[4:5]
	v_fmac_f64_e32 v[158:159], v[150:151], v[88:89]
	v_add_f64 v[2:3], v[2:3], v[4:5]
	v_mul_f64 v[4:5], v[134:135], v[70:71]
	v_add_f64 v[160:161], v[156:157], v[158:159]
	ds_read_b128 v[156:159], v1 offset:1648
	s_waitcnt vmcnt(26) lgkmcnt(1)
	v_mul_f64 v[162:163], v[152:153], v[98:99]
	v_fma_f64 v[4:5], v[132:133], v[72:73], -v[4:5]
	s_waitcnt vmcnt(24)
	v_fmac_f64_e32 v[162:163], v[154:155], v[100:101]
	v_add_f64 v[2:3], v[2:3], v[4:5]
	v_mul_f64 v[4:5], v[138:139], v[82:83]
	v_add_f64 v[164:165], v[160:161], v[162:163]
	ds_read_b128 v[160:163], v1 offset:1664
	v_fma_f64 v[4:5], v[136:137], v[84:85], -v[4:5]
	v_add_f64 v[2:3], v[2:3], v[4:5]
	v_mul_f64 v[4:5], v[142:143], v[78:79]
	v_fma_f64 v[4:5], v[140:141], v[80:81], -v[4:5]
	s_waitcnt lgkmcnt(1)
	v_mul_f64 v[166:167], v[156:157], v[94:95]
	v_add_f64 v[2:3], v[2:3], v[4:5]
	v_mul_f64 v[4:5], v[146:147], v[90:91]
	v_fmac_f64_e32 v[166:167], v[158:159], v[96:97]
	v_fma_f64 v[4:5], v[144:145], v[92:93], -v[4:5]
	v_add_f64 v[168:169], v[164:165], v[166:167]
	ds_read_b128 v[164:167], v1 offset:1680
	s_waitcnt vmcnt(18) lgkmcnt(1)
	v_mul_f64 v[170:171], v[160:161], v[186:187]
	v_add_f64 v[2:3], v[2:3], v[4:5]
	v_mul_f64 v[4:5], v[150:151], v[86:87]
	s_waitcnt vmcnt(16)
	v_fmac_f64_e32 v[170:171], v[162:163], v[188:189]
	v_fma_f64 v[4:5], v[148:149], v[88:89], -v[4:5]
	v_add_f64 v[172:173], v[168:169], v[170:171]
	ds_read_b128 v[168:171], v1 offset:1696
	v_add_f64 v[2:3], v[2:3], v[4:5]
	v_mul_f64 v[4:5], v[154:155], v[98:99]
	v_fma_f64 v[4:5], v[152:153], v[100:101], -v[4:5]
	v_add_f64 v[2:3], v[2:3], v[4:5]
	v_mul_f64 v[4:5], v[158:159], v[94:95]
	s_waitcnt lgkmcnt(1)
	v_mul_f64 v[174:175], v[164:165], v[118:119]
	v_fma_f64 v[4:5], v[156:157], v[96:97], -v[4:5]
	v_fmac_f64_e32 v[174:175], v[166:167], v[184:185]
	v_add_f64 v[2:3], v[2:3], v[4:5]
	v_mul_f64 v[4:5], v[162:163], v[186:187]
	v_add_f64 v[176:177], v[172:173], v[174:175]
	ds_read_b128 v[172:175], v1 offset:1712
	s_waitcnt vmcnt(10) lgkmcnt(1)
	v_mul_f64 v[178:179], v[168:169], v[194:195]
	v_fma_f64 v[4:5], v[160:161], v[188:189], -v[4:5]
	s_waitcnt vmcnt(8)
	v_fmac_f64_e32 v[178:179], v[170:171], v[196:197]
	v_add_f64 v[2:3], v[2:3], v[4:5]
	v_mul_f64 v[4:5], v[166:167], v[118:119]
	v_add_f64 v[206:207], v[176:177], v[178:179]
	ds_read_b128 v[176:179], v1 offset:1728
	ds_read_b128 v[180:183], v1 offset:1744
	v_fma_f64 v[4:5], v[164:165], v[184:185], -v[4:5]
	v_add_f64 v[2:3], v[2:3], v[4:5]
	v_mul_f64 v[4:5], v[170:171], v[194:195]
	v_fma_f64 v[4:5], v[168:169], v[196:197], -v[4:5]
	v_add_f64 v[2:3], v[2:3], v[4:5]
	s_waitcnt lgkmcnt(2)
	v_mul_f64 v[4:5], v[174:175], v[190:191]
	v_mul_f64 v[208:209], v[172:173], v[190:191]
	v_fma_f64 v[4:5], v[172:173], v[192:193], -v[4:5]
	v_fmac_f64_e32 v[208:209], v[174:175], v[192:193]
	v_add_f64 v[2:3], v[2:3], v[4:5]
	s_waitcnt vmcnt(2) lgkmcnt(1)
	v_mul_f64 v[4:5], v[178:179], v[202:203]
	v_add_f64 v[206:207], v[206:207], v[208:209]
	v_mul_f64 v[208:209], v[176:177], v[202:203]
	s_waitcnt vmcnt(0)
	v_fma_f64 v[4:5], v[176:177], v[204:205], -v[4:5]
	v_fmac_f64_e32 v[208:209], v[178:179], v[204:205]
	v_add_f64 v[2:3], v[2:3], v[4:5]
	s_waitcnt lgkmcnt(0)
	v_mul_f64 v[4:5], v[182:183], v[198:199]
	v_add_f64 v[206:207], v[206:207], v[208:209]
	v_mul_f64 v[208:209], v[180:181], v[198:199]
	v_fma_f64 v[4:5], v[180:181], v[200:201], -v[4:5]
	v_fmac_f64_e32 v[208:209], v[182:183], v[200:201]
	v_add_f64 v[2:3], v[2:3], v[4:5]
	v_add_f64 v[206:207], v[206:207], v[208:209]
	v_add_f64 v[2:3], v[34:35], -v[2:3]
	v_add_f64 v[4:5], v[32:33], -v[206:207]
	buffer_store_dword v3, off, s[0:3], 0 offset:484
	buffer_store_dword v2, off, s[0:3], 0 offset:480
	;; [unrolled: 1-line block ×4, first 2 shown]
	s_and_saveexec_b64 s[4:5], vcc
	s_cbranch_execz .LBB54_287
; %bb.286:
	v_accvgpr_read_b32 v0, a136
	buffer_load_dword v2, v0, s[0:3], 0 offen
	buffer_load_dword v3, v0, s[0:3], 0 offen offset:4
	buffer_load_dword v4, v0, s[0:3], 0 offen offset:8
	;; [unrolled: 1-line block ×3, first 2 shown]
	v_accvgpr_read_b32 v0, a165
	buffer_store_dword v1, off, s[0:3], 0 offset:464
	buffer_store_dword v1, off, s[0:3], 0 offset:468
	;; [unrolled: 1-line block ×4, first 2 shown]
	s_waitcnt vmcnt(4)
	ds_write_b128 v0, v[2:5]
.LBB54_287:
	s_or_b64 exec, exec, s[4:5]
	s_waitcnt lgkmcnt(0)
	; wave barrier
	s_waitcnt lgkmcnt(0)
	buffer_load_dword v26, off, s[0:3], 0 offset:480
	buffer_load_dword v27, off, s[0:3], 0 offset:484
	buffer_load_dword v28, off, s[0:3], 0 offset:488
	buffer_load_dword v29, off, s[0:3], 0 offset:492
	buffer_load_dword v30, off, s[0:3], 0 offset:504
	buffer_load_dword v31, off, s[0:3], 0 offset:508
	buffer_load_dword v32, off, s[0:3], 0 offset:520
	buffer_load_dword v33, off, s[0:3], 0 offset:524
	buffer_load_dword v39, off, s[0:3], 0 offset:556
	buffer_load_dword v38, off, s[0:3], 0 offset:552
	buffer_load_dword v41, off, s[0:3], 0 offset:548
	buffer_load_dword v43, off, s[0:3], 0 offset:540
	buffer_load_dword v42, off, s[0:3], 0 offset:536
	buffer_load_dword v48, off, s[0:3], 0 offset:496
	buffer_load_dword v49, off, s[0:3], 0 offset:500
	buffer_load_dword v46, off, s[0:3], 0 offset:512
	buffer_load_dword v47, off, s[0:3], 0 offset:516
	buffer_load_dword v45, off, s[0:3], 0 offset:532
	buffer_load_dword v44, off, s[0:3], 0 offset:528
	buffer_load_dword v40, off, s[0:3], 0 offset:544
	buffer_load_dword v36, off, s[0:3], 0 offset:464
	buffer_load_dword v37, off, s[0:3], 0 offset:468
	buffer_load_dword v34, off, s[0:3], 0 offset:472
	buffer_load_dword v35, off, s[0:3], 0 offset:476
	ds_read_b128 v[22:25], v1 offset:1344
	ds_read_b128 v[18:21], v1 offset:1360
	;; [unrolled: 1-line block ×6, first 2 shown]
	buffer_load_dword v51, off, s[0:3], 0 offset:588
	buffer_load_dword v50, off, s[0:3], 0 offset:584
	;; [unrolled: 1-line block ×40, first 2 shown]
	v_cmp_lt_u32_e32 vcc, 27, v254
	s_waitcnt vmcnt(34) lgkmcnt(0)
	v_mul_f64 v[122:123], v[14:15], v[54:55]
	s_waitcnt vmcnt(32)
	v_fmac_f64_e32 v[122:123], v[16:17], v[56:57]
	v_mul_f64 v[90:91], v[22:23], v[28:29]
	v_fmac_f64_e32 v[90:91], v[24:25], v[26:27]
	v_mul_f64 v[92:93], v[18:19], v[30:31]
	v_add_f64 v[90:91], v[90:91], 0
	v_mul_f64 v[94:95], v[10:11], v[32:33]
	v_mul_f64 v[24:25], v[24:25], v[28:29]
	;; [unrolled: 1-line block ×3, first 2 shown]
	v_fma_f64 v[22:23], v[22:23], v[26:27], -v[24:25]
	v_add_f64 v[22:23], v[22:23], 0
	v_mul_f64 v[96:97], v[6:7], v[42:43]
	v_fmac_f64_e32 v[92:93], v[20:21], v[48:49]
	v_add_f64 v[90:91], v[90:91], v[92:93]
	v_fmac_f64_e32 v[94:95], v[12:13], v[46:47]
	v_add_f64 v[90:91], v[90:91], v[94:95]
	;; [unrolled: 2-line block ×3, first 2 shown]
	buffer_load_dword v91, off, s[0:3], 0 offset:748
	buffer_load_dword v90, off, s[0:3], 0 offset:744
	;; [unrolled: 1-line block ×40, first 2 shown]
	v_fmac_f64_e32 v[114:115], v[4:5], v[40:41]
	v_add_f64 v[120:121], v[116:117], v[114:115]
	ds_read_b128 v[114:117], v1 offset:1440
	buffer_load_dword v211, off, s[0:3], 0 offset:892
	buffer_load_dword v210, off, s[0:3], 0 offset:888
	;; [unrolled: 1-line block ×4, first 2 shown]
	v_add_f64 v[124:125], v[120:121], v[122:123]
	ds_read_b128 v[120:123], v1 offset:1456
	v_mul_f64 v[20:21], v[20:21], v[30:31]
	s_waitcnt lgkmcnt(1)
	v_mul_f64 v[126:127], v[114:115], v[50:51]
	v_fmac_f64_e32 v[126:127], v[116:117], v[52:53]
	v_add_f64 v[128:129], v[124:125], v[126:127]
	ds_read_b128 v[124:127], v1 offset:1472
	s_waitcnt vmcnt(62) lgkmcnt(1)
	v_mul_f64 v[130:131], v[120:121], v[62:63]
	v_fmac_f64_e32 v[130:131], v[122:123], v[64:65]
	v_add_f64 v[132:133], v[128:129], v[130:131]
	ds_read_b128 v[128:131], v1 offset:1488
	s_waitcnt lgkmcnt(1)
	v_mul_f64 v[134:135], v[124:125], v[58:59]
	v_fmac_f64_e32 v[134:135], v[126:127], v[60:61]
	v_add_f64 v[136:137], v[132:133], v[134:135]
	ds_read_b128 v[132:135], v1 offset:1504
	s_waitcnt lgkmcnt(1)
	v_mul_f64 v[138:139], v[128:129], v[70:71]
	s_waitcnt vmcnt(60)
	v_fmac_f64_e32 v[138:139], v[130:131], v[72:73]
	v_add_f64 v[140:141], v[136:137], v[138:139]
	ds_read_b128 v[136:139], v1 offset:1520
	s_waitcnt lgkmcnt(1)
	v_mul_f64 v[142:143], v[132:133], v[66:67]
	v_fmac_f64_e32 v[142:143], v[134:135], v[68:69]
	v_add_f64 v[144:145], v[140:141], v[142:143]
	ds_read_b128 v[140:143], v1 offset:1536
	s_waitcnt vmcnt(54) lgkmcnt(1)
	v_mul_f64 v[146:147], v[136:137], v[78:79]
	s_waitcnt vmcnt(52)
	v_fmac_f64_e32 v[146:147], v[138:139], v[80:81]
	v_add_f64 v[148:149], v[144:145], v[146:147]
	ds_read_b128 v[144:147], v1 offset:1552
	s_waitcnt lgkmcnt(1)
	v_mul_f64 v[150:151], v[140:141], v[74:75]
	v_fmac_f64_e32 v[150:151], v[142:143], v[76:77]
	v_fma_f64 v[18:19], v[18:19], v[48:49], -v[20:21]
	v_mul_f64 v[12:13], v[12:13], v[32:33]
	v_add_f64 v[152:153], v[148:149], v[150:151]
	ds_read_b128 v[148:151], v1 offset:1568
	v_add_f64 v[18:19], v[22:23], v[18:19]
	v_fma_f64 v[10:11], v[10:11], v[46:47], -v[12:13]
	v_mul_f64 v[8:9], v[8:9], v[42:43]
	v_add_f64 v[10:11], v[18:19], v[10:11]
	v_fma_f64 v[6:7], v[6:7], v[44:45], -v[8:9]
	v_mul_f64 v[4:5], v[4:5], v[38:39]
	v_add_f64 v[6:7], v[10:11], v[6:7]
	v_fma_f64 v[2:3], v[2:3], v[40:41], -v[4:5]
	v_mul_f64 v[4:5], v[16:17], v[54:55]
	s_waitcnt vmcnt(46) lgkmcnt(1)
	v_mul_f64 v[154:155], v[144:145], v[86:87]
	v_add_f64 v[2:3], v[6:7], v[2:3]
	v_fma_f64 v[4:5], v[14:15], v[56:57], -v[4:5]
	s_waitcnt vmcnt(44)
	v_fmac_f64_e32 v[154:155], v[146:147], v[88:89]
	v_add_f64 v[2:3], v[2:3], v[4:5]
	v_mul_f64 v[4:5], v[116:117], v[50:51]
	v_add_f64 v[156:157], v[152:153], v[154:155]
	ds_read_b128 v[152:155], v1 offset:1584
	s_waitcnt lgkmcnt(1)
	v_mul_f64 v[158:159], v[148:149], v[82:83]
	v_fma_f64 v[4:5], v[114:115], v[52:53], -v[4:5]
	v_fmac_f64_e32 v[158:159], v[150:151], v[84:85]
	v_add_f64 v[2:3], v[2:3], v[4:5]
	v_mul_f64 v[4:5], v[122:123], v[62:63]
	v_add_f64 v[160:161], v[156:157], v[158:159]
	ds_read_b128 v[156:159], v1 offset:1600
	v_fma_f64 v[4:5], v[120:121], v[64:65], -v[4:5]
	v_add_f64 v[2:3], v[2:3], v[4:5]
	v_mul_f64 v[4:5], v[126:127], v[58:59]
	v_fma_f64 v[4:5], v[124:125], v[60:61], -v[4:5]
	s_waitcnt vmcnt(38) lgkmcnt(1)
	v_mul_f64 v[162:163], v[152:153], v[94:95]
	v_add_f64 v[2:3], v[2:3], v[4:5]
	v_mul_f64 v[4:5], v[130:131], v[70:71]
	s_waitcnt vmcnt(36)
	v_fmac_f64_e32 v[162:163], v[154:155], v[96:97]
	v_fma_f64 v[4:5], v[128:129], v[72:73], -v[4:5]
	v_add_f64 v[164:165], v[160:161], v[162:163]
	ds_read_b128 v[160:163], v1 offset:1616
	s_waitcnt lgkmcnt(1)
	v_mul_f64 v[166:167], v[156:157], v[90:91]
	v_add_f64 v[2:3], v[2:3], v[4:5]
	v_mul_f64 v[4:5], v[134:135], v[66:67]
	v_fmac_f64_e32 v[166:167], v[158:159], v[92:93]
	v_fma_f64 v[4:5], v[132:133], v[68:69], -v[4:5]
	v_add_f64 v[168:169], v[164:165], v[166:167]
	ds_read_b128 v[164:167], v1 offset:1632
	v_add_f64 v[2:3], v[2:3], v[4:5]
	v_mul_f64 v[4:5], v[138:139], v[78:79]
	v_fma_f64 v[4:5], v[136:137], v[80:81], -v[4:5]
	v_add_f64 v[2:3], v[2:3], v[4:5]
	v_mul_f64 v[4:5], v[142:143], v[74:75]
	s_waitcnt vmcnt(30) lgkmcnt(1)
	v_mul_f64 v[170:171], v[160:161], v[102:103]
	v_fma_f64 v[4:5], v[140:141], v[76:77], -v[4:5]
	s_waitcnt vmcnt(28)
	v_fmac_f64_e32 v[170:171], v[162:163], v[104:105]
	v_add_f64 v[2:3], v[2:3], v[4:5]
	v_mul_f64 v[4:5], v[146:147], v[86:87]
	v_add_f64 v[172:173], v[168:169], v[170:171]
	ds_read_b128 v[168:171], v1 offset:1648
	s_waitcnt lgkmcnt(1)
	v_mul_f64 v[174:175], v[164:165], v[98:99]
	v_fma_f64 v[4:5], v[144:145], v[88:89], -v[4:5]
	v_fmac_f64_e32 v[174:175], v[166:167], v[100:101]
	v_add_f64 v[2:3], v[2:3], v[4:5]
	v_mul_f64 v[4:5], v[150:151], v[82:83]
	v_add_f64 v[176:177], v[172:173], v[174:175]
	ds_read_b128 v[172:175], v1 offset:1664
	v_fma_f64 v[4:5], v[148:149], v[84:85], -v[4:5]
	v_add_f64 v[2:3], v[2:3], v[4:5]
	v_mul_f64 v[4:5], v[154:155], v[94:95]
	v_fma_f64 v[4:5], v[152:153], v[96:97], -v[4:5]
	s_waitcnt vmcnt(22) lgkmcnt(1)
	v_mul_f64 v[178:179], v[168:169], v[110:111]
	v_add_f64 v[2:3], v[2:3], v[4:5]
	v_mul_f64 v[4:5], v[158:159], v[90:91]
	s_waitcnt vmcnt(20)
	v_fmac_f64_e32 v[178:179], v[170:171], v[112:113]
	v_fma_f64 v[4:5], v[156:157], v[92:93], -v[4:5]
	v_add_f64 v[180:181], v[176:177], v[178:179]
	ds_read_b128 v[176:179], v1 offset:1680
	s_waitcnt lgkmcnt(1)
	v_mul_f64 v[182:183], v[172:173], v[106:107]
	v_add_f64 v[2:3], v[2:3], v[4:5]
	v_mul_f64 v[4:5], v[162:163], v[102:103]
	v_fmac_f64_e32 v[182:183], v[174:175], v[108:109]
	v_fma_f64 v[4:5], v[160:161], v[104:105], -v[4:5]
	v_add_f64 v[184:185], v[180:181], v[182:183]
	ds_read_b128 v[180:183], v1 offset:1696
	v_add_f64 v[2:3], v[2:3], v[4:5]
	v_mul_f64 v[4:5], v[166:167], v[98:99]
	v_fma_f64 v[4:5], v[164:165], v[100:101], -v[4:5]
	v_add_f64 v[2:3], v[2:3], v[4:5]
	v_mul_f64 v[4:5], v[170:171], v[110:111]
	s_waitcnt vmcnt(14) lgkmcnt(1)
	v_mul_f64 v[186:187], v[176:177], v[198:199]
	v_fma_f64 v[4:5], v[168:169], v[112:113], -v[4:5]
	s_waitcnt vmcnt(12)
	v_fmac_f64_e32 v[186:187], v[178:179], v[200:201]
	v_add_f64 v[2:3], v[2:3], v[4:5]
	v_mul_f64 v[4:5], v[174:175], v[106:107]
	v_add_f64 v[188:189], v[184:185], v[186:187]
	ds_read_b128 v[184:187], v1 offset:1712
	s_waitcnt lgkmcnt(1)
	v_mul_f64 v[190:191], v[180:181], v[118:119]
	v_fma_f64 v[4:5], v[172:173], v[108:109], -v[4:5]
	v_fmac_f64_e32 v[190:191], v[182:183], v[196:197]
	v_add_f64 v[2:3], v[2:3], v[4:5]
	v_mul_f64 v[4:5], v[178:179], v[198:199]
	v_add_f64 v[214:215], v[188:189], v[190:191]
	ds_read_b128 v[188:191], v1 offset:1728
	v_fma_f64 v[4:5], v[176:177], v[200:201], -v[4:5]
	v_add_f64 v[2:3], v[2:3], v[4:5]
	v_mul_f64 v[4:5], v[182:183], v[118:119]
	ds_read_b128 v[192:195], v1 offset:1744
	v_fma_f64 v[4:5], v[180:181], v[196:197], -v[4:5]
	v_add_f64 v[2:3], v[2:3], v[4:5]
	s_waitcnt vmcnt(6) lgkmcnt(2)
	v_mul_f64 v[4:5], v[186:187], v[206:207]
	v_mul_f64 v[216:217], v[184:185], v[206:207]
	s_waitcnt vmcnt(4)
	v_fma_f64 v[4:5], v[184:185], v[208:209], -v[4:5]
	v_fmac_f64_e32 v[216:217], v[186:187], v[208:209]
	v_add_f64 v[2:3], v[2:3], v[4:5]
	s_waitcnt lgkmcnt(1)
	v_mul_f64 v[4:5], v[190:191], v[202:203]
	v_add_f64 v[214:215], v[214:215], v[216:217]
	v_mul_f64 v[216:217], v[188:189], v[202:203]
	v_fma_f64 v[4:5], v[188:189], v[204:205], -v[4:5]
	v_fmac_f64_e32 v[216:217], v[190:191], v[204:205]
	v_add_f64 v[2:3], v[2:3], v[4:5]
	s_waitcnt vmcnt(2) lgkmcnt(0)
	v_mul_f64 v[4:5], v[194:195], v[210:211]
	v_add_f64 v[214:215], v[214:215], v[216:217]
	v_mul_f64 v[216:217], v[192:193], v[210:211]
	s_waitcnt vmcnt(0)
	v_fma_f64 v[4:5], v[192:193], v[212:213], -v[4:5]
	v_fmac_f64_e32 v[216:217], v[194:195], v[212:213]
	v_add_f64 v[2:3], v[2:3], v[4:5]
	v_add_f64 v[214:215], v[214:215], v[216:217]
	v_add_f64 v[2:3], v[36:37], -v[2:3]
	v_add_f64 v[4:5], v[34:35], -v[214:215]
	buffer_store_dword v3, off, s[0:3], 0 offset:468
	buffer_store_dword v2, off, s[0:3], 0 offset:464
	;; [unrolled: 1-line block ×4, first 2 shown]
	s_and_saveexec_b64 s[4:5], vcc
	s_cbranch_execz .LBB54_289
; %bb.288:
	v_accvgpr_read_b32 v0, a137
	buffer_load_dword v2, v0, s[0:3], 0 offen
	buffer_load_dword v3, v0, s[0:3], 0 offen offset:4
	buffer_load_dword v4, v0, s[0:3], 0 offen offset:8
	;; [unrolled: 1-line block ×3, first 2 shown]
	v_mov_b32_e32 v0, 0
	v_accvgpr_read_b32 v1, a165
	buffer_store_dword v0, off, s[0:3], 0 offset:448
	buffer_store_dword v0, off, s[0:3], 0 offset:452
	;; [unrolled: 1-line block ×4, first 2 shown]
	s_waitcnt vmcnt(4)
	ds_write_b128 v1, v[2:5]
.LBB54_289:
	s_or_b64 exec, exec, s[4:5]
	s_waitcnt lgkmcnt(0)
	; wave barrier
	s_waitcnt lgkmcnt(0)
	buffer_load_dword v30, off, s[0:3], 0 offset:464
	buffer_load_dword v31, off, s[0:3], 0 offset:468
	;; [unrolled: 1-line block ×56, first 2 shown]
	v_mov_b32_e32 v1, 0
	ds_read_b128 v[26:29], v1 offset:1328
	ds_read_b128 v[22:25], v1 offset:1344
	;; [unrolled: 1-line block ×7, first 2 shown]
	v_cmp_lt_u32_e32 vcc, 26, v254
	s_waitcnt vmcnt(52) lgkmcnt(6)
	v_mul_f64 v[86:87], v[26:27], v[34:35]
	v_fmac_f64_e32 v[86:87], v[28:29], v[30:31]
	v_add_f64 v[86:87], v[86:87], 0
	v_mul_f64 v[28:29], v[28:29], v[34:35]
	s_waitcnt vmcnt(48) lgkmcnt(5)
	v_mul_f64 v[88:89], v[22:23], v[36:37]
	v_fmac_f64_e32 v[88:89], v[24:25], v[32:33]
	s_waitcnt vmcnt(46) lgkmcnt(4)
	v_mul_f64 v[90:91], v[18:19], v[38:39]
	v_add_f64 v[86:87], v[86:87], v[88:89]
	s_waitcnt vmcnt(44) lgkmcnt(2)
	v_mul_f64 v[94:95], v[10:11], v[40:41]
	v_fma_f64 v[26:27], v[26:27], v[30:31], -v[28:29]
	s_waitcnt vmcnt(42)
	v_fmac_f64_e32 v[94:95], v[12:13], v[42:43]
	v_mul_f64 v[24:25], v[24:25], v[36:37]
	s_waitcnt vmcnt(40)
	v_mul_f64 v[92:93], v[14:15], v[48:49]
	v_add_f64 v[26:27], v[26:27], 0
	v_fma_f64 v[22:23], v[22:23], v[32:33], -v[24:25]
	v_add_f64 v[22:23], v[26:27], v[22:23]
	s_waitcnt vmcnt(36) lgkmcnt(1)
	v_mul_f64 v[110:111], v[6:7], v[54:55]
	v_mul_f64 v[12:13], v[12:13], v[40:41]
	s_waitcnt vmcnt(34)
	v_fmac_f64_e32 v[90:91], v[20:21], v[60:61]
	v_add_f64 v[86:87], v[86:87], v[90:91]
	s_waitcnt vmcnt(32)
	v_fmac_f64_e32 v[92:93], v[16:17], v[58:59]
	v_add_f64 v[86:87], v[86:87], v[92:93]
	v_add_f64 v[116:117], v[86:87], v[94:95]
	buffer_load_dword v87, off, s[0:3], 0 offset:700
	buffer_load_dword v86, off, s[0:3], 0 offset:696
	;; [unrolled: 1-line block ×56, first 2 shown]
	ds_read_b128 v[126:129], v1 offset:1440
	ds_read_b128 v[130:133], v1 offset:1456
	v_mul_f64 v[20:21], v[20:21], v[38:39]
	v_fma_f64 v[18:19], v[18:19], v[60:61], -v[20:21]
	v_mul_f64 v[16:17], v[16:17], v[48:49]
	s_waitcnt vmcnt(62)
	v_fmac_f64_e32 v[110:111], v[8:9], v[56:57]
	v_add_f64 v[18:19], v[22:23], v[18:19]
	v_fma_f64 v[14:15], v[14:15], v[58:59], -v[16:17]
	v_add_f64 v[110:111], v[116:117], v[110:111]
	s_waitcnt lgkmcnt(2)
	v_mul_f64 v[116:117], v[2:3], v[50:51]
	v_add_f64 v[14:15], v[18:19], v[14:15]
	v_fma_f64 v[10:11], v[10:11], v[42:43], -v[12:13]
	v_mul_f64 v[8:9], v[8:9], v[54:55]
	v_fmac_f64_e32 v[116:117], v[4:5], v[52:53]
	ds_read_b128 v[134:137], v1 offset:1472
	ds_read_b128 v[138:141], v1 offset:1488
	v_add_f64 v[10:11], v[14:15], v[10:11]
	v_fma_f64 v[6:7], v[6:7], v[56:57], -v[8:9]
	v_mul_f64 v[4:5], v[4:5], v[50:51]
	v_add_f64 v[6:7], v[10:11], v[6:7]
	v_fma_f64 v[2:3], v[2:3], v[52:53], -v[4:5]
	s_waitcnt lgkmcnt(3)
	v_mul_f64 v[4:5], v[128:129], v[66:67]
	v_add_f64 v[110:111], v[110:111], v[116:117]
	v_mul_f64 v[116:117], v[126:127], v[66:67]
	v_add_f64 v[2:3], v[6:7], v[2:3]
	v_fma_f64 v[4:5], v[126:127], v[68:69], -v[4:5]
	v_fmac_f64_e32 v[116:117], v[128:129], v[68:69]
	v_add_f64 v[2:3], v[2:3], v[4:5]
	s_waitcnt lgkmcnt(2)
	v_mul_f64 v[4:5], v[132:133], v[62:63]
	v_add_f64 v[110:111], v[110:111], v[116:117]
	v_mul_f64 v[116:117], v[130:131], v[62:63]
	ds_read_b128 v[142:145], v1 offset:1504
	ds_read_b128 v[146:149], v1 offset:1520
	v_fma_f64 v[4:5], v[130:131], v[64:65], -v[4:5]
	v_fmac_f64_e32 v[116:117], v[132:133], v[64:65]
	v_add_f64 v[2:3], v[2:3], v[4:5]
	s_waitcnt lgkmcnt(3)
	v_mul_f64 v[4:5], v[136:137], v[74:75]
	v_add_f64 v[110:111], v[110:111], v[116:117]
	v_mul_f64 v[116:117], v[134:135], v[74:75]
	v_fma_f64 v[4:5], v[134:135], v[76:77], -v[4:5]
	v_fmac_f64_e32 v[116:117], v[136:137], v[76:77]
	v_add_f64 v[2:3], v[2:3], v[4:5]
	s_waitcnt lgkmcnt(2)
	v_mul_f64 v[4:5], v[140:141], v[70:71]
	v_add_f64 v[110:111], v[110:111], v[116:117]
	v_mul_f64 v[116:117], v[138:139], v[70:71]
	ds_read_b128 v[150:153], v1 offset:1536
	ds_read_b128 v[154:157], v1 offset:1552
	v_fma_f64 v[4:5], v[138:139], v[72:73], -v[4:5]
	v_fmac_f64_e32 v[116:117], v[140:141], v[72:73]
	v_add_f64 v[2:3], v[2:3], v[4:5]
	s_waitcnt vmcnt(58) lgkmcnt(3)
	v_mul_f64 v[4:5], v[144:145], v[82:83]
	v_add_f64 v[110:111], v[110:111], v[116:117]
	v_mul_f64 v[116:117], v[142:143], v[82:83]
	s_waitcnt vmcnt(56)
	v_fma_f64 v[4:5], v[142:143], v[84:85], -v[4:5]
	v_fmac_f64_e32 v[116:117], v[144:145], v[84:85]
	v_add_f64 v[2:3], v[2:3], v[4:5]
	s_waitcnt lgkmcnt(2)
	v_mul_f64 v[4:5], v[148:149], v[78:79]
	v_add_f64 v[110:111], v[110:111], v[116:117]
	v_mul_f64 v[116:117], v[146:147], v[78:79]
	ds_read_b128 v[158:161], v1 offset:1568
	ds_read_b128 v[162:165], v1 offset:1584
	v_fma_f64 v[4:5], v[146:147], v[80:81], -v[4:5]
	v_fmac_f64_e32 v[116:117], v[148:149], v[80:81]
	v_add_f64 v[2:3], v[2:3], v[4:5]
	s_waitcnt vmcnt(50) lgkmcnt(3)
	v_mul_f64 v[4:5], v[152:153], v[90:91]
	v_add_f64 v[110:111], v[110:111], v[116:117]
	v_mul_f64 v[116:117], v[150:151], v[90:91]
	s_waitcnt vmcnt(48)
	v_fma_f64 v[4:5], v[150:151], v[92:93], -v[4:5]
	v_fmac_f64_e32 v[116:117], v[152:153], v[92:93]
	v_add_f64 v[2:3], v[2:3], v[4:5]
	s_waitcnt lgkmcnt(2)
	v_mul_f64 v[4:5], v[156:157], v[86:87]
	v_add_f64 v[110:111], v[110:111], v[116:117]
	v_mul_f64 v[116:117], v[154:155], v[86:87]
	ds_read_b128 v[166:169], v1 offset:1600
	ds_read_b128 v[170:173], v1 offset:1616
	v_fma_f64 v[4:5], v[154:155], v[88:89], -v[4:5]
	v_fmac_f64_e32 v[116:117], v[156:157], v[88:89]
	v_add_f64 v[2:3], v[2:3], v[4:5]
	s_waitcnt vmcnt(42) lgkmcnt(3)
	v_mul_f64 v[4:5], v[160:161], v[98:99]
	v_add_f64 v[110:111], v[110:111], v[116:117]
	v_mul_f64 v[116:117], v[158:159], v[98:99]
	s_waitcnt vmcnt(40)
	v_fma_f64 v[4:5], v[158:159], v[100:101], -v[4:5]
	v_fmac_f64_e32 v[116:117], v[160:161], v[100:101]
	v_add_f64 v[2:3], v[2:3], v[4:5]
	s_waitcnt lgkmcnt(2)
	v_mul_f64 v[4:5], v[164:165], v[94:95]
	v_add_f64 v[110:111], v[110:111], v[116:117]
	v_mul_f64 v[116:117], v[162:163], v[94:95]
	ds_read_b128 v[174:177], v1 offset:1632
	ds_read_b128 v[178:181], v1 offset:1648
	v_fma_f64 v[4:5], v[162:163], v[96:97], -v[4:5]
	v_fmac_f64_e32 v[116:117], v[164:165], v[96:97]
	v_add_f64 v[2:3], v[2:3], v[4:5]
	s_waitcnt vmcnt(34) lgkmcnt(3)
	v_mul_f64 v[4:5], v[168:169], v[106:107]
	v_add_f64 v[110:111], v[110:111], v[116:117]
	v_mul_f64 v[116:117], v[166:167], v[106:107]
	s_waitcnt vmcnt(32)
	v_fma_f64 v[4:5], v[166:167], v[108:109], -v[4:5]
	v_fmac_f64_e32 v[116:117], v[168:169], v[108:109]
	v_add_f64 v[2:3], v[2:3], v[4:5]
	s_waitcnt lgkmcnt(2)
	v_mul_f64 v[4:5], v[172:173], v[102:103]
	v_add_f64 v[110:111], v[110:111], v[116:117]
	v_mul_f64 v[116:117], v[170:171], v[102:103]
	ds_read_b128 v[182:185], v1 offset:1664
	ds_read_b128 v[186:189], v1 offset:1680
	v_fma_f64 v[4:5], v[170:171], v[104:105], -v[4:5]
	v_fmac_f64_e32 v[116:117], v[172:173], v[104:105]
	v_add_f64 v[2:3], v[2:3], v[4:5]
	s_waitcnt vmcnt(26) lgkmcnt(3)
	v_mul_f64 v[4:5], v[176:177], v[120:121]
	v_add_f64 v[110:111], v[110:111], v[116:117]
	v_mul_f64 v[116:117], v[174:175], v[120:121]
	s_waitcnt vmcnt(24)
	v_fma_f64 v[4:5], v[174:175], v[122:123], -v[4:5]
	v_fmac_f64_e32 v[116:117], v[176:177], v[122:123]
	v_add_f64 v[2:3], v[2:3], v[4:5]
	s_waitcnt lgkmcnt(2)
	v_mul_f64 v[4:5], v[180:181], v[112:113]
	v_add_f64 v[110:111], v[110:111], v[116:117]
	v_mul_f64 v[116:117], v[178:179], v[112:113]
	ds_read_b128 v[190:193], v1 offset:1696
	ds_read_b128 v[194:197], v1 offset:1712
	v_fma_f64 v[4:5], v[178:179], v[114:115], -v[4:5]
	v_fmac_f64_e32 v[116:117], v[180:181], v[114:115]
	v_add_f64 v[2:3], v[2:3], v[4:5]
	s_waitcnt vmcnt(18) lgkmcnt(3)
	v_mul_f64 v[4:5], v[184:185], v[206:207]
	v_add_f64 v[110:111], v[110:111], v[116:117]
	v_mul_f64 v[116:117], v[182:183], v[206:207]
	s_waitcnt vmcnt(16)
	v_fma_f64 v[4:5], v[182:183], v[208:209], -v[4:5]
	v_fmac_f64_e32 v[116:117], v[184:185], v[208:209]
	v_add_f64 v[2:3], v[2:3], v[4:5]
	s_waitcnt lgkmcnt(2)
	v_mul_f64 v[4:5], v[188:189], v[124:125]
	v_add_f64 v[110:111], v[110:111], v[116:117]
	v_mul_f64 v[116:117], v[186:187], v[124:125]
	ds_read_b128 v[198:201], v1 offset:1728
	ds_read_b128 v[202:205], v1 offset:1744
	v_fma_f64 v[4:5], v[186:187], v[118:119], -v[4:5]
	v_fmac_f64_e32 v[116:117], v[188:189], v[118:119]
	v_add_f64 v[2:3], v[2:3], v[4:5]
	s_waitcnt vmcnt(10) lgkmcnt(3)
	v_mul_f64 v[4:5], v[192:193], v[214:215]
	v_add_f64 v[110:111], v[110:111], v[116:117]
	v_mul_f64 v[116:117], v[190:191], v[214:215]
	s_waitcnt vmcnt(8)
	v_fma_f64 v[4:5], v[190:191], v[216:217], -v[4:5]
	v_fmac_f64_e32 v[116:117], v[192:193], v[216:217]
	v_add_f64 v[2:3], v[2:3], v[4:5]
	s_waitcnt lgkmcnt(2)
	v_mul_f64 v[4:5], v[196:197], v[210:211]
	v_add_f64 v[110:111], v[110:111], v[116:117]
	v_mul_f64 v[116:117], v[194:195], v[210:211]
	v_fma_f64 v[4:5], v[194:195], v[212:213], -v[4:5]
	v_fmac_f64_e32 v[116:117], v[196:197], v[212:213]
	v_add_f64 v[2:3], v[2:3], v[4:5]
	s_waitcnt vmcnt(2) lgkmcnt(1)
	v_mul_f64 v[4:5], v[200:201], v[222:223]
	v_add_f64 v[110:111], v[110:111], v[116:117]
	v_mul_f64 v[116:117], v[198:199], v[222:223]
	s_waitcnt vmcnt(0)
	v_fma_f64 v[4:5], v[198:199], v[224:225], -v[4:5]
	v_fmac_f64_e32 v[116:117], v[200:201], v[224:225]
	v_add_f64 v[2:3], v[2:3], v[4:5]
	s_waitcnt lgkmcnt(0)
	v_mul_f64 v[4:5], v[204:205], v[218:219]
	v_add_f64 v[110:111], v[110:111], v[116:117]
	v_mul_f64 v[116:117], v[202:203], v[218:219]
	v_fma_f64 v[4:5], v[202:203], v[220:221], -v[4:5]
	v_fmac_f64_e32 v[116:117], v[204:205], v[220:221]
	v_add_f64 v[2:3], v[2:3], v[4:5]
	v_add_f64 v[110:111], v[110:111], v[116:117]
	v_add_f64 v[2:3], v[46:47], -v[2:3]
	v_add_f64 v[4:5], v[44:45], -v[110:111]
	buffer_store_dword v3, off, s[0:3], 0 offset:452
	buffer_store_dword v2, off, s[0:3], 0 offset:448
	;; [unrolled: 1-line block ×4, first 2 shown]
	s_and_saveexec_b64 s[4:5], vcc
	s_cbranch_execz .LBB54_291
; %bb.290:
	v_accvgpr_read_b32 v0, a138
	buffer_load_dword v2, v0, s[0:3], 0 offen
	buffer_load_dword v3, v0, s[0:3], 0 offen offset:4
	buffer_load_dword v4, v0, s[0:3], 0 offen offset:8
	;; [unrolled: 1-line block ×3, first 2 shown]
	v_accvgpr_read_b32 v0, a165
	buffer_store_dword v1, off, s[0:3], 0 offset:432
	buffer_store_dword v1, off, s[0:3], 0 offset:436
	;; [unrolled: 1-line block ×4, first 2 shown]
	s_waitcnt vmcnt(4)
	ds_write_b128 v0, v[2:5]
.LBB54_291:
	s_or_b64 exec, exec, s[4:5]
	s_waitcnt lgkmcnt(0)
	; wave barrier
	s_waitcnt lgkmcnt(0)
	buffer_load_dword v34, off, s[0:3], 0 offset:448
	buffer_load_dword v35, off, s[0:3], 0 offset:452
	;; [unrolled: 1-line block ×32, first 2 shown]
	ds_read_b128 v[30:33], v1 offset:1312
	ds_read_b128 v[26:29], v1 offset:1328
	ds_read_b128 v[22:25], v1 offset:1344
	ds_read_b128 v[18:21], v1 offset:1360
	ds_read_b128 v[10:13], v1 offset:1376
	ds_read_b128 v[6:9], v1 offset:1392
	ds_read_b128 v[2:5], v1 offset:1408
	ds_read_b128 v[14:17], v1 offset:1424
	buffer_load_dword v67, off, s[0:3], 0 offset:588
	buffer_load_dword v66, off, s[0:3], 0 offset:584
	;; [unrolled: 1-line block ×24, first 2 shown]
	v_cmp_lt_u32_e32 vcc, 25, v254
	s_waitcnt vmcnt(52) lgkmcnt(7)
	v_mul_f64 v[90:91], v[30:31], v[38:39]
	v_fmac_f64_e32 v[90:91], v[32:33], v[34:35]
	v_add_f64 v[90:91], v[90:91], 0
	v_mul_f64 v[32:33], v[32:33], v[38:39]
	s_waitcnt vmcnt(48) lgkmcnt(6)
	v_mul_f64 v[92:93], v[26:27], v[40:41]
	v_fmac_f64_e32 v[92:93], v[28:29], v[36:37]
	s_waitcnt vmcnt(46) lgkmcnt(5)
	v_mul_f64 v[94:95], v[22:23], v[42:43]
	v_add_f64 v[90:91], v[90:91], v[92:93]
	s_waitcnt vmcnt(44) lgkmcnt(4)
	v_mul_f64 v[96:97], v[18:19], v[48:49]
	v_fma_f64 v[30:31], v[30:31], v[34:35], -v[32:33]
	s_waitcnt vmcnt(42) lgkmcnt(1)
	v_mul_f64 v[124:125], v[2:3], v[50:51]
	v_mul_f64 v[28:29], v[28:29], v[40:41]
	s_waitcnt vmcnt(18) lgkmcnt(0)
	v_mul_f64 v[138:139], v[14:15], v[70:71]
	v_mul_f64 v[100:101], v[6:7], v[54:55]
	s_waitcnt vmcnt(16)
	v_fmac_f64_e32 v[138:139], v[16:17], v[72:73]
	v_mul_f64 v[98:99], v[10:11], v[56:57]
	v_add_f64 v[30:31], v[30:31], 0
	v_fmac_f64_e32 v[98:99], v[12:13], v[58:59]
	v_fma_f64 v[26:27], v[26:27], v[36:37], -v[28:29]
	v_fmac_f64_e32 v[94:95], v[24:25], v[64:65]
	v_add_f64 v[90:91], v[90:91], v[94:95]
	v_fmac_f64_e32 v[96:97], v[20:21], v[62:63]
	v_add_f64 v[90:91], v[90:91], v[96:97]
	;; [unrolled: 2-line block ×3, first 2 shown]
	v_add_f64 v[126:127], v[90:91], v[100:101]
	buffer_load_dword v91, off, s[0:3], 0 offset:684
	buffer_load_dword v90, off, s[0:3], 0 offset:680
	;; [unrolled: 1-line block ×56, first 2 shown]
	v_fmac_f64_e32 v[124:125], v[4:5], v[52:53]
	v_add_f64 v[136:137], v[126:127], v[124:125]
	ds_read_b128 v[124:127], v1 offset:1440
	buffer_load_dword v227, off, s[0:3], 0 offset:892
	buffer_load_dword v226, off, s[0:3], 0 offset:888
	;; [unrolled: 1-line block ×4, first 2 shown]
	v_add_f64 v[140:141], v[136:137], v[138:139]
	ds_read_b128 v[136:139], v1 offset:1456
	v_mul_f64 v[24:25], v[24:25], v[42:43]
	s_waitcnt lgkmcnt(1)
	v_mul_f64 v[142:143], v[124:125], v[66:67]
	v_fmac_f64_e32 v[142:143], v[126:127], v[68:69]
	v_add_f64 v[144:145], v[140:141], v[142:143]
	ds_read_b128 v[140:143], v1 offset:1472
	s_waitcnt vmcnt(62) lgkmcnt(1)
	v_mul_f64 v[146:147], v[136:137], v[78:79]
	v_fmac_f64_e32 v[146:147], v[138:139], v[80:81]
	v_add_f64 v[148:149], v[144:145], v[146:147]
	ds_read_b128 v[144:147], v1 offset:1488
	s_waitcnt lgkmcnt(1)
	v_mul_f64 v[150:151], v[140:141], v[74:75]
	v_fmac_f64_e32 v[150:151], v[142:143], v[76:77]
	v_add_f64 v[152:153], v[148:149], v[150:151]
	ds_read_b128 v[148:151], v1 offset:1504
	s_waitcnt lgkmcnt(1)
	v_mul_f64 v[154:155], v[144:145], v[86:87]
	s_waitcnt vmcnt(60)
	v_fmac_f64_e32 v[154:155], v[146:147], v[88:89]
	v_add_f64 v[156:157], v[152:153], v[154:155]
	ds_read_b128 v[152:155], v1 offset:1520
	s_waitcnt lgkmcnt(1)
	v_mul_f64 v[158:159], v[148:149], v[82:83]
	v_fmac_f64_e32 v[158:159], v[150:151], v[84:85]
	v_add_f64 v[160:161], v[156:157], v[158:159]
	ds_read_b128 v[156:159], v1 offset:1536
	v_add_f64 v[26:27], v[30:31], v[26:27]
	v_fma_f64 v[22:23], v[22:23], v[64:65], -v[24:25]
	s_waitcnt vmcnt(54) lgkmcnt(1)
	v_mul_f64 v[162:163], v[152:153], v[94:95]
	v_mul_f64 v[20:21], v[20:21], v[48:49]
	s_waitcnt vmcnt(52)
	v_fmac_f64_e32 v[162:163], v[154:155], v[96:97]
	v_add_f64 v[164:165], v[160:161], v[162:163]
	ds_read_b128 v[160:163], v1 offset:1552
	s_waitcnt lgkmcnt(1)
	v_mul_f64 v[166:167], v[156:157], v[90:91]
	v_fmac_f64_e32 v[166:167], v[158:159], v[92:93]
	v_add_f64 v[22:23], v[26:27], v[22:23]
	v_fma_f64 v[18:19], v[18:19], v[62:63], -v[20:21]
	v_mul_f64 v[12:13], v[12:13], v[56:57]
	v_add_f64 v[168:169], v[164:165], v[166:167]
	ds_read_b128 v[164:167], v1 offset:1568
	v_add_f64 v[18:19], v[22:23], v[18:19]
	v_fma_f64 v[10:11], v[10:11], v[58:59], -v[12:13]
	v_mul_f64 v[8:9], v[8:9], v[54:55]
	v_add_f64 v[10:11], v[18:19], v[10:11]
	v_fma_f64 v[6:7], v[6:7], v[60:61], -v[8:9]
	v_mul_f64 v[4:5], v[4:5], v[50:51]
	;; [unrolled: 3-line block ×3, first 2 shown]
	s_waitcnt vmcnt(46) lgkmcnt(1)
	v_mul_f64 v[170:171], v[160:161], v[102:103]
	v_add_f64 v[2:3], v[6:7], v[2:3]
	v_fma_f64 v[4:5], v[14:15], v[72:73], -v[4:5]
	s_waitcnt vmcnt(44)
	v_fmac_f64_e32 v[170:171], v[162:163], v[104:105]
	v_add_f64 v[2:3], v[2:3], v[4:5]
	v_mul_f64 v[4:5], v[126:127], v[66:67]
	v_add_f64 v[172:173], v[168:169], v[170:171]
	ds_read_b128 v[168:171], v1 offset:1584
	s_waitcnt lgkmcnt(1)
	v_mul_f64 v[174:175], v[164:165], v[98:99]
	v_fma_f64 v[4:5], v[124:125], v[68:69], -v[4:5]
	v_fmac_f64_e32 v[174:175], v[166:167], v[100:101]
	v_add_f64 v[2:3], v[2:3], v[4:5]
	v_mul_f64 v[4:5], v[138:139], v[78:79]
	v_add_f64 v[176:177], v[172:173], v[174:175]
	ds_read_b128 v[172:175], v1 offset:1600
	v_fma_f64 v[4:5], v[136:137], v[80:81], -v[4:5]
	v_add_f64 v[2:3], v[2:3], v[4:5]
	v_mul_f64 v[4:5], v[142:143], v[74:75]
	v_fma_f64 v[4:5], v[140:141], v[76:77], -v[4:5]
	s_waitcnt vmcnt(38) lgkmcnt(1)
	v_mul_f64 v[178:179], v[168:169], v[110:111]
	v_add_f64 v[2:3], v[2:3], v[4:5]
	v_mul_f64 v[4:5], v[146:147], v[86:87]
	s_waitcnt vmcnt(36)
	v_fmac_f64_e32 v[178:179], v[170:171], v[112:113]
	v_fma_f64 v[4:5], v[144:145], v[88:89], -v[4:5]
	v_add_f64 v[180:181], v[176:177], v[178:179]
	ds_read_b128 v[176:179], v1 offset:1616
	s_waitcnt lgkmcnt(1)
	v_mul_f64 v[182:183], v[172:173], v[106:107]
	v_add_f64 v[2:3], v[2:3], v[4:5]
	v_mul_f64 v[4:5], v[150:151], v[82:83]
	v_fmac_f64_e32 v[182:183], v[174:175], v[108:109]
	v_fma_f64 v[4:5], v[148:149], v[84:85], -v[4:5]
	v_add_f64 v[184:185], v[180:181], v[182:183]
	ds_read_b128 v[180:183], v1 offset:1632
	v_add_f64 v[2:3], v[2:3], v[4:5]
	v_mul_f64 v[4:5], v[154:155], v[94:95]
	v_fma_f64 v[4:5], v[152:153], v[96:97], -v[4:5]
	v_add_f64 v[2:3], v[2:3], v[4:5]
	v_mul_f64 v[4:5], v[158:159], v[90:91]
	s_waitcnt vmcnt(30) lgkmcnt(1)
	v_mul_f64 v[186:187], v[176:177], v[120:121]
	v_fma_f64 v[4:5], v[156:157], v[92:93], -v[4:5]
	s_waitcnt vmcnt(28)
	v_fmac_f64_e32 v[186:187], v[178:179], v[122:123]
	v_add_f64 v[2:3], v[2:3], v[4:5]
	v_mul_f64 v[4:5], v[162:163], v[102:103]
	v_add_f64 v[188:189], v[184:185], v[186:187]
	ds_read_b128 v[184:187], v1 offset:1648
	s_waitcnt lgkmcnt(1)
	v_mul_f64 v[190:191], v[180:181], v[114:115]
	v_fma_f64 v[4:5], v[160:161], v[104:105], -v[4:5]
	v_fmac_f64_e32 v[190:191], v[182:183], v[116:117]
	v_add_f64 v[2:3], v[2:3], v[4:5]
	v_mul_f64 v[4:5], v[166:167], v[98:99]
	v_add_f64 v[192:193], v[188:189], v[190:191]
	ds_read_b128 v[188:191], v1 offset:1664
	v_fma_f64 v[4:5], v[164:165], v[100:101], -v[4:5]
	v_add_f64 v[2:3], v[2:3], v[4:5]
	v_mul_f64 v[4:5], v[170:171], v[110:111]
	v_fma_f64 v[4:5], v[168:169], v[112:113], -v[4:5]
	s_waitcnt vmcnt(22) lgkmcnt(1)
	v_mul_f64 v[194:195], v[184:185], v[132:133]
	v_add_f64 v[2:3], v[2:3], v[4:5]
	v_mul_f64 v[4:5], v[174:175], v[106:107]
	s_waitcnt vmcnt(20)
	v_fmac_f64_e32 v[194:195], v[186:187], v[134:135]
	v_fma_f64 v[4:5], v[172:173], v[108:109], -v[4:5]
	v_add_f64 v[196:197], v[192:193], v[194:195]
	ds_read_b128 v[192:195], v1 offset:1680
	s_waitcnt lgkmcnt(1)
	v_mul_f64 v[198:199], v[188:189], v[128:129]
	v_add_f64 v[2:3], v[2:3], v[4:5]
	v_mul_f64 v[4:5], v[178:179], v[120:121]
	v_fmac_f64_e32 v[198:199], v[190:191], v[130:131]
	v_fma_f64 v[4:5], v[176:177], v[122:123], -v[4:5]
	v_add_f64 v[200:201], v[196:197], v[198:199]
	ds_read_b128 v[196:199], v1 offset:1696
	v_add_f64 v[2:3], v[2:3], v[4:5]
	v_mul_f64 v[4:5], v[182:183], v[114:115]
	v_fma_f64 v[4:5], v[180:181], v[116:117], -v[4:5]
	v_add_f64 v[2:3], v[2:3], v[4:5]
	v_mul_f64 v[4:5], v[186:187], v[132:133]
	s_waitcnt vmcnt(14) lgkmcnt(1)
	v_mul_f64 v[202:203], v[192:193], v[214:215]
	v_fma_f64 v[4:5], v[184:185], v[134:135], -v[4:5]
	s_waitcnt vmcnt(12)
	v_fmac_f64_e32 v[202:203], v[194:195], v[216:217]
	v_add_f64 v[2:3], v[2:3], v[4:5]
	v_mul_f64 v[4:5], v[190:191], v[128:129]
	v_add_f64 v[204:205], v[200:201], v[202:203]
	ds_read_b128 v[200:203], v1 offset:1712
	s_waitcnt lgkmcnt(1)
	v_mul_f64 v[206:207], v[196:197], v[118:119]
	v_fma_f64 v[4:5], v[188:189], v[130:131], -v[4:5]
	v_fmac_f64_e32 v[206:207], v[198:199], v[212:213]
	v_add_f64 v[2:3], v[2:3], v[4:5]
	v_mul_f64 v[4:5], v[194:195], v[214:215]
	v_add_f64 v[230:231], v[204:205], v[206:207]
	ds_read_b128 v[204:207], v1 offset:1728
	v_fma_f64 v[4:5], v[192:193], v[216:217], -v[4:5]
	v_add_f64 v[2:3], v[2:3], v[4:5]
	v_mul_f64 v[4:5], v[198:199], v[118:119]
	ds_read_b128 v[208:211], v1 offset:1744
	v_fma_f64 v[4:5], v[196:197], v[212:213], -v[4:5]
	v_add_f64 v[2:3], v[2:3], v[4:5]
	s_waitcnt vmcnt(6) lgkmcnt(2)
	v_mul_f64 v[4:5], v[202:203], v[222:223]
	v_mul_f64 v[232:233], v[200:201], v[222:223]
	s_waitcnt vmcnt(4)
	v_fma_f64 v[4:5], v[200:201], v[224:225], -v[4:5]
	v_fmac_f64_e32 v[232:233], v[202:203], v[224:225]
	v_add_f64 v[2:3], v[2:3], v[4:5]
	s_waitcnt lgkmcnt(1)
	v_mul_f64 v[4:5], v[206:207], v[218:219]
	v_add_f64 v[230:231], v[230:231], v[232:233]
	v_mul_f64 v[232:233], v[204:205], v[218:219]
	v_fma_f64 v[4:5], v[204:205], v[220:221], -v[4:5]
	v_fmac_f64_e32 v[232:233], v[206:207], v[220:221]
	v_add_f64 v[2:3], v[2:3], v[4:5]
	s_waitcnt vmcnt(2) lgkmcnt(0)
	v_mul_f64 v[4:5], v[210:211], v[226:227]
	v_add_f64 v[230:231], v[230:231], v[232:233]
	v_mul_f64 v[232:233], v[208:209], v[226:227]
	s_waitcnt vmcnt(0)
	v_fma_f64 v[4:5], v[208:209], v[228:229], -v[4:5]
	v_fmac_f64_e32 v[232:233], v[210:211], v[228:229]
	v_add_f64 v[2:3], v[2:3], v[4:5]
	v_add_f64 v[230:231], v[230:231], v[232:233]
	v_add_f64 v[2:3], v[46:47], -v[2:3]
	v_add_f64 v[4:5], v[44:45], -v[230:231]
	buffer_store_dword v3, off, s[0:3], 0 offset:436
	buffer_store_dword v2, off, s[0:3], 0 offset:432
	;; [unrolled: 1-line block ×4, first 2 shown]
	s_and_saveexec_b64 s[4:5], vcc
	s_cbranch_execz .LBB54_293
; %bb.292:
	v_accvgpr_read_b32 v0, a139
	buffer_load_dword v2, v0, s[0:3], 0 offen
	buffer_load_dword v3, v0, s[0:3], 0 offen offset:4
	buffer_load_dword v4, v0, s[0:3], 0 offen offset:8
	;; [unrolled: 1-line block ×3, first 2 shown]
	v_mov_b32_e32 v0, 0
	v_accvgpr_read_b32 v1, a165
	buffer_store_dword v0, off, s[0:3], 0 offset:416
	buffer_store_dword v0, off, s[0:3], 0 offset:420
	;; [unrolled: 1-line block ×4, first 2 shown]
	s_waitcnt vmcnt(4)
	ds_write_b128 v1, v[2:5]
.LBB54_293:
	s_or_b64 exec, exec, s[4:5]
	s_waitcnt lgkmcnt(0)
	; wave barrier
	s_waitcnt lgkmcnt(0)
	buffer_load_dword v38, off, s[0:3], 0 offset:432
	buffer_load_dword v39, off, s[0:3], 0 offset:436
	;; [unrolled: 1-line block ×48, first 2 shown]
	v_mov_b32_e32 v1, 0
	ds_read_b128 v[34:37], v1 offset:1296
	ds_read_b128 v[30:33], v1 offset:1312
	;; [unrolled: 1-line block ×9, first 2 shown]
	v_cmp_lt_u32_e32 vcc, 24, v254
	s_waitcnt vmcnt(44) lgkmcnt(8)
	v_mul_f64 v[86:87], v[34:35], v[42:43]
	v_fmac_f64_e32 v[86:87], v[36:37], v[38:39]
	v_add_f64 v[86:87], v[86:87], 0
	v_mul_f64 v[36:37], v[36:37], v[42:43]
	s_waitcnt vmcnt(40) lgkmcnt(7)
	v_mul_f64 v[88:89], v[30:31], v[44:45]
	v_fmac_f64_e32 v[88:89], v[32:33], v[40:41]
	s_waitcnt vmcnt(38) lgkmcnt(6)
	v_mul_f64 v[90:91], v[26:27], v[46:47]
	v_add_f64 v[86:87], v[86:87], v[88:89]
	s_waitcnt vmcnt(36) lgkmcnt(4)
	v_mul_f64 v[94:95], v[18:19], v[48:49]
	v_fma_f64 v[34:35], v[34:35], v[38:39], -v[36:37]
	s_waitcnt vmcnt(34)
	v_fmac_f64_e32 v[94:95], v[20:21], v[50:51]
	v_mul_f64 v[32:33], v[32:33], v[44:45]
	s_waitcnt vmcnt(32)
	v_mul_f64 v[92:93], v[22:23], v[52:53]
	v_add_f64 v[34:35], v[34:35], 0
	s_waitcnt vmcnt(30) lgkmcnt(2)
	v_mul_f64 v[98:99], v[10:11], v[54:55]
	v_fma_f64 v[30:31], v[30:31], v[40:41], -v[32:33]
	s_waitcnt vmcnt(28)
	v_fmac_f64_e32 v[98:99], v[12:13], v[56:57]
	v_add_f64 v[30:31], v[34:35], v[30:31]
	s_waitcnt vmcnt(26)
	v_mul_f64 v[96:97], v[14:15], v[58:59]
	v_mul_f64 v[20:21], v[20:21], v[48:49]
	v_fma_f64 v[18:19], v[18:19], v[50:51], -v[20:21]
	v_mul_f64 v[12:13], v[12:13], v[54:55]
	s_waitcnt vmcnt(22) lgkmcnt(1)
	v_mul_f64 v[110:111], v[6:7], v[68:69]
	v_fma_f64 v[10:11], v[10:11], v[56:57], -v[12:13]
	s_waitcnt vmcnt(20)
	v_fmac_f64_e32 v[90:91], v[28:29], v[76:77]
	v_add_f64 v[86:87], v[86:87], v[90:91]
	s_waitcnt vmcnt(18)
	v_fmac_f64_e32 v[92:93], v[24:25], v[74:75]
	v_add_f64 v[86:87], v[86:87], v[92:93]
	;; [unrolled: 3-line block ×3, first 2 shown]
	v_add_f64 v[86:87], v[86:87], v[96:97]
	v_add_f64 v[112:113], v[86:87], v[98:99]
	buffer_load_dword v87, off, s[0:3], 0 offset:636
	buffer_load_dword v86, off, s[0:3], 0 offset:632
	;; [unrolled: 1-line block ×72, first 2 shown]
	s_waitcnt vmcnt(62)
	v_fmac_f64_e32 v[110:111], v[8:9], v[70:71]
	v_add_f64 v[144:145], v[112:113], v[110:111]
	ds_read_b128 v[110:113], v1 offset:1440
	s_waitcnt lgkmcnt(1)
	v_mul_f64 v[146:147], v[2:3], v[64:65]
	v_fmac_f64_e32 v[146:147], v[4:5], v[66:67]
	v_add_f64 v[148:149], v[144:145], v[146:147]
	ds_read_b128 v[144:147], v1 offset:1456
	s_waitcnt lgkmcnt(1)
	v_mul_f64 v[150:151], v[110:111], v[82:83]
	;; [unrolled: 5-line block ×5, first 2 shown]
	v_fmac_f64_e32 v[162:163], v[154:155], v[88:89]
	v_add_f64 v[164:165], v[160:161], v[162:163]
	ds_read_b128 v[160:163], v1 offset:1520
	s_waitcnt vmcnt(58) lgkmcnt(1)
	v_mul_f64 v[166:167], v[156:157], v[98:99]
	s_waitcnt vmcnt(56)
	v_fmac_f64_e32 v[166:167], v[158:159], v[100:101]
	v_add_f64 v[168:169], v[164:165], v[166:167]
	ds_read_b128 v[164:167], v1 offset:1536
	s_waitcnt lgkmcnt(1)
	v_mul_f64 v[170:171], v[160:161], v[94:95]
	v_fmac_f64_e32 v[170:171], v[162:163], v[96:97]
	v_mul_f64 v[28:29], v[28:29], v[46:47]
	v_add_f64 v[172:173], v[168:169], v[170:171]
	ds_read_b128 v[168:171], v1 offset:1552
	s_waitcnt vmcnt(50) lgkmcnt(1)
	v_mul_f64 v[174:175], v[164:165], v[106:107]
	v_fma_f64 v[26:27], v[26:27], v[76:77], -v[28:29]
	v_mul_f64 v[24:25], v[24:25], v[52:53]
	s_waitcnt vmcnt(48)
	v_fmac_f64_e32 v[174:175], v[166:167], v[108:109]
	v_add_f64 v[26:27], v[30:31], v[26:27]
	v_fma_f64 v[22:23], v[22:23], v[74:75], -v[24:25]
	v_add_f64 v[176:177], v[172:173], v[174:175]
	ds_read_b128 v[172:175], v1 offset:1568
	v_add_f64 v[22:23], v[26:27], v[22:23]
	v_mul_f64 v[16:17], v[16:17], v[58:59]
	v_add_f64 v[18:19], v[22:23], v[18:19]
	v_fma_f64 v[14:15], v[14:15], v[72:73], -v[16:17]
	v_add_f64 v[14:15], v[18:19], v[14:15]
	v_mul_f64 v[8:9], v[8:9], v[68:69]
	s_waitcnt lgkmcnt(1)
	v_mul_f64 v[178:179], v[168:169], v[102:103]
	v_add_f64 v[10:11], v[14:15], v[10:11]
	v_fma_f64 v[6:7], v[6:7], v[70:71], -v[8:9]
	v_mul_f64 v[4:5], v[4:5], v[64:65]
	v_fmac_f64_e32 v[178:179], v[170:171], v[104:105]
	v_add_f64 v[6:7], v[10:11], v[6:7]
	v_fma_f64 v[2:3], v[2:3], v[66:67], -v[4:5]
	v_mul_f64 v[4:5], v[112:113], v[82:83]
	v_add_f64 v[180:181], v[176:177], v[178:179]
	ds_read_b128 v[176:179], v1 offset:1584
	s_waitcnt vmcnt(42) lgkmcnt(1)
	v_mul_f64 v[182:183], v[172:173], v[120:121]
	v_add_f64 v[2:3], v[6:7], v[2:3]
	v_fma_f64 v[4:5], v[110:111], v[84:85], -v[4:5]
	s_waitcnt vmcnt(40)
	v_fmac_f64_e32 v[182:183], v[174:175], v[122:123]
	v_add_f64 v[2:3], v[2:3], v[4:5]
	v_mul_f64 v[4:5], v[146:147], v[78:79]
	v_add_f64 v[184:185], v[180:181], v[182:183]
	ds_read_b128 v[180:183], v1 offset:1600
	v_fma_f64 v[4:5], v[144:145], v[80:81], -v[4:5]
	v_add_f64 v[2:3], v[2:3], v[4:5]
	v_mul_f64 v[4:5], v[150:151], v[90:91]
	v_fma_f64 v[4:5], v[148:149], v[92:93], -v[4:5]
	s_waitcnt lgkmcnt(1)
	v_mul_f64 v[186:187], v[176:177], v[114:115]
	v_add_f64 v[2:3], v[2:3], v[4:5]
	v_mul_f64 v[4:5], v[154:155], v[86:87]
	v_fmac_f64_e32 v[186:187], v[178:179], v[116:117]
	v_fma_f64 v[4:5], v[152:153], v[88:89], -v[4:5]
	v_add_f64 v[188:189], v[184:185], v[186:187]
	ds_read_b128 v[184:187], v1 offset:1616
	s_waitcnt vmcnt(34) lgkmcnt(1)
	v_mul_f64 v[190:191], v[180:181], v[128:129]
	v_add_f64 v[2:3], v[2:3], v[4:5]
	v_mul_f64 v[4:5], v[158:159], v[98:99]
	s_waitcnt vmcnt(32)
	v_fmac_f64_e32 v[190:191], v[182:183], v[130:131]
	v_fma_f64 v[4:5], v[156:157], v[100:101], -v[4:5]
	v_add_f64 v[192:193], v[188:189], v[190:191]
	ds_read_b128 v[188:191], v1 offset:1632
	v_add_f64 v[2:3], v[2:3], v[4:5]
	v_mul_f64 v[4:5], v[162:163], v[94:95]
	v_fma_f64 v[4:5], v[160:161], v[96:97], -v[4:5]
	v_add_f64 v[2:3], v[2:3], v[4:5]
	v_mul_f64 v[4:5], v[166:167], v[106:107]
	s_waitcnt lgkmcnt(1)
	v_mul_f64 v[194:195], v[184:185], v[124:125]
	v_fma_f64 v[4:5], v[164:165], v[108:109], -v[4:5]
	v_fmac_f64_e32 v[194:195], v[186:187], v[126:127]
	v_add_f64 v[2:3], v[2:3], v[4:5]
	v_mul_f64 v[4:5], v[170:171], v[102:103]
	v_add_f64 v[196:197], v[192:193], v[194:195]
	ds_read_b128 v[192:195], v1 offset:1648
	s_waitcnt vmcnt(26) lgkmcnt(1)
	v_mul_f64 v[198:199], v[188:189], v[136:137]
	v_fma_f64 v[4:5], v[168:169], v[104:105], -v[4:5]
	s_waitcnt vmcnt(24)
	v_fmac_f64_e32 v[198:199], v[190:191], v[138:139]
	v_add_f64 v[2:3], v[2:3], v[4:5]
	v_mul_f64 v[4:5], v[174:175], v[120:121]
	v_add_f64 v[200:201], v[196:197], v[198:199]
	ds_read_b128 v[196:199], v1 offset:1664
	v_fma_f64 v[4:5], v[172:173], v[122:123], -v[4:5]
	v_add_f64 v[2:3], v[2:3], v[4:5]
	v_mul_f64 v[4:5], v[178:179], v[114:115]
	v_fma_f64 v[4:5], v[176:177], v[116:117], -v[4:5]
	s_waitcnt lgkmcnt(1)
	v_mul_f64 v[202:203], v[192:193], v[132:133]
	v_add_f64 v[2:3], v[2:3], v[4:5]
	v_mul_f64 v[4:5], v[182:183], v[128:129]
	v_fmac_f64_e32 v[202:203], v[194:195], v[134:135]
	v_fma_f64 v[4:5], v[180:181], v[130:131], -v[4:5]
	v_add_f64 v[204:205], v[200:201], v[202:203]
	ds_read_b128 v[200:203], v1 offset:1680
	s_waitcnt vmcnt(18) lgkmcnt(1)
	v_mul_f64 v[206:207], v[196:197], v[118:119]
	v_add_f64 v[2:3], v[2:3], v[4:5]
	v_mul_f64 v[4:5], v[186:187], v[124:125]
	s_waitcnt vmcnt(16)
	v_fmac_f64_e32 v[206:207], v[198:199], v[220:221]
	v_fma_f64 v[4:5], v[184:185], v[126:127], -v[4:5]
	v_add_f64 v[208:209], v[204:205], v[206:207]
	ds_read_b128 v[204:207], v1 offset:1696
	v_add_f64 v[2:3], v[2:3], v[4:5]
	v_mul_f64 v[4:5], v[190:191], v[136:137]
	v_fma_f64 v[4:5], v[188:189], v[138:139], -v[4:5]
	v_add_f64 v[2:3], v[2:3], v[4:5]
	v_mul_f64 v[4:5], v[194:195], v[132:133]
	s_waitcnt lgkmcnt(1)
	v_mul_f64 v[210:211], v[200:201], v[140:141]
	v_fma_f64 v[4:5], v[192:193], v[134:135], -v[4:5]
	v_fmac_f64_e32 v[210:211], v[202:203], v[142:143]
	v_add_f64 v[2:3], v[2:3], v[4:5]
	v_mul_f64 v[4:5], v[198:199], v[118:119]
	v_add_f64 v[212:213], v[208:209], v[210:211]
	ds_read_b128 v[208:211], v1 offset:1712
	s_waitcnt vmcnt(10) lgkmcnt(1)
	v_mul_f64 v[214:215], v[204:205], v[226:227]
	v_fma_f64 v[4:5], v[196:197], v[220:221], -v[4:5]
	s_waitcnt vmcnt(8)
	v_fmac_f64_e32 v[214:215], v[206:207], v[228:229]
	v_add_f64 v[2:3], v[2:3], v[4:5]
	v_mul_f64 v[4:5], v[202:203], v[140:141]
	v_add_f64 v[238:239], v[212:213], v[214:215]
	ds_read_b128 v[212:215], v1 offset:1728
	ds_read_b128 v[216:219], v1 offset:1744
	v_fma_f64 v[4:5], v[200:201], v[142:143], -v[4:5]
	v_add_f64 v[2:3], v[2:3], v[4:5]
	v_mul_f64 v[4:5], v[206:207], v[226:227]
	v_fma_f64 v[4:5], v[204:205], v[228:229], -v[4:5]
	v_add_f64 v[2:3], v[2:3], v[4:5]
	s_waitcnt lgkmcnt(2)
	v_mul_f64 v[4:5], v[210:211], v[222:223]
	v_mul_f64 v[240:241], v[208:209], v[222:223]
	v_fma_f64 v[4:5], v[208:209], v[224:225], -v[4:5]
	v_fmac_f64_e32 v[240:241], v[210:211], v[224:225]
	v_add_f64 v[2:3], v[2:3], v[4:5]
	s_waitcnt vmcnt(2) lgkmcnt(1)
	v_mul_f64 v[4:5], v[214:215], v[234:235]
	v_add_f64 v[238:239], v[238:239], v[240:241]
	v_mul_f64 v[240:241], v[212:213], v[234:235]
	s_waitcnt vmcnt(0)
	v_fma_f64 v[4:5], v[212:213], v[236:237], -v[4:5]
	v_fmac_f64_e32 v[240:241], v[214:215], v[236:237]
	v_add_f64 v[2:3], v[2:3], v[4:5]
	s_waitcnt lgkmcnt(0)
	v_mul_f64 v[4:5], v[218:219], v[230:231]
	v_add_f64 v[238:239], v[238:239], v[240:241]
	v_mul_f64 v[240:241], v[216:217], v[230:231]
	v_fma_f64 v[4:5], v[216:217], v[232:233], -v[4:5]
	v_fmac_f64_e32 v[240:241], v[218:219], v[232:233]
	v_add_f64 v[2:3], v[2:3], v[4:5]
	v_add_f64 v[238:239], v[238:239], v[240:241]
	v_add_f64 v[2:3], v[62:63], -v[2:3]
	v_add_f64 v[4:5], v[60:61], -v[238:239]
	buffer_store_dword v3, off, s[0:3], 0 offset:420
	buffer_store_dword v2, off, s[0:3], 0 offset:416
	;; [unrolled: 1-line block ×4, first 2 shown]
	s_and_saveexec_b64 s[4:5], vcc
	s_cbranch_execz .LBB54_295
; %bb.294:
	v_accvgpr_read_b32 v0, a140
	buffer_load_dword v2, v0, s[0:3], 0 offen
	buffer_load_dword v3, v0, s[0:3], 0 offen offset:4
	buffer_load_dword v4, v0, s[0:3], 0 offen offset:8
	buffer_load_dword v5, v0, s[0:3], 0 offen offset:12
	v_accvgpr_read_b32 v0, a165
	buffer_store_dword v1, off, s[0:3], 0 offset:400
	buffer_store_dword v1, off, s[0:3], 0 offset:404
	buffer_store_dword v1, off, s[0:3], 0 offset:408
	buffer_store_dword v1, off, s[0:3], 0 offset:412
	s_waitcnt vmcnt(4)
	ds_write_b128 v0, v[2:5]
.LBB54_295:
	s_or_b64 exec, exec, s[4:5]
	s_waitcnt lgkmcnt(0)
	; wave barrier
	s_waitcnt lgkmcnt(0)
	buffer_load_dword v48, off, s[0:3], 0 offset:416
	buffer_load_dword v49, off, s[0:3], 0 offset:420
	;; [unrolled: 1-line block ×40, first 2 shown]
	ds_read_b128 v[38:41], v1 offset:1280
	ds_read_b128 v[34:37], v1 offset:1296
	;; [unrolled: 1-line block ×10, first 2 shown]
	buffer_load_dword v83, off, s[0:3], 0 offset:588
	buffer_load_dword v82, off, s[0:3], 0 offset:584
	;; [unrolled: 1-line block ×8, first 2 shown]
	v_cmp_lt_u32_e32 vcc, 23, v254
	s_waitcnt vmcnt(44) lgkmcnt(9)
	v_mul_f64 v[90:91], v[38:39], v[50:51]
	v_fmac_f64_e32 v[90:91], v[40:41], v[48:49]
	v_add_f64 v[90:91], v[90:91], 0
	v_mul_f64 v[40:41], v[40:41], v[50:51]
	s_waitcnt vmcnt(40) lgkmcnt(8)
	v_mul_f64 v[92:93], v[34:35], v[44:45]
	v_fmac_f64_e32 v[92:93], v[36:37], v[42:43]
	s_waitcnt vmcnt(38) lgkmcnt(7)
	v_mul_f64 v[94:95], v[30:31], v[46:47]
	v_add_f64 v[90:91], v[90:91], v[92:93]
	s_waitcnt vmcnt(36) lgkmcnt(5)
	v_mul_f64 v[98:99], v[22:23], v[52:53]
	v_mul_f64 v[36:37], v[36:37], v[44:45]
	s_waitcnt vmcnt(34)
	v_fmac_f64_e32 v[98:99], v[24:25], v[54:55]
	v_fma_f64 v[34:35], v[34:35], v[42:43], -v[36:37]
	s_waitcnt vmcnt(32)
	v_mul_f64 v[96:97], v[26:27], v[56:57]
	v_mul_f64 v[24:25], v[24:25], v[52:53]
	s_waitcnt vmcnt(30) lgkmcnt(4)
	v_mul_f64 v[100:101], v[18:19], v[62:63]
	v_fma_f64 v[22:23], v[22:23], v[54:55], -v[24:25]
	s_waitcnt vmcnt(28) lgkmcnt(1)
	v_mul_f64 v[124:125], v[2:3], v[64:65]
	s_waitcnt vmcnt(25)
	v_mul_f64 v[104:105], v[6:7], v[68:69]
	s_waitcnt vmcnt(23)
	;; [unrolled: 2-line block ×3, first 2 shown]
	v_fmac_f64_e32 v[102:103], v[12:13], v[72:73]
	v_mul_f64 v[12:13], v[12:13], v[70:71]
	s_waitcnt vmcnt(19)
	v_fmac_f64_e32 v[94:95], v[32:33], v[80:81]
	v_add_f64 v[90:91], v[90:91], v[94:95]
	s_waitcnt vmcnt(17)
	v_fmac_f64_e32 v[96:97], v[28:29], v[78:79]
	v_add_f64 v[90:91], v[90:91], v[96:97]
	;; [unrolled: 3-line block ×3, first 2 shown]
	v_add_f64 v[90:91], v[90:91], v[100:101]
	s_waitcnt vmcnt(13)
	v_fmac_f64_e32 v[104:105], v[8:9], v[74:75]
	v_add_f64 v[90:91], v[90:91], v[102:103]
	v_add_f64 v[126:127], v[90:91], v[104:105]
	buffer_load_dword v91, off, s[0:3], 0 offset:620
	buffer_load_dword v90, off, s[0:3], 0 offset:616
	;; [unrolled: 1-line block ×72, first 2 shown]
	s_waitcnt vmcnt(62)
	v_fmac_f64_e32 v[124:125], v[4:5], v[66:67]
	v_add_f64 v[152:153], v[126:127], v[124:125]
	ds_read_b128 v[124:127], v1 offset:1440
	s_waitcnt lgkmcnt(1)
	v_mul_f64 v[154:155], v[14:15], v[86:87]
	v_fmac_f64_e32 v[154:155], v[16:17], v[88:89]
	buffer_load_dword v235, off, s[0:3], 0 offset:892
	buffer_load_dword v234, off, s[0:3], 0 offset:888
	;; [unrolled: 1-line block ×4, first 2 shown]
	v_add_f64 v[156:157], v[152:153], v[154:155]
	s_waitcnt lgkmcnt(0)
	v_mul_f64 v[158:159], v[124:125], v[82:83]
	ds_read_b128 v[152:155], v1 offset:1456
	v_fmac_f64_e32 v[158:159], v[126:127], v[84:85]
	v_add_f64 v[160:161], v[156:157], v[158:159]
	ds_read_b128 v[156:159], v1 offset:1472
	v_mul_f64 v[32:33], v[32:33], v[46:47]
	s_waitcnt lgkmcnt(1)
	v_mul_f64 v[162:163], v[152:153], v[94:95]
	v_fma_f64 v[30:31], v[30:31], v[80:81], -v[32:33]
	v_fmac_f64_e32 v[162:163], v[154:155], v[96:97]
	s_waitcnt lgkmcnt(0)
	v_mul_f64 v[166:167], v[156:157], v[90:91]
	v_add_f64 v[164:165], v[160:161], v[162:163]
	ds_read_b128 v[160:163], v1 offset:1488
	v_fmac_f64_e32 v[166:167], v[158:159], v[92:93]
	v_add_f64 v[168:169], v[164:165], v[166:167]
	ds_read_b128 v[164:167], v1 offset:1504
	v_mul_f64 v[28:29], v[28:29], v[56:57]
	s_waitcnt vmcnt(62) lgkmcnt(1)
	v_mul_f64 v[170:171], v[160:161], v[102:103]
	s_waitcnt vmcnt(60)
	v_fmac_f64_e32 v[170:171], v[162:163], v[104:105]
	v_add_f64 v[172:173], v[168:169], v[170:171]
	s_waitcnt lgkmcnt(0)
	v_mul_f64 v[174:175], v[164:165], v[98:99]
	ds_read_b128 v[168:171], v1 offset:1520
	v_fmac_f64_e32 v[174:175], v[166:167], v[100:101]
	v_add_f64 v[176:177], v[172:173], v[174:175]
	ds_read_b128 v[172:175], v1 offset:1536
	v_fma_f64 v[26:27], v[26:27], v[78:79], -v[28:29]
	s_waitcnt vmcnt(54) lgkmcnt(1)
	v_mul_f64 v[178:179], v[168:169], v[110:111]
	s_waitcnt vmcnt(52)
	v_fmac_f64_e32 v[178:179], v[170:171], v[112:113]
	v_add_f64 v[180:181], v[176:177], v[178:179]
	s_waitcnt lgkmcnt(0)
	v_mul_f64 v[182:183], v[172:173], v[106:107]
	ds_read_b128 v[176:179], v1 offset:1552
	v_fmac_f64_e32 v[182:183], v[174:175], v[108:109]
	v_add_f64 v[184:185], v[180:181], v[182:183]
	ds_read_b128 v[180:183], v1 offset:1568
	v_mul_f64 v[20:21], v[20:21], v[62:63]
	s_waitcnt vmcnt(46) lgkmcnt(1)
	v_mul_f64 v[186:187], v[176:177], v[120:121]
	s_waitcnt vmcnt(44)
	v_fmac_f64_e32 v[186:187], v[178:179], v[122:123]
	v_add_f64 v[188:189], v[184:185], v[186:187]
	s_waitcnt lgkmcnt(0)
	v_mul_f64 v[190:191], v[180:181], v[114:115]
	ds_read_b128 v[184:187], v1 offset:1584
	v_fmac_f64_e32 v[190:191], v[182:183], v[116:117]
	v_add_f64 v[192:193], v[188:189], v[190:191]
	ds_read_b128 v[188:191], v1 offset:1600
	v_fma_f64 v[18:19], v[18:19], v[76:77], -v[20:21]
	s_waitcnt vmcnt(38) lgkmcnt(1)
	v_mul_f64 v[194:195], v[184:185], v[132:133]
	s_waitcnt vmcnt(36)
	v_fmac_f64_e32 v[194:195], v[186:187], v[134:135]
	v_add_f64 v[196:197], v[192:193], v[194:195]
	s_waitcnt lgkmcnt(0)
	v_mul_f64 v[198:199], v[188:189], v[128:129]
	ds_read_b128 v[192:195], v1 offset:1616
	v_fmac_f64_e32 v[198:199], v[190:191], v[130:131]
	v_add_f64 v[200:201], v[196:197], v[198:199]
	ds_read_b128 v[196:199], v1 offset:1632
	v_fma_f64 v[10:11], v[10:11], v[72:73], -v[12:13]
	s_waitcnt vmcnt(30) lgkmcnt(1)
	v_mul_f64 v[202:203], v[192:193], v[140:141]
	s_waitcnt vmcnt(28)
	v_fmac_f64_e32 v[202:203], v[194:195], v[142:143]
	v_add_f64 v[204:205], v[200:201], v[202:203]
	s_waitcnt lgkmcnt(0)
	v_mul_f64 v[206:207], v[196:197], v[136:137]
	ds_read_b128 v[200:203], v1 offset:1648
	v_fmac_f64_e32 v[206:207], v[198:199], v[138:139]
	v_add_f64 v[208:209], v[204:205], v[206:207]
	ds_read_b128 v[204:207], v1 offset:1664
	v_mul_f64 v[8:9], v[8:9], v[68:69]
	s_waitcnt vmcnt(22) lgkmcnt(1)
	v_mul_f64 v[210:211], v[200:201], v[148:149]
	s_waitcnt vmcnt(20)
	v_fmac_f64_e32 v[210:211], v[202:203], v[150:151]
	v_add_f64 v[212:213], v[208:209], v[210:211]
	s_waitcnt lgkmcnt(0)
	v_mul_f64 v[214:215], v[204:205], v[144:145]
	ds_read_b128 v[208:211], v1 offset:1680
	v_fmac_f64_e32 v[214:215], v[206:207], v[146:147]
	v_add_f64 v[216:217], v[212:213], v[214:215]
	ds_read_b128 v[212:215], v1 offset:1696
	v_fma_f64 v[6:7], v[6:7], v[74:75], -v[8:9]
	s_waitcnt vmcnt(14) lgkmcnt(1)
	v_mul_f64 v[218:219], v[208:209], v[222:223]
	s_waitcnt vmcnt(12)
	v_fmac_f64_e32 v[218:219], v[210:211], v[224:225]
	v_add_f64 v[238:239], v[216:217], v[218:219]
	s_waitcnt lgkmcnt(0)
	v_mul_f64 v[240:241], v[212:213], v[118:119]
	v_fmac_f64_e32 v[240:241], v[214:215], v[220:221]
	v_add_f64 v[238:239], v[238:239], v[240:241]
	v_fma_f64 v[240:241], v[38:39], v[48:49], -v[40:41]
	v_add_f64 v[240:241], v[240:241], 0
	v_add_f64 v[34:35], v[240:241], v[34:35]
	;; [unrolled: 1-line block ×7, first 2 shown]
	v_mul_f64 v[4:5], v[4:5], v[64:65]
	v_add_f64 v[6:7], v[10:11], v[6:7]
	v_fma_f64 v[2:3], v[2:3], v[66:67], -v[4:5]
	v_mul_f64 v[4:5], v[16:17], v[86:87]
	v_add_f64 v[2:3], v[6:7], v[2:3]
	v_fma_f64 v[4:5], v[14:15], v[88:89], -v[4:5]
	v_add_f64 v[2:3], v[2:3], v[4:5]
	v_mul_f64 v[4:5], v[126:127], v[82:83]
	v_fma_f64 v[4:5], v[124:125], v[84:85], -v[4:5]
	v_add_f64 v[2:3], v[2:3], v[4:5]
	v_mul_f64 v[4:5], v[154:155], v[94:95]
	;; [unrolled: 3-line block ×15, first 2 shown]
	ds_read_b128 v[216:219], v1 offset:1712
	ds_read_b128 v[38:41], v1 offset:1728
	v_fma_f64 v[4:5], v[204:205], v[146:147], -v[4:5]
	v_add_f64 v[2:3], v[2:3], v[4:5]
	v_mul_f64 v[4:5], v[210:211], v[222:223]
	v_fma_f64 v[4:5], v[208:209], v[224:225], -v[4:5]
	v_add_f64 v[2:3], v[2:3], v[4:5]
	v_mul_f64 v[4:5], v[214:215], v[118:119]
	ds_read_b128 v[48:51], v1 offset:1744
	v_fma_f64 v[4:5], v[212:213], v[220:221], -v[4:5]
	v_add_f64 v[2:3], v[2:3], v[4:5]
	s_waitcnt vmcnt(6) lgkmcnt(2)
	v_mul_f64 v[4:5], v[218:219], v[230:231]
	v_mul_f64 v[242:243], v[216:217], v[230:231]
	s_waitcnt vmcnt(4)
	v_fma_f64 v[4:5], v[216:217], v[232:233], -v[4:5]
	v_fmac_f64_e32 v[242:243], v[218:219], v[232:233]
	v_add_f64 v[2:3], v[2:3], v[4:5]
	s_waitcnt lgkmcnt(1)
	v_mul_f64 v[4:5], v[40:41], v[226:227]
	v_add_f64 v[238:239], v[238:239], v[242:243]
	v_mul_f64 v[242:243], v[38:39], v[226:227]
	v_fma_f64 v[4:5], v[38:39], v[228:229], -v[4:5]
	v_fmac_f64_e32 v[242:243], v[40:41], v[228:229]
	v_add_f64 v[2:3], v[2:3], v[4:5]
	s_waitcnt vmcnt(2) lgkmcnt(0)
	v_mul_f64 v[4:5], v[50:51], v[234:235]
	v_add_f64 v[238:239], v[238:239], v[242:243]
	v_mul_f64 v[242:243], v[48:49], v[234:235]
	s_waitcnt vmcnt(0)
	v_fma_f64 v[4:5], v[48:49], v[236:237], -v[4:5]
	v_fmac_f64_e32 v[242:243], v[50:51], v[236:237]
	v_add_f64 v[2:3], v[2:3], v[4:5]
	v_add_f64 v[238:239], v[238:239], v[242:243]
	v_add_f64 v[2:3], v[60:61], -v[2:3]
	v_add_f64 v[4:5], v[58:59], -v[238:239]
	buffer_store_dword v3, off, s[0:3], 0 offset:404
	buffer_store_dword v2, off, s[0:3], 0 offset:400
	;; [unrolled: 1-line block ×4, first 2 shown]
	s_and_saveexec_b64 s[4:5], vcc
	s_cbranch_execz .LBB54_297
; %bb.296:
	v_accvgpr_read_b32 v0, a141
	buffer_load_dword v2, v0, s[0:3], 0 offen
	buffer_load_dword v3, v0, s[0:3], 0 offen offset:4
	buffer_load_dword v4, v0, s[0:3], 0 offen offset:8
	;; [unrolled: 1-line block ×3, first 2 shown]
	v_mov_b32_e32 v0, 0
	v_accvgpr_read_b32 v1, a165
	buffer_store_dword v0, off, s[0:3], 0 offset:384
	buffer_store_dword v0, off, s[0:3], 0 offset:388
	;; [unrolled: 1-line block ×4, first 2 shown]
	s_waitcnt vmcnt(4)
	ds_write_b128 v1, v[2:5]
.LBB54_297:
	s_or_b64 exec, exec, s[4:5]
	s_waitcnt lgkmcnt(0)
	; wave barrier
	s_waitcnt lgkmcnt(0)
	buffer_load_dword v106, off, s[0:3], 0 offset:400
	buffer_load_dword v107, off, s[0:3], 0 offset:404
	buffer_load_dword v108, off, s[0:3], 0 offset:408
	buffer_load_dword v109, off, s[0:3], 0 offset:412
	buffer_load_dword v114, off, s[0:3], 0 offset:416
	buffer_load_dword v115, off, s[0:3], 0 offset:420
	buffer_load_dword v116, off, s[0:3], 0 offset:424
	buffer_load_dword v117, off, s[0:3], 0 offset:428
	buffer_load_dword v120, off, s[0:3], 0 offset:440
	buffer_load_dword v121, off, s[0:3], 0 offset:444
	buffer_load_dword v123, off, s[0:3], 0 offset:476
	buffer_load_dword v122, off, s[0:3], 0 offset:472
	buffer_load_dword v125, off, s[0:3], 0 offset:468
	buffer_load_dword v124, off, s[0:3], 0 offset:464
	buffer_load_dword v127, off, s[0:3], 0 offset:460
	buffer_load_dword v126, off, s[0:3], 0 offset:456
	buffer_load_dword v129, off, s[0:3], 0 offset:508
	buffer_load_dword v128, off, s[0:3], 0 offset:504
	buffer_load_dword v131, off, s[0:3], 0 offset:500
	buffer_load_dword v130, off, s[0:3], 0 offset:496
	buffer_load_dword v133, off, s[0:3], 0 offset:492
	buffer_load_dword v132, off, s[0:3], 0 offset:488
	buffer_load_dword v135, off, s[0:3], 0 offset:540
	buffer_load_dword v134, off, s[0:3], 0 offset:536
	buffer_load_dword v137, off, s[0:3], 0 offset:532
	buffer_load_dword v136, off, s[0:3], 0 offset:528
	buffer_load_dword v143, off, s[0:3], 0 offset:524
	buffer_load_dword v142, off, s[0:3], 0 offset:520
	buffer_load_dword v139, off, s[0:3], 0 offset:556
	buffer_load_dword v138, off, s[0:3], 0 offset:552
	buffer_load_dword v154, off, s[0:3], 0 offset:432
	buffer_load_dword v155, off, s[0:3], 0 offset:436
	buffer_load_dword v153, off, s[0:3], 0 offset:452
	buffer_load_dword v152, off, s[0:3], 0 offset:448
	buffer_load_dword v151, off, s[0:3], 0 offset:484
	buffer_load_dword v150, off, s[0:3], 0 offset:480
	buffer_load_dword v149, off, s[0:3], 0 offset:516
	buffer_load_dword v148, off, s[0:3], 0 offset:512
	buffer_load_dword v147, off, s[0:3], 0 offset:548
	buffer_load_dword v146, off, s[0:3], 0 offset:544
	buffer_load_dword v144, off, s[0:3], 0 offset:568
	buffer_load_dword v156, off, s[0:3], 0 offset:560
	buffer_load_dword v157, off, s[0:3], 0 offset:564
	buffer_load_dword v140, off, s[0:3], 0 offset:384
	buffer_load_dword v141, off, s[0:3], 0 offset:388
	buffer_load_dword v145, off, s[0:3], 0 offset:572
	buffer_load_dword v159, off, s[0:3], 0 offset:604
	buffer_load_dword v158, off, s[0:3], 0 offset:600
	buffer_load_dword v161, off, s[0:3], 0 offset:596
	v_mov_b32_e32 v1, 0
	ds_read_b128 v[110:113], v1 offset:1264
	ds_read_b128 v[250:253], v1 offset:1280
	;; [unrolled: 1-line block ×10, first 2 shown]
	buffer_load_dword v160, off, s[0:3], 0 offset:592
	buffer_load_dword v175, off, s[0:3], 0 offset:588
	;; [unrolled: 1-line block ×69, first 2 shown]
	v_accvgpr_write_b32 a164, v254
	v_cmp_lt_u32_e32 vcc, 22, v254
	s_waitcnt vmcnt(62) lgkmcnt(9)
	v_mul_f64 v[34:35], v[110:111], v[108:109]
	v_fmac_f64_e32 v[34:35], v[112:113], v[106:107]
	v_add_f64 v[34:35], v[34:35], 0
	v_mul_f64 v[108:109], v[112:113], v[108:109]
	s_waitcnt lgkmcnt(8)
	v_mul_f64 v[36:37], v[250:251], v[116:117]
	v_fmac_f64_e32 v[36:37], v[252:253], v[114:115]
	s_waitcnt lgkmcnt(7)
	v_mul_f64 v[38:39], v[30:31], v[120:121]
	v_add_f64 v[34:35], v[34:35], v[36:37]
	s_waitcnt lgkmcnt(5)
	v_mul_f64 v[42:43], v[22:23], v[122:123]
	v_mul_f64 v[116:117], v[252:253], v[116:117]
	v_fmac_f64_e32 v[42:43], v[24:25], v[124:125]
	v_fma_f64 v[248:249], v[110:111], v[106:107], -v[108:109]
	v_mul_f64 v[40:41], v[26:27], v[126:127]
	v_fma_f64 v[250:251], v[250:251], v[114:115], -v[116:117]
	s_waitcnt lgkmcnt(3)
	v_mul_f64 v[46:47], v[14:15], v[128:129]
	v_mul_f64 v[24:25], v[24:25], v[122:123]
	v_fmac_f64_e32 v[46:47], v[16:17], v[130:131]
	v_fma_f64 v[22:23], v[22:23], v[124:125], -v[24:25]
	v_mul_f64 v[44:45], v[18:19], v[132:133]
	v_mul_f64 v[16:17], v[16:17], v[128:129]
	s_waitcnt lgkmcnt(1)
	v_mul_f64 v[50:51], v[6:7], v[134:135]
	v_fma_f64 v[14:15], v[14:15], v[130:131], -v[16:17]
	v_fmac_f64_e32 v[50:51], v[8:9], v[136:137]
	v_mul_f64 v[8:9], v[8:9], v[134:135]
	v_mul_f64 v[48:49], v[10:11], v[142:143]
	v_fma_f64 v[6:7], v[6:7], v[136:137], -v[8:9]
	s_waitcnt lgkmcnt(0)
	v_mul_f64 v[52:53], v[2:3], v[138:139]
	v_fmac_f64_e32 v[38:39], v[32:33], v[154:155]
	v_add_f64 v[34:35], v[34:35], v[38:39]
	v_fmac_f64_e32 v[40:41], v[28:29], v[152:153]
	v_add_f64 v[34:35], v[34:35], v[40:41]
	;; [unrolled: 2-line block ×3, first 2 shown]
	v_add_f64 v[34:35], v[34:35], v[44:45]
	v_fmac_f64_e32 v[48:49], v[12:13], v[148:149]
	v_add_f64 v[34:35], v[34:35], v[46:47]
	v_add_f64 v[34:35], v[34:35], v[48:49]
	v_fmac_f64_e32 v[52:53], v[4:5], v[146:147]
	v_add_f64 v[34:35], v[34:35], v[50:51]
	v_add_f64 v[42:43], v[34:35], v[52:53]
	ds_read_b128 v[38:41], v1 offset:1424
	ds_read_b128 v[34:37], v1 offset:1440
	buffer_load_dword v231, off, s[0:3], 0 offset:892
	buffer_load_dword v230, off, s[0:3], 0 offset:888
	;; [unrolled: 1-line block ×8, first 2 shown]
	ds_read_b128 v[110:113], v1 offset:1712
	ds_read_b128 v[106:109], v1 offset:1728
	s_waitcnt lgkmcnt(3)
	v_mul_f64 v[44:45], v[38:39], v[144:145]
	v_fmac_f64_e32 v[44:45], v[40:41], v[156:157]
	v_add_f64 v[46:47], v[42:43], v[44:45]
	ds_read_b128 v[42:45], v1 offset:1456
	s_waitcnt lgkmcnt(3)
	v_mul_f64 v[48:49], v[34:35], v[174:175]
	v_fmac_f64_e32 v[48:49], v[36:37], v[178:179]
	v_add_f64 v[50:51], v[46:47], v[48:49]
	;; [unrolled: 5-line block ×3, first 2 shown]
	ds_read_b128 v[50:53], v1 offset:1488
	s_waitcnt vmcnt(62) lgkmcnt(1)
	v_mul_f64 v[56:57], v[46:47], v[182:183]
	v_fmac_f64_e32 v[56:57], v[48:49], v[186:187]
	v_add_f64 v[58:59], v[54:55], v[56:57]
	ds_read_b128 v[54:57], v1 offset:1504
	s_waitcnt lgkmcnt(1)
	v_mul_f64 v[60:61], v[50:51], v[162:163]
	v_fmac_f64_e32 v[60:61], v[52:53], v[164:165]
	v_add_f64 v[62:63], v[58:59], v[60:61]
	ds_read_b128 v[58:61], v1 offset:1520
	s_waitcnt vmcnt(58) lgkmcnt(1)
	v_mul_f64 v[64:65], v[54:55], v[190:191]
	s_waitcnt vmcnt(56)
	v_fmac_f64_e32 v[64:65], v[56:57], v[194:195]
	v_add_f64 v[66:67], v[62:63], v[64:65]
	ds_read_b128 v[62:65], v1 offset:1536
	s_waitcnt lgkmcnt(1)
	v_mul_f64 v[68:69], v[58:59], v[166:167]
	v_fmac_f64_e32 v[68:69], v[60:61], v[168:169]
	v_add_f64 v[70:71], v[66:67], v[68:69]
	ds_read_b128 v[66:69], v1 offset:1552
	s_waitcnt vmcnt(50) lgkmcnt(1)
	v_mul_f64 v[72:73], v[62:63], v[198:199]
	s_waitcnt vmcnt(48)
	v_fmac_f64_e32 v[72:73], v[64:65], v[202:203]
	v_add_f64 v[74:75], v[70:71], v[72:73]
	ds_read_b128 v[70:73], v1 offset:1568
	s_waitcnt lgkmcnt(1)
	v_mul_f64 v[76:77], v[66:67], v[170:171]
	v_fmac_f64_e32 v[76:77], v[68:69], v[172:173]
	v_add_f64 v[78:79], v[74:75], v[76:77]
	ds_read_b128 v[74:77], v1 offset:1584
	s_waitcnt vmcnt(42) lgkmcnt(1)
	v_mul_f64 v[80:81], v[70:71], v[206:207]
	s_waitcnt vmcnt(40)
	v_fmac_f64_e32 v[80:81], v[72:73], v[210:211]
	v_add_f64 v[82:83], v[78:79], v[80:81]
	ds_read_b128 v[78:81], v1 offset:1600
	s_waitcnt lgkmcnt(1)
	v_mul_f64 v[84:85], v[74:75], v[176:177]
	v_fmac_f64_e32 v[84:85], v[76:77], v[180:181]
	v_add_f64 v[86:87], v[82:83], v[84:85]
	ds_read_b128 v[82:85], v1 offset:1616
	s_waitcnt vmcnt(34) lgkmcnt(1)
	v_mul_f64 v[88:89], v[78:79], v[214:215]
	s_waitcnt vmcnt(32)
	v_fmac_f64_e32 v[88:89], v[80:81], v[216:217]
	v_add_f64 v[90:91], v[86:87], v[88:89]
	ds_read_b128 v[86:89], v1 offset:1632
	s_waitcnt lgkmcnt(1)
	v_mul_f64 v[92:93], v[82:83], v[184:185]
	v_fmac_f64_e32 v[92:93], v[84:85], v[188:189]
	v_add_f64 v[94:95], v[90:91], v[92:93]
	ds_read_b128 v[90:93], v1 offset:1648
	s_waitcnt vmcnt(26) lgkmcnt(1)
	v_mul_f64 v[96:97], v[86:87], v[218:219]
	s_waitcnt vmcnt(24)
	v_fmac_f64_e32 v[96:97], v[88:89], v[228:229]
	v_add_f64 v[98:99], v[94:95], v[96:97]
	ds_read_b128 v[94:97], v1 offset:1664
	s_waitcnt lgkmcnt(1)
	v_mul_f64 v[100:101], v[90:91], v[192:193]
	v_fmac_f64_e32 v[100:101], v[92:93], v[196:197]
	v_add_f64 v[118:119], v[98:99], v[100:101]
	ds_read_b128 v[98:101], v1 offset:1680
	ds_read_b128 v[102:105], v1 offset:1696
	;; [unrolled: 1-line block ×3, first 2 shown]
	buffer_load_dword v252, off, s[0:3], 0 offset:392
	buffer_load_dword v253, off, s[0:3], 0 offset:396
	s_waitcnt vmcnt(20) lgkmcnt(3)
	v_mul_f64 v[220:221], v[94:95], v[232:233]
	s_waitcnt vmcnt(18)
	v_fmac_f64_e32 v[220:221], v[96:97], v[236:237]
	v_add_f64 v[118:119], v[118:119], v[220:221]
	s_waitcnt lgkmcnt(2)
	v_mul_f64 v[220:221], v[98:99], v[200:201]
	v_fmac_f64_e32 v[220:221], v[100:101], v[204:205]
	v_add_f64 v[118:119], v[118:119], v[220:221]
	s_waitcnt vmcnt(12) lgkmcnt(1)
	v_mul_f64 v[220:221], v[102:103], v[238:239]
	s_waitcnt vmcnt(10)
	v_fmac_f64_e32 v[220:221], v[104:105], v[240:241]
	v_add_f64 v[118:119], v[118:119], v[220:221]
	v_mul_f64 v[220:221], v[110:111], v[208:209]
	v_fmac_f64_e32 v[220:221], v[112:113], v[212:213]
	v_add_f64 v[118:119], v[118:119], v[220:221]
	s_waitcnt vmcnt(4)
	v_mul_f64 v[220:221], v[106:107], v[242:243]
	v_mul_f64 v[32:33], v[32:33], v[120:121]
	s_waitcnt vmcnt(2)
	v_fmac_f64_e32 v[220:221], v[108:109], v[244:245]
	v_add_f64 v[118:119], v[118:119], v[220:221]
	s_waitcnt lgkmcnt(0)
	v_mul_f64 v[220:221], v[114:115], v[230:231]
	v_fmac_f64_e32 v[220:221], v[116:117], v[234:235]
	v_add_f64 v[246:247], v[118:119], v[220:221]
	v_add_f64 v[118:119], v[248:249], 0
	;; [unrolled: 1-line block ×3, first 2 shown]
	v_fma_f64 v[30:31], v[30:31], v[154:155], -v[32:33]
	v_mul_f64 v[28:29], v[28:29], v[126:127]
	v_add_f64 v[30:31], v[118:119], v[30:31]
	v_fma_f64 v[26:27], v[26:27], v[152:153], -v[28:29]
	v_add_f64 v[26:27], v[30:31], v[26:27]
	v_mul_f64 v[20:21], v[20:21], v[132:133]
	v_add_f64 v[22:23], v[26:27], v[22:23]
	v_fma_f64 v[18:19], v[18:19], v[150:151], -v[20:21]
	v_add_f64 v[18:19], v[22:23], v[18:19]
	;; [unrolled: 4-line block ×3, first 2 shown]
	v_mul_f64 v[4:5], v[4:5], v[138:139]
	v_add_f64 v[6:7], v[10:11], v[6:7]
	v_fma_f64 v[2:3], v[2:3], v[146:147], -v[4:5]
	v_mul_f64 v[4:5], v[40:41], v[144:145]
	v_add_f64 v[2:3], v[6:7], v[2:3]
	v_fma_f64 v[4:5], v[38:39], v[156:157], -v[4:5]
	v_add_f64 v[2:3], v[2:3], v[4:5]
	v_mul_f64 v[4:5], v[36:37], v[174:175]
	v_fma_f64 v[4:5], v[34:35], v[178:179], -v[4:5]
	v_add_f64 v[2:3], v[2:3], v[4:5]
	v_mul_f64 v[4:5], v[44:45], v[158:159]
	;; [unrolled: 3-line block ×20, first 2 shown]
	v_fma_f64 v[4:5], v[114:115], v[234:235], -v[4:5]
	v_add_f64 v[2:3], v[2:3], v[4:5]
	v_add_f64 v[2:3], v[140:141], -v[2:3]
	s_waitcnt vmcnt(0)
	v_add_f64 v[4:5], v[252:253], -v[246:247]
	buffer_store_dword v3, off, s[0:3], 0 offset:388
	buffer_store_dword v2, off, s[0:3], 0 offset:384
	;; [unrolled: 1-line block ×4, first 2 shown]
	s_and_saveexec_b64 s[4:5], vcc
	s_cbranch_execz .LBB54_299
; %bb.298:
	v_accvgpr_read_b32 v0, a142
	buffer_load_dword v2, v0, s[0:3], 0 offen
	buffer_load_dword v3, v0, s[0:3], 0 offen offset:4
	buffer_load_dword v4, v0, s[0:3], 0 offen offset:8
	;; [unrolled: 1-line block ×3, first 2 shown]
	v_accvgpr_read_b32 v0, a165
	buffer_store_dword v1, off, s[0:3], 0 offset:368
	buffer_store_dword v1, off, s[0:3], 0 offset:372
	;; [unrolled: 1-line block ×4, first 2 shown]
	s_waitcnt vmcnt(4)
	ds_write_b128 v0, v[2:5]
.LBB54_299:
	s_or_b64 exec, exec, s[4:5]
	s_waitcnt lgkmcnt(0)
	; wave barrier
	s_waitcnt lgkmcnt(0)
	buffer_load_dword v112, off, s[0:3], 0 offset:384
	buffer_load_dword v113, off, s[0:3], 0 offset:388
	;; [unrolled: 1-line block ×36, first 2 shown]
	ds_read_b128 v[102:105], v1 offset:1248
	ds_read_b128 v[106:109], v1 offset:1264
	;; [unrolled: 1-line block ×9, first 2 shown]
	buffer_load_dword v145, off, s[0:3], 0 offset:556
	buffer_load_dword v144, off, s[0:3], 0 offset:552
	;; [unrolled: 1-line block ×78, first 2 shown]
	v_accvgpr_read_b32 v226, a164
	v_cmp_lt_u32_e32 vcc, 21, v226
	s_waitcnt vmcnt(62) lgkmcnt(8)
	v_mul_f64 v[26:27], v[102:103], v[246:247]
	v_fmac_f64_e32 v[26:27], v[104:105], v[112:113]
	v_add_f64 v[26:27], v[26:27], 0
	v_mul_f64 v[104:105], v[104:105], v[246:247]
	s_waitcnt lgkmcnt(7)
	v_mul_f64 v[28:29], v[106:107], v[248:249]
	v_fmac_f64_e32 v[28:29], v[108:109], v[110:111]
	s_waitcnt lgkmcnt(6)
	v_mul_f64 v[30:31], v[114:115], v[244:245]
	v_add_f64 v[26:27], v[26:27], v[28:29]
	s_waitcnt lgkmcnt(4)
	v_mul_f64 v[34:35], v[18:19], v[120:121]
	v_fma_f64 v[246:247], v[102:103], v[112:113], -v[104:105]
	v_fmac_f64_e32 v[34:35], v[20:21], v[122:123]
	v_mul_f64 v[108:109], v[108:109], v[248:249]
	v_mul_f64 v[32:33], v[22:23], v[124:125]
	v_fma_f64 v[248:249], v[106:107], v[110:111], -v[108:109]
	s_waitcnt lgkmcnt(2)
	v_mul_f64 v[38:39], v[10:11], v[126:127]
	v_mul_f64 v[20:21], v[20:21], v[120:121]
	v_fmac_f64_e32 v[38:39], v[12:13], v[128:129]
	v_fma_f64 v[18:19], v[18:19], v[122:123], -v[20:21]
	v_mul_f64 v[36:37], v[14:15], v[132:133]
	v_mul_f64 v[12:13], v[12:13], v[126:127]
	s_waitcnt lgkmcnt(1)
	v_mul_f64 v[40:41], v[6:7], v[130:131]
	v_fma_f64 v[10:11], v[10:11], v[128:129], -v[12:13]
	v_fmac_f64_e32 v[30:31], v[116:117], v[250:251]
	v_add_f64 v[26:27], v[26:27], v[30:31]
	v_fmac_f64_e32 v[32:33], v[24:25], v[140:141]
	v_add_f64 v[26:27], v[26:27], v[32:33]
	;; [unrolled: 2-line block ×3, first 2 shown]
	v_add_f64 v[26:27], v[26:27], v[36:37]
	v_fmac_f64_e32 v[40:41], v[8:9], v[136:137]
	v_add_f64 v[30:31], v[26:27], v[38:39]
	v_add_f64 v[30:31], v[30:31], v[40:41]
	s_waitcnt lgkmcnt(0)
	v_mul_f64 v[32:33], v[2:3], v[134:135]
	v_fmac_f64_e32 v[32:33], v[4:5], v[142:143]
	ds_read_b128 v[26:29], v1 offset:1392
	v_add_f64 v[34:35], v[30:31], v[32:33]
	ds_read_b128 v[30:33], v1 offset:1408
	buffer_load_dword v231, off, s[0:3], 0 offset:820
	buffer_load_dword v230, off, s[0:3], 0 offset:816
	v_mul_f64 v[116:117], v[116:117], v[244:245]
	s_waitcnt lgkmcnt(1)
	v_mul_f64 v[36:37], v[26:27], v[148:149]
	v_fmac_f64_e32 v[36:37], v[28:29], v[150:151]
	v_add_f64 v[38:39], v[34:35], v[36:37]
	ds_read_b128 v[34:37], v1 offset:1424
	s_waitcnt lgkmcnt(1)
	v_mul_f64 v[40:41], v[30:31], v[144:145]
	v_fmac_f64_e32 v[40:41], v[32:33], v[146:147]
	v_add_f64 v[42:43], v[38:39], v[40:41]
	ds_read_b128 v[38:41], v1 offset:1440
	;; [unrolled: 5-line block ×4, first 2 shown]
	buffer_load_dword v233, off, s[0:3], 0 offset:876
	buffer_load_dword v235, off, s[0:3], 0 offset:860
	;; [unrolled: 1-line block ×12, first 2 shown]
	s_waitcnt vmcnt(62) lgkmcnt(1)
	v_mul_f64 v[52:53], v[42:43], v[176:177]
	v_fmac_f64_e32 v[52:53], v[44:45], v[180:181]
	v_add_f64 v[54:55], v[50:51], v[52:53]
	ds_read_b128 v[50:53], v1 offset:1488
	s_waitcnt lgkmcnt(1)
	v_mul_f64 v[56:57], v[46:47], v[156:157]
	v_fmac_f64_e32 v[56:57], v[48:49], v[158:159]
	v_add_f64 v[58:59], v[54:55], v[56:57]
	ds_read_b128 v[54:57], v1 offset:1504
	s_waitcnt lgkmcnt(1)
	v_mul_f64 v[60:61], v[50:51], v[184:185]
	s_waitcnt vmcnt(60)
	v_fmac_f64_e32 v[60:61], v[52:53], v[188:189]
	v_add_f64 v[62:63], v[58:59], v[60:61]
	ds_read_b128 v[58:61], v1 offset:1520
	s_waitcnt lgkmcnt(1)
	v_mul_f64 v[64:65], v[54:55], v[164:165]
	v_fmac_f64_e32 v[64:65], v[56:57], v[166:167]
	v_add_f64 v[66:67], v[62:63], v[64:65]
	ds_read_b128 v[62:65], v1 offset:1536
	s_waitcnt vmcnt(54) lgkmcnt(1)
	v_mul_f64 v[68:69], v[58:59], v[192:193]
	s_waitcnt vmcnt(52)
	v_fmac_f64_e32 v[68:69], v[60:61], v[196:197]
	v_add_f64 v[70:71], v[66:67], v[68:69]
	ds_read_b128 v[66:69], v1 offset:1552
	s_waitcnt lgkmcnt(1)
	v_mul_f64 v[72:73], v[62:63], v[168:169]
	v_fmac_f64_e32 v[72:73], v[64:65], v[170:171]
	v_add_f64 v[74:75], v[70:71], v[72:73]
	ds_read_b128 v[70:73], v1 offset:1568
	s_waitcnt vmcnt(46) lgkmcnt(1)
	;; [unrolled: 11-line block ×4, first 2 shown]
	v_mul_f64 v[92:93], v[82:83], v[212:213]
	s_waitcnt vmcnt(28)
	v_fmac_f64_e32 v[92:93], v[84:85], v[214:215]
	v_add_f64 v[98:99], v[90:91], v[92:93]
	ds_read_b128 v[90:93], v1 offset:1648
	ds_read_b128 v[94:97], v1 offset:1664
	s_waitcnt lgkmcnt(2)
	v_mul_f64 v[100:101], v[86:87], v[186:187]
	v_fmac_f64_e32 v[100:101], v[88:89], v[190:191]
	v_add_f64 v[98:99], v[98:99], v[100:101]
	s_waitcnt vmcnt(22) lgkmcnt(1)
	v_mul_f64 v[100:101], v[90:91], v[216:217]
	s_waitcnt vmcnt(20)
	v_fmac_f64_e32 v[100:101], v[92:93], v[218:219]
	v_add_f64 v[98:99], v[98:99], v[100:101]
	s_waitcnt lgkmcnt(0)
	v_mul_f64 v[100:101], v[94:95], v[194:195]
	v_fmac_f64_e32 v[100:101], v[96:97], v[198:199]
	v_add_f64 v[118:119], v[98:99], v[100:101]
	ds_read_b128 v[98:101], v1 offset:1680
	ds_read_b128 v[102:105], v1 offset:1696
	;; [unrolled: 1-line block ×3, first 2 shown]
	v_fma_f64 v[250:251], v[114:115], v[250:251], -v[116:117]
	ds_read_b128 v[114:117], v1 offset:1744
	s_waitcnt vmcnt(14) lgkmcnt(3)
	v_mul_f64 v[112:113], v[98:99], v[228:229]
	s_waitcnt lgkmcnt(2)
	v_mul_f64 v[110:111], v[102:103], v[202:203]
	s_waitcnt vmcnt(12)
	v_fmac_f64_e32 v[112:113], v[100:101], v[230:231]
	v_add_f64 v[112:113], v[118:119], v[112:113]
	v_fmac_f64_e32 v[110:111], v[104:105], v[206:207]
	v_add_f64 v[118:119], v[112:113], v[110:111]
	ds_read_b128 v[110:113], v1 offset:1728
	buffer_load_dword v254, off, s[0:3], 0 offset:368
	buffer_load_dword v255, off, s[0:3], 0 offset:372
	;; [unrolled: 1-line block ×4, first 2 shown]
	v_mul_f64 v[24:25], v[24:25], v[124:125]
	v_fma_f64 v[22:23], v[22:23], v[140:141], -v[24:25]
	v_mul_f64 v[16:17], v[16:17], v[132:133]
	s_waitcnt vmcnt(13) lgkmcnt(2)
	v_mul_f64 v[220:221], v[106:107], v[234:235]
	v_fma_f64 v[14:15], v[14:15], v[138:139], -v[16:17]
	s_waitcnt vmcnt(11)
	v_fmac_f64_e32 v[220:221], v[108:109], v[240:241]
	v_add_f64 v[118:119], v[118:119], v[220:221]
	s_waitcnt vmcnt(10) lgkmcnt(0)
	v_mul_f64 v[220:221], v[110:111], v[232:233]
	s_waitcnt vmcnt(8)
	v_fmac_f64_e32 v[220:221], v[112:113], v[238:239]
	v_add_f64 v[118:119], v[118:119], v[220:221]
	s_waitcnt vmcnt(6)
	v_mul_f64 v[220:221], v[114:115], v[236:237]
	v_mul_f64 v[8:9], v[8:9], v[130:131]
	s_waitcnt vmcnt(4)
	v_fmac_f64_e32 v[220:221], v[116:117], v[242:243]
	v_add_f64 v[244:245], v[118:119], v[220:221]
	v_add_f64 v[118:119], v[246:247], 0
	;; [unrolled: 1-line block ×8, first 2 shown]
	v_fma_f64 v[6:7], v[6:7], v[136:137], -v[8:9]
	v_mul_f64 v[4:5], v[4:5], v[134:135]
	v_add_f64 v[6:7], v[10:11], v[6:7]
	v_fma_f64 v[2:3], v[2:3], v[142:143], -v[4:5]
	v_mul_f64 v[4:5], v[28:29], v[148:149]
	v_add_f64 v[2:3], v[6:7], v[2:3]
	v_fma_f64 v[4:5], v[26:27], v[150:151], -v[4:5]
	v_add_f64 v[2:3], v[2:3], v[4:5]
	v_mul_f64 v[4:5], v[32:33], v[144:145]
	v_fma_f64 v[4:5], v[30:31], v[146:147], -v[4:5]
	v_add_f64 v[2:3], v[2:3], v[4:5]
	v_mul_f64 v[4:5], v[36:37], v[160:161]
	;; [unrolled: 3-line block ×22, first 2 shown]
	v_fma_f64 v[4:5], v[114:115], v[242:243], -v[4:5]
	v_add_f64 v[2:3], v[2:3], v[4:5]
	s_waitcnt vmcnt(2)
	v_add_f64 v[2:3], v[254:255], -v[2:3]
	s_waitcnt vmcnt(0)
	v_add_f64 v[4:5], v[252:253], -v[244:245]
	buffer_store_dword v3, off, s[0:3], 0 offset:372
	buffer_store_dword v2, off, s[0:3], 0 offset:368
	;; [unrolled: 1-line block ×4, first 2 shown]
	s_and_saveexec_b64 s[4:5], vcc
	s_cbranch_execz .LBB54_301
; %bb.300:
	v_accvgpr_read_b32 v0, a143
	buffer_load_dword v2, v0, s[0:3], 0 offen
	buffer_load_dword v3, v0, s[0:3], 0 offen offset:4
	buffer_load_dword v4, v0, s[0:3], 0 offen offset:8
	;; [unrolled: 1-line block ×3, first 2 shown]
	v_mov_b32_e32 v0, 0
	v_accvgpr_read_b32 v1, a165
	buffer_store_dword v0, off, s[0:3], 0 offset:352
	buffer_store_dword v0, off, s[0:3], 0 offset:356
	;; [unrolled: 1-line block ×4, first 2 shown]
	s_waitcnt vmcnt(4)
	ds_write_b128 v1, v[2:5]
.LBB54_301:
	s_or_b64 exec, exec, s[4:5]
	s_waitcnt lgkmcnt(0)
	; wave barrier
	s_waitcnt lgkmcnt(0)
	buffer_load_dword v94, off, s[0:3], 0 offset:368
	buffer_load_dword v95, off, s[0:3], 0 offset:372
	;; [unrolled: 1-line block ×52, first 2 shown]
	v_mov_b32_e32 v1, 0
	ds_read_b128 v[102:105], v1 offset:1232
	ds_read_b128 v[114:117], v1 offset:1248
	;; [unrolled: 1-line block ×10, first 2 shown]
	v_cmp_lt_u32_e32 vcc, 20, v226
	s_waitcnt vmcnt(48) lgkmcnt(9)
	v_mul_f64 v[26:27], v[102:103], v[96:97]
	v_fmac_f64_e32 v[26:27], v[104:105], v[94:95]
	v_add_f64 v[26:27], v[26:27], 0
	v_mul_f64 v[96:97], v[104:105], v[96:97]
	s_waitcnt vmcnt(44) lgkmcnt(8)
	v_mul_f64 v[28:29], v[114:115], v[100:101]
	v_fmac_f64_e32 v[28:29], v[116:117], v[98:99]
	s_waitcnt vmcnt(42) lgkmcnt(7)
	v_mul_f64 v[30:31], v[244:245], v[106:107]
	v_add_f64 v[26:27], v[26:27], v[28:29]
	s_waitcnt vmcnt(40) lgkmcnt(5)
	v_mul_f64 v[34:35], v[22:23], v[122:123]
	v_fma_f64 v[220:221], v[102:103], v[94:95], -v[96:97]
	s_waitcnt vmcnt(38)
	v_fmac_f64_e32 v[34:35], v[24:25], v[126:127]
	v_mul_f64 v[100:101], v[116:117], v[100:101]
	s_waitcnt vmcnt(36)
	v_mul_f64 v[32:33], v[250:251], v[110:111]
	v_fma_f64 v[222:223], v[114:115], v[98:99], -v[100:101]
	s_waitcnt vmcnt(34) lgkmcnt(3)
	v_mul_f64 v[38:39], v[14:15], v[120:121]
	v_mul_f64 v[106:107], v[246:247], v[106:107]
	s_waitcnt vmcnt(32)
	v_fmac_f64_e32 v[38:39], v[16:17], v[124:125]
	v_mul_f64 v[110:111], v[252:253], v[110:111]
	s_waitcnt vmcnt(30)
	v_mul_f64 v[36:37], v[18:19], v[132:133]
	v_mul_f64 v[24:25], v[24:25], v[122:123]
	v_fma_f64 v[22:23], v[22:23], v[126:127], -v[24:25]
	s_waitcnt vmcnt(27) lgkmcnt(2)
	v_mul_f64 v[40:41], v[10:11], v[130:131]
	s_waitcnt vmcnt(26) lgkmcnt(1)
	v_mul_f64 v[42:43], v[6:7], v[128:129]
	v_mul_f64 v[16:17], v[16:17], v[120:121]
	s_waitcnt vmcnt(24)
	v_fmac_f64_e32 v[30:31], v[246:247], v[108:109]
	v_add_f64 v[26:27], v[26:27], v[30:31]
	s_waitcnt vmcnt(22)
	v_fmac_f64_e32 v[32:33], v[252:253], v[112:113]
	v_add_f64 v[26:27], v[26:27], v[32:33]
	;; [unrolled: 3-line block ×3, first 2 shown]
	v_add_f64 v[26:27], v[26:27], v[36:37]
	s_waitcnt vmcnt(18)
	v_fmac_f64_e32 v[40:41], v[12:13], v[134:135]
	v_add_f64 v[26:27], v[26:27], v[38:39]
	v_add_f64 v[26:27], v[26:27], v[40:41]
	s_waitcnt vmcnt(16)
	v_fmac_f64_e32 v[42:43], v[8:9], v[140:141]
	v_add_f64 v[34:35], v[26:27], v[42:43]
	ds_read_b128 v[26:29], v1 offset:1392
	ds_read_b128 v[30:33], v1 offset:1408
	buffer_load_dword v157, off, s[0:3], 0 offset:604
	buffer_load_dword v156, off, s[0:3], 0 offset:600
	;; [unrolled: 1-line block ×56, first 2 shown]
	s_waitcnt vmcnt(62) lgkmcnt(2)
	v_mul_f64 v[36:37], v[2:3], v[144:145]
	v_fmac_f64_e32 v[36:37], v[4:5], v[146:147]
	v_add_f64 v[34:35], v[34:35], v[36:37]
	s_waitcnt lgkmcnt(1)
	v_mul_f64 v[36:37], v[26:27], v[138:139]
	v_fmac_f64_e32 v[36:37], v[28:29], v[142:143]
	v_add_f64 v[34:35], v[34:35], v[36:37]
	s_waitcnt lgkmcnt(0)
	v_mul_f64 v[36:37], v[30:31], v[148:149]
	s_waitcnt vmcnt(60)
	v_fmac_f64_e32 v[36:37], v[32:33], v[152:153]
	v_add_f64 v[42:43], v[34:35], v[36:37]
	ds_read_b128 v[34:37], v1 offset:1424
	buffer_load_dword v201, off, s[0:3], 0 offset:828
	buffer_load_dword v200, off, s[0:3], 0 offset:824
	;; [unrolled: 1-line block ×16, first 2 shown]
	ds_read_b128 v[38:41], v1 offset:1440
	buffer_load_dword v231, off, s[0:3], 0 offset:892
	buffer_load_dword v230, off, s[0:3], 0 offset:888
	buffer_load_dword v235, off, s[0:3], 0 offset:884
	buffer_load_dword v234, off, s[0:3], 0 offset:880
	buffer_load_dword v241, off, s[0:3], 0 offset:876
	buffer_load_dword v240, off, s[0:3], 0 offset:872
	buffer_load_dword v243, off, s[0:3], 0 offset:868
	buffer_load_dword v242, off, s[0:3], 0 offset:864
	ds_read_b128 v[98:101], v1 offset:1680
	s_waitcnt vmcnt(62) lgkmcnt(2)
	v_mul_f64 v[44:45], v[34:35], v[150:151]
	v_fmac_f64_e32 v[44:45], v[36:37], v[154:155]
	v_add_f64 v[46:47], v[42:43], v[44:45]
	ds_read_b128 v[42:45], v1 offset:1456
	v_fma_f64 v[248:249], v[244:245], v[108:109], -v[106:107]
	ds_read_b128 v[106:109], v1 offset:1712
	v_fma_f64 v[246:247], v[250:251], v[112:113], -v[110:111]
	v_mul_f64 v[20:21], v[20:21], v[132:133]
	v_fma_f64 v[18:19], v[18:19], v[136:137], -v[20:21]
	v_fma_f64 v[14:15], v[14:15], v[124:125], -v[16:17]
	v_mul_f64 v[12:13], v[12:13], v[130:131]
	v_fma_f64 v[10:11], v[10:11], v[134:135], -v[12:13]
	v_mul_f64 v[8:9], v[8:9], v[128:129]
	;; [unrolled: 2-line block ×3, first 2 shown]
	s_waitcnt lgkmcnt(3)
	v_mul_f64 v[48:49], v[38:39], v[172:173]
	v_fma_f64 v[2:3], v[2:3], v[146:147], -v[4:5]
	v_fmac_f64_e32 v[48:49], v[40:41], v[176:177]
	v_add_f64 v[50:51], v[46:47], v[48:49]
	ds_read_b128 v[46:49], v1 offset:1472
	s_waitcnt lgkmcnt(2)
	v_mul_f64 v[52:53], v[42:43], v[156:157]
	v_fmac_f64_e32 v[52:53], v[44:45], v[158:159]
	v_add_f64 v[54:55], v[50:51], v[52:53]
	ds_read_b128 v[50:53], v1 offset:1488
	s_waitcnt lgkmcnt(1)
	v_mul_f64 v[56:57], v[46:47], v[180:181]
	;; [unrolled: 5-line block ×3, first 2 shown]
	v_fmac_f64_e32 v[60:61], v[52:53], v[162:163]
	v_add_f64 v[62:63], v[58:59], v[60:61]
	ds_read_b128 v[58:61], v1 offset:1520
	s_waitcnt vmcnt(58) lgkmcnt(1)
	v_mul_f64 v[64:65], v[54:55], v[188:189]
	s_waitcnt vmcnt(56)
	v_fmac_f64_e32 v[64:65], v[56:57], v[192:193]
	v_add_f64 v[66:67], v[62:63], v[64:65]
	ds_read_b128 v[62:65], v1 offset:1536
	s_waitcnt lgkmcnt(1)
	v_mul_f64 v[68:69], v[58:59], v[164:165]
	v_fmac_f64_e32 v[68:69], v[60:61], v[166:167]
	v_add_f64 v[70:71], v[66:67], v[68:69]
	ds_read_b128 v[66:69], v1 offset:1552
	s_waitcnt vmcnt(50) lgkmcnt(1)
	v_mul_f64 v[72:73], v[62:63], v[196:197]
	s_waitcnt vmcnt(48)
	v_fmac_f64_e32 v[72:73], v[64:65], v[198:199]
	v_add_f64 v[74:75], v[70:71], v[72:73]
	ds_read_b128 v[70:73], v1 offset:1568
	s_waitcnt lgkmcnt(1)
	v_mul_f64 v[76:77], v[66:67], v[168:169]
	;; [unrolled: 11-line block ×3, first 2 shown]
	v_fmac_f64_e32 v[84:85], v[76:77], v[178:179]
	v_add_f64 v[90:91], v[82:83], v[84:85]
	ds_read_b128 v[82:85], v1 offset:1616
	ds_read_b128 v[86:89], v1 offset:1632
	s_waitcnt vmcnt(34) lgkmcnt(2)
	v_mul_f64 v[92:93], v[78:79], v[210:211]
	s_waitcnt vmcnt(32)
	v_fmac_f64_e32 v[92:93], v[80:81], v[216:217]
	v_add_f64 v[90:91], v[90:91], v[92:93]
	s_waitcnt lgkmcnt(1)
	v_mul_f64 v[92:93], v[82:83], v[182:183]
	v_fmac_f64_e32 v[92:93], v[84:85], v[186:187]
	v_add_f64 v[90:91], v[90:91], v[92:93]
	s_waitcnt vmcnt(27) lgkmcnt(0)
	v_mul_f64 v[92:93], v[86:87], v[214:215]
	s_waitcnt vmcnt(25)
	v_fmac_f64_e32 v[92:93], v[88:89], v[218:219]
	v_add_f64 v[118:119], v[90:91], v[92:93]
	ds_read_b128 v[90:93], v1 offset:1648
	ds_read_b128 v[94:97], v1 offset:1664
	;; [unrolled: 1-line block ×3, first 2 shown]
	v_mul_f64 v[4:5], v[28:29], v[138:139]
	v_fma_f64 v[4:5], v[26:27], v[142:143], -v[4:5]
	s_waitcnt lgkmcnt(2)
	v_mul_f64 v[102:103], v[90:91], v[190:191]
	s_waitcnt vmcnt(24)
	v_fmac_f64_e32 v[102:103], v[92:93], v[194:195]
	s_waitcnt vmcnt(18) lgkmcnt(1)
	v_mul_f64 v[104:105], v[94:95], v[228:229]
	v_add_f64 v[102:103], v[118:119], v[102:103]
	s_waitcnt vmcnt(16)
	v_fmac_f64_e32 v[104:105], v[96:97], v[232:233]
	v_add_f64 v[102:103], v[102:103], v[104:105]
	v_mul_f64 v[104:105], v[98:99], v[200:201]
	v_fmac_f64_e32 v[104:105], v[100:101], v[204:205]
	v_add_f64 v[114:115], v[102:103], v[104:105]
	ds_read_b128 v[102:105], v1 offset:1696
	s_waitcnt vmcnt(10) lgkmcnt(0)
	v_mul_f64 v[116:117], v[102:103], v[236:237]
	s_waitcnt vmcnt(8)
	v_fmac_f64_e32 v[116:117], v[104:105], v[238:239]
	v_add_f64 v[114:115], v[114:115], v[116:117]
	v_mul_f64 v[116:117], v[106:107], v[208:209]
	v_fmac_f64_e32 v[116:117], v[108:109], v[212:213]
	v_add_f64 v[114:115], v[114:115], v[116:117]
	s_waitcnt vmcnt(2)
	v_mul_f64 v[116:117], v[110:111], v[240:241]
	s_waitcnt vmcnt(0)
	v_fmac_f64_e32 v[116:117], v[112:113], v[242:243]
	v_add_f64 v[118:119], v[114:115], v[116:117]
	ds_read_b128 v[114:117], v1 offset:1744
	buffer_load_dword v252, off, s[0:3], 0 offset:352
	buffer_load_dword v253, off, s[0:3], 0 offset:356
	s_waitcnt lgkmcnt(0)
	v_mul_f64 v[224:225], v[114:115], v[230:231]
	v_fmac_f64_e32 v[224:225], v[116:117], v[234:235]
	v_add_f64 v[244:245], v[118:119], v[224:225]
	v_add_f64 v[118:119], v[220:221], 0
	;; [unrolled: 1-line block ×4, first 2 shown]
	buffer_load_dword v248, off, s[0:3], 0 offset:360
	buffer_load_dword v249, off, s[0:3], 0 offset:364
	v_add_f64 v[118:119], v[118:119], v[246:247]
	v_add_f64 v[22:23], v[118:119], v[22:23]
	;; [unrolled: 1-line block ×8, first 2 shown]
	v_mul_f64 v[4:5], v[32:33], v[148:149]
	v_fma_f64 v[4:5], v[30:31], v[152:153], -v[4:5]
	v_add_f64 v[2:3], v[2:3], v[4:5]
	v_mul_f64 v[4:5], v[36:37], v[150:151]
	v_fma_f64 v[4:5], v[34:35], v[154:155], -v[4:5]
	v_add_f64 v[2:3], v[2:3], v[4:5]
	;; [unrolled: 3-line block ×22, first 2 shown]
	s_waitcnt vmcnt(2)
	v_add_f64 v[2:3], v[252:253], -v[2:3]
	s_waitcnt vmcnt(0)
	v_add_f64 v[4:5], v[248:249], -v[244:245]
	buffer_store_dword v3, off, s[0:3], 0 offset:356
	buffer_store_dword v2, off, s[0:3], 0 offset:352
	;; [unrolled: 1-line block ×4, first 2 shown]
	s_and_saveexec_b64 s[4:5], vcc
	s_cbranch_execz .LBB54_303
; %bb.302:
	v_accvgpr_read_b32 v0, a144
	buffer_load_dword v2, v0, s[0:3], 0 offen
	buffer_load_dword v3, v0, s[0:3], 0 offen offset:4
	buffer_load_dword v4, v0, s[0:3], 0 offen offset:8
	;; [unrolled: 1-line block ×3, first 2 shown]
	v_accvgpr_read_b32 v0, a165
	buffer_store_dword v1, off, s[0:3], 0 offset:336
	buffer_store_dword v1, off, s[0:3], 0 offset:340
	;; [unrolled: 1-line block ×4, first 2 shown]
	s_waitcnt vmcnt(4)
	ds_write_b128 v0, v[2:5]
.LBB54_303:
	s_or_b64 exec, exec, s[4:5]
	s_waitcnt lgkmcnt(0)
	; wave barrier
	s_waitcnt lgkmcnt(0)
	buffer_load_dword v86, off, s[0:3], 0 offset:352
	buffer_load_dword v87, off, s[0:3], 0 offset:356
	;; [unrolled: 1-line block ×42, first 2 shown]
	ds_read_b128 v[94:97], v1 offset:1216
	ds_read_b128 v[106:109], v1 offset:1232
	;; [unrolled: 1-line block ×10, first 2 shown]
	buffer_load_dword v147, off, s[0:3], 0 offset:500
	buffer_load_dword v146, off, s[0:3], 0 offset:496
	ds_read_b128 v[6:9], v1 offset:1376
	buffer_load_dword v143, off, s[0:3], 0 offset:556
	buffer_load_dword v142, off, s[0:3], 0 offset:552
	;; [unrolled: 1-line block ×80, first 2 shown]
	s_waitcnt vmcnt(62) lgkmcnt(10)
	v_mul_f64 v[26:27], v[94:95], v[88:89]
	v_fmac_f64_e32 v[26:27], v[96:97], v[86:87]
	v_add_f64 v[26:27], v[26:27], 0
	v_mul_f64 v[88:89], v[96:97], v[88:89]
	s_waitcnt lgkmcnt(9)
	v_mul_f64 v[28:29], v[106:107], v[92:93]
	v_fmac_f64_e32 v[28:29], v[108:109], v[90:91]
	s_waitcnt lgkmcnt(8)
	v_mul_f64 v[30:31], v[114:115], v[98:99]
	v_add_f64 v[26:27], v[26:27], v[28:29]
	s_waitcnt lgkmcnt(6)
	v_mul_f64 v[34:35], v[248:249], v[110:111]
	v_fma_f64 v[220:221], v[94:95], v[86:87], -v[88:89]
	v_fmac_f64_e32 v[34:35], v[250:251], v[112:113]
	v_mul_f64 v[92:93], v[108:109], v[92:93]
	v_mul_f64 v[32:33], v[244:245], v[102:103]
	;; [unrolled: 1-line block ×3, first 2 shown]
	s_waitcnt lgkmcnt(4)
	v_mul_f64 v[38:39], v[18:19], v[120:121]
	v_mul_f64 v[102:103], v[246:247], v[102:103]
	v_fmac_f64_e32 v[38:39], v[20:21], v[122:123]
	v_mul_f64 v[110:111], v[250:251], v[110:111]
	v_mul_f64 v[36:37], v[22:23], v[124:125]
	v_fma_f64 v[248:249], v[248:249], v[112:113], -v[110:111]
	s_waitcnt lgkmcnt(2)
	v_mul_f64 v[42:43], v[10:11], v[126:127]
	v_add_f64 v[220:221], v[220:221], 0
	v_mul_f64 v[20:21], v[20:21], v[120:121]
	v_mul_f64 v[40:41], v[14:15], v[132:133]
	v_fma_f64 v[18:19], v[18:19], v[122:123], -v[20:21]
	s_waitcnt lgkmcnt(1)
	v_mul_f64 v[44:45], v[2:3], v[130:131]
	v_fmac_f64_e32 v[30:31], v[116:117], v[100:101]
	v_add_f64 v[26:27], v[26:27], v[30:31]
	v_fmac_f64_e32 v[32:33], v[246:247], v[104:105]
	v_add_f64 v[26:27], v[26:27], v[32:33]
	;; [unrolled: 2-line block ×3, first 2 shown]
	v_add_f64 v[26:27], v[26:27], v[36:37]
	v_fmac_f64_e32 v[40:41], v[16:17], v[134:135]
	v_add_f64 v[26:27], v[26:27], v[38:39]
	v_fmac_f64_e32 v[42:43], v[12:13], v[128:129]
	v_add_f64 v[26:27], v[26:27], v[40:41]
	v_add_f64 v[26:27], v[26:27], v[42:43]
	s_waitcnt lgkmcnt(0)
	v_mul_f64 v[32:33], v[6:7], v[138:139]
	v_fmac_f64_e32 v[44:45], v[4:5], v[146:147]
	v_add_f64 v[30:31], v[26:27], v[44:45]
	ds_read_b128 v[26:29], v1 offset:1392
	v_fmac_f64_e32 v[32:33], v[8:9], v[140:141]
	v_add_f64 v[34:35], v[30:31], v[32:33]
	ds_read_b128 v[30:33], v1 offset:1408
	v_fma_f64 v[222:223], v[114:115], v[100:101], -v[98:99]
	s_waitcnt lgkmcnt(1)
	v_mul_f64 v[36:37], v[26:27], v[148:149]
	v_fmac_f64_e32 v[36:37], v[28:29], v[164:165]
	v_add_f64 v[38:39], v[34:35], v[36:37]
	ds_read_b128 v[34:37], v1 offset:1424
	s_waitcnt lgkmcnt(1)
	v_mul_f64 v[40:41], v[30:31], v[142:143]
	v_fmac_f64_e32 v[40:41], v[32:33], v[144:145]
	v_add_f64 v[42:43], v[38:39], v[40:41]
	ds_read_b128 v[38:41], v1 offset:1440
	;; [unrolled: 5-line block ×4, first 2 shown]
	s_waitcnt vmcnt(58) lgkmcnt(1)
	v_mul_f64 v[52:53], v[42:43], v[176:177]
	s_waitcnt vmcnt(56)
	v_fmac_f64_e32 v[52:53], v[44:45], v[180:181]
	v_add_f64 v[54:55], v[50:51], v[52:53]
	ds_read_b128 v[50:53], v1 offset:1488
	buffer_load_dword v232, off, s[0:3], 0 offset:872
	buffer_load_dword v237, off, s[0:3], 0 offset:860
	;; [unrolled: 1-line block ×8, first 2 shown]
	s_waitcnt lgkmcnt(1)
	v_mul_f64 v[56:57], v[46:47], v[154:155]
	v_fmac_f64_e32 v[56:57], v[48:49], v[156:157]
	v_add_f64 v[58:59], v[54:55], v[56:57]
	ds_read_b128 v[54:57], v1 offset:1504
	s_waitcnt vmcnt(58) lgkmcnt(1)
	v_mul_f64 v[60:61], v[50:51], v[184:185]
	s_waitcnt vmcnt(56)
	v_fmac_f64_e32 v[60:61], v[52:53], v[188:189]
	buffer_load_dword v241, off, s[0:3], 0 offset:892
	buffer_load_dword v240, off, s[0:3], 0 offset:888
	;; [unrolled: 1-line block ×4, first 2 shown]
	v_add_f64 v[62:63], v[58:59], v[60:61]
	ds_read_b128 v[58:61], v1 offset:1520
	s_waitcnt lgkmcnt(1)
	v_mul_f64 v[64:65], v[54:55], v[158:159]
	v_fmac_f64_e32 v[64:65], v[56:57], v[160:161]
	v_add_f64 v[66:67], v[62:63], v[64:65]
	ds_read_b128 v[62:65], v1 offset:1536
	s_waitcnt vmcnt(54) lgkmcnt(1)
	v_mul_f64 v[68:69], v[58:59], v[192:193]
	s_waitcnt vmcnt(52)
	v_fmac_f64_e32 v[68:69], v[60:61], v[196:197]
	v_add_f64 v[70:71], v[66:67], v[68:69]
	ds_read_b128 v[66:69], v1 offset:1552
	s_waitcnt lgkmcnt(1)
	v_mul_f64 v[72:73], v[62:63], v[162:163]
	v_fmac_f64_e32 v[72:73], v[64:65], v[166:167]
	v_add_f64 v[74:75], v[70:71], v[72:73]
	ds_read_b128 v[70:73], v1 offset:1568
	s_waitcnt vmcnt(46) lgkmcnt(1)
	v_mul_f64 v[76:77], v[66:67], v[200:201]
	s_waitcnt vmcnt(44)
	v_fmac_f64_e32 v[76:77], v[68:69], v[204:205]
	v_add_f64 v[82:83], v[74:75], v[76:77]
	ds_read_b128 v[74:77], v1 offset:1584
	ds_read_b128 v[78:81], v1 offset:1600
	s_waitcnt lgkmcnt(2)
	v_mul_f64 v[84:85], v[70:71], v[170:171]
	v_fmac_f64_e32 v[84:85], v[72:73], v[174:175]
	v_add_f64 v[82:83], v[82:83], v[84:85]
	s_waitcnt vmcnt(38) lgkmcnt(1)
	v_mul_f64 v[84:85], v[74:75], v[208:209]
	s_waitcnt vmcnt(36)
	v_fmac_f64_e32 v[84:85], v[76:77], v[210:211]
	v_add_f64 v[82:83], v[82:83], v[84:85]
	s_waitcnt lgkmcnt(0)
	v_mul_f64 v[84:85], v[78:79], v[178:179]
	v_fmac_f64_e32 v[84:85], v[80:81], v[182:183]
	v_add_f64 v[118:119], v[82:83], v[84:85]
	ds_read_b128 v[82:85], v1 offset:1616
	ds_read_b128 v[86:89], v1 offset:1632
	;; [unrolled: 1-line block ×3, first 2 shown]
	v_fma_f64 v[246:247], v[244:245], v[104:105], -v[102:103]
	ds_read_b128 v[102:105], v1 offset:1712
	ds_read_b128 v[110:113], v1 offset:1728
	s_waitcnt vmcnt(30) lgkmcnt(4)
	v_mul_f64 v[94:95], v[82:83], v[212:213]
	s_waitcnt vmcnt(28)
	v_fmac_f64_e32 v[94:95], v[84:85], v[214:215]
	v_add_f64 v[94:95], v[118:119], v[94:95]
	v_fma_f64 v[118:119], v[106:107], v[90:91], -v[92:93]
	ds_read_b128 v[90:93], v1 offset:1648
	s_waitcnt lgkmcnt(4)
	v_mul_f64 v[96:97], v[86:87], v[186:187]
	v_fmac_f64_e32 v[96:97], v[88:89], v[190:191]
	v_add_f64 v[106:107], v[94:95], v[96:97]
	ds_read_b128 v[94:97], v1 offset:1664
	s_waitcnt vmcnt(22) lgkmcnt(1)
	v_mul_f64 v[108:109], v[90:91], v[216:217]
	s_waitcnt vmcnt(20)
	v_fmac_f64_e32 v[108:109], v[92:93], v[218:219]
	v_add_f64 v[106:107], v[106:107], v[108:109]
	v_add_f64 v[118:119], v[220:221], v[118:119]
	s_waitcnt lgkmcnt(0)
	v_mul_f64 v[108:109], v[94:95], v[194:195]
	v_fmac_f64_e32 v[108:109], v[96:97], v[198:199]
	v_add_f64 v[114:115], v[106:107], v[108:109]
	ds_read_b128 v[106:109], v1 offset:1696
	s_waitcnt vmcnt(14)
	v_mul_f64 v[116:117], v[98:99], v[228:229]
	s_waitcnt vmcnt(12)
	v_fmac_f64_e32 v[116:117], v[100:101], v[230:231]
	v_add_f64 v[114:115], v[114:115], v[116:117]
	v_add_f64 v[250:251], v[118:119], v[222:223]
	s_waitcnt lgkmcnt(0)
	v_mul_f64 v[116:117], v[106:107], v[202:203]
	v_fmac_f64_e32 v[116:117], v[108:109], v[206:207]
	v_add_f64 v[114:115], v[114:115], v[116:117]
	v_add_f64 v[118:119], v[250:251], v[246:247]
	v_mul_f64 v[24:25], v[24:25], v[124:125]
	v_add_f64 v[118:119], v[118:119], v[248:249]
	v_fma_f64 v[22:23], v[22:23], v[136:137], -v[24:25]
	v_add_f64 v[22:23], v[118:119], v[22:23]
	v_mul_f64 v[16:17], v[16:17], v[132:133]
	v_add_f64 v[18:19], v[22:23], v[18:19]
	v_fma_f64 v[14:15], v[14:15], v[134:135], -v[16:17]
	v_mul_f64 v[12:13], v[12:13], v[126:127]
	s_waitcnt vmcnt(9)
	v_mul_f64 v[116:117], v[102:103], v[236:237]
	v_add_f64 v[14:15], v[18:19], v[14:15]
	s_waitcnt vmcnt(7)
	v_fmac_f64_e32 v[116:117], v[104:105], v[238:239]
	v_add_f64 v[114:115], v[114:115], v[116:117]
	s_waitcnt vmcnt(5)
	v_mul_f64 v[116:117], v[110:111], v[232:233]
	s_waitcnt vmcnt(4)
	v_fmac_f64_e32 v[116:117], v[112:113], v[234:235]
	v_add_f64 v[224:225], v[114:115], v[116:117]
	ds_read_b128 v[114:117], v1 offset:1744
	buffer_load_dword v254, off, s[0:3], 0 offset:336
	buffer_load_dword v255, off, s[0:3], 0 offset:340
	;; [unrolled: 1-line block ×4, first 2 shown]
	v_fma_f64 v[10:11], v[10:11], v[128:129], -v[12:13]
	v_mul_f64 v[4:5], v[4:5], v[130:131]
	v_add_f64 v[10:11], v[14:15], v[10:11]
	v_fma_f64 v[2:3], v[2:3], v[146:147], -v[4:5]
	v_mul_f64 v[4:5], v[8:9], v[138:139]
	v_add_f64 v[2:3], v[10:11], v[2:3]
	v_fma_f64 v[4:5], v[6:7], v[140:141], -v[4:5]
	v_add_f64 v[2:3], v[2:3], v[4:5]
	v_mul_f64 v[4:5], v[28:29], v[148:149]
	v_fma_f64 v[4:5], v[26:27], v[164:165], -v[4:5]
	v_add_f64 v[2:3], v[2:3], v[4:5]
	v_mul_f64 v[4:5], v[32:33], v[142:143]
	;; [unrolled: 3-line block ×22, first 2 shown]
	v_fma_f64 v[4:5], v[110:111], v[234:235], -v[4:5]
	v_add_f64 v[2:3], v[2:3], v[4:5]
	s_waitcnt vmcnt(6) lgkmcnt(0)
	v_mul_f64 v[4:5], v[116:117], v[240:241]
	s_waitcnt vmcnt(4)
	v_fma_f64 v[4:5], v[114:115], v[242:243], -v[4:5]
	v_mul_f64 v[226:227], v[114:115], v[240:241]
	v_add_f64 v[2:3], v[2:3], v[4:5]
	v_fmac_f64_e32 v[226:227], v[116:117], v[242:243]
	s_waitcnt vmcnt(2)
	v_add_f64 v[2:3], v[254:255], -v[2:3]
	v_accvgpr_read_b32 v254, a164
	v_add_f64 v[244:245], v[224:225], v[226:227]
	v_cmp_lt_u32_e32 vcc, 19, v254
	s_waitcnt vmcnt(0)
	v_add_f64 v[4:5], v[252:253], -v[244:245]
	buffer_store_dword v3, off, s[0:3], 0 offset:340
	buffer_store_dword v2, off, s[0:3], 0 offset:336
	;; [unrolled: 1-line block ×4, first 2 shown]
	s_and_saveexec_b64 s[4:5], vcc
	s_cbranch_execz .LBB54_305
; %bb.304:
	v_accvgpr_read_b32 v0, a145
	buffer_load_dword v2, v0, s[0:3], 0 offen
	buffer_load_dword v3, v0, s[0:3], 0 offen offset:4
	buffer_load_dword v4, v0, s[0:3], 0 offen offset:8
	;; [unrolled: 1-line block ×3, first 2 shown]
	v_mov_b32_e32 v0, 0
	v_accvgpr_read_b32 v1, a165
	buffer_store_dword v0, off, s[0:3], 0 offset:320
	buffer_store_dword v0, off, s[0:3], 0 offset:324
	;; [unrolled: 1-line block ×4, first 2 shown]
	s_waitcnt vmcnt(4)
	ds_write_b128 v1, v[2:5]
.LBB54_305:
	s_or_b64 exec, exec, s[4:5]
	s_waitcnt lgkmcnt(0)
	; wave barrier
	s_waitcnt lgkmcnt(0)
	buffer_load_dword v82, off, s[0:3], 0 offset:336
	buffer_load_dword v83, off, s[0:3], 0 offset:340
	;; [unrolled: 1-line block ×54, first 2 shown]
	v_mov_b32_e32 v1, 0
	ds_read_b128 v[90:93], v1 offset:1200
	ds_read_b128 v[106:109], v1 offset:1216
	;; [unrolled: 1-line block ×9, first 2 shown]
	buffer_load_dword v151, off, s[0:3], 0 offset:564
	buffer_load_dword v150, off, s[0:3], 0 offset:560
	buffer_load_dword v165, off, s[0:3], 0 offset:556
	buffer_load_dword v164, off, s[0:3], 0 offset:552
	buffer_load_dword v169, off, s[0:3], 0 offset:548
	buffer_load_dword v168, off, s[0:3], 0 offset:544
	buffer_load_dword v153, off, s[0:3], 0 offset:604
	buffer_load_dword v152, off, s[0:3], 0 offset:600
	buffer_load_dword v155, off, s[0:3], 0 offset:596
	buffer_load_dword v154, off, s[0:3], 0 offset:592
	buffer_load_dword v173, off, s[0:3], 0 offset:588
	buffer_load_dword v172, off, s[0:3], 0 offset:584
	buffer_load_dword v177, off, s[0:3], 0 offset:580
	buffer_load_dword v176, off, s[0:3], 0 offset:576
	buffer_load_dword v157, off, s[0:3], 0 offset:636
	buffer_load_dword v156, off, s[0:3], 0 offset:632
	buffer_load_dword v159, off, s[0:3], 0 offset:628
	buffer_load_dword v158, off, s[0:3], 0 offset:624
	buffer_load_dword v181, off, s[0:3], 0 offset:620
	buffer_load_dword v180, off, s[0:3], 0 offset:616
	buffer_load_dword v185, off, s[0:3], 0 offset:612
	buffer_load_dword v184, off, s[0:3], 0 offset:608
	buffer_load_dword v161, off, s[0:3], 0 offset:668
	buffer_load_dword v160, off, s[0:3], 0 offset:664
	buffer_load_dword v163, off, s[0:3], 0 offset:660
	buffer_load_dword v162, off, s[0:3], 0 offset:656
	buffer_load_dword v189, off, s[0:3], 0 offset:652
	buffer_load_dword v188, off, s[0:3], 0 offset:648
	buffer_load_dword v193, off, s[0:3], 0 offset:644
	buffer_load_dword v192, off, s[0:3], 0 offset:640
	buffer_load_dword v167, off, s[0:3], 0 offset:700
	buffer_load_dword v166, off, s[0:3], 0 offset:696
	buffer_load_dword v171, off, s[0:3], 0 offset:692
	buffer_load_dword v170, off, s[0:3], 0 offset:688
	buffer_load_dword v197, off, s[0:3], 0 offset:684
	buffer_load_dword v196, off, s[0:3], 0 offset:680
	buffer_load_dword v199, off, s[0:3], 0 offset:676
	buffer_load_dword v198, off, s[0:3], 0 offset:672
	buffer_load_dword v175, off, s[0:3], 0 offset:732
	buffer_load_dword v174, off, s[0:3], 0 offset:728
	buffer_load_dword v179, off, s[0:3], 0 offset:724
	buffer_load_dword v178, off, s[0:3], 0 offset:720
	buffer_load_dword v201, off, s[0:3], 0 offset:716
	buffer_load_dword v200, off, s[0:3], 0 offset:712
	buffer_load_dword v203, off, s[0:3], 0 offset:708
	buffer_load_dword v202, off, s[0:3], 0 offset:704
	buffer_load_dword v183, off, s[0:3], 0 offset:764
	buffer_load_dword v182, off, s[0:3], 0 offset:760
	buffer_load_dword v187, off, s[0:3], 0 offset:756
	buffer_load_dword v186, off, s[0:3], 0 offset:752
	buffer_load_dword v205, off, s[0:3], 0 offset:748
	buffer_load_dword v204, off, s[0:3], 0 offset:744
	buffer_load_dword v207, off, s[0:3], 0 offset:740
	buffer_load_dword v206, off, s[0:3], 0 offset:736
	buffer_load_dword v191, off, s[0:3], 0 offset:796
	buffer_load_dword v190, off, s[0:3], 0 offset:792
	buffer_load_dword v195, off, s[0:3], 0 offset:788
	buffer_load_dword v194, off, s[0:3], 0 offset:784
	buffer_load_dword v209, off, s[0:3], 0 offset:780
	buffer_load_dword v208, off, s[0:3], 0 offset:776
	buffer_load_dword v211, off, s[0:3], 0 offset:772
	buffer_load_dword v210, off, s[0:3], 0 offset:768
	v_cmp_lt_u32_e32 vcc, 18, v254
	s_waitcnt vmcnt(62) lgkmcnt(8)
	v_mul_f64 v[14:15], v[90:91], v[84:85]
	v_fmac_f64_e32 v[14:15], v[92:93], v[82:83]
	v_add_f64 v[14:15], v[14:15], 0
	v_mul_f64 v[84:85], v[92:93], v[84:85]
	s_waitcnt lgkmcnt(7)
	v_mul_f64 v[16:17], v[106:107], v[88:89]
	v_fmac_f64_e32 v[16:17], v[108:109], v[86:87]
	s_waitcnt lgkmcnt(6)
	v_mul_f64 v[18:19], v[114:115], v[94:95]
	v_add_f64 v[14:15], v[14:15], v[16:17]
	s_waitcnt lgkmcnt(4)
	v_mul_f64 v[22:23], v[246:247], v[102:103]
	v_fma_f64 v[220:221], v[90:91], v[82:83], -v[84:85]
	v_fmac_f64_e32 v[22:23], v[248:249], v[104:105]
	v_mul_f64 v[88:89], v[108:109], v[88:89]
	v_mul_f64 v[20:21], v[242:243], v[98:99]
	v_fma_f64 v[222:223], v[106:107], v[86:87], -v[88:89]
	s_waitcnt lgkmcnt(2)
	v_mul_f64 v[26:27], v[10:11], v[120:121]
	v_mul_f64 v[94:95], v[116:117], v[94:95]
	v_fmac_f64_e32 v[26:27], v[12:13], v[122:123]
	v_mul_f64 v[98:99], v[244:245], v[98:99]
	v_mul_f64 v[24:25], v[250:251], v[110:111]
	;; [unrolled: 1-line block ×3, first 2 shown]
	s_waitcnt lgkmcnt(1)
	v_mul_f64 v[28:29], v[6:7], v[124:125]
	v_mul_f64 v[110:111], v[252:253], v[110:111]
	v_fmac_f64_e32 v[18:19], v[116:117], v[96:97]
	v_add_f64 v[14:15], v[14:15], v[18:19]
	v_fmac_f64_e32 v[20:21], v[244:245], v[100:101]
	v_add_f64 v[14:15], v[14:15], v[20:21]
	;; [unrolled: 2-line block ×3, first 2 shown]
	v_add_f64 v[14:15], v[14:15], v[24:25]
	v_fmac_f64_e32 v[28:29], v[8:9], v[128:129]
	v_add_f64 v[14:15], v[14:15], v[26:27]
	v_add_f64 v[18:19], v[14:15], v[28:29]
	ds_read_b128 v[14:17], v1 offset:1344
	s_waitcnt lgkmcnt(1)
	v_mul_f64 v[20:21], v[2:3], v[126:127]
	v_fmac_f64_e32 v[20:21], v[4:5], v[130:131]
	v_add_f64 v[22:23], v[18:19], v[20:21]
	ds_read_b128 v[18:21], v1 offset:1360
	s_waitcnt lgkmcnt(1)
	v_mul_f64 v[24:25], v[14:15], v[136:137]
	v_fmac_f64_e32 v[24:25], v[16:17], v[138:139]
	;; [unrolled: 5-line block ×5, first 2 shown]
	v_add_f64 v[38:39], v[34:35], v[36:37]
	ds_read_b128 v[34:37], v1 offset:1424
	s_waitcnt vmcnt(58) lgkmcnt(1)
	v_mul_f64 v[40:41], v[30:31], v[164:165]
	s_waitcnt vmcnt(56)
	v_fmac_f64_e32 v[40:41], v[32:33], v[168:169]
	v_add_f64 v[42:43], v[38:39], v[40:41]
	ds_read_b128 v[38:41], v1 offset:1440
	s_waitcnt lgkmcnt(1)
	v_mul_f64 v[44:45], v[34:35], v[144:145]
	v_fmac_f64_e32 v[44:45], v[36:37], v[150:151]
	v_add_f64 v[46:47], v[42:43], v[44:45]
	ds_read_b128 v[42:45], v1 offset:1456
	s_waitcnt vmcnt(50) lgkmcnt(1)
	v_mul_f64 v[48:49], v[38:39], v[172:173]
	s_waitcnt vmcnt(48)
	v_fmac_f64_e32 v[48:49], v[40:41], v[176:177]
	v_add_f64 v[50:51], v[46:47], v[48:49]
	ds_read_b128 v[46:49], v1 offset:1472
	buffer_load_dword v213, off, s[0:3], 0 offset:812
	buffer_load_dword v212, off, s[0:3], 0 offset:808
	;; [unrolled: 1-line block ×8, first 2 shown]
	s_waitcnt lgkmcnt(1)
	v_mul_f64 v[52:53], v[42:43], v[152:153]
	v_fmac_f64_e32 v[52:53], v[44:45], v[154:155]
	v_add_f64 v[54:55], v[50:51], v[52:53]
	ds_read_b128 v[50:53], v1 offset:1488
	s_waitcnt vmcnt(50) lgkmcnt(1)
	v_mul_f64 v[56:57], v[46:47], v[180:181]
	s_waitcnt vmcnt(48)
	v_fmac_f64_e32 v[56:57], v[48:49], v[184:185]
	buffer_load_dword v217, off, s[0:3], 0 offset:860
	buffer_load_dword v231, off, s[0:3], 0 offset:844
	;; [unrolled: 1-line block ×12, first 2 shown]
	v_add_f64 v[58:59], v[54:55], v[56:57]
	ds_read_b128 v[54:57], v1 offset:1504
	s_waitcnt lgkmcnt(1)
	v_mul_f64 v[60:61], v[50:51], v[156:157]
	v_fmac_f64_e32 v[60:61], v[52:53], v[158:159]
	v_add_f64 v[62:63], v[58:59], v[60:61]
	ds_read_b128 v[58:61], v1 offset:1520
	s_waitcnt vmcnt(54) lgkmcnt(1)
	v_mul_f64 v[64:65], v[54:55], v[188:189]
	s_waitcnt vmcnt(52)
	v_fmac_f64_e32 v[64:65], v[56:57], v[192:193]
	v_add_f64 v[66:67], v[62:63], v[64:65]
	ds_read_b128 v[62:65], v1 offset:1536
	s_waitcnt lgkmcnt(1)
	v_mul_f64 v[68:69], v[58:59], v[160:161]
	v_fmac_f64_e32 v[68:69], v[60:61], v[162:163]
	v_add_f64 v[70:71], v[66:67], v[68:69]
	ds_read_b128 v[66:69], v1 offset:1552
	s_waitcnt vmcnt(46) lgkmcnt(1)
	v_mul_f64 v[72:73], v[62:63], v[196:197]
	s_waitcnt vmcnt(44)
	v_fmac_f64_e32 v[72:73], v[64:65], v[198:199]
	v_add_f64 v[78:79], v[70:71], v[72:73]
	ds_read_b128 v[70:73], v1 offset:1568
	ds_read_b128 v[74:77], v1 offset:1584
	s_waitcnt lgkmcnt(2)
	v_mul_f64 v[80:81], v[66:67], v[166:167]
	v_fmac_f64_e32 v[80:81], v[68:69], v[170:171]
	v_add_f64 v[78:79], v[78:79], v[80:81]
	s_waitcnt vmcnt(38) lgkmcnt(1)
	v_mul_f64 v[80:81], v[70:71], v[200:201]
	s_waitcnt vmcnt(36)
	v_fmac_f64_e32 v[80:81], v[72:73], v[202:203]
	v_add_f64 v[78:79], v[78:79], v[80:81]
	s_waitcnt lgkmcnt(0)
	v_mul_f64 v[80:81], v[74:75], v[174:175]
	v_fmac_f64_e32 v[80:81], v[76:77], v[178:179]
	v_add_f64 v[118:119], v[78:79], v[80:81]
	ds_read_b128 v[78:81], v1 offset:1600
	ds_read_b128 v[82:85], v1 offset:1616
	;; [unrolled: 1-line block ×3, first 2 shown]
	v_fma_f64 v[224:225], v[242:243], v[100:101], -v[98:99]
	ds_read_b128 v[98:101], v1 offset:1680
	s_waitcnt vmcnt(30) lgkmcnt(3)
	v_mul_f64 v[90:91], v[78:79], v[204:205]
	s_waitcnt vmcnt(28)
	v_fmac_f64_e32 v[90:91], v[80:81], v[206:207]
	s_waitcnt lgkmcnt(2)
	v_mul_f64 v[92:93], v[82:83], v[182:183]
	v_add_f64 v[90:91], v[118:119], v[90:91]
	v_fmac_f64_e32 v[92:93], v[84:85], v[186:187]
	v_add_f64 v[90:91], v[90:91], v[92:93]
	v_fma_f64 v[118:119], v[114:115], v[96:97], -v[94:95]
	ds_read_b128 v[94:97], v1 offset:1664
	s_waitcnt vmcnt(22) lgkmcnt(2)
	v_mul_f64 v[92:93], v[86:87], v[208:209]
	s_waitcnt vmcnt(20)
	v_fmac_f64_e32 v[92:93], v[88:89], v[210:211]
	v_add_f64 v[106:107], v[90:91], v[92:93]
	ds_read_b128 v[90:93], v1 offset:1648
	buffer_load_dword v240, off, s[0:3], 0 offset:888
	v_fma_f64 v[226:227], v[246:247], v[104:105], -v[102:103]
	ds_read_b128 v[102:105], v1 offset:1696
	v_fma_f64 v[250:251], v[250:251], v[112:113], -v[110:111]
	s_waitcnt lgkmcnt(1)
	v_mul_f64 v[108:109], v[90:91], v[190:191]
	v_fmac_f64_e32 v[108:109], v[92:93], v[194:195]
	v_add_f64 v[106:107], v[106:107], v[108:109]
	ds_read_b128 v[110:113], v1 offset:1728
	v_add_f64 v[220:221], v[220:221], 0
	v_add_f64 v[220:221], v[220:221], v[222:223]
	;; [unrolled: 1-line block ×5, first 2 shown]
	v_mul_f64 v[12:13], v[12:13], v[120:121]
	v_add_f64 v[118:119], v[252:253], v[250:251]
	v_fma_f64 v[10:11], v[10:11], v[122:123], -v[12:13]
	v_mul_f64 v[8:9], v[8:9], v[124:125]
	v_add_f64 v[10:11], v[118:119], v[10:11]
	v_fma_f64 v[6:7], v[6:7], v[128:129], -v[8:9]
	;; [unrolled: 3-line block ×3, first 2 shown]
	v_mul_f64 v[4:5], v[16:17], v[136:137]
	v_add_f64 v[2:3], v[6:7], v[2:3]
	s_waitcnt vmcnt(19)
	v_mul_f64 v[108:109], v[94:95], v[212:213]
	v_fma_f64 v[4:5], v[14:15], v[138:139], -v[4:5]
	s_waitcnt vmcnt(17)
	v_fmac_f64_e32 v[108:109], v[96:97], v[214:215]
	v_add_f64 v[106:107], v[106:107], v[108:109]
	s_waitcnt vmcnt(15)
	v_mul_f64 v[108:109], v[98:99], v[218:219]
	s_waitcnt vmcnt(13)
	v_fmac_f64_e32 v[108:109], v[100:101], v[228:229]
	v_add_f64 v[114:115], v[106:107], v[108:109]
	ds_read_b128 v[106:109], v1 offset:1712
	buffer_load_dword v244, off, s[0:3], 0 offset:880
	buffer_load_dword v241, off, s[0:3], 0 offset:892
	;; [unrolled: 1-line block ×3, first 2 shown]
	s_waitcnt vmcnt(13) lgkmcnt(2)
	v_mul_f64 v[116:117], v[102:103], v[230:231]
	s_waitcnt vmcnt(11)
	v_fmac_f64_e32 v[116:117], v[104:105], v[236:237]
	v_add_f64 v[114:115], v[114:115], v[116:117]
	s_waitcnt vmcnt(10) lgkmcnt(0)
	v_mul_f64 v[116:117], v[106:107], v[216:217]
	s_waitcnt vmcnt(8)
	v_fmac_f64_e32 v[116:117], v[108:109], v[234:235]
	v_add_f64 v[114:115], v[114:115], v[116:117]
	s_waitcnt vmcnt(6)
	v_mul_f64 v[116:117], v[110:111], v[232:233]
	s_waitcnt vmcnt(4)
	v_fmac_f64_e32 v[116:117], v[112:113], v[238:239]
	v_add_f64 v[242:243], v[114:115], v[116:117]
	ds_read_b128 v[114:117], v1 offset:1744
	buffer_load_dword v248, off, s[0:3], 0 offset:320
	buffer_load_dword v249, off, s[0:3], 0 offset:324
	v_add_f64 v[2:3], v[2:3], v[4:5]
	v_mul_f64 v[4:5], v[20:21], v[132:133]
	v_fma_f64 v[4:5], v[18:19], v[134:135], -v[4:5]
	v_add_f64 v[2:3], v[2:3], v[4:5]
	v_mul_f64 v[4:5], v[24:25], v[146:147]
	v_fma_f64 v[4:5], v[22:23], v[148:149], -v[4:5]
	;; [unrolled: 3-line block ×22, first 2 shown]
	v_add_f64 v[2:3], v[2:3], v[4:5]
	s_waitcnt vmcnt(3) lgkmcnt(0)
	v_mul_f64 v[246:247], v[114:115], v[240:241]
	s_waitcnt vmcnt(2)
	v_fmac_f64_e32 v[246:247], v[116:117], v[244:245]
	v_add_f64 v[242:243], v[242:243], v[246:247]
	buffer_load_dword v246, off, s[0:3], 0 offset:328
	buffer_load_dword v247, off, s[0:3], 0 offset:332
	v_mul_f64 v[4:5], v[108:109], v[216:217]
	v_fma_f64 v[4:5], v[106:107], v[234:235], -v[4:5]
	v_add_f64 v[2:3], v[2:3], v[4:5]
	v_mul_f64 v[4:5], v[112:113], v[232:233]
	v_fma_f64 v[4:5], v[110:111], v[238:239], -v[4:5]
	v_add_f64 v[2:3], v[2:3], v[4:5]
	;; [unrolled: 3-line block ×3, first 2 shown]
	s_waitcnt vmcnt(2)
	v_add_f64 v[2:3], v[248:249], -v[2:3]
	s_waitcnt vmcnt(0)
	v_add_f64 v[4:5], v[246:247], -v[242:243]
	buffer_store_dword v3, off, s[0:3], 0 offset:324
	buffer_store_dword v2, off, s[0:3], 0 offset:320
	buffer_store_dword v5, off, s[0:3], 0 offset:332
	buffer_store_dword v4, off, s[0:3], 0 offset:328
	s_and_saveexec_b64 s[4:5], vcc
	s_cbranch_execz .LBB54_307
; %bb.306:
	v_accvgpr_read_b32 v0, a146
	buffer_load_dword v2, v0, s[0:3], 0 offen
	buffer_load_dword v3, v0, s[0:3], 0 offen offset:4
	buffer_load_dword v4, v0, s[0:3], 0 offen offset:8
	;; [unrolled: 1-line block ×3, first 2 shown]
	v_accvgpr_read_b32 v0, a165
	buffer_store_dword v1, off, s[0:3], 0 offset:304
	buffer_store_dword v1, off, s[0:3], 0 offset:308
	buffer_store_dword v1, off, s[0:3], 0 offset:312
	buffer_store_dword v1, off, s[0:3], 0 offset:316
	s_waitcnt vmcnt(4)
	ds_write_b128 v0, v[2:5]
.LBB54_307:
	s_or_b64 exec, exec, s[4:5]
	s_waitcnt lgkmcnt(0)
	; wave barrier
	s_waitcnt lgkmcnt(0)
	buffer_load_dword v84, off, s[0:3], 0 offset:320
	buffer_load_dword v85, off, s[0:3], 0 offset:324
	;; [unrolled: 1-line block ×34, first 2 shown]
	ds_read_b128 v[74:77], v1 offset:1184
	ds_read_b128 v[78:81], v1 offset:1200
	;; [unrolled: 1-line block ×8, first 2 shown]
	buffer_load_dword v127, off, s[0:3], 0 offset:436
	buffer_load_dword v126, off, s[0:3], 0 offset:432
	ds_read_b128 v[6:9], v1 offset:1312
	buffer_load_dword v129, off, s[0:3], 0 offset:492
	buffer_load_dword v128, off, s[0:3], 0 offset:488
	;; [unrolled: 1-line block ×80, first 2 shown]
	s_waitcnt vmcnt(62) lgkmcnt(8)
	v_mul_f64 v[10:11], v[74:75], v[106:107]
	v_fmac_f64_e32 v[10:11], v[76:77], v[84:85]
	v_add_f64 v[10:11], v[10:11], 0
	v_mul_f64 v[76:77], v[76:77], v[106:107]
	s_waitcnt lgkmcnt(7)
	v_mul_f64 v[12:13], v[78:79], v[96:97]
	v_fmac_f64_e32 v[12:13], v[80:81], v[82:83]
	s_waitcnt lgkmcnt(6)
	v_mul_f64 v[14:15], v[86:87], v[94:95]
	v_add_f64 v[10:11], v[10:11], v[12:13]
	s_waitcnt lgkmcnt(4)
	v_mul_f64 v[18:19], v[98:99], v[108:109]
	v_fma_f64 v[220:221], v[74:75], v[84:85], -v[76:77]
	v_fmac_f64_e32 v[18:19], v[100:101], v[114:115]
	v_mul_f64 v[80:81], v[80:81], v[96:97]
	v_mul_f64 v[16:17], v[90:91], v[116:117]
	v_fma_f64 v[222:223], v[78:79], v[82:83], -v[80:81]
	s_waitcnt lgkmcnt(2)
	v_mul_f64 v[22:23], v[110:111], v[240:241]
	v_mul_f64 v[100:101], v[100:101], v[108:109]
	v_fma_f64 v[226:227], v[98:99], v[114:115], -v[100:101]
	v_mul_f64 v[20:21], v[102:103], v[244:245]
	v_add_f64 v[220:221], v[220:221], 0
	s_waitcnt lgkmcnt(1)
	v_mul_f64 v[24:25], v[2:3], v[120:121]
	v_add_f64 v[220:221], v[220:221], v[222:223]
	v_fmac_f64_e32 v[14:15], v[88:89], v[250:251]
	v_add_f64 v[10:11], v[10:11], v[14:15]
	v_fmac_f64_e32 v[16:17], v[92:93], v[248:249]
	;; [unrolled: 2-line block ×4, first 2 shown]
	v_add_f64 v[10:11], v[10:11], v[20:21]
	v_add_f64 v[10:11], v[10:11], v[22:23]
	s_waitcnt lgkmcnt(0)
	v_mul_f64 v[16:17], v[6:7], v[122:123]
	v_fmac_f64_e32 v[16:17], v[8:9], v[124:125]
	v_fmac_f64_e32 v[24:25], v[4:5], v[126:127]
	v_add_f64 v[14:15], v[10:11], v[24:25]
	ds_read_b128 v[10:13], v1 offset:1328
	v_add_f64 v[18:19], v[14:15], v[16:17]
	ds_read_b128 v[14:17], v1 offset:1344
	v_mul_f64 v[88:89], v[88:89], v[94:95]
	v_mul_f64 v[92:93], v[92:93], v[116:117]
	s_waitcnt lgkmcnt(1)
	v_mul_f64 v[20:21], v[10:11], v[132:133]
	v_fmac_f64_e32 v[20:21], v[12:13], v[134:135]
	s_waitcnt lgkmcnt(0)
	v_mul_f64 v[24:25], v[14:15], v[128:129]
	v_add_f64 v[22:23], v[18:19], v[20:21]
	ds_read_b128 v[18:21], v1 offset:1360
	v_fmac_f64_e32 v[24:25], v[16:17], v[130:131]
	v_add_f64 v[26:27], v[22:23], v[24:25]
	ds_read_b128 v[22:25], v1 offset:1376
	v_fma_f64 v[224:225], v[90:91], v[248:249], -v[92:93]
	s_waitcnt lgkmcnt(1)
	v_mul_f64 v[28:29], v[18:19], v[144:145]
	v_fmac_f64_e32 v[28:29], v[20:21], v[146:147]
	v_add_f64 v[30:31], v[26:27], v[28:29]
	s_waitcnt lgkmcnt(0)
	v_mul_f64 v[32:33], v[22:23], v[136:137]
	ds_read_b128 v[26:29], v1 offset:1392
	v_fmac_f64_e32 v[32:33], v[24:25], v[138:139]
	v_add_f64 v[34:35], v[30:31], v[32:33]
	ds_read_b128 v[30:33], v1 offset:1408
	v_mul_f64 v[104:105], v[104:105], v[244:245]
	s_waitcnt vmcnt(58) lgkmcnt(1)
	v_mul_f64 v[36:37], v[26:27], v[160:161]
	s_waitcnt vmcnt(56)
	v_fmac_f64_e32 v[36:37], v[28:29], v[164:165]
	v_add_f64 v[38:39], v[34:35], v[36:37]
	s_waitcnt lgkmcnt(0)
	v_mul_f64 v[40:41], v[30:31], v[140:141]
	ds_read_b128 v[34:37], v1 offset:1424
	v_fmac_f64_e32 v[40:41], v[32:33], v[142:143]
	v_add_f64 v[42:43], v[38:39], v[40:41]
	ds_read_b128 v[38:41], v1 offset:1440
	v_mul_f64 v[112:113], v[112:113], v[240:241]
	s_waitcnt vmcnt(50) lgkmcnt(1)
	v_mul_f64 v[44:45], v[34:35], v[168:169]
	s_waitcnt vmcnt(48)
	v_fmac_f64_e32 v[44:45], v[36:37], v[172:173]
	v_add_f64 v[46:47], v[42:43], v[44:45]
	s_waitcnt lgkmcnt(0)
	v_mul_f64 v[48:49], v[38:39], v[148:149]
	v_fmac_f64_e32 v[48:49], v[40:41], v[150:151]
	ds_read_b128 v[42:45], v1 offset:1456
	v_add_f64 v[50:51], v[46:47], v[48:49]
	ds_read_b128 v[46:49], v1 offset:1472
	buffer_load_dword v209, off, s[0:3], 0 offset:812
	buffer_load_dword v211, off, s[0:3], 0 offset:796
	;; [unrolled: 1-line block ×12, first 2 shown]
	v_fma_f64 v[252:253], v[110:111], v[242:243], -v[112:113]
	s_waitcnt vmcnt(54) lgkmcnt(1)
	v_mul_f64 v[52:53], v[42:43], v[176:177]
	s_waitcnt vmcnt(52)
	v_fmac_f64_e32 v[52:53], v[44:45], v[180:181]
	v_add_f64 v[54:55], v[50:51], v[52:53]
	ds_read_b128 v[50:53], v1 offset:1488
	s_waitcnt lgkmcnt(1)
	v_mul_f64 v[56:57], v[46:47], v[152:153]
	v_fmac_f64_e32 v[56:57], v[48:49], v[154:155]
	buffer_load_dword v231, off, s[0:3], 0 offset:844
	buffer_load_dword v230, off, s[0:3], 0 offset:840
	;; [unrolled: 1-line block ×12, first 2 shown]
	v_add_f64 v[58:59], v[54:55], v[56:57]
	ds_read_b128 v[54:57], v1 offset:1504
	s_waitcnt vmcnt(58) lgkmcnt(1)
	v_mul_f64 v[60:61], v[50:51], v[184:185]
	s_waitcnt vmcnt(56)
	v_fmac_f64_e32 v[60:61], v[52:53], v[188:189]
	v_add_f64 v[62:63], v[58:59], v[60:61]
	ds_read_b128 v[58:61], v1 offset:1520
	s_waitcnt lgkmcnt(1)
	v_mul_f64 v[64:65], v[54:55], v[156:157]
	v_fmac_f64_e32 v[64:65], v[56:57], v[158:159]
	v_add_f64 v[70:71], v[62:63], v[64:65]
	ds_read_b128 v[62:65], v1 offset:1536
	ds_read_b128 v[66:69], v1 offset:1552
	s_waitcnt vmcnt(50) lgkmcnt(2)
	v_mul_f64 v[72:73], v[58:59], v[192:193]
	s_waitcnt vmcnt(48)
	v_fmac_f64_e32 v[72:73], v[60:61], v[194:195]
	v_add_f64 v[70:71], v[70:71], v[72:73]
	s_waitcnt lgkmcnt(1)
	v_mul_f64 v[72:73], v[62:63], v[162:163]
	v_fmac_f64_e32 v[72:73], v[64:65], v[166:167]
	v_add_f64 v[70:71], v[70:71], v[72:73]
	s_waitcnt vmcnt(42) lgkmcnt(0)
	v_mul_f64 v[72:73], v[66:67], v[196:197]
	s_waitcnt vmcnt(40)
	v_fmac_f64_e32 v[72:73], v[68:69], v[198:199]
	v_add_f64 v[118:119], v[70:71], v[72:73]
	ds_read_b128 v[70:73], v1 offset:1568
	ds_read_b128 v[74:77], v1 offset:1584
	;; [unrolled: 1-line block ×5, first 2 shown]
	s_waitcnt lgkmcnt(4)
	v_mul_f64 v[84:85], v[70:71], v[170:171]
	v_fmac_f64_e32 v[84:85], v[72:73], v[174:175]
	v_add_f64 v[82:83], v[118:119], v[84:85]
	s_waitcnt vmcnt(34) lgkmcnt(3)
	v_mul_f64 v[84:85], v[74:75], v[200:201]
	s_waitcnt vmcnt(32)
	v_fmac_f64_e32 v[84:85], v[76:77], v[202:203]
	v_add_f64 v[82:83], v[82:83], v[84:85]
	v_fma_f64 v[118:119], v[86:87], v[250:251], -v[88:89]
	ds_read_b128 v[86:89], v1 offset:1632
	s_waitcnt lgkmcnt(3)
	v_mul_f64 v[84:85], v[78:79], v[178:179]
	v_fmac_f64_e32 v[84:85], v[80:81], v[182:183]
	v_add_f64 v[96:97], v[82:83], v[84:85]
	ds_read_b128 v[82:85], v1 offset:1616
	v_fma_f64 v[250:251], v[102:103], v[246:247], -v[104:105]
	ds_read_b128 v[110:113], v1 offset:1728
	v_add_f64 v[118:119], v[220:221], v[118:119]
	v_add_f64 v[118:119], v[118:119], v[224:225]
	s_waitcnt vmcnt(26) lgkmcnt(1)
	v_mul_f64 v[94:95], v[82:83], v[204:205]
	s_waitcnt vmcnt(24)
	v_fmac_f64_e32 v[94:95], v[84:85], v[206:207]
	v_add_f64 v[94:95], v[96:97], v[94:95]
	v_mul_f64 v[96:97], v[86:87], v[186:187]
	v_fmac_f64_e32 v[96:97], v[88:89], v[190:191]
	v_add_f64 v[106:107], v[94:95], v[96:97]
	ds_read_b128 v[94:97], v1 offset:1664
	v_add_f64 v[254:255], v[118:119], v[226:227]
	v_add_f64 v[118:119], v[254:255], v[250:251]
	v_mul_f64 v[4:5], v[4:5], v[120:121]
	v_add_f64 v[118:119], v[118:119], v[252:253]
	ds_read_b128 v[102:105], v1 offset:1712
	v_fma_f64 v[2:3], v[2:3], v[126:127], -v[4:5]
	v_mul_f64 v[4:5], v[8:9], v[122:123]
	v_add_f64 v[2:3], v[118:119], v[2:3]
	v_fma_f64 v[4:5], v[6:7], v[124:125], -v[4:5]
	v_add_f64 v[2:3], v[2:3], v[4:5]
	v_mul_f64 v[4:5], v[12:13], v[132:133]
	v_fma_f64 v[4:5], v[10:11], v[134:135], -v[4:5]
	v_add_f64 v[2:3], v[2:3], v[4:5]
	v_mul_f64 v[4:5], v[16:17], v[128:129]
	s_waitcnt vmcnt(21)
	v_mul_f64 v[108:109], v[90:91], v[210:211]
	v_fma_f64 v[4:5], v[14:15], v[130:131], -v[4:5]
	s_waitcnt vmcnt(19)
	v_fmac_f64_e32 v[108:109], v[92:93], v[216:217]
	v_add_f64 v[106:107], v[106:107], v[108:109]
	s_waitcnt vmcnt(18) lgkmcnt(1)
	v_mul_f64 v[108:109], v[94:95], v[208:209]
	s_waitcnt vmcnt(16)
	v_fmac_f64_e32 v[108:109], v[96:97], v[214:215]
	v_add_f64 v[114:115], v[106:107], v[108:109]
	ds_read_b128 v[106:109], v1 offset:1696
	buffer_load_dword v243, off, s[0:3], 0 offset:892
	buffer_load_dword v242, off, s[0:3], 0 offset:888
	;; [unrolled: 1-line block ×4, first 2 shown]
	s_waitcnt vmcnt(18)
	v_mul_f64 v[116:117], v[98:99], v[212:213]
	s_waitcnt vmcnt(16)
	v_fmac_f64_e32 v[116:117], v[100:101], v[218:219]
	v_add_f64 v[114:115], v[114:115], v[116:117]
	s_waitcnt vmcnt(14) lgkmcnt(0)
	v_mul_f64 v[116:117], v[106:107], v[230:231]
	s_waitcnt vmcnt(12)
	v_fmac_f64_e32 v[116:117], v[108:109], v[232:233]
	v_add_f64 v[114:115], v[114:115], v[116:117]
	s_waitcnt vmcnt(9)
	v_mul_f64 v[116:117], v[102:103], v[236:237]
	s_waitcnt vmcnt(7)
	v_fmac_f64_e32 v[116:117], v[104:105], v[238:239]
	v_add_f64 v[114:115], v[114:115], v[116:117]
	s_waitcnt vmcnt(5)
	v_mul_f64 v[116:117], v[110:111], v[228:229]
	s_waitcnt vmcnt(4)
	v_fmac_f64_e32 v[116:117], v[112:113], v[234:235]
	v_add_f64 v[240:241], v[114:115], v[116:117]
	ds_read_b128 v[114:117], v1 offset:1744
	v_add_f64 v[2:3], v[2:3], v[4:5]
	v_mul_f64 v[4:5], v[20:21], v[144:145]
	v_fma_f64 v[4:5], v[18:19], v[146:147], -v[4:5]
	v_add_f64 v[2:3], v[2:3], v[4:5]
	v_mul_f64 v[4:5], v[24:25], v[136:137]
	v_fma_f64 v[4:5], v[22:23], v[138:139], -v[4:5]
	;; [unrolled: 3-line block ×21, first 2 shown]
	v_add_f64 v[2:3], v[2:3], v[4:5]
	s_waitcnt vmcnt(2) lgkmcnt(0)
	v_mul_f64 v[246:247], v[114:115], v[242:243]
	v_mul_f64 v[4:5], v[108:109], v[230:231]
	s_waitcnt vmcnt(0)
	v_fmac_f64_e32 v[246:247], v[116:117], v[244:245]
	v_add_f64 v[240:241], v[240:241], v[246:247]
	buffer_load_dword v248, off, s[0:3], 0 offset:304
	buffer_load_dword v249, off, s[0:3], 0 offset:308
	;; [unrolled: 1-line block ×4, first 2 shown]
	v_fma_f64 v[4:5], v[106:107], v[232:233], -v[4:5]
	v_add_f64 v[2:3], v[2:3], v[4:5]
	v_mul_f64 v[4:5], v[104:105], v[236:237]
	v_fma_f64 v[4:5], v[102:103], v[238:239], -v[4:5]
	v_add_f64 v[2:3], v[2:3], v[4:5]
	v_mul_f64 v[4:5], v[112:113], v[228:229]
	;; [unrolled: 3-line block ×3, first 2 shown]
	v_fma_f64 v[4:5], v[114:115], v[244:245], -v[4:5]
	v_add_f64 v[2:3], v[2:3], v[4:5]
	v_accvgpr_read_b32 v254, a164
	v_cmp_lt_u32_e32 vcc, 17, v254
	s_waitcnt vmcnt(2)
	v_add_f64 v[2:3], v[248:249], -v[2:3]
	s_waitcnt vmcnt(0)
	v_add_f64 v[4:5], v[246:247], -v[240:241]
	buffer_store_dword v3, off, s[0:3], 0 offset:308
	buffer_store_dword v2, off, s[0:3], 0 offset:304
	;; [unrolled: 1-line block ×4, first 2 shown]
	s_and_saveexec_b64 s[4:5], vcc
	s_cbranch_execz .LBB54_309
; %bb.308:
	v_accvgpr_read_b32 v0, a147
	buffer_load_dword v2, v0, s[0:3], 0 offen
	buffer_load_dword v3, v0, s[0:3], 0 offen offset:4
	buffer_load_dword v4, v0, s[0:3], 0 offen offset:8
	;; [unrolled: 1-line block ×3, first 2 shown]
	v_mov_b32_e32 v0, 0
	v_accvgpr_read_b32 v1, a165
	buffer_store_dword v0, off, s[0:3], 0 offset:288
	buffer_store_dword v0, off, s[0:3], 0 offset:292
	;; [unrolled: 1-line block ×4, first 2 shown]
	s_waitcnt vmcnt(4)
	ds_write_b128 v1, v[2:5]
.LBB54_309:
	s_or_b64 exec, exec, s[4:5]
	s_waitcnt lgkmcnt(0)
	; wave barrier
	s_waitcnt lgkmcnt(0)
	buffer_load_dword v66, off, s[0:3], 0 offset:304
	buffer_load_dword v67, off, s[0:3], 0 offset:308
	;; [unrolled: 1-line block ×55, first 2 shown]
	v_mov_b32_e32 v1, 0
	ds_read_b128 v[74:77], v1 offset:1168
	ds_read_b128 v[86:89], v1 offset:1184
	;; [unrolled: 1-line block ×9, first 2 shown]
	buffer_load_dword v138, off, s[0:3], 0 offset:528
	buffer_load_dword v157, off, s[0:3], 0 offset:524
	;; [unrolled: 1-line block ×61, first 2 shown]
	v_cmp_lt_u32_e32 vcc, 16, v254
	s_waitcnt vmcnt(62) lgkmcnt(8)
	v_mul_f64 v[6:7], v[74:75], v[68:69]
	v_fmac_f64_e32 v[6:7], v[76:77], v[66:67]
	v_add_f64 v[6:7], v[6:7], 0
	v_mul_f64 v[68:69], v[76:77], v[68:69]
	s_waitcnt lgkmcnt(7)
	v_mul_f64 v[8:9], v[86:87], v[72:73]
	v_fmac_f64_e32 v[8:9], v[88:89], v[70:71]
	s_waitcnt lgkmcnt(6)
	v_mul_f64 v[10:11], v[98:99], v[78:79]
	v_add_f64 v[6:7], v[6:7], v[8:9]
	s_waitcnt lgkmcnt(4)
	v_mul_f64 v[14:15], v[114:115], v[90:91]
	v_fma_f64 v[220:221], v[74:75], v[66:67], -v[68:69]
	v_fmac_f64_e32 v[14:15], v[116:117], v[92:93]
	v_mul_f64 v[72:73], v[88:89], v[72:73]
	v_mul_f64 v[12:13], v[110:111], v[82:83]
	;; [unrolled: 1-line block ×3, first 2 shown]
	s_waitcnt lgkmcnt(2)
	v_mul_f64 v[18:19], v[244:245], v[102:103]
	v_mul_f64 v[82:83], v[112:113], v[82:83]
	;; [unrolled: 1-line block ×4, first 2 shown]
	v_fma_f64 v[226:227], v[114:115], v[92:93], -v[90:91]
	s_waitcnt lgkmcnt(1)
	v_mul_f64 v[20:21], v[248:249], v[106:107]
	v_fmac_f64_e32 v[20:21], v[250:251], v[108:109]
	v_fmac_f64_e32 v[10:11], v[100:101], v[80:81]
	v_add_f64 v[6:7], v[6:7], v[10:11]
	v_fmac_f64_e32 v[12:13], v[112:113], v[84:85]
	v_add_f64 v[6:7], v[6:7], v[12:13]
	;; [unrolled: 2-line block ×4, first 2 shown]
	v_add_f64 v[6:7], v[6:7], v[18:19]
	v_add_f64 v[10:11], v[6:7], v[20:21]
	ds_read_b128 v[6:9], v1 offset:1312
	s_waitcnt lgkmcnt(1)
	v_mul_f64 v[12:13], v[2:3], v[120:121]
	v_fmac_f64_e32 v[12:13], v[4:5], v[122:123]
	v_add_f64 v[14:15], v[10:11], v[12:13]
	ds_read_b128 v[10:13], v1 offset:1328
	s_waitcnt lgkmcnt(1)
	v_mul_f64 v[16:17], v[6:7], v[128:129]
	v_fmac_f64_e32 v[16:17], v[8:9], v[130:131]
	;; [unrolled: 5-line block ×5, first 2 shown]
	v_add_f64 v[30:31], v[26:27], v[28:29]
	ds_read_b128 v[26:29], v1 offset:1392
	s_waitcnt vmcnt(58) lgkmcnt(1)
	v_mul_f64 v[32:33], v[22:23], v[156:157]
	s_waitcnt vmcnt(56)
	v_fmac_f64_e32 v[32:33], v[24:25], v[160:161]
	v_add_f64 v[34:35], v[30:31], v[32:33]
	ds_read_b128 v[30:33], v1 offset:1408
	s_waitcnt lgkmcnt(1)
	v_mul_f64 v[36:37], v[26:27], v[136:137]
	v_fmac_f64_e32 v[36:37], v[28:29], v[138:139]
	v_add_f64 v[38:39], v[34:35], v[36:37]
	ds_read_b128 v[34:37], v1 offset:1424
	s_waitcnt vmcnt(50) lgkmcnt(1)
	v_mul_f64 v[40:41], v[30:31], v[164:165]
	s_waitcnt vmcnt(48)
	v_fmac_f64_e32 v[40:41], v[32:33], v[168:169]
	v_add_f64 v[42:43], v[38:39], v[40:41]
	ds_read_b128 v[38:41], v1 offset:1440
	s_waitcnt lgkmcnt(1)
	v_mul_f64 v[44:45], v[34:35], v[144:145]
	v_fmac_f64_e32 v[44:45], v[36:37], v[146:147]
	v_add_f64 v[46:47], v[42:43], v[44:45]
	ds_read_b128 v[42:45], v1 offset:1456
	s_waitcnt vmcnt(42) lgkmcnt(1)
	v_mul_f64 v[48:49], v[38:39], v[172:173]
	s_waitcnt vmcnt(40)
	v_fmac_f64_e32 v[48:49], v[40:41], v[176:177]
	v_add_f64 v[50:51], v[46:47], v[48:49]
	ds_read_b128 v[46:49], v1 offset:1472
	buffer_load_dword v205, off, s[0:3], 0 offset:780
	buffer_load_dword v204, off, s[0:3], 0 offset:776
	;; [unrolled: 1-line block ×4, first 2 shown]
	s_waitcnt lgkmcnt(1)
	v_mul_f64 v[52:53], v[42:43], v[148:149]
	v_fmac_f64_e32 v[52:53], v[44:45], v[150:151]
	v_add_f64 v[54:55], v[50:51], v[52:53]
	ds_read_b128 v[50:53], v1 offset:1488
	buffer_load_dword v209, off, s[0:3], 0 offset:796
	buffer_load_dword v208, off, s[0:3], 0 offset:792
	;; [unrolled: 1-line block ×8, first 2 shown]
	s_waitcnt vmcnt(46) lgkmcnt(1)
	v_mul_f64 v[56:57], v[46:47], v[180:181]
	s_waitcnt vmcnt(44)
	v_fmac_f64_e32 v[56:57], v[48:49], v[184:185]
	v_add_f64 v[58:59], v[54:55], v[56:57]
	ds_read_b128 v[54:57], v1 offset:1504
	buffer_load_dword v219, off, s[0:3], 0 offset:828
	buffer_load_dword v218, off, s[0:3], 0 offset:824
	;; [unrolled: 1-line block ×12, first 2 shown]
	s_waitcnt lgkmcnt(1)
	v_mul_f64 v[60:61], v[50:51], v[152:153]
	v_fmac_f64_e32 v[60:61], v[52:53], v[154:155]
	v_add_f64 v[62:63], v[58:59], v[60:61]
	ds_read_b128 v[58:61], v1 offset:1520
	s_waitcnt vmcnt(50) lgkmcnt(1)
	v_mul_f64 v[64:65], v[54:55], v[188:189]
	s_waitcnt vmcnt(48)
	v_fmac_f64_e32 v[64:65], v[56:57], v[190:191]
	v_add_f64 v[62:63], v[62:63], v[64:65]
	buffer_load_dword v237, off, s[0:3], 0 offset:876
	buffer_load_dword v236, off, s[0:3], 0 offset:872
	;; [unrolled: 1-line block ×4, first 2 shown]
	s_waitcnt lgkmcnt(0)
	v_mul_f64 v[64:65], v[58:59], v[158:159]
	v_fmac_f64_e32 v[64:65], v[60:61], v[162:163]
	v_add_f64 v[118:119], v[62:63], v[64:65]
	ds_read_b128 v[62:65], v1 offset:1536
	ds_read_b128 v[66:69], v1 offset:1552
	v_fma_f64 v[222:223], v[98:99], v[80:81], -v[78:79]
	ds_read_b128 v[78:81], v1 offset:1600
	v_fma_f64 v[224:225], v[110:111], v[84:85], -v[82:83]
	ds_read_b128 v[82:85], v1 offset:1616
	s_waitcnt vmcnt(46) lgkmcnt(3)
	v_mul_f64 v[74:75], v[62:63], v[192:193]
	s_waitcnt vmcnt(44)
	v_fmac_f64_e32 v[74:75], v[64:65], v[194:195]
	v_add_f64 v[74:75], v[118:119], v[74:75]
	v_fma_f64 v[118:119], v[86:87], v[70:71], -v[72:73]
	ds_read_b128 v[70:73], v1 offset:1568
	s_waitcnt lgkmcnt(3)
	v_mul_f64 v[76:77], v[66:67], v[166:167]
	v_fmac_f64_e32 v[76:77], v[68:69], v[170:171]
	v_add_f64 v[86:87], v[74:75], v[76:77]
	ds_read_b128 v[74:77], v1 offset:1584
	s_waitcnt vmcnt(38) lgkmcnt(1)
	v_mul_f64 v[88:89], v[70:71], v[196:197]
	s_waitcnt vmcnt(36)
	v_fmac_f64_e32 v[88:89], v[72:73], v[198:199]
	v_add_f64 v[86:87], v[86:87], v[88:89]
	ds_read_b128 v[90:93], v1 offset:1648
	s_waitcnt lgkmcnt(1)
	v_mul_f64 v[88:89], v[74:75], v[174:175]
	v_fmac_f64_e32 v[88:89], v[76:77], v[178:179]
	v_add_f64 v[86:87], v[86:87], v[88:89]
	s_waitcnt vmcnt(30)
	v_mul_f64 v[88:89], v[78:79], v[200:201]
	s_waitcnt vmcnt(28)
	v_fmac_f64_e32 v[88:89], v[80:81], v[202:203]
	v_add_f64 v[86:87], v[86:87], v[88:89]
	v_mul_f64 v[88:89], v[82:83], v[182:183]
	v_fmac_f64_e32 v[88:89], v[84:85], v[186:187]
	v_add_f64 v[98:99], v[86:87], v[88:89]
	ds_read_b128 v[86:89], v1 offset:1632
	v_mul_f64 v[94:95], v[242:243], v[94:95]
	v_fma_f64 v[252:253], v[240:241], v[96:97], -v[94:95]
	ds_read_b128 v[94:97], v1 offset:1664
	v_mul_f64 v[102:103], v[246:247], v[102:103]
	v_fma_f64 v[246:247], v[244:245], v[104:105], -v[102:103]
	;; [unrolled: 3-line block ×3, first 2 shown]
	v_add_f64 v[220:221], v[220:221], 0
	v_add_f64 v[118:119], v[220:221], v[118:119]
	;; [unrolled: 1-line block ×7, first 2 shown]
	v_mul_f64 v[4:5], v[4:5], v[120:121]
	v_add_f64 v[118:119], v[252:253], v[250:251]
	v_fma_f64 v[2:3], v[2:3], v[122:123], -v[4:5]
	v_mul_f64 v[4:5], v[8:9], v[128:129]
	v_add_f64 v[2:3], v[118:119], v[2:3]
	v_fma_f64 v[4:5], v[6:7], v[130:131], -v[4:5]
	v_add_f64 v[2:3], v[2:3], v[4:5]
	ds_read_b128 v[106:109], v1 offset:1712
	v_mul_f64 v[4:5], v[12:13], v[124:125]
	v_fma_f64 v[4:5], v[10:11], v[126:127], -v[4:5]
	v_add_f64 v[2:3], v[2:3], v[4:5]
	s_waitcnt vmcnt(26) lgkmcnt(3)
	v_mul_f64 v[100:101], v[86:87], v[204:205]
	v_mul_f64 v[4:5], v[16:17], v[140:141]
	s_waitcnt vmcnt(24)
	v_fmac_f64_e32 v[100:101], v[88:89], v[206:207]
	v_add_f64 v[98:99], v[98:99], v[100:101]
	s_waitcnt vmcnt(22)
	v_mul_f64 v[100:101], v[90:91], v[208:209]
	s_waitcnt vmcnt(20)
	v_fmac_f64_e32 v[100:101], v[92:93], v[212:213]
	v_add_f64 v[98:99], v[98:99], v[100:101]
	s_waitcnt vmcnt(18) lgkmcnt(2)
	v_mul_f64 v[100:101], v[94:95], v[210:211]
	s_waitcnt vmcnt(16)
	v_fmac_f64_e32 v[100:101], v[96:97], v[214:215]
	v_add_f64 v[110:111], v[98:99], v[100:101]
	ds_read_b128 v[98:101], v1 offset:1680
	v_fma_f64 v[4:5], v[14:15], v[142:143], -v[4:5]
	v_add_f64 v[2:3], v[2:3], v[4:5]
	v_mul_f64 v[4:5], v[20:21], v[132:133]
	v_fma_f64 v[4:5], v[18:19], v[134:135], -v[4:5]
	s_waitcnt vmcnt(14) lgkmcnt(0)
	v_mul_f64 v[112:113], v[98:99], v[218:219]
	s_waitcnt vmcnt(12)
	v_fmac_f64_e32 v[112:113], v[100:101], v[228:229]
	v_add_f64 v[110:111], v[110:111], v[112:113]
	s_waitcnt vmcnt(9)
	v_mul_f64 v[112:113], v[102:103], v[232:233]
	s_waitcnt vmcnt(7)
	v_fmac_f64_e32 v[112:113], v[104:105], v[234:235]
	v_add_f64 v[110:111], v[110:111], v[112:113]
	s_waitcnt vmcnt(5)
	v_mul_f64 v[112:113], v[106:107], v[216:217]
	s_waitcnt vmcnt(4)
	v_fmac_f64_e32 v[112:113], v[108:109], v[230:231]
	v_add_f64 v[114:115], v[110:111], v[112:113]
	ds_read_b128 v[110:113], v1 offset:1728
	buffer_load_dword v242, off, s[0:3], 0 offset:888
	buffer_load_dword v243, off, s[0:3], 0 offset:892
	;; [unrolled: 1-line block ×4, first 2 shown]
	v_add_f64 v[2:3], v[2:3], v[4:5]
	v_mul_f64 v[4:5], v[24:25], v[156:157]
	v_fma_f64 v[4:5], v[22:23], v[160:161], -v[4:5]
	s_waitcnt vmcnt(6) lgkmcnt(0)
	v_mul_f64 v[116:117], v[110:111], v[236:237]
	s_waitcnt vmcnt(4)
	v_fmac_f64_e32 v[116:117], v[112:113], v[238:239]
	v_add_f64 v[240:241], v[114:115], v[116:117]
	ds_read_b128 v[114:117], v1 offset:1744
	v_add_f64 v[2:3], v[2:3], v[4:5]
	v_mul_f64 v[4:5], v[28:29], v[136:137]
	v_fma_f64 v[4:5], v[26:27], v[138:139], -v[4:5]
	v_add_f64 v[2:3], v[2:3], v[4:5]
	v_mul_f64 v[4:5], v[32:33], v[164:165]
	v_fma_f64 v[4:5], v[30:31], v[168:169], -v[4:5]
	v_add_f64 v[2:3], v[2:3], v[4:5]
	v_mul_f64 v[4:5], v[36:37], v[144:145]
	v_fma_f64 v[4:5], v[34:35], v[146:147], -v[4:5]
	v_add_f64 v[2:3], v[2:3], v[4:5]
	v_mul_f64 v[4:5], v[40:41], v[172:173]
	v_fma_f64 v[4:5], v[38:39], v[176:177], -v[4:5]
	v_add_f64 v[2:3], v[2:3], v[4:5]
	v_mul_f64 v[4:5], v[44:45], v[148:149]
	v_fma_f64 v[4:5], v[42:43], v[150:151], -v[4:5]
	v_add_f64 v[2:3], v[2:3], v[4:5]
	v_mul_f64 v[4:5], v[48:49], v[180:181]
	v_fma_f64 v[4:5], v[46:47], v[184:185], -v[4:5]
	v_add_f64 v[2:3], v[2:3], v[4:5]
	v_mul_f64 v[4:5], v[52:53], v[152:153]
	v_fma_f64 v[4:5], v[50:51], v[154:155], -v[4:5]
	v_add_f64 v[2:3], v[2:3], v[4:5]
	v_mul_f64 v[4:5], v[56:57], v[188:189]
	v_fma_f64 v[4:5], v[54:55], v[190:191], -v[4:5]
	v_add_f64 v[2:3], v[2:3], v[4:5]
	v_mul_f64 v[4:5], v[60:61], v[158:159]
	v_fma_f64 v[4:5], v[58:59], v[162:163], -v[4:5]
	v_add_f64 v[2:3], v[2:3], v[4:5]
	v_mul_f64 v[4:5], v[64:65], v[192:193]
	v_fma_f64 v[4:5], v[62:63], v[194:195], -v[4:5]
	v_add_f64 v[2:3], v[2:3], v[4:5]
	v_mul_f64 v[4:5], v[68:69], v[166:167]
	v_fma_f64 v[4:5], v[66:67], v[170:171], -v[4:5]
	v_add_f64 v[2:3], v[2:3], v[4:5]
	v_mul_f64 v[4:5], v[72:73], v[196:197]
	v_fma_f64 v[4:5], v[70:71], v[198:199], -v[4:5]
	v_add_f64 v[2:3], v[2:3], v[4:5]
	v_mul_f64 v[4:5], v[76:77], v[174:175]
	v_fma_f64 v[4:5], v[74:75], v[178:179], -v[4:5]
	v_add_f64 v[2:3], v[2:3], v[4:5]
	v_mul_f64 v[4:5], v[80:81], v[200:201]
	v_fma_f64 v[4:5], v[78:79], v[202:203], -v[4:5]
	v_add_f64 v[2:3], v[2:3], v[4:5]
	v_mul_f64 v[4:5], v[84:85], v[182:183]
	v_fma_f64 v[4:5], v[82:83], v[186:187], -v[4:5]
	v_add_f64 v[2:3], v[2:3], v[4:5]
	v_mul_f64 v[4:5], v[88:89], v[204:205]
	v_fma_f64 v[4:5], v[86:87], v[206:207], -v[4:5]
	v_add_f64 v[2:3], v[2:3], v[4:5]
	v_mul_f64 v[4:5], v[92:93], v[208:209]
	v_fma_f64 v[4:5], v[90:91], v[212:213], -v[4:5]
	v_add_f64 v[2:3], v[2:3], v[4:5]
	v_mul_f64 v[4:5], v[96:97], v[210:211]
	v_fma_f64 v[4:5], v[94:95], v[214:215], -v[4:5]
	v_add_f64 v[2:3], v[2:3], v[4:5]
	v_mul_f64 v[4:5], v[100:101], v[218:219]
	v_fma_f64 v[4:5], v[98:99], v[228:229], -v[4:5]
	v_add_f64 v[2:3], v[2:3], v[4:5]
	v_mul_f64 v[4:5], v[104:105], v[232:233]
	v_fma_f64 v[4:5], v[102:103], v[234:235], -v[4:5]
	v_add_f64 v[2:3], v[2:3], v[4:5]
	v_mul_f64 v[4:5], v[108:109], v[216:217]
	v_fma_f64 v[4:5], v[106:107], v[230:231], -v[4:5]
	v_add_f64 v[2:3], v[2:3], v[4:5]
	v_mul_f64 v[4:5], v[112:113], v[236:237]
	v_fma_f64 v[4:5], v[110:111], v[238:239], -v[4:5]
	v_add_f64 v[2:3], v[2:3], v[4:5]
	s_waitcnt vmcnt(2) lgkmcnt(0)
	v_mul_f64 v[248:249], v[114:115], v[242:243]
	v_mul_f64 v[4:5], v[116:117], v[242:243]
	s_waitcnt vmcnt(0)
	v_fmac_f64_e32 v[248:249], v[116:117], v[244:245]
	v_add_f64 v[240:241], v[240:241], v[248:249]
	buffer_load_dword v248, off, s[0:3], 0 offset:288
	buffer_load_dword v249, off, s[0:3], 0 offset:292
	;; [unrolled: 1-line block ×4, first 2 shown]
	v_fma_f64 v[4:5], v[114:115], v[244:245], -v[4:5]
	v_add_f64 v[2:3], v[2:3], v[4:5]
	s_waitcnt vmcnt(2)
	v_add_f64 v[2:3], v[248:249], -v[2:3]
	s_waitcnt vmcnt(0)
	v_add_f64 v[4:5], v[246:247], -v[240:241]
	buffer_store_dword v3, off, s[0:3], 0 offset:292
	buffer_store_dword v2, off, s[0:3], 0 offset:288
	;; [unrolled: 1-line block ×4, first 2 shown]
	s_and_saveexec_b64 s[4:5], vcc
	s_cbranch_execz .LBB54_311
; %bb.310:
	v_accvgpr_read_b32 v0, a148
	buffer_load_dword v2, v0, s[0:3], 0 offen
	buffer_load_dword v3, v0, s[0:3], 0 offen offset:4
	buffer_load_dword v4, v0, s[0:3], 0 offen offset:8
	;; [unrolled: 1-line block ×3, first 2 shown]
	v_accvgpr_read_b32 v0, a165
	buffer_store_dword v1, off, s[0:3], 0 offset:272
	buffer_store_dword v1, off, s[0:3], 0 offset:276
	;; [unrolled: 1-line block ×4, first 2 shown]
	s_waitcnt vmcnt(4)
	ds_write_b128 v0, v[2:5]
.LBB54_311:
	s_or_b64 exec, exec, s[4:5]
	s_waitcnt lgkmcnt(0)
	; wave barrier
	s_waitcnt lgkmcnt(0)
	buffer_load_dword v66, off, s[0:3], 0 offset:288
	buffer_load_dword v67, off, s[0:3], 0 offset:292
	;; [unrolled: 1-line block ×42, first 2 shown]
	ds_read_b128 v[78:81], v1 offset:1152
	ds_read_b128 v[90:93], v1 offset:1168
	;; [unrolled: 1-line block ×10, first 2 shown]
	buffer_load_dword v131, off, s[0:3], 0 offset:436
	buffer_load_dword v130, off, s[0:3], 0 offset:432
	ds_read_b128 v[6:9], v1 offset:1312
	buffer_load_dword v127, off, s[0:3], 0 offset:492
	buffer_load_dword v126, off, s[0:3], 0 offset:488
	;; [unrolled: 1-line block ×80, first 2 shown]
	s_waitcnt vmcnt(62) lgkmcnt(10)
	v_mul_f64 v[10:11], v[78:79], v[68:69]
	v_fmac_f64_e32 v[10:11], v[80:81], v[66:67]
	v_add_f64 v[10:11], v[10:11], 0
	v_mul_f64 v[68:69], v[80:81], v[68:69]
	s_waitcnt lgkmcnt(9)
	v_mul_f64 v[12:13], v[90:91], v[64:65]
	v_fmac_f64_e32 v[12:13], v[92:93], v[62:63]
	s_waitcnt lgkmcnt(8)
	v_mul_f64 v[14:15], v[102:103], v[70:71]
	v_add_f64 v[10:11], v[10:11], v[12:13]
	s_waitcnt lgkmcnt(6)
	v_mul_f64 v[18:19], v[114:115], v[82:83]
	v_mul_f64 v[64:65], v[92:93], v[64:65]
	v_fmac_f64_e32 v[18:19], v[116:117], v[84:85]
	v_fma_f64 v[222:223], v[90:91], v[62:63], -v[64:65]
	v_mul_f64 v[16:17], v[110:111], v[74:75]
	v_fma_f64 v[220:221], v[78:79], v[66:67], -v[68:69]
	s_waitcnt lgkmcnt(4)
	v_mul_f64 v[22:23], v[244:245], v[94:95]
	v_mul_f64 v[70:71], v[104:105], v[70:71]
	v_fmac_f64_e32 v[22:23], v[246:247], v[96:97]
	v_mul_f64 v[74:75], v[112:113], v[74:75]
	v_mul_f64 v[20:21], v[240:241], v[86:87]
	;; [unrolled: 1-line block ×3, first 2 shown]
	s_waitcnt lgkmcnt(2)
	v_mul_f64 v[26:27], v[252:253], v[106:107]
	v_fma_f64 v[226:227], v[114:115], v[84:85], -v[82:83]
	v_mul_f64 v[86:87], v[242:243], v[86:87]
	v_mul_f64 v[24:25], v[248:249], v[98:99]
	v_mul_f64 v[94:95], v[246:247], v[94:95]
	s_waitcnt lgkmcnt(1)
	v_mul_f64 v[28:29], v[120:121], v[4:5]
	v_fma_f64 v[246:247], v[244:245], v[96:97], -v[94:95]
	v_fmac_f64_e32 v[14:15], v[104:105], v[72:73]
	v_add_f64 v[10:11], v[10:11], v[14:15]
	v_fmac_f64_e32 v[16:17], v[112:113], v[76:77]
	v_add_f64 v[10:11], v[10:11], v[16:17]
	;; [unrolled: 2-line block ×3, first 2 shown]
	v_add_f64 v[10:11], v[10:11], v[20:21]
	v_fmac_f64_e32 v[24:25], v[250:251], v[100:101]
	v_add_f64 v[10:11], v[10:11], v[22:23]
	v_fmac_f64_e32 v[26:27], v[254:255], v[108:109]
	v_add_f64 v[10:11], v[10:11], v[24:25]
	v_add_f64 v[10:11], v[10:11], v[26:27]
	s_waitcnt lgkmcnt(0)
	v_mul_f64 v[16:17], v[6:7], v[2:3]
	v_fmac_f64_e32 v[28:29], v[122:123], v[130:131]
	v_add_f64 v[14:15], v[10:11], v[28:29]
	ds_read_b128 v[10:13], v1 offset:1328
	v_fmac_f64_e32 v[16:17], v[8:9], v[124:125]
	v_add_f64 v[18:19], v[14:15], v[16:17]
	ds_read_b128 v[14:17], v1 offset:1344
	v_fma_f64 v[224:225], v[110:111], v[76:77], -v[74:75]
	s_waitcnt lgkmcnt(1)
	v_mul_f64 v[20:21], v[10:11], v[132:133]
	v_fmac_f64_e32 v[20:21], v[12:13], v[148:149]
	v_add_f64 v[22:23], v[18:19], v[20:21]
	ds_read_b128 v[18:21], v1 offset:1360
	s_waitcnt lgkmcnt(1)
	v_mul_f64 v[24:25], v[14:15], v[126:127]
	v_fmac_f64_e32 v[24:25], v[16:17], v[128:129]
	v_add_f64 v[26:27], v[22:23], v[24:25]
	ds_read_b128 v[22:25], v1 offset:1376
	;; [unrolled: 5-line block ×4, first 2 shown]
	s_waitcnt vmcnt(58) lgkmcnt(1)
	v_mul_f64 v[36:37], v[26:27], v[160:161]
	s_waitcnt vmcnt(56)
	v_fmac_f64_e32 v[36:37], v[28:29], v[164:165]
	v_add_f64 v[38:39], v[34:35], v[36:37]
	ds_read_b128 v[34:37], v1 offset:1424
	s_waitcnt lgkmcnt(1)
	v_mul_f64 v[40:41], v[30:31], v[138:139]
	v_fmac_f64_e32 v[40:41], v[32:33], v[140:141]
	v_add_f64 v[42:43], v[38:39], v[40:41]
	ds_read_b128 v[38:41], v1 offset:1440
	s_waitcnt vmcnt(50) lgkmcnt(1)
	v_mul_f64 v[44:45], v[34:35], v[168:169]
	s_waitcnt vmcnt(48)
	v_fmac_f64_e32 v[44:45], v[36:37], v[172:173]
	v_add_f64 v[46:47], v[42:43], v[44:45]
	ds_read_b128 v[42:45], v1 offset:1456
	s_waitcnt lgkmcnt(1)
	v_mul_f64 v[48:49], v[38:39], v[142:143]
	v_fmac_f64_e32 v[48:49], v[40:41], v[144:145]
	v_add_f64 v[50:51], v[46:47], v[48:49]
	ds_read_b128 v[46:49], v1 offset:1472
	s_waitcnt vmcnt(42) lgkmcnt(1)
	v_mul_f64 v[52:53], v[42:43], v[176:177]
	s_waitcnt vmcnt(40)
	v_fmac_f64_e32 v[52:53], v[44:45], v[180:181]
	v_add_f64 v[54:55], v[50:51], v[52:53]
	ds_read_b128 v[50:53], v1 offset:1488
	s_waitcnt lgkmcnt(1)
	v_mul_f64 v[56:57], v[46:47], v[146:147]
	buffer_load_dword v209, off, s[0:3], 0 offset:796
	buffer_load_dword v208, off, s[0:3], 0 offset:792
	;; [unrolled: 1-line block ×4, first 2 shown]
	v_fmac_f64_e32 v[56:57], v[48:49], v[150:151]
	v_add_f64 v[58:59], v[54:55], v[56:57]
	ds_read_b128 v[54:57], v1 offset:1504
	buffer_load_dword v214, off, s[0:3], 0 offset:808
	buffer_load_dword v216, off, s[0:3], 0 offset:800
	;; [unrolled: 1-line block ×16, first 2 shown]
	s_waitcnt vmcnt(54) lgkmcnt(1)
	v_mul_f64 v[60:61], v[50:51], v[184:185]
	s_waitcnt vmcnt(52)
	v_fmac_f64_e32 v[60:61], v[52:53], v[188:189]
	v_add_f64 v[118:119], v[58:59], v[60:61]
	ds_read_b128 v[58:61], v1 offset:1520
	buffer_load_dword v236, off, s[0:3], 0 offset:872
	buffer_load_dword v238, off, s[0:3], 0 offset:864
	;; [unrolled: 1-line block ×4, first 2 shown]
	ds_read_b128 v[62:65], v1 offset:1536
	s_waitcnt lgkmcnt(2)
	v_mul_f64 v[66:67], v[54:55], v[154:155]
	v_fmac_f64_e32 v[66:67], v[56:57], v[158:159]
	s_waitcnt vmcnt(50) lgkmcnt(1)
	v_mul_f64 v[68:69], v[58:59], v[192:193]
	v_add_f64 v[66:67], v[118:119], v[66:67]
	s_waitcnt vmcnt(48)
	v_fmac_f64_e32 v[68:69], v[60:61], v[194:195]
	v_add_f64 v[66:67], v[66:67], v[68:69]
	v_fma_f64 v[118:119], v[102:103], v[72:73], -v[70:71]
	ds_read_b128 v[70:73], v1 offset:1568
	s_waitcnt lgkmcnt(1)
	v_mul_f64 v[68:69], v[62:63], v[162:163]
	v_fmac_f64_e32 v[68:69], v[64:65], v[166:167]
	v_add_f64 v[78:79], v[66:67], v[68:69]
	ds_read_b128 v[66:69], v1 offset:1552
	ds_read_b128 v[74:77], v1 offset:1584
	;; [unrolled: 1-line block ×3, first 2 shown]
	v_accvgpr_write_b32 a167, v3
	v_accvgpr_write_b32 a166, v2
	s_waitcnt vmcnt(42) lgkmcnt(2)
	v_mul_f64 v[80:81], v[66:67], v[196:197]
	s_waitcnt vmcnt(40)
	v_fmac_f64_e32 v[80:81], v[68:69], v[198:199]
	v_add_f64 v[78:79], v[78:79], v[80:81]
	v_mul_f64 v[80:81], v[70:71], v[170:171]
	v_fmac_f64_e32 v[80:81], v[72:73], v[174:175]
	v_add_f64 v[90:91], v[78:79], v[80:81]
	ds_read_b128 v[78:81], v1 offset:1600
	s_waitcnt vmcnt(34) lgkmcnt(2)
	v_mul_f64 v[92:93], v[74:75], v[200:201]
	s_waitcnt vmcnt(32)
	v_fmac_f64_e32 v[92:93], v[76:77], v[202:203]
	v_fma_f64 v[2:3], v[240:241], v[88:89], -v[86:87]
	ds_read_b128 v[86:89], v1 offset:1632
	ds_read_b128 v[94:97], v1 offset:1664
	v_add_f64 v[90:91], v[90:91], v[92:93]
	s_waitcnt lgkmcnt(2)
	v_mul_f64 v[92:93], v[78:79], v[178:179]
	v_fmac_f64_e32 v[92:93], v[80:81], v[182:183]
	v_add_f64 v[90:91], v[90:91], v[92:93]
	s_waitcnt vmcnt(26)
	v_mul_f64 v[92:93], v[82:83], v[204:205]
	s_waitcnt vmcnt(24)
	v_fmac_f64_e32 v[92:93], v[84:85], v[206:207]
	v_add_f64 v[90:91], v[90:91], v[92:93]
	s_waitcnt lgkmcnt(1)
	v_mul_f64 v[92:93], v[86:87], v[186:187]
	v_fmac_f64_e32 v[92:93], v[88:89], v[190:191]
	v_add_f64 v[102:103], v[90:91], v[92:93]
	ds_read_b128 v[90:93], v1 offset:1648
	v_mul_f64 v[98:99], v[250:251], v[98:99]
	v_fma_f64 v[250:251], v[248:249], v[100:101], -v[98:99]
	ds_read_b128 v[98:101], v1 offset:1680
	v_mul_f64 v[106:107], v[254:255], v[106:107]
	v_fma_f64 v[252:253], v[252:253], v[108:109], -v[106:107]
	v_add_f64 v[220:221], v[220:221], 0
	v_add_f64 v[220:221], v[220:221], v[222:223]
	;; [unrolled: 1-line block ×8, first 2 shown]
	v_mul_f64 v[4:5], v[122:123], v[4:5]
	v_add_f64 v[2:3], v[2:3], v[252:253]
	v_fma_f64 v[4:5], v[120:121], v[130:131], -v[4:5]
	v_add_f64 v[2:3], v[2:3], v[4:5]
	ds_read_b128 v[106:109], v1 offset:1712
	s_waitcnt vmcnt(13) lgkmcnt(1)
	v_mul_f64 v[112:113], v[98:99], v[218:219]
	v_mul_f64 v[104:105], v[90:91], v[208:209]
	s_waitcnt vmcnt(11)
	v_fmac_f64_e32 v[112:113], v[100:101], v[232:233]
	v_fmac_f64_e32 v[104:105], v[92:93], v[210:211]
	v_add_f64 v[102:103], v[102:103], v[104:105]
	v_mul_f64 v[104:105], v[94:95], v[214:215]
	v_fmac_f64_e32 v[104:105], v[96:97], v[216:217]
	v_add_f64 v[110:111], v[102:103], v[104:105]
	ds_read_b128 v[102:105], v1 offset:1696
	v_add_f64 v[110:111], v[110:111], v[112:113]
	s_waitcnt vmcnt(10) lgkmcnt(0)
	v_mul_f64 v[112:113], v[102:103], v[212:213]
	s_waitcnt vmcnt(8)
	v_fmac_f64_e32 v[112:113], v[104:105], v[230:231]
	v_add_f64 v[110:111], v[110:111], v[112:113]
	s_waitcnt vmcnt(6)
	v_mul_f64 v[112:113], v[106:107], v[228:229]
	s_waitcnt vmcnt(4)
	v_fmac_f64_e32 v[112:113], v[108:109], v[234:235]
	v_add_f64 v[114:115], v[110:111], v[112:113]
	ds_read_b128 v[110:113], v1 offset:1728
	buffer_load_dword v243, off, s[0:3], 0 offset:892
	buffer_load_dword v242, off, s[0:3], 0 offset:888
	;; [unrolled: 1-line block ×4, first 2 shown]
	s_waitcnt vmcnt(5) lgkmcnt(0)
	v_mul_f64 v[116:117], v[110:111], v[236:237]
	s_waitcnt vmcnt(4)
	v_fmac_f64_e32 v[116:117], v[112:113], v[238:239]
	v_add_f64 v[240:241], v[114:115], v[116:117]
	ds_read_b128 v[114:117], v1 offset:1744
	v_accvgpr_read_b32 v0, a166
	v_accvgpr_read_b32 v1, a167
	v_mul_f64 v[4:5], v[8:9], v[0:1]
	v_fma_f64 v[4:5], v[6:7], v[124:125], -v[4:5]
	v_add_f64 v[2:3], v[2:3], v[4:5]
	v_mul_f64 v[4:5], v[12:13], v[132:133]
	v_fma_f64 v[4:5], v[10:11], v[148:149], -v[4:5]
	v_add_f64 v[2:3], v[2:3], v[4:5]
	;; [unrolled: 3-line block ×22, first 2 shown]
	v_mul_f64 v[4:5], v[96:97], v[214:215]
	v_fma_f64 v[4:5], v[94:95], v[216:217], -v[4:5]
	s_waitcnt vmcnt(2) lgkmcnt(0)
	v_mul_f64 v[248:249], v[114:115], v[242:243]
	v_add_f64 v[2:3], v[2:3], v[4:5]
	s_waitcnt vmcnt(0)
	v_fmac_f64_e32 v[248:249], v[116:117], v[244:245]
	v_add_f64 v[240:241], v[240:241], v[248:249]
	buffer_load_dword v248, off, s[0:3], 0 offset:272
	buffer_load_dword v249, off, s[0:3], 0 offset:276
	;; [unrolled: 1-line block ×4, first 2 shown]
	v_mul_f64 v[4:5], v[100:101], v[218:219]
	v_fma_f64 v[4:5], v[98:99], v[232:233], -v[4:5]
	v_add_f64 v[2:3], v[2:3], v[4:5]
	v_mul_f64 v[4:5], v[104:105], v[212:213]
	v_fma_f64 v[4:5], v[102:103], v[230:231], -v[4:5]
	v_add_f64 v[2:3], v[2:3], v[4:5]
	;; [unrolled: 3-line block ×5, first 2 shown]
	v_accvgpr_read_b32 v0, a164
	v_cmp_lt_u32_e32 vcc, 15, v0
	s_waitcnt vmcnt(2)
	v_add_f64 v[2:3], v[248:249], -v[2:3]
	s_waitcnt vmcnt(0)
	v_add_f64 v[4:5], v[246:247], -v[240:241]
	buffer_store_dword v3, off, s[0:3], 0 offset:276
	buffer_store_dword v2, off, s[0:3], 0 offset:272
	buffer_store_dword v5, off, s[0:3], 0 offset:284
	buffer_store_dword v4, off, s[0:3], 0 offset:280
	s_and_saveexec_b64 s[4:5], vcc
	s_cbranch_execz .LBB54_313
; %bb.312:
	v_accvgpr_read_b32 v0, a149
	buffer_load_dword v2, v0, s[0:3], 0 offen
	buffer_load_dword v3, v0, s[0:3], 0 offen offset:4
	buffer_load_dword v4, v0, s[0:3], 0 offen offset:8
	;; [unrolled: 1-line block ×3, first 2 shown]
	v_mov_b32_e32 v0, 0
	v_accvgpr_read_b32 v1, a165
	buffer_store_dword v0, off, s[0:3], 0 offset:256
	buffer_store_dword v0, off, s[0:3], 0 offset:260
	;; [unrolled: 1-line block ×4, first 2 shown]
	s_waitcnt vmcnt(4)
	ds_write_b128 v1, v[2:5]
.LBB54_313:
	s_or_b64 exec, exec, s[4:5]
	s_waitcnt lgkmcnt(0)
	; wave barrier
	s_waitcnt lgkmcnt(0)
	buffer_load_dword v54, off, s[0:3], 0 offset:272
	buffer_load_dword v55, off, s[0:3], 0 offset:276
	;; [unrolled: 1-line block ×49, first 2 shown]
	s_waitcnt vmcnt(8)
	v_pk_mov_b32 v[2:3], v[0:1], v[0:1] op_sel:[0,1]
	v_mov_b32_e32 v1, 0
	ds_read_b128 v[62:65], v1 offset:1136
	ds_read_b128 v[74:77], v1 offset:1152
	;; [unrolled: 1-line block ×11, first 2 shown]
	s_waitcnt lgkmcnt(10)
	v_mul_f64 v[6:7], v[62:63], v[56:57]
	s_waitcnt lgkmcnt(9)
	v_mul_f64 v[8:9], v[74:75], v[60:61]
	v_fmac_f64_e32 v[6:7], v[64:65], v[54:55]
	s_waitcnt lgkmcnt(8)
	v_mul_f64 v[10:11], v[86:87], v[66:67]
	v_fmac_f64_e32 v[8:9], v[76:77], v[58:59]
	v_add_f64 v[6:7], v[6:7], 0
	s_waitcnt lgkmcnt(7)
	v_mul_f64 v[12:13], v[98:99], v[70:71]
	v_fmac_f64_e32 v[10:11], v[88:89], v[68:69]
	v_add_f64 v[6:7], v[6:7], v[8:9]
	;; [unrolled: 4-line block ×4, first 2 shown]
	buffer_load_dword v128, off, s[0:3], 0 offset:456
	buffer_load_dword v145, off, s[0:3], 0 offset:452
	;; [unrolled: 1-line block ×75, first 2 shown]
	s_waitcnt lgkmcnt(4)
	v_mul_f64 v[18:19], v[236:237], v[90:91]
	v_fmac_f64_e32 v[16:17], v[116:117], v[84:85]
	v_add_f64 v[6:7], v[6:7], v[14:15]
	s_waitcnt lgkmcnt(3)
	v_mul_f64 v[20:21], v[240:241], v[94:95]
	v_fmac_f64_e32 v[18:19], v[238:239], v[92:93]
	v_add_f64 v[6:7], v[6:7], v[16:17]
	;; [unrolled: 4-line block ×4, first 2 shown]
	v_add_f64 v[6:7], v[6:7], v[22:23]
	s_waitcnt vmcnt(62)
	v_fmac_f64_e32 v[24:25], v[250:251], v[108:109]
	v_add_f64 v[10:11], v[6:7], v[24:25]
	ds_read_b128 v[6:9], v1 offset:1312
	s_waitcnt lgkmcnt(1)
	v_mul_f64 v[12:13], v[120:121], v[4:5]
	v_fmac_f64_e32 v[12:13], v[122:123], v[2:3]
	v_add_f64 v[14:15], v[10:11], v[12:13]
	ds_read_b128 v[10:13], v1 offset:1328
	s_waitcnt lgkmcnt(1)
	v_mul_f64 v[16:17], v[6:7], v[128:129]
	;; [unrolled: 5-line block ×5, first 2 shown]
	v_fmac_f64_e32 v[28:29], v[20:21], v[132:133]
	v_add_f64 v[30:31], v[26:27], v[28:29]
	ds_read_b128 v[26:29], v1 offset:1392
	s_waitcnt vmcnt(58) lgkmcnt(1)
	v_mul_f64 v[32:33], v[22:23], v[156:157]
	s_waitcnt vmcnt(56)
	v_fmac_f64_e32 v[32:33], v[24:25], v[160:161]
	v_add_f64 v[34:35], v[30:31], v[32:33]
	ds_read_b128 v[30:33], v1 offset:1408
	s_waitcnt lgkmcnt(1)
	v_mul_f64 v[36:37], v[26:27], v[134:135]
	v_fmac_f64_e32 v[36:37], v[28:29], v[136:137]
	v_add_f64 v[38:39], v[34:35], v[36:37]
	ds_read_b128 v[34:37], v1 offset:1424
	s_waitcnt vmcnt(50) lgkmcnt(1)
	v_mul_f64 v[40:41], v[30:31], v[164:165]
	s_waitcnt vmcnt(48)
	v_fmac_f64_e32 v[40:41], v[32:33], v[168:169]
	v_add_f64 v[42:43], v[38:39], v[40:41]
	ds_read_b128 v[38:41], v1 offset:1440
	s_waitcnt lgkmcnt(1)
	v_mul_f64 v[44:45], v[34:35], v[138:139]
	;; [unrolled: 11-line block ×3, first 2 shown]
	buffer_load_dword v205, off, s[0:3], 0 offset:780
	buffer_load_dword v204, off, s[0:3], 0 offset:776
	;; [unrolled: 1-line block ×4, first 2 shown]
	v_fmac_f64_e32 v[52:53], v[44:45], v[146:147]
	v_add_f64 v[118:119], v[50:51], v[52:53]
	ds_read_b128 v[50:53], v1 offset:1488
	buffer_load_dword v208, off, s[0:3], 0 offset:792
	buffer_load_dword v210, off, s[0:3], 0 offset:784
	;; [unrolled: 1-line block ×12, first 2 shown]
	s_waitcnt vmcnt(50) lgkmcnt(1)
	v_mul_f64 v[212:213], v[46:47], v[180:181]
	s_waitcnt vmcnt(48)
	v_fmac_f64_e32 v[212:213], v[48:49], v[184:185]
	v_add_f64 v[118:119], v[118:119], v[212:213]
	buffer_load_dword v212, off, s[0:3], 0 offset:856
	buffer_load_dword v233, off, s[0:3], 0 offset:844
	buffer_load_dword v232, off, s[0:3], 0 offset:840
	buffer_load_dword v235, off, s[0:3], 0 offset:836
	buffer_load_dword v234, off, s[0:3], 0 offset:832
	buffer_load_dword v230, off, s[0:3], 0 offset:848
	buffer_load_dword v213, off, s[0:3], 0 offset:860
	buffer_load_dword v231, off, s[0:3], 0 offset:852
	v_mul_f64 v[56:57], v[64:65], v[56:57]
	v_fma_f64 v[220:221], v[62:63], v[54:55], -v[56:57]
	ds_read_b128 v[54:57], v1 offset:1504
	v_mul_f64 v[60:61], v[76:77], v[60:61]
	v_fma_f64 v[222:223], v[74:75], v[58:59], -v[60:61]
	ds_read_b128 v[58:61], v1 offset:1520
	s_waitcnt lgkmcnt(2)
	v_mul_f64 v[62:63], v[50:51], v[150:151]
	v_fmac_f64_e32 v[62:63], v[52:53], v[154:155]
	s_waitcnt vmcnt(50) lgkmcnt(1)
	v_mul_f64 v[64:65], v[54:55], v[188:189]
	v_add_f64 v[62:63], v[118:119], v[62:63]
	s_waitcnt vmcnt(48)
	v_fmac_f64_e32 v[64:65], v[56:57], v[190:191]
	v_add_f64 v[62:63], v[62:63], v[64:65]
	s_waitcnt lgkmcnt(0)
	v_mul_f64 v[64:65], v[58:59], v[158:159]
	v_fmac_f64_e32 v[64:65], v[60:61], v[162:163]
	v_add_f64 v[74:75], v[62:63], v[64:65]
	ds_read_b128 v[62:65], v1 offset:1536
	v_mul_f64 v[66:67], v[88:89], v[66:67]
	v_fma_f64 v[118:119], v[86:87], v[68:69], -v[66:67]
	ds_read_b128 v[66:69], v1 offset:1552
	v_mul_f64 v[70:71], v[100:101], v[70:71]
	s_waitcnt vmcnt(42) lgkmcnt(1)
	v_mul_f64 v[76:77], v[62:63], v[192:193]
	s_waitcnt vmcnt(40)
	v_fmac_f64_e32 v[76:77], v[64:65], v[194:195]
	v_add_f64 v[74:75], v[74:75], v[76:77]
	v_fma_f64 v[224:225], v[98:99], v[72:73], -v[70:71]
	ds_read_b128 v[70:73], v1 offset:1568
	s_waitcnt lgkmcnt(1)
	v_mul_f64 v[76:77], v[66:67], v[166:167]
	v_fmac_f64_e32 v[76:77], v[68:69], v[170:171]
	v_add_f64 v[86:87], v[74:75], v[76:77]
	ds_read_b128 v[74:77], v1 offset:1584
	v_mul_f64 v[78:79], v[112:113], v[78:79]
	v_fma_f64 v[226:227], v[110:111], v[80:81], -v[78:79]
	ds_read_b128 v[78:81], v1 offset:1600
	s_waitcnt vmcnt(34) lgkmcnt(2)
	v_mul_f64 v[88:89], v[70:71], v[196:197]
	v_mul_f64 v[82:83], v[116:117], v[82:83]
	s_waitcnt vmcnt(32)
	v_fmac_f64_e32 v[88:89], v[72:73], v[198:199]
	v_fma_f64 v[252:253], v[114:115], v[84:85], -v[82:83]
	ds_read_b128 v[82:85], v1 offset:1616
	v_add_f64 v[86:87], v[86:87], v[88:89]
	s_waitcnt lgkmcnt(2)
	v_mul_f64 v[88:89], v[74:75], v[174:175]
	v_fmac_f64_e32 v[88:89], v[76:77], v[178:179]
	v_add_f64 v[86:87], v[86:87], v[88:89]
	s_waitcnt vmcnt(26) lgkmcnt(1)
	v_mul_f64 v[88:89], v[78:79], v[200:201]
	s_waitcnt vmcnt(24)
	v_fmac_f64_e32 v[88:89], v[80:81], v[202:203]
	v_add_f64 v[86:87], v[86:87], v[88:89]
	s_waitcnt lgkmcnt(0)
	v_mul_f64 v[88:89], v[82:83], v[182:183]
	v_fmac_f64_e32 v[88:89], v[84:85], v[186:187]
	v_add_f64 v[98:99], v[86:87], v[88:89]
	ds_read_b128 v[86:89], v1 offset:1632
	v_mul_f64 v[90:91], v[238:239], v[90:91]
	v_fma_f64 v[254:255], v[236:237], v[92:93], -v[90:91]
	ds_read_b128 v[90:93], v1 offset:1648
	v_accvgpr_write_b32 a167, v3
	v_mul_f64 v[94:95], v[242:243], v[94:95]
	v_accvgpr_write_b32 a166, v2
	v_fma_f64 v[2:3], v[240:241], v[96:97], -v[94:95]
	ds_read_b128 v[94:97], v1 offset:1664
	v_mul_f64 v[102:103], v[246:247], v[102:103]
	v_fma_f64 v[246:247], v[244:245], v[104:105], -v[102:103]
	ds_read_b128 v[102:105], v1 offset:1696
	v_mul_f64 v[106:107], v[250:251], v[106:107]
	v_fma_f64 v[250:251], v[248:249], v[108:109], -v[106:107]
	ds_read_b128 v[106:109], v1 offset:1712
	v_add_f64 v[220:221], v[220:221], 0
	v_add_f64 v[220:221], v[220:221], v[222:223]
	;; [unrolled: 1-line block ×6, first 2 shown]
	s_waitcnt vmcnt(22) lgkmcnt(4)
	v_mul_f64 v[100:101], v[86:87], v[204:205]
	v_add_f64 v[118:119], v[118:119], v[254:255]
	s_waitcnt vmcnt(20)
	v_fmac_f64_e32 v[100:101], v[88:89], v[206:207]
	v_add_f64 v[98:99], v[98:99], v[100:101]
	v_add_f64 v[2:3], v[118:119], v[2:3]
	s_waitcnt vmcnt(17) lgkmcnt(3)
	v_mul_f64 v[100:101], v[90:91], v[208:209]
	s_waitcnt vmcnt(16)
	v_fmac_f64_e32 v[100:101], v[92:93], v[210:211]
	v_add_f64 v[110:111], v[98:99], v[100:101]
	ds_read_b128 v[98:101], v1 offset:1680
	s_waitcnt vmcnt(14) lgkmcnt(3)
	v_mul_f64 v[112:113], v[94:95], v[214:215]
	s_waitcnt vmcnt(12)
	v_fmac_f64_e32 v[112:113], v[96:97], v[218:219]
	buffer_load_dword v237, off, s[0:3], 0 offset:876
	buffer_load_dword v236, off, s[0:3], 0 offset:872
	;; [unrolled: 1-line block ×4, first 2 shown]
	v_add_f64 v[110:111], v[110:111], v[112:113]
	s_waitcnt vmcnt(14) lgkmcnt(0)
	v_mul_f64 v[112:113], v[98:99], v[216:217]
	s_waitcnt vmcnt(12)
	v_fmac_f64_e32 v[112:113], v[100:101], v[228:229]
	v_add_f64 v[110:111], v[110:111], v[112:113]
	s_waitcnt vmcnt(9)
	v_mul_f64 v[112:113], v[102:103], v[232:233]
	s_waitcnt vmcnt(7)
	v_fmac_f64_e32 v[112:113], v[104:105], v[234:235]
	v_add_f64 v[110:111], v[110:111], v[112:113]
	s_waitcnt vmcnt(5)
	v_mul_f64 v[112:113], v[106:107], v[212:213]
	s_waitcnt vmcnt(4)
	v_fmac_f64_e32 v[112:113], v[108:109], v[230:231]
	v_add_f64 v[114:115], v[110:111], v[112:113]
	ds_read_b128 v[110:113], v1 offset:1728
	buffer_load_dword v242, off, s[0:3], 0 offset:888
	buffer_load_dword v243, off, s[0:3], 0 offset:892
	;; [unrolled: 1-line block ×4, first 2 shown]
	v_add_f64 v[252:253], v[2:3], v[246:247]
	v_accvgpr_read_b32 v118, a166
	v_mul_f64 v[4:5], v[122:123], v[4:5]
	v_accvgpr_read_b32 v119, a167
	v_add_f64 v[2:3], v[252:253], v[250:251]
	v_fma_f64 v[4:5], v[120:121], v[118:119], -v[4:5]
	v_add_f64 v[2:3], v[2:3], v[4:5]
	v_mul_f64 v[4:5], v[8:9], v[128:129]
	v_fma_f64 v[4:5], v[6:7], v[144:145], -v[4:5]
	v_add_f64 v[2:3], v[2:3], v[4:5]
	v_mul_f64 v[4:5], v[12:13], v[124:125]
	;; [unrolled: 3-line block ×20, first 2 shown]
	s_waitcnt vmcnt(6) lgkmcnt(0)
	v_mul_f64 v[116:117], v[110:111], v[236:237]
	v_fma_f64 v[4:5], v[82:83], v[186:187], -v[4:5]
	s_waitcnt vmcnt(4)
	v_fmac_f64_e32 v[116:117], v[112:113], v[238:239]
	v_add_f64 v[240:241], v[114:115], v[116:117]
	ds_read_b128 v[114:117], v1 offset:1744
	v_add_f64 v[2:3], v[2:3], v[4:5]
	v_mul_f64 v[4:5], v[88:89], v[204:205]
	v_fma_f64 v[4:5], v[86:87], v[206:207], -v[4:5]
	v_add_f64 v[2:3], v[2:3], v[4:5]
	v_mul_f64 v[4:5], v[92:93], v[208:209]
	v_fma_f64 v[4:5], v[90:91], v[210:211], -v[4:5]
	v_add_f64 v[2:3], v[2:3], v[4:5]
	s_waitcnt vmcnt(2) lgkmcnt(0)
	v_mul_f64 v[248:249], v[114:115], v[242:243]
	v_mul_f64 v[4:5], v[96:97], v[214:215]
	s_waitcnt vmcnt(0)
	v_fmac_f64_e32 v[248:249], v[116:117], v[244:245]
	v_add_f64 v[240:241], v[240:241], v[248:249]
	buffer_load_dword v248, off, s[0:3], 0 offset:256
	buffer_load_dword v249, off, s[0:3], 0 offset:260
	;; [unrolled: 1-line block ×4, first 2 shown]
	v_fma_f64 v[4:5], v[94:95], v[218:219], -v[4:5]
	v_add_f64 v[2:3], v[2:3], v[4:5]
	v_mul_f64 v[4:5], v[100:101], v[216:217]
	v_fma_f64 v[4:5], v[98:99], v[228:229], -v[4:5]
	v_add_f64 v[2:3], v[2:3], v[4:5]
	v_mul_f64 v[4:5], v[104:105], v[232:233]
	;; [unrolled: 3-line block ×5, first 2 shown]
	v_fma_f64 v[4:5], v[114:115], v[244:245], -v[4:5]
	v_add_f64 v[2:3], v[2:3], v[4:5]
	v_accvgpr_read_b32 v0, a164
	v_cmp_lt_u32_e32 vcc, 14, v0
	s_waitcnt vmcnt(2)
	v_add_f64 v[2:3], v[248:249], -v[2:3]
	s_waitcnt vmcnt(0)
	v_add_f64 v[4:5], v[246:247], -v[240:241]
	buffer_store_dword v3, off, s[0:3], 0 offset:260
	buffer_store_dword v2, off, s[0:3], 0 offset:256
	;; [unrolled: 1-line block ×4, first 2 shown]
	s_and_saveexec_b64 s[4:5], vcc
	s_cbranch_execz .LBB54_315
; %bb.314:
	v_accvgpr_read_b32 v0, a150
	buffer_load_dword v2, v0, s[0:3], 0 offen
	buffer_load_dword v3, v0, s[0:3], 0 offen offset:4
	buffer_load_dword v4, v0, s[0:3], 0 offen offset:8
	;; [unrolled: 1-line block ×3, first 2 shown]
	v_accvgpr_read_b32 v0, a165
	buffer_store_dword v1, off, s[0:3], 0 offset:240
	buffer_store_dword v1, off, s[0:3], 0 offset:244
	;; [unrolled: 1-line block ×4, first 2 shown]
	s_waitcnt vmcnt(4)
	ds_write_b128 v0, v[2:5]
.LBB54_315:
	s_or_b64 exec, exec, s[4:5]
	s_waitcnt lgkmcnt(0)
	; wave barrier
	s_waitcnt lgkmcnt(0)
	buffer_load_dword v56, off, s[0:3], 0 offset:256
	buffer_load_dword v57, off, s[0:3], 0 offset:260
	;; [unrolled: 1-line block ×42, first 2 shown]
	ds_read_b128 v[78:81], v1 offset:1120
	ds_read_b128 v[90:93], v1 offset:1136
	ds_read_b128 v[114:117], v1 offset:1152
	ds_read_b128 v[236:239], v1 offset:1168
	ds_read_b128 v[240:243], v1 offset:1184
	ds_read_b128 v[244:247], v1 offset:1200
	ds_read_b128 v[248:251], v1 offset:1216
	ds_read_b128 v[252:255], v1 offset:1232
	ds_read_b128 v[220:223], v1 offset:1248
	ds_read_b128 v[98:101], v1 offset:1264
	buffer_load_dword v105, off, s[0:3], 0 offset:404
	buffer_load_dword v104, off, s[0:3], 0 offset:400
	ds_read_b128 v[106:109], v1 offset:1280
	buffer_load_dword v3, off, s[0:3], 0 offset:460
	buffer_load_dword v2, off, s[0:3], 0 offset:456
	s_waitcnt vmcnt(38) lgkmcnt(9)
	v_mul_f64 v[4:5], v[90:91], v[62:63]
	v_fmac_f64_e32 v[4:5], v[92:93], v[54:55]
	s_waitcnt vmcnt(36) lgkmcnt(8)
	v_mul_f64 v[6:7], v[114:115], v[58:59]
	v_mul_f64 v[58:59], v[116:117], v[58:59]
	s_waitcnt vmcnt(34) lgkmcnt(6)
	v_mul_f64 v[10:11], v[240:241], v[70:71]
	v_mul_f64 v[70:71], v[242:243], v[70:71]
	s_waitcnt vmcnt(32)
	v_fmac_f64_e32 v[10:11], v[242:243], v[72:73]
	v_fma_f64 v[240:241], v[240:241], v[72:73], -v[70:71]
	s_waitcnt vmcnt(30)
	v_mul_f64 v[8:9], v[236:237], v[64:65]
	s_waitcnt vmcnt(28) lgkmcnt(4)
	v_mul_f64 v[14:15], v[248:249], v[82:83]
	v_mul_f64 v[82:83], v[250:251], v[82:83]
	s_waitcnt vmcnt(26)
	v_fmac_f64_e32 v[14:15], v[250:251], v[84:85]
	v_fma_f64 v[248:249], v[248:249], v[84:85], -v[82:83]
	s_waitcnt vmcnt(24)
	v_mul_f64 v[12:13], v[244:245], v[74:75]
	v_mul_f64 v[74:75], v[246:247], v[74:75]
	s_waitcnt vmcnt(22) lgkmcnt(2)
	v_mul_f64 v[18:19], v[220:221], v[94:95]
	v_mul_f64 v[94:95], v[222:223], v[94:95]
	s_waitcnt vmcnt(19)
	v_mul_f64 v[16:17], v[252:253], v[86:87]
	v_mul_f64 v[86:87], v[254:255], v[86:87]
	s_waitcnt vmcnt(17) lgkmcnt(1)
	v_mul_f64 v[20:21], v[98:99], v[102:103]
	s_waitcnt vmcnt(15)
	v_fmac_f64_e32 v[6:7], v[116:117], v[68:69]
	s_waitcnt vmcnt(13)
	v_fmac_f64_e32 v[8:9], v[238:239], v[66:67]
	;; [unrolled: 2-line block ×3, first 2 shown]
	v_fma_f64 v[246:247], v[244:245], v[76:77], -v[74:75]
	s_waitcnt vmcnt(9)
	v_fmac_f64_e32 v[16:17], v[254:255], v[88:89]
	s_waitcnt vmcnt(8)
	v_fmac_f64_e32 v[18:19], v[222:223], v[96:97]
	v_fma_f64 v[254:255], v[252:253], v[88:89], -v[86:87]
	v_fma_f64 v[220:221], v[220:221], v[96:97], -v[94:95]
	s_waitcnt vmcnt(2)
	v_fmac_f64_e32 v[20:21], v[100:101], v[104:105]
	v_mul_f64 v[100:101], v[100:101], v[102:103]
	s_waitcnt vmcnt(0)
	v_pk_mov_b32 v[22:23], v[2:3], v[2:3] op_sel:[0,1]
	buffer_load_dword v3, off, s[0:3], 0 offset:452
	buffer_load_dword v2, off, s[0:3], 0 offset:448
	;; [unrolled: 1-line block ×78, first 2 shown]
	ds_read_b128 v[120:123], v1 offset:1296
	v_accvgpr_write_b32 a167, v23
	v_accvgpr_write_b32 a166, v22
	v_fma_f64 v[250:251], v[98:99], v[104:105], -v[100:101]
	s_waitcnt vmcnt(62)
	v_pk_mov_b32 v[24:25], v[2:3], v[2:3] op_sel:[0,1]
	v_mul_f64 v[2:3], v[78:79], v[60:61]
	v_fmac_f64_e32 v[2:3], v[80:81], v[56:57]
	v_add_f64 v[2:3], v[2:3], 0
	v_add_f64 v[2:3], v[2:3], v[4:5]
	;; [unrolled: 1-line block ×9, first 2 shown]
	s_waitcnt lgkmcnt(1)
	v_mul_f64 v[8:9], v[106:107], v[110:111]
	v_add_f64 v[6:7], v[2:3], v[20:21]
	v_fmac_f64_e32 v[8:9], v[108:109], v[112:113]
	v_add_f64 v[10:11], v[6:7], v[8:9]
	ds_read_b128 v[6:9], v1 offset:1312
	s_waitcnt lgkmcnt(1)
	v_mul_f64 v[12:13], v[120:121], v[124:125]
	v_fmac_f64_e32 v[12:13], v[122:123], v[140:141]
	v_add_f64 v[14:15], v[10:11], v[12:13]
	ds_read_b128 v[10:13], v1 offset:1328
	s_waitcnt lgkmcnt(1)
	v_mul_f64 v[16:17], v[6:7], v[22:23]
	;; [unrolled: 5-line block ×3, first 2 shown]
	v_fmac_f64_e32 v[20:21], v[12:13], v[148:149]
	v_add_f64 v[22:23], v[18:19], v[20:21]
	ds_read_b128 v[18:21], v1 offset:1360
	v_accvgpr_write_b32 a169, v25
	v_accvgpr_write_b32 a168, v24
	s_waitcnt lgkmcnt(1)
	v_mul_f64 v[24:25], v[14:15], v[126:127]
	v_fmac_f64_e32 v[24:25], v[16:17], v[128:129]
	v_add_f64 v[26:27], v[22:23], v[24:25]
	ds_read_b128 v[22:25], v1 offset:1376
	s_waitcnt vmcnt(58) lgkmcnt(1)
	v_mul_f64 v[28:29], v[18:19], v[152:153]
	s_waitcnt vmcnt(56)
	v_fmac_f64_e32 v[28:29], v[20:21], v[156:157]
	v_add_f64 v[30:31], v[26:27], v[28:29]
	ds_read_b128 v[26:29], v1 offset:1392
	s_waitcnt lgkmcnt(1)
	v_mul_f64 v[32:33], v[22:23], v[130:131]
	v_fmac_f64_e32 v[32:33], v[24:25], v[132:133]
	v_add_f64 v[34:35], v[30:31], v[32:33]
	ds_read_b128 v[30:33], v1 offset:1408
	s_waitcnt vmcnt(50) lgkmcnt(1)
	v_mul_f64 v[36:37], v[26:27], v[160:161]
	s_waitcnt vmcnt(48)
	v_fmac_f64_e32 v[36:37], v[28:29], v[164:165]
	v_add_f64 v[38:39], v[34:35], v[36:37]
	ds_read_b128 v[34:37], v1 offset:1424
	;; [unrolled: 11-line block ×4, first 2 shown]
	buffer_load_dword v200, off, s[0:3], 0 offset:776
	buffer_load_dword v205, off, s[0:3], 0 offset:764
	;; [unrolled: 1-line block ×8, first 2 shown]
	s_waitcnt lgkmcnt(1)
	v_mul_f64 v[208:209], v[46:47], v[146:147]
	v_fmac_f64_e32 v[208:209], v[48:49], v[150:151]
	v_add_f64 v[118:119], v[118:119], v[208:209]
	buffer_load_dword v209, off, s[0:3], 0 offset:796
	buffer_load_dword v208, off, s[0:3], 0 offset:792
	;; [unrolled: 1-line block ×20, first 2 shown]
	v_mul_f64 v[60:61], v[80:81], v[60:61]
	s_waitcnt vmcnt(54) lgkmcnt(0)
	v_mul_f64 v[224:225], v[50:51], v[184:185]
	v_fma_f64 v[226:227], v[78:79], v[56:57], -v[60:61]
	v_mul_f64 v[56:57], v[92:93], v[62:63]
	v_fma_f64 v[2:3], v[90:91], v[54:55], -v[56:57]
	s_waitcnt vmcnt(52)
	v_fmac_f64_e32 v[224:225], v[52:53], v[186:187]
	ds_read_b128 v[54:57], v1 offset:1504
	v_add_f64 v[4:5], v[118:119], v[224:225]
	v_fma_f64 v[118:119], v[114:115], v[68:69], -v[58:59]
	ds_read_b128 v[58:61], v1 offset:1520
	v_mul_f64 v[62:63], v[238:239], v[64:65]
	v_fma_f64 v[224:225], v[236:237], v[66:67], -v[62:63]
	ds_read_b128 v[62:65], v1 offset:1536
	ds_read_b128 v[70:73], v1 offset:1568
	s_waitcnt lgkmcnt(3)
	v_mul_f64 v[68:69], v[54:55], v[154:155]
	v_fmac_f64_e32 v[68:69], v[56:57], v[158:159]
	s_waitcnt vmcnt(46) lgkmcnt(2)
	v_mul_f64 v[66:67], v[58:59], v[188:189]
	v_add_f64 v[4:5], v[4:5], v[68:69]
	s_waitcnt vmcnt(44)
	v_fmac_f64_e32 v[66:67], v[60:61], v[190:191]
	v_add_f64 v[4:5], v[4:5], v[66:67]
	s_waitcnt lgkmcnt(1)
	v_mul_f64 v[66:67], v[62:63], v[162:163]
	v_fmac_f64_e32 v[66:67], v[64:65], v[166:167]
	v_add_f64 v[4:5], v[4:5], v[66:67]
	ds_read_b128 v[66:69], v1 offset:1552
	ds_read_b128 v[74:77], v1 offset:1584
	;; [unrolled: 1-line block ×5, first 2 shown]
	s_waitcnt vmcnt(38) lgkmcnt(4)
	v_mul_f64 v[78:79], v[66:67], v[192:193]
	s_waitcnt vmcnt(36)
	v_fmac_f64_e32 v[78:79], v[68:69], v[194:195]
	v_add_f64 v[4:5], v[4:5], v[78:79]
	v_mul_f64 v[78:79], v[70:71], v[170:171]
	v_fmac_f64_e32 v[78:79], v[72:73], v[174:175]
	v_add_f64 v[4:5], v[4:5], v[78:79]
	s_waitcnt vmcnt(30) lgkmcnt(3)
	v_mul_f64 v[78:79], v[74:75], v[196:197]
	s_waitcnt vmcnt(28)
	v_fmac_f64_e32 v[78:79], v[76:77], v[198:199]
	v_add_f64 v[4:5], v[4:5], v[78:79]
	ds_read_b128 v[78:81], v1 offset:1600
	v_mul_f64 v[108:109], v[108:109], v[110:111]
	v_fma_f64 v[252:253], v[106:107], v[112:113], -v[108:109]
	ds_read_b128 v[98:101], v1 offset:1680
	ds_read_b128 v[106:109], v1 offset:1712
	s_waitcnt lgkmcnt(2)
	v_mul_f64 v[90:91], v[78:79], v[178:179]
	v_fmac_f64_e32 v[90:91], v[80:81], v[182:183]
	v_add_f64 v[4:5], v[4:5], v[90:91]
	s_waitcnt vmcnt(25)
	v_mul_f64 v[90:91], v[82:83], v[204:205]
	s_waitcnt vmcnt(23)
	v_fmac_f64_e32 v[90:91], v[84:85], v[206:207]
	v_add_f64 v[4:5], v[4:5], v[90:91]
	s_waitcnt vmcnt(21)
	v_mul_f64 v[90:91], v[86:87], v[200:201]
	s_waitcnt vmcnt(20)
	v_fmac_f64_e32 v[90:91], v[88:89], v[202:203]
	v_add_f64 v[4:5], v[4:5], v[90:91]
	ds_read_b128 v[90:93], v1 offset:1648
	s_waitcnt vmcnt(14)
	v_mul_f64 v[102:103], v[94:95], v[214:215]
	s_waitcnt vmcnt(9) lgkmcnt(2)
	v_mul_f64 v[110:111], v[98:99], v[228:229]
	v_fmac_f64_e32 v[102:103], v[96:97], v[216:217]
	s_waitcnt vmcnt(7)
	v_fmac_f64_e32 v[110:111], v[100:101], v[232:233]
	s_waitcnt lgkmcnt(0)
	v_mul_f64 v[114:115], v[90:91], v[208:209]
	v_fmac_f64_e32 v[114:115], v[92:93], v[210:211]
	v_add_f64 v[4:5], v[4:5], v[114:115]
	v_add_f64 v[4:5], v[4:5], v[102:103]
	ds_read_b128 v[102:105], v1 offset:1696
	buffer_load_dword v236, off, s[0:3], 0 offset:872
	buffer_load_dword v237, off, s[0:3], 0 offset:876
	;; [unrolled: 1-line block ×4, first 2 shown]
	v_add_f64 v[4:5], v[4:5], v[110:111]
	s_waitcnt vmcnt(9) lgkmcnt(0)
	v_mul_f64 v[110:111], v[102:103], v[212:213]
	s_waitcnt vmcnt(8)
	v_fmac_f64_e32 v[110:111], v[104:105], v[218:219]
	v_add_f64 v[4:5], v[4:5], v[110:111]
	s_waitcnt vmcnt(6)
	v_mul_f64 v[110:111], v[106:107], v[230:231]
	s_waitcnt vmcnt(4)
	v_fmac_f64_e32 v[110:111], v[108:109], v[234:235]
	v_add_f64 v[4:5], v[4:5], v[110:111]
	ds_read_b128 v[110:113], v1 offset:1728
	buffer_load_dword v243, off, s[0:3], 0 offset:892
	buffer_load_dword v242, off, s[0:3], 0 offset:888
	buffer_load_dword v245, off, s[0:3], 0 offset:884
	buffer_load_dword v244, off, s[0:3], 0 offset:880
	s_waitcnt vmcnt(6) lgkmcnt(0)
	v_mul_f64 v[114:115], v[110:111], v[236:237]
	s_waitcnt vmcnt(4)
	v_fmac_f64_e32 v[114:115], v[112:113], v[238:239]
	v_add_f64 v[4:5], v[4:5], v[114:115]
	ds_read_b128 v[114:117], v1 offset:1744
	v_accvgpr_read_b32 v0, a166
	v_accvgpr_read_b32 v1, a167
	v_mul_f64 v[8:9], v[8:9], v[0:1]
	v_accvgpr_read_b32 v0, a168
	v_accvgpr_read_b32 v1, a169
	v_fma_f64 v[6:7], v[6:7], v[0:1], -v[8:9]
	s_waitcnt vmcnt(2) lgkmcnt(0)
	v_mul_f64 v[222:223], v[114:115], v[242:243]
	v_accvgpr_read_b32 v0, a164
	s_waitcnt vmcnt(0)
	v_fmac_f64_e32 v[222:223], v[116:117], v[244:245]
	v_add_f64 v[4:5], v[4:5], v[222:223]
	v_add_f64 v[222:223], v[226:227], 0
	;; [unrolled: 1-line block ×8, first 2 shown]
	buffer_load_dword v248, off, s[0:3], 0 offset:240
	buffer_load_dword v249, off, s[0:3], 0 offset:244
	;; [unrolled: 1-line block ×4, first 2 shown]
	v_add_f64 v[2:3], v[2:3], v[254:255]
	v_add_f64 v[254:255], v[2:3], v[220:221]
	;; [unrolled: 1-line block ×3, first 2 shown]
	v_mul_f64 v[118:119], v[122:123], v[124:125]
	v_add_f64 v[2:3], v[2:3], v[252:253]
	v_fma_f64 v[118:119], v[120:121], v[140:141], -v[118:119]
	v_add_f64 v[2:3], v[2:3], v[118:119]
	v_add_f64 v[2:3], v[2:3], v[6:7]
	v_mul_f64 v[6:7], v[12:13], v[144:145]
	v_fma_f64 v[6:7], v[10:11], v[148:149], -v[6:7]
	v_add_f64 v[2:3], v[2:3], v[6:7]
	v_mul_f64 v[6:7], v[16:17], v[126:127]
	v_fma_f64 v[6:7], v[14:15], v[128:129], -v[6:7]
	;; [unrolled: 3-line block ×27, first 2 shown]
	v_add_f64 v[2:3], v[2:3], v[6:7]
	s_waitcnt vmcnt(2)
	v_add_f64 v[2:3], v[248:249], -v[2:3]
	v_cmp_lt_u32_e32 vcc, 13, v0
	s_waitcnt vmcnt(0)
	v_add_f64 v[4:5], v[246:247], -v[4:5]
	buffer_store_dword v3, off, s[0:3], 0 offset:244
	buffer_store_dword v2, off, s[0:3], 0 offset:240
	buffer_store_dword v5, off, s[0:3], 0 offset:252
	buffer_store_dword v4, off, s[0:3], 0 offset:248
	s_and_saveexec_b64 s[4:5], vcc
	s_cbranch_execz .LBB54_317
; %bb.316:
	v_accvgpr_read_b32 v0, a151
	buffer_load_dword v2, v0, s[0:3], 0 offen
	buffer_load_dword v3, v0, s[0:3], 0 offen offset:4
	buffer_load_dword v4, v0, s[0:3], 0 offen offset:8
	;; [unrolled: 1-line block ×3, first 2 shown]
	v_mov_b32_e32 v0, 0
	v_accvgpr_read_b32 v1, a165
	buffer_store_dword v0, off, s[0:3], 0 offset:224
	buffer_store_dword v0, off, s[0:3], 0 offset:228
	;; [unrolled: 1-line block ×4, first 2 shown]
	s_waitcnt vmcnt(4)
	ds_write_b128 v1, v[2:5]
.LBB54_317:
	s_or_b64 exec, exec, s[4:5]
	s_waitcnt lgkmcnt(0)
	; wave barrier
	s_waitcnt lgkmcnt(0)
	buffer_load_dword v54, off, s[0:3], 0 offset:240
	buffer_load_dword v55, off, s[0:3], 0 offset:244
	;; [unrolled: 1-line block ×46, first 2 shown]
	v_mov_b32_e32 v1, 0
	v_accvgpr_read_b32 v0, a164
	v_cmp_lt_u32_e32 vcc, 12, v0
	s_waitcnt vmcnt(0)
	v_pk_mov_b32 v[22:23], v[2:3], v[2:3] op_sel:[0,1]
	buffer_load_dword v3, off, s[0:3], 0 offset:436
	buffer_load_dword v2, off, s[0:3], 0 offset:432
	;; [unrolled: 1-line block ×3, first 2 shown]
	ds_read_b128 v[94:97], v1 offset:1104
	ds_read_b128 v[108:111], v1 offset:1120
	;; [unrolled: 1-line block ×11, first 2 shown]
	s_waitcnt lgkmcnt(9)
	v_mul_f64 v[4:5], v[108:109], v[62:63]
	v_fmac_f64_e32 v[4:5], v[110:111], v[58:59]
	s_waitcnt lgkmcnt(8)
	v_mul_f64 v[6:7], v[112:113], v[60:61]
	s_waitcnt lgkmcnt(7)
	v_mul_f64 v[8:9], v[220:221], v[68:69]
	v_fmac_f64_e32 v[6:7], v[114:115], v[84:85]
	s_waitcnt lgkmcnt(6)
	v_mul_f64 v[10:11], v[236:237], v[64:65]
	v_fmac_f64_e32 v[8:9], v[222:223], v[82:83]
	;; [unrolled: 3-line block ×7, first 2 shown]
	v_fmac_f64_e32 v[20:21], v[226:227], v[92:93]
	v_accvgpr_write_b32 a167, v23
	v_accvgpr_write_b32 a166, v22
	v_mul_f64 v[62:63], v[110:111], v[62:63]
	v_mul_f64 v[74:75], v[246:247], v[74:75]
	v_fma_f64 v[246:247], v[244:245], v[76:77], -v[74:75]
	v_mul_f64 v[78:79], v[250:251], v[78:79]
	v_fma_f64 v[248:249], v[248:249], v[80:81], -v[78:79]
	v_mul_f64 v[86:87], v[254:255], v[86:87]
	v_fma_f64 v[252:253], v[252:253], v[88:89], -v[86:87]
	v_mul_f64 v[90:91], v[226:227], v[90:91]
	v_fma_f64 v[226:227], v[224:225], v[92:93], -v[90:91]
	s_waitcnt vmcnt(1)
	v_pk_mov_b32 v[24:25], v[2:3], v[2:3] op_sel:[0,1]
	v_mul_f64 v[2:3], v[94:95], v[56:57]
	v_fmac_f64_e32 v[2:3], v[96:97], v[54:55]
	v_add_f64 v[2:3], v[2:3], 0
	v_add_f64 v[2:3], v[2:3], v[4:5]
	buffer_load_dword v106, off, s[0:3], 0 offset:424
	buffer_load_dword v233, off, s[0:3], 0 offset:420
	;; [unrolled: 1-line block ×75, first 2 shown]
	v_add_f64 v[2:3], v[2:3], v[6:7]
	v_add_f64 v[2:3], v[2:3], v[8:9]
	;; [unrolled: 1-line block ×3, first 2 shown]
	ds_read_b128 v[116:119], v1 offset:1280
	ds_read_b128 v[120:123], v1 offset:1296
	v_add_f64 v[2:3], v[2:3], v[12:13]
	v_add_f64 v[2:3], v[2:3], v[14:15]
	;; [unrolled: 1-line block ×5, first 2 shown]
	s_waitcnt lgkmcnt(0)
	v_mul_f64 v[12:13], v[120:121], v[22:23]
	ds_read_b128 v[196:199], v1 offset:1312
	v_fmac_f64_e32 v[12:13], v[122:123], v[24:25]
	v_accvgpr_write_b32 a169, v25
	v_accvgpr_write_b32 a168, v24
	v_mul_f64 v[56:57], v[96:97], v[56:57]
	s_waitcnt vmcnt(62)
	v_mul_f64 v[8:9], v[116:117], v[106:107]
	v_fmac_f64_e32 v[8:9], v[118:119], v[232:233]
	v_pk_mov_b32 v[26:27], v[4:5], v[4:5] op_sel:[0,1]
	v_mul_f64 v[4:5], v[98:99], v[102:103]
	v_fmac_f64_e32 v[4:5], v[100:101], v[104:105]
	v_add_f64 v[6:7], v[2:3], v[4:5]
	v_add_f64 v[10:11], v[6:7], v[8:9]
	v_add_f64 v[14:15], v[10:11], v[12:13]
	ds_read_b128 v[10:13], v1 offset:1328
	s_waitcnt lgkmcnt(1)
	v_mul_f64 v[16:17], v[196:197], v[140:141]
	v_fmac_f64_e32 v[16:17], v[198:199], v[144:145]
	v_add_f64 v[18:19], v[14:15], v[16:17]
	ds_read_b128 v[14:17], v1 offset:1344
	s_waitcnt lgkmcnt(1)
	v_mul_f64 v[20:21], v[10:11], v[26:27]
	v_fmac_f64_e32 v[20:21], v[12:13], v[126:127]
	v_add_f64 v[22:23], v[18:19], v[20:21]
	ds_read_b128 v[18:21], v1 offset:1360
	s_waitcnt vmcnt(58) lgkmcnt(1)
	v_mul_f64 v[24:25], v[14:15], v[148:149]
	v_accvgpr_write_b32 a171, v27
	s_waitcnt vmcnt(56)
	v_fmac_f64_e32 v[24:25], v[16:17], v[152:153]
	v_accvgpr_write_b32 a170, v26
	s_waitcnt lgkmcnt(0)
	v_mul_f64 v[28:29], v[18:19], v[128:129]
	v_add_f64 v[26:27], v[22:23], v[24:25]
	ds_read_b128 v[22:25], v1 offset:1376
	v_fmac_f64_e32 v[28:29], v[20:21], v[130:131]
	v_add_f64 v[30:31], v[26:27], v[28:29]
	ds_read_b128 v[26:29], v1 offset:1392
	v_fma_f64 v[6:7], v[94:95], v[54:55], -v[56:57]
	s_waitcnt vmcnt(50) lgkmcnt(1)
	v_mul_f64 v[32:33], v[22:23], v[156:157]
	s_waitcnt vmcnt(48)
	v_fmac_f64_e32 v[32:33], v[24:25], v[160:161]
	v_add_f64 v[34:35], v[30:31], v[32:33]
	s_waitcnt lgkmcnt(0)
	v_mul_f64 v[36:37], v[26:27], v[132:133]
	ds_read_b128 v[30:33], v1 offset:1408
	v_fmac_f64_e32 v[36:37], v[28:29], v[134:135]
	v_add_f64 v[38:39], v[34:35], v[36:37]
	ds_read_b128 v[34:37], v1 offset:1424
	v_fma_f64 v[94:95], v[108:109], v[58:59], -v[62:63]
	s_waitcnt vmcnt(42) lgkmcnt(1)
	v_mul_f64 v[40:41], v[30:31], v[164:165]
	s_waitcnt vmcnt(40)
	v_fmac_f64_e32 v[40:41], v[32:33], v[168:169]
	v_add_f64 v[42:43], v[38:39], v[40:41]
	s_waitcnt lgkmcnt(0)
	v_mul_f64 v[44:45], v[34:35], v[136:137]
	ds_read_b128 v[38:41], v1 offset:1440
	v_fmac_f64_e32 v[44:45], v[36:37], v[138:139]
	v_add_f64 v[46:47], v[42:43], v[44:45]
	ds_read_b128 v[42:45], v1 offset:1456
	v_mul_f64 v[58:59], v[114:115], v[60:61]
	s_waitcnt vmcnt(34) lgkmcnt(1)
	v_mul_f64 v[48:49], v[38:39], v[172:173]
	s_waitcnt vmcnt(32)
	v_fmac_f64_e32 v[48:49], v[40:41], v[176:177]
	v_add_f64 v[50:51], v[46:47], v[48:49]
	s_waitcnt lgkmcnt(0)
	v_mul_f64 v[52:53], v[42:43], v[142:143]
	v_fmac_f64_e32 v[52:53], v[44:45], v[146:147]
	ds_read_b128 v[46:49], v1 offset:1472
	v_add_f64 v[200:201], v[50:51], v[52:53]
	ds_read_b128 v[50:53], v1 offset:1488
	buffer_load_dword v9, off, s[0:3], 0 offset:748
	buffer_load_dword v8, off, s[0:3], 0 offset:744
	;; [unrolled: 1-line block ×4, first 2 shown]
	v_fma_f64 v[96:97], v[112:113], v[84:85], -v[58:59]
	s_waitcnt vmcnt(30) lgkmcnt(1)
	v_mul_f64 v[202:203], v[46:47], v[180:181]
	s_waitcnt vmcnt(28)
	v_fmac_f64_e32 v[202:203], v[48:49], v[182:183]
	v_add_f64 v[234:235], v[200:201], v[202:203]
	buffer_load_dword v202, off, s[0:3], 0 offset:760
	buffer_load_dword v204, off, s[0:3], 0 offset:752
	buffer_load_dword v203, off, s[0:3], 0 offset:764
	buffer_load_dword v205, off, s[0:3], 0 offset:756
	buffer_load_dword v201, off, s[0:3], 0 offset:796
	buffer_load_dword v207, off, s[0:3], 0 offset:780
	buffer_load_dword v206, off, s[0:3], 0 offset:776
	buffer_load_dword v211, off, s[0:3], 0 offset:772
	buffer_load_dword v210, off, s[0:3], 0 offset:768
	buffer_load_dword v200, off, s[0:3], 0 offset:792
	buffer_load_dword v209, off, s[0:3], 0 offset:788
	buffer_load_dword v208, off, s[0:3], 0 offset:784
	ds_read_b128 v[54:57], v1 offset:1504
	buffer_load_dword v213, off, s[0:3], 0 offset:812
	buffer_load_dword v212, off, s[0:3], 0 offset:808
	;; [unrolled: 1-line block ×12, first 2 shown]
	s_waitcnt lgkmcnt(1)
	v_mul_f64 v[4:5], v[50:51], v[150:151]
	v_fmac_f64_e32 v[4:5], v[52:53], v[154:155]
	v_mul_f64 v[58:59], v[222:223], v[68:69]
	v_add_f64 v[4:5], v[234:235], v[4:5]
	v_fma_f64 v[2:3], v[220:221], v[82:83], -v[58:59]
	buffer_load_dword v220, off, s[0:3], 0 offset:856
	buffer_load_dword v234, off, s[0:3], 0 offset:848
	;; [unrolled: 1-line block ×4, first 2 shown]
	s_waitcnt vmcnt(50) lgkmcnt(0)
	v_mul_f64 v[58:59], v[54:55], v[184:185]
	s_waitcnt vmcnt(48)
	v_fmac_f64_e32 v[58:59], v[56:57], v[186:187]
	v_add_f64 v[4:5], v[4:5], v[58:59]
	ds_read_b128 v[58:61], v1 offset:1520
	v_mul_f64 v[62:63], v[238:239], v[64:65]
	v_fma_f64 v[236:237], v[236:237], v[66:67], -v[62:63]
	ds_read_b128 v[62:65], v1 offset:1536
	v_mul_f64 v[66:67], v[242:243], v[70:71]
	v_fma_f64 v[240:241], v[240:241], v[72:73], -v[66:67]
	ds_read_b128 v[66:69], v1 offset:1552
	ds_read_b128 v[74:77], v1 offset:1584
	s_waitcnt lgkmcnt(3)
	v_mul_f64 v[82:83], v[58:59], v[158:159]
	v_fmac_f64_e32 v[82:83], v[60:61], v[162:163]
	s_waitcnt vmcnt(42) lgkmcnt(2)
	v_mul_f64 v[70:71], v[62:63], v[188:189]
	v_add_f64 v[4:5], v[4:5], v[82:83]
	s_waitcnt vmcnt(40)
	v_fmac_f64_e32 v[70:71], v[64:65], v[190:191]
	v_add_f64 v[4:5], v[4:5], v[70:71]
	s_waitcnt lgkmcnt(1)
	v_mul_f64 v[70:71], v[66:67], v[166:167]
	v_fmac_f64_e32 v[70:71], v[68:69], v[170:171]
	v_add_f64 v[4:5], v[4:5], v[70:71]
	ds_read_b128 v[70:73], v1 offset:1568
	ds_read_b128 v[78:81], v1 offset:1600
	;; [unrolled: 1-line block ×4, first 2 shown]
	v_mul_f64 v[100:101], v[100:101], v[102:103]
	s_waitcnt vmcnt(34) lgkmcnt(3)
	v_mul_f64 v[82:83], v[70:71], v[192:193]
	s_waitcnt vmcnt(32)
	v_fmac_f64_e32 v[82:83], v[72:73], v[194:195]
	v_add_f64 v[4:5], v[4:5], v[82:83]
	v_mul_f64 v[82:83], v[74:75], v[174:175]
	v_fmac_f64_e32 v[82:83], v[76:77], v[178:179]
	v_add_f64 v[4:5], v[4:5], v[82:83]
	v_fma_f64 v[254:255], v[98:99], v[104:105], -v[100:101]
	ds_read_b128 v[98:101], v1 offset:1680
	v_mul_f64 v[102:103], v[118:119], v[106:107]
	v_fma_f64 v[250:251], v[116:117], v[232:233], -v[102:103]
	ds_read_b128 v[102:105], v1 offset:1696
	v_add_f64 v[6:7], v[6:7], 0
	v_add_f64 v[6:7], v[6:7], v[94:95]
	;; [unrolled: 1-line block ×9, first 2 shown]
	v_accvgpr_read_b32 v6, a166
	ds_read_b128 v[86:89], v1 offset:1632
	v_add_f64 v[2:3], v[2:3], v[226:227]
	v_accvgpr_read_b32 v7, a167
	v_accvgpr_read_b32 v94, a168
	v_add_f64 v[252:253], v[2:3], v[254:255]
	v_mul_f64 v[6:7], v[122:123], v[6:7]
	v_accvgpr_read_b32 v95, a169
	v_add_f64 v[2:3], v[252:253], v[250:251]
	v_fma_f64 v[6:7], v[120:121], v[94:95], -v[6:7]
	v_add_f64 v[2:3], v[2:3], v[6:7]
	v_mul_f64 v[6:7], v[198:199], v[140:141]
	v_fma_f64 v[6:7], v[196:197], v[144:145], -v[6:7]
	v_add_f64 v[2:3], v[2:3], v[6:7]
	v_accvgpr_read_b32 v6, a170
	v_accvgpr_read_b32 v7, a171
	v_mul_f64 v[6:7], v[12:13], v[6:7]
	s_waitcnt vmcnt(30) lgkmcnt(5)
	v_mul_f64 v[82:83], v[78:79], v[8:9]
	v_fma_f64 v[6:7], v[10:11], v[126:127], -v[6:7]
	s_waitcnt vmcnt(28)
	v_fmac_f64_e32 v[82:83], v[80:81], v[124:125]
	v_add_f64 v[4:5], v[4:5], v[82:83]
	ds_read_b128 v[82:85], v1 offset:1616
	v_add_f64 v[2:3], v[2:3], v[6:7]
	s_waitcnt vmcnt(9) lgkmcnt(3)
	v_mul_f64 v[106:107], v[98:99], v[216:217]
	s_waitcnt vmcnt(8)
	v_fmac_f64_e32 v[106:107], v[100:101], v[218:219]
	v_mul_f64 v[6:7], v[16:17], v[148:149]
	s_waitcnt lgkmcnt(0)
	v_mul_f64 v[108:109], v[82:83], v[202:203]
	v_fmac_f64_e32 v[108:109], v[84:85], v[204:205]
	v_add_f64 v[4:5], v[4:5], v[108:109]
	v_mul_f64 v[108:109], v[86:87], v[206:207]
	v_fmac_f64_e32 v[108:109], v[88:89], v[210:211]
	v_add_f64 v[4:5], v[4:5], v[108:109]
	;; [unrolled: 3-line block ×4, first 2 shown]
	v_add_f64 v[4:5], v[4:5], v[106:107]
	s_waitcnt vmcnt(6)
	v_mul_f64 v[106:107], v[102:103], v[228:229]
	s_waitcnt vmcnt(4)
	v_fmac_f64_e32 v[106:107], v[104:105], v[230:231]
	v_add_f64 v[4:5], v[4:5], v[106:107]
	ds_read_b128 v[106:109], v1 offset:1712
	v_fma_f64 v[6:7], v[14:15], v[152:153], -v[6:7]
	v_add_f64 v[2:3], v[2:3], v[6:7]
	v_mul_f64 v[6:7], v[20:21], v[128:129]
	v_fma_f64 v[6:7], v[18:19], v[130:131], -v[6:7]
	s_waitcnt vmcnt(1) lgkmcnt(0)
	v_mul_f64 v[110:111], v[106:107], v[220:221]
	s_waitcnt vmcnt(0)
	v_fmac_f64_e32 v[110:111], v[108:109], v[234:235]
	v_add_f64 v[114:115], v[4:5], v[110:111]
	buffer_load_dword v5, off, s[0:3], 0 offset:876
	buffer_load_dword v4, off, s[0:3], 0 offset:872
	;; [unrolled: 1-line block ×4, first 2 shown]
	ds_read_b128 v[110:113], v1 offset:1728
	buffer_load_dword v242, off, s[0:3], 0 offset:888
	buffer_load_dword v243, off, s[0:3], 0 offset:892
	;; [unrolled: 1-line block ×4, first 2 shown]
	v_add_f64 v[2:3], v[2:3], v[6:7]
	v_mul_f64 v[6:7], v[24:25], v[156:157]
	v_fma_f64 v[6:7], v[22:23], v[160:161], -v[6:7]
	v_add_f64 v[2:3], v[2:3], v[6:7]
	v_mul_f64 v[6:7], v[28:29], v[132:133]
	v_fma_f64 v[6:7], v[26:27], v[134:135], -v[6:7]
	;; [unrolled: 3-line block ×22, first 2 shown]
	v_add_f64 v[2:3], v[2:3], v[6:7]
	s_waitcnt vmcnt(6) lgkmcnt(0)
	v_mul_f64 v[116:117], v[110:111], v[4:5]
	v_mul_f64 v[4:5], v[112:113], v[4:5]
	s_waitcnt vmcnt(4)
	v_fmac_f64_e32 v[116:117], v[112:113], v[238:239]
	v_add_f64 v[118:119], v[114:115], v[116:117]
	ds_read_b128 v[114:117], v1 offset:1744
	buffer_load_dword v248, off, s[0:3], 0 offset:224
	buffer_load_dword v249, off, s[0:3], 0 offset:228
	;; [unrolled: 1-line block ×4, first 2 shown]
	v_fma_f64 v[4:5], v[110:111], v[238:239], -v[4:5]
	v_add_f64 v[2:3], v[2:3], v[4:5]
	s_waitcnt vmcnt(6) lgkmcnt(0)
	v_mul_f64 v[4:5], v[116:117], v[242:243]
	v_mul_f64 v[232:233], v[114:115], v[242:243]
	s_waitcnt vmcnt(4)
	v_fma_f64 v[4:5], v[114:115], v[244:245], -v[4:5]
	v_fmac_f64_e32 v[232:233], v[116:117], v[244:245]
	v_add_f64 v[2:3], v[2:3], v[4:5]
	v_add_f64 v[118:119], v[118:119], v[232:233]
	s_waitcnt vmcnt(2)
	v_add_f64 v[2:3], v[248:249], -v[2:3]
	s_waitcnt vmcnt(0)
	v_add_f64 v[4:5], v[246:247], -v[118:119]
	buffer_store_dword v3, off, s[0:3], 0 offset:228
	buffer_store_dword v2, off, s[0:3], 0 offset:224
	;; [unrolled: 1-line block ×4, first 2 shown]
	s_and_saveexec_b64 s[4:5], vcc
	s_cbranch_execz .LBB54_319
; %bb.318:
	v_accvgpr_read_b32 v0, a152
	buffer_load_dword v2, v0, s[0:3], 0 offen
	buffer_load_dword v3, v0, s[0:3], 0 offen offset:4
	buffer_load_dword v4, v0, s[0:3], 0 offen offset:8
	buffer_load_dword v5, v0, s[0:3], 0 offen offset:12
	v_accvgpr_read_b32 v0, a165
	buffer_store_dword v1, off, s[0:3], 0 offset:208
	buffer_store_dword v1, off, s[0:3], 0 offset:212
	;; [unrolled: 1-line block ×4, first 2 shown]
	s_waitcnt vmcnt(4)
	ds_write_b128 v0, v[2:5]
.LBB54_319:
	s_or_b64 exec, exec, s[4:5]
	s_waitcnt lgkmcnt(0)
	; wave barrier
	s_waitcnt lgkmcnt(0)
	buffer_load_dword v58, off, s[0:3], 0 offset:224
	buffer_load_dword v59, off, s[0:3], 0 offset:228
	;; [unrolled: 1-line block ×42, first 2 shown]
	ds_read_b128 v[110:113], v1 offset:1088
	ds_read_b128 v[114:117], v1 offset:1104
	ds_read_b128 v[212:215], v1 offset:1120
	ds_read_b128 v[216:219], v1 offset:1136
	ds_read_b128 v[220:223], v1 offset:1152
	ds_read_b128 v[224:227], v1 offset:1168
	ds_read_b128 v[236:239], v1 offset:1184
	ds_read_b128 v[240:243], v1 offset:1200
	ds_read_b128 v[244:247], v1 offset:1216
	ds_read_b128 v[82:85], v1 offset:1232
	buffer_load_dword v119, off, s[0:3], 0 offset:372
	buffer_load_dword v118, off, s[0:3], 0 offset:368
	ds_read_b128 v[90:93], v1 offset:1248
	buffer_load_dword v105, off, s[0:3], 0 offset:428
	buffer_load_dword v104, off, s[0:3], 0 offset:424
	;; [unrolled: 1-line block ×6, first 2 shown]
	s_waitcnt vmcnt(46) lgkmcnt(10)
	v_mul_f64 v[2:3], v[110:111], v[60:61]
	v_fmac_f64_e32 v[2:3], v[112:113], v[58:59]
	v_add_f64 v[2:3], v[2:3], 0
	v_mul_f64 v[60:61], v[112:113], v[60:61]
	s_waitcnt vmcnt(42) lgkmcnt(9)
	v_mul_f64 v[4:5], v[114:115], v[62:63]
	v_fmac_f64_e32 v[4:5], v[116:117], v[56:57]
	v_add_f64 v[2:3], v[2:3], v[4:5]
	buffer_load_dword v233, off, s[0:3], 0 offset:404
	buffer_load_dword v232, off, s[0:3], 0 offset:400
	;; [unrolled: 1-line block ×4, first 2 shown]
	s_waitcnt vmcnt(44) lgkmcnt(8)
	v_mul_f64 v[6:7], v[212:213], v[228:229]
	s_waitcnt vmcnt(42) lgkmcnt(6)
	v_mul_f64 v[10:11], v[220:221], v[64:65]
	s_waitcnt vmcnt(40)
	v_fmac_f64_e32 v[10:11], v[222:223], v[66:67]
	s_waitcnt vmcnt(38)
	v_mul_f64 v[8:9], v[216:217], v[68:69]
	s_waitcnt vmcnt(36) lgkmcnt(4)
	v_mul_f64 v[14:15], v[236:237], v[70:71]
	s_waitcnt vmcnt(34)
	v_fmac_f64_e32 v[14:15], v[238:239], v[72:73]
	s_waitcnt vmcnt(32)
	v_mul_f64 v[12:13], v[224:225], v[74:75]
	s_waitcnt vmcnt(30) lgkmcnt(2)
	v_mul_f64 v[18:19], v[244:245], v[78:79]
	v_mul_f64 v[78:79], v[246:247], v[78:79]
	s_waitcnt vmcnt(27)
	v_mul_f64 v[16:17], v[240:241], v[76:77]
	s_waitcnt vmcnt(25) lgkmcnt(1)
	v_mul_f64 v[20:21], v[82:83], v[86:87]
	s_waitcnt vmcnt(23)
	v_fmac_f64_e32 v[6:7], v[214:215], v[100:101]
	v_add_f64 v[2:3], v[2:3], v[6:7]
	s_waitcnt vmcnt(21)
	v_fmac_f64_e32 v[8:9], v[218:219], v[98:99]
	v_add_f64 v[2:3], v[2:3], v[8:9]
	;; [unrolled: 3-line block ×3, first 2 shown]
	v_add_f64 v[2:3], v[2:3], v[12:13]
	s_waitcnt vmcnt(17)
	v_fmac_f64_e32 v[16:17], v[242:243], v[88:89]
	v_add_f64 v[2:3], v[2:3], v[14:15]
	s_waitcnt vmcnt(16)
	v_fmac_f64_e32 v[18:19], v[246:247], v[80:81]
	v_add_f64 v[2:3], v[2:3], v[16:17]
	v_add_f64 v[2:3], v[2:3], v[18:19]
	v_fma_f64 v[246:247], v[244:245], v[80:81], -v[78:79]
	s_waitcnt vmcnt(10)
	v_fmac_f64_e32 v[20:21], v[84:85], v[118:119]
	v_add_f64 v[2:3], v[2:3], v[20:21]
	v_mul_f64 v[84:85], v[84:85], v[86:87]
	s_waitcnt vmcnt(0)
	v_pk_mov_b32 v[18:19], v[4:5], v[4:5] op_sel:[0,1]
	buffer_load_dword v5, off, s[0:3], 0 offset:452
	buffer_load_dword v4, off, s[0:3], 0 offset:448
	v_accvgpr_write_b32 a167, v19
	v_accvgpr_write_b32 a166, v18
	s_waitcnt vmcnt(0)
	v_pk_mov_b32 v[22:23], v[4:5], v[4:5] op_sel:[0,1]
	buffer_load_dword v137, off, s[0:3], 0 offset:444
	buffer_load_dword v136, off, s[0:3], 0 offset:440
	;; [unrolled: 1-line block ×6, first 2 shown]
	v_accvgpr_write_b32 a169, v23
	v_accvgpr_write_b32 a168, v22
	s_waitcnt vmcnt(0)
	v_pk_mov_b32 v[26:27], v[4:5], v[4:5] op_sel:[0,1]
	buffer_load_dword v5, off, s[0:3], 0 offset:484
	buffer_load_dword v4, off, s[0:3], 0 offset:480
	v_accvgpr_write_b32 a171, v27
	v_accvgpr_write_b32 a170, v26
	s_waitcnt vmcnt(0)
	v_pk_mov_b32 v[28:29], v[4:5], v[4:5] op_sel:[0,1]
	buffer_load_dword v145, off, s[0:3], 0 offset:476
	buffer_load_dword v144, off, s[0:3], 0 offset:472
	;; [unrolled: 1-line block ×60, first 2 shown]
	ds_read_b128 v[248:251], v1 offset:1264
	ds_read_b128 v[252:255], v1 offset:1280
	;; [unrolled: 1-line block ×5, first 2 shown]
	v_accvgpr_write_b32 a173, v29
	s_waitcnt lgkmcnt(3)
	v_mul_f64 v[8:9], v[252:253], v[104:105]
	v_fmac_f64_e32 v[8:9], v[254:255], v[106:107]
	s_waitcnt lgkmcnt(2)
	v_mul_f64 v[12:13], v[120:121], v[136:137]
	v_fmac_f64_e32 v[12:13], v[122:123], v[140:141]
	;; [unrolled: 3-line block ×3, first 2 shown]
	v_accvgpr_write_b32 a172, v28
	s_waitcnt vmcnt(54)
	v_pk_mov_b32 v[34:35], v[4:5], v[4:5] op_sel:[0,1]
	v_mul_f64 v[4:5], v[90:91], v[96:97]
	v_fmac_f64_e32 v[4:5], v[92:93], v[102:103]
	v_add_f64 v[2:3], v[2:3], v[4:5]
	v_mul_f64 v[4:5], v[248:249], v[108:109]
	v_fmac_f64_e32 v[4:5], v[250:251], v[232:233]
	v_add_f64 v[6:7], v[2:3], v[4:5]
	v_add_f64 v[10:11], v[6:7], v[8:9]
	;; [unrolled: 1-line block ×4, first 2 shown]
	ds_read_b128 v[14:17], v1 offset:1344
	s_waitcnt lgkmcnt(1)
	v_mul_f64 v[20:21], v[124:125], v[144:145]
	v_fmac_f64_e32 v[20:21], v[126:127], v[148:149]
	v_add_f64 v[22:23], v[18:19], v[20:21]
	ds_read_b128 v[18:21], v1 offset:1360
	s_waitcnt lgkmcnt(1)
	v_mul_f64 v[24:25], v[14:15], v[26:27]
	v_fmac_f64_e32 v[24:25], v[16:17], v[28:29]
	v_add_f64 v[26:27], v[22:23], v[24:25]
	ds_read_b128 v[22:25], v1 offset:1376
	s_waitcnt vmcnt(50) lgkmcnt(1)
	v_mul_f64 v[28:29], v[18:19], v[152:153]
	s_waitcnt vmcnt(48)
	v_fmac_f64_e32 v[28:29], v[20:21], v[156:157]
	v_add_f64 v[30:31], v[26:27], v[28:29]
	ds_read_b128 v[26:29], v1 offset:1392
	s_waitcnt lgkmcnt(1)
	v_mul_f64 v[32:33], v[22:23], v[34:35]
	v_accvgpr_write_b32 a175, v35
	v_fmac_f64_e32 v[32:33], v[24:25], v[130:131]
	v_accvgpr_write_b32 a174, v34
	v_add_f64 v[34:35], v[30:31], v[32:33]
	ds_read_b128 v[30:33], v1 offset:1408
	s_waitcnt vmcnt(42) lgkmcnt(1)
	v_mul_f64 v[36:37], v[26:27], v[160:161]
	s_waitcnt vmcnt(40)
	v_fmac_f64_e32 v[36:37], v[28:29], v[164:165]
	v_add_f64 v[38:39], v[34:35], v[36:37]
	ds_read_b128 v[34:37], v1 offset:1424
	s_waitcnt lgkmcnt(1)
	v_mul_f64 v[40:41], v[30:31], v[132:133]
	v_fmac_f64_e32 v[40:41], v[32:33], v[134:135]
	v_add_f64 v[42:43], v[38:39], v[40:41]
	ds_read_b128 v[38:41], v1 offset:1440
	s_waitcnt vmcnt(34) lgkmcnt(1)
	v_mul_f64 v[44:45], v[34:35], v[168:169]
	s_waitcnt vmcnt(32)
	v_fmac_f64_e32 v[44:45], v[36:37], v[172:173]
	v_add_f64 v[46:47], v[42:43], v[44:45]
	ds_read_b128 v[42:45], v1 offset:1456
	s_waitcnt lgkmcnt(1)
	v_mul_f64 v[48:49], v[38:39], v[138:139]
	v_fmac_f64_e32 v[48:49], v[40:41], v[142:143]
	v_add_f64 v[50:51], v[46:47], v[48:49]
	ds_read_b128 v[46:49], v1 offset:1472
	s_waitcnt vmcnt(26) lgkmcnt(1)
	v_mul_f64 v[52:53], v[42:43], v[176:177]
	s_waitcnt vmcnt(24)
	v_fmac_f64_e32 v[52:53], v[44:45], v[178:179]
	v_add_f64 v[234:235], v[50:51], v[52:53]
	ds_read_b128 v[50:53], v1 offset:1488
	buffer_load_dword v13, off, s[0:3], 0 offset:732
	buffer_load_dword v12, off, s[0:3], 0 offset:728
	;; [unrolled: 1-line block ×20, first 2 shown]
	v_mul_f64 v[4:5], v[116:117], v[62:63]
	v_fma_f64 v[8:9], v[114:115], v[56:57], -v[4:5]
	v_mul_f64 v[56:57], v[214:215], v[228:229]
	v_fma_f64 v[10:11], v[110:111], v[58:59], -v[60:61]
	v_fma_f64 v[58:59], v[212:213], v[100:101], -v[56:57]
	v_mul_f64 v[56:57], v[218:219], v[68:69]
	v_fma_f64 v[60:61], v[216:217], v[98:99], -v[56:57]
	buffer_load_dword v214, off, s[0:3], 0 offset:808
	buffer_load_dword v216, off, s[0:3], 0 offset:800
	;; [unrolled: 1-line block ×12, first 2 shown]
	s_waitcnt lgkmcnt(1)
	v_mul_f64 v[54:55], v[46:47], v[146:147]
	v_fmac_f64_e32 v[54:55], v[48:49], v[150:151]
	v_add_f64 v[62:63], v[234:235], v[54:55]
	v_mul_f64 v[54:55], v[222:223], v[64:65]
	v_fma_f64 v[6:7], v[220:221], v[66:67], -v[54:55]
	buffer_load_dword v221, off, s[0:3], 0 offset:860
	buffer_load_dword v220, off, s[0:3], 0 offset:856
	;; [unrolled: 1-line block ×4, first 2 shown]
	s_waitcnt vmcnt(54) lgkmcnt(0)
	v_mul_f64 v[64:65], v[50:51], v[180:181]
	ds_read_b128 v[54:57], v1 offset:1504
	s_waitcnt vmcnt(52)
	v_fmac_f64_e32 v[64:65], v[52:53], v[182:183]
	v_add_f64 v[62:63], v[62:63], v[64:65]
	v_mul_f64 v[64:65], v[226:227], v[74:75]
	v_fma_f64 v[226:227], v[224:225], v[94:95], -v[64:65]
	ds_read_b128 v[222:225], v1 offset:1520
	s_waitcnt lgkmcnt(1)
	v_mul_f64 v[64:65], v[54:55], v[154:155]
	v_fmac_f64_e32 v[64:65], v[56:57], v[158:159]
	v_add_f64 v[74:75], v[62:63], v[64:65]
	ds_read_b128 v[62:65], v1 offset:1536
	v_mul_f64 v[66:67], v[238:239], v[70:71]
	s_waitcnt vmcnt(46) lgkmcnt(1)
	v_mul_f64 v[70:71], v[222:223], v[184:185]
	v_fma_f64 v[236:237], v[236:237], v[72:73], -v[66:67]
	ds_read_b128 v[66:69], v1 offset:1552
	s_waitcnt vmcnt(44)
	v_fmac_f64_e32 v[70:71], v[224:225], v[186:187]
	v_add_f64 v[74:75], v[74:75], v[70:71]
	v_mul_f64 v[70:71], v[242:243], v[76:77]
	v_fma_f64 v[240:241], v[240:241], v[88:89], -v[70:71]
	ds_read_b128 v[70:73], v1 offset:1568
	ds_read_b128 v[78:81], v1 offset:1600
	s_waitcnt lgkmcnt(3)
	v_mul_f64 v[94:95], v[62:63], v[162:163]
	v_fmac_f64_e32 v[94:95], v[64:65], v[166:167]
	s_waitcnt vmcnt(38) lgkmcnt(2)
	v_mul_f64 v[76:77], v[66:67], v[188:189]
	v_add_f64 v[74:75], v[74:75], v[94:95]
	s_waitcnt vmcnt(36)
	v_fmac_f64_e32 v[76:77], v[68:69], v[190:191]
	v_add_f64 v[74:75], v[74:75], v[76:77]
	s_waitcnt lgkmcnt(1)
	v_mul_f64 v[76:77], v[70:71], v[170:171]
	v_fmac_f64_e32 v[76:77], v[72:73], v[174:175]
	v_add_f64 v[88:89], v[74:75], v[76:77]
	ds_read_b128 v[74:77], v1 offset:1584
	v_fma_f64 v[4:5], v[82:83], v[118:119], -v[84:85]
	ds_read_b128 v[82:85], v1 offset:1616
	v_mul_f64 v[92:93], v[92:93], v[96:97]
	v_fma_f64 v[2:3], v[90:91], v[102:103], -v[92:93]
	v_mul_f64 v[98:99], v[250:251], v[108:109]
	v_fma_f64 v[250:251], v[248:249], v[232:233], -v[98:99]
	ds_read_b128 v[98:101], v1 offset:1664
	v_mul_f64 v[102:103], v[254:255], v[104:105]
	v_fma_f64 v[252:253], v[252:253], v[106:107], -v[102:103]
	ds_read_b128 v[102:105], v1 offset:1696
	v_add_f64 v[10:11], v[10:11], 0
	v_add_f64 v[8:9], v[10:11], v[8:9]
	;; [unrolled: 1-line block ×4, first 2 shown]
	ds_read_b128 v[90:93], v1 offset:1648
	v_add_f64 v[6:7], v[8:9], v[6:7]
	v_add_f64 v[6:7], v[6:7], v[226:227]
	;; [unrolled: 1-line block ×8, first 2 shown]
	v_mul_f64 v[4:5], v[122:123], v[136:137]
	v_add_f64 v[2:3], v[2:3], v[252:253]
	s_waitcnt vmcnt(25) lgkmcnt(3)
	v_mul_f64 v[96:97], v[82:83], v[202:203]
	v_fma_f64 v[4:5], v[120:121], v[140:141], -v[4:5]
	s_waitcnt vmcnt(23)
	v_fmac_f64_e32 v[96:97], v[84:85], v[208:209]
	v_add_f64 v[2:3], v[2:3], v[4:5]
	v_mul_f64 v[94:95], v[74:75], v[12:13]
	v_fmac_f64_e32 v[94:95], v[76:77], v[128:129]
	v_mul_f64 v[86:87], v[78:79], v[198:199]
	v_add_f64 v[88:89], v[88:89], v[94:95]
	v_fmac_f64_e32 v[86:87], v[80:81], v[200:201]
	v_add_f64 v[94:95], v[88:89], v[86:87]
	ds_read_b128 v[86:89], v1 offset:1632
	v_add_f64 v[94:95], v[94:95], v[96:97]
	s_waitcnt vmcnt(22) lgkmcnt(0)
	v_mul_f64 v[96:97], v[86:87], v[196:197]
	s_waitcnt vmcnt(20)
	v_fmac_f64_e32 v[96:97], v[88:89], v[206:207]
	v_add_f64 v[94:95], v[94:95], v[96:97]
	s_waitcnt vmcnt(18)
	v_mul_f64 v[96:97], v[90:91], v[204:205]
	s_waitcnt vmcnt(16)
	v_fmac_f64_e32 v[96:97], v[92:93], v[210:211]
	v_add_f64 v[108:109], v[94:95], v[96:97]
	ds_read_b128 v[94:97], v1 offset:1680
	s_waitcnt vmcnt(13)
	v_mul_f64 v[106:107], v[98:99], v[214:215]
	s_waitcnt vmcnt(12)
	v_fmac_f64_e32 v[106:107], v[100:101], v[216:217]
	v_add_f64 v[106:107], v[108:109], v[106:107]
	s_waitcnt vmcnt(9) lgkmcnt(0)
	v_mul_f64 v[108:109], v[94:95], v[228:229]
	s_waitcnt vmcnt(7)
	v_fmac_f64_e32 v[108:109], v[96:97], v[230:231]
	v_add_f64 v[106:107], v[106:107], v[108:109]
	s_waitcnt vmcnt(5)
	v_mul_f64 v[108:109], v[102:103], v[212:213]
	s_waitcnt vmcnt(4)
	v_fmac_f64_e32 v[108:109], v[104:105], v[218:219]
	v_add_f64 v[110:111], v[106:107], v[108:109]
	ds_read_b128 v[106:109], v1 offset:1712
	buffer_load_dword v118, off, s[0:3], 0 offset:872
	buffer_load_dword v119, off, s[0:3], 0 offset:876
	;; [unrolled: 1-line block ×4, first 2 shown]
	s_waitcnt vmcnt(6) lgkmcnt(0)
	v_mul_f64 v[112:113], v[106:107], v[220:221]
	s_waitcnt vmcnt(4)
	v_fmac_f64_e32 v[112:113], v[108:109], v[234:235]
	v_add_f64 v[114:115], v[110:111], v[112:113]
	ds_read_b128 v[110:113], v1 offset:1728
	buffer_load_dword v243, off, s[0:3], 0 offset:892
	buffer_load_dword v242, off, s[0:3], 0 offset:888
	;; [unrolled: 1-line block ×4, first 2 shown]
	s_waitcnt vmcnt(6) lgkmcnt(0)
	v_mul_f64 v[116:117], v[110:111], v[118:119]
	s_waitcnt vmcnt(4)
	v_fmac_f64_e32 v[116:117], v[112:113], v[238:239]
	v_add_f64 v[232:233], v[114:115], v[116:117]
	ds_read_b128 v[114:117], v1 offset:1744
	v_accvgpr_read_b32 v0, a166
	v_accvgpr_read_b32 v1, a167
	v_mul_f64 v[4:5], v[194:195], v[0:1]
	v_accvgpr_read_b32 v0, a168
	s_waitcnt vmcnt(2) lgkmcnt(0)
	v_mul_f64 v[248:249], v[114:115], v[242:243]
	s_waitcnt vmcnt(0)
	v_fmac_f64_e32 v[248:249], v[116:117], v[244:245]
	v_add_f64 v[232:233], v[232:233], v[248:249]
	buffer_load_dword v248, off, s[0:3], 0 offset:208
	buffer_load_dword v249, off, s[0:3], 0 offset:212
	;; [unrolled: 1-line block ×4, first 2 shown]
	v_accvgpr_read_b32 v1, a169
	v_fma_f64 v[4:5], v[192:193], v[0:1], -v[4:5]
	v_add_f64 v[2:3], v[2:3], v[4:5]
	v_mul_f64 v[4:5], v[126:127], v[144:145]
	v_accvgpr_read_b32 v0, a170
	v_fma_f64 v[4:5], v[124:125], v[148:149], -v[4:5]
	v_accvgpr_read_b32 v1, a171
	v_add_f64 v[2:3], v[2:3], v[4:5]
	v_mul_f64 v[4:5], v[16:17], v[0:1]
	v_accvgpr_read_b32 v0, a172
	v_accvgpr_read_b32 v1, a173
	v_fma_f64 v[4:5], v[14:15], v[0:1], -v[4:5]
	v_add_f64 v[2:3], v[2:3], v[4:5]
	v_mul_f64 v[4:5], v[20:21], v[152:153]
	v_accvgpr_read_b32 v0, a174
	v_fma_f64 v[4:5], v[18:19], v[156:157], -v[4:5]
	v_accvgpr_read_b32 v1, a175
	v_add_f64 v[2:3], v[2:3], v[4:5]
	v_mul_f64 v[4:5], v[24:25], v[0:1]
	v_fma_f64 v[4:5], v[22:23], v[130:131], -v[4:5]
	v_add_f64 v[2:3], v[2:3], v[4:5]
	v_mul_f64 v[4:5], v[28:29], v[160:161]
	v_fma_f64 v[4:5], v[26:27], v[164:165], -v[4:5]
	;; [unrolled: 3-line block ×24, first 2 shown]
	v_add_f64 v[2:3], v[2:3], v[4:5]
	v_accvgpr_read_b32 v0, a164
	s_waitcnt vmcnt(2)
	v_add_f64 v[2:3], v[248:249], -v[2:3]
	v_cmp_lt_u32_e32 vcc, 11, v0
	s_waitcnt vmcnt(0)
	v_add_f64 v[4:5], v[246:247], -v[232:233]
	buffer_store_dword v3, off, s[0:3], 0 offset:212
	buffer_store_dword v2, off, s[0:3], 0 offset:208
	buffer_store_dword v5, off, s[0:3], 0 offset:220
	buffer_store_dword v4, off, s[0:3], 0 offset:216
	s_and_saveexec_b64 s[4:5], vcc
	s_cbranch_execz .LBB54_321
; %bb.320:
	v_accvgpr_read_b32 v0, a153
	buffer_load_dword v2, v0, s[0:3], 0 offen
	buffer_load_dword v3, v0, s[0:3], 0 offen offset:4
	buffer_load_dword v4, v0, s[0:3], 0 offen offset:8
	;; [unrolled: 1-line block ×3, first 2 shown]
	v_mov_b32_e32 v0, 0
	v_accvgpr_read_b32 v1, a165
	buffer_store_dword v0, off, s[0:3], 0 offset:192
	buffer_store_dword v0, off, s[0:3], 0 offset:196
	;; [unrolled: 1-line block ×4, first 2 shown]
	s_waitcnt vmcnt(4)
	ds_write_b128 v1, v[2:5]
.LBB54_321:
	s_or_b64 exec, exec, s[4:5]
	s_waitcnt lgkmcnt(0)
	; wave barrier
	s_waitcnt lgkmcnt(0)
	buffer_load_dword v50, off, s[0:3], 0 offset:208
	buffer_load_dword v51, off, s[0:3], 0 offset:212
	buffer_load_dword v56, off, s[0:3], 0 offset:216
	buffer_load_dword v57, off, s[0:3], 0 offset:220
	buffer_load_dword v52, off, s[0:3], 0 offset:224
	buffer_load_dword v53, off, s[0:3], 0 offset:228
	buffer_load_dword v58, off, s[0:3], 0 offset:232
	buffer_load_dword v59, off, s[0:3], 0 offset:236
	buffer_load_dword v204, off, s[0:3], 0 offset:248
	buffer_load_dword v205, off, s[0:3], 0 offset:252
	buffer_load_dword v63, off, s[0:3], 0 offset:284
	buffer_load_dword v62, off, s[0:3], 0 offset:280
	buffer_load_dword v61, off, s[0:3], 0 offset:276
	buffer_load_dword v60, off, s[0:3], 0 offset:272
	buffer_load_dword v65, off, s[0:3], 0 offset:268
	buffer_load_dword v64, off, s[0:3], 0 offset:264
	buffer_load_dword v67, off, s[0:3], 0 offset:316
	buffer_load_dword v66, off, s[0:3], 0 offset:312
	buffer_load_dword v71, off, s[0:3], 0 offset:308
	buffer_load_dword v70, off, s[0:3], 0 offset:304
	buffer_load_dword v77, off, s[0:3], 0 offset:300
	buffer_load_dword v76, off, s[0:3], 0 offset:296
	buffer_load_dword v69, off, s[0:3], 0 offset:332
	buffer_load_dword v68, off, s[0:3], 0 offset:328
	buffer_load_dword v82, off, s[0:3], 0 offset:240
	buffer_load_dword v83, off, s[0:3], 0 offset:244
	buffer_load_dword v81, off, s[0:3], 0 offset:260
	buffer_load_dword v80, off, s[0:3], 0 offset:256
	buffer_load_dword v79, off, s[0:3], 0 offset:292
	buffer_load_dword v78, off, s[0:3], 0 offset:288
	buffer_load_dword v73, off, s[0:3], 0 offset:324
	buffer_load_dword v72, off, s[0:3], 0 offset:320
	buffer_load_dword v74, off, s[0:3], 0 offset:344
	buffer_load_dword v84, off, s[0:3], 0 offset:336
	buffer_load_dword v85, off, s[0:3], 0 offset:340
	buffer_load_dword v75, off, s[0:3], 0 offset:348
	buffer_load_dword v87, off, s[0:3], 0 offset:380
	buffer_load_dword v86, off, s[0:3], 0 offset:376
	buffer_load_dword v89, off, s[0:3], 0 offset:372
	buffer_load_dword v88, off, s[0:3], 0 offset:368
	buffer_load_dword v91, off, s[0:3], 0 offset:364
	buffer_load_dword v90, off, s[0:3], 0 offset:360
	buffer_load_dword v93, off, s[0:3], 0 offset:356
	buffer_load_dword v92, off, s[0:3], 0 offset:352
	buffer_load_dword v95, off, s[0:3], 0 offset:412
	buffer_load_dword v94, off, s[0:3], 0 offset:408
	buffer_load_dword v97, off, s[0:3], 0 offset:404
	buffer_load_dword v96, off, s[0:3], 0 offset:400
	buffer_load_dword v99, off, s[0:3], 0 offset:396
	buffer_load_dword v98, off, s[0:3], 0 offset:392
	buffer_load_dword v101, off, s[0:3], 0 offset:388
	buffer_load_dword v100, off, s[0:3], 0 offset:384
	buffer_load_dword v3, off, s[0:3], 0 offset:444
	buffer_load_dword v2, off, s[0:3], 0 offset:440
	v_mov_b32_e32 v1, 0
	ds_read_b128 v[102:105], v1 offset:1072
	ds_read_b128 v[106:109], v1 offset:1088
	ds_read_b128 v[110:113], v1 offset:1104
	ds_read_b128 v[114:117], v1 offset:1120
	ds_read_b128 v[208:211], v1 offset:1136
	ds_read_b128 v[220:223], v1 offset:1152
	ds_read_b128 v[224:227], v1 offset:1168
	ds_read_b128 v[232:235], v1 offset:1184
	ds_read_b128 v[236:239], v1 offset:1200
	v_accvgpr_read_b32 v0, a164
	v_cmp_lt_u32_e32 vcc, 10, v0
	s_waitcnt vmcnt(46) lgkmcnt(7)
	v_mul_f64 v[4:5], v[106:107], v[58:59]
	v_fmac_f64_e32 v[4:5], v[108:109], v[52:53]
	s_waitcnt vmcnt(44) lgkmcnt(6)
	v_mul_f64 v[6:7], v[110:111], v[204:205]
	s_waitcnt vmcnt(42) lgkmcnt(4)
	v_mul_f64 v[10:11], v[208:209], v[62:63]
	s_waitcnt vmcnt(40)
	v_fmac_f64_e32 v[10:11], v[210:211], v[60:61]
	s_waitcnt vmcnt(38)
	v_mul_f64 v[8:9], v[114:115], v[64:65]
	s_waitcnt vmcnt(36) lgkmcnt(2)
	v_mul_f64 v[14:15], v[224:225], v[66:67]
	s_waitcnt vmcnt(34)
	v_fmac_f64_e32 v[14:15], v[226:227], v[70:71]
	s_waitcnt vmcnt(32)
	;; [unrolled: 6-line block ×3, first 2 shown]
	v_fmac_f64_e32 v[8:9], v[116:117], v[80:81]
	s_waitcnt vmcnt(24)
	v_fmac_f64_e32 v[12:13], v[222:223], v[78:79]
	s_waitcnt vmcnt(22)
	;; [unrolled: 2-line block ×3, first 2 shown]
	v_pk_mov_b32 v[18:19], v[2:3], v[2:3] op_sel:[0,1]
	v_mul_f64 v[2:3], v[102:103], v[56:57]
	v_fmac_f64_e32 v[2:3], v[104:105], v[50:51]
	v_add_f64 v[2:3], v[2:3], 0
	v_add_f64 v[2:3], v[2:3], v[4:5]
	buffer_load_dword v5, off, s[0:3], 0 offset:436
	buffer_load_dword v4, off, s[0:3], 0 offset:432
	v_add_f64 v[2:3], v[2:3], v[6:7]
	v_add_f64 v[2:3], v[2:3], v[8:9]
	;; [unrolled: 1-line block ×6, first 2 shown]
	v_accvgpr_write_b32 a167, v19
	v_accvgpr_write_b32 a166, v18
	s_waitcnt vmcnt(0)
	v_pk_mov_b32 v[14:15], v[4:5], v[4:5] op_sel:[0,1]
	buffer_load_dword v55, off, s[0:3], 0 offset:428
	buffer_load_dword v54, off, s[0:3], 0 offset:424
	;; [unrolled: 1-line block ×6, first 2 shown]
	v_accvgpr_write_b32 a169, v15
	v_accvgpr_write_b32 a168, v14
	s_waitcnt vmcnt(0)
	v_pk_mov_b32 v[22:23], v[4:5], v[4:5] op_sel:[0,1]
	buffer_load_dword v5, off, s[0:3], 0 offset:468
	buffer_load_dword v4, off, s[0:3], 0 offset:464
	v_accvgpr_write_b32 a171, v23
	v_accvgpr_write_b32 a170, v22
	s_waitcnt vmcnt(0)
	v_pk_mov_b32 v[24:25], v[4:5], v[4:5] op_sel:[0,1]
	buffer_load_dword v141, off, s[0:3], 0 offset:460
	buffer_load_dword v140, off, s[0:3], 0 offset:456
	;; [unrolled: 1-line block ×52, first 2 shown]
	ds_read_b128 v[240:243], v1 offset:1216
	ds_read_b128 v[244:247], v1 offset:1232
	;; [unrolled: 1-line block ×7, first 2 shown]
	v_accvgpr_write_b32 a173, v25
	v_accvgpr_write_b32 a172, v24
	s_waitcnt lgkmcnt(2)
	v_mul_f64 v[8:9], v[118:119], v[54:55]
	v_fmac_f64_e32 v[8:9], v[120:121], v[200:201]
	s_waitcnt lgkmcnt(1)
	v_mul_f64 v[12:13], v[126:127], v[18:19]
	v_fmac_f64_e32 v[12:13], v[128:129], v[14:15]
	v_mul_f64 v[54:55], v[120:121], v[54:55]
	s_waitcnt vmcnt(46)
	v_pk_mov_b32 v[30:31], v[4:5], v[4:5] op_sel:[0,1]
	v_mul_f64 v[4:5], v[236:237], v[74:75]
	v_fmac_f64_e32 v[4:5], v[238:239], v[84:85]
	v_add_f64 v[2:3], v[2:3], v[4:5]
	v_mul_f64 v[4:5], v[240:241], v[90:91]
	v_fmac_f64_e32 v[4:5], v[242:243], v[92:93]
	v_add_f64 v[2:3], v[2:3], v[4:5]
	;; [unrolled: 3-line block ×5, first 2 shown]
	v_add_f64 v[10:11], v[6:7], v[8:9]
	v_add_f64 v[14:15], v[10:11], v[12:13]
	ds_read_b128 v[10:13], v1 offset:1328
	s_waitcnt lgkmcnt(1)
	v_mul_f64 v[16:17], v[122:123], v[140:141]
	v_fmac_f64_e32 v[16:17], v[124:125], v[144:145]
	v_add_f64 v[18:19], v[14:15], v[16:17]
	ds_read_b128 v[14:17], v1 offset:1344
	s_waitcnt lgkmcnt(1)
	v_mul_f64 v[20:21], v[10:11], v[22:23]
	v_fmac_f64_e32 v[20:21], v[12:13], v[24:25]
	v_add_f64 v[22:23], v[18:19], v[20:21]
	ds_read_b128 v[18:21], v1 offset:1360
	s_waitcnt vmcnt(42) lgkmcnt(1)
	v_mul_f64 v[24:25], v[14:15], v[148:149]
	s_waitcnt vmcnt(40)
	v_fmac_f64_e32 v[24:25], v[16:17], v[152:153]
	v_add_f64 v[26:27], v[22:23], v[24:25]
	ds_read_b128 v[22:25], v1 offset:1376
	s_waitcnt lgkmcnt(1)
	v_mul_f64 v[28:29], v[18:19], v[30:31]
	v_accvgpr_write_b32 a175, v31
	v_fmac_f64_e32 v[28:29], v[20:21], v[130:131]
	v_accvgpr_write_b32 a174, v30
	v_add_f64 v[30:31], v[26:27], v[28:29]
	ds_read_b128 v[26:29], v1 offset:1392
	s_waitcnt vmcnt(34) lgkmcnt(1)
	v_mul_f64 v[32:33], v[22:23], v[156:157]
	s_waitcnt vmcnt(32)
	v_fmac_f64_e32 v[32:33], v[24:25], v[160:161]
	v_add_f64 v[34:35], v[30:31], v[32:33]
	ds_read_b128 v[30:33], v1 offset:1408
	s_waitcnt lgkmcnt(1)
	v_mul_f64 v[36:37], v[26:27], v[132:133]
	v_fmac_f64_e32 v[36:37], v[28:29], v[134:135]
	v_add_f64 v[38:39], v[34:35], v[36:37]
	ds_read_b128 v[34:37], v1 offset:1424
	s_waitcnt vmcnt(26) lgkmcnt(1)
	v_mul_f64 v[40:41], v[30:31], v[164:165]
	s_waitcnt vmcnt(24)
	v_fmac_f64_e32 v[40:41], v[32:33], v[166:167]
	v_add_f64 v[42:43], v[38:39], v[40:41]
	ds_read_b128 v[38:41], v1 offset:1440
	s_waitcnt lgkmcnt(1)
	v_mul_f64 v[44:45], v[34:35], v[136:137]
	v_fmac_f64_e32 v[44:45], v[36:37], v[138:139]
	v_add_f64 v[46:47], v[42:43], v[44:45]
	ds_read_b128 v[42:45], v1 offset:1456
	buffer_load_dword v181, off, s[0:3], 0 offset:700
	buffer_load_dword v183, off, s[0:3], 0 offset:684
	;; [unrolled: 1-line block ×8, first 2 shown]
	s_waitcnt vmcnt(26) lgkmcnt(1)
	v_mul_f64 v[48:49], v[38:39], v[168:169]
	s_waitcnt vmcnt(24)
	v_fmac_f64_e32 v[48:49], v[40:41], v[170:171]
	v_add_f64 v[192:193], v[46:47], v[48:49]
	ds_read_b128 v[46:49], v1 offset:1472
	buffer_load_dword v189, off, s[0:3], 0 offset:716
	buffer_load_dword v188, off, s[0:3], 0 offset:712
	;; [unrolled: 1-line block ×4, first 2 shown]
	s_waitcnt lgkmcnt(1)
	v_mul_f64 v[194:195], v[42:43], v[142:143]
	v_fmac_f64_e32 v[194:195], v[44:45], v[146:147]
	v_add_f64 v[2:3], v[192:193], v[194:195]
	buffer_load_dword v193, off, s[0:3], 0 offset:732
	buffer_load_dword v192, off, s[0:3], 0 offset:728
	buffer_load_dword v197, off, s[0:3], 0 offset:724
	buffer_load_dword v196, off, s[0:3], 0 offset:720
	buffer_load_dword v195, off, s[0:3], 0 offset:748
	buffer_load_dword v194, off, s[0:3], 0 offset:744
	buffer_load_dword v199, off, s[0:3], 0 offset:740
	buffer_load_dword v198, off, s[0:3], 0 offset:736
	v_mul_f64 v[4:5], v[104:105], v[56:57]
	buffer_load_dword v56, off, s[0:3], 0 offset:760
	buffer_load_dword v202, off, s[0:3], 0 offset:752
	buffer_load_dword v57, off, s[0:3], 0 offset:764
	buffer_load_dword v203, off, s[0:3], 0 offset:756
	v_fma_f64 v[6:7], v[102:103], v[50:51], -v[4:5]
	v_mul_f64 v[50:51], v[108:109], v[58:59]
	v_fma_f64 v[102:103], v[106:107], v[52:53], -v[50:51]
	v_mul_f64 v[50:51], v[112:113], v[204:205]
	v_fma_f64 v[104:105], v[110:111], v[82:83], -v[50:51]
	buffer_load_dword v205, off, s[0:3], 0 offset:780
	buffer_load_dword v204, off, s[0:3], 0 offset:776
	;; [unrolled: 1-line block ×4, first 2 shown]
	v_mul_f64 v[50:51], v[116:117], v[64:65]
	v_fma_f64 v[64:65], v[114:115], v[80:81], -v[50:51]
	v_mul_f64 v[50:51], v[210:211], v[62:63]
	buffer_load_dword v211, off, s[0:3], 0 offset:796
	buffer_load_dword v210, off, s[0:3], 0 offset:792
	;; [unrolled: 1-line block ×4, first 2 shown]
	v_fma_f64 v[62:63], v[208:209], v[60:61], -v[50:51]
	buffer_load_dword v209, off, s[0:3], 0 offset:828
	buffer_load_dword v215, off, s[0:3], 0 offset:812
	;; [unrolled: 1-line block ×12, first 2 shown]
	ds_read_b128 v[50:53], v1 offset:1488
	v_mul_f64 v[60:61], v[222:223], v[76:77]
	v_fma_f64 v[4:5], v[220:221], v[78:79], -v[60:61]
	ds_read_b128 v[220:223], v1 offset:1504
	s_waitcnt vmcnt(54) lgkmcnt(2)
	v_mul_f64 v[58:59], v[46:47], v[172:173]
	s_waitcnt vmcnt(52)
	v_fmac_f64_e32 v[58:59], v[48:49], v[174:175]
	s_waitcnt lgkmcnt(1)
	v_mul_f64 v[8:9], v[50:51], v[150:151]
	v_add_f64 v[2:3], v[2:3], v[58:59]
	v_fmac_f64_e32 v[8:9], v[52:53], v[154:155]
	v_add_f64 v[2:3], v[2:3], v[8:9]
	s_waitcnt vmcnt(46) lgkmcnt(0)
	v_mul_f64 v[8:9], v[220:221], v[176:177]
	s_waitcnt vmcnt(44)
	v_fmac_f64_e32 v[8:9], v[222:223], v[178:179]
	ds_read_b128 v[58:61], v1 offset:1520
	v_add_f64 v[2:3], v[2:3], v[8:9]
	v_mul_f64 v[8:9], v[226:227], v[66:67]
	v_fma_f64 v[8:9], v[224:225], v[70:71], -v[8:9]
	ds_read_b128 v[224:227], v1 offset:1536
	v_mul_f64 v[66:67], v[234:235], v[68:69]
	v_fma_f64 v[232:233], v[232:233], v[72:73], -v[66:67]
	ds_read_b128 v[66:69], v1 offset:1552
	s_waitcnt lgkmcnt(2)
	v_mul_f64 v[70:71], v[58:59], v[158:159]
	v_fmac_f64_e32 v[70:71], v[60:61], v[162:163]
	v_add_f64 v[2:3], v[2:3], v[70:71]
	v_mul_f64 v[74:75], v[238:239], v[74:75]
	v_fma_f64 v[234:235], v[236:237], v[84:85], -v[74:75]
	ds_read_b128 v[74:77], v1 offset:1584
	v_mul_f64 v[78:79], v[242:243], v[90:91]
	v_fma_f64 v[240:241], v[240:241], v[92:93], -v[78:79]
	v_mul_f64 v[86:87], v[246:247], v[86:87]
	v_fma_f64 v[246:247], v[244:245], v[88:89], -v[86:87]
	;; [unrolled: 2-line block ×3, first 2 shown]
	v_add_f64 v[6:7], v[6:7], 0
	v_add_f64 v[6:7], v[6:7], v[102:103]
	;; [unrolled: 1-line block ×3, first 2 shown]
	ds_read_b128 v[78:81], v1 offset:1600
	v_add_f64 v[6:7], v[6:7], v[64:65]
	v_add_f64 v[6:7], v[6:7], v[62:63]
	;; [unrolled: 1-line block ×8, first 2 shown]
	v_accvgpr_read_b32 v6, a166
	v_accvgpr_read_b32 v7, a167
	ds_read_b128 v[86:89], v1 offset:1632
	v_accvgpr_read_b32 v8, a168
	v_mul_f64 v[6:7], v[128:129], v[6:7]
	v_accvgpr_read_b32 v9, a169
	s_waitcnt vmcnt(41) lgkmcnt(4)
	v_mul_f64 v[70:71], v[224:225], v[182:183]
	v_fma_f64 v[6:7], v[126:127], v[8:9], -v[6:7]
	s_waitcnt vmcnt(39)
	v_fmac_f64_e32 v[70:71], v[226:227], v[186:187]
	v_add_f64 v[2:3], v[2:3], v[70:71]
	s_waitcnt vmcnt(38) lgkmcnt(3)
	v_mul_f64 v[70:71], v[66:67], v[180:181]
	s_waitcnt vmcnt(36)
	v_fmac_f64_e32 v[70:71], v[68:69], v[184:185]
	v_add_f64 v[2:3], v[2:3], v[70:71]
	ds_read_b128 v[70:73], v1 offset:1568
	ds_read_b128 v[94:97], v1 offset:1664
	v_accvgpr_read_b32 v8, a172
	v_accvgpr_read_b32 v9, a173
	s_waitcnt vmcnt(34) lgkmcnt(1)
	v_mul_f64 v[82:83], v[70:71], v[188:189]
	s_waitcnt vmcnt(32)
	v_fmac_f64_e32 v[82:83], v[72:73], v[190:191]
	v_add_f64 v[2:3], v[2:3], v[82:83]
	s_waitcnt vmcnt(30)
	v_mul_f64 v[82:83], v[74:75], v[192:193]
	s_waitcnt vmcnt(28)
	v_fmac_f64_e32 v[82:83], v[76:77], v[196:197]
	v_add_f64 v[2:3], v[2:3], v[82:83]
	s_waitcnt vmcnt(26)
	v_mul_f64 v[82:83], v[78:79], v[194:195]
	s_waitcnt vmcnt(24)
	v_fmac_f64_e32 v[82:83], v[80:81], v[198:199]
	v_add_f64 v[2:3], v[2:3], v[82:83]
	ds_read_b128 v[82:85], v1 offset:1616
	s_waitcnt vmcnt(21) lgkmcnt(0)
	v_mul_f64 v[90:91], v[82:83], v[56:57]
	s_waitcnt vmcnt(20)
	v_fmac_f64_e32 v[90:91], v[84:85], v[202:203]
	v_add_f64 v[106:107], v[2:3], v[90:91]
	v_mul_f64 v[90:91], v[250:251], v[98:99]
	v_fma_f64 v[248:249], v[248:249], v[100:101], -v[90:91]
	ds_read_b128 v[90:93], v1 offset:1648
	s_waitcnt vmcnt(18)
	v_mul_f64 v[98:99], v[86:87], v[204:205]
	s_waitcnt vmcnt(16)
	v_fmac_f64_e32 v[98:99], v[88:89], v[206:207]
	v_add_f64 v[98:99], v[106:107], v[98:99]
	v_fma_f64 v[250:251], v[118:119], v[200:201], -v[54:55]
	s_waitcnt vmcnt(14) lgkmcnt(0)
	v_mul_f64 v[100:101], v[90:91], v[210:211]
	s_waitcnt vmcnt(12)
	v_fmac_f64_e32 v[100:101], v[92:93], v[212:213]
	v_add_f64 v[106:107], v[98:99], v[100:101]
	ds_read_b128 v[98:101], v1 offset:1680
	ds_read_b128 v[118:121], v1 offset:1696
	s_waitcnt vmcnt(9)
	v_mul_f64 v[54:55], v[94:95], v[214:215]
	s_waitcnt vmcnt(7)
	v_fmac_f64_e32 v[54:55], v[96:97], v[228:229]
	v_add_f64 v[54:55], v[106:107], v[54:55]
	s_waitcnt vmcnt(6) lgkmcnt(1)
	v_mul_f64 v[106:107], v[98:99], v[208:209]
	s_waitcnt vmcnt(4)
	v_fmac_f64_e32 v[106:107], v[100:101], v[218:219]
	v_add_f64 v[54:55], v[54:55], v[106:107]
	s_waitcnt vmcnt(2) lgkmcnt(0)
	v_mul_f64 v[106:107], v[118:119], v[216:217]
	buffer_load_dword v2, off, s[0:3], 0 offset:856
	s_waitcnt vmcnt(1)
	v_fmac_f64_e32 v[106:107], v[120:121], v[230:231]
	v_add_f64 v[110:111], v[54:55], v[106:107]
	buffer_load_dword v54, off, s[0:3], 0 offset:848
	buffer_load_dword v3, off, s[0:3], 0 offset:860
	;; [unrolled: 1-line block ×3, first 2 shown]
	ds_read_b128 v[106:109], v1 offset:1712
	buffer_load_dword v237, off, s[0:3], 0 offset:876
	buffer_load_dword v236, off, s[0:3], 0 offset:872
	;; [unrolled: 1-line block ×4, first 2 shown]
	v_add_f64 v[4:5], v[4:5], v[248:249]
	v_add_f64 v[252:253], v[4:5], v[252:253]
	;; [unrolled: 1-line block ×4, first 2 shown]
	v_mul_f64 v[6:7], v[124:125], v[140:141]
	v_fma_f64 v[6:7], v[122:123], v[144:145], -v[6:7]
	v_add_f64 v[4:5], v[4:5], v[6:7]
	v_accvgpr_read_b32 v6, a170
	v_accvgpr_read_b32 v7, a171
	v_mul_f64 v[6:7], v[12:13], v[6:7]
	v_fma_f64 v[6:7], v[10:11], v[8:9], -v[6:7]
	v_add_f64 v[4:5], v[4:5], v[6:7]
	v_mul_f64 v[6:7], v[16:17], v[148:149]
	v_fma_f64 v[6:7], v[14:15], v[152:153], -v[6:7]
	v_add_f64 v[4:5], v[4:5], v[6:7]
	v_accvgpr_read_b32 v6, a174
	v_accvgpr_read_b32 v7, a175
	v_mul_f64 v[6:7], v[20:21], v[6:7]
	v_fma_f64 v[6:7], v[18:19], v[130:131], -v[6:7]
	v_add_f64 v[4:5], v[4:5], v[6:7]
	v_mul_f64 v[6:7], v[24:25], v[156:157]
	v_fma_f64 v[6:7], v[22:23], v[160:161], -v[6:7]
	v_add_f64 v[4:5], v[4:5], v[6:7]
	;; [unrolled: 3-line block ×19, first 2 shown]
	v_mul_f64 v[6:7], v[96:97], v[214:215]
	v_fma_f64 v[6:7], v[94:95], v[228:229], -v[6:7]
	s_waitcnt vmcnt(5) lgkmcnt(0)
	v_mul_f64 v[112:113], v[106:107], v[2:3]
	s_waitcnt vmcnt(4)
	v_fmac_f64_e32 v[112:113], v[108:109], v[54:55]
	v_add_f64 v[114:115], v[110:111], v[112:113]
	ds_read_b128 v[110:113], v1 offset:1728
	buffer_load_dword v242, off, s[0:3], 0 offset:888
	buffer_load_dword v243, off, s[0:3], 0 offset:892
	;; [unrolled: 1-line block ×4, first 2 shown]
	v_add_f64 v[4:5], v[4:5], v[6:7]
	v_mul_f64 v[6:7], v[100:101], v[208:209]
	v_fma_f64 v[6:7], v[98:99], v[218:219], -v[6:7]
	s_waitcnt vmcnt(6) lgkmcnt(0)
	v_mul_f64 v[116:117], v[110:111], v[236:237]
	s_waitcnt vmcnt(4)
	v_fmac_f64_e32 v[116:117], v[112:113], v[238:239]
	v_add_f64 v[200:201], v[114:115], v[116:117]
	ds_read_b128 v[114:117], v1 offset:1744
	buffer_load_dword v248, off, s[0:3], 0 offset:192
	buffer_load_dword v249, off, s[0:3], 0 offset:196
	;; [unrolled: 1-line block ×4, first 2 shown]
	v_add_f64 v[4:5], v[4:5], v[6:7]
	v_mul_f64 v[6:7], v[120:121], v[216:217]
	v_fma_f64 v[6:7], v[118:119], v[230:231], -v[6:7]
	v_mul_f64 v[2:3], v[108:109], v[2:3]
	v_add_f64 v[4:5], v[4:5], v[6:7]
	v_fma_f64 v[2:3], v[106:107], v[54:55], -v[2:3]
	v_add_f64 v[2:3], v[4:5], v[2:3]
	v_mul_f64 v[4:5], v[112:113], v[236:237]
	v_fma_f64 v[4:5], v[110:111], v[238:239], -v[4:5]
	v_add_f64 v[2:3], v[2:3], v[4:5]
	s_waitcnt vmcnt(6) lgkmcnt(0)
	v_mul_f64 v[4:5], v[116:117], v[242:243]
	v_mul_f64 v[254:255], v[114:115], v[242:243]
	s_waitcnt vmcnt(4)
	v_fma_f64 v[4:5], v[114:115], v[244:245], -v[4:5]
	v_fmac_f64_e32 v[254:255], v[116:117], v[244:245]
	v_add_f64 v[2:3], v[2:3], v[4:5]
	v_add_f64 v[200:201], v[200:201], v[254:255]
	s_waitcnt vmcnt(2)
	v_add_f64 v[2:3], v[248:249], -v[2:3]
	s_waitcnt vmcnt(0)
	v_add_f64 v[4:5], v[246:247], -v[200:201]
	buffer_store_dword v3, off, s[0:3], 0 offset:196
	buffer_store_dword v2, off, s[0:3], 0 offset:192
	;; [unrolled: 1-line block ×4, first 2 shown]
	s_and_saveexec_b64 s[4:5], vcc
	s_cbranch_execz .LBB54_323
; %bb.322:
	v_accvgpr_read_b32 v0, a154
	buffer_load_dword v2, v0, s[0:3], 0 offen
	buffer_load_dword v3, v0, s[0:3], 0 offen offset:4
	buffer_load_dword v4, v0, s[0:3], 0 offen offset:8
	;; [unrolled: 1-line block ×3, first 2 shown]
	v_accvgpr_read_b32 v0, a165
	buffer_store_dword v1, off, s[0:3], 0 offset:176
	buffer_store_dword v1, off, s[0:3], 0 offset:180
	;; [unrolled: 1-line block ×4, first 2 shown]
	s_waitcnt vmcnt(4)
	ds_write_b128 v0, v[2:5]
.LBB54_323:
	s_or_b64 exec, exec, s[4:5]
	s_waitcnt lgkmcnt(0)
	; wave barrier
	s_waitcnt lgkmcnt(0)
	buffer_load_dword v186, off, s[0:3], 0 offset:192
	buffer_load_dword v187, off, s[0:3], 0 offset:196
	;; [unrolled: 1-line block ×36, first 2 shown]
	ds_read_b128 v[82:85], v1 offset:1056
	ds_read_b128 v[78:81], v1 offset:1072
	;; [unrolled: 1-line block ×9, first 2 shown]
	buffer_load_dword v235, off, s[0:3], 0 offset:364
	buffer_load_dword v234, off, s[0:3], 0 offset:360
	;; [unrolled: 1-line block ×19, first 2 shown]
	s_waitcnt vmcnt(51) lgkmcnt(8)
	v_mul_f64 v[2:3], v[82:83], v[194:195]
	v_fmac_f64_e32 v[2:3], v[84:85], v[186:187]
	v_add_f64 v[2:3], v[2:3], 0
	s_waitcnt vmcnt(47) lgkmcnt(7)
	v_mul_f64 v[4:5], v[78:79], v[198:199]
	v_fmac_f64_e32 v[4:5], v[80:81], v[196:197]
	v_add_f64 v[2:3], v[2:3], v[4:5]
	buffer_load_dword v244, off, s[0:3], 0 offset:416
	buffer_load_dword v99, off, s[0:3], 0 offset:412
	;; [unrolled: 1-line block ×7, first 2 shown]
	s_waitcnt vmcnt(52) lgkmcnt(6)
	v_mul_f64 v[6:7], v[74:75], v[202:203]
	s_waitcnt vmcnt(50) lgkmcnt(4)
	v_mul_f64 v[10:11], v[62:63], v[212:213]
	s_waitcnt vmcnt(48)
	v_fmac_f64_e32 v[10:11], v[64:65], v[214:215]
	v_mul_f64 v[80:81], v[80:81], v[198:199]
	s_waitcnt vmcnt(46)
	v_mul_f64 v[8:9], v[70:71], v[204:205]
	v_fma_f64 v[78:79], v[78:79], v[196:197], -v[80:81]
	s_waitcnt vmcnt(44) lgkmcnt(2)
	v_mul_f64 v[14:15], v[54:55], v[104:105]
	v_mul_f64 v[64:65], v[64:65], v[212:213]
	s_waitcnt vmcnt(42)
	v_fmac_f64_e32 v[14:15], v[56:57], v[108:109]
	v_fma_f64 v[212:213], v[62:63], v[214:215], -v[64:65]
	s_waitcnt vmcnt(40)
	v_mul_f64 v[12:13], v[50:51], v[112:113]
	s_waitcnt vmcnt(38) lgkmcnt(1)
	v_mul_f64 v[16:17], v[58:59], v[106:107]
	s_waitcnt vmcnt(36)
	v_fmac_f64_e32 v[6:7], v[76:77], v[200:201]
	v_add_f64 v[2:3], v[2:3], v[6:7]
	s_waitcnt vmcnt(34)
	v_fmac_f64_e32 v[8:9], v[72:73], v[116:117]
	v_add_f64 v[2:3], v[2:3], v[8:9]
	;; [unrolled: 3-line block ×3, first 2 shown]
	v_add_f64 v[2:3], v[2:3], v[12:13]
	s_waitcnt vmcnt(30)
	v_fmac_f64_e32 v[16:17], v[60:61], v[110:111]
	v_add_f64 v[2:3], v[2:3], v[14:15]
	v_add_f64 v[2:3], v[2:3], v[16:17]
	v_mul_f64 v[76:77], v[76:77], v[202:203]
	v_fma_f64 v[80:81], v[74:75], v[200:201], -v[76:77]
	v_mul_f64 v[72:73], v[72:73], v[204:205]
	v_mul_f64 v[52:53], v[52:53], v[112:113]
	;; [unrolled: 1-line block ×3, first 2 shown]
	v_fma_f64 v[116:117], v[70:71], v[116:117], -v[72:73]
	s_waitcnt vmcnt(0)
	v_pk_mov_b32 v[18:19], v[4:5], v[4:5] op_sel:[0,1]
	buffer_load_dword v5, off, s[0:3], 0 offset:452
	buffer_load_dword v4, off, s[0:3], 0 offset:448
	v_accvgpr_write_b32 a167, v19
	v_accvgpr_write_b32 a166, v18
	s_waitcnt vmcnt(0)
	v_pk_mov_b32 v[20:21], v[4:5], v[4:5] op_sel:[0,1]
	buffer_load_dword v137, off, s[0:3], 0 offset:444
	buffer_load_dword v136, off, s[0:3], 0 offset:440
	;; [unrolled: 1-line block ×6, first 2 shown]
	v_accvgpr_write_b32 a169, v21
	v_accvgpr_write_b32 a168, v20
	s_waitcnt vmcnt(0)
	v_pk_mov_b32 v[26:27], v[4:5], v[4:5] op_sel:[0,1]
	buffer_load_dword v5, off, s[0:3], 0 offset:484
	buffer_load_dword v4, off, s[0:3], 0 offset:480
	v_accvgpr_write_b32 a171, v27
	v_accvgpr_write_b32 a170, v26
	s_waitcnt vmcnt(0)
	v_pk_mov_b32 v[28:29], v[4:5], v[4:5] op_sel:[0,1]
	buffer_load_dword v145, off, s[0:3], 0 offset:476
	buffer_load_dword v144, off, s[0:3], 0 offset:472
	;; [unrolled: 1-line block ×6, first 2 shown]
	v_accvgpr_write_b32 a173, v29
	v_accvgpr_write_b32 a172, v28
	s_waitcnt vmcnt(0)
	v_pk_mov_b32 v[34:35], v[4:5], v[4:5] op_sel:[0,1]
	buffer_load_dword v255, off, s[0:3], 0 offset:516
	buffer_load_dword v254, off, s[0:3], 0 offset:512
	;; [unrolled: 1-line block ×38, first 2 shown]
	ds_read_b128 v[220:223], v1 offset:1200
	ds_read_b128 v[224:227], v1 offset:1216
	;; [unrolled: 1-line block ×9, first 2 shown]
	v_accvgpr_write_b32 a175, v35
	s_waitcnt lgkmcnt(3)
	v_mul_f64 v[8:9], v[94:95], v[242:243]
	v_fmac_f64_e32 v[8:9], v[96:97], v[244:245]
	s_waitcnt lgkmcnt(2)
	v_mul_f64 v[12:13], v[130:131], v[136:137]
	v_fmac_f64_e32 v[12:13], v[132:133], v[140:141]
	s_waitcnt lgkmcnt(1)
	v_mul_f64 v[16:17], v[126:127], v[18:19]
	v_fmac_f64_e32 v[16:17], v[128:129], v[20:21]
	v_accvgpr_write_b32 a174, v34
	v_mul_f64 v[70:71], v[222:223], v[238:239]
	v_mul_f64 v[96:97], v[96:97], v[242:243]
	s_waitcnt vmcnt(30)
	v_pk_mov_b32 v[42:43], v[4:5], v[4:5] op_sel:[0,1]
	v_mul_f64 v[4:5], v[66:67], v[102:103]
	v_fmac_f64_e32 v[4:5], v[68:69], v[232:233]
	v_add_f64 v[2:3], v[2:3], v[4:5]
	v_mul_f64 v[4:5], v[220:221], v[238:239]
	v_fmac_f64_e32 v[4:5], v[222:223], v[240:241]
	v_add_f64 v[2:3], v[2:3], v[4:5]
	;; [unrolled: 3-line block ×6, first 2 shown]
	v_add_f64 v[10:11], v[6:7], v[8:9]
	v_add_f64 v[14:15], v[10:11], v[12:13]
	;; [unrolled: 1-line block ×3, first 2 shown]
	ds_read_b128 v[14:17], v1 offset:1344
	s_waitcnt lgkmcnt(1)
	v_mul_f64 v[20:21], v[122:123], v[144:145]
	v_fmac_f64_e32 v[20:21], v[124:125], v[148:149]
	v_add_f64 v[22:23], v[18:19], v[20:21]
	ds_read_b128 v[18:21], v1 offset:1360
	s_waitcnt lgkmcnt(1)
	v_mul_f64 v[24:25], v[14:15], v[26:27]
	v_fmac_f64_e32 v[24:25], v[16:17], v[28:29]
	v_add_f64 v[26:27], v[22:23], v[24:25]
	;; [unrolled: 5-line block ×4, first 2 shown]
	ds_read_b128 v[30:33], v1 offset:1408
	s_waitcnt vmcnt(26) lgkmcnt(1)
	v_mul_f64 v[36:37], v[26:27], v[160:161]
	s_waitcnt vmcnt(24)
	v_fmac_f64_e32 v[36:37], v[28:29], v[162:163]
	v_add_f64 v[38:39], v[34:35], v[36:37]
	ds_read_b128 v[34:37], v1 offset:1424
	s_waitcnt lgkmcnt(1)
	v_mul_f64 v[40:41], v[30:31], v[42:43]
	v_accvgpr_write_b32 a177, v43
	v_fmac_f64_e32 v[40:41], v[32:33], v[134:135]
	v_accvgpr_write_b32 a176, v42
	v_add_f64 v[42:43], v[38:39], v[40:41]
	ds_read_b128 v[38:41], v1 offset:1440
	s_waitcnt vmcnt(18) lgkmcnt(1)
	v_mul_f64 v[44:45], v[34:35], v[164:165]
	s_waitcnt vmcnt(16)
	v_fmac_f64_e32 v[44:45], v[36:37], v[166:167]
	v_add_f64 v[46:47], v[42:43], v[44:45]
	ds_read_b128 v[42:45], v1 offset:1456
	buffer_load_dword v177, off, s[0:3], 0 offset:668
	buffer_load_dword v176, off, s[0:3], 0 offset:664
	;; [unrolled: 1-line block ×4, first 2 shown]
	s_waitcnt lgkmcnt(1)
	v_mul_f64 v[48:49], v[38:39], v[138:139]
	v_fmac_f64_e32 v[48:49], v[40:41], v[142:143]
	v_add_f64 v[180:181], v[46:47], v[48:49]
	ds_read_b128 v[46:49], v1 offset:1472
	buffer_load_dword v183, off, s[0:3], 0 offset:684
	buffer_load_dword v182, off, s[0:3], 0 offset:680
	;; [unrolled: 1-line block ×4, first 2 shown]
	s_waitcnt vmcnt(18) lgkmcnt(1)
	v_mul_f64 v[188:189], v[42:43], v[168:169]
	s_waitcnt vmcnt(16)
	v_fmac_f64_e32 v[188:189], v[44:45], v[170:171]
	v_add_f64 v[2:3], v[180:181], v[188:189]
	buffer_load_dword v181, off, s[0:3], 0 offset:716
	buffer_load_dword v189, off, s[0:3], 0 offset:700
	;; [unrolled: 1-line block ×8, first 2 shown]
	v_mul_f64 v[4:5], v[84:85], v[194:195]
	v_fma_f64 v[10:11], v[82:83], v[186:187], -v[4:5]
	buffer_load_dword v186, off, s[0:3], 0 offset:744
	buffer_load_dword v195, off, s[0:3], 0 offset:732
	;; [unrolled: 1-line block ×20, first 2 shown]
	s_waitcnt lgkmcnt(0)
	v_mul_f64 v[8:9], v[46:47], v[146:147]
	v_fmac_f64_e32 v[8:9], v[48:49], v[150:151]
	v_fma_f64 v[6:7], v[50:51], v[114:115], -v[52:53]
	buffer_load_dword v215, off, s[0:3], 0 offset:812
	buffer_load_dword v214, off, s[0:3], 0 offset:808
	;; [unrolled: 1-line block ×12, first 2 shown]
	v_add_f64 v[2:3], v[2:3], v[8:9]
	ds_read_b128 v[50:53], v1 offset:1488
	v_mul_f64 v[8:9], v[56:57], v[104:105]
	v_fma_f64 v[8:9], v[54:55], v[108:109], -v[8:9]
	ds_read_b128 v[54:57], v1 offset:1504
	v_fma_f64 v[4:5], v[58:59], v[110:111], -v[60:61]
	ds_read_b128 v[58:61], v1 offset:1520
	s_waitcnt vmcnt(50) lgkmcnt(2)
	v_mul_f64 v[62:63], v[50:51], v[172:173]
	s_waitcnt vmcnt(48)
	v_fmac_f64_e32 v[62:63], v[52:53], v[174:175]
	s_waitcnt lgkmcnt(1)
	v_mul_f64 v[12:13], v[54:55], v[154:155]
	v_add_f64 v[2:3], v[2:3], v[62:63]
	ds_read_b128 v[62:65], v1 offset:1536
	v_fmac_f64_e32 v[12:13], v[56:57], v[158:159]
	v_add_f64 v[2:3], v[2:3], v[12:13]
	v_fma_f64 v[240:241], v[220:221], v[240:241], -v[70:71]
	v_mul_f64 v[82:83], v[226:227], v[234:235]
	v_mul_f64 v[88:89], v[88:89], v[246:247]
	v_fma_f64 v[246:247], v[86:87], v[248:249], -v[88:89]
	ds_read_b128 v[86:89], v1 offset:1648
	v_mul_f64 v[92:93], v[92:93], v[98:99]
	v_add_f64 v[10:11], v[10:11], 0
	v_add_f64 v[10:11], v[10:11], v[78:79]
	;; [unrolled: 1-line block ×8, first 2 shown]
	v_mul_f64 v[6:7], v[132:133], v[136:137]
	v_fma_f64 v[6:7], v[130:131], v[140:141], -v[6:7]
	ds_read_b128 v[70:73], v1 offset:1568
	ds_read_b128 v[220:223], v1 offset:1632
	s_waitcnt vmcnt(46) lgkmcnt(4)
	v_mul_f64 v[12:13], v[58:59], v[176:177]
	s_waitcnt vmcnt(44)
	v_fmac_f64_e32 v[12:13], v[60:61], v[178:179]
	v_add_f64 v[2:3], v[2:3], v[12:13]
	v_mul_f64 v[12:13], v[68:69], v[102:103]
	v_fma_f64 v[12:13], v[66:67], v[232:233], -v[12:13]
	ds_read_b128 v[66:69], v1 offset:1552
	s_waitcnt vmcnt(42) lgkmcnt(4)
	v_mul_f64 v[74:75], v[62:63], v[182:183]
	s_waitcnt vmcnt(40)
	v_fmac_f64_e32 v[74:75], v[64:65], v[184:185]
	v_add_f64 v[2:3], v[2:3], v[74:75]
	v_fma_f64 v[232:233], v[224:225], v[236:237], -v[82:83]
	s_waitcnt vmcnt(37) lgkmcnt(0)
	v_mul_f64 v[74:75], v[66:67], v[188:189]
	s_waitcnt vmcnt(35)
	v_fmac_f64_e32 v[74:75], v[68:69], v[192:193]
	v_add_f64 v[2:3], v[2:3], v[74:75]
	s_waitcnt vmcnt(34)
	v_mul_f64 v[74:75], v[70:71], v[180:181]
	s_waitcnt vmcnt(32)
	v_fmac_f64_e32 v[74:75], v[72:73], v[190:191]
	v_add_f64 v[2:3], v[2:3], v[74:75]
	ds_read_b128 v[74:77], v1 offset:1584
	ds_read_b128 v[224:227], v1 offset:1600
	v_add_f64 v[4:5], v[4:5], v[12:13]
	v_add_f64 v[4:5], v[4:5], v[240:241]
	v_add_f64 v[4:5], v[4:5], v[232:233]
	s_waitcnt vmcnt(29) lgkmcnt(1)
	v_mul_f64 v[82:83], v[74:75], v[194:195]
	s_waitcnt vmcnt(27)
	v_fmac_f64_e32 v[82:83], v[76:77], v[198:199]
	v_add_f64 v[2:3], v[2:3], v[82:83]
	v_mul_f64 v[82:83], v[120:121], v[250:251]
	v_fma_f64 v[118:119], v[118:119], v[252:253], -v[82:83]
	ds_read_b128 v[82:85], v1 offset:1616
	s_waitcnt vmcnt(25) lgkmcnt(1)
	v_mul_f64 v[102:103], v[224:225], v[186:187]
	s_waitcnt vmcnt(24)
	v_fmac_f64_e32 v[102:103], v[226:227], v[196:197]
	v_add_f64 v[2:3], v[2:3], v[102:103]
	v_fma_f64 v[250:251], v[90:91], v[100:101], -v[92:93]
	s_waitcnt vmcnt(21) lgkmcnt(0)
	v_mul_f64 v[102:103], v[82:83], v[202:203]
	s_waitcnt vmcnt(19)
	v_fmac_f64_e32 v[102:103], v[84:85], v[208:209]
	v_add_f64 v[2:3], v[2:3], v[102:103]
	s_waitcnt vmcnt(18)
	v_mul_f64 v[102:103], v[220:221], v[200:201]
	s_waitcnt vmcnt(16)
	v_fmac_f64_e32 v[102:103], v[222:223], v[206:207]
	v_add_f64 v[2:3], v[2:3], v[102:103]
	ds_read_b128 v[98:101], v1 offset:1664
	s_waitcnt vmcnt(14)
	v_mul_f64 v[102:103], v[86:87], v[204:205]
	s_waitcnt vmcnt(12)
	v_fmac_f64_e32 v[102:103], v[88:89], v[210:211]
	v_add_f64 v[2:3], v[2:3], v[102:103]
	ds_read_b128 v[90:93], v1 offset:1680
	ds_read_b128 v[102:105], v1 offset:1696
	buffer_load_dword v121, off, s[0:3], 0 offset:860
	buffer_load_dword v120, off, s[0:3], 0 offset:856
	;; [unrolled: 1-line block ×4, first 2 shown]
	ds_read_b128 v[106:109], v1 offset:1712
	buffer_load_dword v236, off, s[0:3], 0 offset:872
	buffer_load_dword v237, off, s[0:3], 0 offset:876
	;; [unrolled: 1-line block ×4, first 2 shown]
	v_fma_f64 v[252:253], v[94:95], v[244:245], -v[96:97]
	ds_read_b128 v[110:113], v1 offset:1728
	buffer_load_dword v243, off, s[0:3], 0 offset:892
	buffer_load_dword v242, off, s[0:3], 0 offset:888
	;; [unrolled: 1-line block ×4, first 2 shown]
	s_waitcnt vmcnt(22) lgkmcnt(4)
	v_mul_f64 v[94:95], v[98:99], v[214:215]
	s_waitcnt vmcnt(20)
	v_fmac_f64_e32 v[94:95], v[100:101], v[216:217]
	v_add_f64 v[2:3], v[2:3], v[94:95]
	s_waitcnt vmcnt(17) lgkmcnt(3)
	v_mul_f64 v[94:95], v[90:91], v[228:229]
	s_waitcnt vmcnt(15)
	v_fmac_f64_e32 v[94:95], v[92:93], v[230:231]
	v_add_f64 v[2:3], v[2:3], v[94:95]
	s_waitcnt vmcnt(13) lgkmcnt(2)
	v_mul_f64 v[94:95], v[102:103], v[114:115]
	s_waitcnt vmcnt(12)
	v_fmac_f64_e32 v[94:95], v[104:105], v[218:219]
	v_add_f64 v[2:3], v[2:3], v[94:95]
	v_add_f64 v[4:5], v[4:5], v[118:119]
	v_add_f64 v[118:119], v[4:5], v[246:247]
	;; [unrolled: 1-line block ×5, first 2 shown]
	s_waitcnt vmcnt(10) lgkmcnt(1)
	v_mul_f64 v[94:95], v[106:107], v[120:121]
	s_waitcnt vmcnt(8)
	v_fmac_f64_e32 v[94:95], v[108:109], v[234:235]
	v_add_f64 v[2:3], v[2:3], v[94:95]
	s_waitcnt vmcnt(6) lgkmcnt(0)
	v_mul_f64 v[94:95], v[110:111], v[236:237]
	s_waitcnt vmcnt(4)
	v_fmac_f64_e32 v[94:95], v[112:113], v[238:239]
	v_add_f64 v[2:3], v[2:3], v[94:95]
	ds_read_b128 v[94:97], v1 offset:1744
	v_accvgpr_read_b32 v0, a166
	v_accvgpr_read_b32 v1, a167
	v_mul_f64 v[6:7], v[128:129], v[0:1]
	v_accvgpr_read_b32 v0, a168
	s_waitcnt vmcnt(2) lgkmcnt(0)
	v_mul_f64 v[248:249], v[94:95], v[242:243]
	s_waitcnt vmcnt(0)
	v_fmac_f64_e32 v[248:249], v[96:97], v[244:245]
	v_add_f64 v[2:3], v[2:3], v[248:249]
	buffer_load_dword v248, off, s[0:3], 0 offset:176
	buffer_load_dword v249, off, s[0:3], 0 offset:180
	;; [unrolled: 1-line block ×4, first 2 shown]
	v_accvgpr_read_b32 v1, a169
	v_fma_f64 v[6:7], v[126:127], v[0:1], -v[6:7]
	v_add_f64 v[4:5], v[4:5], v[6:7]
	v_mul_f64 v[6:7], v[124:125], v[144:145]
	v_accvgpr_read_b32 v0, a170
	v_fma_f64 v[6:7], v[122:123], v[148:149], -v[6:7]
	v_accvgpr_read_b32 v1, a171
	v_add_f64 v[4:5], v[4:5], v[6:7]
	v_mul_f64 v[6:7], v[16:17], v[0:1]
	v_accvgpr_read_b32 v0, a172
	v_accvgpr_read_b32 v1, a173
	v_fma_f64 v[6:7], v[14:15], v[0:1], -v[6:7]
	v_add_f64 v[4:5], v[4:5], v[6:7]
	v_mul_f64 v[6:7], v[20:21], v[152:153]
	v_accvgpr_read_b32 v0, a174
	v_fma_f64 v[6:7], v[18:19], v[156:157], -v[6:7]
	v_accvgpr_read_b32 v1, a175
	v_add_f64 v[4:5], v[4:5], v[6:7]
	v_mul_f64 v[6:7], v[24:25], v[0:1]
	v_fma_f64 v[6:7], v[22:23], v[254:255], -v[6:7]
	v_add_f64 v[4:5], v[4:5], v[6:7]
	v_mul_f64 v[6:7], v[28:29], v[160:161]
	v_accvgpr_read_b32 v0, a176
	v_fma_f64 v[6:7], v[26:27], v[162:163], -v[6:7]
	v_accvgpr_read_b32 v1, a177
	v_add_f64 v[4:5], v[4:5], v[6:7]
	v_mul_f64 v[6:7], v[32:33], v[0:1]
	v_fma_f64 v[6:7], v[30:31], v[134:135], -v[6:7]
	v_add_f64 v[4:5], v[4:5], v[6:7]
	v_mul_f64 v[6:7], v[36:37], v[164:165]
	v_fma_f64 v[6:7], v[34:35], v[166:167], -v[6:7]
	;; [unrolled: 3-line block ×22, first 2 shown]
	v_add_f64 v[4:5], v[4:5], v[6:7]
	v_accvgpr_read_b32 v0, a164
	s_waitcnt vmcnt(2)
	v_add_f64 v[4:5], v[248:249], -v[4:5]
	v_cmp_lt_u32_e32 vcc, 9, v0
	s_waitcnt vmcnt(0)
	v_add_f64 v[2:3], v[246:247], -v[2:3]
	buffer_store_dword v5, off, s[0:3], 0 offset:180
	buffer_store_dword v4, off, s[0:3], 0 offset:176
	;; [unrolled: 1-line block ×4, first 2 shown]
	s_and_saveexec_b64 s[4:5], vcc
	s_cbranch_execz .LBB54_325
; %bb.324:
	v_accvgpr_read_b32 v0, a155
	buffer_load_dword v2, v0, s[0:3], 0 offen
	buffer_load_dword v3, v0, s[0:3], 0 offen offset:4
	buffer_load_dword v4, v0, s[0:3], 0 offen offset:8
	;; [unrolled: 1-line block ×3, first 2 shown]
	v_mov_b32_e32 v0, 0
	v_accvgpr_read_b32 v1, a165
	buffer_store_dword v0, off, s[0:3], 0 offset:160
	buffer_store_dword v0, off, s[0:3], 0 offset:164
	;; [unrolled: 1-line block ×4, first 2 shown]
	s_waitcnt vmcnt(4)
	ds_write_b128 v1, v[2:5]
.LBB54_325:
	s_or_b64 exec, exec, s[4:5]
	s_waitcnt lgkmcnt(0)
	; wave barrier
	s_waitcnt lgkmcnt(0)
	buffer_load_dword v56, off, s[0:3], 0 offset:176
	buffer_load_dword v57, off, s[0:3], 0 offset:180
	;; [unrolled: 1-line block ×36, first 2 shown]
	v_mov_b32_e32 v1, 0
	buffer_load_dword v87, off, s[0:3], 0 offset:348
	buffer_load_dword v86, off, s[0:3], 0 offset:344
	;; [unrolled: 1-line block ×18, first 2 shown]
	ds_read_b128 v[110:113], v1 offset:1040
	ds_read_b128 v[114:117], v1 offset:1056
	;; [unrolled: 1-line block ×9, first 2 shown]
	v_accvgpr_read_b32 v0, a164
	v_cmp_lt_u32_e32 vcc, 8, v0
	s_waitcnt vmcnt(50) lgkmcnt(8)
	v_mul_f64 v[2:3], v[110:111], v[58:59]
	v_fmac_f64_e32 v[2:3], v[112:113], v[56:57]
	v_add_f64 v[2:3], v[2:3], 0
	s_waitcnt vmcnt(46) lgkmcnt(7)
	v_mul_f64 v[4:5], v[114:115], v[54:55]
	v_fmac_f64_e32 v[4:5], v[116:117], v[52:53]
	v_add_f64 v[2:3], v[2:3], v[4:5]
	buffer_load_dword v105, off, s[0:3], 0 offset:404
	buffer_load_dword v104, off, s[0:3], 0 offset:400
	;; [unrolled: 1-line block ×8, first 2 shown]
	s_waitcnt vmcnt(52) lgkmcnt(6)
	v_mul_f64 v[6:7], v[196:197], v[50:51]
	s_waitcnt vmcnt(50) lgkmcnt(4)
	v_mul_f64 v[10:11], v[204:205], v[60:61]
	s_waitcnt vmcnt(48)
	v_fmac_f64_e32 v[10:11], v[206:207], v[62:63]
	v_mul_f64 v[50:51], v[198:199], v[50:51]
	s_waitcnt vmcnt(46)
	v_mul_f64 v[8:9], v[200:201], v[64:65]
	v_mul_f64 v[54:55], v[116:117], v[54:55]
	s_waitcnt vmcnt(44) lgkmcnt(2)
	v_mul_f64 v[14:15], v[214:215], v[74:75]
	s_waitcnt vmcnt(42)
	v_fmac_f64_e32 v[14:15], v[216:217], v[72:73]
	s_waitcnt vmcnt(40)
	v_mul_f64 v[12:13], v[208:209], v[76:77]
	s_waitcnt vmcnt(38) lgkmcnt(1)
	v_mul_f64 v[16:17], v[220:221], v[68:69]
	s_waitcnt vmcnt(36)
	v_fmac_f64_e32 v[6:7], v[198:199], v[82:83]
	v_add_f64 v[2:3], v[2:3], v[6:7]
	s_waitcnt vmcnt(34)
	v_fmac_f64_e32 v[8:9], v[202:203], v[80:81]
	v_add_f64 v[2:3], v[2:3], v[8:9]
	s_waitcnt vmcnt(32)
	v_fmac_f64_e32 v[12:13], v[210:211], v[78:79]
	v_add_f64 v[2:3], v[2:3], v[10:11]
	v_add_f64 v[2:3], v[2:3], v[12:13]
	v_add_f64 v[2:3], v[2:3], v[14:15]
	s_waitcnt vmcnt(30)
	v_fmac_f64_e32 v[16:17], v[222:223], v[70:71]
	v_add_f64 v[2:3], v[2:3], v[16:17]
	v_fma_f64 v[212:213], v[196:197], v[82:83], -v[50:51]
	v_mul_f64 v[50:51], v[202:203], v[64:65]
	s_waitcnt vmcnt(0)
	v_pk_mov_b32 v[14:15], v[4:5], v[4:5] op_sel:[0,1]
	buffer_load_dword v5, off, s[0:3], 0 offset:436
	buffer_load_dword v4, off, s[0:3], 0 offset:432
	v_accvgpr_write_b32 a167, v15
	v_accvgpr_write_b32 a166, v14
	s_waitcnt vmcnt(0)
	v_pk_mov_b32 v[18:19], v[4:5], v[4:5] op_sel:[0,1]
	buffer_load_dword v107, off, s[0:3], 0 offset:428
	buffer_load_dword v106, off, s[0:3], 0 offset:424
	;; [unrolled: 1-line block ×6, first 2 shown]
	v_accvgpr_write_b32 a169, v19
	v_accvgpr_write_b32 a168, v18
	s_waitcnt vmcnt(0)
	v_pk_mov_b32 v[22:23], v[4:5], v[4:5] op_sel:[0,1]
	buffer_load_dword v5, off, s[0:3], 0 offset:468
	buffer_load_dword v4, off, s[0:3], 0 offset:464
	v_accvgpr_write_b32 a171, v23
	v_accvgpr_write_b32 a170, v22
	s_waitcnt vmcnt(0)
	v_pk_mov_b32 v[24:25], v[4:5], v[4:5] op_sel:[0,1]
	buffer_load_dword v141, off, s[0:3], 0 offset:460
	buffer_load_dword v140, off, s[0:3], 0 offset:456
	;; [unrolled: 1-line block ×6, first 2 shown]
	v_accvgpr_write_b32 a173, v25
	v_accvgpr_write_b32 a172, v24
	s_waitcnt vmcnt(0)
	v_pk_mov_b32 v[30:31], v[4:5], v[4:5] op_sel:[0,1]
	buffer_load_dword v5, off, s[0:3], 0 offset:500
	buffer_load_dword v4, off, s[0:3], 0 offset:496
	v_accvgpr_write_b32 a175, v31
	v_accvgpr_write_b32 a174, v30
	s_waitcnt vmcnt(0)
	v_pk_mov_b32 v[32:33], v[4:5], v[4:5] op_sel:[0,1]
	buffer_load_dword v149, off, s[0:3], 0 offset:492
	buffer_load_dword v148, off, s[0:3], 0 offset:488
	;; [unrolled: 1-line block ×36, first 2 shown]
	ds_read_b128 v[232:235], v1 offset:1184
	ds_read_b128 v[236:239], v1 offset:1200
	;; [unrolled: 1-line block ×10, first 2 shown]
	v_accvgpr_write_b32 a177, v33
	s_waitcnt lgkmcnt(3)
	v_mul_f64 v[8:9], v[118:119], v[106:107]
	v_fmac_f64_e32 v[8:9], v[120:121], v[108:109]
	s_waitcnt lgkmcnt(2)
	v_mul_f64 v[12:13], v[130:131], v[14:15]
	v_fmac_f64_e32 v[12:13], v[132:133], v[18:19]
	;; [unrolled: 3-line block ×4, first 2 shown]
	v_accvgpr_write_b32 a176, v32
	s_waitcnt vmcnt(30)
	v_pk_mov_b32 v[38:39], v[4:5], v[4:5] op_sel:[0,1]
	v_mul_f64 v[4:5], v[224:225], v[66:67]
	v_fmac_f64_e32 v[4:5], v[226:227], v[84:85]
	v_add_f64 v[2:3], v[2:3], v[4:5]
	v_mul_f64 v[4:5], v[232:233], v[90:91]
	v_fmac_f64_e32 v[4:5], v[234:235], v[92:93]
	v_add_f64 v[2:3], v[2:3], v[4:5]
	;; [unrolled: 3-line block ×7, first 2 shown]
	v_add_f64 v[10:11], v[6:7], v[8:9]
	v_add_f64 v[14:15], v[10:11], v[12:13]
	v_add_f64 v[18:19], v[14:15], v[16:17]
	ds_read_b128 v[14:17], v1 offset:1344
	v_add_f64 v[22:23], v[18:19], v[20:21]
	ds_read_b128 v[18:21], v1 offset:1360
	v_accvgpr_write_b32 a179, v39
	v_accvgpr_write_b32 a178, v38
	s_waitcnt lgkmcnt(1)
	v_mul_f64 v[24:25], v[14:15], v[148:149]
	v_fmac_f64_e32 v[24:25], v[16:17], v[152:153]
	v_add_f64 v[26:27], v[22:23], v[24:25]
	ds_read_b128 v[22:25], v1 offset:1376
	s_waitcnt lgkmcnt(1)
	v_mul_f64 v[28:29], v[18:19], v[30:31]
	v_fmac_f64_e32 v[28:29], v[20:21], v[32:33]
	v_add_f64 v[30:31], v[26:27], v[28:29]
	ds_read_b128 v[26:29], v1 offset:1392
	s_waitcnt vmcnt(26) lgkmcnt(1)
	v_mul_f64 v[32:33], v[22:23], v[156:157]
	s_waitcnt vmcnt(24)
	v_fmac_f64_e32 v[32:33], v[24:25], v[158:159]
	v_add_f64 v[34:35], v[30:31], v[32:33]
	ds_read_b128 v[30:33], v1 offset:1408
	s_waitcnt lgkmcnt(1)
	v_mul_f64 v[36:37], v[26:27], v[38:39]
	v_fmac_f64_e32 v[36:37], v[28:29], v[134:135]
	v_add_f64 v[38:39], v[34:35], v[36:37]
	ds_read_b128 v[34:37], v1 offset:1424
	s_waitcnt vmcnt(18) lgkmcnt(1)
	v_mul_f64 v[40:41], v[30:31], v[160:161]
	s_waitcnt vmcnt(16)
	;; [unrolled: 11-line block ×3, first 2 shown]
	v_fmac_f64_e32 v[48:49], v[40:41], v[166:167]
	v_add_f64 v[174:175], v[46:47], v[48:49]
	ds_read_b128 v[46:49], v1 offset:1472
	buffer_load_dword v173, off, s[0:3], 0 offset:652
	buffer_load_dword v172, off, s[0:3], 0 offset:648
	;; [unrolled: 1-line block ×4, first 2 shown]
	s_waitcnt lgkmcnt(1)
	v_mul_f64 v[178:179], v[42:43], v[142:143]
	v_fmac_f64_e32 v[178:179], v[44:45], v[146:147]
	v_add_f64 v[2:3], v[174:175], v[178:179]
	buffer_load_dword v179, off, s[0:3], 0 offset:668
	buffer_load_dword v178, off, s[0:3], 0 offset:664
	;; [unrolled: 1-line block ×24, first 2 shown]
	v_mul_f64 v[4:5], v[112:113], v[58:59]
	v_fma_f64 v[10:11], v[110:111], v[56:57], -v[4:5]
	v_fma_f64 v[110:111], v[200:201], v[80:81], -v[50:51]
	v_mul_f64 v[50:51], v[206:207], v[60:61]
	v_fma_f64 v[112:113], v[204:205], v[62:63], -v[50:51]
	buffer_load_dword v201, off, s[0:3], 0 offset:764
	buffer_load_dword v200, off, s[0:3], 0 offset:760
	;; [unrolled: 1-line block ×8, first 2 shown]
	v_fma_f64 v[58:59], v[114:115], v[52:53], -v[54:55]
	ds_read_b128 v[50:53], v1 offset:1488
	v_mul_f64 v[54:55], v[210:211], v[76:77]
	buffer_load_dword v211, off, s[0:3], 0 offset:796
	buffer_load_dword v210, off, s[0:3], 0 offset:792
	;; [unrolled: 1-line block ×4, first 2 shown]
	v_fma_f64 v[114:115], v[208:209], v[78:79], -v[54:55]
	v_mul_f64 v[54:55], v[216:217], v[74:75]
	v_fma_f64 v[116:117], v[214:215], v[72:73], -v[54:55]
	buffer_load_dword v208, off, s[0:3], 0 offset:824
	buffer_load_dword v217, off, s[0:3], 0 offset:812
	;; [unrolled: 1-line block ×8, first 2 shown]
	v_mul_f64 v[56:57], v[222:223], v[68:69]
	v_fma_f64 v[6:7], v[220:221], v[70:71], -v[56:57]
	buffer_load_dword v221, off, s[0:3], 0 offset:844
	buffer_load_dword v220, off, s[0:3], 0 offset:840
	;; [unrolled: 1-line block ×4, first 2 shown]
	s_waitcnt vmcnt(54) lgkmcnt(1)
	v_mul_f64 v[54:55], v[46:47], v[168:169]
	s_waitcnt vmcnt(52)
	v_fmac_f64_e32 v[54:55], v[48:49], v[170:171]
	v_add_f64 v[2:3], v[2:3], v[54:55]
	ds_read_b128 v[54:57], v1 offset:1504
	s_waitcnt lgkmcnt(1)
	v_mul_f64 v[8:9], v[50:51], v[150:151]
	v_fmac_f64_e32 v[8:9], v[52:53], v[154:155]
	v_add_f64 v[2:3], v[2:3], v[8:9]
	v_mul_f64 v[8:9], v[226:227], v[66:67]
	v_fma_f64 v[8:9], v[224:225], v[84:85], -v[8:9]
	ds_read_b128 v[224:227], v1 offset:1520
	v_mul_f64 v[70:71], v[238:239], v[86:87]
	v_mul_f64 v[86:87], v[250:251], v[228:229]
	;; [unrolled: 1-line block ×3, first 2 shown]
	v_fma_f64 v[252:253], v[252:253], v[104:105], -v[94:95]
	v_add_f64 v[10:11], v[10:11], 0
	v_add_f64 v[10:11], v[10:11], v[58:59]
	;; [unrolled: 1-line block ×9, first 2 shown]
	v_accvgpr_read_b32 v8, a168
	v_accvgpr_read_b32 v9, a169
	ds_read_b128 v[82:85], v1 offset:1616
	s_waitcnt vmcnt(50) lgkmcnt(2)
	v_mul_f64 v[62:63], v[54:55], v[172:173]
	s_waitcnt vmcnt(48)
	v_fmac_f64_e32 v[62:63], v[56:57], v[176:177]
	v_add_f64 v[2:3], v[2:3], v[62:63]
	v_mul_f64 v[62:63], v[234:235], v[90:91]
	v_fma_f64 v[232:233], v[232:233], v[92:93], -v[62:63]
	ds_read_b128 v[62:65], v1 offset:1536
	s_waitcnt vmcnt(46) lgkmcnt(2)
	v_mul_f64 v[66:67], v[224:225], v[178:179]
	s_waitcnt vmcnt(44)
	v_fmac_f64_e32 v[66:67], v[226:227], v[180:181]
	v_add_f64 v[2:3], v[2:3], v[66:67]
	ds_read_b128 v[66:69], v1 offset:1552
	s_waitcnt vmcnt(41) lgkmcnt(1)
	v_mul_f64 v[74:75], v[62:63], v[184:185]
	v_fma_f64 v[234:235], v[236:237], v[88:89], -v[70:71]
	s_waitcnt vmcnt(39)
	v_fmac_f64_e32 v[74:75], v[64:65], v[188:189]
	ds_read_b128 v[70:73], v1 offset:1568
	v_add_f64 v[2:3], v[2:3], v[74:75]
	v_mul_f64 v[74:75], v[242:243], v[100:101]
	v_fma_f64 v[4:5], v[240:241], v[102:103], -v[74:75]
	ds_read_b128 v[74:77], v1 offset:1584
	s_waitcnt vmcnt(38) lgkmcnt(2)
	v_mul_f64 v[78:79], v[66:67], v[174:175]
	s_waitcnt vmcnt(36)
	v_fmac_f64_e32 v[78:79], v[68:69], v[186:187]
	v_add_f64 v[2:3], v[2:3], v[78:79]
	s_waitcnt vmcnt(33) lgkmcnt(1)
	v_mul_f64 v[12:13], v[70:71], v[192:193]
	ds_read_b128 v[78:81], v1 offset:1600
	s_waitcnt vmcnt(31)
	v_fmac_f64_e32 v[12:13], v[72:73], v[194:195]
	v_add_f64 v[2:3], v[2:3], v[12:13]
	s_waitcnt vmcnt(29) lgkmcnt(1)
	v_mul_f64 v[12:13], v[74:75], v[182:183]
	s_waitcnt vmcnt(28)
	v_fmac_f64_e32 v[12:13], v[76:77], v[190:191]
	v_add_f64 v[2:3], v[2:3], v[12:13]
	v_mul_f64 v[12:13], v[246:247], v[96:97]
	v_fma_f64 v[246:247], v[248:249], v[230:231], -v[86:87]
	ds_read_b128 v[86:89], v1 offset:1632
	ds_read_b128 v[94:97], v1 offset:1664
	s_waitcnt vmcnt(26) lgkmcnt(2)
	v_mul_f64 v[90:91], v[78:79], v[196:197]
	s_waitcnt vmcnt(24)
	v_fmac_f64_e32 v[90:91], v[80:81], v[198:199]
	v_add_f64 v[2:3], v[2:3], v[90:91]
	s_waitcnt vmcnt(22)
	v_mul_f64 v[90:91], v[82:83], v[200:201]
	s_waitcnt vmcnt(20)
	v_fmac_f64_e32 v[90:91], v[84:85], v[204:205]
	v_add_f64 v[2:3], v[2:3], v[90:91]
	s_waitcnt vmcnt(18) lgkmcnt(1)
	v_mul_f64 v[90:91], v[86:87], v[202:203]
	s_waitcnt vmcnt(16)
	v_fmac_f64_e32 v[90:91], v[88:89], v[206:207]
	v_add_f64 v[2:3], v[2:3], v[90:91]
	ds_read_b128 v[90:93], v1 offset:1648
	v_fma_f64 v[12:13], v[244:245], v[98:99], -v[12:13]
	v_mul_f64 v[98:99], v[120:121], v[106:107]
	v_fma_f64 v[250:251], v[118:119], v[108:109], -v[98:99]
	ds_read_b128 v[98:101], v1 offset:1680
	s_waitcnt vmcnt(14) lgkmcnt(1)
	v_mul_f64 v[102:103], v[90:91], v[210:211]
	s_waitcnt vmcnt(12)
	v_fmac_f64_e32 v[102:103], v[92:93], v[60:61]
	v_add_f64 v[2:3], v[2:3], v[102:103]
	s_waitcnt vmcnt(9)
	v_mul_f64 v[102:103], v[94:95], v[216:217]
	s_waitcnt vmcnt(7)
	v_fmac_f64_e32 v[102:103], v[96:97], v[218:219]
	v_add_f64 v[2:3], v[2:3], v[102:103]
	s_waitcnt vmcnt(5) lgkmcnt(0)
	v_mul_f64 v[102:103], v[98:99], v[208:209]
	s_waitcnt vmcnt(4)
	v_fmac_f64_e32 v[102:103], v[100:101], v[214:215]
	v_add_f64 v[2:3], v[2:3], v[102:103]
	ds_read_b128 v[102:105], v1 offset:1696
	v_add_f64 v[6:7], v[6:7], v[232:233]
	v_add_f64 v[6:7], v[6:7], v[234:235]
	v_add_f64 v[4:5], v[6:7], v[4:5]
	v_add_f64 v[4:5], v[4:5], v[12:13]
	s_waitcnt vmcnt(2) lgkmcnt(0)
	v_mul_f64 v[106:107], v[102:103], v[220:221]
	s_waitcnt vmcnt(0)
	v_fmac_f64_e32 v[106:107], v[104:105], v[222:223]
	v_add_f64 v[118:119], v[2:3], v[106:107]
	buffer_load_dword v2, off, s[0:3], 0 offset:856
	buffer_load_dword v3, off, s[0:3], 0 offset:860
	;; [unrolled: 1-line block ×4, first 2 shown]
	ds_read_b128 v[106:109], v1 offset:1712
	buffer_load_dword v237, off, s[0:3], 0 offset:876
	buffer_load_dword v236, off, s[0:3], 0 offset:872
	;; [unrolled: 1-line block ×4, first 2 shown]
	v_add_f64 v[4:5], v[4:5], v[246:247]
	v_accvgpr_read_b32 v6, a166
	v_accvgpr_read_b32 v7, a167
	v_add_f64 v[252:253], v[4:5], v[252:253]
	v_mul_f64 v[6:7], v[132:133], v[6:7]
	v_add_f64 v[4:5], v[252:253], v[250:251]
	v_fma_f64 v[6:7], v[130:131], v[8:9], -v[6:7]
	v_add_f64 v[4:5], v[4:5], v[6:7]
	v_mul_f64 v[6:7], v[128:129], v[140:141]
	v_fma_f64 v[6:7], v[126:127], v[144:145], -v[6:7]
	v_add_f64 v[4:5], v[4:5], v[6:7]
	v_accvgpr_read_b32 v6, a170
	v_accvgpr_read_b32 v7, a171
	;; [unrolled: 1-line block ×3, first 2 shown]
	v_mul_f64 v[6:7], v[124:125], v[6:7]
	v_accvgpr_read_b32 v9, a173
	v_fma_f64 v[6:7], v[122:123], v[8:9], -v[6:7]
	v_add_f64 v[4:5], v[4:5], v[6:7]
	v_mul_f64 v[6:7], v[16:17], v[148:149]
	v_fma_f64 v[6:7], v[14:15], v[152:153], -v[6:7]
	v_add_f64 v[4:5], v[4:5], v[6:7]
	v_accvgpr_read_b32 v6, a174
	v_accvgpr_read_b32 v7, a175
	;; [unrolled: 1-line block ×3, first 2 shown]
	v_mul_f64 v[6:7], v[20:21], v[6:7]
	v_accvgpr_read_b32 v9, a177
	v_fma_f64 v[6:7], v[18:19], v[8:9], -v[6:7]
	v_add_f64 v[4:5], v[4:5], v[6:7]
	v_mul_f64 v[6:7], v[24:25], v[156:157]
	v_fma_f64 v[6:7], v[22:23], v[158:159], -v[6:7]
	v_add_f64 v[4:5], v[4:5], v[6:7]
	v_accvgpr_read_b32 v6, a178
	v_accvgpr_read_b32 v7, a179
	v_mul_f64 v[6:7], v[28:29], v[6:7]
	v_fma_f64 v[6:7], v[26:27], v[134:135], -v[6:7]
	v_add_f64 v[4:5], v[4:5], v[6:7]
	v_mul_f64 v[6:7], v[32:33], v[160:161]
	v_fma_f64 v[6:7], v[30:31], v[162:163], -v[6:7]
	v_add_f64 v[4:5], v[4:5], v[6:7]
	;; [unrolled: 3-line block ×14, first 2 shown]
	s_waitcnt vmcnt(6) lgkmcnt(0)
	v_mul_f64 v[120:121], v[106:107], v[2:3]
	v_mul_f64 v[6:7], v[84:85], v[200:201]
	s_waitcnt vmcnt(4)
	v_fmac_f64_e32 v[120:121], v[108:109], v[254:255]
	v_add_f64 v[228:229], v[118:119], v[120:121]
	ds_read_b128 v[118:121], v1 offset:1728
	buffer_load_dword v242, off, s[0:3], 0 offset:888
	buffer_load_dword v243, off, s[0:3], 0 offset:892
	;; [unrolled: 1-line block ×4, first 2 shown]
	v_fma_f64 v[6:7], v[82:83], v[204:205], -v[6:7]
	v_add_f64 v[4:5], v[4:5], v[6:7]
	v_mul_f64 v[6:7], v[88:89], v[202:203]
	s_waitcnt vmcnt(6) lgkmcnt(0)
	v_mul_f64 v[230:231], v[118:119], v[236:237]
	s_waitcnt vmcnt(4)
	v_fmac_f64_e32 v[230:231], v[120:121], v[238:239]
	v_add_f64 v[240:241], v[228:229], v[230:231]
	ds_read_b128 v[228:231], v1 offset:1744
	v_fma_f64 v[6:7], v[86:87], v[206:207], -v[6:7]
	v_add_f64 v[4:5], v[4:5], v[6:7]
	v_mul_f64 v[6:7], v[92:93], v[210:211]
	v_fma_f64 v[6:7], v[90:91], v[60:61], -v[6:7]
	v_add_f64 v[4:5], v[4:5], v[6:7]
	v_mul_f64 v[6:7], v[96:97], v[216:217]
	;; [unrolled: 3-line block ×4, first 2 shown]
	v_fma_f64 v[6:7], v[102:103], v[222:223], -v[6:7]
	v_mul_f64 v[2:3], v[108:109], v[2:3]
	v_add_f64 v[4:5], v[4:5], v[6:7]
	v_fma_f64 v[2:3], v[106:107], v[254:255], -v[2:3]
	v_add_f64 v[2:3], v[4:5], v[2:3]
	v_mul_f64 v[4:5], v[120:121], v[236:237]
	v_fma_f64 v[4:5], v[118:119], v[238:239], -v[4:5]
	v_add_f64 v[2:3], v[2:3], v[4:5]
	s_waitcnt vmcnt(2) lgkmcnt(0)
	v_mul_f64 v[248:249], v[228:229], v[242:243]
	v_mul_f64 v[4:5], v[230:231], v[242:243]
	s_waitcnt vmcnt(0)
	v_fmac_f64_e32 v[248:249], v[230:231], v[244:245]
	v_add_f64 v[240:241], v[240:241], v[248:249]
	buffer_load_dword v248, off, s[0:3], 0 offset:160
	buffer_load_dword v249, off, s[0:3], 0 offset:164
	;; [unrolled: 1-line block ×4, first 2 shown]
	v_fma_f64 v[4:5], v[228:229], v[244:245], -v[4:5]
	v_add_f64 v[2:3], v[2:3], v[4:5]
	s_waitcnt vmcnt(2)
	v_add_f64 v[2:3], v[248:249], -v[2:3]
	s_waitcnt vmcnt(0)
	v_add_f64 v[4:5], v[246:247], -v[240:241]
	buffer_store_dword v3, off, s[0:3], 0 offset:164
	buffer_store_dword v2, off, s[0:3], 0 offset:160
	;; [unrolled: 1-line block ×4, first 2 shown]
	s_and_saveexec_b64 s[4:5], vcc
	s_cbranch_execz .LBB54_327
; %bb.326:
	v_accvgpr_read_b32 v0, a156
	buffer_load_dword v2, v0, s[0:3], 0 offen
	buffer_load_dword v3, v0, s[0:3], 0 offen offset:4
	buffer_load_dword v4, v0, s[0:3], 0 offen offset:8
	;; [unrolled: 1-line block ×3, first 2 shown]
	v_accvgpr_read_b32 v0, a165
	buffer_store_dword v1, off, s[0:3], 0 offset:144
	buffer_store_dword v1, off, s[0:3], 0 offset:148
	buffer_store_dword v1, off, s[0:3], 0 offset:152
	buffer_store_dword v1, off, s[0:3], 0 offset:156
	s_waitcnt vmcnt(4)
	ds_write_b128 v0, v[2:5]
.LBB54_327:
	s_or_b64 exec, exec, s[4:5]
	s_waitcnt lgkmcnt(0)
	; wave barrier
	s_waitcnt lgkmcnt(0)
	buffer_load_dword v60, off, s[0:3], 0 offset:160
	buffer_load_dword v61, off, s[0:3], 0 offset:164
	;; [unrolled: 1-line block ×42, first 2 shown]
	ds_read_b128 v[114:117], v1 offset:1024
	ds_read_b128 v[182:185], v1 offset:1040
	;; [unrolled: 1-line block ×10, first 2 shown]
	buffer_load_dword v119, off, s[0:3], 0 offset:308
	buffer_load_dword v118, off, s[0:3], 0 offset:304
	ds_read_b128 v[62:65], v1 offset:1184
	buffer_load_dword v101, off, s[0:3], 0 offset:364
	buffer_load_dword v100, off, s[0:3], 0 offset:360
	;; [unrolled: 1-line block ×6, first 2 shown]
	s_waitcnt vmcnt(46) lgkmcnt(10)
	v_mul_f64 v[2:3], v[114:115], v[176:177]
	v_fmac_f64_e32 v[2:3], v[116:117], v[60:61]
	v_add_f64 v[2:3], v[2:3], 0
	s_waitcnt vmcnt(42) lgkmcnt(9)
	v_mul_f64 v[4:5], v[182:183], v[58:59]
	v_fmac_f64_e32 v[4:5], v[184:185], v[50:51]
	v_add_f64 v[2:3], v[2:3], v[4:5]
	buffer_load_dword v249, off, s[0:3], 0 offset:340
	buffer_load_dword v248, off, s[0:3], 0 offset:336
	;; [unrolled: 1-line block ×20, first 2 shown]
	s_waitcnt vmcnt(60) lgkmcnt(8)
	v_mul_f64 v[6:7], v[186:187], v[52:53]
	s_waitcnt vmcnt(58) lgkmcnt(6)
	v_mul_f64 v[10:11], v[200:201], v[68:69]
	s_waitcnt vmcnt(56)
	v_fmac_f64_e32 v[10:11], v[202:203], v[70:71]
	v_mul_f64 v[58:59], v[184:185], v[58:59]
	s_waitcnt vmcnt(54)
	v_mul_f64 v[8:9], v[194:195], v[72:73]
	v_fma_f64 v[216:217], v[182:183], v[50:51], -v[58:59]
	s_waitcnt vmcnt(52) lgkmcnt(4)
	v_mul_f64 v[14:15], v[208:209], v[74:75]
	v_mul_f64 v[50:51], v[188:189], v[52:53]
	s_waitcnt vmcnt(50)
	v_fmac_f64_e32 v[14:15], v[210:211], v[76:77]
	s_waitcnt vmcnt(48)
	v_mul_f64 v[12:13], v[204:205], v[78:79]
	s_waitcnt vmcnt(46) lgkmcnt(2)
	v_mul_f64 v[18:19], v[220:221], v[82:83]
	s_waitcnt vmcnt(43)
	v_mul_f64 v[16:17], v[212:213], v[86:87]
	s_waitcnt vmcnt(41) lgkmcnt(1)
	v_mul_f64 v[20:21], v[54:55], v[80:81]
	s_waitcnt vmcnt(39)
	v_fmac_f64_e32 v[6:7], v[188:189], v[96:97]
	v_add_f64 v[2:3], v[2:3], v[6:7]
	s_waitcnt vmcnt(37)
	v_fmac_f64_e32 v[8:9], v[196:197], v[92:93]
	v_add_f64 v[2:3], v[2:3], v[8:9]
	;; [unrolled: 3-line block ×3, first 2 shown]
	v_add_f64 v[2:3], v[2:3], v[12:13]
	s_waitcnt vmcnt(33)
	v_fmac_f64_e32 v[16:17], v[214:215], v[88:89]
	v_add_f64 v[2:3], v[2:3], v[14:15]
	s_waitcnt vmcnt(32)
	v_fmac_f64_e32 v[18:19], v[222:223], v[84:85]
	v_add_f64 v[2:3], v[2:3], v[16:17]
	v_add_f64 v[2:3], v[2:3], v[18:19]
	v_fma_f64 v[96:97], v[186:187], v[96:97], -v[50:51]
	s_waitcnt vmcnt(26)
	v_fmac_f64_e32 v[20:21], v[56:57], v[118:119]
	v_add_f64 v[2:3], v[2:3], v[20:21]
	v_mul_f64 v[50:51], v[196:197], v[72:73]
	v_mul_f64 v[56:57], v[56:57], v[80:81]
	v_fma_f64 v[118:119], v[54:55], v[118:119], -v[56:57]
	s_waitcnt vmcnt(0)
	v_pk_mov_b32 v[18:19], v[4:5], v[4:5] op_sel:[0,1]
	buffer_load_dword v5, off, s[0:3], 0 offset:452
	buffer_load_dword v4, off, s[0:3], 0 offset:448
	v_accvgpr_write_b32 a169, v19
	v_accvgpr_write_b32 a168, v18
	s_waitcnt vmcnt(0)
	v_pk_mov_b32 v[22:23], v[4:5], v[4:5] op_sel:[0,1]
	buffer_load_dword v5, off, s[0:3], 0 offset:444
	buffer_load_dword v4, off, s[0:3], 0 offset:440
	v_accvgpr_write_b32 a171, v23
	v_accvgpr_write_b32 a170, v22
	s_waitcnt vmcnt(0)
	v_pk_mov_b32 v[14:15], v[4:5], v[4:5] op_sel:[0,1]
	buffer_load_dword v141, off, s[0:3], 0 offset:436
	buffer_load_dword v140, off, s[0:3], 0 offset:432
	buffer_load_dword v5, off, s[0:3], 0 offset:492
	buffer_load_dword v4, off, s[0:3], 0 offset:488
	v_accvgpr_write_b32 a167, v15
	v_accvgpr_write_b32 a166, v14
	s_waitcnt vmcnt(0)
	v_pk_mov_b32 v[26:27], v[4:5], v[4:5] op_sel:[0,1]
	buffer_load_dword v5, off, s[0:3], 0 offset:484
	buffer_load_dword v4, off, s[0:3], 0 offset:480
	v_accvgpr_write_b32 a173, v27
	v_accvgpr_write_b32 a172, v26
	s_waitcnt vmcnt(0)
	v_pk_mov_b32 v[28:29], v[4:5], v[4:5] op_sel:[0,1]
	buffer_load_dword v145, off, s[0:3], 0 offset:476
	buffer_load_dword v144, off, s[0:3], 0 offset:472
	buffer_load_dword v149, off, s[0:3], 0 offset:468
	buffer_load_dword v148, off, s[0:3], 0 offset:464
	buffer_load_dword v5, off, s[0:3], 0 offset:524
	buffer_load_dword v4, off, s[0:3], 0 offset:520
	v_accvgpr_write_b32 a175, v29
	v_accvgpr_write_b32 a174, v28
	s_waitcnt vmcnt(0)
	v_pk_mov_b32 v[34:35], v[4:5], v[4:5] op_sel:[0,1]
	buffer_load_dword v5, off, s[0:3], 0 offset:516
	buffer_load_dword v4, off, s[0:3], 0 offset:512
	v_accvgpr_write_b32 a177, v35
	v_accvgpr_write_b32 a176, v34
	s_waitcnt vmcnt(0)
	v_pk_mov_b32 v[36:37], v[4:5], v[4:5] op_sel:[0,1]
	buffer_load_dword v153, off, s[0:3], 0 offset:508
	buffer_load_dword v152, off, s[0:3], 0 offset:504
	;; [unrolled: 16-line block ×3, first 2 shown]
	buffer_load_dword v163, off, s[0:3], 0 offset:532
	buffer_load_dword v162, off, s[0:3], 0 offset:528
	buffer_load_dword v5, off, s[0:3], 0 offset:588
	buffer_load_dword v4, off, s[0:3], 0 offset:584
	buffer_load_dword v143, off, s[0:3], 0 offset:580
	buffer_load_dword v142, off, s[0:3], 0 offset:576
	buffer_load_dword v165, off, s[0:3], 0 offset:572
	buffer_load_dword v164, off, s[0:3], 0 offset:568
	buffer_load_dword v167, off, s[0:3], 0 offset:564
	buffer_load_dword v166, off, s[0:3], 0 offset:560
	buffer_load_dword v147, off, s[0:3], 0 offset:620
	buffer_load_dword v146, off, s[0:3], 0 offset:616
	buffer_load_dword v151, off, s[0:3], 0 offset:612
	buffer_load_dword v150, off, s[0:3], 0 offset:608
	buffer_load_dword v169, off, s[0:3], 0 offset:604
	buffer_load_dword v168, off, s[0:3], 0 offset:600
	buffer_load_dword v171, off, s[0:3], 0 offset:596
	buffer_load_dword v170, off, s[0:3], 0 offset:592
	buffer_load_dword v155, off, s[0:3], 0 offset:652
	buffer_load_dword v154, off, s[0:3], 0 offset:648
	buffer_load_dword v159, off, s[0:3], 0 offset:644
	buffer_load_dword v158, off, s[0:3], 0 offset:640
	buffer_load_dword v173, off, s[0:3], 0 offset:636
	buffer_load_dword v172, off, s[0:3], 0 offset:632
	buffer_load_dword v175, off, s[0:3], 0 offset:628
	buffer_load_dword v174, off, s[0:3], 0 offset:624
	ds_read_b128 v[224:227], v1 offset:1200
	ds_read_b128 v[232:235], v1 offset:1216
	;; [unrolled: 1-line block ×10, first 2 shown]
	s_waitcnt lgkmcnt(4)
	v_mul_f64 v[8:9], v[252:253], v[106:107]
	v_fmac_f64_e32 v[8:9], v[254:255], v[108:109]
	s_waitcnt lgkmcnt(3)
	v_mul_f64 v[12:13], v[136:137], v[14:15]
	v_fmac_f64_e32 v[12:13], v[138:139], v[140:141]
	;; [unrolled: 3-line block ×4, first 2 shown]
	ds_read_b128 v[120:123], v1 offset:1360
	s_waitcnt lgkmcnt(1)
	v_mul_f64 v[24:25], v[124:125], v[26:27]
	v_fmac_f64_e32 v[24:25], v[126:127], v[28:29]
	v_accvgpr_write_b32 a183, v45
	v_accvgpr_write_b32 a182, v44
	s_waitcnt vmcnt(22)
	v_pk_mov_b32 v[178:179], v[4:5], v[4:5] op_sel:[0,1]
	v_mul_f64 v[4:5], v[62:63], v[94:95]
	v_fmac_f64_e32 v[4:5], v[64:65], v[98:99]
	v_add_f64 v[2:3], v[2:3], v[4:5]
	v_mul_f64 v[4:5], v[224:225], v[104:105]
	v_fmac_f64_e32 v[4:5], v[226:227], v[248:249]
	v_add_f64 v[2:3], v[2:3], v[4:5]
	;; [unrolled: 3-line block ×6, first 2 shown]
	v_add_f64 v[10:11], v[6:7], v[8:9]
	v_add_f64 v[14:15], v[10:11], v[12:13]
	;; [unrolled: 1-line block ×5, first 2 shown]
	ds_read_b128 v[22:25], v1 offset:1376
	s_waitcnt lgkmcnt(1)
	v_mul_f64 v[28:29], v[120:121], v[152:153]
	v_fmac_f64_e32 v[28:29], v[122:123], v[156:157]
	v_add_f64 v[30:31], v[26:27], v[28:29]
	ds_read_b128 v[26:29], v1 offset:1392
	s_waitcnt lgkmcnt(1)
	v_mul_f64 v[32:33], v[22:23], v[34:35]
	v_fmac_f64_e32 v[32:33], v[24:25], v[36:37]
	v_add_f64 v[34:35], v[30:31], v[32:33]
	;; [unrolled: 5-line block ×4, first 2 shown]
	ds_read_b128 v[38:41], v1 offset:1440
	ds_read_b128 v[42:45], v1 offset:1456
	s_waitcnt vmcnt(18) lgkmcnt(2)
	v_mul_f64 v[48:49], v[34:35], v[164:165]
	s_waitcnt vmcnt(16)
	v_fmac_f64_e32 v[48:49], v[36:37], v[166:167]
	v_add_f64 v[46:47], v[46:47], v[48:49]
	s_waitcnt lgkmcnt(1)
	v_mul_f64 v[48:49], v[38:39], v[178:179]
	v_fmac_f64_e32 v[48:49], v[40:41], v[142:143]
	v_add_f64 v[46:47], v[46:47], v[48:49]
	s_waitcnt vmcnt(10) lgkmcnt(0)
	v_mul_f64 v[48:49], v[42:43], v[168:169]
	v_accvgpr_write_b32 a185, v179
	s_waitcnt vmcnt(8)
	v_fmac_f64_e32 v[48:49], v[44:45], v[170:171]
	v_accvgpr_write_b32 a184, v178
	v_add_f64 v[2:3], v[46:47], v[48:49]
	ds_read_b128 v[46:49], v1 offset:1472
	v_mul_f64 v[4:5], v[116:117], v[176:177]
	buffer_load_dword v177, off, s[0:3], 0 offset:668
	buffer_load_dword v176, off, s[0:3], 0 offset:664
	;; [unrolled: 1-line block ×16, first 2 shown]
	v_fma_f64 v[14:15], v[194:195], v[92:93], -v[50:51]
	buffer_load_dword v184, off, s[0:3], 0 offset:744
	buffer_load_dword v197, off, s[0:3], 0 offset:732
	;; [unrolled: 1-line block ×8, first 2 shown]
	v_mul_f64 v[8:9], v[202:203], v[68:69]
	v_fma_f64 v[10:11], v[200:201], v[70:71], -v[8:9]
	buffer_load_dword v201, off, s[0:3], 0 offset:764
	buffer_load_dword v200, off, s[0:3], 0 offset:760
	;; [unrolled: 1-line block ×4, first 2 shown]
	v_mul_f64 v[12:13], v[210:211], v[74:75]
	v_mul_f64 v[50:51], v[206:207], v[78:79]
	v_fma_f64 v[12:13], v[208:209], v[76:77], -v[12:13]
	buffer_load_dword v206, off, s[0:3], 0 offset:776
	buffer_load_dword v208, off, s[0:3], 0 offset:768
	;; [unrolled: 1-line block ×4, first 2 shown]
	v_fma_f64 v[8:9], v[204:205], v[90:91], -v[50:51]
	v_mul_f64 v[50:51], v[214:215], v[86:87]
	v_fma_f64 v[6:7], v[212:213], v[88:89], -v[50:51]
	buffer_load_dword v205, off, s[0:3], 0 offset:812
	buffer_load_dword v211, off, s[0:3], 0 offset:796
	;; [unrolled: 1-line block ×12, first 2 shown]
	v_mul_f64 v[16:17], v[222:223], v[82:83]
	ds_read_b128 v[50:53], v1 offset:1488
	v_fma_f64 v[16:17], v[220:221], v[84:85], -v[16:17]
	buffer_load_dword v220, off, s[0:3], 0 offset:840
	buffer_load_dword v222, off, s[0:3], 0 offset:832
	;; [unrolled: 1-line block ×4, first 2 shown]
	ds_read_b128 v[54:57], v1 offset:1504
	s_waitcnt lgkmcnt(2)
	v_mul_f64 v[58:59], v[46:47], v[146:147]
	v_fmac_f64_e32 v[58:59], v[48:49], v[150:151]
	v_add_f64 v[2:3], v[2:3], v[58:59]
	s_waitcnt vmcnt(50) lgkmcnt(1)
	v_mul_f64 v[58:59], v[50:51], v[172:173]
	s_waitcnt vmcnt(48)
	v_fmac_f64_e32 v[58:59], v[52:53], v[174:175]
	v_mul_f64 v[64:65], v[64:65], v[94:95]
	v_add_f64 v[2:3], v[2:3], v[58:59]
	v_fma_f64 v[94:95], v[62:63], v[98:99], -v[64:65]
	ds_read_b128 v[62:65], v1 offset:1536
	s_waitcnt lgkmcnt(1)
	v_mul_f64 v[58:59], v[54:55], v[154:155]
	v_fmac_f64_e32 v[58:59], v[56:57], v[158:159]
	v_fma_f64 v[18:19], v[114:115], v[60:61], -v[4:5]
	v_add_f64 v[2:3], v[2:3], v[58:59]
	ds_read_b128 v[58:61], v1 offset:1520
	v_mul_f64 v[74:75], v[234:235], v[100:101]
	v_fma_f64 v[232:233], v[232:233], v[102:103], -v[74:75]
	ds_read_b128 v[74:77], v1 offset:1584
	v_mul_f64 v[86:87], v[242:243], v[110:111]
	v_fma_f64 v[4:5], v[240:241], v[112:113], -v[86:87]
	v_add_f64 v[18:19], v[18:19], 0
	v_add_f64 v[18:19], v[18:19], v[216:217]
	;; [unrolled: 1-line block ×11, first 2 shown]
	ds_read_b128 v[86:89], v1 offset:1632
	ds_read_b128 v[90:93], v1 offset:1648
	;; [unrolled: 1-line block ×3, first 2 shown]
	s_waitcnt vmcnt(46) lgkmcnt(4)
	v_mul_f64 v[70:71], v[58:59], v[176:177]
	s_waitcnt vmcnt(44)
	v_fmac_f64_e32 v[70:71], v[60:61], v[180:181]
	v_add_f64 v[2:3], v[2:3], v[70:71]
	v_mul_f64 v[70:71], v[226:227], v[104:105]
	v_fma_f64 v[248:249], v[224:225], v[248:249], -v[70:71]
	ds_read_b128 v[224:227], v1 offset:1552
	s_waitcnt vmcnt(41)
	v_mul_f64 v[70:71], v[62:63], v[178:179]
	s_waitcnt vmcnt(40)
	v_fmac_f64_e32 v[70:71], v[64:65], v[182:183]
	v_add_f64 v[2:3], v[2:3], v[70:71]
	ds_read_b128 v[70:73], v1 offset:1568
	s_waitcnt vmcnt(38) lgkmcnt(1)
	v_mul_f64 v[78:79], v[224:225], v[186:187]
	s_waitcnt vmcnt(36)
	v_fmac_f64_e32 v[78:79], v[226:227], v[190:191]
	v_add_f64 v[2:3], v[2:3], v[78:79]
	v_mul_f64 v[78:79], v[238:239], v[250:251]
	v_fma_f64 v[250:251], v[236:237], v[228:229], -v[78:79]
	ds_read_b128 v[78:81], v1 offset:1600
	s_waitcnt vmcnt(34) lgkmcnt(1)
	v_mul_f64 v[82:83], v[70:71], v[188:189]
	s_waitcnt vmcnt(32)
	v_fmac_f64_e32 v[82:83], v[72:73], v[192:193]
	v_add_f64 v[2:3], v[2:3], v[82:83]
	s_waitcnt vmcnt(29)
	v_mul_f64 v[82:83], v[74:75], v[196:197]
	s_waitcnt vmcnt(27)
	v_fmac_f64_e32 v[82:83], v[76:77], v[198:199]
	v_add_f64 v[2:3], v[2:3], v[82:83]
	s_waitcnt vmcnt(25) lgkmcnt(0)
	v_mul_f64 v[82:83], v[78:79], v[184:185]
	s_waitcnt vmcnt(24)
	v_fmac_f64_e32 v[82:83], v[80:81], v[194:195]
	v_add_f64 v[2:3], v[2:3], v[82:83]
	ds_read_b128 v[82:85], v1 offset:1616
	ds_read_b128 v[102:105], v1 offset:1696
	v_add_f64 v[6:7], v[6:7], v[248:249]
	v_add_f64 v[6:7], v[6:7], v[232:233]
	;; [unrolled: 1-line block ×3, first 2 shown]
	s_waitcnt vmcnt(22) lgkmcnt(1)
	v_mul_f64 v[20:21], v[82:83], v[200:201]
	s_waitcnt vmcnt(20)
	v_fmac_f64_e32 v[20:21], v[84:85], v[202:203]
	v_add_f64 v[2:3], v[2:3], v[20:21]
	v_mul_f64 v[20:21], v[246:247], v[230:231]
	v_fma_f64 v[66:67], v[244:245], v[66:67], -v[20:21]
	s_waitcnt vmcnt(17)
	v_mul_f64 v[20:21], v[86:87], v[206:207]
	ds_read_b128 v[228:231], v1 offset:1664
	s_waitcnt vmcnt(16)
	v_fmac_f64_e32 v[20:21], v[88:89], v[208:209]
	v_add_f64 v[2:3], v[2:3], v[20:21]
	v_mul_f64 v[20:21], v[254:255], v[106:107]
	v_fma_f64 v[252:253], v[252:253], v[108:109], -v[20:21]
	s_waitcnt vmcnt(13)
	v_mul_f64 v[20:21], v[90:91], v[210:211]
	s_waitcnt vmcnt(11)
	v_fmac_f64_e32 v[20:21], v[92:93], v[68:69]
	v_add_f64 v[2:3], v[2:3], v[20:21]
	s_waitcnt vmcnt(10) lgkmcnt(0)
	v_mul_f64 v[20:21], v[228:229], v[204:205]
	s_waitcnt vmcnt(8)
	v_fmac_f64_e32 v[20:21], v[230:231], v[214:215]
	v_add_f64 v[2:3], v[2:3], v[20:21]
	s_waitcnt vmcnt(6)
	v_mul_f64 v[20:21], v[98:99], v[212:213]
	s_waitcnt vmcnt(4)
	v_fmac_f64_e32 v[20:21], v[100:101], v[218:219]
	v_add_f64 v[2:3], v[2:3], v[20:21]
	s_waitcnt vmcnt(1)
	v_mul_f64 v[20:21], v[102:103], v[220:221]
	s_waitcnt vmcnt(0)
	v_fmac_f64_e32 v[20:21], v[104:105], v[222:223]
	v_add_f64 v[20:21], v[2:3], v[20:21]
	buffer_load_dword v3, off, s[0:3], 0 offset:860
	buffer_load_dword v2, off, s[0:3], 0 offset:856
	;; [unrolled: 1-line block ×4, first 2 shown]
	ds_read_b128 v[106:109], v1 offset:1712
	buffer_load_dword v236, off, s[0:3], 0 offset:872
	buffer_load_dword v237, off, s[0:3], 0 offset:876
	;; [unrolled: 1-line block ×4, first 2 shown]
	v_add_f64 v[254:255], v[6:7], v[4:5]
	v_add_f64 v[4:5], v[254:255], v[66:67]
	;; [unrolled: 1-line block ×3, first 2 shown]
	s_waitcnt vmcnt(6) lgkmcnt(0)
	v_mul_f64 v[110:111], v[106:107], v[2:3]
	v_mul_f64 v[2:3], v[108:109], v[2:3]
	s_waitcnt vmcnt(4)
	v_fmac_f64_e32 v[110:111], v[108:109], v[234:235]
	v_add_f64 v[20:21], v[20:21], v[110:111]
	ds_read_b128 v[110:113], v1 offset:1728
	buffer_load_dword v243, off, s[0:3], 0 offset:892
	buffer_load_dword v242, off, s[0:3], 0 offset:888
	;; [unrolled: 1-line block ×4, first 2 shown]
	v_fma_f64 v[2:3], v[106:107], v[234:235], -v[2:3]
	s_waitcnt vmcnt(6) lgkmcnt(0)
	v_mul_f64 v[114:115], v[110:111], v[236:237]
	s_waitcnt vmcnt(4)
	v_fmac_f64_e32 v[114:115], v[112:113], v[238:239]
	v_add_f64 v[20:21], v[20:21], v[114:115]
	ds_read_b128 v[114:117], v1 offset:1744
	buffer_load_dword v248, off, s[0:3], 0 offset:144
	buffer_load_dword v249, off, s[0:3], 0 offset:148
	;; [unrolled: 1-line block ×4, first 2 shown]
	v_accvgpr_read_b32 v0, a166
	v_accvgpr_read_b32 v1, a167
	v_mul_f64 v[6:7], v[138:139], v[0:1]
	v_accvgpr_read_b32 v0, a168
	v_fma_f64 v[6:7], v[136:137], v[140:141], -v[6:7]
	v_accvgpr_read_b32 v1, a169
	v_add_f64 v[4:5], v[4:5], v[6:7]
	v_mul_f64 v[6:7], v[134:135], v[0:1]
	v_accvgpr_read_b32 v0, a170
	v_accvgpr_read_b32 v1, a171
	v_fma_f64 v[6:7], v[132:133], v[0:1], -v[6:7]
	v_add_f64 v[4:5], v[4:5], v[6:7]
	v_mul_f64 v[6:7], v[130:131], v[144:145]
	v_accvgpr_read_b32 v0, a172
	v_fma_f64 v[6:7], v[128:129], v[148:149], -v[6:7]
	v_accvgpr_read_b32 v1, a173
	v_add_f64 v[4:5], v[4:5], v[6:7]
	v_mul_f64 v[6:7], v[126:127], v[0:1]
	v_accvgpr_read_b32 v0, a174
	v_accvgpr_read_b32 v1, a175
	v_fma_f64 v[6:7], v[124:125], v[0:1], -v[6:7]
	v_add_f64 v[4:5], v[4:5], v[6:7]
	;; [unrolled: 10-line block ×4, first 2 shown]
	v_mul_f64 v[6:7], v[36:37], v[164:165]
	v_accvgpr_read_b32 v0, a184
	v_fma_f64 v[6:7], v[34:35], v[166:167], -v[6:7]
	v_accvgpr_read_b32 v1, a185
	v_add_f64 v[4:5], v[4:5], v[6:7]
	v_mul_f64 v[6:7], v[40:41], v[0:1]
	v_fma_f64 v[6:7], v[38:39], v[142:143], -v[6:7]
	v_add_f64 v[4:5], v[4:5], v[6:7]
	v_mul_f64 v[6:7], v[44:45], v[168:169]
	v_fma_f64 v[6:7], v[42:43], v[170:171], -v[6:7]
	v_add_f64 v[4:5], v[4:5], v[6:7]
	v_mul_f64 v[6:7], v[48:49], v[146:147]
	v_fma_f64 v[6:7], v[46:47], v[150:151], -v[6:7]
	v_add_f64 v[4:5], v[4:5], v[6:7]
	v_mul_f64 v[6:7], v[52:53], v[172:173]
	v_fma_f64 v[6:7], v[50:51], v[174:175], -v[6:7]
	v_add_f64 v[4:5], v[4:5], v[6:7]
	v_mul_f64 v[6:7], v[56:57], v[154:155]
	v_fma_f64 v[6:7], v[54:55], v[158:159], -v[6:7]
	v_add_f64 v[4:5], v[4:5], v[6:7]
	v_mul_f64 v[6:7], v[60:61], v[176:177]
	v_fma_f64 v[6:7], v[58:59], v[180:181], -v[6:7]
	v_add_f64 v[4:5], v[4:5], v[6:7]
	v_mul_f64 v[6:7], v[64:65], v[178:179]
	v_fma_f64 v[6:7], v[62:63], v[182:183], -v[6:7]
	v_add_f64 v[4:5], v[4:5], v[6:7]
	v_mul_f64 v[6:7], v[226:227], v[186:187]
	v_fma_f64 v[6:7], v[224:225], v[190:191], -v[6:7]
	v_add_f64 v[4:5], v[4:5], v[6:7]
	v_mul_f64 v[6:7], v[72:73], v[188:189]
	v_fma_f64 v[6:7], v[70:71], v[192:193], -v[6:7]
	v_add_f64 v[4:5], v[4:5], v[6:7]
	v_mul_f64 v[6:7], v[76:77], v[196:197]
	v_fma_f64 v[6:7], v[74:75], v[198:199], -v[6:7]
	v_add_f64 v[4:5], v[4:5], v[6:7]
	v_mul_f64 v[6:7], v[80:81], v[184:185]
	v_fma_f64 v[6:7], v[78:79], v[194:195], -v[6:7]
	v_add_f64 v[4:5], v[4:5], v[6:7]
	v_mul_f64 v[6:7], v[84:85], v[200:201]
	v_fma_f64 v[6:7], v[82:83], v[202:203], -v[6:7]
	v_add_f64 v[4:5], v[4:5], v[6:7]
	v_mul_f64 v[6:7], v[88:89], v[206:207]
	v_fma_f64 v[6:7], v[86:87], v[208:209], -v[6:7]
	v_add_f64 v[4:5], v[4:5], v[6:7]
	v_mul_f64 v[6:7], v[92:93], v[210:211]
	v_fma_f64 v[6:7], v[90:91], v[68:69], -v[6:7]
	v_add_f64 v[4:5], v[4:5], v[6:7]
	v_mul_f64 v[6:7], v[230:231], v[204:205]
	v_fma_f64 v[6:7], v[228:229], v[214:215], -v[6:7]
	v_add_f64 v[4:5], v[4:5], v[6:7]
	v_mul_f64 v[6:7], v[100:101], v[212:213]
	v_fma_f64 v[6:7], v[98:99], v[218:219], -v[6:7]
	v_add_f64 v[4:5], v[4:5], v[6:7]
	v_mul_f64 v[6:7], v[104:105], v[220:221]
	v_fma_f64 v[6:7], v[102:103], v[222:223], -v[6:7]
	v_add_f64 v[4:5], v[4:5], v[6:7]
	v_add_f64 v[2:3], v[4:5], v[2:3]
	v_mul_f64 v[4:5], v[112:113], v[236:237]
	v_fma_f64 v[4:5], v[110:111], v[238:239], -v[4:5]
	v_add_f64 v[2:3], v[2:3], v[4:5]
	s_waitcnt vmcnt(6) lgkmcnt(0)
	v_mul_f64 v[4:5], v[116:117], v[242:243]
	v_mul_f64 v[240:241], v[114:115], v[242:243]
	s_waitcnt vmcnt(4)
	v_fma_f64 v[4:5], v[114:115], v[244:245], -v[4:5]
	v_fmac_f64_e32 v[240:241], v[116:117], v[244:245]
	v_add_f64 v[2:3], v[2:3], v[4:5]
	v_accvgpr_read_b32 v0, a164
	v_add_f64 v[240:241], v[20:21], v[240:241]
	s_waitcnt vmcnt(2)
	v_add_f64 v[2:3], v[248:249], -v[2:3]
	v_cmp_lt_u32_e32 vcc, 7, v0
	s_waitcnt vmcnt(0)
	v_add_f64 v[4:5], v[246:247], -v[240:241]
	buffer_store_dword v3, off, s[0:3], 0 offset:148
	buffer_store_dword v2, off, s[0:3], 0 offset:144
	;; [unrolled: 1-line block ×4, first 2 shown]
	s_and_saveexec_b64 s[4:5], vcc
	s_cbranch_execz .LBB54_329
; %bb.328:
	v_accvgpr_read_b32 v0, a157
	buffer_load_dword v2, v0, s[0:3], 0 offen
	buffer_load_dword v3, v0, s[0:3], 0 offen offset:4
	buffer_load_dword v4, v0, s[0:3], 0 offen offset:8
	buffer_load_dword v5, v0, s[0:3], 0 offen offset:12
	v_mov_b32_e32 v0, 0
	v_accvgpr_read_b32 v1, a165
	buffer_store_dword v0, off, s[0:3], 0 offset:128
	buffer_store_dword v0, off, s[0:3], 0 offset:132
	;; [unrolled: 1-line block ×4, first 2 shown]
	s_waitcnt vmcnt(4)
	ds_write_b128 v1, v[2:5]
.LBB54_329:
	s_or_b64 exec, exec, s[4:5]
	s_waitcnt lgkmcnt(0)
	; wave barrier
	s_waitcnt lgkmcnt(0)
	buffer_load_dword v48, off, s[0:3], 0 offset:144
	buffer_load_dword v49, off, s[0:3], 0 offset:148
	buffer_load_dword v52, off, s[0:3], 0 offset:152
	buffer_load_dword v53, off, s[0:3], 0 offset:156
	buffer_load_dword v174, off, s[0:3], 0 offset:160
	buffer_load_dword v175, off, s[0:3], 0 offset:164
	buffer_load_dword v54, off, s[0:3], 0 offset:168
	buffer_load_dword v55, off, s[0:3], 0 offset:172
	buffer_load_dword v46, off, s[0:3], 0 offset:184
	buffer_load_dword v47, off, s[0:3], 0 offset:188
	buffer_load_dword v63, off, s[0:3], 0 offset:220
	buffer_load_dword v62, off, s[0:3], 0 offset:216
	buffer_load_dword v57, off, s[0:3], 0 offset:212
	buffer_load_dword v56, off, s[0:3], 0 offset:208
	buffer_load_dword v65, off, s[0:3], 0 offset:204
	buffer_load_dword v64, off, s[0:3], 0 offset:200
	buffer_load_dword v67, off, s[0:3], 0 offset:252
	buffer_load_dword v66, off, s[0:3], 0 offset:248
	buffer_load_dword v69, off, s[0:3], 0 offset:244
	buffer_load_dword v68, off, s[0:3], 0 offset:240
	buffer_load_dword v71, off, s[0:3], 0 offset:236
	buffer_load_dword v70, off, s[0:3], 0 offset:232
	buffer_load_dword v77, off, s[0:3], 0 offset:284
	buffer_load_dword v76, off, s[0:3], 0 offset:280
	buffer_load_dword v74, off, s[0:3], 0 offset:272
	buffer_load_dword v79, off, s[0:3], 0 offset:268
	buffer_load_dword v78, off, s[0:3], 0 offset:264
	buffer_load_dword v73, off, s[0:3], 0 offset:300
	buffer_load_dword v72, off, s[0:3], 0 offset:296
	buffer_load_dword v90, off, s[0:3], 0 offset:176
	buffer_load_dword v91, off, s[0:3], 0 offset:180
	buffer_load_dword v89, off, s[0:3], 0 offset:196
	buffer_load_dword v88, off, s[0:3], 0 offset:192
	buffer_load_dword v83, off, s[0:3], 0 offset:228
	buffer_load_dword v82, off, s[0:3], 0 offset:224
	buffer_load_dword v81, off, s[0:3], 0 offset:260
	buffer_load_dword v80, off, s[0:3], 0 offset:256
	buffer_load_dword v75, off, s[0:3], 0 offset:276
	buffer_load_dword v84, off, s[0:3], 0 offset:312
	buffer_load_dword v86, off, s[0:3], 0 offset:304
	buffer_load_dword v87, off, s[0:3], 0 offset:308
	buffer_load_dword v85, off, s[0:3], 0 offset:316
	v_mov_b32_e32 v1, 0
	buffer_load_dword v99, off, s[0:3], 0 offset:292
	buffer_load_dword v98, off, s[0:3], 0 offset:288
	;; [unrolled: 1-line block ×7, first 2 shown]
	ds_read_b128 v[112:115], v1 offset:1008
	ds_read_b128 v[116:119], v1 offset:1024
	;; [unrolled: 1-line block ×11, first 2 shown]
	v_accvgpr_read_b32 v0, a164
	v_cmp_lt_u32_e32 vcc, 6, v0
	s_waitcnt vmcnt(45) lgkmcnt(10)
	v_mul_f64 v[2:3], v[112:113], v[52:53]
	v_fmac_f64_e32 v[2:3], v[114:115], v[48:49]
	v_add_f64 v[2:3], v[2:3], 0
	s_waitcnt vmcnt(41) lgkmcnt(9)
	v_mul_f64 v[4:5], v[116:117], v[54:55]
	v_fmac_f64_e32 v[4:5], v[118:119], v[174:175]
	v_add_f64 v[2:3], v[2:3], v[4:5]
	buffer_load_dword v96, off, s[0:3], 0 offset:328
	buffer_load_dword v253, off, s[0:3], 0 offset:324
	;; [unrolled: 1-line block ×21, first 2 shown]
	s_waitcnt vmcnt(60) lgkmcnt(8)
	v_mul_f64 v[6:7], v[180:181], v[46:47]
	s_waitcnt vmcnt(58) lgkmcnt(6)
	v_mul_f64 v[10:11], v[190:191], v[62:63]
	s_waitcnt vmcnt(56)
	v_fmac_f64_e32 v[10:11], v[192:193], v[56:57]
	v_mul_f64 v[46:47], v[182:183], v[46:47]
	s_waitcnt vmcnt(54)
	v_mul_f64 v[8:9], v[184:185], v[64:65]
	s_waitcnt vmcnt(52) lgkmcnt(4)
	v_mul_f64 v[14:15], v[200:201], v[66:67]
	s_waitcnt vmcnt(50)
	v_fmac_f64_e32 v[14:15], v[202:203], v[68:69]
	s_waitcnt vmcnt(48)
	v_mul_f64 v[12:13], v[196:197], v[70:71]
	s_waitcnt vmcnt(46) lgkmcnt(2)
	v_mul_f64 v[18:19], v[214:215], v[76:77]
	s_waitcnt vmcnt(43)
	v_mul_f64 v[16:17], v[204:205], v[78:79]
	s_waitcnt vmcnt(41) lgkmcnt(1)
	v_mul_f64 v[20:21], v[220:221], v[72:73]
	s_waitcnt vmcnt(39)
	v_fmac_f64_e32 v[6:7], v[182:183], v[90:91]
	v_add_f64 v[2:3], v[2:3], v[6:7]
	s_waitcnt vmcnt(37)
	v_fmac_f64_e32 v[8:9], v[186:187], v[88:89]
	v_add_f64 v[2:3], v[2:3], v[8:9]
	;; [unrolled: 3-line block ×3, first 2 shown]
	v_add_f64 v[2:3], v[2:3], v[12:13]
	v_add_f64 v[2:3], v[2:3], v[14:15]
	s_waitcnt vmcnt(33)
	v_fmac_f64_e32 v[16:17], v[206:207], v[80:81]
	v_add_f64 v[2:3], v[2:3], v[16:17]
	s_waitcnt vmcnt(32)
	v_fmac_f64_e32 v[18:19], v[216:217], v[74:75]
	;; [unrolled: 3-line block ×3, first 2 shown]
	v_add_f64 v[2:3], v[2:3], v[20:21]
	s_waitcnt vmcnt(0)
	v_pk_mov_b32 v[14:15], v[4:5], v[4:5] op_sel:[0,1]
	buffer_load_dword v5, off, s[0:3], 0 offset:436
	buffer_load_dword v4, off, s[0:3], 0 offset:432
	v_accvgpr_write_b32 a167, v15
	v_accvgpr_write_b32 a166, v14
	s_waitcnt vmcnt(0)
	v_pk_mov_b32 v[16:17], v[4:5], v[4:5] op_sel:[0,1]
	buffer_load_dword v105, off, s[0:3], 0 offset:428
	buffer_load_dword v104, off, s[0:3], 0 offset:424
	buffer_load_dword v107, off, s[0:3], 0 offset:420
	buffer_load_dword v106, off, s[0:3], 0 offset:416
	buffer_load_dword v5, off, s[0:3], 0 offset:476
	buffer_load_dword v4, off, s[0:3], 0 offset:472
	v_accvgpr_write_b32 a169, v17
	v_accvgpr_write_b32 a168, v16
	s_waitcnt vmcnt(0)
	v_pk_mov_b32 v[22:23], v[4:5], v[4:5] op_sel:[0,1]
	buffer_load_dword v5, off, s[0:3], 0 offset:468
	buffer_load_dword v4, off, s[0:3], 0 offset:464
	v_accvgpr_write_b32 a171, v23
	v_accvgpr_write_b32 a170, v22
	s_waitcnt vmcnt(0)
	v_pk_mov_b32 v[24:25], v[4:5], v[4:5] op_sel:[0,1]
	buffer_load_dword v141, off, s[0:3], 0 offset:460
	buffer_load_dword v140, off, s[0:3], 0 offset:456
	buffer_load_dword v145, off, s[0:3], 0 offset:452
	buffer_load_dword v144, off, s[0:3], 0 offset:448
	buffer_load_dword v5, off, s[0:3], 0 offset:508
	buffer_load_dword v4, off, s[0:3], 0 offset:504
	v_accvgpr_write_b32 a173, v25
	v_accvgpr_write_b32 a172, v24
	;; [unrolled: 16-line block ×4, first 2 shown]
	s_waitcnt vmcnt(0)
	v_pk_mov_b32 v[178:179], v[4:5], v[4:5] op_sel:[0,1]
	buffer_load_dword v5, off, s[0:3], 0 offset:564
	buffer_load_dword v4, off, s[0:3], 0 offset:560
	;; [unrolled: 1-line block ×22, first 2 shown]
	ds_read_b128 v[224:227], v1 offset:1184
	ds_read_b128 v[228:231], v1 offset:1200
	;; [unrolled: 1-line block ×12, first 2 shown]
	s_waitcnt lgkmcnt(5)
	v_mul_f64 v[8:9], v[248:249], v[104:105]
	v_fmac_f64_e32 v[8:9], v[250:251], v[106:107]
	s_waitcnt lgkmcnt(4)
	v_mul_f64 v[12:13], v[136:137], v[14:15]
	v_fmac_f64_e32 v[12:13], v[138:139], v[16:17]
	;; [unrolled: 3-line block ×6, first 2 shown]
	v_accvgpr_write_b32 a183, v179
	v_accvgpr_write_b32 a182, v178
	s_waitcnt vmcnt(20)
	v_pk_mov_b32 v[188:189], v[4:5], v[4:5] op_sel:[0,1]
	v_mul_f64 v[4:5], v[58:59], v[84:85]
	v_fmac_f64_e32 v[4:5], v[60:61], v[86:87]
	v_add_f64 v[2:3], v[2:3], v[4:5]
	v_mul_f64 v[4:5], v[224:225], v[96:97]
	v_fmac_f64_e32 v[4:5], v[226:227], v[252:253]
	v_add_f64 v[2:3], v[2:3], v[4:5]
	;; [unrolled: 3-line block ×7, first 2 shown]
	v_add_f64 v[10:11], v[6:7], v[8:9]
	v_add_f64 v[14:15], v[10:11], v[12:13]
	;; [unrolled: 1-line block ×5, first 2 shown]
	ds_read_b128 v[22:25], v1 offset:1376
	v_add_f64 v[30:31], v[26:27], v[28:29]
	ds_read_b128 v[26:29], v1 offset:1392
	v_mul_f64 v[4:5], v[114:115], v[52:53]
	v_fma_f64 v[18:19], v[112:113], v[48:49], -v[4:5]
	s_waitcnt lgkmcnt(1)
	v_mul_f64 v[32:33], v[22:23], v[156:157]
	v_fmac_f64_e32 v[32:33], v[24:25], v[158:159]
	s_waitcnt lgkmcnt(0)
	v_mul_f64 v[36:37], v[26:27], v[38:39]
	v_add_f64 v[34:35], v[30:31], v[32:33]
	ds_read_b128 v[30:33], v1 offset:1408
	v_fmac_f64_e32 v[36:37], v[28:29], v[40:41]
	v_add_f64 v[38:39], v[34:35], v[36:37]
	ds_read_b128 v[34:37], v1 offset:1424
	v_mul_f64 v[48:49], v[118:119], v[54:55]
	s_waitcnt vmcnt(18) lgkmcnt(1)
	v_mul_f64 v[40:41], v[30:31], v[160:161]
	s_waitcnt vmcnt(16)
	v_fmac_f64_e32 v[40:41], v[32:33], v[162:163]
	v_add_f64 v[42:43], v[38:39], v[40:41]
	s_waitcnt lgkmcnt(0)
	v_mul_f64 v[44:45], v[34:35], v[178:179]
	v_fmac_f64_e32 v[44:45], v[36:37], v[188:189]
	ds_read_b128 v[38:41], v1 offset:1440
	v_add_f64 v[2:3], v[42:43], v[44:45]
	ds_read_b128 v[42:45], v1 offset:1456
	v_fma_f64 v[114:115], v[116:117], v[174:175], -v[48:49]
	buffer_load_dword v119, off, s[0:3], 0 offset:652
	buffer_load_dword v118, off, s[0:3], 0 offset:648
	;; [unrolled: 1-line block ×8, first 2 shown]
	v_fma_f64 v[116:117], v[180:181], v[90:91], -v[46:47]
	v_mul_f64 v[46:47], v[186:187], v[64:65]
	v_fma_f64 v[14:15], v[184:185], v[88:89], -v[46:47]
	buffer_load_dword v181, off, s[0:3], 0 offset:700
	buffer_load_dword v185, off, s[0:3], 0 offset:684
	;; [unrolled: 1-line block ×6, first 2 shown]
	v_accvgpr_write_b32 a184, v188
	v_accvgpr_write_b32 a185, v189
	buffer_load_dword v189, off, s[0:3], 0 offset:692
	buffer_load_dword v188, off, s[0:3], 0 offset:688
	v_mul_f64 v[8:9], v[192:193], v[62:63]
	v_fma_f64 v[10:11], v[190:191], v[56:57], -v[8:9]
	buffer_load_dword v182, off, s[0:3], 0 offset:728
	buffer_load_dword v193, off, s[0:3], 0 offset:716
	;; [unrolled: 1-line block ×8, first 2 shown]
	v_mul_f64 v[54:55], v[198:199], v[70:71]
	ds_read_b128 v[46:49], v1 offset:1472
	v_fma_f64 v[8:9], v[196:197], v[82:83], -v[54:55]
	buffer_load_dword v197, off, s[0:3], 0 offset:748
	buffer_load_dword v196, off, s[0:3], 0 offset:744
	;; [unrolled: 1-line block ×4, first 2 shown]
	v_mul_f64 v[12:13], v[202:203], v[66:67]
	v_fma_f64 v[12:13], v[200:201], v[68:69], -v[12:13]
	buffer_load_dword v200, off, s[0:3], 0 offset:760
	buffer_load_dword v202, off, s[0:3], 0 offset:752
	;; [unrolled: 1-line block ×4, first 2 shown]
	v_mul_f64 v[54:55], v[206:207], v[78:79]
	buffer_load_dword v207, off, s[0:3], 0 offset:780
	buffer_load_dword v206, off, s[0:3], 0 offset:776
	;; [unrolled: 1-line block ×8, first 2 shown]
	v_mul_f64 v[16:17], v[216:217], v[76:77]
	v_fma_f64 v[6:7], v[204:205], v[80:81], -v[54:55]
	v_fma_f64 v[16:17], v[214:215], v[74:75], -v[16:17]
	buffer_load_dword v204, off, s[0:3], 0 offset:824
	buffer_load_dword v217, off, s[0:3], 0 offset:812
	;; [unrolled: 1-line block ×8, first 2 shown]
	v_mul_f64 v[56:57], v[222:223], v[72:73]
	s_waitcnt vmcnt(58) lgkmcnt(2)
	v_mul_f64 v[112:113], v[38:39], v[164:165]
	v_fma_f64 v[4:5], v[220:221], v[98:99], -v[56:57]
	ds_read_b128 v[220:223], v1 offset:1488
	s_waitcnt vmcnt(56)
	v_fmac_f64_e32 v[112:113], v[40:41], v[166:167]
	s_waitcnt lgkmcnt(2)
	v_mul_f64 v[54:55], v[42:43], v[142:143]
	v_add_f64 v[2:3], v[2:3], v[112:113]
	v_fmac_f64_e32 v[54:55], v[44:45], v[146:147]
	v_add_f64 v[2:3], v[2:3], v[54:55]
	ds_read_b128 v[54:57], v1 offset:1504
	s_waitcnt vmcnt(50) lgkmcnt(2)
	v_mul_f64 v[20:21], v[46:47], v[168:169]
	s_waitcnt vmcnt(48)
	v_fmac_f64_e32 v[20:21], v[48:49], v[170:171]
	v_add_f64 v[2:3], v[2:3], v[20:21]
	s_waitcnt lgkmcnt(1)
	v_mul_f64 v[20:21], v[220:221], v[150:151]
	v_fmac_f64_e32 v[20:21], v[222:223], v[154:155]
	v_add_f64 v[2:3], v[2:3], v[20:21]
	v_mul_f64 v[20:21], v[60:61], v[84:85]
	v_fma_f64 v[20:21], v[58:59], v[86:87], -v[20:21]
	ds_read_b128 v[58:61], v1 offset:1520
	v_mul_f64 v[70:71], v[230:231], v[92:93]
	v_fma_f64 v[228:229], v[228:229], v[94:95], -v[70:71]
	v_mul_f64 v[82:83], v[238:239], v[108:109]
	v_mul_f64 v[50:51], v[242:243], v[50:51]
	;; [unrolled: 1-line block ×3, first 2 shown]
	v_fma_f64 v[50:51], v[240:241], v[176:177], -v[50:51]
	v_fma_f64 v[176:177], v[244:245], v[102:103], -v[94:95]
	v_add_f64 v[18:19], v[18:19], 0
	v_add_f64 v[18:19], v[18:19], v[114:115]
	;; [unrolled: 1-line block ×3, first 2 shown]
	ds_read_b128 v[70:73], v1 offset:1568
	v_add_f64 v[14:15], v[18:19], v[14:15]
	v_add_f64 v[10:11], v[14:15], v[10:11]
	;; [unrolled: 1-line block ×8, first 2 shown]
	v_accvgpr_read_b32 v6, a166
	v_accvgpr_read_b32 v7, a167
	v_accvgpr_read_b32 v8, a168
	v_mul_f64 v[6:7], v[138:139], v[6:7]
	v_accvgpr_read_b32 v9, a169
	v_fma_f64 v[6:7], v[136:137], v[8:9], -v[6:7]
	v_accvgpr_read_b32 v8, a172
	v_accvgpr_read_b32 v9, a173
	s_waitcnt vmcnt(46) lgkmcnt(2)
	v_mul_f64 v[62:63], v[54:55], v[118:119]
	s_waitcnt vmcnt(44)
	v_fmac_f64_e32 v[62:63], v[56:57], v[178:179]
	v_add_f64 v[2:3], v[2:3], v[62:63]
	v_mul_f64 v[62:63], v[226:227], v[96:97]
	v_fma_f64 v[252:253], v[224:225], v[252:253], -v[62:63]
	ds_read_b128 v[62:65], v1 offset:1536
	s_waitcnt vmcnt(41) lgkmcnt(2)
	v_mul_f64 v[66:67], v[58:59], v[174:175]
	s_waitcnt vmcnt(40)
	v_fmac_f64_e32 v[66:67], v[60:61], v[52:53]
	v_add_f64 v[2:3], v[2:3], v[66:67]
	ds_read_b128 v[66:69], v1 offset:1552
	s_waitcnt vmcnt(37) lgkmcnt(1)
	v_mul_f64 v[74:75], v[62:63], v[184:185]
	s_waitcnt vmcnt(35)
	v_fmac_f64_e32 v[74:75], v[64:65], v[186:187]
	v_add_f64 v[2:3], v[2:3], v[74:75]
	v_mul_f64 v[74:75], v[234:235], v[254:255]
	v_fma_f64 v[172:173], v[232:233], v[172:173], -v[74:75]
	ds_read_b128 v[74:77], v1 offset:1584
	s_waitcnt vmcnt(34) lgkmcnt(1)
	v_mul_f64 v[78:79], v[66:67], v[180:181]
	s_waitcnt vmcnt(32)
	v_fmac_f64_e32 v[78:79], v[68:69], v[188:189]
	v_add_f64 v[2:3], v[2:3], v[78:79]
	s_waitcnt vmcnt(29)
	v_mul_f64 v[78:79], v[70:71], v[192:193]
	s_waitcnt vmcnt(27)
	v_fmac_f64_e32 v[78:79], v[72:73], v[194:195]
	v_add_f64 v[2:3], v[2:3], v[78:79]
	v_fma_f64 v[254:255], v[236:237], v[110:111], -v[82:83]
	ds_read_b128 v[82:85], v1 offset:1616
	s_waitcnt vmcnt(25) lgkmcnt(1)
	v_mul_f64 v[78:79], v[74:75], v[182:183]
	s_waitcnt vmcnt(24)
	v_fmac_f64_e32 v[78:79], v[76:77], v[190:191]
	v_add_f64 v[2:3], v[2:3], v[78:79]
	ds_read_b128 v[78:81], v1 offset:1600
	ds_read_b128 v[94:97], v1 offset:1664
	s_waitcnt vmcnt(17) lgkmcnt(2)
	v_mul_f64 v[90:91], v[82:83], v[200:201]
	s_waitcnt vmcnt(16)
	v_fmac_f64_e32 v[90:91], v[84:85], v[202:203]
	v_add_f64 v[4:5], v[4:5], v[252:253]
	s_waitcnt lgkmcnt(1)
	v_mul_f64 v[86:87], v[78:79], v[196:197]
	v_fmac_f64_e32 v[86:87], v[80:81], v[198:199]
	v_add_f64 v[2:3], v[2:3], v[86:87]
	ds_read_b128 v[86:89], v1 offset:1632
	v_add_f64 v[2:3], v[2:3], v[90:91]
	ds_read_b128 v[90:93], v1 offset:1648
	v_add_f64 v[4:5], v[4:5], v[228:229]
	v_add_f64 v[4:5], v[4:5], v[172:173]
	s_waitcnt vmcnt(14) lgkmcnt(1)
	v_mul_f64 v[98:99], v[86:87], v[206:207]
	s_waitcnt vmcnt(12)
	v_fmac_f64_e32 v[98:99], v[88:89], v[210:211]
	v_add_f64 v[2:3], v[2:3], v[98:99]
	v_mul_f64 v[98:99], v[250:251], v[104:105]
	v_fma_f64 v[250:251], v[248:249], v[106:107], -v[98:99]
	ds_read_b128 v[98:101], v1 offset:1680
	s_waitcnt vmcnt(10) lgkmcnt(1)
	v_mul_f64 v[102:103], v[90:91], v[208:209]
	s_waitcnt vmcnt(8)
	v_fmac_f64_e32 v[102:103], v[92:93], v[212:213]
	v_add_f64 v[2:3], v[2:3], v[102:103]
	s_waitcnt vmcnt(5)
	v_mul_f64 v[102:103], v[94:95], v[216:217]
	s_waitcnt vmcnt(3)
	v_fmac_f64_e32 v[102:103], v[96:97], v[218:219]
	v_add_f64 v[2:3], v[2:3], v[102:103]
	s_waitcnt vmcnt(1) lgkmcnt(0)
	v_mul_f64 v[102:103], v[98:99], v[204:205]
	s_waitcnt vmcnt(0)
	v_fmac_f64_e32 v[102:103], v[100:101], v[214:215]
	v_add_f64 v[106:107], v[2:3], v[102:103]
	buffer_load_dword v3, off, s[0:3], 0 offset:844
	buffer_load_dword v2, off, s[0:3], 0 offset:840
	;; [unrolled: 1-line block ×4, first 2 shown]
	ds_read_b128 v[102:105], v1 offset:1696
	buffer_load_dword v232, off, s[0:3], 0 offset:856
	buffer_load_dword v233, off, s[0:3], 0 offset:860
	;; [unrolled: 1-line block ×4, first 2 shown]
	v_add_f64 v[4:5], v[4:5], v[254:255]
	v_add_f64 v[4:5], v[4:5], v[50:51]
	;; [unrolled: 1-line block ×5, first 2 shown]
	v_mul_f64 v[6:7], v[134:135], v[140:141]
	v_fma_f64 v[6:7], v[132:133], v[144:145], -v[6:7]
	v_add_f64 v[4:5], v[4:5], v[6:7]
	v_accvgpr_read_b32 v6, a170
	v_accvgpr_read_b32 v7, a171
	v_mul_f64 v[6:7], v[130:131], v[6:7]
	v_fma_f64 v[6:7], v[128:129], v[8:9], -v[6:7]
	v_add_f64 v[4:5], v[4:5], v[6:7]
	v_mul_f64 v[6:7], v[126:127], v[148:149]
	v_fma_f64 v[6:7], v[124:125], v[152:153], -v[6:7]
	v_add_f64 v[4:5], v[4:5], v[6:7]
	v_accvgpr_read_b32 v6, a174
	v_accvgpr_read_b32 v7, a175
	v_accvgpr_read_b32 v8, a176
	v_mul_f64 v[6:7], v[122:123], v[6:7]
	v_accvgpr_read_b32 v9, a177
	v_fma_f64 v[6:7], v[120:121], v[8:9], -v[6:7]
	v_add_f64 v[4:5], v[4:5], v[6:7]
	v_mul_f64 v[6:7], v[24:25], v[156:157]
	v_fma_f64 v[6:7], v[22:23], v[158:159], -v[6:7]
	v_add_f64 v[4:5], v[4:5], v[6:7]
	v_accvgpr_read_b32 v6, a178
	v_accvgpr_read_b32 v7, a179
	v_accvgpr_read_b32 v8, a180
	v_mul_f64 v[6:7], v[28:29], v[6:7]
	v_accvgpr_read_b32 v9, a181
	;; [unrolled: 10-line block ×3, first 2 shown]
	v_fma_f64 v[6:7], v[34:35], v[8:9], -v[6:7]
	v_add_f64 v[4:5], v[4:5], v[6:7]
	v_mul_f64 v[6:7], v[40:41], v[164:165]
	v_fma_f64 v[6:7], v[38:39], v[166:167], -v[6:7]
	v_add_f64 v[4:5], v[4:5], v[6:7]
	v_mul_f64 v[6:7], v[44:45], v[142:143]
	;; [unrolled: 3-line block ×11, first 2 shown]
	v_fma_f64 v[6:7], v[78:79], v[198:199], -v[6:7]
	s_waitcnt vmcnt(6) lgkmcnt(0)
	v_mul_f64 v[108:109], v[102:103], v[2:3]
	v_add_f64 v[4:5], v[4:5], v[6:7]
	s_waitcnt vmcnt(4)
	v_fmac_f64_e32 v[108:109], v[104:105], v[230:231]
	v_add_f64 v[110:111], v[106:107], v[108:109]
	ds_read_b128 v[106:109], v1 offset:1712
	buffer_load_dword v237, off, s[0:3], 0 offset:876
	buffer_load_dword v236, off, s[0:3], 0 offset:872
	;; [unrolled: 1-line block ×4, first 2 shown]
	v_mul_f64 v[6:7], v[84:85], v[200:201]
	v_fma_f64 v[6:7], v[82:83], v[202:203], -v[6:7]
	v_add_f64 v[4:5], v[4:5], v[6:7]
	s_waitcnt vmcnt(6) lgkmcnt(0)
	v_mul_f64 v[112:113], v[106:107], v[232:233]
	s_waitcnt vmcnt(4)
	v_fmac_f64_e32 v[112:113], v[108:109], v[234:235]
	v_add_f64 v[224:225], v[110:111], v[112:113]
	ds_read_b128 v[110:113], v1 offset:1728
	buffer_load_dword v242, off, s[0:3], 0 offset:888
	buffer_load_dword v243, off, s[0:3], 0 offset:892
	;; [unrolled: 1-line block ×4, first 2 shown]
	v_mul_f64 v[6:7], v[88:89], v[206:207]
	v_fma_f64 v[6:7], v[86:87], v[210:211], -v[6:7]
	v_add_f64 v[4:5], v[4:5], v[6:7]
	v_mul_f64 v[6:7], v[92:93], v[208:209]
	v_fma_f64 v[6:7], v[90:91], v[212:213], -v[6:7]
	v_add_f64 v[4:5], v[4:5], v[6:7]
	;; [unrolled: 3-line block ×3, first 2 shown]
	v_mul_f64 v[6:7], v[100:101], v[204:205]
	v_fma_f64 v[6:7], v[98:99], v[214:215], -v[6:7]
	v_mul_f64 v[2:3], v[104:105], v[2:3]
	v_add_f64 v[4:5], v[4:5], v[6:7]
	v_fma_f64 v[2:3], v[102:103], v[230:231], -v[2:3]
	v_add_f64 v[2:3], v[4:5], v[2:3]
	v_mul_f64 v[4:5], v[108:109], v[232:233]
	v_fma_f64 v[4:5], v[106:107], v[234:235], -v[4:5]
	v_add_f64 v[2:3], v[2:3], v[4:5]
	s_waitcnt vmcnt(6) lgkmcnt(0)
	v_mul_f64 v[226:227], v[110:111], v[236:237]
	v_mul_f64 v[4:5], v[112:113], v[236:237]
	s_waitcnt vmcnt(4)
	v_fmac_f64_e32 v[226:227], v[112:113], v[238:239]
	v_add_f64 v[240:241], v[224:225], v[226:227]
	ds_read_b128 v[224:227], v1 offset:1744
	buffer_load_dword v248, off, s[0:3], 0 offset:128
	buffer_load_dword v249, off, s[0:3], 0 offset:132
	v_fma_f64 v[4:5], v[110:111], v[238:239], -v[4:5]
	v_add_f64 v[2:3], v[2:3], v[4:5]
	s_waitcnt vmcnt(4) lgkmcnt(0)
	v_mul_f64 v[246:247], v[224:225], v[242:243]
	s_waitcnt vmcnt(2)
	v_fmac_f64_e32 v[246:247], v[226:227], v[244:245]
	v_add_f64 v[240:241], v[240:241], v[246:247]
	buffer_load_dword v246, off, s[0:3], 0 offset:136
	buffer_load_dword v247, off, s[0:3], 0 offset:140
	v_mul_f64 v[4:5], v[226:227], v[242:243]
	v_fma_f64 v[4:5], v[224:225], v[244:245], -v[4:5]
	v_add_f64 v[2:3], v[2:3], v[4:5]
	s_waitcnt vmcnt(2)
	v_add_f64 v[2:3], v[248:249], -v[2:3]
	s_waitcnt vmcnt(0)
	v_add_f64 v[4:5], v[246:247], -v[240:241]
	buffer_store_dword v3, off, s[0:3], 0 offset:132
	buffer_store_dword v2, off, s[0:3], 0 offset:128
	;; [unrolled: 1-line block ×4, first 2 shown]
	s_and_saveexec_b64 s[4:5], vcc
	s_cbranch_execz .LBB54_331
; %bb.330:
	v_accvgpr_read_b32 v0, a158
	buffer_load_dword v2, v0, s[0:3], 0 offen
	buffer_load_dword v3, v0, s[0:3], 0 offen offset:4
	buffer_load_dword v4, v0, s[0:3], 0 offen offset:8
	;; [unrolled: 1-line block ×3, first 2 shown]
	v_accvgpr_read_b32 v0, a165
	buffer_store_dword v1, off, s[0:3], 0 offset:112
	buffer_store_dword v1, off, s[0:3], 0 offset:116
	buffer_store_dword v1, off, s[0:3], 0 offset:120
	buffer_store_dword v1, off, s[0:3], 0 offset:124
	s_waitcnt vmcnt(4)
	ds_write_b128 v0, v[2:5]
.LBB54_331:
	s_or_b64 exec, exec, s[4:5]
	s_waitcnt lgkmcnt(0)
	; wave barrier
	s_waitcnt lgkmcnt(0)
	buffer_load_dword v42, off, s[0:3], 0 offset:128
	buffer_load_dword v43, off, s[0:3], 0 offset:132
	;; [unrolled: 1-line block ×42, first 2 shown]
	ds_read_b128 v[110:113], v1 offset:992
	ds_read_b128 v[114:117], v1 offset:1008
	;; [unrolled: 1-line block ×10, first 2 shown]
	buffer_load_dword v119, off, s[0:3], 0 offset:276
	buffer_load_dword v118, off, s[0:3], 0 offset:272
	ds_read_b128 v[50:53], v1 offset:1152
	buffer_load_dword v89, off, s[0:3], 0 offset:332
	buffer_load_dword v88, off, s[0:3], 0 offset:328
	;; [unrolled: 1-line block ×8, first 2 shown]
	s_waitcnt vmcnt(48) lgkmcnt(10)
	v_mul_f64 v[2:3], v[110:111], v[48:49]
	v_fmac_f64_e32 v[2:3], v[112:113], v[42:43]
	v_add_f64 v[2:3], v[2:3], 0
	s_waitcnt vmcnt(44) lgkmcnt(9)
	v_mul_f64 v[4:5], v[114:115], v[170:171]
	v_fmac_f64_e32 v[4:5], v[116:117], v[44:45]
	v_add_f64 v[2:3], v[2:3], v[4:5]
	buffer_load_dword v107, off, s[0:3], 0 offset:364
	buffer_load_dword v106, off, s[0:3], 0 offset:360
	;; [unrolled: 1-line block ×26, first 2 shown]
	s_waitcnt vmcnt(62) lgkmcnt(8)
	v_mul_f64 v[6:7], v[176:177], v[46:47]
	s_waitcnt lgkmcnt(6)
	v_mul_f64 v[10:11], v[188:189], v[58:59]
	v_fmac_f64_e32 v[10:11], v[190:191], v[56:57]
	v_mul_f64 v[46:47], v[178:179], v[46:47]
	v_mul_f64 v[8:9], v[180:181], v[60:61]
	s_waitcnt vmcnt(60) lgkmcnt(4)
	v_mul_f64 v[14:15], v[196:197], v[62:63]
	s_waitcnt vmcnt(58)
	v_fmac_f64_e32 v[14:15], v[198:199], v[64:65]
	s_waitcnt vmcnt(56)
	v_mul_f64 v[12:13], v[192:193], v[66:67]
	s_waitcnt vmcnt(54) lgkmcnt(2)
	v_mul_f64 v[18:19], v[204:205], v[68:69]
	s_waitcnt vmcnt(51)
	v_mul_f64 v[16:17], v[200:201], v[74:75]
	s_waitcnt vmcnt(49) lgkmcnt(1)
	v_mul_f64 v[20:21], v[210:211], v[72:73]
	s_waitcnt vmcnt(47)
	v_fmac_f64_e32 v[6:7], v[178:179], v[82:83]
	v_add_f64 v[2:3], v[2:3], v[6:7]
	s_waitcnt vmcnt(45)
	v_fmac_f64_e32 v[8:9], v[182:183], v[80:81]
	v_add_f64 v[2:3], v[2:3], v[8:9]
	;; [unrolled: 3-line block ×3, first 2 shown]
	v_add_f64 v[2:3], v[2:3], v[12:13]
	s_waitcnt vmcnt(41)
	v_fmac_f64_e32 v[16:17], v[202:203], v[76:77]
	v_add_f64 v[2:3], v[2:3], v[14:15]
	s_waitcnt vmcnt(40)
	v_fmac_f64_e32 v[18:19], v[206:207], v[70:71]
	v_add_f64 v[2:3], v[2:3], v[16:17]
	v_add_f64 v[2:3], v[2:3], v[18:19]
	s_waitcnt vmcnt(34)
	v_fmac_f64_e32 v[20:21], v[212:213], v[118:119]
	v_add_f64 v[2:3], v[2:3], v[20:21]
	s_waitcnt vmcnt(0)
	v_pk_mov_b32 v[18:19], v[4:5], v[4:5] op_sel:[0,1]
	buffer_load_dword v5, off, s[0:3], 0 offset:452
	buffer_load_dword v7, off, s[0:3], 0 offset:444
	;; [unrolled: 1-line block ×3, first 2 shown]
	v_accvgpr_write_b32 a171, v19
	v_accvgpr_write_b32 a170, v18
	s_waitcnt vmcnt(0)
	v_pk_mov_b32 v[14:15], v[6:7], v[6:7] op_sel:[0,1]
	buffer_load_dword v7, off, s[0:3], 0 offset:436
	buffer_load_dword v6, off, s[0:3], 0 offset:432
	;; [unrolled: 1-line block ×3, first 2 shown]
	v_accvgpr_write_b32 a167, v15
	v_accvgpr_write_b32 a166, v14
	s_waitcnt vmcnt(1)
	v_pk_mov_b32 v[16:17], v[6:7], v[6:7] op_sel:[0,1]
	s_waitcnt vmcnt(0)
	v_pk_mov_b32 v[22:23], v[4:5], v[4:5] op_sel:[0,1]
	buffer_load_dword v5, off, s[0:3], 0 offset:492
	buffer_load_dword v4, off, s[0:3], 0 offset:488
	v_accvgpr_write_b32 a169, v17
	v_accvgpr_write_b32 a168, v16
	;; [unrolled: 1-line block ×4, first 2 shown]
	s_waitcnt vmcnt(0)
	v_pk_mov_b32 v[26:27], v[4:5], v[4:5] op_sel:[0,1]
	buffer_load_dword v5, off, s[0:3], 0 offset:484
	buffer_load_dword v7, off, s[0:3], 0 offset:476
	;; [unrolled: 1-line block ×6, first 2 shown]
	v_accvgpr_write_b32 a177, v27
	v_accvgpr_write_b32 a176, v26
	s_waitcnt vmcnt(3)
	v_pk_mov_b32 v[24:25], v[6:7], v[6:7] op_sel:[0,1]
	s_waitcnt vmcnt(0)
	v_pk_mov_b32 v[28:29], v[4:5], v[4:5] op_sel:[0,1]
	buffer_load_dword v5, off, s[0:3], 0 offset:524
	buffer_load_dword v4, off, s[0:3], 0 offset:520
	v_accvgpr_write_b32 a175, v25
	v_accvgpr_write_b32 a174, v24
	;; [unrolled: 1-line block ×4, first 2 shown]
	s_waitcnt vmcnt(0)
	v_pk_mov_b32 v[34:35], v[4:5], v[4:5] op_sel:[0,1]
	buffer_load_dword v5, off, s[0:3], 0 offset:516
	buffer_load_dword v151, off, s[0:3], 0 offset:508
	;; [unrolled: 1-line block ×6, first 2 shown]
	v_accvgpr_write_b32 a181, v35
	v_accvgpr_write_b32 a180, v34
	s_waitcnt vmcnt(0)
	v_pk_mov_b32 v[36:37], v[4:5], v[4:5] op_sel:[0,1]
	buffer_load_dword v5, off, s[0:3], 0 offset:556
	buffer_load_dword v4, off, s[0:3], 0 offset:552
	v_accvgpr_write_b32 a183, v37
	v_accvgpr_write_b32 a182, v36
	s_waitcnt vmcnt(0)
	v_pk_mov_b32 v[38:39], v[4:5], v[4:5] op_sel:[0,1]
	buffer_load_dword v5, off, s[0:3], 0 offset:548
	buffer_load_dword v155, off, s[0:3], 0 offset:540
	;; [unrolled: 1-line block ×6, first 2 shown]
	v_accvgpr_write_b32 a185, v39
	v_accvgpr_write_b32 a184, v38
	s_waitcnt vmcnt(0)
	v_pk_mov_b32 v[40:41], v[4:5], v[4:5] op_sel:[0,1]
	buffer_load_dword v5, off, s[0:3], 0 offset:588
	buffer_load_dword v4, off, s[0:3], 0 offset:584
	;; [unrolled: 1-line block ×14, first 2 shown]
	ds_read_b128 v[220:223], v1 offset:1168
	ds_read_b128 v[224:227], v1 offset:1184
	ds_read_b128 v[228:231], v1 offset:1200
	ds_read_b128 v[232:235], v1 offset:1216
	ds_read_b128 v[236:239], v1 offset:1232
	ds_read_b128 v[240:243], v1 offset:1248
	ds_read_b128 v[244:247], v1 offset:1264
	ds_read_b128 v[252:255], v1 offset:1280
	ds_read_b128 v[140:143], v1 offset:1296
	ds_read_b128 v[136:139], v1 offset:1312
	ds_read_b128 v[132:135], v1 offset:1328
	ds_read_b128 v[128:131], v1 offset:1344
	s_waitcnt lgkmcnt(4)
	v_mul_f64 v[8:9], v[252:253], v[98:99]
	ds_read_b128 v[124:127], v1 offset:1360
	ds_read_b128 v[120:123], v1 offset:1376
	v_fmac_f64_e32 v[8:9], v[254:255], v[100:101]
	s_waitcnt lgkmcnt(5)
	v_mul_f64 v[12:13], v[140:141], v[14:15]
	v_fmac_f64_e32 v[12:13], v[142:143], v[16:17]
	s_waitcnt lgkmcnt(4)
	v_mul_f64 v[16:17], v[136:137], v[18:19]
	;; [unrolled: 3-line block ×6, first 2 shown]
	v_fmac_f64_e32 v[32:33], v[122:123], v[36:37]
	v_accvgpr_write_b32 a187, v41
	v_accvgpr_write_b32 a186, v40
	v_mul_f64 v[98:99], v[254:255], v[98:99]
	v_fma_f64 v[252:253], v[252:253], v[100:101], -v[98:99]
	s_waitcnt vmcnt(12)
	v_pk_mov_b32 v[172:173], v[4:5], v[4:5] op_sel:[0,1]
	v_mul_f64 v[4:5], v[50:51], v[84:85]
	v_fmac_f64_e32 v[4:5], v[52:53], v[86:87]
	v_add_f64 v[2:3], v[2:3], v[4:5]
	v_mul_f64 v[4:5], v[220:221], v[96:97]
	v_fmac_f64_e32 v[4:5], v[222:223], v[248:249]
	v_add_f64 v[2:3], v[2:3], v[4:5]
	;; [unrolled: 3-line block ×8, first 2 shown]
	v_add_f64 v[10:11], v[6:7], v[8:9]
	v_add_f64 v[14:15], v[10:11], v[12:13]
	;; [unrolled: 1-line block ×6, first 2 shown]
	ds_read_b128 v[26:29], v1 offset:1392
	v_add_f64 v[34:35], v[30:31], v[32:33]
	ds_read_b128 v[30:33], v1 offset:1408
	v_accvgpr_write_b32 a189, v173
	v_mul_f64 v[4:5], v[112:113], v[48:49]
	s_waitcnt lgkmcnt(1)
	v_mul_f64 v[36:37], v[26:27], v[154:155]
	v_fmac_f64_e32 v[36:37], v[28:29], v[156:157]
	v_add_f64 v[166:167], v[34:35], v[36:37]
	ds_read_b128 v[34:37], v1 offset:1424
	s_waitcnt lgkmcnt(1)
	v_mul_f64 v[168:169], v[30:31], v[38:39]
	v_fmac_f64_e32 v[168:169], v[32:33], v[40:41]
	ds_read_b128 v[38:41], v1 offset:1440
	v_add_f64 v[166:167], v[166:167], v[168:169]
	s_waitcnt vmcnt(9) lgkmcnt(1)
	v_mul_f64 v[168:169], v[34:35], v[158:159]
	s_waitcnt vmcnt(7)
	v_fmac_f64_e32 v[168:169], v[36:37], v[162:163]
	v_add_f64 v[166:167], v[166:167], v[168:169]
	s_waitcnt lgkmcnt(0)
	v_mul_f64 v[168:169], v[38:39], v[172:173]
	s_waitcnt vmcnt(6)
	v_fmac_f64_e32 v[168:169], v[40:41], v[144:145]
	v_add_f64 v[2:3], v[166:167], v[168:169]
	buffer_load_dword v169, off, s[0:3], 0 offset:612
	buffer_load_dword v168, off, s[0:3], 0 offset:608
	;; [unrolled: 1-line block ×3, first 2 shown]
	v_accvgpr_write_b32 a188, v172
	v_fma_f64 v[22:23], v[110:111], v[42:43], -v[4:5]
	v_mul_f64 v[42:43], v[116:117], v[170:171]
	buffer_load_dword v173, off, s[0:3], 0 offset:636
	buffer_load_dword v172, off, s[0:3], 0 offset:632
	;; [unrolled: 1-line block ×7, first 2 shown]
	v_fma_f64 v[110:111], v[114:115], v[44:45], -v[42:43]
	ds_read_b128 v[42:45], v1 offset:1456
	v_fma_f64 v[112:113], v[176:177], v[82:83], -v[46:47]
	v_mul_f64 v[46:47], v[182:183], v[60:61]
	buffer_load_dword v177, off, s[0:3], 0 offset:668
	buffer_load_dword v176, off, s[0:3], 0 offset:664
	;; [unrolled: 1-line block ×4, first 2 shown]
	v_fma_f64 v[18:19], v[180:181], v[80:81], -v[46:47]
	buffer_load_dword v181, off, s[0:3], 0 offset:684
	buffer_load_dword v180, off, s[0:3], 0 offset:680
	v_mul_f64 v[8:9], v[190:191], v[58:59]
	buffer_load_dword v185, off, s[0:3], 0 offset:676
	buffer_load_dword v184, off, s[0:3], 0 offset:672
	;; [unrolled: 1-line block ×6, first 2 shown]
	v_fma_f64 v[14:15], v[188:189], v[56:57], -v[8:9]
	buffer_load_dword v188, off, s[0:3], 0 offset:712
	v_mul_f64 v[46:47], v[194:195], v[66:67]
	v_fma_f64 v[10:11], v[192:193], v[78:79], -v[46:47]
	buffer_load_dword v192, off, s[0:3], 0 offset:704
	buffer_load_dword v189, off, s[0:3], 0 offset:716
	;; [unrolled: 1-line block ×3, first 2 shown]
	v_mul_f64 v[12:13], v[198:199], v[62:63]
	v_fma_f64 v[12:13], v[196:197], v[64:65], -v[12:13]
	buffer_load_dword v190, off, s[0:3], 0 offset:744
	buffer_load_dword v197, off, s[0:3], 0 offset:732
	;; [unrolled: 1-line block ×8, first 2 shown]
	v_mul_f64 v[48:49], v[202:203], v[74:75]
	v_fma_f64 v[8:9], v[200:201], v[76:77], -v[48:49]
	buffer_load_dword v201, off, s[0:3], 0 offset:764
	buffer_load_dword v200, off, s[0:3], 0 offset:760
	;; [unrolled: 1-line block ×4, first 2 shown]
	v_mul_f64 v[16:17], v[206:207], v[68:69]
	buffer_load_dword v207, off, s[0:3], 0 offset:780
	buffer_load_dword v206, off, s[0:3], 0 offset:776
	buffer_load_dword v57, off, s[0:3], 0 offset:772
	buffer_load_dword v56, off, s[0:3], 0 offset:768
	s_waitcnt vmcnt(44) lgkmcnt(0)
	v_mul_f64 v[46:47], v[42:43], v[160:161]
	s_waitcnt vmcnt(42)
	v_fmac_f64_e32 v[46:47], v[44:45], v[164:165]
	v_mul_f64 v[48:49], v[212:213], v[72:73]
	v_fma_f64 v[16:17], v[204:205], v[70:71], -v[16:17]
	v_fma_f64 v[6:7], v[210:211], v[118:119], -v[48:49]
	buffer_load_dword v204, off, s[0:3], 0 offset:808
	buffer_load_dword v213, off, s[0:3], 0 offset:796
	;; [unrolled: 1-line block ×12, first 2 shown]
	v_add_f64 v[2:3], v[2:3], v[46:47]
	ds_read_b128 v[46:49], v1 offset:1472
	v_mul_f64 v[20:21], v[52:53], v[84:85]
	v_fma_f64 v[20:21], v[50:51], v[86:87], -v[20:21]
	ds_read_b128 v[50:53], v1 offset:1488
	v_mul_f64 v[60:61], v[222:223], v[96:97]
	v_fma_f64 v[248:249], v[220:221], v[248:249], -v[60:61]
	ds_read_b128 v[220:223], v1 offset:1504
	s_waitcnt lgkmcnt(2)
	v_mul_f64 v[58:59], v[46:47], v[148:149]
	v_mul_f64 v[62:63], v[226:227], v[88:89]
	v_fma_f64 v[4:5], v[224:225], v[90:91], -v[62:63]
	ds_read_b128 v[62:65], v1 offset:1536
	v_mul_f64 v[66:67], v[230:231], v[250:251]
	v_fma_f64 v[214:215], v[228:229], v[214:215], -v[66:67]
	ds_read_b128 v[70:73], v1 offset:1568
	ds_read_b128 v[74:77], v1 offset:1584
	;; [unrolled: 1-line block ×3, first 2 shown]
	v_mul_f64 v[54:55], v[238:239], v[54:55]
	v_mul_f64 v[86:87], v[242:243], v[92:93]
	v_fma_f64 v[54:55], v[236:237], v[208:209], -v[54:55]
	v_fma_f64 v[208:209], v[240:241], v[94:95], -v[86:87]
	ds_read_b128 v[86:89], v1 offset:1632
	v_mul_f64 v[90:91], v[246:247], v[102:103]
	v_fma_f64 v[250:251], v[244:245], v[104:105], -v[90:91]
	ds_read_b128 v[66:69], v1 offset:1552
	ds_read_b128 v[90:93], v1 offset:1648
	;; [unrolled: 1-line block ×3, first 2 shown]
	s_waitcnt vmcnt(52)
	v_fmac_f64_e32 v[58:59], v[48:49], v[168:169]
	v_add_f64 v[2:3], v[2:3], v[58:59]
	s_waitcnt vmcnt(49) lgkmcnt(9)
	v_mul_f64 v[58:59], v[50:51], v[172:173]
	s_waitcnt vmcnt(47)
	v_fmac_f64_e32 v[58:59], v[52:53], v[174:175]
	v_add_f64 v[2:3], v[2:3], v[58:59]
	s_waitcnt vmcnt(45) lgkmcnt(8)
	v_mul_f64 v[58:59], v[220:221], v[166:167]
	s_waitcnt vmcnt(44)
	v_fmac_f64_e32 v[58:59], v[222:223], v[170:171]
	v_add_f64 v[2:3], v[2:3], v[58:59]
	ds_read_b128 v[58:61], v1 offset:1520
	s_waitcnt vmcnt(42) lgkmcnt(0)
	v_mul_f64 v[24:25], v[58:59], v[176:177]
	s_waitcnt vmcnt(40)
	v_fmac_f64_e32 v[24:25], v[60:61], v[178:179]
	v_add_f64 v[2:3], v[2:3], v[24:25]
	s_waitcnt vmcnt(38)
	v_mul_f64 v[24:25], v[62:63], v[180:181]
	s_waitcnt vmcnt(36)
	v_fmac_f64_e32 v[24:25], v[64:65], v[184:185]
	v_add_f64 v[2:3], v[2:3], v[24:25]
	s_waitcnt vmcnt(34)
	v_mul_f64 v[24:25], v[66:67], v[182:183]
	s_waitcnt vmcnt(32)
	v_fmac_f64_e32 v[24:25], v[68:69], v[186:187]
	s_waitcnt vmcnt(29)
	v_mul_f64 v[82:83], v[70:71], v[188:189]
	v_add_f64 v[2:3], v[2:3], v[24:25]
	s_waitcnt vmcnt(28)
	v_fmac_f64_e32 v[82:83], v[72:73], v[192:193]
	v_add_f64 v[2:3], v[2:3], v[82:83]
	s_waitcnt vmcnt(25)
	v_mul_f64 v[82:83], v[74:75], v[196:197]
	s_waitcnt vmcnt(23)
	v_fmac_f64_e32 v[82:83], v[76:77], v[198:199]
	v_add_f64 v[2:3], v[2:3], v[82:83]
	s_waitcnt vmcnt(21)
	v_mul_f64 v[82:83], v[78:79], v[190:191]
	s_waitcnt vmcnt(20)
	v_fmac_f64_e32 v[82:83], v[80:81], v[194:195]
	v_add_f64 v[2:3], v[2:3], v[82:83]
	ds_read_b128 v[82:85], v1 offset:1616
	s_waitcnt vmcnt(9)
	v_mul_f64 v[102:103], v[90:91], v[212:213]
	s_waitcnt vmcnt(7)
	v_fmac_f64_e32 v[102:103], v[92:93], v[216:217]
	v_mul_f64 v[24:25], v[234:235], v[106:107]
	v_fma_f64 v[24:25], v[232:233], v[108:109], -v[24:25]
	s_waitcnt lgkmcnt(0)
	v_mul_f64 v[94:95], v[82:83], v[200:201]
	v_fmac_f64_e32 v[94:95], v[84:85], v[202:203]
	v_add_f64 v[2:3], v[2:3], v[94:95]
	v_mul_f64 v[94:95], v[86:87], v[206:207]
	v_fmac_f64_e32 v[94:95], v[88:89], v[56:57]
	v_add_f64 v[2:3], v[2:3], v[94:95]
	ds_read_b128 v[94:97], v1 offset:1664
	buffer_load_dword v228, off, s[0:3], 0 offset:840
	buffer_load_dword v229, off, s[0:3], 0 offset:844
	;; [unrolled: 1-line block ×4, first 2 shown]
	v_add_f64 v[2:3], v[2:3], v[102:103]
	s_waitcnt vmcnt(9) lgkmcnt(0)
	v_mul_f64 v[102:103], v[94:95], v[204:205]
	s_waitcnt vmcnt(8)
	v_fmac_f64_e32 v[102:103], v[96:97], v[210:211]
	v_add_f64 v[2:3], v[2:3], v[102:103]
	s_waitcnt vmcnt(6)
	v_mul_f64 v[102:103], v[98:99], v[118:119]
	s_waitcnt vmcnt(4)
	v_fmac_f64_e32 v[102:103], v[100:101], v[218:219]
	v_add_f64 v[2:3], v[2:3], v[102:103]
	ds_read_b128 v[102:105], v1 offset:1696
	buffer_load_dword v233, off, s[0:3], 0 offset:860
	buffer_load_dword v232, off, s[0:3], 0 offset:856
	;; [unrolled: 1-line block ×4, first 2 shown]
	s_waitcnt vmcnt(6) lgkmcnt(0)
	v_mul_f64 v[106:107], v[102:103], v[228:229]
	s_waitcnt vmcnt(4)
	v_fmac_f64_e32 v[106:107], v[104:105], v[230:231]
	v_add_f64 v[2:3], v[2:3], v[106:107]
	ds_read_b128 v[106:109], v1 offset:1712
	buffer_load_dword v236, off, s[0:3], 0 offset:872
	buffer_load_dword v237, off, s[0:3], 0 offset:876
	;; [unrolled: 1-line block ×4, first 2 shown]
	ds_read_b128 v[224:227], v1 offset:1728
	buffer_load_dword v243, off, s[0:3], 0 offset:892
	buffer_load_dword v242, off, s[0:3], 0 offset:888
	;; [unrolled: 1-line block ×4, first 2 shown]
	s_waitcnt vmcnt(10) lgkmcnt(1)
	v_mul_f64 v[114:115], v[106:107], v[232:233]
	s_waitcnt vmcnt(8)
	v_fmac_f64_e32 v[114:115], v[108:109], v[234:235]
	v_add_f64 v[2:3], v[2:3], v[114:115]
	s_waitcnt vmcnt(6) lgkmcnt(0)
	v_mul_f64 v[114:115], v[224:225], v[236:237]
	s_waitcnt vmcnt(4)
	v_fmac_f64_e32 v[114:115], v[226:227], v[238:239]
	v_add_f64 v[2:3], v[2:3], v[114:115]
	ds_read_b128 v[114:117], v1 offset:1744
	v_accvgpr_read_b32 v0, a166
	v_accvgpr_read_b32 v1, a167
	s_waitcnt vmcnt(2) lgkmcnt(0)
	v_mul_f64 v[240:241], v[114:115], v[242:243]
	s_waitcnt vmcnt(0)
	v_fmac_f64_e32 v[240:241], v[116:117], v[244:245]
	v_add_f64 v[240:241], v[2:3], v[240:241]
	v_add_f64 v[2:3], v[22:23], 0
	;; [unrolled: 1-line block ×13, first 2 shown]
	buffer_load_dword v248, off, s[0:3], 0 offset:112
	buffer_load_dword v249, off, s[0:3], 0 offset:116
	;; [unrolled: 1-line block ×4, first 2 shown]
	v_add_f64 v[2:3], v[2:3], v[4:5]
	v_add_f64 v[2:3], v[2:3], v[214:215]
	;; [unrolled: 1-line block ×4, first 2 shown]
	v_mul_f64 v[4:5], v[142:143], v[0:1]
	v_accvgpr_read_b32 v0, a168
	v_add_f64 v[254:255], v[2:3], v[208:209]
	v_accvgpr_read_b32 v1, a169
	v_add_f64 v[2:3], v[254:255], v[250:251]
	v_fma_f64 v[4:5], v[140:141], v[0:1], -v[4:5]
	v_accvgpr_read_b32 v0, a170
	v_add_f64 v[2:3], v[2:3], v[252:253]
	v_accvgpr_read_b32 v1, a171
	v_add_f64 v[2:3], v[2:3], v[4:5]
	v_mul_f64 v[4:5], v[138:139], v[0:1]
	v_accvgpr_read_b32 v0, a172
	v_accvgpr_read_b32 v1, a173
	v_fma_f64 v[4:5], v[136:137], v[0:1], -v[4:5]
	v_accvgpr_read_b32 v0, a174
	v_accvgpr_read_b32 v1, a175
	v_add_f64 v[2:3], v[2:3], v[4:5]
	v_mul_f64 v[4:5], v[134:135], v[0:1]
	v_accvgpr_read_b32 v0, a176
	v_fma_f64 v[4:5], v[132:133], v[146:147], -v[4:5]
	v_accvgpr_read_b32 v1, a177
	v_add_f64 v[2:3], v[2:3], v[4:5]
	v_mul_f64 v[4:5], v[130:131], v[0:1]
	v_accvgpr_read_b32 v0, a178
	v_accvgpr_read_b32 v1, a179
	v_fma_f64 v[4:5], v[128:129], v[0:1], -v[4:5]
	v_add_f64 v[2:3], v[2:3], v[4:5]
	v_mul_f64 v[4:5], v[126:127], v[150:151]
	v_accvgpr_read_b32 v0, a180
	v_fma_f64 v[4:5], v[124:125], v[152:153], -v[4:5]
	v_accvgpr_read_b32 v1, a181
	v_add_f64 v[2:3], v[2:3], v[4:5]
	v_mul_f64 v[4:5], v[122:123], v[0:1]
	v_accvgpr_read_b32 v0, a182
	v_accvgpr_read_b32 v1, a183
	v_fma_f64 v[4:5], v[120:121], v[0:1], -v[4:5]
	;; [unrolled: 10-line block ×3, first 2 shown]
	v_add_f64 v[2:3], v[2:3], v[4:5]
	v_mul_f64 v[4:5], v[36:37], v[158:159]
	v_accvgpr_read_b32 v0, a188
	v_fma_f64 v[4:5], v[34:35], v[162:163], -v[4:5]
	v_accvgpr_read_b32 v1, a189
	v_add_f64 v[2:3], v[2:3], v[4:5]
	v_mul_f64 v[4:5], v[40:41], v[0:1]
	v_fma_f64 v[4:5], v[38:39], v[144:145], -v[4:5]
	v_add_f64 v[2:3], v[2:3], v[4:5]
	v_mul_f64 v[4:5], v[44:45], v[160:161]
	v_fma_f64 v[4:5], v[42:43], v[164:165], -v[4:5]
	;; [unrolled: 3-line block ×20, first 2 shown]
	v_add_f64 v[2:3], v[2:3], v[4:5]
	v_accvgpr_read_b32 v0, a164
	s_waitcnt vmcnt(2)
	v_add_f64 v[2:3], v[248:249], -v[2:3]
	v_cmp_lt_u32_e32 vcc, 5, v0
	s_waitcnt vmcnt(0)
	v_add_f64 v[4:5], v[246:247], -v[240:241]
	buffer_store_dword v3, off, s[0:3], 0 offset:116
	buffer_store_dword v2, off, s[0:3], 0 offset:112
	;; [unrolled: 1-line block ×4, first 2 shown]
	s_and_saveexec_b64 s[4:5], vcc
	s_cbranch_execz .LBB54_333
; %bb.332:
	v_accvgpr_read_b32 v0, a159
	buffer_load_dword v2, v0, s[0:3], 0 offen
	buffer_load_dword v3, v0, s[0:3], 0 offen offset:4
	buffer_load_dword v4, v0, s[0:3], 0 offen offset:8
	;; [unrolled: 1-line block ×3, first 2 shown]
	v_mov_b32_e32 v0, 0
	v_accvgpr_read_b32 v1, a165
	buffer_store_dword v0, off, s[0:3], 0 offset:96
	buffer_store_dword v0, off, s[0:3], 0 offset:100
	;; [unrolled: 1-line block ×4, first 2 shown]
	s_waitcnt vmcnt(4)
	ds_write_b128 v1, v[2:5]
.LBB54_333:
	s_or_b64 exec, exec, s[4:5]
	s_waitcnt lgkmcnt(0)
	; wave barrier
	s_waitcnt lgkmcnt(0)
	buffer_load_dword v38, off, s[0:3], 0 offset:112
	buffer_load_dword v39, off, s[0:3], 0 offset:116
	;; [unrolled: 1-line block ×42, first 2 shown]
	v_mov_b32_e32 v1, 0
	buffer_load_dword v99, off, s[0:3], 0 offset:260
	buffer_load_dword v98, off, s[0:3], 0 offset:256
	;; [unrolled: 1-line block ×7, first 2 shown]
	ds_read_b128 v[108:111], v1 offset:976
	ds_read_b128 v[112:115], v1 offset:992
	;; [unrolled: 1-line block ×11, first 2 shown]
	v_accvgpr_read_b32 v0, a164
	v_cmp_lt_u32_e32 vcc, 4, v0
	s_waitcnt vmcnt(45) lgkmcnt(10)
	v_mul_f64 v[2:3], v[108:109], v[40:41]
	v_fmac_f64_e32 v[2:3], v[110:111], v[38:39]
	v_add_f64 v[2:3], v[2:3], 0
	v_mul_f64 v[40:41], v[110:111], v[40:41]
	s_waitcnt vmcnt(41) lgkmcnt(9)
	v_mul_f64 v[4:5], v[112:113], v[46:47]
	v_fmac_f64_e32 v[4:5], v[114:115], v[44:45]
	v_add_f64 v[2:3], v[2:3], v[4:5]
	buffer_load_dword v84, off, s[0:3], 0 offset:296
	buffer_load_dword v229, off, s[0:3], 0 offset:292
	;; [unrolled: 1-line block ×29, first 2 shown]
	s_waitcnt vmcnt(62) lgkmcnt(8)
	v_mul_f64 v[6:7], v[116:117], v[42:43]
	s_waitcnt lgkmcnt(6)
	v_mul_f64 v[10:11], v[182:183], v[48:49]
	v_fmac_f64_e32 v[10:11], v[184:185], v[50:51]
	v_mul_f64 v[42:43], v[118:119], v[42:43]
	v_mul_f64 v[8:9], v[172:173], v[178:179]
	;; [unrolled: 1-line block ×3, first 2 shown]
	s_waitcnt vmcnt(60) lgkmcnt(4)
	v_mul_f64 v[14:15], v[192:193], v[56:57]
	s_waitcnt vmcnt(58)
	v_fmac_f64_e32 v[14:15], v[194:195], v[212:213]
	s_waitcnt vmcnt(56)
	v_mul_f64 v[12:13], v[186:187], v[58:59]
	s_waitcnt vmcnt(54) lgkmcnt(2)
	v_mul_f64 v[18:19], v[200:201], v[64:65]
	s_waitcnt vmcnt(51)
	v_mul_f64 v[16:17], v[196:197], v[66:67]
	s_waitcnt vmcnt(49) lgkmcnt(1)
	v_mul_f64 v[20:21], v[204:205], v[60:61]
	s_waitcnt vmcnt(47)
	v_fmac_f64_e32 v[6:7], v[118:119], v[74:75]
	v_add_f64 v[2:3], v[2:3], v[6:7]
	s_waitcnt vmcnt(45)
	v_fmac_f64_e32 v[8:9], v[174:175], v[72:73]
	v_add_f64 v[2:3], v[2:3], v[8:9]
	;; [unrolled: 3-line block ×3, first 2 shown]
	v_add_f64 v[2:3], v[2:3], v[12:13]
	v_add_f64 v[2:3], v[2:3], v[14:15]
	s_waitcnt vmcnt(41)
	v_fmac_f64_e32 v[16:17], v[198:199], v[68:69]
	v_add_f64 v[2:3], v[2:3], v[16:17]
	s_waitcnt vmcnt(40)
	v_fmac_f64_e32 v[18:19], v[202:203], v[62:63]
	;; [unrolled: 3-line block ×3, first 2 shown]
	v_add_f64 v[2:3], v[2:3], v[20:21]
	v_fma_f64 v[74:75], v[116:117], v[74:75], -v[42:43]
	v_mul_f64 v[42:43], v[174:175], v[178:179]
	v_fma_f64 v[214:215], v[172:173], v[72:73], -v[42:43]
	s_waitcnt vmcnt(0)
	v_pk_mov_b32 v[14:15], v[4:5], v[4:5] op_sel:[0,1]
	buffer_load_dword v5, off, s[0:3], 0 offset:436
	buffer_load_dword v4, off, s[0:3], 0 offset:432
	v_accvgpr_write_b32 a167, v15
	v_accvgpr_write_b32 a166, v14
	s_waitcnt vmcnt(0)
	v_pk_mov_b32 v[16:17], v[4:5], v[4:5] op_sel:[0,1]
	buffer_load_dword v95, off, s[0:3], 0 offset:428
	buffer_load_dword v94, off, s[0:3], 0 offset:424
	;; [unrolled: 1-line block ×6, first 2 shown]
	v_accvgpr_write_b32 a169, v17
	v_accvgpr_write_b32 a168, v16
	s_waitcnt vmcnt(0)
	v_pk_mov_b32 v[22:23], v[4:5], v[4:5] op_sel:[0,1]
	buffer_load_dword v5, off, s[0:3], 0 offset:468
	buffer_load_dword v4, off, s[0:3], 0 offset:464
	v_accvgpr_write_b32 a173, v23
	v_accvgpr_write_b32 a172, v22
	s_waitcnt vmcnt(0)
	v_pk_mov_b32 v[24:25], v[4:5], v[4:5] op_sel:[0,1]
	buffer_load_dword v5, off, s[0:3], 0 offset:460
	buffer_load_dword v4, off, s[0:3], 0 offset:456
	;; [unrolled: 6-line block ×3, first 2 shown]
	buffer_load_dword v5, off, s[0:3], 0 offset:508
	buffer_load_dword v4, off, s[0:3], 0 offset:504
	v_accvgpr_write_b32 a171, v19
	v_accvgpr_write_b32 a170, v18
	s_waitcnt vmcnt(0)
	v_pk_mov_b32 v[30:31], v[4:5], v[4:5] op_sel:[0,1]
	buffer_load_dword v5, off, s[0:3], 0 offset:500
	buffer_load_dword v4, off, s[0:3], 0 offset:496
	v_accvgpr_write_b32 a177, v31
	v_accvgpr_write_b32 a176, v30
	s_waitcnt vmcnt(0)
	v_pk_mov_b32 v[32:33], v[4:5], v[4:5] op_sel:[0,1]
	buffer_load_dword v149, off, s[0:3], 0 offset:492
	buffer_load_dword v148, off, s[0:3], 0 offset:488
	;; [unrolled: 1-line block ×6, first 2 shown]
	v_accvgpr_write_b32 a179, v33
	v_accvgpr_write_b32 a178, v32
	s_waitcnt vmcnt(0)
	v_pk_mov_b32 v[164:165], v[4:5], v[4:5] op_sel:[0,1]
	buffer_load_dword v5, off, s[0:3], 0 offset:532
	buffer_load_dword v4, off, s[0:3], 0 offset:528
	v_accvgpr_write_b32 a181, v165
	v_accvgpr_write_b32 a180, v164
	s_waitcnt vmcnt(0)
	v_pk_mov_b32 v[166:167], v[4:5], v[4:5] op_sel:[0,1]
	buffer_load_dword v153, off, s[0:3], 0 offset:524
	buffer_load_dword v152, off, s[0:3], 0 offset:520
	;; [unrolled: 1-line block ×6, first 2 shown]
	v_accvgpr_write_b32 a183, v167
	v_accvgpr_write_b32 a182, v166
	s_waitcnt vmcnt(0)
	v_pk_mov_b32 v[168:169], v[4:5], v[4:5] op_sel:[0,1]
	buffer_load_dword v5, off, s[0:3], 0 offset:564
	buffer_load_dword v4, off, s[0:3], 0 offset:560
	;; [unrolled: 1-line block ×14, first 2 shown]
	ds_read_b128 v[216:219], v1 offset:1152
	ds_read_b128 v[220:223], v1 offset:1168
	;; [unrolled: 1-line block ×14, first 2 shown]
	s_waitcnt lgkmcnt(5)
	v_mul_f64 v[8:9], v[250:251], v[94:95]
	v_fmac_f64_e32 v[8:9], v[252:253], v[96:97]
	s_waitcnt lgkmcnt(4)
	v_mul_f64 v[12:13], v[140:141], v[14:15]
	v_fmac_f64_e32 v[12:13], v[142:143], v[16:17]
	s_waitcnt lgkmcnt(3)
	v_mul_f64 v[16:17], v[136:137], v[18:19]
	ds_read_b128 v[120:123], v1 offset:1376
	v_fmac_f64_e32 v[16:17], v[138:139], v[144:145]
	s_waitcnt lgkmcnt(3)
	v_mul_f64 v[20:21], v[132:133], v[22:23]
	v_fmac_f64_e32 v[20:21], v[134:135], v[24:25]
	s_waitcnt lgkmcnt(2)
	v_mul_f64 v[24:25], v[128:129], v[148:149]
	;; [unrolled: 3-line block ×3, first 2 shown]
	v_fmac_f64_e32 v[28:29], v[126:127], v[32:33]
	v_accvgpr_write_b32 a185, v169
	v_accvgpr_write_b32 a184, v168
	v_mul_f64 v[94:95], v[252:253], v[94:95]
	v_fma_f64 v[250:251], v[250:251], v[96:97], -v[94:95]
	s_waitcnt vmcnt(6)
	v_accvgpr_write_b32 a189, v53
	v_accvgpr_write_b32 a188, v52
	v_pk_mov_b32 v[170:171], v[4:5], v[4:5] op_sel:[0,1]
	v_mul_f64 v[4:5], v[208:209], v[76:77]
	v_fmac_f64_e32 v[4:5], v[210:211], v[82:83]
	v_add_f64 v[2:3], v[2:3], v[4:5]
	v_mul_f64 v[4:5], v[216:217], v[84:85]
	v_fmac_f64_e32 v[4:5], v[218:219], v[228:229]
	v_add_f64 v[2:3], v[2:3], v[4:5]
	;; [unrolled: 3-line block ×9, first 2 shown]
	v_add_f64 v[10:11], v[6:7], v[8:9]
	v_add_f64 v[14:15], v[10:11], v[12:13]
	v_add_f64 v[18:19], v[14:15], v[16:17]
	v_add_f64 v[22:23], v[18:19], v[20:21]
	v_add_f64 v[26:27], v[22:23], v[24:25]
	v_add_f64 v[30:31], v[26:27], v[28:29]
	ds_read_b128 v[26:29], v1 offset:1392
	s_waitcnt lgkmcnt(1)
	v_mul_f64 v[32:33], v[120:121], v[152:153]
	v_fmac_f64_e32 v[32:33], v[122:123], v[154:155]
	v_add_f64 v[34:35], v[30:31], v[32:33]
	ds_read_b128 v[30:33], v1 offset:1408
	s_waitcnt lgkmcnt(1)
	v_mul_f64 v[36:37], v[26:27], v[164:165]
	v_fmac_f64_e32 v[36:37], v[28:29], v[166:167]
	v_add_f64 v[164:165], v[34:35], v[36:37]
	ds_read_b128 v[34:37], v1 offset:1424
	s_waitcnt lgkmcnt(1)
	v_mul_f64 v[4:5], v[30:31], v[156:157]
	v_fmac_f64_e32 v[4:5], v[32:33], v[158:159]
	v_fma_f64 v[18:19], v[108:109], v[38:39], -v[40:41]
	ds_read_b128 v[38:41], v1 offset:1440
	v_add_f64 v[4:5], v[164:165], v[4:5]
	buffer_load_dword v165, off, s[0:3], 0 offset:620
	buffer_load_dword v164, off, s[0:3], 0 offset:616
	;; [unrolled: 1-line block ×4, first 2 shown]
	s_waitcnt lgkmcnt(1)
	v_mul_f64 v[108:109], v[34:35], v[168:169]
	v_accvgpr_write_b32 a187, v171
	v_fmac_f64_e32 v[108:109], v[36:37], v[170:171]
	v_accvgpr_write_b32 a186, v170
	buffer_load_dword v22, off, s[0:3], 0 offset:632
	buffer_load_dword v170, off, s[0:3], 0 offset:624
	;; [unrolled: 1-line block ×4, first 2 shown]
	v_fma_f64 v[168:169], v[112:113], v[44:45], -v[46:47]
	buffer_load_dword v173, off, s[0:3], 0 offset:668
	buffer_load_dword v175, off, s[0:3], 0 offset:652
	;; [unrolled: 1-line block ×8, first 2 shown]
	v_mul_f64 v[46:47], v[184:185], v[48:49]
	ds_read_b128 v[42:45], v1 offset:1456
	v_fma_f64 v[14:15], v[182:183], v[50:51], -v[46:47]
	buffer_load_dword v118, off, s[0:3], 0 offset:696
	buffer_load_dword v183, off, s[0:3], 0 offset:684
	;; [unrolled: 1-line block ×5, first 2 shown]
	v_mul_f64 v[8:9], v[188:189], v[58:59]
	v_fma_f64 v[10:11], v[186:187], v[70:71], -v[8:9]
	buffer_load_dword v186, off, s[0:3], 0 offset:688
	buffer_load_dword v119, off, s[0:3], 0 offset:700
	;; [unrolled: 1-line block ×3, first 2 shown]
	v_mul_f64 v[46:47], v[194:195], v[56:57]
	buffer_load_dword v189, off, s[0:3], 0 offset:716
	buffer_load_dword v188, off, s[0:3], 0 offset:712
	;; [unrolled: 1-line block ×4, first 2 shown]
	v_mul_f64 v[12:13], v[198:199], v[66:67]
	v_fma_f64 v[12:13], v[196:197], v[68:69], -v[12:13]
	buffer_load_dword v194, off, s[0:3], 0 offset:728
	buffer_load_dword v196, off, s[0:3], 0 offset:720
	;; [unrolled: 1-line block ×4, first 2 shown]
	v_fma_f64 v[8:9], v[192:193], v[212:213], -v[46:47]
	v_mul_f64 v[46:47], v[202:203], v[64:65]
	v_fma_f64 v[6:7], v[200:201], v[62:63], -v[46:47]
	buffer_load_dword v193, off, s[0:3], 0 offset:764
	buffer_load_dword v199, off, s[0:3], 0 offset:748
	;; [unrolled: 1-line block ×8, first 2 shown]
	v_add_f64 v[4:5], v[4:5], v[108:109]
	s_waitcnt vmcnt(42) lgkmcnt(1)
	v_mul_f64 v[108:109], v[38:39], v[160:161]
	s_waitcnt vmcnt(40)
	v_fmac_f64_e32 v[108:109], v[40:41], v[162:163]
	v_mul_f64 v[50:51], v[206:207], v[60:61]
	v_add_f64 v[108:109], v[4:5], v[108:109]
	ds_read_b128 v[46:49], v1 offset:1472
	v_fma_f64 v[4:5], v[204:205], v[98:99], -v[50:51]
	buffer_load_dword v205, off, s[0:3], 0 offset:780
	buffer_load_dword v204, off, s[0:3], 0 offset:776
	;; [unrolled: 1-line block ×4, first 2 shown]
	v_mul_f64 v[20:21], v[210:211], v[76:77]
	v_fma_f64 v[20:21], v[208:209], v[82:83], -v[20:21]
	buffer_load_dword v208, off, s[0:3], 0 offset:792
	buffer_load_dword v210, off, s[0:3], 0 offset:784
	;; [unrolled: 1-line block ×8, first 2 shown]
	v_mul_f64 v[50:51], v[218:219], v[84:85]
	v_fma_f64 v[218:219], v[216:217], v[228:229], -v[50:51]
	buffer_load_dword v216, off, s[0:3], 0 offset:824
	buffer_load_dword v228, off, s[0:3], 0 offset:816
	;; [unrolled: 1-line block ×4, first 2 shown]
	s_waitcnt lgkmcnt(1)
	v_mul_f64 v[16:17], v[42:43], v[52:53]
	v_fmac_f64_e32 v[16:17], v[44:45], v[146:147]
	v_add_f64 v[16:17], v[108:109], v[16:17]
	v_mul_f64 v[58:59], v[222:223], v[78:79]
	v_fma_f64 v[2:3], v[220:221], v[80:81], -v[58:59]
	v_mul_f64 v[58:59], v[226:227], v[254:255]
	v_fma_f64 v[176:177], v[224:225], v[176:177], -v[58:59]
	ds_read_b128 v[58:61], v1 offset:1520
	ds_read_b128 v[62:65], v1 offset:1536
	;; [unrolled: 1-line block ×5, first 2 shown]
	v_mul_f64 v[54:55], v[236:237], v[54:55]
	v_fma_f64 v[54:55], v[234:235], v[190:191], -v[54:55]
	v_mul_f64 v[82:83], v[244:245], v[100:101]
	ds_read_b128 v[220:223], v1 offset:1504
	v_fma_f64 v[254:255], v[242:243], v[102:103], -v[82:83]
	ds_read_b128 v[82:85], v1 offset:1616
	v_mul_f64 v[90:91], v[248:249], v[90:91]
	v_fma_f64 v[242:243], v[246:247], v[92:93], -v[90:91]
	ds_read_b128 v[90:93], v1 offset:1648
	v_add_f64 v[18:19], v[18:19], 0
	v_add_f64 v[18:19], v[18:19], v[168:169]
	v_add_f64 v[18:19], v[18:19], v[74:75]
	v_add_f64 v[18:19], v[18:19], v[214:215]
	v_add_f64 v[14:15], v[18:19], v[14:15]
	v_add_f64 v[10:11], v[14:15], v[10:11]
	v_add_f64 v[8:9], v[10:11], v[8:9]
	v_add_f64 v[8:9], v[8:9], v[12:13]
	v_add_f64 v[6:7], v[8:9], v[6:7]
	v_add_f64 v[4:5], v[6:7], v[4:5]
	v_add_f64 v[4:5], v[4:5], v[20:21]
	v_add_f64 v[4:5], v[4:5], v[218:219]
	v_add_f64 v[2:3], v[4:5], v[2:3]
	v_add_f64 v[2:3], v[2:3], v[176:177]
	v_accvgpr_read_b32 v4, a166
	v_accvgpr_read_b32 v5, a167
	;; [unrolled: 1-line block ×3, first 2 shown]
	v_mul_f64 v[4:5], v[142:143], v[4:5]
	v_accvgpr_read_b32 v7, a169
	s_waitcnt vmcnt(54) lgkmcnt(8)
	v_mul_f64 v[50:51], v[46:47], v[164:165]
	ds_read_b128 v[94:97], v1 offset:1664
	s_waitcnt vmcnt(52)
	v_fmac_f64_e32 v[50:51], v[48:49], v[166:167]
	v_add_f64 v[16:17], v[16:17], v[50:51]
	ds_read_b128 v[50:53], v1 offset:1488
	v_fma_f64 v[4:5], v[140:141], v[6:7], -v[4:5]
	v_accvgpr_read_b32 v6, a174
	v_accvgpr_read_b32 v7, a175
	s_waitcnt vmcnt(49) lgkmcnt(0)
	v_mul_f64 v[24:25], v[50:51], v[22:23]
	s_waitcnt vmcnt(48)
	v_fmac_f64_e32 v[24:25], v[52:53], v[170:171]
	v_add_f64 v[16:17], v[16:17], v[24:25]
	s_waitcnt vmcnt(45)
	v_mul_f64 v[24:25], v[220:221], v[174:175]
	s_waitcnt vmcnt(43)
	v_fmac_f64_e32 v[24:25], v[222:223], v[180:181]
	v_add_f64 v[16:17], v[16:17], v[24:25]
	s_waitcnt vmcnt(42)
	v_mul_f64 v[24:25], v[58:59], v[172:173]
	s_waitcnt vmcnt(40)
	v_fmac_f64_e32 v[24:25], v[60:61], v[178:179]
	s_waitcnt vmcnt(37)
	v_mul_f64 v[78:79], v[62:63], v[182:183]
	v_add_f64 v[16:17], v[16:17], v[24:25]
	s_waitcnt vmcnt(35)
	v_fmac_f64_e32 v[78:79], v[64:65], v[184:185]
	v_add_f64 v[16:17], v[16:17], v[78:79]
	s_waitcnt vmcnt(33)
	v_mul_f64 v[78:79], v[66:67], v[118:119]
	s_waitcnt vmcnt(32)
	v_fmac_f64_e32 v[78:79], v[68:69], v[186:187]
	v_add_f64 v[16:17], v[16:17], v[78:79]
	s_waitcnt vmcnt(30)
	v_mul_f64 v[78:79], v[70:71], v[188:189]
	s_waitcnt vmcnt(28)
	v_fmac_f64_e32 v[78:79], v[72:73], v[56:57]
	v_add_f64 v[16:17], v[16:17], v[78:79]
	v_mul_f64 v[78:79], v[240:241], v[86:87]
	v_fma_f64 v[190:191], v[238:239], v[88:89], -v[78:79]
	ds_read_b128 v[78:81], v1 offset:1600
	s_waitcnt vmcnt(25)
	v_mul_f64 v[86:87], v[224:225], v[194:195]
	s_waitcnt vmcnt(24)
	v_fmac_f64_e32 v[86:87], v[226:227], v[196:197]
	v_add_f64 v[16:17], v[16:17], v[86:87]
	v_mul_f64 v[24:25], v[232:233], v[104:105]
	s_waitcnt vmcnt(21) lgkmcnt(0)
	v_mul_f64 v[86:87], v[78:79], v[198:199]
	s_waitcnt vmcnt(19)
	v_fmac_f64_e32 v[86:87], v[80:81], v[202:203]
	v_add_f64 v[16:17], v[16:17], v[86:87]
	s_waitcnt vmcnt(18)
	v_mul_f64 v[86:87], v[82:83], v[192:193]
	s_waitcnt vmcnt(16)
	v_fmac_f64_e32 v[86:87], v[84:85], v[200:201]
	v_add_f64 v[16:17], v[16:17], v[86:87]
	ds_read_b128 v[86:89], v1 offset:1632
	v_fma_f64 v[24:25], v[230:231], v[106:107], -v[24:25]
	v_add_f64 v[2:3], v[2:3], v[24:25]
	v_add_f64 v[2:3], v[2:3], v[54:55]
	;; [unrolled: 1-line block ×3, first 2 shown]
	s_waitcnt vmcnt(14) lgkmcnt(0)
	v_mul_f64 v[98:99], v[86:87], v[204:205]
	s_waitcnt vmcnt(12)
	v_fmac_f64_e32 v[98:99], v[88:89], v[206:207]
	v_add_f64 v[16:17], v[16:17], v[98:99]
	s_waitcnt vmcnt(9)
	v_mul_f64 v[98:99], v[90:91], v[208:209]
	s_waitcnt vmcnt(8)
	v_fmac_f64_e32 v[98:99], v[92:93], v[210:211]
	v_add_f64 v[16:17], v[16:17], v[98:99]
	s_waitcnt vmcnt(6)
	v_mul_f64 v[98:99], v[94:95], v[212:213]
	s_waitcnt vmcnt(4)
	v_fmac_f64_e32 v[98:99], v[96:97], v[76:77]
	v_add_f64 v[16:17], v[16:17], v[98:99]
	ds_read_b128 v[98:101], v1 offset:1680
	buffer_load_dword v231, off, s[0:3], 0 offset:844
	buffer_load_dword v230, off, s[0:3], 0 offset:840
	;; [unrolled: 1-line block ×4, first 2 shown]
	v_add_f64 v[2:3], v[2:3], v[254:255]
	v_add_f64 v[252:253], v[2:3], v[242:243]
	;; [unrolled: 1-line block ×3, first 2 shown]
	s_waitcnt vmcnt(5) lgkmcnt(0)
	v_mul_f64 v[102:103], v[98:99], v[216:217]
	s_waitcnt vmcnt(4)
	v_fmac_f64_e32 v[102:103], v[100:101], v[228:229]
	v_add_f64 v[16:17], v[16:17], v[102:103]
	ds_read_b128 v[102:105], v1 offset:1696
	buffer_load_dword v234, off, s[0:3], 0 offset:856
	buffer_load_dword v235, off, s[0:3], 0 offset:860
	;; [unrolled: 1-line block ×4, first 2 shown]
	v_add_f64 v[2:3], v[2:3], v[4:5]
	v_accvgpr_read_b32 v4, a170
	v_accvgpr_read_b32 v5, a171
	v_mul_f64 v[4:5], v[138:139], v[4:5]
	v_fma_f64 v[4:5], v[136:137], v[144:145], -v[4:5]
	v_add_f64 v[2:3], v[2:3], v[4:5]
	v_accvgpr_read_b32 v4, a172
	v_accvgpr_read_b32 v5, a173
	v_mul_f64 v[4:5], v[134:135], v[4:5]
	v_fma_f64 v[4:5], v[132:133], v[6:7], -v[4:5]
	v_add_f64 v[2:3], v[2:3], v[4:5]
	v_mul_f64 v[4:5], v[130:131], v[148:149]
	v_fma_f64 v[4:5], v[128:129], v[150:151], -v[4:5]
	v_add_f64 v[2:3], v[2:3], v[4:5]
	v_accvgpr_read_b32 v4, a176
	v_accvgpr_read_b32 v5, a177
	v_accvgpr_read_b32 v6, a178
	v_mul_f64 v[4:5], v[126:127], v[4:5]
	v_accvgpr_read_b32 v7, a179
	v_fma_f64 v[4:5], v[124:125], v[6:7], -v[4:5]
	v_add_f64 v[2:3], v[2:3], v[4:5]
	v_mul_f64 v[4:5], v[122:123], v[152:153]
	v_fma_f64 v[4:5], v[120:121], v[154:155], -v[4:5]
	v_add_f64 v[2:3], v[2:3], v[4:5]
	v_accvgpr_read_b32 v4, a180
	v_accvgpr_read_b32 v5, a181
	v_accvgpr_read_b32 v6, a182
	v_mul_f64 v[4:5], v[28:29], v[4:5]
	v_accvgpr_read_b32 v7, a183
	v_fma_f64 v[4:5], v[26:27], v[6:7], -v[4:5]
	v_add_f64 v[2:3], v[2:3], v[4:5]
	v_mul_f64 v[4:5], v[32:33], v[156:157]
	v_fma_f64 v[4:5], v[30:31], v[158:159], -v[4:5]
	v_add_f64 v[2:3], v[2:3], v[4:5]
	v_accvgpr_read_b32 v4, a184
	v_accvgpr_read_b32 v5, a185
	v_accvgpr_read_b32 v6, a186
	v_mul_f64 v[4:5], v[36:37], v[4:5]
	v_accvgpr_read_b32 v7, a187
	v_fma_f64 v[4:5], v[34:35], v[6:7], -v[4:5]
	v_add_f64 v[2:3], v[2:3], v[4:5]
	v_mul_f64 v[4:5], v[40:41], v[160:161]
	v_fma_f64 v[4:5], v[38:39], v[162:163], -v[4:5]
	v_add_f64 v[2:3], v[2:3], v[4:5]
	v_accvgpr_read_b32 v4, a188
	v_accvgpr_read_b32 v5, a189
	v_mul_f64 v[4:5], v[44:45], v[4:5]
	v_fma_f64 v[4:5], v[42:43], v[146:147], -v[4:5]
	v_add_f64 v[2:3], v[2:3], v[4:5]
	v_mul_f64 v[4:5], v[48:49], v[164:165]
	v_fma_f64 v[4:5], v[46:47], v[166:167], -v[4:5]
	v_add_f64 v[2:3], v[2:3], v[4:5]
	;; [unrolled: 3-line block ×7, first 2 shown]
	v_mul_f64 v[4:5], v[72:73], v[188:189]
	v_fma_f64 v[4:5], v[70:71], v[56:57], -v[4:5]
	s_waitcnt vmcnt(6) lgkmcnt(0)
	v_mul_f64 v[106:107], v[102:103], v[230:231]
	v_add_f64 v[2:3], v[2:3], v[4:5]
	s_waitcnt vmcnt(4)
	v_fmac_f64_e32 v[106:107], v[104:105], v[232:233]
	v_add_f64 v[16:17], v[16:17], v[106:107]
	ds_read_b128 v[106:109], v1 offset:1712
	buffer_load_dword v239, off, s[0:3], 0 offset:876
	buffer_load_dword v238, off, s[0:3], 0 offset:872
	;; [unrolled: 1-line block ×4, first 2 shown]
	v_mul_f64 v[4:5], v[226:227], v[194:195]
	v_fma_f64 v[4:5], v[224:225], v[196:197], -v[4:5]
	v_add_f64 v[2:3], v[2:3], v[4:5]
	s_waitcnt vmcnt(6) lgkmcnt(0)
	v_mul_f64 v[110:111], v[106:107], v[234:235]
	s_waitcnt vmcnt(4)
	v_fmac_f64_e32 v[110:111], v[108:109], v[236:237]
	v_add_f64 v[16:17], v[16:17], v[110:111]
	ds_read_b128 v[110:113], v1 offset:1728
	buffer_load_dword v244, off, s[0:3], 0 offset:888
	buffer_load_dword v245, off, s[0:3], 0 offset:892
	;; [unrolled: 1-line block ×4, first 2 shown]
	v_mul_f64 v[4:5], v[80:81], v[198:199]
	v_fma_f64 v[4:5], v[78:79], v[202:203], -v[4:5]
	v_add_f64 v[2:3], v[2:3], v[4:5]
	v_mul_f64 v[4:5], v[84:85], v[192:193]
	v_fma_f64 v[4:5], v[82:83], v[200:201], -v[4:5]
	v_add_f64 v[2:3], v[2:3], v[4:5]
	;; [unrolled: 3-line block ×8, first 2 shown]
	s_waitcnt vmcnt(6) lgkmcnt(0)
	v_mul_f64 v[114:115], v[110:111], v[238:239]
	v_mul_f64 v[4:5], v[112:113], v[238:239]
	s_waitcnt vmcnt(4)
	v_fmac_f64_e32 v[114:115], v[112:113], v[240:241]
	v_add_f64 v[16:17], v[16:17], v[114:115]
	ds_read_b128 v[114:117], v1 offset:1744
	v_fma_f64 v[4:5], v[110:111], v[240:241], -v[4:5]
	v_add_f64 v[2:3], v[2:3], v[4:5]
	s_waitcnt vmcnt(2) lgkmcnt(0)
	v_mul_f64 v[248:249], v[114:115], v[244:245]
	s_waitcnt vmcnt(0)
	v_fmac_f64_e32 v[248:249], v[116:117], v[246:247]
	v_add_f64 v[16:17], v[16:17], v[248:249]
	buffer_load_dword v248, off, s[0:3], 0 offset:96
	buffer_load_dword v249, off, s[0:3], 0 offset:100
	;; [unrolled: 1-line block ×4, first 2 shown]
	v_mul_f64 v[4:5], v[116:117], v[244:245]
	v_fma_f64 v[4:5], v[114:115], v[246:247], -v[4:5]
	v_add_f64 v[2:3], v[2:3], v[4:5]
	s_waitcnt vmcnt(2)
	v_add_f64 v[2:3], v[248:249], -v[2:3]
	s_waitcnt vmcnt(0)
	v_add_f64 v[4:5], v[218:219], -v[16:17]
	buffer_store_dword v3, off, s[0:3], 0 offset:100
	buffer_store_dword v2, off, s[0:3], 0 offset:96
	;; [unrolled: 1-line block ×4, first 2 shown]
	s_and_saveexec_b64 s[4:5], vcc
	s_cbranch_execz .LBB54_335
; %bb.334:
	v_accvgpr_read_b32 v0, a160
	buffer_load_dword v2, v0, s[0:3], 0 offen
	buffer_load_dword v3, v0, s[0:3], 0 offen offset:4
	buffer_load_dword v4, v0, s[0:3], 0 offen offset:8
	buffer_load_dword v5, v0, s[0:3], 0 offen offset:12
	v_accvgpr_read_b32 v0, a165
	buffer_store_dword v1, off, s[0:3], 0 offset:80
	buffer_store_dword v1, off, s[0:3], 0 offset:84
	;; [unrolled: 1-line block ×4, first 2 shown]
	s_waitcnt vmcnt(4)
	ds_write_b128 v0, v[2:5]
.LBB54_335:
	s_or_b64 exec, exec, s[4:5]
	s_waitcnt lgkmcnt(0)
	; wave barrier
	s_waitcnt lgkmcnt(0)
	buffer_load_dword v212, off, s[0:3], 0 offset:96
	buffer_load_dword v213, off, s[0:3], 0 offset:100
	;; [unrolled: 1-line block ×42, first 2 shown]
	ds_read_b128 v[42:45], v1 offset:960
	ds_read_b128 v[108:111], v1 offset:976
	ds_read_b128 v[112:115], v1 offset:992
	ds_read_b128 v[116:119], v1 offset:1008
	ds_read_b128 v[170:173], v1 offset:1024
	ds_read_b128 v[180:183], v1 offset:1040
	ds_read_b128 v[184:187], v1 offset:1056
	ds_read_b128 v[188:191], v1 offset:1072
	ds_read_b128 v[192:195], v1 offset:1088
	ds_read_b128 v[196:199], v1 offset:1104
	buffer_load_dword v201, off, s[0:3], 0 offset:244
	buffer_load_dword v200, off, s[0:3], 0 offset:240
	ds_read_b128 v[46:49], v1 offset:1120
	buffer_load_dword v85, off, s[0:3], 0 offset:300
	buffer_load_dword v84, off, s[0:3], 0 offset:296
	;; [unrolled: 1-line block ×6, first 2 shown]
	s_waitcnt vmcnt(46) lgkmcnt(10)
	v_mul_f64 v[2:3], v[42:43], v[36:37]
	v_fmac_f64_e32 v[2:3], v[44:45], v[212:213]
	v_add_f64 v[2:3], v[2:3], 0
	v_mul_f64 v[36:37], v[44:45], v[36:37]
	s_waitcnt vmcnt(42) lgkmcnt(9)
	v_mul_f64 v[4:5], v[108:109], v[40:41]
	v_fmac_f64_e32 v[4:5], v[110:111], v[38:39]
	v_add_f64 v[2:3], v[2:3], v[4:5]
	buffer_load_dword v211, off, s[0:3], 0 offset:276
	buffer_load_dword v210, off, s[0:3], 0 offset:272
	;; [unrolled: 1-line block ×36, first 2 shown]
	s_waitcnt vmcnt(62) lgkmcnt(8)
	v_mul_f64 v[6:7], v[112:113], v[160:161]
	s_waitcnt lgkmcnt(6)
	v_mul_f64 v[10:11], v[170:171], v[174:175]
	v_fmac_f64_e32 v[10:11], v[172:173], v[176:177]
	v_mul_f64 v[40:41], v[110:111], v[40:41]
	v_mul_f64 v[8:9], v[116:117], v[56:57]
	v_fma_f64 v[228:229], v[108:109], v[38:39], -v[40:41]
	s_waitcnt lgkmcnt(4)
	v_mul_f64 v[14:15], v[184:185], v[58:59]
	v_mul_f64 v[108:109], v[114:115], v[160:161]
	v_fmac_f64_e32 v[14:15], v[186:187], v[60:61]
	v_mul_f64 v[56:57], v[118:119], v[56:57]
	v_mul_f64 v[12:13], v[180:181], v[62:63]
	;; [unrolled: 1-line block ×3, first 2 shown]
	s_waitcnt lgkmcnt(2)
	v_mul_f64 v[18:19], v[192:193], v[64:65]
	s_waitcnt vmcnt(59)
	v_mul_f64 v[16:17], v[188:189], v[70:71]
	s_waitcnt vmcnt(57) lgkmcnt(1)
	v_mul_f64 v[20:21], v[196:197], v[68:69]
	s_waitcnt vmcnt(55)
	v_fmac_f64_e32 v[6:7], v[114:115], v[78:79]
	v_add_f64 v[2:3], v[2:3], v[6:7]
	s_waitcnt vmcnt(53)
	v_fmac_f64_e32 v[8:9], v[118:119], v[76:77]
	v_add_f64 v[2:3], v[2:3], v[8:9]
	;; [unrolled: 3-line block ×3, first 2 shown]
	v_add_f64 v[2:3], v[2:3], v[12:13]
	s_waitcnt vmcnt(49)
	v_fmac_f64_e32 v[16:17], v[190:191], v[72:73]
	v_add_f64 v[2:3], v[2:3], v[14:15]
	s_waitcnt vmcnt(48)
	v_fmac_f64_e32 v[18:19], v[194:195], v[66:67]
	v_add_f64 v[2:3], v[2:3], v[16:17]
	v_add_f64 v[2:3], v[2:3], v[18:19]
	v_fma_f64 v[78:79], v[112:113], v[78:79], -v[108:109]
	s_waitcnt vmcnt(42)
	v_fmac_f64_e32 v[20:21], v[198:199], v[200:201]
	v_add_f64 v[2:3], v[2:3], v[20:21]
	s_waitcnt vmcnt(0)
	v_pk_mov_b32 v[18:19], v[4:5], v[4:5] op_sel:[0,1]
	buffer_load_dword v5, off, s[0:3], 0 offset:452
	buffer_load_dword v4, off, s[0:3], 0 offset:448
	v_accvgpr_write_b32 a171, v19
	v_accvgpr_write_b32 a170, v18
	s_waitcnt vmcnt(0)
	v_pk_mov_b32 v[22:23], v[4:5], v[4:5] op_sel:[0,1]
	buffer_load_dword v5, off, s[0:3], 0 offset:444
	buffer_load_dword v4, off, s[0:3], 0 offset:440
	v_accvgpr_write_b32 a173, v23
	v_accvgpr_write_b32 a172, v22
	;; [unrolled: 6-line block ×12, first 2 shown]
	s_waitcnt vmcnt(0)
	v_pk_mov_b32 v[178:179], v[4:5], v[4:5] op_sel:[0,1]
	buffer_load_dword v5, off, s[0:3], 0 offset:548
	buffer_load_dword v4, off, s[0:3], 0 offset:544
	s_waitcnt vmcnt(0)
	v_pk_mov_b32 v[202:203], v[4:5], v[4:5] op_sel:[0,1]
	buffer_load_dword v153, off, s[0:3], 0 offset:540
	buffer_load_dword v152, off, s[0:3], 0 offset:536
	;; [unrolled: 1-line block ×12, first 2 shown]
	ds_read_b128 v[204:207], v1 offset:1136
	ds_read_b128 v[216:219], v1 offset:1152
	;; [unrolled: 1-line block ×14, first 2 shown]
	s_waitcnt lgkmcnt(4)
	v_mul_f64 v[8:9], v[252:253], v[94:95]
	ds_read_b128 v[132:135], v1 offset:1360
	ds_read_b128 v[128:131], v1 offset:1376
	v_fmac_f64_e32 v[8:9], v[254:255], v[96:97]
	s_waitcnt lgkmcnt(5)
	v_mul_f64 v[12:13], v[148:149], v[14:15]
	v_fmac_f64_e32 v[12:13], v[150:151], v[16:17]
	s_waitcnt lgkmcnt(4)
	v_mul_f64 v[16:17], v[144:145], v[18:19]
	;; [unrolled: 3-line block ×5, first 2 shown]
	ds_read_b128 v[124:127], v1 offset:1392
	v_fmac_f64_e32 v[28:29], v[134:135], v[120:121]
	ds_read_b128 v[120:123], v1 offset:1408
	s_waitcnt lgkmcnt(2)
	v_mul_f64 v[32:33], v[128:129], v[164:165]
	v_fmac_f64_e32 v[32:33], v[130:131], v[166:167]
	v_accvgpr_write_b32 a190, v202
	v_accvgpr_write_b32 a191, v203
	v_mul_f64 v[94:95], v[254:255], v[94:95]
	v_fma_f64 v[252:253], v[252:253], v[96:97], -v[94:95]
	s_waitcnt vmcnt(6)
	v_pk_mov_b32 v[214:215], v[4:5], v[4:5] op_sel:[0,1]
	v_mul_f64 v[4:5], v[46:47], v[80:81]
	v_fmac_f64_e32 v[4:5], v[48:49], v[82:83]
	v_add_f64 v[2:3], v[2:3], v[4:5]
	v_mul_f64 v[4:5], v[204:205], v[208:209]
	v_fmac_f64_e32 v[4:5], v[206:207], v[210:211]
	v_add_f64 v[2:3], v[2:3], v[4:5]
	;; [unrolled: 3-line block ×10, first 2 shown]
	v_add_f64 v[10:11], v[6:7], v[8:9]
	v_add_f64 v[14:15], v[10:11], v[12:13]
	;; [unrolled: 1-line block ×7, first 2 shown]
	ds_read_b128 v[30:33], v1 offset:1424
	s_waitcnt lgkmcnt(2)
	v_mul_f64 v[4:5], v[124:125], v[152:153]
	v_fma_f64 v[26:27], v[42:43], v[212:213], -v[36:37]
	v_fmac_f64_e32 v[4:5], v[126:127], v[154:155]
	s_waitcnt lgkmcnt(1)
	v_mul_f64 v[42:43], v[120:121], v[178:179]
	v_add_f64 v[4:5], v[164:165], v[4:5]
	v_fmac_f64_e32 v[42:43], v[122:123], v[202:203]
	v_add_f64 v[4:5], v[4:5], v[42:43]
	s_waitcnt vmcnt(2) lgkmcnt(0)
	v_mul_f64 v[42:43], v[30:31], v[156:157]
	s_waitcnt vmcnt(0)
	v_fmac_f64_e32 v[42:43], v[32:33], v[158:159]
	v_add_f64 v[4:5], v[4:5], v[42:43]
	ds_read_b128 v[42:45], v1 offset:1440
	ds_read_b128 v[38:41], v1 offset:1456
	buffer_load_dword v160, off, s[0:3], 0 offset:616
	buffer_load_dword v165, off, s[0:3], 0 offset:604
	;; [unrolled: 1-line block ×5, first 2 shown]
	v_fma_f64 v[212:213], v[116:117], v[76:77], -v[56:57]
	buffer_load_dword v56, off, s[0:3], 0 offset:608
	buffer_load_dword v161, off, s[0:3], 0 offset:620
	;; [unrolled: 1-line block ×5, first 2 shown]
	v_mul_f64 v[76:77], v[172:173], v[174:175]
	v_pk_mov_b32 v[36:37], v[178:179], v[178:179] op_sel:[0,1]
	v_fma_f64 v[22:23], v[170:171], v[176:177], -v[76:77]
	buffer_load_dword v177, off, s[0:3], 0 offset:636
	buffer_load_dword v176, off, s[0:3], 0 offset:632
	;; [unrolled: 1-line block ×7, first 2 shown]
	v_mul_f64 v[8:9], v[182:183], v[62:63]
	v_fma_f64 v[18:19], v[180:181], v[74:75], -v[8:9]
	buffer_load_dword v172, off, s[0:3], 0 offset:672
	buffer_load_dword v181, off, s[0:3], 0 offset:668
	;; [unrolled: 1-line block ×7, first 2 shown]
	v_fma_f64 v[14:15], v[184:185], v[60:61], -v[58:59]
	buffer_load_dword v185, off, s[0:3], 0 offset:700
	buffer_load_dword v184, off, s[0:3], 0 offset:696
	;; [unrolled: 1-line block ×4, first 2 shown]
	v_mul_f64 v[58:59], v[190:191], v[70:71]
	v_mul_f64 v[16:17], v[194:195], v[64:65]
	buffer_load_dword v190, off, s[0:3], 0 offset:712
	v_fma_f64 v[16:17], v[192:193], v[66:67], -v[16:17]
	buffer_load_dword v192, off, s[0:3], 0 offset:704
	buffer_load_dword v191, off, s[0:3], 0 offset:716
	;; [unrolled: 1-line block ×3, first 2 shown]
	v_fma_f64 v[10:11], v[188:189], v[72:73], -v[58:59]
	v_mul_f64 v[58:59], v[198:199], v[68:69]
	v_fma_f64 v[8:9], v[196:197], v[200:201], -v[58:59]
	buffer_load_dword v189, off, s[0:3], 0 offset:748
	buffer_load_dword v195, off, s[0:3], 0 offset:732
	;; [unrolled: 1-line block ×12, first 2 shown]
	v_mul_f64 v[20:21], v[48:49], v[80:81]
	v_accvgpr_write_b32 a192, v214
	v_fma_f64 v[20:21], v[46:47], v[82:83], -v[20:21]
	v_mul_f64 v[46:47], v[206:207], v[208:209]
	s_waitcnt lgkmcnt(1)
	v_mul_f64 v[12:13], v[42:43], v[214:215]
	v_accvgpr_write_b32 a193, v215
	v_fma_f64 v[6:7], v[204:205], v[210:211], -v[46:47]
	buffer_load_dword v206, off, s[0:3], 0 offset:776
	buffer_load_dword v208, off, s[0:3], 0 offset:768
	;; [unrolled: 1-line block ×12, first 2 shown]
	v_fmac_f64_e32 v[12:13], v[44:45], v[34:35]
	v_add_f64 v[12:13], v[4:5], v[12:13]
	v_mul_f64 v[4:5], v[218:219], v[84:85]
	v_fma_f64 v[24:25], v[216:217], v[86:87], -v[4:5]
	buffer_load_dword v217, off, s[0:3], 0 offset:828
	buffer_load_dword v216, off, s[0:3], 0 offset:824
	;; [unrolled: 1-line block ×4, first 2 shown]
	ds_read_b128 v[46:49], v1 offset:1472
	v_mul_f64 v[50:51], v[222:223], v[50:51]
	v_fma_f64 v[218:219], v[220:221], v[52:53], -v[50:51]
	ds_read_b128 v[50:53], v1 offset:1488
	ds_read_b128 v[220:223], v1 offset:1504
	v_mul_f64 v[54:55], v[232:233], v[54:55]
	v_mul_f64 v[70:71], v[236:237], v[100:101]
	v_fma_f64 v[54:55], v[230:231], v[168:169], -v[54:55]
	v_fma_f64 v[168:169], v[234:235], v[102:103], -v[70:71]
	ds_read_b128 v[94:97], v1 offset:1664
	v_add_f64 v[26:27], v[26:27], 0
	v_add_f64 v[26:27], v[26:27], v[228:229]
	;; [unrolled: 1-line block ×7, first 2 shown]
	ds_read_b128 v[70:73], v1 offset:1568
	v_add_f64 v[10:11], v[14:15], v[10:11]
	v_add_f64 v[10:11], v[10:11], v[16:17]
	v_add_f64 v[8:9], v[10:11], v[8:9]
	v_add_f64 v[8:9], v[8:9], v[20:21]
	v_add_f64 v[6:7], v[8:9], v[6:7]
	v_add_f64 v[6:7], v[6:7], v[24:25]
	v_add_f64 v[6:7], v[6:7], v[218:219]
	ds_read_b128 v[82:85], v1 offset:1616
	s_waitcnt vmcnt(57) lgkmcnt(6)
	v_mul_f64 v[58:59], v[38:39], v[164:165]
	s_waitcnt vmcnt(55)
	v_fmac_f64_e32 v[58:59], v[40:41], v[166:167]
	v_add_f64 v[12:13], v[12:13], v[58:59]
	s_waitcnt vmcnt(53) lgkmcnt(5)
	v_mul_f64 v[58:59], v[46:47], v[160:161]
	s_waitcnt vmcnt(52)
	v_fmac_f64_e32 v[58:59], v[48:49], v[56:57]
	v_add_f64 v[12:13], v[12:13], v[58:59]
	v_mul_f64 v[58:59], v[226:227], v[250:251]
	v_fma_f64 v[162:163], v[224:225], v[162:163], -v[58:59]
	ds_read_b128 v[58:61], v1 offset:1520
	s_waitcnt vmcnt(48) lgkmcnt(5)
	v_mul_f64 v[62:63], v[50:51], v[176:177]
	s_waitcnt vmcnt(46)
	v_fmac_f64_e32 v[62:63], v[52:53], v[178:179]
	v_add_f64 v[12:13], v[12:13], v[62:63]
	ds_read_b128 v[62:65], v1 offset:1536
	s_waitcnt lgkmcnt(5)
	v_mul_f64 v[66:67], v[220:221], v[118:119]
	s_waitcnt vmcnt(44)
	v_fmac_f64_e32 v[66:67], v[222:223], v[174:175]
	v_add_f64 v[12:13], v[12:13], v[66:67]
	s_waitcnt vmcnt(40) lgkmcnt(1)
	v_mul_f64 v[66:67], v[58:59], v[180:181]
	s_waitcnt vmcnt(38)
	v_fmac_f64_e32 v[66:67], v[60:61], v[182:183]
	v_add_f64 v[12:13], v[12:13], v[66:67]
	s_waitcnt vmcnt(37) lgkmcnt(0)
	v_mul_f64 v[66:67], v[62:63], v[170:171]
	s_waitcnt vmcnt(36)
	v_fmac_f64_e32 v[66:67], v[64:65], v[172:173]
	v_add_f64 v[12:13], v[12:13], v[66:67]
	ds_read_b128 v[66:69], v1 offset:1552
	ds_read_b128 v[224:227], v1 offset:1600
	s_waitcnt vmcnt(29)
	v_mul_f64 v[28:29], v[70:71], v[190:191]
	s_waitcnt vmcnt(28)
	v_fmac_f64_e32 v[28:29], v[72:73], v[192:193]
	v_add_f64 v[6:7], v[6:7], v[162:163]
	s_waitcnt lgkmcnt(1)
	v_mul_f64 v[74:75], v[66:67], v[184:185]
	v_fmac_f64_e32 v[74:75], v[68:69], v[186:187]
	v_add_f64 v[12:13], v[12:13], v[74:75]
	v_mul_f64 v[74:75], v[240:241], v[104:105]
	v_fma_f64 v[2:3], v[238:239], v[106:107], -v[74:75]
	ds_read_b128 v[74:77], v1 offset:1584
	v_add_f64 v[12:13], v[12:13], v[28:29]
	v_mul_f64 v[28:29], v[244:245], v[88:89]
	v_fma_f64 v[28:29], v[242:243], v[92:93], -v[28:29]
	v_mul_f64 v[88:89], v[248:249], v[90:91]
	s_waitcnt vmcnt(25) lgkmcnt(0)
	v_mul_f64 v[86:87], v[74:75], v[194:195]
	s_waitcnt vmcnt(23)
	v_fmac_f64_e32 v[86:87], v[76:77], v[200:201]
	v_add_f64 v[12:13], v[12:13], v[86:87]
	s_waitcnt vmcnt(22)
	v_mul_f64 v[86:87], v[224:225], v[188:189]
	s_waitcnt vmcnt(20)
	v_fmac_f64_e32 v[86:87], v[226:227], v[198:199]
	v_add_f64 v[12:13], v[12:13], v[86:87]
	s_waitcnt vmcnt(18)
	v_mul_f64 v[86:87], v[82:83], v[196:197]
	ds_read_b128 v[90:93], v1 offset:1632
	s_waitcnt vmcnt(16)
	v_fmac_f64_e32 v[86:87], v[84:85], v[202:203]
	v_fma_f64 v[250:251], v[246:247], v[98:99], -v[88:89]
	v_add_f64 v[12:13], v[12:13], v[86:87]
	ds_read_b128 v[86:89], v1 offset:1648
	s_waitcnt vmcnt(13) lgkmcnt(1)
	v_mul_f64 v[98:99], v[90:91], v[206:207]
	s_waitcnt vmcnt(12)
	v_fmac_f64_e32 v[98:99], v[92:93], v[208:209]
	v_add_f64 v[12:13], v[12:13], v[98:99]
	v_add_f64 v[6:7], v[6:7], v[54:55]
	s_waitcnt vmcnt(9) lgkmcnt(0)
	v_mul_f64 v[98:99], v[86:87], v[80:81]
	s_waitcnt vmcnt(7)
	v_fmac_f64_e32 v[98:99], v[88:89], v[214:215]
	v_add_f64 v[12:13], v[12:13], v[98:99]
	s_waitcnt vmcnt(5)
	v_mul_f64 v[98:99], v[94:95], v[204:205]
	s_waitcnt vmcnt(4)
	v_fmac_f64_e32 v[98:99], v[96:97], v[210:211]
	v_add_f64 v[12:13], v[12:13], v[98:99]
	ds_read_b128 v[98:101], v1 offset:1680
	buffer_load_dword v230, off, s[0:3], 0 offset:840
	buffer_load_dword v231, off, s[0:3], 0 offset:844
	buffer_load_dword v232, off, s[0:3], 0 offset:832
	buffer_load_dword v233, off, s[0:3], 0 offset:836
	v_add_f64 v[6:7], v[6:7], v[168:169]
	v_add_f64 v[2:3], v[6:7], v[2:3]
	;; [unrolled: 1-line block ×3, first 2 shown]
	s_waitcnt vmcnt(6) lgkmcnt(0)
	v_mul_f64 v[102:103], v[98:99], v[216:217]
	s_waitcnt vmcnt(4)
	v_fmac_f64_e32 v[102:103], v[100:101], v[4:5]
	v_add_f64 v[12:13], v[12:13], v[102:103]
	ds_read_b128 v[102:105], v1 offset:1696
	v_add_f64 v[2:3], v[254:255], v[250:251]
	v_add_f64 v[2:3], v[2:3], v[252:253]
	s_waitcnt vmcnt(2) lgkmcnt(0)
	v_mul_f64 v[106:107], v[102:103], v[230:231]
	s_waitcnt vmcnt(0)
	v_fmac_f64_e32 v[106:107], v[104:105], v[232:233]
	v_add_f64 v[110:111], v[12:13], v[106:107]
	buffer_load_dword v13, off, s[0:3], 0 offset:860
	buffer_load_dword v12, off, s[0:3], 0 offset:856
	;; [unrolled: 1-line block ×4, first 2 shown]
	ds_read_b128 v[106:109], v1 offset:1712
	buffer_load_dword v236, off, s[0:3], 0 offset:872
	buffer_load_dword v237, off, s[0:3], 0 offset:876
	;; [unrolled: 1-line block ×4, first 2 shown]
	s_waitcnt vmcnt(6) lgkmcnt(0)
	v_mul_f64 v[112:113], v[106:107], v[12:13]
	s_waitcnt vmcnt(4)
	v_fmac_f64_e32 v[112:113], v[108:109], v[234:235]
	v_add_f64 v[114:115], v[110:111], v[112:113]
	ds_read_b128 v[110:113], v1 offset:1728
	buffer_load_dword v243, off, s[0:3], 0 offset:892
	buffer_load_dword v242, off, s[0:3], 0 offset:888
	;; [unrolled: 1-line block ×4, first 2 shown]
	s_waitcnt vmcnt(6) lgkmcnt(0)
	v_mul_f64 v[116:117], v[110:111], v[236:237]
	s_waitcnt vmcnt(4)
	v_fmac_f64_e32 v[116:117], v[112:113], v[238:239]
	v_add_f64 v[240:241], v[114:115], v[116:117]
	ds_read_b128 v[114:117], v1 offset:1744
	v_accvgpr_read_b32 v0, a166
	v_accvgpr_read_b32 v1, a167
	v_mul_f64 v[6:7], v[150:151], v[0:1]
	v_accvgpr_read_b32 v0, a168
	v_accvgpr_read_b32 v1, a169
	v_fma_f64 v[6:7], v[148:149], v[0:1], -v[6:7]
	v_accvgpr_read_b32 v0, a170
	v_accvgpr_read_b32 v1, a171
	v_add_f64 v[2:3], v[2:3], v[6:7]
	v_mul_f64 v[6:7], v[146:147], v[0:1]
	v_accvgpr_read_b32 v0, a172
	v_accvgpr_read_b32 v1, a173
	v_fma_f64 v[6:7], v[144:145], v[0:1], -v[6:7]
	v_accvgpr_read_b32 v0, a174
	v_accvgpr_read_b32 v1, a175
	v_add_f64 v[2:3], v[2:3], v[6:7]
	;; [unrolled: 7-line block ×5, first 2 shown]
	v_mul_f64 v[6:7], v[130:131], v[0:1]
	v_accvgpr_read_b32 v0, a188
	v_accvgpr_read_b32 v1, a189
	v_fma_f64 v[6:7], v[128:129], v[0:1], -v[6:7]
	v_add_f64 v[2:3], v[2:3], v[6:7]
	v_mul_f64 v[6:7], v[126:127], v[152:153]
	v_fma_f64 v[6:7], v[124:125], v[154:155], -v[6:7]
	v_accvgpr_read_b32 v0, a190
	v_add_f64 v[2:3], v[2:3], v[6:7]
	v_mul_f64 v[6:7], v[122:123], v[36:37]
	v_accvgpr_read_b32 v1, a191
	v_fma_f64 v[6:7], v[120:121], v[0:1], -v[6:7]
	v_add_f64 v[2:3], v[2:3], v[6:7]
	v_mul_f64 v[6:7], v[32:33], v[156:157]
	v_accvgpr_read_b32 v0, a192
	v_fma_f64 v[6:7], v[30:31], v[158:159], -v[6:7]
	v_accvgpr_read_b32 v1, a193
	v_add_f64 v[2:3], v[2:3], v[6:7]
	v_mul_f64 v[6:7], v[44:45], v[0:1]
	v_fma_f64 v[6:7], v[42:43], v[34:35], -v[6:7]
	v_add_f64 v[2:3], v[2:3], v[6:7]
	v_mul_f64 v[6:7], v[40:41], v[164:165]
	v_fma_f64 v[6:7], v[38:39], v[166:167], -v[6:7]
	;; [unrolled: 3-line block ×5, first 2 shown]
	v_add_f64 v[2:3], v[2:3], v[6:7]
	s_waitcnt vmcnt(2) lgkmcnt(0)
	v_mul_f64 v[246:247], v[114:115], v[242:243]
	v_mul_f64 v[6:7], v[60:61], v[180:181]
	s_waitcnt vmcnt(0)
	v_fmac_f64_e32 v[246:247], v[116:117], v[244:245]
	v_add_f64 v[240:241], v[240:241], v[246:247]
	buffer_load_dword v248, off, s[0:3], 0 offset:80
	buffer_load_dword v249, off, s[0:3], 0 offset:84
	;; [unrolled: 1-line block ×4, first 2 shown]
	v_fma_f64 v[6:7], v[58:59], v[182:183], -v[6:7]
	v_add_f64 v[2:3], v[2:3], v[6:7]
	v_mul_f64 v[6:7], v[64:65], v[170:171]
	v_fma_f64 v[6:7], v[62:63], v[172:173], -v[6:7]
	v_add_f64 v[2:3], v[2:3], v[6:7]
	v_mul_f64 v[6:7], v[68:69], v[184:185]
	;; [unrolled: 3-line block ×14, first 2 shown]
	v_fma_f64 v[4:5], v[114:115], v[244:245], -v[4:5]
	v_add_f64 v[2:3], v[2:3], v[4:5]
	v_accvgpr_read_b32 v0, a164
	v_cmp_lt_u32_e32 vcc, 3, v0
	s_waitcnt vmcnt(2)
	v_add_f64 v[2:3], v[248:249], -v[2:3]
	s_waitcnt vmcnt(0)
	v_add_f64 v[4:5], v[246:247], -v[240:241]
	buffer_store_dword v3, off, s[0:3], 0 offset:84
	buffer_store_dword v2, off, s[0:3], 0 offset:80
	;; [unrolled: 1-line block ×4, first 2 shown]
	s_and_saveexec_b64 s[4:5], vcc
	s_cbranch_execz .LBB54_337
; %bb.336:
	v_accvgpr_read_b32 v0, a161
	buffer_load_dword v2, v0, s[0:3], 0 offen
	buffer_load_dword v3, v0, s[0:3], 0 offen offset:4
	buffer_load_dword v4, v0, s[0:3], 0 offen offset:8
	buffer_load_dword v5, v0, s[0:3], 0 offen offset:12
	v_mov_b32_e32 v0, 0
	v_accvgpr_read_b32 v1, a165
	buffer_store_dword v0, off, s[0:3], 0 offset:64
	buffer_store_dword v0, off, s[0:3], 0 offset:68
	;; [unrolled: 1-line block ×4, first 2 shown]
	s_waitcnt vmcnt(4)
	ds_write_b128 v1, v[2:5]
.LBB54_337:
	s_or_b64 exec, exec, s[4:5]
	v_mov_b32_e32 v144, 0
	s_waitcnt lgkmcnt(0)
	; wave barrier
	s_waitcnt lgkmcnt(0)
	buffer_load_dword v30, off, s[0:3], 0 offset:80
	buffer_load_dword v31, off, s[0:3], 0 offset:84
	;; [unrolled: 1-line block ×54, first 2 shown]
	ds_read_b128 v[114:117], v144 offset:944
	ds_read_b128 v[158:161], v144 offset:960
	;; [unrolled: 1-line block ×9, first 2 shown]
	buffer_load_dword v109, off, s[0:3], 0 offset:308
	buffer_load_dword v108, off, s[0:3], 0 offset:304
	;; [unrolled: 1-line block ×32, first 2 shown]
	s_waitcnt vmcnt(62) lgkmcnt(8)
	v_mul_f64 v[2:3], v[114:115], v[32:33]
	v_fmac_f64_e32 v[2:3], v[116:117], v[30:31]
	v_add_f64 v[2:3], v[2:3], 0
	v_mul_f64 v[32:33], v[116:117], v[32:33]
	s_waitcnt lgkmcnt(7)
	v_mul_f64 v[4:5], v[158:159], v[38:39]
	v_fmac_f64_e32 v[4:5], v[160:161], v[36:37]
	s_waitcnt lgkmcnt(6)
	v_mul_f64 v[6:7], v[168:169], v[34:35]
	v_add_f64 v[2:3], v[2:3], v[4:5]
	s_waitcnt lgkmcnt(4)
	v_mul_f64 v[10:11], v[176:177], v[40:41]
	v_fma_f64 v[254:255], v[114:115], v[30:31], -v[32:33]
	v_fmac_f64_e32 v[10:11], v[178:179], v[42:43]
	v_mul_f64 v[38:39], v[160:161], v[38:39]
	v_mul_f64 v[8:9], v[172:173], v[44:45]
	s_waitcnt lgkmcnt(2)
	v_mul_f64 v[14:15], v[184:185], v[48:49]
	v_fmac_f64_e32 v[14:15], v[186:187], v[50:51]
	v_mul_f64 v[12:13], v[180:181], v[56:57]
	s_waitcnt lgkmcnt(1)
	v_mul_f64 v[16:17], v[188:189], v[52:53]
	s_waitcnt vmcnt(60)
	v_fmac_f64_e32 v[6:7], v[170:171], v[62:63]
	v_add_f64 v[2:3], v[2:3], v[6:7]
	s_waitcnt vmcnt(58)
	v_fmac_f64_e32 v[8:9], v[174:175], v[60:61]
	v_add_f64 v[2:3], v[2:3], v[8:9]
	;; [unrolled: 3-line block ×3, first 2 shown]
	v_add_f64 v[2:3], v[2:3], v[12:13]
	v_add_f64 v[2:3], v[2:3], v[14:15]
	s_waitcnt vmcnt(54)
	v_fmac_f64_e32 v[16:17], v[190:191], v[54:55]
	v_add_f64 v[2:3], v[2:3], v[16:17]
	s_waitcnt vmcnt(50) lgkmcnt(0)
	v_mul_f64 v[4:5], v[192:193], v[46:47]
	v_fmac_f64_e32 v[4:5], v[194:195], v[64:65]
	v_add_f64 v[2:3], v[2:3], v[4:5]
	s_waitcnt vmcnt(0)
	v_pk_mov_b32 v[14:15], v[0:1], v[0:1] op_sel:[0,1]
	buffer_load_dword v1, off, s[0:3], 0 offset:436
	buffer_load_dword v0, off, s[0:3], 0 offset:432
	v_accvgpr_write_b32 a167, v15
	v_accvgpr_write_b32 a166, v14
	s_waitcnt vmcnt(0)
	v_pk_mov_b32 v[18:19], v[0:1], v[0:1] op_sel:[0,1]
	buffer_load_dword v95, off, s[0:3], 0 offset:428
	buffer_load_dword v94, off, s[0:3], 0 offset:424
	buffer_load_dword v97, off, s[0:3], 0 offset:420
	buffer_load_dword v96, off, s[0:3], 0 offset:416
	buffer_load_dword v1, off, s[0:3], 0 offset:476
	buffer_load_dword v0, off, s[0:3], 0 offset:472
	v_accvgpr_write_b32 a169, v19
	v_accvgpr_write_b32 a168, v18
	s_waitcnt vmcnt(0)
	v_pk_mov_b32 v[22:23], v[0:1], v[0:1] op_sel:[0,1]
	buffer_load_dword v1, off, s[0:3], 0 offset:468
	buffer_load_dword v0, off, s[0:3], 0 offset:464
	v_accvgpr_write_b32 a175, v23
	v_accvgpr_write_b32 a174, v22
	s_waitcnt vmcnt(0)
	v_pk_mov_b32 v[24:25], v[0:1], v[0:1] op_sel:[0,1]
	buffer_load_dword v1, off, s[0:3], 0 offset:460
	buffer_load_dword v0, off, s[0:3], 0 offset:456
	;; [unrolled: 6-line block ×11, first 2 shown]
	ds_read_b128 v[196:199], v144 offset:1088
	ds_read_b128 v[200:203], v144 offset:1104
	;; [unrolled: 1-line block ×8, first 2 shown]
	s_waitcnt lgkmcnt(7)
	v_mul_f64 v[4:5], v[196:197], v[70:71]
	v_fmac_f64_e32 v[4:5], v[198:199], v[72:73]
	v_add_f64 v[2:3], v[2:3], v[4:5]
	s_waitcnt lgkmcnt(6)
	v_mul_f64 v[4:5], v[200:201], v[66:67]
	v_fmac_f64_e32 v[4:5], v[202:203], v[68:69]
	v_add_f64 v[2:3], v[2:3], v[4:5]
	;; [unrolled: 4-line block ×8, first 2 shown]
	v_accvgpr_write_b32 a187, v157
	v_accvgpr_write_b32 a186, v156
	s_waitcnt vmcnt(0)
	v_pk_mov_b32 v[166:167], v[0:1], v[0:1] op_sel:[0,1]
	buffer_load_dword v1, off, s[0:3], 0 offset:572
	buffer_load_dword v155, off, s[0:3], 0 offset:556
	;; [unrolled: 1-line block ×8, first 2 shown]
	ds_read_b128 v[232:235], v144 offset:1216
	ds_read_b128 v[236:239], v144 offset:1232
	ds_read_b128 v[240:243], v144 offset:1248
	ds_read_b128 v[244:247], v144 offset:1264
	ds_read_b128 v[248:251], v144 offset:1280
	ds_read_b128 v[146:149], v144 offset:1296
	s_waitcnt lgkmcnt(5)
	v_mul_f64 v[4:5], v[232:233], v[102:103]
	v_fmac_f64_e32 v[4:5], v[234:235], v[106:107]
	v_add_f64 v[2:3], v[2:3], v[4:5]
	s_waitcnt lgkmcnt(4)
	v_mul_f64 v[4:5], v[236:237], v[78:79]
	v_fmac_f64_e32 v[4:5], v[238:239], v[80:81]
	v_add_f64 v[2:3], v[2:3], v[4:5]
	s_waitcnt lgkmcnt(3)
	v_mul_f64 v[4:5], v[240:241], v[82:83]
	ds_read_b128 v[136:139], v144 offset:1312
	ds_read_b128 v[132:135], v144 offset:1328
	v_fmac_f64_e32 v[4:5], v[242:243], v[84:85]
	v_add_f64 v[2:3], v[2:3], v[4:5]
	s_waitcnt lgkmcnt(4)
	v_mul_f64 v[4:5], v[244:245], v[86:87]
	ds_read_b128 v[128:131], v144 offset:1344
	ds_read_b128 v[124:127], v144 offset:1360
	v_fmac_f64_e32 v[4:5], v[246:247], v[88:89]
	s_waitcnt lgkmcnt(5)
	v_mul_f64 v[8:9], v[248:249], v[94:95]
	v_add_f64 v[6:7], v[2:3], v[4:5]
	v_fmac_f64_e32 v[8:9], v[250:251], v[96:97]
	s_waitcnt lgkmcnt(4)
	v_mul_f64 v[12:13], v[146:147], v[14:15]
	v_add_f64 v[10:11], v[6:7], v[8:9]
	;; [unrolled: 4-line block ×5, first 2 shown]
	v_fmac_f64_e32 v[28:29], v[130:131], v[142:143]
	ds_read_b128 v[140:143], v144 offset:1376
	v_add_f64 v[26:27], v[26:27], v[28:29]
	s_waitcnt lgkmcnt(1)
	v_mul_f64 v[28:29], v[124:125], v[120:121]
	v_fmac_f64_e32 v[28:29], v[126:127], v[122:123]
	ds_read_b128 v[120:123], v144 offset:1392
	v_add_f64 v[26:27], v[26:27], v[28:29]
	s_waitcnt lgkmcnt(1)
	v_mul_f64 v[28:29], v[140:141], v[156:157]
	v_fmac_f64_e32 v[28:29], v[142:143], v[166:167]
	v_accvgpr_write_b32 a189, v167
	s_waitcnt lgkmcnt(0)
	v_mul_f64 v[114:115], v[120:121], v[162:163]
	v_add_f64 v[156:157], v[26:27], v[28:29]
	v_fmac_f64_e32 v[114:115], v[122:123], v[164:165]
	v_accvgpr_write_b32 a188, v166
	ds_read_b128 v[30:33], v144 offset:1408
	v_add_f64 v[114:115], v[156:157], v[114:115]
	buffer_load_dword v157, off, s[0:3], 0 offset:604
	buffer_load_dword v156, off, s[0:3], 0 offset:600
	v_fma_f64 v[26:27], v[158:159], v[36:37], -v[38:39]
	buffer_load_dword v159, off, s[0:3], 0 offset:596
	buffer_load_dword v158, off, s[0:3], 0 offset:592
	;; [unrolled: 1-line block ×6, first 2 shown]
	v_mul_f64 v[4:5], v[170:171], v[34:35]
	v_fma_f64 v[24:25], v[168:169], v[62:63], -v[4:5]
	buffer_load_dword v160, off, s[0:3], 0 offset:632
	buffer_load_dword v165, off, s[0:3], 0 offset:620
	;; [unrolled: 1-line block ×5, first 2 shown]
	v_mul_f64 v[34:35], v[174:175], v[44:45]
	v_fma_f64 v[60:61], v[172:173], v[60:61], -v[34:35]
	ds_read_b128 v[34:37], v144 offset:1424
	buffer_load_dword v170, off, s[0:3], 0 offset:624
	buffer_load_dword v161, off, s[0:3], 0 offset:636
	;; [unrolled: 1-line block ×3, first 2 shown]
	v_mul_f64 v[8:9], v[194:195], v[46:47]
	v_fma_f64 v[18:19], v[192:193], v[64:65], -v[8:9]
	v_mul_f64 v[12:13], v[202:203], v[66:67]
	v_mul_f64 v[16:17], v[210:211], v[92:93]
	v_fma_f64 v[12:13], v[200:201], v[68:69], -v[12:13]
	v_fma_f64 v[16:17], v[208:209], v[76:77], -v[16:17]
	v_mul_f64 v[46:47], v[218:219], v[118:119]
	v_fma_f64 v[118:119], v[216:217], v[252:253], -v[46:47]
	v_mul_f64 v[66:67], v[226:227], v[110:111]
	;; [unrolled: 2-line block ×3, first 2 shown]
	v_fma_f64 v[252:253], v[228:229], v[98:99], -v[66:67]
	s_waitcnt vmcnt(21) lgkmcnt(1)
	v_mul_f64 v[38:39], v[30:31], v[154:155]
	v_mul_f64 v[78:79], v[238:239], v[78:79]
	s_waitcnt vmcnt(19)
	v_fmac_f64_e32 v[38:39], v[32:33], v[152:153]
	s_waitcnt vmcnt(18) lgkmcnt(0)
	v_mul_f64 v[44:45], v[34:35], v[0:1]
	v_add_f64 v[38:39], v[114:115], v[38:39]
	s_waitcnt vmcnt(16)
	v_fmac_f64_e32 v[44:45], v[36:37], v[150:151]
	v_add_f64 v[62:63], v[38:39], v[44:45]
	v_mul_f64 v[38:39], v[178:179], v[40:41]
	v_fma_f64 v[172:173], v[176:177], v[42:43], -v[38:39]
	v_mul_f64 v[38:39], v[182:183], v[56:57]
	v_fma_f64 v[114:115], v[180:181], v[58:59], -v[38:39]
	buffer_load_dword v59, off, s[0:3], 0 offset:668
	buffer_load_dword v175, off, s[0:3], 0 offset:652
	;; [unrolled: 1-line block ×8, first 2 shown]
	ds_read_b128 v[38:41], v144 offset:1440
	buffer_load_dword v181, off, s[0:3], 0 offset:684
	buffer_load_dword v180, off, s[0:3], 0 offset:680
	;; [unrolled: 1-line block ×4, first 2 shown]
	v_mul_f64 v[42:43], v[186:187], v[48:49]
	v_fma_f64 v[116:117], v[184:185], v[50:51], -v[42:43]
	v_mul_f64 v[42:43], v[190:191], v[52:53]
	v_fma_f64 v[22:23], v[188:189], v[54:55], -v[42:43]
	buffer_load_dword v185, off, s[0:3], 0 offset:700
	buffer_load_dword v184, off, s[0:3], 0 offset:696
	;; [unrolled: 1-line block ×9, first 2 shown]
	v_mul_f64 v[42:43], v[198:199], v[70:71]
	buffer_load_dword v194, off, s[0:3], 0 offset:720
	buffer_load_dword v193, off, s[0:3], 0 offset:732
	;; [unrolled: 1-line block ×3, first 2 shown]
	v_fma_f64 v[14:15], v[196:197], v[72:73], -v[42:43]
	buffer_load_dword v197, off, s[0:3], 0 offset:748
	buffer_load_dword v196, off, s[0:3], 0 offset:744
	;; [unrolled: 1-line block ×4, first 2 shown]
	v_mul_f64 v[42:43], v[206:207], v[100:101]
	v_fma_f64 v[10:11], v[204:205], v[104:105], -v[42:43]
	buffer_load_dword v203, off, s[0:3], 0 offset:764
	buffer_load_dword v202, off, s[0:3], 0 offset:760
	;; [unrolled: 1-line block ×16, first 2 shown]
	ds_read_b128 v[42:45], v144 offset:1456
	ds_read_b128 v[46:49], v144 offset:1472
	v_mul_f64 v[54:55], v[222:223], v[74:75]
	v_fma_f64 v[218:219], v[220:221], v[108:109], -v[54:55]
	ds_read_b128 v[54:57], v144 offset:1504
	ds_read_b128 v[220:223], v144 offset:1520
	;; [unrolled: 1-line block ×3, first 2 shown]
	v_mul_f64 v[70:71], v[234:235], v[102:103]
	v_fma_f64 v[6:7], v[232:233], v[106:107], -v[70:71]
	v_fma_f64 v[4:5], v[236:237], v[80:81], -v[78:79]
	v_mul_f64 v[82:83], v[242:243], v[82:83]
	v_fma_f64 v[2:3], v[240:241], v[84:85], -v[82:83]
	ds_read_b128 v[82:85], v144 offset:1616
	buffer_load_dword v216, off, s[0:3], 0 offset:824
	ds_read_b128 v[70:73], v144 offset:1568
	ds_read_b128 v[78:81], v144 offset:1600
	s_waitcnt vmcnt(55) lgkmcnt(8)
	v_mul_f64 v[50:51], v[38:39], v[162:163]
	s_waitcnt lgkmcnt(7)
	v_mul_f64 v[52:53], v[42:43], v[156:157]
	s_waitcnt vmcnt(53)
	v_fmac_f64_e32 v[50:51], v[40:41], v[166:167]
	v_add_f64 v[50:51], v[62:63], v[50:51]
	v_fmac_f64_e32 v[52:53], v[44:45], v[158:159]
	v_add_f64 v[50:51], v[50:51], v[52:53]
	s_waitcnt vmcnt(50) lgkmcnt(6)
	v_mul_f64 v[52:53], v[46:47], v[164:165]
	s_waitcnt vmcnt(48)
	v_fmac_f64_e32 v[52:53], v[48:49], v[168:169]
	v_add_f64 v[62:63], v[50:51], v[52:53]
	ds_read_b128 v[50:53], v144 offset:1488
	s_waitcnt vmcnt(46) lgkmcnt(0)
	v_mul_f64 v[64:65], v[50:51], v[160:161]
	s_waitcnt vmcnt(45)
	v_fmac_f64_e32 v[64:65], v[52:53], v[170:171]
	v_add_f64 v[20:21], v[62:63], v[64:65]
	s_waitcnt vmcnt(42)
	v_mul_f64 v[62:63], v[54:55], v[174:175]
	s_waitcnt vmcnt(40)
	v_fmac_f64_e32 v[62:63], v[56:57], v[178:179]
	v_add_f64 v[20:21], v[20:21], v[62:63]
	s_waitcnt vmcnt(39)
	v_mul_f64 v[62:63], v[220:221], v[58:59]
	s_waitcnt vmcnt(37)
	v_fmac_f64_e32 v[62:63], v[222:223], v[176:177]
	v_add_f64 v[20:21], v[20:21], v[62:63]
	ds_read_b128 v[62:65], v144 offset:1536
	s_waitcnt vmcnt(35) lgkmcnt(0)
	v_mul_f64 v[74:75], v[62:63], v[180:181]
	s_waitcnt vmcnt(33)
	v_fmac_f64_e32 v[74:75], v[64:65], v[182:183]
	v_add_f64 v[20:21], v[20:21], v[74:75]
	s_waitcnt vmcnt(31)
	v_mul_f64 v[74:75], v[66:67], v[184:185]
	s_waitcnt vmcnt(29)
	v_fmac_f64_e32 v[74:75], v[68:69], v[188:189]
	v_add_f64 v[20:21], v[20:21], v[74:75]
	s_waitcnt vmcnt(27)
	v_mul_f64 v[74:75], v[70:71], v[186:187]
	s_waitcnt vmcnt(25)
	v_fmac_f64_e32 v[74:75], v[72:73], v[190:191]
	v_add_f64 v[20:21], v[20:21], v[74:75]
	ds_read_b128 v[74:77], v144 offset:1584
	s_waitcnt vmcnt(19)
	v_mul_f64 v[28:29], v[78:79], v[196:197]
	s_waitcnt vmcnt(17)
	v_fmac_f64_e32 v[28:29], v[80:81], v[198:199]
	s_waitcnt lgkmcnt(0)
	v_mul_f64 v[90:91], v[74:75], v[192:193]
	v_fmac_f64_e32 v[90:91], v[76:77], v[194:195]
	v_add_f64 v[20:21], v[20:21], v[90:91]
	v_add_f64 v[20:21], v[20:21], v[28:29]
	v_mul_f64 v[28:29], v[246:247], v[86:87]
	v_fma_f64 v[28:29], v[244:245], v[88:89], -v[28:29]
	ds_read_b128 v[86:89], v144 offset:1632
	s_waitcnt vmcnt(15)
	v_mul_f64 v[90:91], v[82:83], v[202:203]
	s_waitcnt vmcnt(13)
	v_fmac_f64_e32 v[90:91], v[84:85], v[204:205]
	v_add_f64 v[98:99], v[20:21], v[90:91]
	v_mul_f64 v[20:21], v[250:251], v[94:95]
	ds_read_b128 v[90:93], v144 offset:1648
	v_fma_f64 v[20:21], v[248:249], v[96:97], -v[20:21]
	ds_read_b128 v[94:97], v144 offset:1664
	buffer_load_dword v228, off, s[0:3], 0 offset:816
	buffer_load_dword v217, off, s[0:3], 0 offset:828
	;; [unrolled: 1-line block ×3, first 2 shown]
	s_waitcnt vmcnt(13) lgkmcnt(2)
	v_mul_f64 v[100:101], v[86:87], v[206:207]
	s_waitcnt vmcnt(11)
	v_fmac_f64_e32 v[100:101], v[88:89], v[212:213]
	v_add_f64 v[98:99], v[98:99], v[100:101]
	s_waitcnt vmcnt(10) lgkmcnt(1)
	v_mul_f64 v[100:101], v[90:91], v[200:201]
	s_waitcnt vmcnt(8)
	v_fmac_f64_e32 v[100:101], v[92:93], v[210:211]
	v_add_f64 v[98:99], v[98:99], v[100:101]
	;; [unrolled: 5-line block ×3, first 2 shown]
	ds_read_b128 v[98:101], v144 offset:1680
	buffer_load_dword v231, off, s[0:3], 0 offset:844
	buffer_load_dword v230, off, s[0:3], 0 offset:840
	buffer_load_dword v233, off, s[0:3], 0 offset:836
	buffer_load_dword v232, off, s[0:3], 0 offset:832
	s_waitcnt vmcnt(5) lgkmcnt(0)
	v_mul_f64 v[104:105], v[98:99], v[216:217]
	s_waitcnt vmcnt(4)
	v_fmac_f64_e32 v[104:105], v[100:101], v[228:229]
	v_add_f64 v[106:107], v[102:103], v[104:105]
	ds_read_b128 v[102:105], v144 offset:1696
	buffer_load_dword v234, off, s[0:3], 0 offset:856
	buffer_load_dword v235, off, s[0:3], 0 offset:860
	buffer_load_dword v236, off, s[0:3], 0 offset:848
	buffer_load_dword v237, off, s[0:3], 0 offset:852
	s_waitcnt vmcnt(6) lgkmcnt(0)
	v_mul_f64 v[108:109], v[102:103], v[230:231]
	s_waitcnt vmcnt(4)
	v_fmac_f64_e32 v[108:109], v[104:105], v[232:233]
	v_add_f64 v[110:111], v[106:107], v[108:109]
	ds_read_b128 v[106:109], v144 offset:1712
	buffer_load_dword v239, off, s[0:3], 0 offset:876
	buffer_load_dword v238, off, s[0:3], 0 offset:872
	buffer_load_dword v241, off, s[0:3], 0 offset:868
	buffer_load_dword v240, off, s[0:3], 0 offset:864
	s_waitcnt vmcnt(6) lgkmcnt(0)
	v_mul_f64 v[112:113], v[106:107], v[234:235]
	s_waitcnt vmcnt(4)
	v_fmac_f64_e32 v[112:113], v[108:109], v[236:237]
	v_add_f64 v[224:225], v[110:111], v[112:113]
	ds_read_b128 v[110:113], v144 offset:1728
	buffer_load_dword v244, off, s[0:3], 0 offset:888
	buffer_load_dword v245, off, s[0:3], 0 offset:892
	buffer_load_dword v246, off, s[0:3], 0 offset:880
	buffer_load_dword v247, off, s[0:3], 0 offset:884
	s_waitcnt vmcnt(6) lgkmcnt(0)
	v_mul_f64 v[226:227], v[110:111], v[238:239]
	s_waitcnt vmcnt(4)
	v_fmac_f64_e32 v[226:227], v[112:113], v[240:241]
	v_add_f64 v[242:243], v[224:225], v[226:227]
	ds_read_b128 v[224:227], v144 offset:1744
	buffer_load_dword v250, off, s[0:3], 0 offset:64
	buffer_load_dword v251, off, s[0:3], 0 offset:68
	s_waitcnt vmcnt(4) lgkmcnt(0)
	v_mul_f64 v[248:249], v[224:225], v[244:245]
	s_waitcnt vmcnt(2)
	v_fmac_f64_e32 v[248:249], v[226:227], v[246:247]
	v_add_f64 v[242:243], v[242:243], v[248:249]
	v_add_f64 v[248:249], v[254:255], 0
	;; [unrolled: 1-line block ×15, first 2 shown]
	buffer_load_dword v248, off, s[0:3], 0 offset:72
	buffer_load_dword v249, off, s[0:3], 0 offset:76
	v_add_f64 v[10:11], v[10:11], v[218:219]
	v_add_f64 v[8:9], v[10:11], v[8:9]
	;; [unrolled: 1-line block ×6, first 2 shown]
	v_accvgpr_read_b32 v4, a166
	v_accvgpr_read_b32 v5, a167
	;; [unrolled: 1-line block ×3, first 2 shown]
	v_add_f64 v[218:219], v[2:3], v[28:29]
	v_mul_f64 v[4:5], v[148:149], v[4:5]
	v_accvgpr_read_b32 v7, a169
	v_add_f64 v[2:3], v[218:219], v[20:21]
	v_fma_f64 v[4:5], v[146:147], v[6:7], -v[4:5]
	v_add_f64 v[2:3], v[2:3], v[4:5]
	v_accvgpr_read_b32 v4, a170
	v_accvgpr_read_b32 v5, a171
	v_accvgpr_read_b32 v6, a172
	v_mul_f64 v[4:5], v[138:139], v[4:5]
	v_accvgpr_read_b32 v7, a173
	v_fma_f64 v[4:5], v[136:137], v[6:7], -v[4:5]
	v_add_f64 v[2:3], v[2:3], v[4:5]
	v_accvgpr_read_b32 v4, a174
	v_accvgpr_read_b32 v5, a175
	v_accvgpr_read_b32 v6, a176
	v_mul_f64 v[4:5], v[134:135], v[4:5]
	v_accvgpr_read_b32 v7, a177
	;; [unrolled: 7-line block ×6, first 2 shown]
	v_fma_f64 v[4:5], v[120:121], v[6:7], -v[4:5]
	v_add_f64 v[2:3], v[2:3], v[4:5]
	v_mul_f64 v[4:5], v[32:33], v[154:155]
	v_fma_f64 v[4:5], v[30:31], v[152:153], -v[4:5]
	v_add_f64 v[2:3], v[2:3], v[4:5]
	v_mul_f64 v[4:5], v[36:37], v[0:1]
	v_fma_f64 v[4:5], v[34:35], v[150:151], -v[4:5]
	v_add_f64 v[2:3], v[2:3], v[4:5]
	v_mul_f64 v[4:5], v[40:41], v[162:163]
	v_fma_f64 v[4:5], v[38:39], v[166:167], -v[4:5]
	v_add_f64 v[2:3], v[2:3], v[4:5]
	v_mul_f64 v[4:5], v[44:45], v[156:157]
	v_fma_f64 v[4:5], v[42:43], v[158:159], -v[4:5]
	v_add_f64 v[2:3], v[2:3], v[4:5]
	v_mul_f64 v[4:5], v[48:49], v[164:165]
	v_fma_f64 v[4:5], v[46:47], v[168:169], -v[4:5]
	v_add_f64 v[2:3], v[2:3], v[4:5]
	v_mul_f64 v[4:5], v[52:53], v[160:161]
	v_fma_f64 v[4:5], v[50:51], v[170:171], -v[4:5]
	v_add_f64 v[2:3], v[2:3], v[4:5]
	v_mul_f64 v[4:5], v[56:57], v[174:175]
	v_fma_f64 v[4:5], v[54:55], v[178:179], -v[4:5]
	v_add_f64 v[2:3], v[2:3], v[4:5]
	v_mul_f64 v[4:5], v[222:223], v[58:59]
	v_fma_f64 v[4:5], v[220:221], v[176:177], -v[4:5]
	v_add_f64 v[2:3], v[2:3], v[4:5]
	v_mul_f64 v[4:5], v[64:65], v[180:181]
	v_fma_f64 v[4:5], v[62:63], v[182:183], -v[4:5]
	v_add_f64 v[2:3], v[2:3], v[4:5]
	v_mul_f64 v[4:5], v[68:69], v[184:185]
	v_fma_f64 v[4:5], v[66:67], v[188:189], -v[4:5]
	v_add_f64 v[2:3], v[2:3], v[4:5]
	v_mul_f64 v[4:5], v[72:73], v[186:187]
	v_fma_f64 v[4:5], v[70:71], v[190:191], -v[4:5]
	v_add_f64 v[2:3], v[2:3], v[4:5]
	v_mul_f64 v[4:5], v[76:77], v[192:193]
	v_fma_f64 v[4:5], v[74:75], v[194:195], -v[4:5]
	v_add_f64 v[2:3], v[2:3], v[4:5]
	v_mul_f64 v[4:5], v[80:81], v[196:197]
	v_fma_f64 v[4:5], v[78:79], v[198:199], -v[4:5]
	v_add_f64 v[2:3], v[2:3], v[4:5]
	v_mul_f64 v[4:5], v[84:85], v[202:203]
	v_fma_f64 v[4:5], v[82:83], v[204:205], -v[4:5]
	v_add_f64 v[2:3], v[2:3], v[4:5]
	v_mul_f64 v[4:5], v[88:89], v[206:207]
	v_fma_f64 v[4:5], v[86:87], v[212:213], -v[4:5]
	v_add_f64 v[2:3], v[2:3], v[4:5]
	v_mul_f64 v[4:5], v[92:93], v[200:201]
	v_fma_f64 v[4:5], v[90:91], v[210:211], -v[4:5]
	v_add_f64 v[2:3], v[2:3], v[4:5]
	v_mul_f64 v[4:5], v[96:97], v[208:209]
	v_fma_f64 v[4:5], v[94:95], v[214:215], -v[4:5]
	v_add_f64 v[2:3], v[2:3], v[4:5]
	v_mul_f64 v[4:5], v[100:101], v[216:217]
	v_fma_f64 v[4:5], v[98:99], v[228:229], -v[4:5]
	v_add_f64 v[2:3], v[2:3], v[4:5]
	v_mul_f64 v[4:5], v[104:105], v[230:231]
	v_fma_f64 v[4:5], v[102:103], v[232:233], -v[4:5]
	v_add_f64 v[2:3], v[2:3], v[4:5]
	v_mul_f64 v[4:5], v[108:109], v[234:235]
	v_fma_f64 v[4:5], v[106:107], v[236:237], -v[4:5]
	v_add_f64 v[2:3], v[2:3], v[4:5]
	v_mul_f64 v[4:5], v[112:113], v[238:239]
	v_fma_f64 v[4:5], v[110:111], v[240:241], -v[4:5]
	v_add_f64 v[2:3], v[2:3], v[4:5]
	v_mul_f64 v[4:5], v[226:227], v[244:245]
	v_fma_f64 v[4:5], v[224:225], v[246:247], -v[4:5]
	v_add_f64 v[2:3], v[2:3], v[4:5]
	v_accvgpr_read_b32 v0, a164
	s_waitcnt vmcnt(2)
	v_add_f64 v[2:3], v[250:251], -v[2:3]
	v_cmp_lt_u32_e32 vcc, 2, v0
	s_waitcnt vmcnt(0)
	v_add_f64 v[4:5], v[248:249], -v[242:243]
	buffer_store_dword v3, off, s[0:3], 0 offset:68
	buffer_store_dword v2, off, s[0:3], 0 offset:64
	;; [unrolled: 1-line block ×4, first 2 shown]
	s_and_saveexec_b64 s[4:5], vcc
	s_cbranch_execz .LBB54_339
; %bb.338:
	v_accvgpr_read_b32 v0, a162
	buffer_load_dword v2, v0, s[0:3], 0 offen
	buffer_load_dword v3, v0, s[0:3], 0 offen offset:4
	buffer_load_dword v4, v0, s[0:3], 0 offen offset:8
	;; [unrolled: 1-line block ×3, first 2 shown]
	v_accvgpr_read_b32 v0, a165
	buffer_store_dword v144, off, s[0:3], 0 offset:48
	buffer_store_dword v144, off, s[0:3], 0 offset:52
	;; [unrolled: 1-line block ×4, first 2 shown]
	s_waitcnt vmcnt(4)
	ds_write_b128 v0, v[2:5]
.LBB54_339:
	s_or_b64 exec, exec, s[4:5]
	s_waitcnt lgkmcnt(0)
	; wave barrier
	s_waitcnt lgkmcnt(0)
	buffer_load_dword v22, off, s[0:3], 0 offset:64
	buffer_load_dword v23, off, s[0:3], 0 offset:68
	;; [unrolled: 1-line block ×36, first 2 shown]
	ds_read_b128 v[18:21], v144 offset:928
	ds_read_b128 v[26:29], v144 offset:944
	;; [unrolled: 1-line block ×9, first 2 shown]
	buffer_load_dword v91, off, s[0:3], 0 offset:236
	buffer_load_dword v90, off, s[0:3], 0 offset:232
	;; [unrolled: 1-line block ×19, first 2 shown]
	s_waitcnt vmcnt(51) lgkmcnt(8)
	v_mul_f64 v[2:3], v[18:19], v[24:25]
	v_fmac_f64_e32 v[2:3], v[20:21], v[22:23]
	v_add_f64 v[2:3], v[2:3], 0
	v_mul_f64 v[20:21], v[20:21], v[24:25]
	s_waitcnt vmcnt(47) lgkmcnt(7)
	v_mul_f64 v[4:5], v[26:27], v[162:163]
	v_fmac_f64_e32 v[4:5], v[28:29], v[160:161]
	v_add_f64 v[2:3], v[2:3], v[4:5]
	buffer_load_dword v104, off, s[0:3], 0 offset:288
	buffer_load_dword v67, off, s[0:3], 0 offset:284
	;; [unrolled: 1-line block ×39, first 2 shown]
	s_waitcnt vmcnt(62) lgkmcnt(6)
	v_mul_f64 v[6:7], v[54:55], v[158:159]
	s_waitcnt lgkmcnt(4)
	v_mul_f64 v[10:11], v[34:35], v[168:169]
	v_fmac_f64_e32 v[10:11], v[36:37], v[170:171]
	v_fma_f64 v[24:25], v[18:19], v[22:23], -v[20:21]
	v_mul_f64 v[8:9], v[30:31], v[166:167]
	v_mul_f64 v[28:29], v[28:29], v[162:163]
	s_waitcnt lgkmcnt(2)
	v_mul_f64 v[14:15], v[50:51], v[74:75]
	v_fma_f64 v[160:161], v[26:27], v[160:161], -v[28:29]
	v_fmac_f64_e32 v[14:15], v[52:53], v[76:77]
	v_mul_f64 v[36:37], v[36:37], v[168:169]
	v_mul_f64 v[12:13], v[38:39], v[80:81]
	;; [unrolled: 1-line block ×3, first 2 shown]
	s_waitcnt lgkmcnt(1)
	v_mul_f64 v[16:17], v[46:47], v[72:73]
	v_fma_f64 v[20:21], v[50:51], v[76:77], -v[52:53]
	v_fmac_f64_e32 v[6:7], v[56:57], v[86:87]
	v_add_f64 v[2:3], v[2:3], v[6:7]
	v_fmac_f64_e32 v[8:9], v[32:33], v[84:85]
	v_add_f64 v[2:3], v[2:3], v[8:9]
	;; [unrolled: 2-line block ×3, first 2 shown]
	v_add_f64 v[2:3], v[2:3], v[12:13]
	v_add_f64 v[2:3], v[2:3], v[14:15]
	v_fmac_f64_e32 v[16:17], v[48:49], v[78:79]
	v_add_f64 v[2:3], v[2:3], v[16:17]
	v_mul_f64 v[32:33], v[32:33], v[166:167]
	v_mul_f64 v[40:41], v[40:41], v[80:81]
	v_fma_f64 v[82:83], v[38:39], v[82:83], -v[40:41]
	v_add_f64 v[24:25], v[24:25], 0
	v_add_f64 v[24:25], v[24:25], v[160:161]
	s_waitcnt vmcnt(0)
	v_pk_mov_b32 v[122:123], v[4:5], v[4:5] op_sel:[0,1]
	buffer_load_dword v5, off, s[0:3], 0 offset:452
	buffer_load_dword v4, off, s[0:3], 0 offset:448
	v_accvgpr_write_b32 a173, v123
	v_accvgpr_write_b32 a172, v122
	s_waitcnt vmcnt(0)
	v_pk_mov_b32 v[124:125], v[4:5], v[4:5] op_sel:[0,1]
	buffer_load_dword v5, off, s[0:3], 0 offset:444
	buffer_load_dword v4, off, s[0:3], 0 offset:440
	v_accvgpr_write_b32 a175, v125
	v_accvgpr_write_b32 a174, v124
	s_waitcnt vmcnt(0)
	v_pk_mov_b32 v[14:15], v[4:5], v[4:5] op_sel:[0,1]
	buffer_load_dword v5, off, s[0:3], 0 offset:436
	buffer_load_dword v4, off, s[0:3], 0 offset:432
	v_pk_mov_b32 v[142:143], v[14:15], v[14:15] op_sel:[0,1]
	s_waitcnt vmcnt(0)
	v_pk_mov_b32 v[126:127], v[4:5], v[4:5] op_sel:[0,1]
	buffer_load_dword v5, off, s[0:3], 0 offset:492
	buffer_load_dword v4, off, s[0:3], 0 offset:488
	v_accvgpr_write_b32 a171, v127
	v_accvgpr_write_b32 a170, v126
	s_waitcnt vmcnt(0)
	v_pk_mov_b32 v[174:175], v[4:5], v[4:5] op_sel:[0,1]
	buffer_load_dword v5, off, s[0:3], 0 offset:484
	buffer_load_dword v4, off, s[0:3], 0 offset:480
	v_accvgpr_write_b32 a181, v175
	v_accvgpr_write_b32 a180, v174
	;; [unrolled: 6-line block ×7, first 2 shown]
	s_waitcnt vmcnt(0)
	v_pk_mov_b32 v[188:189], v[4:5], v[4:5] op_sel:[0,1]
	buffer_load_dword v5, off, s[0:3], 0 offset:500
	buffer_load_dword v4, off, s[0:3], 0 offset:496
	ds_read_b128 v[184:187], v144 offset:1072
	ds_read_b128 v[196:199], v144 offset:1088
	;; [unrolled: 1-line block ×9, first 2 shown]
	buffer_load_dword v1, off, s[0:3], 0 offset:540
	buffer_load_dword v0, off, s[0:3], 0 offset:536
	;; [unrolled: 1-line block ×4, first 2 shown]
	ds_read_b128 v[248:251], v144 offset:1216
	buffer_load_dword v151, off, s[0:3], 0 offset:556
	buffer_load_dword v150, off, s[0:3], 0 offset:552
	;; [unrolled: 1-line block ×8, first 2 shown]
	ds_read_b128 v[252:255], v144 offset:1232
	ds_read_b128 v[118:121], v144 offset:1248
	;; [unrolled: 1-line block ×4, first 2 shown]
	v_accvgpr_write_b32 a184, v188
	v_accvgpr_write_b32 a185, v189
	s_waitcnt lgkmcnt(7)
	v_mul_f64 v[50:51], v[226:227], v[236:237]
	ds_read_b128 v[134:137], v144 offset:1312
	s_waitcnt lgkmcnt(1)
	v_mul_f64 v[8:9], v[62:63], v[96:97]
	v_fmac_f64_e32 v[8:9], v[64:65], v[100:101]
	v_mul_f64 v[64:65], v[64:65], v[96:97]
	s_waitcnt lgkmcnt(0)
	v_mul_f64 v[16:17], v[134:135], v[122:123]
	v_fmac_f64_e32 v[16:17], v[136:137], v[124:125]
	s_waitcnt vmcnt(12)
	v_pk_mov_b32 v[190:191], v[4:5], v[4:5] op_sel:[0,1]
	v_mul_f64 v[4:5], v[42:43], v[70:71]
	v_fmac_f64_e32 v[4:5], v[44:45], v[88:89]
	v_add_f64 v[2:3], v[2:3], v[4:5]
	v_mul_f64 v[4:5], v[184:185], v[94:95]
	v_fmac_f64_e32 v[4:5], v[186:187], v[98:99]
	v_add_f64 v[2:3], v[2:3], v[4:5]
	;; [unrolled: 3-line block ×14, first 2 shown]
	ds_read_b128 v[2:5], v144 offset:1296
	buffer_load_dword v157, off, s[0:3], 0 offset:588
	buffer_load_dword v156, off, s[0:3], 0 offset:584
	ds_read_b128 v[130:133], v144 offset:1328
	ds_read_b128 v[138:141], v144 offset:1344
	v_add_f64 v[10:11], v[6:7], v[8:9]
	s_waitcnt lgkmcnt(2)
	v_mul_f64 v[12:13], v[2:3], v[14:15]
	v_fmac_f64_e32 v[12:13], v[4:5], v[126:127]
	s_waitcnt lgkmcnt(1)
	v_mul_f64 v[172:173], v[130:131], v[128:129]
	ds_read_b128 v[126:129], v144 offset:1360
	ds_read_b128 v[122:125], v144 offset:1376
	v_add_f64 v[14:15], v[10:11], v[12:13]
	v_accvgpr_write_b32 a169, v5
	v_add_f64 v[164:165], v[14:15], v[16:17]
	v_fmac_f64_e32 v[172:173], v[132:133], v[182:183]
	s_waitcnt lgkmcnt(2)
	v_mul_f64 v[22:23], v[138:139], v[174:175]
	v_accvgpr_write_b32 a168, v4
	v_accvgpr_write_b32 a167, v3
	v_accvgpr_write_b32 a166, v2
	v_add_f64 v[4:5], v[164:165], v[172:173]
	v_fmac_f64_e32 v[22:23], v[140:141], v[176:177]
	v_add_f64 v[4:5], v[4:5], v[22:23]
	s_waitcnt lgkmcnt(1)
	v_mul_f64 v[22:23], v[126:127], v[188:189]
	v_fmac_f64_e32 v[22:23], v[128:129], v[190:191]
	s_waitcnt lgkmcnt(0)
	v_mul_f64 v[162:163], v[122:123], v[178:179]
	v_add_f64 v[4:5], v[4:5], v[22:23]
	ds_read_b128 v[26:29], v144 offset:1392
	v_fmac_f64_e32 v[162:163], v[124:125], v[180:181]
	v_add_f64 v[172:173], v[4:5], v[162:163]
	buffer_load_dword v163, off, s[0:3], 0 offset:580
	buffer_load_dword v162, off, s[0:3], 0 offset:576
	v_mul_f64 v[4:5], v[56:57], v[158:159]
	buffer_load_dword v158, off, s[0:3], 0 offset:616
	buffer_load_dword v22, off, s[0:3], 0 offset:608
	;; [unrolled: 1-line block ×7, first 2 shown]
	v_fma_f64 v[188:189], v[30:31], v[84:85], -v[32:33]
	s_waitcnt vmcnt(21) lgkmcnt(0)
	v_mul_f64 v[30:31], v[26:27], v[0:1]
	buffer_load_dword v23, off, s[0:3], 0 offset:612
	s_waitcnt vmcnt(20)
	v_fmac_f64_e32 v[30:31], v[28:29], v[148:149]
	v_fma_f64 v[86:87], v[54:55], v[86:87], -v[4:5]
	v_add_f64 v[54:55], v[172:173], v[30:31]
	ds_read_b128 v[30:33], v144 offset:1408
	v_fma_f64 v[84:85], v[34:35], v[170:171], -v[36:37]
	ds_read_b128 v[34:37], v144 offset:1424
	ds_read_b128 v[38:41], v144 offset:1440
	buffer_load_dword v169, off, s[0:3], 0 offset:636
	buffer_load_dword v168, off, s[0:3], 0 offset:632
	;; [unrolled: 1-line block ×16, first 2 shown]
	v_mul_f64 v[44:45], v[44:45], v[70:71]
	v_accvgpr_write_b32 a186, v190
	v_fma_f64 v[14:15], v[42:43], v[88:89], -v[44:45]
	v_mul_f64 v[42:43], v[186:187], v[94:95]
	v_accvgpr_write_b32 a187, v191
	v_fma_f64 v[94:95], v[184:185], v[98:99], -v[42:43]
	buffer_load_dword v185, off, s[0:3], 0 offset:700
	buffer_load_dword v184, off, s[0:3], 0 offset:696
	;; [unrolled: 1-line block ×8, first 2 shown]
	v_mul_f64 v[42:43], v[198:199], v[90:91]
	v_mul_f64 v[16:17], v[202:203], v[192:193]
	v_fma_f64 v[10:11], v[196:197], v[92:93], -v[42:43]
	v_fma_f64 v[16:17], v[200:201], v[194:195], -v[16:17]
	buffer_load_dword v193, off, s[0:3], 0 offset:748
	buffer_load_dword v195, off, s[0:3], 0 offset:732
	;; [unrolled: 1-line block ×12, first 2 shown]
	v_mul_f64 v[8:9], v[48:49], v[72:73]
	v_mul_f64 v[42:43], v[210:211], v[204:205]
	v_fma_f64 v[18:19], v[46:47], v[78:79], -v[8:9]
	v_fma_f64 v[8:9], v[208:209], v[206:207], -v[42:43]
	v_mul_f64 v[42:43], v[214:215], v[66:67]
	s_waitcnt vmcnt(54) lgkmcnt(2)
	v_mul_f64 v[56:57], v[30:31], v[150:151]
	v_fma_f64 v[6:7], v[212:213], v[68:69], -v[42:43]
	buffer_load_dword v207, off, s[0:3], 0 offset:780
	buffer_load_dword v206, off, s[0:3], 0 offset:776
	;; [unrolled: 1-line block ×12, first 2 shown]
	ds_read_b128 v[42:45], v144 offset:1456
	s_waitcnt vmcnt(62)
	v_fmac_f64_e32 v[56:57], v[32:33], v[152:153]
	v_mul_f64 v[46:47], v[222:223], v[102:103]
	v_add_f64 v[54:55], v[54:55], v[56:57]
	s_waitcnt lgkmcnt(2)
	v_mul_f64 v[56:57], v[34:35], v[154:155]
	v_fma_f64 v[4:5], v[220:221], v[104:105], -v[46:47]
	ds_read_b128 v[46:49], v144 offset:1472
	s_waitcnt vmcnt(60)
	v_fmac_f64_e32 v[56:57], v[36:37], v[146:147]
	v_add_f64 v[54:55], v[54:55], v[56:57]
	v_fma_f64 v[236:237], v[224:225], v[238:239], -v[50:51]
	ds_read_b128 v[50:53], v144 offset:1488
	ds_read_b128 v[220:223], v144 offset:1520
	v_mul_f64 v[66:67], v[242:243], v[228:229]
	ds_read_b128 v[224:227], v144 offset:1536
	v_fma_f64 v[242:243], v[240:241], v[230:231], -v[66:67]
	v_mul_f64 v[68:69], v[246:247], v[232:233]
	s_waitcnt vmcnt(58) lgkmcnt(5)
	v_mul_f64 v[12:13], v[38:39], v[156:157]
	v_fma_f64 v[2:3], v[244:245], v[234:235], -v[68:69]
	v_mul_f64 v[70:71], v[250:251], v[114:115]
	v_fma_f64 v[248:249], v[248:249], v[116:117], -v[70:71]
	ds_read_b128 v[70:73], v144 offset:1568
	v_mul_f64 v[90:91], v[120:121], v[106:107]
	v_fma_f64 v[250:251], v[118:119], v[110:111], -v[90:91]
	ds_read_b128 v[118:121], v144 offset:1616
	v_mul_f64 v[60:61], v[60:61], v[108:109]
	v_fma_f64 v[58:59], v[58:59], v[112:113], -v[60:61]
	v_accvgpr_write_b32 a193, v59
	v_accvgpr_write_b32 a192, v58
	ds_read_b128 v[58:61], v144 offset:1648
	v_add_f64 v[24:25], v[24:25], v[86:87]
	v_add_f64 v[24:25], v[24:25], v[188:189]
	;; [unrolled: 1-line block ×14, first 2 shown]
	s_waitcnt vmcnt(56)
	v_fmac_f64_e32 v[12:13], v[40:41], v[162:163]
	v_add_f64 v[12:13], v[54:55], v[12:13]
	s_waitcnt vmcnt(52) lgkmcnt(7)
	v_mul_f64 v[54:55], v[42:43], v[164:165]
	s_waitcnt vmcnt(50)
	v_fmac_f64_e32 v[54:55], v[44:45], v[166:167]
	v_add_f64 v[12:13], v[12:13], v[54:55]
	s_waitcnt vmcnt(49) lgkmcnt(6)
	v_mul_f64 v[54:55], v[46:47], v[158:159]
	s_waitcnt vmcnt(48)
	v_fmac_f64_e32 v[54:55], v[48:49], v[22:23]
	v_add_f64 v[12:13], v[12:13], v[54:55]
	v_add_f64 v[4:5], v[4:5], v[242:243]
	;; [unrolled: 1-line block ×4, first 2 shown]
	v_accvgpr_read_b32 v6, a166
	s_waitcnt vmcnt(46) lgkmcnt(5)
	v_mul_f64 v[54:55], v[50:51], v[168:169]
	v_accvgpr_read_b32 v8, a168
	s_waitcnt vmcnt(44)
	v_fmac_f64_e32 v[54:55], v[52:53], v[170:171]
	v_add_f64 v[12:13], v[12:13], v[54:55]
	ds_read_b128 v[54:57], v144 offset:1504
	v_accvgpr_read_b32 v9, a169
	v_mul_f64 v[4:5], v[8:9], v[142:143]
	v_accvgpr_read_b32 v8, a170
	v_accvgpr_read_b32 v7, a167
	s_waitcnt vmcnt(42) lgkmcnt(0)
	v_mul_f64 v[66:67], v[54:55], v[174:175]
	s_waitcnt vmcnt(40)
	v_fmac_f64_e32 v[66:67], v[56:57], v[176:177]
	v_add_f64 v[12:13], v[12:13], v[66:67]
	s_waitcnt vmcnt(36)
	v_mul_f64 v[66:67], v[220:221], v[180:181]
	s_waitcnt vmcnt(34)
	v_fmac_f64_e32 v[66:67], v[222:223], v[182:183]
	v_add_f64 v[12:13], v[12:13], v[66:67]
	v_mul_f64 v[66:67], v[224:225], v[172:173]
	s_waitcnt vmcnt(32)
	v_fmac_f64_e32 v[66:67], v[226:227], v[178:179]
	v_add_f64 v[12:13], v[12:13], v[66:67]
	ds_read_b128 v[66:69], v144 offset:1552
	s_waitcnt vmcnt(25)
	v_mul_f64 v[78:79], v[70:71], v[186:187]
	s_waitcnt vmcnt(24)
	v_fmac_f64_e32 v[78:79], v[72:73], v[88:89]
	v_accvgpr_read_b32 v9, a171
	v_fma_f64 v[4:5], v[6:7], v[8:9], -v[4:5]
	s_waitcnt lgkmcnt(0)
	v_mul_f64 v[74:75], v[66:67], v[184:185]
	v_fmac_f64_e32 v[74:75], v[68:69], v[190:191]
	v_add_f64 v[12:13], v[12:13], v[74:75]
	v_mul_f64 v[74:75], v[254:255], v[216:217]
	v_fma_f64 v[218:219], v[252:253], v[218:219], -v[74:75]
	ds_read_b128 v[74:77], v144 offset:1584
	v_add_f64 v[12:13], v[12:13], v[78:79]
	ds_read_b128 v[78:81], v144 offset:1600
	v_fma_f64 v[254:255], v[62:63], v[100:101], -v[64:65]
	ds_read_b128 v[62:65], v144 offset:1664
	s_waitcnt vmcnt(21) lgkmcnt(2)
	v_mul_f64 v[90:91], v[74:75], v[194:195]
	s_waitcnt vmcnt(19)
	v_fmac_f64_e32 v[90:91], v[76:77], v[200:201]
	v_add_f64 v[12:13], v[12:13], v[90:91]
	s_waitcnt vmcnt(18) lgkmcnt(1)
	v_mul_f64 v[90:91], v[78:79], v[192:193]
	s_waitcnt vmcnt(16)
	v_fmac_f64_e32 v[90:91], v[80:81], v[198:199]
	v_add_f64 v[12:13], v[12:13], v[90:91]
	ds_read_b128 v[90:93], v144 offset:1632
	s_waitcnt vmcnt(14)
	v_mul_f64 v[98:99], v[118:119], v[196:197]
	buffer_load_dword v229, off, s[0:3], 0 offset:828
	buffer_load_dword v228, off, s[0:3], 0 offset:824
	;; [unrolled: 1-line block ×4, first 2 shown]
	s_waitcnt vmcnt(16)
	v_fmac_f64_e32 v[98:99], v[120:121], v[202:203]
	v_add_f64 v[12:13], v[12:13], v[98:99]
	ds_read_b128 v[98:101], v144 offset:1680
	buffer_load_dword v216, off, s[0:3], 0 offset:840
	buffer_load_dword v217, off, s[0:3], 0 offset:844
	;; [unrolled: 1-line block ×4, first 2 shown]
	s_waitcnt vmcnt(18) lgkmcnt(1)
	v_mul_f64 v[96:97], v[90:91], v[206:207]
	s_waitcnt vmcnt(16)
	v_fmac_f64_e32 v[96:97], v[92:93], v[208:209]
	v_add_f64 v[12:13], v[12:13], v[96:97]
	s_waitcnt vmcnt(13)
	v_mul_f64 v[96:97], v[58:59], v[212:213]
	s_waitcnt vmcnt(11)
	v_fmac_f64_e32 v[96:97], v[60:61], v[214:215]
	ds_read_b128 v[102:105], v144 offset:1696
	v_add_f64 v[12:13], v[12:13], v[96:97]
	s_waitcnt vmcnt(9)
	v_mul_f64 v[96:97], v[62:63], v[204:205]
	s_waitcnt vmcnt(8)
	v_fmac_f64_e32 v[96:97], v[64:65], v[210:211]
	v_add_f64 v[12:13], v[12:13], v[96:97]
	v_add_f64 v[2:3], v[2:3], v[218:219]
	;; [unrolled: 1-line block ×3, first 2 shown]
	v_accvgpr_read_b32 v2, a192
	v_accvgpr_read_b32 v3, a193
	v_add_f64 v[2:3], v[218:219], v[2:3]
	v_add_f64 v[2:3], v[2:3], v[254:255]
	v_add_f64 v[2:3], v[2:3], v[4:5]
	v_accvgpr_read_b32 v4, a172
	v_accvgpr_read_b32 v5, a173
	v_accvgpr_read_b32 v6, a174
	v_mul_f64 v[4:5], v[136:137], v[4:5]
	v_accvgpr_read_b32 v7, a175
	v_fma_f64 v[4:5], v[134:135], v[6:7], -v[4:5]
	v_add_f64 v[2:3], v[2:3], v[4:5]
	v_accvgpr_read_b32 v4, a176
	v_accvgpr_read_b32 v5, a177
	v_accvgpr_read_b32 v6, a178
	v_mul_f64 v[4:5], v[132:133], v[4:5]
	v_accvgpr_read_b32 v7, a179
	v_fma_f64 v[4:5], v[130:131], v[6:7], -v[4:5]
	v_add_f64 v[2:3], v[2:3], v[4:5]
	;; [unrolled: 7-line block ×5, first 2 shown]
	v_mul_f64 v[4:5], v[28:29], v[0:1]
	v_fma_f64 v[4:5], v[26:27], v[148:149], -v[4:5]
	v_add_f64 v[2:3], v[2:3], v[4:5]
	v_mul_f64 v[4:5], v[32:33], v[150:151]
	v_fma_f64 v[4:5], v[30:31], v[152:153], -v[4:5]
	v_add_f64 v[2:3], v[2:3], v[4:5]
	;; [unrolled: 3-line block ×7, first 2 shown]
	s_waitcnt vmcnt(6) lgkmcnt(1)
	v_mul_f64 v[96:97], v[98:99], v[228:229]
	v_mul_f64 v[4:5], v[56:57], v[174:175]
	s_waitcnt vmcnt(4)
	v_fmac_f64_e32 v[96:97], v[100:101], v[230:231]
	v_add_f64 v[12:13], v[12:13], v[96:97]
	s_waitcnt vmcnt(2) lgkmcnt(0)
	v_mul_f64 v[96:97], v[102:103], v[216:217]
	v_fma_f64 v[4:5], v[54:55], v[176:177], -v[4:5]
	s_waitcnt vmcnt(0)
	v_fmac_f64_e32 v[96:97], v[104:105], v[232:233]
	v_add_f64 v[96:97], v[12:13], v[96:97]
	buffer_load_dword v235, off, s[0:3], 0 offset:860
	buffer_load_dword v234, off, s[0:3], 0 offset:856
	;; [unrolled: 1-line block ×4, first 2 shown]
	ds_read_b128 v[106:109], v144 offset:1712
	buffer_load_dword v238, off, s[0:3], 0 offset:872
	buffer_load_dword v239, off, s[0:3], 0 offset:876
	;; [unrolled: 1-line block ×4, first 2 shown]
	v_add_f64 v[2:3], v[2:3], v[4:5]
	v_mul_f64 v[4:5], v[222:223], v[180:181]
	v_fma_f64 v[4:5], v[220:221], v[182:183], -v[4:5]
	v_add_f64 v[2:3], v[2:3], v[4:5]
	v_mul_f64 v[4:5], v[226:227], v[172:173]
	v_fma_f64 v[4:5], v[224:225], v[178:179], -v[4:5]
	;; [unrolled: 3-line block ×12, first 2 shown]
	v_add_f64 v[2:3], v[2:3], v[4:5]
	v_accvgpr_read_b32 v0, a164
	v_cmp_lt_u32_e32 vcc, 1, v0
	s_waitcnt vmcnt(6) lgkmcnt(0)
	v_mul_f64 v[110:111], v[106:107], v[234:235]
	v_mul_f64 v[4:5], v[108:109], v[234:235]
	s_waitcnt vmcnt(4)
	v_fmac_f64_e32 v[110:111], v[108:109], v[12:13]
	v_add_f64 v[96:97], v[96:97], v[110:111]
	ds_read_b128 v[110:113], v144 offset:1728
	buffer_load_dword v245, off, s[0:3], 0 offset:892
	buffer_load_dword v244, off, s[0:3], 0 offset:888
	;; [unrolled: 1-line block ×4, first 2 shown]
	v_fma_f64 v[4:5], v[106:107], v[12:13], -v[4:5]
	v_add_f64 v[2:3], v[2:3], v[4:5]
	s_waitcnt vmcnt(6) lgkmcnt(0)
	v_mul_f64 v[114:115], v[110:111], v[238:239]
	s_waitcnt vmcnt(4)
	v_fmac_f64_e32 v[114:115], v[112:113], v[240:241]
	v_add_f64 v[96:97], v[96:97], v[114:115]
	ds_read_b128 v[114:117], v144 offset:1744
	buffer_load_dword v250, off, s[0:3], 0 offset:48
	buffer_load_dword v251, off, s[0:3], 0 offset:52
	;; [unrolled: 1-line block ×4, first 2 shown]
	v_mul_f64 v[4:5], v[112:113], v[238:239]
	v_fma_f64 v[4:5], v[110:111], v[240:241], -v[4:5]
	v_add_f64 v[2:3], v[2:3], v[4:5]
	s_waitcnt vmcnt(6) lgkmcnt(0)
	v_mul_f64 v[4:5], v[116:117], v[244:245]
	v_mul_f64 v[252:253], v[114:115], v[244:245]
	s_waitcnt vmcnt(4)
	v_fma_f64 v[4:5], v[114:115], v[246:247], -v[4:5]
	v_fmac_f64_e32 v[252:253], v[116:117], v[246:247]
	v_add_f64 v[2:3], v[2:3], v[4:5]
	v_add_f64 v[96:97], v[96:97], v[252:253]
	s_waitcnt vmcnt(2)
	v_add_f64 v[2:3], v[250:251], -v[2:3]
	s_waitcnt vmcnt(0)
	v_add_f64 v[4:5], v[248:249], -v[96:97]
	buffer_store_dword v3, off, s[0:3], 0 offset:52
	buffer_store_dword v2, off, s[0:3], 0 offset:48
	;; [unrolled: 1-line block ×4, first 2 shown]
	s_and_saveexec_b64 s[4:5], vcc
	s_cbranch_execz .LBB54_341
; %bb.340:
	v_accvgpr_read_b32 v0, a163
	buffer_load_dword v2, v0, s[0:3], 0 offen
	buffer_load_dword v3, v0, s[0:3], 0 offen offset:4
	buffer_load_dword v4, v0, s[0:3], 0 offen offset:8
	;; [unrolled: 1-line block ×3, first 2 shown]
	v_mov_b32_e32 v0, 0
	v_accvgpr_read_b32 v1, a165
	buffer_store_dword v0, off, s[0:3], 0 offset:32
	buffer_store_dword v0, off, s[0:3], 0 offset:36
	;; [unrolled: 1-line block ×4, first 2 shown]
	s_waitcnt vmcnt(4)
	ds_write_b128 v1, v[2:5]
.LBB54_341:
	s_or_b64 exec, exec, s[4:5]
	s_waitcnt lgkmcnt(0)
	; wave barrier
	s_waitcnt lgkmcnt(0)
	buffer_load_dword v136, off, s[0:3], 0 offset:48
	buffer_load_dword v137, off, s[0:3], 0 offset:52
	;; [unrolled: 1-line block ×36, first 2 shown]
	v_mov_b32_e32 v232, 0
	buffer_load_dword v55, off, s[0:3], 0 offset:220
	buffer_load_dword v54, off, s[0:3], 0 offset:216
	;; [unrolled: 1-line block ×18, first 2 shown]
	ds_read_b128 v[22:25], v232 offset:912
	ds_read_b128 v[110:113], v232 offset:928
	;; [unrolled: 1-line block ×9, first 2 shown]
	s_waitcnt vmcnt(50) lgkmcnt(8)
	v_mul_f64 v[2:3], v[22:23], v[16:17]
	v_fmac_f64_e32 v[2:3], v[24:25], v[136:137]
	v_add_f64 v[2:3], v[2:3], 0
	v_mul_f64 v[16:17], v[24:25], v[16:17]
	s_waitcnt vmcnt(46) lgkmcnt(7)
	v_mul_f64 v[4:5], v[110:111], v[20:21]
	v_fmac_f64_e32 v[4:5], v[112:113], v[142:143]
	s_waitcnt vmcnt(44) lgkmcnt(6)
	v_mul_f64 v[6:7], v[114:115], v[26:27]
	v_add_f64 v[2:3], v[2:3], v[4:5]
	s_waitcnt vmcnt(42) lgkmcnt(4)
	v_mul_f64 v[10:11], v[152:153], v[30:31]
	v_mul_f64 v[20:21], v[112:113], v[20:21]
	s_waitcnt vmcnt(40)
	v_fmac_f64_e32 v[10:11], v[154:155], v[32:33]
	v_mul_f64 v[26:27], v[116:117], v[26:27]
	s_waitcnt vmcnt(38)
	v_mul_f64 v[8:9], v[148:149], v[28:29]
	v_mul_f64 v[28:29], v[150:151], v[28:29]
	s_waitcnt vmcnt(36) lgkmcnt(2)
	v_mul_f64 v[68:69], v[160:161], v[44:45]
	v_mul_f64 v[30:31], v[154:155], v[30:31]
	s_waitcnt vmcnt(34)
	v_fmac_f64_e32 v[68:69], v[162:163], v[46:47]
	v_mul_f64 v[44:45], v[162:163], v[44:45]
	s_waitcnt vmcnt(32)
	v_mul_f64 v[12:13], v[156:157], v[34:35]
	v_mul_f64 v[34:35], v[158:159], v[34:35]
	s_waitcnt vmcnt(30) lgkmcnt(1)
	v_mul_f64 v[118:119], v[164:165], v[42:43]
	s_waitcnt vmcnt(28)
	v_fmac_f64_e32 v[6:7], v[116:117], v[40:41]
	v_add_f64 v[2:3], v[2:3], v[6:7]
	s_waitcnt vmcnt(26)
	v_fmac_f64_e32 v[8:9], v[150:151], v[38:39]
	v_add_f64 v[2:3], v[2:3], v[8:9]
	;; [unrolled: 3-line block ×3, first 2 shown]
	v_add_f64 v[2:3], v[2:3], v[12:13]
	v_add_f64 v[2:3], v[2:3], v[68:69]
	buffer_load_dword v109, off, s[0:3], 0 offset:276
	buffer_load_dword v108, off, s[0:3], 0 offset:272
	;; [unrolled: 1-line block ×40, first 2 shown]
	s_waitcnt vmcnt(62)
	v_fmac_f64_e32 v[118:119], v[166:167], v[50:51]
	v_add_f64 v[2:3], v[2:3], v[118:119]
	v_fma_f64 v[112:113], v[114:115], v[40:41], -v[26:27]
	v_fma_f64 v[116:117], v[156:157], v[36:37], -v[34:35]
	;; [unrolled: 1-line block ×4, first 2 shown]
	s_waitcnt vmcnt(0)
	v_pk_mov_b32 v[6:7], v[0:1], v[0:1] op_sel:[0,1]
	buffer_load_dword v1, off, s[0:3], 0 offset:436
	buffer_load_dword v0, off, s[0:3], 0 offset:432
	v_pk_mov_b32 v[238:239], v[6:7], v[6:7] op_sel:[0,1]
	s_waitcnt vmcnt(0)
	v_pk_mov_b32 v[8:9], v[0:1], v[0:1] op_sel:[0,1]
	buffer_load_dword v91, off, s[0:3], 0 offset:428
	buffer_load_dword v90, off, s[0:3], 0 offset:424
	;; [unrolled: 1-line block ×6, first 2 shown]
	v_accvgpr_write_b32 a175, v9
	v_accvgpr_write_b32 a174, v8
	s_waitcnt vmcnt(0)
	v_pk_mov_b32 v[120:121], v[0:1], v[0:1] op_sel:[0,1]
	buffer_load_dword v1, off, s[0:3], 0 offset:468
	buffer_load_dword v0, off, s[0:3], 0 offset:464
	v_accvgpr_write_b32 a181, v121
	v_accvgpr_write_b32 a180, v120
	s_waitcnt vmcnt(0)
	v_pk_mov_b32 v[122:123], v[0:1], v[0:1] op_sel:[0,1]
	buffer_load_dword v1, off, s[0:3], 0 offset:460
	buffer_load_dword v0, off, s[0:3], 0 offset:456
	;; [unrolled: 6-line block ×5, first 2 shown]
	buffer_load_dword v5, off, s[0:3], 0 offset:492
	buffer_load_dword v4, off, s[0:3], 0 offset:488
	v_accvgpr_write_b32 a189, v125
	v_accvgpr_write_b32 a188, v124
	s_waitcnt vmcnt(2)
	v_accvgpr_write_b32 a191, v1
	v_accvgpr_write_b32 a190, v0
	s_waitcnt vmcnt(0)
	v_pk_mov_b32 v[130:131], v[4:5], v[4:5] op_sel:[0,1]
	buffer_load_dword v5, off, s[0:3], 0 offset:484
	buffer_load_dword v4, off, s[0:3], 0 offset:480
	ds_read_b128 v[172:175], v232 offset:1056
	ds_read_b128 v[176:179], v232 offset:1072
	;; [unrolled: 1-line block ×9, first 2 shown]
	buffer_load_dword v11, off, s[0:3], 0 offset:524
	buffer_load_dword v10, off, s[0:3], 0 offset:520
	v_accvgpr_write_b32 a185, v131
	v_accvgpr_write_b32 a184, v130
	s_waitcnt lgkmcnt(2)
	v_mul_f64 v[46:47], v[198:199], v[104:105]
	s_waitcnt vmcnt(2)
	v_pk_mov_b32 v[140:141], v[4:5], v[4:5] op_sel:[0,1]
	v_mul_f64 v[4:5], v[168:169], v[48:49]
	v_fmac_f64_e32 v[4:5], v[170:171], v[52:53]
	v_add_f64 v[2:3], v[2:3], v[4:5]
	v_mul_f64 v[4:5], v[172:173], v[58:59]
	v_fmac_f64_e32 v[4:5], v[174:175], v[60:61]
	v_add_f64 v[2:3], v[2:3], v[4:5]
	;; [unrolled: 3-line block ×3, first 2 shown]
	s_waitcnt vmcnt(0)
	v_pk_mov_b32 v[230:231], v[10:11], v[10:11] op_sel:[0,1]
	buffer_load_dword v11, off, s[0:3], 0 offset:516
	buffer_load_dword v10, off, s[0:3], 0 offset:512
	ds_read_b128 v[208:211], v232 offset:1200
	buffer_load_dword v19, off, s[0:3], 0 offset:540
	buffer_load_dword v18, off, s[0:3], 0 offset:536
	;; [unrolled: 1-line block ×12, first 2 shown]
	v_mul_f64 v[4:5], v[180:181], v[96:97]
	v_fmac_f64_e32 v[4:5], v[182:183], v[98:99]
	v_add_f64 v[2:3], v[2:3], v[4:5]
	v_mul_f64 v[4:5], v[184:185], v[64:65]
	v_fmac_f64_e32 v[4:5], v[186:187], v[66:67]
	v_add_f64 v[2:3], v[2:3], v[4:5]
	;; [unrolled: 3-line block ×5, first 2 shown]
	s_waitcnt lgkmcnt(2)
	v_mul_f64 v[4:5], v[200:201], v[84:85]
	v_fmac_f64_e32 v[4:5], v[202:203], v[94:95]
	ds_read_b128 v[212:215], v232 offset:1216
	ds_read_b128 v[220:223], v232 offset:1232
	v_add_f64 v[2:3], v[2:3], v[4:5]
	s_waitcnt lgkmcnt(3)
	v_mul_f64 v[4:5], v[204:205], v[100:101]
	v_fmac_f64_e32 v[4:5], v[206:207], v[102:103]
	v_add_f64 v[2:3], v[2:3], v[4:5]
	s_waitcnt lgkmcnt(2)
	v_mul_f64 v[4:5], v[208:209], v[68:69]
	v_fmac_f64_e32 v[4:5], v[210:211], v[70:71]
	ds_read_b128 v[224:227], v232 offset:1248
	ds_read_b128 v[246:249], v232 offset:1264
	v_add_f64 v[2:3], v[2:3], v[4:5]
	s_waitcnt lgkmcnt(3)
	v_mul_f64 v[4:5], v[212:213], v[72:73]
	v_fmac_f64_e32 v[4:5], v[214:215], v[82:83]
	v_add_f64 v[2:3], v[2:3], v[4:5]
	s_waitcnt lgkmcnt(2)
	v_mul_f64 v[4:5], v[220:221], v[74:75]
	v_fmac_f64_e32 v[4:5], v[222:223], v[76:77]
	;; [unrolled: 4-line block ×3, first 2 shown]
	v_add_f64 v[2:3], v[2:3], v[4:5]
	ds_read_b128 v[250:253], v232 offset:1280
	s_waitcnt lgkmcnt(1)
	v_mul_f64 v[4:5], v[246:247], v[86:87]
	v_fmac_f64_e32 v[4:5], v[248:249], v[88:89]
	ds_read_b128 v[132:135], v232 offset:1312
	ds_read_b128 v[234:237], v232 offset:1328
	v_accvgpr_write_b32 a187, v141
	v_accvgpr_write_b32 a186, v140
	v_fma_f64 v[198:199], v[196:197], v[106:107], -v[46:47]
	s_waitcnt lgkmcnt(1)
	v_accvgpr_write_b32 a173, v135
	v_accvgpr_write_b32 a172, v134
	;; [unrolled: 1-line block ×4, first 2 shown]
	v_mul_f64 v[78:79], v[226:227], v[78:79]
	v_accvgpr_write_b32 a192, v230
	v_accvgpr_write_b32 a193, v231
	s_waitcnt vmcnt(10)
	v_accvgpr_write_b32 a197, v19
	v_pk_mov_b32 v[240:241], v[10:11], v[10:11] op_sel:[0,1]
	v_add_f64 v[10:11], v[2:3], v[4:5]
	ds_read_b128 v[2:5], v232 offset:1296
	v_mul_f64 v[12:13], v[250:251], v[90:91]
	v_fmac_f64_e32 v[12:13], v[252:253], v[92:93]
	v_add_f64 v[10:11], v[10:11], v[12:13]
	s_waitcnt vmcnt(2)
	v_accvgpr_write_b32 a199, v15
	s_waitcnt lgkmcnt(0)
	v_mul_f64 v[12:13], v[2:3], v[6:7]
	v_fmac_f64_e32 v[12:13], v[4:5], v[8:9]
	v_add_f64 v[10:11], v[10:11], v[12:13]
	v_mul_f64 v[12:13], v[132:133], v[126:127]
	v_fmac_f64_e32 v[12:13], v[134:135], v[128:129]
	v_fma_f64 v[126:127], v[22:23], v[136:137], -v[16:17]
	v_mul_f64 v[22:23], v[234:235], v[120:121]
	v_add_f64 v[118:119], v[10:11], v[12:13]
	ds_read_b128 v[136:139], v232 offset:1344
	v_fmac_f64_e32 v[22:23], v[236:237], v[122:123]
	v_add_f64 v[22:23], v[118:119], v[22:23]
	v_fma_f64 v[118:119], v[110:111], v[142:143], -v[20:21]
	ds_read_b128 v[142:145], v232 offset:1360
	s_waitcnt lgkmcnt(1)
	v_mul_f64 v[24:25], v[136:137], v[130:131]
	v_fmac_f64_e32 v[24:25], v[138:139], v[140:141]
	v_add_f64 v[110:111], v[22:23], v[24:25]
	ds_read_b128 v[132:135], v232 offset:1376
	s_waitcnt lgkmcnt(1)
	v_mul_f64 v[26:27], v[142:143], v[124:125]
	v_fmac_f64_e32 v[26:27], v[144:145], v[0:1]
	buffer_load_dword v125, off, s[0:3], 0 offset:588
	buffer_load_dword v124, off, s[0:3], 0 offset:584
	v_add_f64 v[26:27], v[110:111], v[26:27]
	buffer_load_dword v140, off, s[0:3], 0 offset:600
	buffer_load_dword v228, off, s[0:3], 0 offset:592
	v_fma_f64 v[110:111], v[148:149], v[38:39], -v[28:29]
	buffer_load_dword v149, off, s[0:3], 0 offset:580
	buffer_load_dword v148, off, s[0:3], 0 offset:576
	buffer_load_dword v141, off, s[0:3], 0 offset:604
	ds_read_b128 v[128:131], v232 offset:1392
	ds_read_b128 v[120:123], v232 offset:1408
	s_waitcnt lgkmcnt(2)
	v_mul_f64 v[28:29], v[132:133], v[230:231]
	ds_read_b128 v[34:37], v232 offset:1424
	v_fmac_f64_e32 v[28:29], v[134:135], v[240:241]
	s_waitcnt lgkmcnt(2)
	v_mul_f64 v[40:41], v[128:129], v[18:19]
	v_add_f64 v[38:39], v[26:27], v[28:29]
	buffer_load_dword v229, off, s[0:3], 0 offset:596
	v_fmac_f64_e32 v[40:41], v[130:131], v[146:147]
	v_add_f64 v[38:39], v[38:39], v[40:41]
	s_waitcnt lgkmcnt(1)
	v_mul_f64 v[40:41], v[120:121], v[218:219]
	v_fmac_f64_e32 v[40:41], v[122:123], v[254:255]
	v_add_f64 v[38:39], v[38:39], v[40:41]
	s_waitcnt lgkmcnt(0)
	v_mul_f64 v[40:41], v[34:35], v[14:15]
	s_waitcnt vmcnt(8)
	v_fmac_f64_e32 v[40:41], v[36:37], v[244:245]
	v_add_f64 v[0:1], v[38:39], v[40:41]
	ds_read_b128 v[38:41], v232 offset:1440
	buffer_load_dword v151, off, s[0:3], 0 offset:620
	buffer_load_dword v150, off, s[0:3], 0 offset:616
	;; [unrolled: 1-line block ×9, first 2 shown]
	v_accvgpr_write_b32 a169, v5
	v_accvgpr_write_b32 a168, v4
	;; [unrolled: 1-line block ×4, first 2 shown]
	v_mul_f64 v[4:5], v[166:167], v[42:43]
	v_fma_f64 v[26:27], v[164:165], v[50:51], -v[4:5]
	buffer_load_dword v163, off, s[0:3], 0 offset:652
	buffer_load_dword v162, off, s[0:3], 0 offset:648
	;; [unrolled: 1-line block ×8, first 2 shown]
	v_mul_f64 v[42:43], v[170:171], v[48:49]
	v_fma_f64 v[24:25], v[168:169], v[52:53], -v[42:43]
	v_mul_f64 v[42:43], v[174:175], v[58:59]
	v_fma_f64 v[22:23], v[172:173], v[60:61], -v[42:43]
	buffer_load_dword v171, off, s[0:3], 0 offset:684
	buffer_load_dword v170, off, s[0:3], 0 offset:680
	buffer_load_dword v173, off, s[0:3], 0 offset:676
	buffer_load_dword v172, off, s[0:3], 0 offset:672
	buffer_load_dword v168, off, s[0:3], 0 offset:688
	buffer_load_dword v161, off, s[0:3], 0 offset:700
	buffer_load_dword v169, off, s[0:3], 0 offset:692
	v_mul_f64 v[42:43], v[178:179], v[54:55]
	v_fma_f64 v[20:21], v[176:177], v[56:57], -v[42:43]
	buffer_load_dword v175, off, s[0:3], 0 offset:716
	buffer_load_dword v174, off, s[0:3], 0 offset:712
	buffer_load_dword v177, off, s[0:3], 0 offset:708
	buffer_load_dword v176, off, s[0:3], 0 offset:704
	v_mul_f64 v[12:13], v[182:183], v[96:97]
	v_mul_f64 v[42:43], v[186:187], v[64:65]
	v_accvgpr_write_b32 a196, v18
	v_accvgpr_write_b32 a198, v14
	v_fma_f64 v[18:19], v[180:181], v[98:99], -v[12:13]
	v_fma_f64 v[14:15], v[184:185], v[66:67], -v[42:43]
	buffer_load_dword v179, off, s[0:3], 0 offset:732
	buffer_load_dword v178, off, s[0:3], 0 offset:728
	;; [unrolled: 1-line block ×8, first 2 shown]
	v_mul_f64 v[42:43], v[190:191], v[216:217]
	v_fma_f64 v[216:217], v[188:189], v[242:243], -v[42:43]
	buffer_load_dword v189, off, s[0:3], 0 offset:764
	buffer_load_dword v188, off, s[0:3], 0 offset:760
	;; [unrolled: 1-line block ×4, first 2 shown]
	v_accvgpr_write_b32 a194, v240
	v_mul_f64 v[42:43], v[194:195], v[62:63]
	v_accvgpr_write_b32 a195, v241
	v_fma_f64 v[12:13], v[192:193], v[108:109], -v[42:43]
	buffer_load_dword v186, off, s[0:3], 0 offset:792
	buffer_load_dword v241, off, s[0:3], 0 offset:780
	;; [unrolled: 1-line block ×8, first 2 shown]
	ds_read_b128 v[42:45], v232 offset:1456
	buffer_load_dword v195, off, s[0:3], 0 offset:812
	buffer_load_dword v194, off, s[0:3], 0 offset:808
	buffer_load_dword v197, off, s[0:3], 0 offset:804
	buffer_load_dword v196, off, s[0:3], 0 offset:800
	ds_read_b128 v[46:49], v232 offset:1472
	ds_read_b128 v[50:53], v232 offset:1488
	;; [unrolled: 1-line block ×5, first 2 shown]
	v_mul_f64 v[66:67], v[214:215], v[72:73]
	v_fma_f64 v[4:5], v[212:213], v[82:83], -v[66:67]
	v_fma_f64 v[2:3], v[224:225], v[80:81], -v[78:79]
	ds_read_b128 v[78:81], v232 offset:1600
	s_waitcnt vmcnt(58) lgkmcnt(7)
	v_mul_f64 v[16:17], v[38:39], v[124:125]
	s_waitcnt vmcnt(54)
	v_fmac_f64_e32 v[16:17], v[40:41], v[148:149]
	v_add_f64 v[0:1], v[0:1], v[16:17]
	s_waitcnt vmcnt(53) lgkmcnt(6)
	v_mul_f64 v[16:17], v[42:43], v[140:141]
	s_waitcnt vmcnt(52)
	v_fmac_f64_e32 v[16:17], v[44:45], v[228:229]
	v_add_f64 v[0:1], v[0:1], v[16:17]
	v_mul_f64 v[16:17], v[202:203], v[84:85]
	ds_read_b128 v[82:85], v232 offset:1616
	v_fma_f64 v[10:11], v[200:201], v[94:95], -v[16:17]
	s_waitcnt vmcnt(50) lgkmcnt(6)
	v_mul_f64 v[16:17], v[46:47], v[150:151]
	s_waitcnt vmcnt(48)
	v_fmac_f64_e32 v[16:17], v[48:49], v[156:157]
	v_add_f64 v[0:1], v[0:1], v[16:17]
	v_mul_f64 v[16:17], v[206:207], v[100:101]
	v_fma_f64 v[8:9], v[204:205], v[102:103], -v[16:17]
	s_waitcnt vmcnt(46) lgkmcnt(5)
	v_mul_f64 v[16:17], v[50:51], v[154:155]
	s_waitcnt vmcnt(44)
	v_fmac_f64_e32 v[16:17], v[52:53], v[158:159]
	v_add_f64 v[0:1], v[0:1], v[16:17]
	v_mul_f64 v[16:17], v[210:211], v[68:69]
	v_fma_f64 v[6:7], v[208:209], v[70:71], -v[16:17]
	s_waitcnt vmcnt(41) lgkmcnt(4)
	v_mul_f64 v[16:17], v[54:55], v[162:163]
	s_waitcnt vmcnt(39)
	v_fmac_f64_e32 v[16:17], v[56:57], v[166:167]
	ds_read_b128 v[66:69], v232 offset:1552
	v_add_f64 v[0:1], v[0:1], v[16:17]
	s_waitcnt vmcnt(38) lgkmcnt(4)
	v_mul_f64 v[16:17], v[58:59], v[152:153]
	s_waitcnt vmcnt(36)
	v_fmac_f64_e32 v[16:17], v[60:61], v[164:165]
	v_add_f64 v[0:1], v[0:1], v[16:17]
	s_waitcnt vmcnt(33) lgkmcnt(3)
	v_mul_f64 v[16:17], v[62:63], v[170:171]
	s_waitcnt vmcnt(31)
	v_fmac_f64_e32 v[16:17], v[64:65], v[172:173]
	;; [unrolled: 5-line block ×3, first 2 shown]
	ds_read_b128 v[70:73], v232 offset:1568
	v_add_f64 v[0:1], v[0:1], v[16:17]
	v_mul_f64 v[16:17], v[222:223], v[74:75]
	v_fma_f64 v[28:29], v[220:221], v[76:77], -v[16:17]
	ds_read_b128 v[74:77], v232 offset:1584
	s_waitcnt vmcnt(26) lgkmcnt(1)
	v_mul_f64 v[16:17], v[70:71], v[174:175]
	s_waitcnt vmcnt(24)
	v_fmac_f64_e32 v[16:17], v[72:73], v[176:177]
	v_add_f64 v[0:1], v[0:1], v[16:17]
	s_waitcnt vmcnt(14)
	v_mul_f64 v[94:95], v[82:83], v[188:189]
	s_waitcnt lgkmcnt(0)
	v_mul_f64 v[16:17], v[74:75], v[178:179]
	v_fmac_f64_e32 v[16:17], v[76:77], v[182:183]
	v_add_f64 v[0:1], v[0:1], v[16:17]
	v_mul_f64 v[16:17], v[78:79], v[180:181]
	v_fmac_f64_e32 v[16:17], v[80:81], v[184:185]
	v_add_f64 v[16:17], v[0:1], v[16:17]
	v_mul_f64 v[0:1], v[248:249], v[86:87]
	v_fma_f64 v[32:33], v[246:247], v[88:89], -v[0:1]
	ds_read_b128 v[86:89], v232 offset:1632
	v_mul_f64 v[0:1], v[252:253], v[90:91]
	v_fma_f64 v[0:1], v[250:251], v[92:93], -v[0:1]
	ds_read_b128 v[90:93], v232 offset:1648
	s_waitcnt vmcnt(12)
	v_fmac_f64_e32 v[94:95], v[84:85], v[242:243]
	v_add_f64 v[16:17], v[16:17], v[94:95]
	s_waitcnt vmcnt(9) lgkmcnt(1)
	v_mul_f64 v[94:95], v[86:87], v[240:241]
	s_waitcnt vmcnt(7)
	v_fmac_f64_e32 v[94:95], v[88:89], v[192:193]
	v_add_f64 v[16:17], v[16:17], v[94:95]
	s_waitcnt vmcnt(5) lgkmcnt(0)
	v_mul_f64 v[94:95], v[90:91], v[186:187]
	s_waitcnt vmcnt(4)
	v_fmac_f64_e32 v[94:95], v[92:93], v[190:191]
	v_add_f64 v[16:17], v[16:17], v[94:95]
	ds_read_b128 v[94:97], v232 offset:1664
	s_waitcnt vmcnt(2) lgkmcnt(0)
	v_mul_f64 v[98:99], v[94:95], v[194:195]
	s_waitcnt vmcnt(0)
	v_fmac_f64_e32 v[98:99], v[96:97], v[196:197]
	v_add_f64 v[102:103], v[16:17], v[98:99]
	buffer_load_dword v16, off, s[0:3], 0 offset:824
	buffer_load_dword v17, off, s[0:3], 0 offset:828
	;; [unrolled: 1-line block ×4, first 2 shown]
	ds_read_b128 v[98:101], v232 offset:1680
	buffer_load_dword v203, off, s[0:3], 0 offset:844
	buffer_load_dword v202, off, s[0:3], 0 offset:840
	;; [unrolled: 1-line block ×4, first 2 shown]
	s_waitcnt vmcnt(6) lgkmcnt(0)
	v_mul_f64 v[104:105], v[98:99], v[16:17]
	s_waitcnt vmcnt(4)
	v_fmac_f64_e32 v[104:105], v[100:101], v[200:201]
	v_add_f64 v[106:107], v[102:103], v[104:105]
	ds_read_b128 v[102:105], v232 offset:1696
	buffer_load_dword v206, off, s[0:3], 0 offset:856
	buffer_load_dword v207, off, s[0:3], 0 offset:860
	;; [unrolled: 1-line block ×4, first 2 shown]
	s_waitcnt vmcnt(6) lgkmcnt(0)
	v_mul_f64 v[108:109], v[102:103], v[202:203]
	s_waitcnt vmcnt(4)
	v_fmac_f64_e32 v[108:109], v[104:105], v[204:205]
	v_add_f64 v[210:211], v[106:107], v[108:109]
	ds_read_b128 v[106:109], v232 offset:1712
	s_waitcnt vmcnt(2) lgkmcnt(0)
	v_mul_f64 v[212:213], v[106:107], v[206:207]
	s_waitcnt vmcnt(0)
	v_fmac_f64_e32 v[212:213], v[108:109], v[208:209]
	v_add_f64 v[214:215], v[210:211], v[212:213]
	buffer_load_dword v211, off, s[0:3], 0 offset:876
	buffer_load_dword v210, off, s[0:3], 0 offset:872
	;; [unrolled: 1-line block ×4, first 2 shown]
	ds_read_b128 v[220:223], v232 offset:1728
	buffer_load_dword v246, off, s[0:3], 0 offset:888
	buffer_load_dword v247, off, s[0:3], 0 offset:892
	buffer_load_dword v248, off, s[0:3], 0 offset:880
	buffer_load_dword v249, off, s[0:3], 0 offset:884
	s_waitcnt vmcnt(6) lgkmcnt(0)
	v_mul_f64 v[224:225], v[220:221], v[210:211]
	s_waitcnt vmcnt(4)
	v_fmac_f64_e32 v[224:225], v[222:223], v[212:213]
	v_add_f64 v[214:215], v[214:215], v[224:225]
	ds_read_b128 v[224:227], v232 offset:1744
	buffer_load_dword v252, off, s[0:3], 0 offset:32
	buffer_load_dword v253, off, s[0:3], 0 offset:36
	;; [unrolled: 1-line block ×4, first 2 shown]
	s_waitcnt vmcnt(6) lgkmcnt(0)
	v_mul_f64 v[230:231], v[224:225], v[246:247]
	s_waitcnt vmcnt(4)
	v_fmac_f64_e32 v[230:231], v[226:227], v[248:249]
	v_add_f64 v[214:215], v[214:215], v[230:231]
	v_add_f64 v[230:231], v[126:127], 0
	;; [unrolled: 1-line block ×23, first 2 shown]
	v_accvgpr_read_b32 v4, a166
	v_add_f64 v[2:3], v[2:3], v[32:33]
	v_accvgpr_read_b32 v6, a168
	v_accvgpr_read_b32 v7, a169
	v_add_f64 v[0:1], v[2:3], v[0:1]
	v_mul_f64 v[2:3], v[6:7], v[238:239]
	v_accvgpr_read_b32 v6, a174
	v_accvgpr_read_b32 v5, a167
	;; [unrolled: 1-line block ×3, first 2 shown]
	v_fma_f64 v[2:3], v[4:5], v[6:7], -v[2:3]
	v_add_f64 v[0:1], v[0:1], v[2:3]
	v_accvgpr_read_b32 v4, a170
	v_accvgpr_read_b32 v2, a176
	;; [unrolled: 1-line block ×5, first 2 shown]
	v_mul_f64 v[2:3], v[6:7], v[2:3]
	v_accvgpr_read_b32 v6, a178
	v_accvgpr_read_b32 v5, a171
	;; [unrolled: 1-line block ×3, first 2 shown]
	v_fma_f64 v[2:3], v[4:5], v[6:7], -v[2:3]
	v_add_f64 v[0:1], v[0:1], v[2:3]
	v_accvgpr_read_b32 v2, a180
	v_accvgpr_read_b32 v3, a181
	v_accvgpr_read_b32 v4, a182
	v_mul_f64 v[2:3], v[236:237], v[2:3]
	v_accvgpr_read_b32 v5, a183
	v_fma_f64 v[2:3], v[234:235], v[4:5], -v[2:3]
	v_add_f64 v[0:1], v[0:1], v[2:3]
	v_accvgpr_read_b32 v2, a184
	v_accvgpr_read_b32 v3, a185
	v_accvgpr_read_b32 v4, a186
	v_mul_f64 v[2:3], v[138:139], v[2:3]
	v_accvgpr_read_b32 v5, a187
	;; [unrolled: 7-line block ×4, first 2 shown]
	v_fma_f64 v[2:3], v[132:133], v[4:5], -v[2:3]
	v_add_f64 v[0:1], v[0:1], v[2:3]
	v_accvgpr_read_b32 v2, a196
	v_accvgpr_read_b32 v3, a197
	v_mul_f64 v[2:3], v[130:131], v[2:3]
	v_fma_f64 v[2:3], v[128:129], v[146:147], -v[2:3]
	v_add_f64 v[0:1], v[0:1], v[2:3]
	v_mul_f64 v[2:3], v[122:123], v[218:219]
	v_fma_f64 v[2:3], v[120:121], v[254:255], -v[2:3]
	v_add_f64 v[0:1], v[0:1], v[2:3]
	v_accvgpr_read_b32 v2, a198
	v_accvgpr_read_b32 v3, a199
	v_mul_f64 v[2:3], v[36:37], v[2:3]
	v_fma_f64 v[2:3], v[34:35], v[244:245], -v[2:3]
	v_add_f64 v[0:1], v[0:1], v[2:3]
	v_mul_f64 v[2:3], v[40:41], v[124:125]
	v_fma_f64 v[2:3], v[38:39], v[148:149], -v[2:3]
	v_add_f64 v[0:1], v[0:1], v[2:3]
	;; [unrolled: 3-line block ×21, first 2 shown]
	s_waitcnt vmcnt(2)
	v_add_f64 v[0:1], v[252:253], -v[0:1]
	s_waitcnt vmcnt(0)
	v_add_f64 v[2:3], v[250:251], -v[214:215]
	buffer_store_dword v1, off, s[0:3], 0 offset:36
	buffer_store_dword v0, off, s[0:3], 0 offset:32
	;; [unrolled: 1-line block ×4, first 2 shown]
	v_accvgpr_read_b32 v0, a164
	v_cmp_ne_u32_e32 vcc, 0, v0
	s_and_saveexec_b64 s[4:5], vcc
	s_cbranch_execz .LBB54_343
; %bb.342:
	buffer_load_dword v0, off, s[0:3], 0 offset:16
	buffer_load_dword v1, off, s[0:3], 0 offset:20
	;; [unrolled: 1-line block ×4, first 2 shown]
	v_accvgpr_read_b32 v4, a165
	buffer_store_dword v232, off, s[0:3], 0 offset:16
	buffer_store_dword v232, off, s[0:3], 0 offset:20
	;; [unrolled: 1-line block ×4, first 2 shown]
	s_waitcnt vmcnt(4)
	ds_write_b128 v4, v[0:3]
.LBB54_343:
	s_or_b64 exec, exec, s[4:5]
	s_waitcnt lgkmcnt(0)
	; wave barrier
	s_waitcnt lgkmcnt(0)
	buffer_load_dword v224, off, s[0:3], 0 offset:32
	buffer_load_dword v225, off, s[0:3], 0 offset:36
	;; [unrolled: 1-line block ×42, first 2 shown]
	ds_read_b128 v[8:11], v232 offset:896
	ds_read_b128 v[20:23], v232 offset:912
	;; [unrolled: 1-line block ×10, first 2 shown]
	buffer_load_dword v105, off, s[0:3], 0 offset:180
	buffer_load_dword v104, off, s[0:3], 0 offset:176
	ds_read_b128 v[40:43], v232 offset:1056
	buffer_load_dword v63, off, s[0:3], 0 offset:236
	buffer_load_dword v62, off, s[0:3], 0 offset:232
	;; [unrolled: 1-line block ×6, first 2 shown]
	s_and_b64 vcc, exec, s[20:21]
	s_waitcnt vmcnt(46) lgkmcnt(10)
	v_mul_f64 v[0:1], v[8:9], v[6:7]
	v_fmac_f64_e32 v[0:1], v[10:11], v[224:225]
	v_add_f64 v[0:1], v[0:1], 0
	v_mul_f64 v[6:7], v[10:11], v[6:7]
	s_waitcnt vmcnt(42) lgkmcnt(9)
	v_mul_f64 v[2:3], v[20:21], v[14:15]
	v_fmac_f64_e32 v[2:3], v[22:23], v[242:243]
	s_waitcnt vmcnt(40) lgkmcnt(8)
	v_mul_f64 v[64:65], v[106:107], v[16:17]
	v_add_f64 v[0:1], v[0:1], v[2:3]
	s_waitcnt vmcnt(38) lgkmcnt(6)
	v_mul_f64 v[68:69], v[128:129], v[28:29]
	v_fma_f64 v[224:225], v[8:9], v[224:225], -v[6:7]
	s_waitcnt vmcnt(36)
	v_fmac_f64_e32 v[68:69], v[130:131], v[30:31]
	v_mul_f64 v[14:15], v[22:23], v[14:15]
	s_waitcnt vmcnt(34)
	v_mul_f64 v[66:67], v[110:111], v[24:25]
	v_mul_f64 v[24:25], v[112:113], v[24:25]
	s_waitcnt vmcnt(32) lgkmcnt(4)
	v_mul_f64 v[74:75], v[136:137], v[44:45]
	v_mul_f64 v[16:17], v[108:109], v[16:17]
	s_waitcnt vmcnt(30)
	v_fmac_f64_e32 v[74:75], v[138:139], v[46:47]
	v_mul_f64 v[28:29], v[130:131], v[28:29]
	s_waitcnt vmcnt(28)
	v_mul_f64 v[72:73], v[132:133], v[32:33]
	v_mul_f64 v[32:33], v[134:135], v[32:33]
	s_waitcnt vmcnt(26) lgkmcnt(2)
	v_mul_f64 v[78:79], v[144:145], v[48:49]
	s_waitcnt vmcnt(23)
	v_mul_f64 v[76:77], v[140:141], v[54:55]
	s_waitcnt vmcnt(21) lgkmcnt(1)
	v_mul_f64 v[114:115], v[36:37], v[52:53]
	s_waitcnt vmcnt(19)
	v_fmac_f64_e32 v[64:65], v[108:109], v[234:235]
	v_add_f64 v[0:1], v[0:1], v[64:65]
	s_waitcnt vmcnt(17)
	v_fmac_f64_e32 v[66:67], v[112:113], v[26:27]
	v_add_f64 v[0:1], v[0:1], v[66:67]
	s_waitcnt vmcnt(15)
	v_fmac_f64_e32 v[72:73], v[134:135], v[34:35]
	v_add_f64 v[0:1], v[0:1], v[68:69]
	v_add_f64 v[0:1], v[0:1], v[72:73]
	s_waitcnt vmcnt(13)
	v_fmac_f64_e32 v[76:77], v[142:143], v[56:57]
	v_add_f64 v[0:1], v[0:1], v[74:75]
	s_waitcnt vmcnt(12)
	v_fmac_f64_e32 v[78:79], v[146:147], v[50:51]
	v_add_f64 v[0:1], v[0:1], v[76:77]
	v_add_f64 v[0:1], v[0:1], v[78:79]
	buffer_load_dword v119, off, s[0:3], 0 offset:212
	buffer_load_dword v118, off, s[0:3], 0 offset:208
	;; [unrolled: 1-line block ×52, first 2 shown]
	s_waitcnt vmcnt(58)
	v_fmac_f64_e32 v[114:115], v[38:39], v[104:105]
	v_add_f64 v[0:1], v[0:1], v[114:115]
	s_waitcnt vmcnt(0)
	v_pk_mov_b32 v[116:117], v[2:3], v[2:3] op_sel:[0,1]
	buffer_load_dword v3, off, s[0:3], 0 offset:452
	buffer_load_dword v2, off, s[0:3], 0 offset:448
	v_accvgpr_write_b32 a199, v117
	v_accvgpr_write_b32 a198, v116
	s_waitcnt vmcnt(0)
	v_pk_mov_b32 v[120:121], v[2:3], v[2:3] op_sel:[0,1]
	buffer_load_dword v3, off, s[0:3], 0 offset:444
	buffer_load_dword v2, off, s[0:3], 0 offset:440
	v_accvgpr_write_b32 a173, v121
	v_accvgpr_write_b32 a172, v120
	;; [unrolled: 6-line block ×9, first 2 shown]
	s_waitcnt vmcnt(0)
	v_pk_mov_b32 v[156:157], v[2:3], v[2:3] op_sel:[0,1]
	buffer_load_dword v3, off, s[0:3], 0 offset:508
	buffer_load_dword v2, off, s[0:3], 0 offset:504
	buffer_load_dword v13, off, s[0:3], 0 offset:500
	buffer_load_dword v12, off, s[0:3], 0 offset:496
	ds_read_b128 v[150:153], v232 offset:1072
	ds_read_b128 v[158:161], v232 offset:1088
	;; [unrolled: 1-line block ×8, first 2 shown]
	buffer_load_dword v5, off, s[0:3], 0 offset:540
	buffer_load_dword v4, off, s[0:3], 0 offset:536
	;; [unrolled: 1-line block ×4, first 2 shown]
	ds_read_b128 v[194:197], v232 offset:1200
	buffer_load_dword v218, off, s[0:3], 0 offset:552
	buffer_load_dword v219, off, s[0:3], 0 offset:556
	;; [unrolled: 1-line block ×4, first 2 shown]
	ds_read_b128 v[198:201], v232 offset:1216
	ds_read_b128 v[202:205], v232 offset:1232
	;; [unrolled: 1-line block ×3, first 2 shown]
	buffer_load_dword v239, off, s[0:3], 0 offset:572
	buffer_load_dword v238, off, s[0:3], 0 offset:568
	;; [unrolled: 1-line block ×4, first 2 shown]
	ds_read_b128 v[210:213], v232 offset:1264
	ds_read_b128 v[214:217], v232 offset:1280
	v_accvgpr_write_b32 a193, v157
	v_accvgpr_write_b32 a192, v156
	ds_read_b128 v[246:249], v232 offset:1312
	ds_read_b128 v[250:253], v232 offset:1344
	s_waitcnt lgkmcnt(2)
	v_mul_f64 v[126:127], v[214:215], v[88:89]
	v_fmac_f64_e32 v[126:127], v[216:217], v[90:91]
	v_mul_f64 v[88:89], v[216:217], v[88:89]
	s_waitcnt lgkmcnt(1)
	v_accvgpr_write_b32 a168, v246
	v_accvgpr_write_b32 a169, v247
	;; [unrolled: 1-line block ×4, first 2 shown]
	v_fma_f64 v[214:215], v[214:215], v[90:91], -v[88:89]
	s_waitcnt vmcnt(14)
	v_pk_mov_b32 v[236:237], v[2:3], v[2:3] op_sel:[0,1]
	v_mul_f64 v[2:3], v[40:41], v[58:59]
	v_fmac_f64_e32 v[2:3], v[42:43], v[60:61]
	v_add_f64 v[0:1], v[0:1], v[2:3]
	v_mul_f64 v[2:3], v[150:151], v[102:103]
	v_fmac_f64_e32 v[2:3], v[152:153], v[118:119]
	v_add_f64 v[0:1], v[0:1], v[2:3]
	;; [unrolled: 3-line block ×14, first 2 shown]
	ds_read_b128 v[0:3], v232 offset:1296
	v_add_f64 v[8:9], v[114:115], v[126:127]
	v_accvgpr_write_b32 a186, v236
	v_accvgpr_write_b32 a187, v237
	s_waitcnt vmcnt(8)
	v_accvgpr_write_b32 a197, v19
	s_waitcnt lgkmcnt(0)
	v_mul_f64 v[10:11], v[0:1], v[148:149]
	v_fmac_f64_e32 v[10:11], v[2:3], v[226:227]
	v_add_f64 v[8:9], v[8:9], v[10:11]
	v_mul_f64 v[10:11], v[246:247], v[116:117]
	v_fmac_f64_e32 v[10:11], v[248:249], v[120:121]
	ds_read_b128 v[246:249], v232 offset:1328
	v_fma_f64 v[226:227], v[20:21], v[242:243], -v[14:15]
	ds_read_b128 v[242:245], v232 offset:1360
	v_accvgpr_write_b32 a167, v3
	v_add_f64 v[114:115], v[8:9], v[10:11]
	s_waitcnt lgkmcnt(1)
	v_mul_f64 v[20:21], v[246:247], v[228:229]
	v_fmac_f64_e32 v[20:21], v[248:249], v[230:231]
	ds_read_b128 v[228:231], v232 offset:1376
	v_accvgpr_write_b32 a166, v2
	v_accvgpr_write_b32 a165, v1
	v_accvgpr_write_b32 a164, v0
	v_add_f64 v[2:3], v[114:115], v[20:21]
	v_mul_f64 v[20:21], v[250:251], v[122:123]
	v_fmac_f64_e32 v[20:21], v[252:253], v[124:125]
	v_add_f64 v[2:3], v[2:3], v[20:21]
	s_waitcnt lgkmcnt(1)
	v_mul_f64 v[20:21], v[242:243], v[236:237]
	buffer_load_dword v237, off, s[0:3], 0 offset:588
	buffer_load_dword v236, off, s[0:3], 0 offset:584
	ds_read_b128 v[124:127], v232 offset:1392
	ds_read_b128 v[120:123], v232 offset:1408
	v_fmac_f64_e32 v[20:21], v[244:245], v[12:13]
	v_fma_f64 v[148:149], v[110:111], v[26:27], -v[24:25]
	s_waitcnt lgkmcnt(2)
	v_mul_f64 v[24:25], v[228:229], v[154:155]
	v_fma_f64 v[116:117], v[106:107], v[234:235], -v[16:17]
	v_add_f64 v[2:3], v[2:3], v[20:21]
	v_fmac_f64_e32 v[24:25], v[230:231], v[156:157]
	s_waitcnt lgkmcnt(1)
	v_mul_f64 v[106:107], v[124:125], v[4:5]
	v_add_f64 v[2:3], v[2:3], v[24:25]
	v_fmac_f64_e32 v[106:107], v[126:127], v[18:19]
	v_add_f64 v[2:3], v[2:3], v[106:107]
	v_fma_f64 v[106:107], v[132:133], v[34:35], -v[32:33]
	ds_read_b128 v[32:35], v232 offset:1424
	buffer_load_dword v131, off, s[0:3], 0 offset:580
	buffer_load_dword v130, off, s[0:3], 0 offset:576
	s_waitcnt vmcnt(10) lgkmcnt(1)
	v_mul_f64 v[108:109], v[120:121], v[218:219]
	s_waitcnt vmcnt(8)
	v_fmac_f64_e32 v[108:109], v[122:123], v[240:241]
	v_add_f64 v[108:109], v[2:3], v[108:109]
	v_mul_f64 v[2:3], v[138:139], v[44:45]
	v_fma_f64 v[154:155], v[128:129], v[30:31], -v[28:29]
	buffer_load_dword v128, off, s[0:3], 0 offset:616
	v_fma_f64 v[28:29], v[136:137], v[46:47], -v[2:3]
	buffer_load_dword v132, off, s[0:3], 0 offset:608
	buffer_load_dword v135, off, s[0:3], 0 offset:604
	;; [unrolled: 1-line block ×7, first 2 shown]
	v_mul_f64 v[44:45], v[142:143], v[54:55]
	v_fma_f64 v[26:27], v[140:141], v[56:57], -v[44:45]
	v_mul_f64 v[44:45], v[146:147], v[48:49]
	buffer_load_dword v138, off, s[0:3], 0 offset:648
	v_fma_f64 v[24:25], v[144:145], v[50:51], -v[44:45]
	buffer_load_dword v143, off, s[0:3], 0 offset:636
	buffer_load_dword v142, off, s[0:3], 0 offset:632
	buffer_load_dword v145, off, s[0:3], 0 offset:628
	buffer_load_dword v144, off, s[0:3], 0 offset:624
	buffer_load_dword v140, off, s[0:3], 0 offset:640
	buffer_load_dword v139, off, s[0:3], 0 offset:652
	buffer_load_dword v141, off, s[0:3], 0 offset:644
	v_mul_f64 v[10:11], v[38:39], v[52:53]
	v_fma_f64 v[22:23], v[36:37], v[104:105], -v[10:11]
	ds_read_b128 v[36:39], v232 offset:1440
	buffer_load_dword v147, off, s[0:3], 0 offset:668
	buffer_load_dword v146, off, s[0:3], 0 offset:664
	;; [unrolled: 1-line block ×4, first 2 shown]
	v_mul_f64 v[14:15], v[152:153], v[102:103]
	v_fma_f64 v[16:17], v[150:151], v[118:119], -v[14:15]
	buffer_load_dword v151, off, s[0:3], 0 offset:684
	buffer_load_dword v150, off, s[0:3], 0 offset:680
	;; [unrolled: 1-line block ×8, first 2 shown]
	v_mul_f64 v[42:43], v[42:43], v[58:59]
	v_mul_f64 v[44:45], v[160:161], v[62:63]
	buffer_load_dword v160, off, s[0:3], 0 offset:712
	v_accvgpr_write_b32 a196, v18
	v_fma_f64 v[20:21], v[40:41], v[60:61], -v[42:43]
	ds_read_b128 v[40:43], v232 offset:1456
	v_mul_f64 v[18:19], v[166:167], v[162:163]
	buffer_load_dword v162, off, s[0:3], 0 offset:704
	buffer_load_dword v161, off, s[0:3], 0 offset:716
	;; [unrolled: 1-line block ×3, first 2 shown]
	v_fma_f64 v[14:15], v[158:159], v[70:71], -v[44:45]
	v_fma_f64 v[18:19], v[164:165], v[168:169], -v[18:19]
	buffer_load_dword v158, off, s[0:3], 0 offset:744
	buffer_load_dword v167, off, s[0:3], 0 offset:732
	;; [unrolled: 1-line block ×8, first 2 shown]
	v_accvgpr_write_b32 a189, v13
	v_mul_f64 v[46:47], v[172:173], v[178:179]
	v_accvgpr_write_b32 a188, v12
	v_fma_f64 v[12:13], v[170:171], v[180:181], -v[46:47]
	buffer_load_dword v171, off, s[0:3], 0 offset:764
	buffer_load_dword v170, off, s[0:3], 0 offset:760
	;; [unrolled: 1-line block ×4, first 2 shown]
	v_mul_f64 v[46:47], v[176:177], v[220:221]
	v_fma_f64 v[10:11], v[174:175], v[222:223], -v[46:47]
	buffer_load_dword v175, off, s[0:3], 0 offset:780
	buffer_load_dword v174, off, s[0:3], 0 offset:776
	buffer_load_dword v179, off, s[0:3], 0 offset:772
	buffer_load_dword v178, off, s[0:3], 0 offset:768
	buffer_load_dword v177, off, s[0:3], 0 offset:796
	buffer_load_dword v176, off, s[0:3], 0 offset:792
	buffer_load_dword v181, off, s[0:3], 0 offset:788
	buffer_load_dword v180, off, s[0:3], 0 offset:784
	s_waitcnt vmcnt(58) lgkmcnt(2)
	v_mul_f64 v[6:7], v[32:33], v[238:239]
	s_waitcnt vmcnt(56)
	v_fmac_f64_e32 v[6:7], v[34:35], v[254:255]
	v_add_f64 v[6:7], v[108:109], v[6:7]
	v_mul_f64 v[48:49], v[188:189], v[98:99]
	v_fma_f64 v[186:187], v[186:187], v[100:101], -v[48:49]
	v_accvgpr_write_b32 a195, v5
	v_mul_f64 v[52:53], v[192:193], v[68:69]
	v_accvgpr_write_b32 a194, v4
	v_fma_f64 v[4:5], v[190:191], v[82:83], -v[52:53]
	v_mul_f64 v[60:61], v[196:197], v[80:81]
	v_fma_f64 v[2:3], v[194:195], v[92:93], -v[60:61]
	v_mul_f64 v[64:65], v[200:201], v[64:65]
	;; [unrolled: 2-line block ×4, first 2 shown]
	v_fma_f64 v[212:213], v[210:211], v[86:87], -v[84:85]
	s_waitcnt vmcnt(54) lgkmcnt(1)
	v_mul_f64 v[44:45], v[36:37], v[236:237]
	s_waitcnt vmcnt(52)
	v_fmac_f64_e32 v[44:45], v[38:39], v[130:131]
	v_add_f64 v[6:7], v[6:7], v[44:45]
	v_mul_f64 v[44:45], v[184:185], v[94:95]
	v_fma_f64 v[8:9], v[182:183], v[96:97], -v[44:45]
	buffer_load_dword v182, off, s[0:3], 0 offset:808
	buffer_load_dword v184, off, s[0:3], 0 offset:800
	buffer_load_dword v183, off, s[0:3], 0 offset:812
	buffer_load_dword v185, off, s[0:3], 0 offset:804
	s_waitcnt vmcnt(52) lgkmcnt(0)
	v_mul_f64 v[44:45], v[40:41], v[134:135]
	s_waitcnt vmcnt(50)
	v_fmac_f64_e32 v[44:45], v[42:43], v[136:137]
	v_add_f64 v[6:7], v[6:7], v[44:45]
	ds_read_b128 v[44:47], v232 offset:1472
	ds_read_b128 v[48:51], v232 offset:1488
	;; [unrolled: 1-line block ×5, first 2 shown]
	s_waitcnt vmcnt(49) lgkmcnt(4)
	v_mul_f64 v[56:57], v[44:45], v[128:129]
	s_waitcnt vmcnt(48)
	v_fmac_f64_e32 v[56:57], v[46:47], v[132:133]
	v_add_f64 v[6:7], v[6:7], v[56:57]
	s_waitcnt vmcnt(45) lgkmcnt(3)
	v_mul_f64 v[56:57], v[48:49], v[142:143]
	s_waitcnt vmcnt(43)
	v_fmac_f64_e32 v[56:57], v[50:51], v[144:145]
	v_add_f64 v[6:7], v[6:7], v[56:57]
	;; [unrolled: 5-line block ×3, first 2 shown]
	ds_read_b128 v[56:59], v232 offset:1520
	s_waitcnt vmcnt(34) lgkmcnt(2)
	v_mul_f64 v[30:31], v[60:61], v[150:151]
	s_waitcnt vmcnt(32)
	v_fmac_f64_e32 v[30:31], v[62:63], v[118:119]
	ds_read_b128 v[76:79], v232 offset:1600
	ds_read_b128 v[84:87], v232 offset:1632
	s_waitcnt lgkmcnt(2)
	v_mul_f64 v[68:69], v[56:57], v[146:147]
	v_fmac_f64_e32 v[68:69], v[58:59], v[104:105]
	v_add_f64 v[6:7], v[6:7], v[68:69]
	v_add_f64 v[6:7], v[6:7], v[30:31]
	s_waitcnt vmcnt(30)
	v_mul_f64 v[30:31], v[64:65], v[152:153]
	s_waitcnt vmcnt(28)
	v_fmac_f64_e32 v[30:31], v[66:67], v[156:157]
	ds_read_b128 v[68:71], v232 offset:1568
	v_add_f64 v[6:7], v[6:7], v[30:31]
	v_mul_f64 v[30:31], v[204:205], v[72:73]
	v_fma_f64 v[30:31], v[202:203], v[74:75], -v[30:31]
	ds_read_b128 v[72:75], v232 offset:1584
	s_waitcnt vmcnt(25) lgkmcnt(1)
	v_mul_f64 v[80:81], v[68:69], v[160:161]
	s_waitcnt vmcnt(24)
	v_fmac_f64_e32 v[80:81], v[70:71], v[162:163]
	v_add_f64 v[6:7], v[6:7], v[80:81]
	ds_read_b128 v[88:91], v232 offset:1648
	s_waitcnt vmcnt(21) lgkmcnt(1)
	v_mul_f64 v[80:81], v[72:73], v[166:167]
	s_waitcnt vmcnt(19)
	v_fmac_f64_e32 v[80:81], v[74:75], v[168:169]
	v_add_f64 v[6:7], v[6:7], v[80:81]
	s_waitcnt vmcnt(17)
	v_mul_f64 v[80:81], v[76:77], v[158:159]
	s_waitcnt vmcnt(16)
	v_fmac_f64_e32 v[80:81], v[78:79], v[164:165]
	v_add_f64 v[6:7], v[6:7], v[80:81]
	ds_read_b128 v[80:83], v232 offset:1616
	s_waitcnt vmcnt(14) lgkmcnt(0)
	v_mul_f64 v[92:93], v[80:81], v[170:171]
	s_waitcnt vmcnt(12)
	v_fmac_f64_e32 v[92:93], v[82:83], v[172:173]
	v_add_f64 v[6:7], v[6:7], v[92:93]
	s_waitcnt vmcnt(10)
	v_mul_f64 v[92:93], v[84:85], v[174:175]
	s_waitcnt vmcnt(8)
	v_fmac_f64_e32 v[92:93], v[86:87], v[178:179]
	v_add_f64 v[6:7], v[6:7], v[92:93]
	s_waitcnt vmcnt(6)
	v_mul_f64 v[92:93], v[88:89], v[176:177]
	s_waitcnt vmcnt(4)
	v_fmac_f64_e32 v[92:93], v[90:91], v[180:181]
	v_add_f64 v[6:7], v[6:7], v[92:93]
	ds_read_b128 v[92:95], v232 offset:1664
	s_waitcnt vmcnt(1) lgkmcnt(0)
	v_mul_f64 v[96:97], v[92:93], v[182:183]
	s_waitcnt vmcnt(0)
	v_fmac_f64_e32 v[96:97], v[94:95], v[184:185]
	v_add_f64 v[100:101], v[6:7], v[96:97]
	buffer_load_dword v7, off, s[0:3], 0 offset:828
	buffer_load_dword v6, off, s[0:3], 0 offset:824
	;; [unrolled: 1-line block ×4, first 2 shown]
	ds_read_b128 v[96:99], v232 offset:1680
	buffer_load_dword v190, off, s[0:3], 0 offset:840
	buffer_load_dword v191, off, s[0:3], 0 offset:844
	buffer_load_dword v192, off, s[0:3], 0 offset:832
	buffer_load_dword v193, off, s[0:3], 0 offset:836
	s_waitcnt vmcnt(6) lgkmcnt(0)
	v_mul_f64 v[102:103], v[96:97], v[6:7]
	s_waitcnt vmcnt(4)
	v_fmac_f64_e32 v[102:103], v[98:99], v[188:189]
	v_add_f64 v[108:109], v[100:101], v[102:103]
	ds_read_b128 v[100:103], v232 offset:1696
	buffer_load_dword v195, off, s[0:3], 0 offset:860
	buffer_load_dword v194, off, s[0:3], 0 offset:856
	;; [unrolled: 1-line block ×4, first 2 shown]
	ds_read_b128 v[220:223], v232 offset:1712
	buffer_load_dword v198, off, s[0:3], 0 offset:872
	buffer_load_dword v199, off, s[0:3], 0 offset:876
	;; [unrolled: 1-line block ×4, first 2 shown]
	s_waitcnt vmcnt(10) lgkmcnt(1)
	v_mul_f64 v[110:111], v[100:101], v[190:191]
	s_waitcnt vmcnt(8)
	v_fmac_f64_e32 v[110:111], v[102:103], v[192:193]
	v_add_f64 v[108:109], v[108:109], v[110:111]
	s_waitcnt vmcnt(6) lgkmcnt(0)
	v_mul_f64 v[110:111], v[220:221], v[194:195]
	s_waitcnt vmcnt(4)
	v_fmac_f64_e32 v[110:111], v[222:223], v[196:197]
	v_add_f64 v[112:113], v[108:109], v[110:111]
	ds_read_b128 v[108:111], v232 offset:1728
	buffer_load_dword v205, off, s[0:3], 0 offset:892
	buffer_load_dword v204, off, s[0:3], 0 offset:888
	;; [unrolled: 1-line block ×4, first 2 shown]
	s_waitcnt vmcnt(6) lgkmcnt(0)
	v_mul_f64 v[114:115], v[108:109], v[198:199]
	s_waitcnt vmcnt(4)
	v_fmac_f64_e32 v[114:115], v[110:111], v[200:201]
	v_add_f64 v[202:203], v[112:113], v[114:115]
	ds_read_b128 v[112:115], v232 offset:1744
	s_waitcnt vmcnt(2) lgkmcnt(0)
	v_mul_f64 v[210:211], v[112:113], v[204:205]
	s_waitcnt vmcnt(0)
	v_fmac_f64_e32 v[210:211], v[114:115], v[206:207]
	v_add_f64 v[202:203], v[202:203], v[210:211]
	v_add_f64 v[210:211], v[224:225], 0
	;; [unrolled: 1-line block ×23, first 2 shown]
	buffer_load_dword v210, off, s[0:3], 0 offset:16
	buffer_load_dword v211, off, s[0:3], 0 offset:20
	v_add_f64 v[216:217], v[0:1], v[208:209]
	buffer_load_dword v208, off, s[0:3], 0 offset:24
	buffer_load_dword v209, off, s[0:3], 0 offset:28
	v_accvgpr_read_b32 v8, a164
	v_accvgpr_read_b32 v2, a174
	;; [unrolled: 1-line block ×6, first 2 shown]
	v_add_f64 v[0:1], v[216:217], v[212:213]
	v_accvgpr_read_b32 v9, a165
	v_mul_f64 v[2:3], v[10:11], v[2:3]
	v_accvgpr_read_b32 v5, a177
	v_add_f64 v[0:1], v[0:1], v[214:215]
	v_fma_f64 v[2:3], v[8:9], v[4:5], -v[2:3]
	v_add_f64 v[0:1], v[0:1], v[2:3]
	v_accvgpr_read_b32 v8, a168
	v_accvgpr_read_b32 v2, a198
	;; [unrolled: 1-line block ×7, first 2 shown]
	v_mul_f64 v[2:3], v[10:11], v[2:3]
	v_accvgpr_read_b32 v5, a173
	v_fma_f64 v[2:3], v[8:9], v[4:5], -v[2:3]
	v_add_f64 v[0:1], v[0:1], v[2:3]
	v_accvgpr_read_b32 v2, a178
	v_accvgpr_read_b32 v3, a179
	v_accvgpr_read_b32 v4, a180
	v_mul_f64 v[2:3], v[248:249], v[2:3]
	v_accvgpr_read_b32 v5, a181
	v_fma_f64 v[2:3], v[246:247], v[4:5], -v[2:3]
	v_add_f64 v[0:1], v[0:1], v[2:3]
	v_accvgpr_read_b32 v2, a182
	v_accvgpr_read_b32 v3, a183
	v_accvgpr_read_b32 v4, a184
	;; [unrolled: 7-line block ×5, first 2 shown]
	v_mul_f64 v[2:3], v[126:127], v[2:3]
	v_accvgpr_read_b32 v5, a197
	v_fma_f64 v[2:3], v[124:125], v[4:5], -v[2:3]
	v_add_f64 v[0:1], v[0:1], v[2:3]
	v_mul_f64 v[2:3], v[122:123], v[218:219]
	v_fma_f64 v[2:3], v[120:121], v[240:241], -v[2:3]
	v_add_f64 v[0:1], v[0:1], v[2:3]
	v_mul_f64 v[2:3], v[34:35], v[238:239]
	;; [unrolled: 3-line block ×22, first 2 shown]
	v_fma_f64 v[2:3], v[112:113], v[206:207], -v[2:3]
	v_add_f64 v[0:1], v[0:1], v[2:3]
	s_waitcnt vmcnt(2)
	v_add_f64 v[0:1], v[210:211], -v[0:1]
	s_waitcnt vmcnt(0)
	v_add_f64 v[2:3], v[208:209], -v[202:203]
	buffer_store_dword v1, off, s[0:3], 0 offset:20
	buffer_store_dword v0, off, s[0:3], 0 offset:16
	;; [unrolled: 1-line block ×4, first 2 shown]
	s_cbranch_vccz .LBB54_453
; %bb.344:
	v_pk_mov_b32 v[0:1], s[10:11], s[10:11] op_sel:[0,1]
	flat_load_dword v0, v[0:1] offset:212
	s_waitcnt vmcnt(0) lgkmcnt(0)
	v_add_u32_e32 v0, -1, v0
	v_cmp_ne_u32_e32 vcc, 53, v0
	s_and_saveexec_b64 s[4:5], vcc
	s_cbranch_execz .LBB54_346
; %bb.345:
	v_mov_b32_e32 v1, 16
	v_accvgpr_read_b32 v9, a111
	v_lshl_add_u32 v0, v0, 4, v1
	buffer_load_dword v1, v9, s[0:3], 0 offen offset:4
	buffer_load_dword v2, v9, s[0:3], 0 offen offset:8
	buffer_load_dword v3, v9, s[0:3], 0 offen offset:12
	buffer_load_dword v4, v0, s[0:3], 0 offen
	buffer_load_dword v5, v0, s[0:3], 0 offen offset:4
	buffer_load_dword v6, v0, s[0:3], 0 offen offset:8
	buffer_load_dword v7, v0, s[0:3], 0 offen offset:12
	buffer_load_dword v8, v9, s[0:3], 0 offen
	s_waitcnt vmcnt(4)
	buffer_store_dword v4, v9, s[0:3], 0 offen
	s_waitcnt vmcnt(4)
	buffer_store_dword v5, v9, s[0:3], 0 offen offset:4
	s_waitcnt vmcnt(4)
	buffer_store_dword v6, v9, s[0:3], 0 offen offset:8
	s_waitcnt vmcnt(4)
	buffer_store_dword v7, v9, s[0:3], 0 offen offset:12
	buffer_store_dword v3, v0, s[0:3], 0 offen offset:12
	buffer_store_dword v2, v0, s[0:3], 0 offen offset:8
	buffer_store_dword v1, v0, s[0:3], 0 offen offset:4
	s_waitcnt vmcnt(7)
	buffer_store_dword v8, v0, s[0:3], 0 offen
.LBB54_346:
	s_or_b64 exec, exec, s[4:5]
	v_pk_mov_b32 v[0:1], s[10:11], s[10:11] op_sel:[0,1]
	flat_load_dword v0, v[0:1] offset:208
	s_waitcnt vmcnt(0) lgkmcnt(0)
	v_add_u32_e32 v0, -1, v0
	v_cmp_ne_u32_e32 vcc, 52, v0
	s_and_saveexec_b64 s[4:5], vcc
	s_cbranch_execz .LBB54_348
; %bb.347:
	v_mov_b32_e32 v1, 16
	v_accvgpr_read_b32 v9, a112
	v_lshl_add_u32 v0, v0, 4, v1
	buffer_load_dword v1, v9, s[0:3], 0 offen offset:4
	buffer_load_dword v2, v9, s[0:3], 0 offen offset:8
	buffer_load_dword v3, v9, s[0:3], 0 offen offset:12
	buffer_load_dword v4, v0, s[0:3], 0 offen
	buffer_load_dword v5, v0, s[0:3], 0 offen offset:4
	buffer_load_dword v6, v0, s[0:3], 0 offen offset:8
	buffer_load_dword v7, v0, s[0:3], 0 offen offset:12
	buffer_load_dword v8, v9, s[0:3], 0 offen
	s_waitcnt vmcnt(4)
	buffer_store_dword v4, v9, s[0:3], 0 offen
	s_waitcnt vmcnt(4)
	buffer_store_dword v5, v9, s[0:3], 0 offen offset:4
	s_waitcnt vmcnt(4)
	buffer_store_dword v6, v9, s[0:3], 0 offen offset:8
	s_waitcnt vmcnt(4)
	buffer_store_dword v7, v9, s[0:3], 0 offen offset:12
	buffer_store_dword v3, v0, s[0:3], 0 offen offset:12
	buffer_store_dword v2, v0, s[0:3], 0 offen offset:8
	buffer_store_dword v1, v0, s[0:3], 0 offen offset:4
	s_waitcnt vmcnt(7)
	buffer_store_dword v8, v0, s[0:3], 0 offen
.LBB54_348:
	s_or_b64 exec, exec, s[4:5]
	v_pk_mov_b32 v[0:1], s[10:11], s[10:11] op_sel:[0,1]
	flat_load_dword v0, v[0:1] offset:204
	s_waitcnt vmcnt(0) lgkmcnt(0)
	v_add_u32_e32 v0, -1, v0
	v_cmp_ne_u32_e32 vcc, 51, v0
	s_and_saveexec_b64 s[4:5], vcc
	s_cbranch_execz .LBB54_350
; %bb.349:
	v_mov_b32_e32 v1, 16
	v_accvgpr_read_b32 v9, a113
	v_lshl_add_u32 v0, v0, 4, v1
	buffer_load_dword v1, v9, s[0:3], 0 offen offset:4
	buffer_load_dword v2, v9, s[0:3], 0 offen offset:8
	buffer_load_dword v3, v9, s[0:3], 0 offen offset:12
	buffer_load_dword v4, v0, s[0:3], 0 offen
	buffer_load_dword v5, v0, s[0:3], 0 offen offset:4
	buffer_load_dword v6, v0, s[0:3], 0 offen offset:8
	buffer_load_dword v7, v0, s[0:3], 0 offen offset:12
	buffer_load_dword v8, v9, s[0:3], 0 offen
	s_waitcnt vmcnt(4)
	buffer_store_dword v4, v9, s[0:3], 0 offen
	s_waitcnt vmcnt(4)
	buffer_store_dword v5, v9, s[0:3], 0 offen offset:4
	s_waitcnt vmcnt(4)
	buffer_store_dword v6, v9, s[0:3], 0 offen offset:8
	s_waitcnt vmcnt(4)
	buffer_store_dword v7, v9, s[0:3], 0 offen offset:12
	buffer_store_dword v3, v0, s[0:3], 0 offen offset:12
	buffer_store_dword v2, v0, s[0:3], 0 offen offset:8
	buffer_store_dword v1, v0, s[0:3], 0 offen offset:4
	s_waitcnt vmcnt(7)
	buffer_store_dword v8, v0, s[0:3], 0 offen
.LBB54_350:
	s_or_b64 exec, exec, s[4:5]
	v_pk_mov_b32 v[0:1], s[10:11], s[10:11] op_sel:[0,1]
	flat_load_dword v0, v[0:1] offset:200
	s_waitcnt vmcnt(0) lgkmcnt(0)
	v_add_u32_e32 v0, -1, v0
	v_cmp_ne_u32_e32 vcc, 50, v0
	s_and_saveexec_b64 s[4:5], vcc
	s_cbranch_execz .LBB54_352
; %bb.351:
	v_mov_b32_e32 v1, 16
	v_accvgpr_read_b32 v9, a114
	v_lshl_add_u32 v0, v0, 4, v1
	buffer_load_dword v1, v9, s[0:3], 0 offen offset:4
	buffer_load_dword v2, v9, s[0:3], 0 offen offset:8
	buffer_load_dword v3, v9, s[0:3], 0 offen offset:12
	buffer_load_dword v4, v0, s[0:3], 0 offen
	buffer_load_dword v5, v0, s[0:3], 0 offen offset:4
	buffer_load_dword v6, v0, s[0:3], 0 offen offset:8
	buffer_load_dword v7, v0, s[0:3], 0 offen offset:12
	buffer_load_dword v8, v9, s[0:3], 0 offen
	s_waitcnt vmcnt(4)
	buffer_store_dword v4, v9, s[0:3], 0 offen
	s_waitcnt vmcnt(4)
	buffer_store_dword v5, v9, s[0:3], 0 offen offset:4
	s_waitcnt vmcnt(4)
	buffer_store_dword v6, v9, s[0:3], 0 offen offset:8
	s_waitcnt vmcnt(4)
	buffer_store_dword v7, v9, s[0:3], 0 offen offset:12
	buffer_store_dword v3, v0, s[0:3], 0 offen offset:12
	buffer_store_dword v2, v0, s[0:3], 0 offen offset:8
	buffer_store_dword v1, v0, s[0:3], 0 offen offset:4
	s_waitcnt vmcnt(7)
	buffer_store_dword v8, v0, s[0:3], 0 offen
.LBB54_352:
	s_or_b64 exec, exec, s[4:5]
	v_pk_mov_b32 v[0:1], s[10:11], s[10:11] op_sel:[0,1]
	flat_load_dword v0, v[0:1] offset:196
	s_waitcnt vmcnt(0) lgkmcnt(0)
	v_add_u32_e32 v0, -1, v0
	v_cmp_ne_u32_e32 vcc, 49, v0
	s_and_saveexec_b64 s[4:5], vcc
	s_cbranch_execz .LBB54_354
; %bb.353:
	v_mov_b32_e32 v1, 16
	v_accvgpr_read_b32 v9, a115
	v_lshl_add_u32 v0, v0, 4, v1
	buffer_load_dword v1, v9, s[0:3], 0 offen offset:4
	buffer_load_dword v2, v9, s[0:3], 0 offen offset:8
	buffer_load_dword v3, v9, s[0:3], 0 offen offset:12
	buffer_load_dword v4, v0, s[0:3], 0 offen
	buffer_load_dword v5, v0, s[0:3], 0 offen offset:4
	buffer_load_dword v6, v0, s[0:3], 0 offen offset:8
	buffer_load_dword v7, v0, s[0:3], 0 offen offset:12
	buffer_load_dword v8, v9, s[0:3], 0 offen
	s_waitcnt vmcnt(4)
	buffer_store_dword v4, v9, s[0:3], 0 offen
	s_waitcnt vmcnt(4)
	buffer_store_dword v5, v9, s[0:3], 0 offen offset:4
	s_waitcnt vmcnt(4)
	buffer_store_dword v6, v9, s[0:3], 0 offen offset:8
	s_waitcnt vmcnt(4)
	buffer_store_dword v7, v9, s[0:3], 0 offen offset:12
	buffer_store_dword v3, v0, s[0:3], 0 offen offset:12
	buffer_store_dword v2, v0, s[0:3], 0 offen offset:8
	buffer_store_dword v1, v0, s[0:3], 0 offen offset:4
	s_waitcnt vmcnt(7)
	buffer_store_dword v8, v0, s[0:3], 0 offen
.LBB54_354:
	s_or_b64 exec, exec, s[4:5]
	v_pk_mov_b32 v[0:1], s[10:11], s[10:11] op_sel:[0,1]
	flat_load_dword v0, v[0:1] offset:192
	s_waitcnt vmcnt(0) lgkmcnt(0)
	v_add_u32_e32 v0, -1, v0
	v_cmp_ne_u32_e32 vcc, 48, v0
	s_and_saveexec_b64 s[4:5], vcc
	s_cbranch_execz .LBB54_356
; %bb.355:
	v_mov_b32_e32 v1, 16
	v_accvgpr_read_b32 v9, a116
	v_lshl_add_u32 v0, v0, 4, v1
	buffer_load_dword v1, v9, s[0:3], 0 offen offset:4
	buffer_load_dword v2, v9, s[0:3], 0 offen offset:8
	buffer_load_dword v3, v9, s[0:3], 0 offen offset:12
	buffer_load_dword v4, v0, s[0:3], 0 offen
	buffer_load_dword v5, v0, s[0:3], 0 offen offset:4
	buffer_load_dword v6, v0, s[0:3], 0 offen offset:8
	buffer_load_dword v7, v0, s[0:3], 0 offen offset:12
	buffer_load_dword v8, v9, s[0:3], 0 offen
	s_waitcnt vmcnt(4)
	buffer_store_dword v4, v9, s[0:3], 0 offen
	s_waitcnt vmcnt(4)
	buffer_store_dword v5, v9, s[0:3], 0 offen offset:4
	s_waitcnt vmcnt(4)
	buffer_store_dword v6, v9, s[0:3], 0 offen offset:8
	s_waitcnt vmcnt(4)
	buffer_store_dword v7, v9, s[0:3], 0 offen offset:12
	buffer_store_dword v3, v0, s[0:3], 0 offen offset:12
	buffer_store_dword v2, v0, s[0:3], 0 offen offset:8
	buffer_store_dword v1, v0, s[0:3], 0 offen offset:4
	s_waitcnt vmcnt(7)
	buffer_store_dword v8, v0, s[0:3], 0 offen
.LBB54_356:
	s_or_b64 exec, exec, s[4:5]
	v_pk_mov_b32 v[0:1], s[10:11], s[10:11] op_sel:[0,1]
	flat_load_dword v0, v[0:1] offset:188
	s_waitcnt vmcnt(0) lgkmcnt(0)
	v_add_u32_e32 v0, -1, v0
	v_cmp_ne_u32_e32 vcc, 47, v0
	s_and_saveexec_b64 s[4:5], vcc
	s_cbranch_execz .LBB54_358
; %bb.357:
	v_mov_b32_e32 v1, 16
	v_accvgpr_read_b32 v9, a117
	v_lshl_add_u32 v0, v0, 4, v1
	buffer_load_dword v1, v9, s[0:3], 0 offen offset:4
	buffer_load_dword v2, v9, s[0:3], 0 offen offset:8
	buffer_load_dword v3, v9, s[0:3], 0 offen offset:12
	buffer_load_dword v4, v0, s[0:3], 0 offen
	buffer_load_dword v5, v0, s[0:3], 0 offen offset:4
	buffer_load_dword v6, v0, s[0:3], 0 offen offset:8
	buffer_load_dword v7, v0, s[0:3], 0 offen offset:12
	buffer_load_dword v8, v9, s[0:3], 0 offen
	s_waitcnt vmcnt(4)
	buffer_store_dword v4, v9, s[0:3], 0 offen
	s_waitcnt vmcnt(4)
	buffer_store_dword v5, v9, s[0:3], 0 offen offset:4
	s_waitcnt vmcnt(4)
	buffer_store_dword v6, v9, s[0:3], 0 offen offset:8
	s_waitcnt vmcnt(4)
	buffer_store_dword v7, v9, s[0:3], 0 offen offset:12
	buffer_store_dword v3, v0, s[0:3], 0 offen offset:12
	buffer_store_dword v2, v0, s[0:3], 0 offen offset:8
	buffer_store_dword v1, v0, s[0:3], 0 offen offset:4
	s_waitcnt vmcnt(7)
	buffer_store_dword v8, v0, s[0:3], 0 offen
.LBB54_358:
	s_or_b64 exec, exec, s[4:5]
	v_pk_mov_b32 v[0:1], s[10:11], s[10:11] op_sel:[0,1]
	flat_load_dword v0, v[0:1] offset:184
	s_waitcnt vmcnt(0) lgkmcnt(0)
	v_add_u32_e32 v0, -1, v0
	v_cmp_ne_u32_e32 vcc, 46, v0
	s_and_saveexec_b64 s[4:5], vcc
	s_cbranch_execz .LBB54_360
; %bb.359:
	v_mov_b32_e32 v1, 16
	v_accvgpr_read_b32 v9, a118
	v_lshl_add_u32 v0, v0, 4, v1
	buffer_load_dword v1, v9, s[0:3], 0 offen offset:4
	buffer_load_dword v2, v9, s[0:3], 0 offen offset:8
	buffer_load_dword v3, v9, s[0:3], 0 offen offset:12
	buffer_load_dword v4, v0, s[0:3], 0 offen
	buffer_load_dword v5, v0, s[0:3], 0 offen offset:4
	buffer_load_dword v6, v0, s[0:3], 0 offen offset:8
	buffer_load_dword v7, v0, s[0:3], 0 offen offset:12
	buffer_load_dword v8, v9, s[0:3], 0 offen
	s_waitcnt vmcnt(4)
	buffer_store_dword v4, v9, s[0:3], 0 offen
	s_waitcnt vmcnt(4)
	buffer_store_dword v5, v9, s[0:3], 0 offen offset:4
	s_waitcnt vmcnt(4)
	buffer_store_dword v6, v9, s[0:3], 0 offen offset:8
	s_waitcnt vmcnt(4)
	buffer_store_dword v7, v9, s[0:3], 0 offen offset:12
	buffer_store_dword v3, v0, s[0:3], 0 offen offset:12
	buffer_store_dword v2, v0, s[0:3], 0 offen offset:8
	buffer_store_dword v1, v0, s[0:3], 0 offen offset:4
	s_waitcnt vmcnt(7)
	buffer_store_dword v8, v0, s[0:3], 0 offen
.LBB54_360:
	s_or_b64 exec, exec, s[4:5]
	v_pk_mov_b32 v[0:1], s[10:11], s[10:11] op_sel:[0,1]
	flat_load_dword v0, v[0:1] offset:180
	s_waitcnt vmcnt(0) lgkmcnt(0)
	v_add_u32_e32 v0, -1, v0
	v_cmp_ne_u32_e32 vcc, 45, v0
	s_and_saveexec_b64 s[4:5], vcc
	s_cbranch_execz .LBB54_362
; %bb.361:
	v_mov_b32_e32 v1, 16
	v_accvgpr_read_b32 v9, a119
	v_lshl_add_u32 v0, v0, 4, v1
	buffer_load_dword v1, v9, s[0:3], 0 offen offset:4
	buffer_load_dword v2, v9, s[0:3], 0 offen offset:8
	buffer_load_dword v3, v9, s[0:3], 0 offen offset:12
	buffer_load_dword v4, v0, s[0:3], 0 offen
	buffer_load_dword v5, v0, s[0:3], 0 offen offset:4
	buffer_load_dword v6, v0, s[0:3], 0 offen offset:8
	buffer_load_dword v7, v0, s[0:3], 0 offen offset:12
	buffer_load_dword v8, v9, s[0:3], 0 offen
	s_waitcnt vmcnt(4)
	buffer_store_dword v4, v9, s[0:3], 0 offen
	s_waitcnt vmcnt(4)
	buffer_store_dword v5, v9, s[0:3], 0 offen offset:4
	s_waitcnt vmcnt(4)
	buffer_store_dword v6, v9, s[0:3], 0 offen offset:8
	s_waitcnt vmcnt(4)
	buffer_store_dword v7, v9, s[0:3], 0 offen offset:12
	buffer_store_dword v3, v0, s[0:3], 0 offen offset:12
	buffer_store_dword v2, v0, s[0:3], 0 offen offset:8
	buffer_store_dword v1, v0, s[0:3], 0 offen offset:4
	s_waitcnt vmcnt(7)
	buffer_store_dword v8, v0, s[0:3], 0 offen
.LBB54_362:
	s_or_b64 exec, exec, s[4:5]
	v_pk_mov_b32 v[0:1], s[10:11], s[10:11] op_sel:[0,1]
	flat_load_dword v0, v[0:1] offset:176
	s_waitcnt vmcnt(0) lgkmcnt(0)
	v_add_u32_e32 v0, -1, v0
	v_cmp_ne_u32_e32 vcc, 44, v0
	s_and_saveexec_b64 s[4:5], vcc
	s_cbranch_execz .LBB54_364
; %bb.363:
	v_mov_b32_e32 v1, 16
	v_accvgpr_read_b32 v9, a120
	v_lshl_add_u32 v0, v0, 4, v1
	buffer_load_dword v1, v9, s[0:3], 0 offen offset:4
	buffer_load_dword v2, v9, s[0:3], 0 offen offset:8
	buffer_load_dword v3, v9, s[0:3], 0 offen offset:12
	buffer_load_dword v4, v0, s[0:3], 0 offen
	buffer_load_dword v5, v0, s[0:3], 0 offen offset:4
	buffer_load_dword v6, v0, s[0:3], 0 offen offset:8
	buffer_load_dword v7, v0, s[0:3], 0 offen offset:12
	buffer_load_dword v8, v9, s[0:3], 0 offen
	s_waitcnt vmcnt(4)
	buffer_store_dword v4, v9, s[0:3], 0 offen
	s_waitcnt vmcnt(4)
	buffer_store_dword v5, v9, s[0:3], 0 offen offset:4
	s_waitcnt vmcnt(4)
	buffer_store_dword v6, v9, s[0:3], 0 offen offset:8
	s_waitcnt vmcnt(4)
	buffer_store_dword v7, v9, s[0:3], 0 offen offset:12
	buffer_store_dword v3, v0, s[0:3], 0 offen offset:12
	buffer_store_dword v2, v0, s[0:3], 0 offen offset:8
	buffer_store_dword v1, v0, s[0:3], 0 offen offset:4
	s_waitcnt vmcnt(7)
	buffer_store_dword v8, v0, s[0:3], 0 offen
.LBB54_364:
	s_or_b64 exec, exec, s[4:5]
	v_pk_mov_b32 v[0:1], s[10:11], s[10:11] op_sel:[0,1]
	flat_load_dword v0, v[0:1] offset:172
	s_waitcnt vmcnt(0) lgkmcnt(0)
	v_add_u32_e32 v0, -1, v0
	v_cmp_ne_u32_e32 vcc, 43, v0
	s_and_saveexec_b64 s[4:5], vcc
	s_cbranch_execz .LBB54_366
; %bb.365:
	v_mov_b32_e32 v1, 16
	v_accvgpr_read_b32 v9, a121
	v_lshl_add_u32 v0, v0, 4, v1
	buffer_load_dword v1, v9, s[0:3], 0 offen offset:4
	buffer_load_dword v2, v9, s[0:3], 0 offen offset:8
	buffer_load_dword v3, v9, s[0:3], 0 offen offset:12
	buffer_load_dword v4, v0, s[0:3], 0 offen
	buffer_load_dword v5, v0, s[0:3], 0 offen offset:4
	buffer_load_dword v6, v0, s[0:3], 0 offen offset:8
	buffer_load_dword v7, v0, s[0:3], 0 offen offset:12
	buffer_load_dword v8, v9, s[0:3], 0 offen
	s_waitcnt vmcnt(4)
	buffer_store_dword v4, v9, s[0:3], 0 offen
	s_waitcnt vmcnt(4)
	buffer_store_dword v5, v9, s[0:3], 0 offen offset:4
	s_waitcnt vmcnt(4)
	buffer_store_dword v6, v9, s[0:3], 0 offen offset:8
	s_waitcnt vmcnt(4)
	buffer_store_dword v7, v9, s[0:3], 0 offen offset:12
	buffer_store_dword v3, v0, s[0:3], 0 offen offset:12
	buffer_store_dword v2, v0, s[0:3], 0 offen offset:8
	buffer_store_dword v1, v0, s[0:3], 0 offen offset:4
	s_waitcnt vmcnt(7)
	buffer_store_dword v8, v0, s[0:3], 0 offen
.LBB54_366:
	s_or_b64 exec, exec, s[4:5]
	v_pk_mov_b32 v[0:1], s[10:11], s[10:11] op_sel:[0,1]
	flat_load_dword v0, v[0:1] offset:168
	s_waitcnt vmcnt(0) lgkmcnt(0)
	v_add_u32_e32 v0, -1, v0
	v_cmp_ne_u32_e32 vcc, 42, v0
	s_and_saveexec_b64 s[4:5], vcc
	s_cbranch_execz .LBB54_368
; %bb.367:
	v_mov_b32_e32 v1, 16
	v_accvgpr_read_b32 v9, a122
	v_lshl_add_u32 v0, v0, 4, v1
	buffer_load_dword v1, v9, s[0:3], 0 offen offset:4
	buffer_load_dword v2, v9, s[0:3], 0 offen offset:8
	buffer_load_dword v3, v9, s[0:3], 0 offen offset:12
	buffer_load_dword v4, v0, s[0:3], 0 offen
	buffer_load_dword v5, v0, s[0:3], 0 offen offset:4
	buffer_load_dword v6, v0, s[0:3], 0 offen offset:8
	buffer_load_dword v7, v0, s[0:3], 0 offen offset:12
	buffer_load_dword v8, v9, s[0:3], 0 offen
	s_waitcnt vmcnt(4)
	buffer_store_dword v4, v9, s[0:3], 0 offen
	s_waitcnt vmcnt(4)
	buffer_store_dword v5, v9, s[0:3], 0 offen offset:4
	s_waitcnt vmcnt(4)
	buffer_store_dword v6, v9, s[0:3], 0 offen offset:8
	s_waitcnt vmcnt(4)
	buffer_store_dword v7, v9, s[0:3], 0 offen offset:12
	buffer_store_dword v3, v0, s[0:3], 0 offen offset:12
	buffer_store_dword v2, v0, s[0:3], 0 offen offset:8
	buffer_store_dword v1, v0, s[0:3], 0 offen offset:4
	s_waitcnt vmcnt(7)
	buffer_store_dword v8, v0, s[0:3], 0 offen
.LBB54_368:
	s_or_b64 exec, exec, s[4:5]
	v_pk_mov_b32 v[0:1], s[10:11], s[10:11] op_sel:[0,1]
	flat_load_dword v0, v[0:1] offset:164
	s_waitcnt vmcnt(0) lgkmcnt(0)
	v_add_u32_e32 v0, -1, v0
	v_cmp_ne_u32_e32 vcc, 41, v0
	s_and_saveexec_b64 s[4:5], vcc
	s_cbranch_execz .LBB54_370
; %bb.369:
	v_mov_b32_e32 v1, 16
	v_accvgpr_read_b32 v9, a123
	v_lshl_add_u32 v0, v0, 4, v1
	buffer_load_dword v1, v9, s[0:3], 0 offen offset:4
	buffer_load_dword v2, v9, s[0:3], 0 offen offset:8
	buffer_load_dword v3, v9, s[0:3], 0 offen offset:12
	buffer_load_dword v4, v0, s[0:3], 0 offen
	buffer_load_dword v5, v0, s[0:3], 0 offen offset:4
	buffer_load_dword v6, v0, s[0:3], 0 offen offset:8
	buffer_load_dword v7, v0, s[0:3], 0 offen offset:12
	buffer_load_dword v8, v9, s[0:3], 0 offen
	s_waitcnt vmcnt(4)
	buffer_store_dword v4, v9, s[0:3], 0 offen
	s_waitcnt vmcnt(4)
	buffer_store_dword v5, v9, s[0:3], 0 offen offset:4
	s_waitcnt vmcnt(4)
	buffer_store_dword v6, v9, s[0:3], 0 offen offset:8
	s_waitcnt vmcnt(4)
	buffer_store_dword v7, v9, s[0:3], 0 offen offset:12
	buffer_store_dword v3, v0, s[0:3], 0 offen offset:12
	buffer_store_dword v2, v0, s[0:3], 0 offen offset:8
	buffer_store_dword v1, v0, s[0:3], 0 offen offset:4
	s_waitcnt vmcnt(7)
	buffer_store_dword v8, v0, s[0:3], 0 offen
.LBB54_370:
	s_or_b64 exec, exec, s[4:5]
	v_pk_mov_b32 v[0:1], s[10:11], s[10:11] op_sel:[0,1]
	flat_load_dword v0, v[0:1] offset:160
	s_waitcnt vmcnt(0) lgkmcnt(0)
	v_add_u32_e32 v0, -1, v0
	v_cmp_ne_u32_e32 vcc, 40, v0
	s_and_saveexec_b64 s[4:5], vcc
	s_cbranch_execz .LBB54_372
; %bb.371:
	v_mov_b32_e32 v1, 16
	v_accvgpr_read_b32 v9, a124
	v_lshl_add_u32 v0, v0, 4, v1
	buffer_load_dword v1, v9, s[0:3], 0 offen offset:4
	buffer_load_dword v2, v9, s[0:3], 0 offen offset:8
	buffer_load_dword v3, v9, s[0:3], 0 offen offset:12
	buffer_load_dword v4, v0, s[0:3], 0 offen
	buffer_load_dword v5, v0, s[0:3], 0 offen offset:4
	buffer_load_dword v6, v0, s[0:3], 0 offen offset:8
	buffer_load_dword v7, v0, s[0:3], 0 offen offset:12
	buffer_load_dword v8, v9, s[0:3], 0 offen
	s_waitcnt vmcnt(4)
	buffer_store_dword v4, v9, s[0:3], 0 offen
	s_waitcnt vmcnt(4)
	buffer_store_dword v5, v9, s[0:3], 0 offen offset:4
	s_waitcnt vmcnt(4)
	buffer_store_dword v6, v9, s[0:3], 0 offen offset:8
	s_waitcnt vmcnt(4)
	buffer_store_dword v7, v9, s[0:3], 0 offen offset:12
	buffer_store_dword v3, v0, s[0:3], 0 offen offset:12
	buffer_store_dword v2, v0, s[0:3], 0 offen offset:8
	buffer_store_dword v1, v0, s[0:3], 0 offen offset:4
	s_waitcnt vmcnt(7)
	buffer_store_dword v8, v0, s[0:3], 0 offen
.LBB54_372:
	s_or_b64 exec, exec, s[4:5]
	v_pk_mov_b32 v[0:1], s[10:11], s[10:11] op_sel:[0,1]
	flat_load_dword v0, v[0:1] offset:156
	s_waitcnt vmcnt(0) lgkmcnt(0)
	v_add_u32_e32 v0, -1, v0
	v_cmp_ne_u32_e32 vcc, 39, v0
	s_and_saveexec_b64 s[4:5], vcc
	s_cbranch_execz .LBB54_374
; %bb.373:
	v_mov_b32_e32 v1, 16
	v_accvgpr_read_b32 v9, a125
	v_lshl_add_u32 v0, v0, 4, v1
	buffer_load_dword v1, v9, s[0:3], 0 offen offset:4
	buffer_load_dword v2, v9, s[0:3], 0 offen offset:8
	buffer_load_dword v3, v9, s[0:3], 0 offen offset:12
	buffer_load_dword v4, v0, s[0:3], 0 offen
	buffer_load_dword v5, v0, s[0:3], 0 offen offset:4
	buffer_load_dword v6, v0, s[0:3], 0 offen offset:8
	buffer_load_dword v7, v0, s[0:3], 0 offen offset:12
	buffer_load_dword v8, v9, s[0:3], 0 offen
	s_waitcnt vmcnt(4)
	buffer_store_dword v4, v9, s[0:3], 0 offen
	s_waitcnt vmcnt(4)
	buffer_store_dword v5, v9, s[0:3], 0 offen offset:4
	s_waitcnt vmcnt(4)
	buffer_store_dword v6, v9, s[0:3], 0 offen offset:8
	s_waitcnt vmcnt(4)
	buffer_store_dword v7, v9, s[0:3], 0 offen offset:12
	buffer_store_dword v3, v0, s[0:3], 0 offen offset:12
	buffer_store_dword v2, v0, s[0:3], 0 offen offset:8
	buffer_store_dword v1, v0, s[0:3], 0 offen offset:4
	s_waitcnt vmcnt(7)
	buffer_store_dword v8, v0, s[0:3], 0 offen
.LBB54_374:
	s_or_b64 exec, exec, s[4:5]
	v_pk_mov_b32 v[0:1], s[10:11], s[10:11] op_sel:[0,1]
	flat_load_dword v0, v[0:1] offset:152
	s_waitcnt vmcnt(0) lgkmcnt(0)
	v_add_u32_e32 v0, -1, v0
	v_cmp_ne_u32_e32 vcc, 38, v0
	s_and_saveexec_b64 s[4:5], vcc
	s_cbranch_execz .LBB54_376
; %bb.375:
	v_mov_b32_e32 v1, 16
	v_accvgpr_read_b32 v9, a126
	v_lshl_add_u32 v0, v0, 4, v1
	buffer_load_dword v1, v9, s[0:3], 0 offen offset:4
	buffer_load_dword v2, v9, s[0:3], 0 offen offset:8
	buffer_load_dword v3, v9, s[0:3], 0 offen offset:12
	buffer_load_dword v4, v0, s[0:3], 0 offen
	buffer_load_dword v5, v0, s[0:3], 0 offen offset:4
	buffer_load_dword v6, v0, s[0:3], 0 offen offset:8
	buffer_load_dword v7, v0, s[0:3], 0 offen offset:12
	buffer_load_dword v8, v9, s[0:3], 0 offen
	s_waitcnt vmcnt(4)
	buffer_store_dword v4, v9, s[0:3], 0 offen
	s_waitcnt vmcnt(4)
	buffer_store_dword v5, v9, s[0:3], 0 offen offset:4
	s_waitcnt vmcnt(4)
	buffer_store_dword v6, v9, s[0:3], 0 offen offset:8
	s_waitcnt vmcnt(4)
	buffer_store_dword v7, v9, s[0:3], 0 offen offset:12
	buffer_store_dword v3, v0, s[0:3], 0 offen offset:12
	buffer_store_dword v2, v0, s[0:3], 0 offen offset:8
	buffer_store_dword v1, v0, s[0:3], 0 offen offset:4
	s_waitcnt vmcnt(7)
	buffer_store_dword v8, v0, s[0:3], 0 offen
.LBB54_376:
	s_or_b64 exec, exec, s[4:5]
	v_pk_mov_b32 v[0:1], s[10:11], s[10:11] op_sel:[0,1]
	flat_load_dword v0, v[0:1] offset:148
	s_waitcnt vmcnt(0) lgkmcnt(0)
	v_add_u32_e32 v0, -1, v0
	v_cmp_ne_u32_e32 vcc, 37, v0
	s_and_saveexec_b64 s[4:5], vcc
	s_cbranch_execz .LBB54_378
; %bb.377:
	v_mov_b32_e32 v1, 16
	v_accvgpr_read_b32 v9, a127
	v_lshl_add_u32 v0, v0, 4, v1
	buffer_load_dword v1, v9, s[0:3], 0 offen offset:4
	buffer_load_dword v2, v9, s[0:3], 0 offen offset:8
	buffer_load_dword v3, v9, s[0:3], 0 offen offset:12
	buffer_load_dword v4, v0, s[0:3], 0 offen
	buffer_load_dword v5, v0, s[0:3], 0 offen offset:4
	buffer_load_dword v6, v0, s[0:3], 0 offen offset:8
	buffer_load_dword v7, v0, s[0:3], 0 offen offset:12
	buffer_load_dword v8, v9, s[0:3], 0 offen
	s_waitcnt vmcnt(4)
	buffer_store_dword v4, v9, s[0:3], 0 offen
	s_waitcnt vmcnt(4)
	buffer_store_dword v5, v9, s[0:3], 0 offen offset:4
	s_waitcnt vmcnt(4)
	buffer_store_dword v6, v9, s[0:3], 0 offen offset:8
	s_waitcnt vmcnt(4)
	buffer_store_dword v7, v9, s[0:3], 0 offen offset:12
	buffer_store_dword v3, v0, s[0:3], 0 offen offset:12
	buffer_store_dword v2, v0, s[0:3], 0 offen offset:8
	buffer_store_dword v1, v0, s[0:3], 0 offen offset:4
	s_waitcnt vmcnt(7)
	buffer_store_dword v8, v0, s[0:3], 0 offen
.LBB54_378:
	s_or_b64 exec, exec, s[4:5]
	v_pk_mov_b32 v[0:1], s[10:11], s[10:11] op_sel:[0,1]
	flat_load_dword v0, v[0:1] offset:144
	s_waitcnt vmcnt(0) lgkmcnt(0)
	v_add_u32_e32 v0, -1, v0
	v_cmp_ne_u32_e32 vcc, 36, v0
	s_and_saveexec_b64 s[4:5], vcc
	s_cbranch_execz .LBB54_380
; %bb.379:
	v_mov_b32_e32 v1, 16
	v_accvgpr_read_b32 v9, a128
	v_lshl_add_u32 v0, v0, 4, v1
	buffer_load_dword v1, v9, s[0:3], 0 offen offset:4
	buffer_load_dword v2, v9, s[0:3], 0 offen offset:8
	buffer_load_dword v3, v9, s[0:3], 0 offen offset:12
	buffer_load_dword v4, v0, s[0:3], 0 offen
	buffer_load_dword v5, v0, s[0:3], 0 offen offset:4
	buffer_load_dword v6, v0, s[0:3], 0 offen offset:8
	buffer_load_dword v7, v0, s[0:3], 0 offen offset:12
	buffer_load_dword v8, v9, s[0:3], 0 offen
	s_waitcnt vmcnt(4)
	buffer_store_dword v4, v9, s[0:3], 0 offen
	s_waitcnt vmcnt(4)
	buffer_store_dword v5, v9, s[0:3], 0 offen offset:4
	s_waitcnt vmcnt(4)
	buffer_store_dword v6, v9, s[0:3], 0 offen offset:8
	s_waitcnt vmcnt(4)
	buffer_store_dword v7, v9, s[0:3], 0 offen offset:12
	buffer_store_dword v3, v0, s[0:3], 0 offen offset:12
	buffer_store_dword v2, v0, s[0:3], 0 offen offset:8
	buffer_store_dword v1, v0, s[0:3], 0 offen offset:4
	s_waitcnt vmcnt(7)
	buffer_store_dword v8, v0, s[0:3], 0 offen
.LBB54_380:
	s_or_b64 exec, exec, s[4:5]
	v_pk_mov_b32 v[0:1], s[10:11], s[10:11] op_sel:[0,1]
	flat_load_dword v0, v[0:1] offset:140
	s_waitcnt vmcnt(0) lgkmcnt(0)
	v_add_u32_e32 v0, -1, v0
	v_cmp_ne_u32_e32 vcc, 35, v0
	s_and_saveexec_b64 s[4:5], vcc
	s_cbranch_execz .LBB54_382
; %bb.381:
	v_mov_b32_e32 v1, 16
	v_accvgpr_read_b32 v9, a129
	v_lshl_add_u32 v0, v0, 4, v1
	buffer_load_dword v1, v9, s[0:3], 0 offen offset:4
	buffer_load_dword v2, v9, s[0:3], 0 offen offset:8
	buffer_load_dword v3, v9, s[0:3], 0 offen offset:12
	buffer_load_dword v4, v0, s[0:3], 0 offen
	buffer_load_dword v5, v0, s[0:3], 0 offen offset:4
	buffer_load_dword v6, v0, s[0:3], 0 offen offset:8
	buffer_load_dword v7, v0, s[0:3], 0 offen offset:12
	buffer_load_dword v8, v9, s[0:3], 0 offen
	s_waitcnt vmcnt(4)
	buffer_store_dword v4, v9, s[0:3], 0 offen
	s_waitcnt vmcnt(4)
	buffer_store_dword v5, v9, s[0:3], 0 offen offset:4
	s_waitcnt vmcnt(4)
	buffer_store_dword v6, v9, s[0:3], 0 offen offset:8
	s_waitcnt vmcnt(4)
	buffer_store_dword v7, v9, s[0:3], 0 offen offset:12
	buffer_store_dword v3, v0, s[0:3], 0 offen offset:12
	buffer_store_dword v2, v0, s[0:3], 0 offen offset:8
	buffer_store_dword v1, v0, s[0:3], 0 offen offset:4
	s_waitcnt vmcnt(7)
	buffer_store_dword v8, v0, s[0:3], 0 offen
.LBB54_382:
	s_or_b64 exec, exec, s[4:5]
	v_pk_mov_b32 v[0:1], s[10:11], s[10:11] op_sel:[0,1]
	flat_load_dword v0, v[0:1] offset:136
	s_waitcnt vmcnt(0) lgkmcnt(0)
	v_add_u32_e32 v0, -1, v0
	v_cmp_ne_u32_e32 vcc, 34, v0
	s_and_saveexec_b64 s[4:5], vcc
	s_cbranch_execz .LBB54_384
; %bb.383:
	v_mov_b32_e32 v1, 16
	v_accvgpr_read_b32 v9, a130
	v_lshl_add_u32 v0, v0, 4, v1
	buffer_load_dword v1, v9, s[0:3], 0 offen offset:4
	buffer_load_dword v2, v9, s[0:3], 0 offen offset:8
	buffer_load_dword v3, v9, s[0:3], 0 offen offset:12
	buffer_load_dword v4, v0, s[0:3], 0 offen
	buffer_load_dword v5, v0, s[0:3], 0 offen offset:4
	buffer_load_dword v6, v0, s[0:3], 0 offen offset:8
	buffer_load_dword v7, v0, s[0:3], 0 offen offset:12
	buffer_load_dword v8, v9, s[0:3], 0 offen
	s_waitcnt vmcnt(4)
	buffer_store_dword v4, v9, s[0:3], 0 offen
	s_waitcnt vmcnt(4)
	buffer_store_dword v5, v9, s[0:3], 0 offen offset:4
	s_waitcnt vmcnt(4)
	buffer_store_dword v6, v9, s[0:3], 0 offen offset:8
	s_waitcnt vmcnt(4)
	buffer_store_dword v7, v9, s[0:3], 0 offen offset:12
	buffer_store_dword v3, v0, s[0:3], 0 offen offset:12
	buffer_store_dword v2, v0, s[0:3], 0 offen offset:8
	buffer_store_dword v1, v0, s[0:3], 0 offen offset:4
	s_waitcnt vmcnt(7)
	buffer_store_dword v8, v0, s[0:3], 0 offen
.LBB54_384:
	s_or_b64 exec, exec, s[4:5]
	v_pk_mov_b32 v[0:1], s[10:11], s[10:11] op_sel:[0,1]
	flat_load_dword v0, v[0:1] offset:132
	s_waitcnt vmcnt(0) lgkmcnt(0)
	v_add_u32_e32 v0, -1, v0
	v_cmp_ne_u32_e32 vcc, 33, v0
	s_and_saveexec_b64 s[4:5], vcc
	s_cbranch_execz .LBB54_386
; %bb.385:
	v_mov_b32_e32 v1, 16
	v_accvgpr_read_b32 v9, a131
	v_lshl_add_u32 v0, v0, 4, v1
	buffer_load_dword v1, v9, s[0:3], 0 offen offset:4
	buffer_load_dword v2, v9, s[0:3], 0 offen offset:8
	buffer_load_dword v3, v9, s[0:3], 0 offen offset:12
	buffer_load_dword v4, v0, s[0:3], 0 offen
	buffer_load_dword v5, v0, s[0:3], 0 offen offset:4
	buffer_load_dword v6, v0, s[0:3], 0 offen offset:8
	buffer_load_dword v7, v0, s[0:3], 0 offen offset:12
	buffer_load_dword v8, v9, s[0:3], 0 offen
	s_waitcnt vmcnt(4)
	buffer_store_dword v4, v9, s[0:3], 0 offen
	s_waitcnt vmcnt(4)
	buffer_store_dword v5, v9, s[0:3], 0 offen offset:4
	s_waitcnt vmcnt(4)
	buffer_store_dword v6, v9, s[0:3], 0 offen offset:8
	s_waitcnt vmcnt(4)
	buffer_store_dword v7, v9, s[0:3], 0 offen offset:12
	buffer_store_dword v3, v0, s[0:3], 0 offen offset:12
	buffer_store_dword v2, v0, s[0:3], 0 offen offset:8
	buffer_store_dword v1, v0, s[0:3], 0 offen offset:4
	s_waitcnt vmcnt(7)
	buffer_store_dword v8, v0, s[0:3], 0 offen
.LBB54_386:
	s_or_b64 exec, exec, s[4:5]
	v_pk_mov_b32 v[0:1], s[10:11], s[10:11] op_sel:[0,1]
	flat_load_dword v0, v[0:1] offset:128
	s_waitcnt vmcnt(0) lgkmcnt(0)
	v_add_u32_e32 v0, -1, v0
	v_cmp_ne_u32_e32 vcc, 32, v0
	s_and_saveexec_b64 s[4:5], vcc
	s_cbranch_execz .LBB54_388
; %bb.387:
	v_mov_b32_e32 v1, 16
	v_accvgpr_read_b32 v9, a132
	v_lshl_add_u32 v0, v0, 4, v1
	buffer_load_dword v1, v9, s[0:3], 0 offen offset:4
	buffer_load_dword v2, v9, s[0:3], 0 offen offset:8
	buffer_load_dword v3, v9, s[0:3], 0 offen offset:12
	buffer_load_dword v4, v0, s[0:3], 0 offen
	buffer_load_dword v5, v0, s[0:3], 0 offen offset:4
	buffer_load_dword v6, v0, s[0:3], 0 offen offset:8
	buffer_load_dword v7, v0, s[0:3], 0 offen offset:12
	buffer_load_dword v8, v9, s[0:3], 0 offen
	s_waitcnt vmcnt(4)
	buffer_store_dword v4, v9, s[0:3], 0 offen
	s_waitcnt vmcnt(4)
	buffer_store_dword v5, v9, s[0:3], 0 offen offset:4
	s_waitcnt vmcnt(4)
	buffer_store_dword v6, v9, s[0:3], 0 offen offset:8
	s_waitcnt vmcnt(4)
	buffer_store_dword v7, v9, s[0:3], 0 offen offset:12
	buffer_store_dword v3, v0, s[0:3], 0 offen offset:12
	buffer_store_dword v2, v0, s[0:3], 0 offen offset:8
	buffer_store_dword v1, v0, s[0:3], 0 offen offset:4
	s_waitcnt vmcnt(7)
	buffer_store_dword v8, v0, s[0:3], 0 offen
.LBB54_388:
	s_or_b64 exec, exec, s[4:5]
	v_pk_mov_b32 v[0:1], s[10:11], s[10:11] op_sel:[0,1]
	flat_load_dword v0, v[0:1] offset:124
	s_waitcnt vmcnt(0) lgkmcnt(0)
	v_add_u32_e32 v0, -1, v0
	v_cmp_ne_u32_e32 vcc, 31, v0
	s_and_saveexec_b64 s[4:5], vcc
	s_cbranch_execz .LBB54_390
; %bb.389:
	v_mov_b32_e32 v1, 16
	v_accvgpr_read_b32 v9, a133
	v_lshl_add_u32 v0, v0, 4, v1
	buffer_load_dword v1, v9, s[0:3], 0 offen offset:4
	buffer_load_dword v2, v9, s[0:3], 0 offen offset:8
	buffer_load_dword v3, v9, s[0:3], 0 offen offset:12
	buffer_load_dword v4, v0, s[0:3], 0 offen
	buffer_load_dword v5, v0, s[0:3], 0 offen offset:4
	buffer_load_dword v6, v0, s[0:3], 0 offen offset:8
	buffer_load_dword v7, v0, s[0:3], 0 offen offset:12
	buffer_load_dword v8, v9, s[0:3], 0 offen
	s_waitcnt vmcnt(4)
	buffer_store_dword v4, v9, s[0:3], 0 offen
	s_waitcnt vmcnt(4)
	buffer_store_dword v5, v9, s[0:3], 0 offen offset:4
	s_waitcnt vmcnt(4)
	buffer_store_dword v6, v9, s[0:3], 0 offen offset:8
	s_waitcnt vmcnt(4)
	buffer_store_dword v7, v9, s[0:3], 0 offen offset:12
	buffer_store_dword v3, v0, s[0:3], 0 offen offset:12
	buffer_store_dword v2, v0, s[0:3], 0 offen offset:8
	buffer_store_dword v1, v0, s[0:3], 0 offen offset:4
	s_waitcnt vmcnt(7)
	buffer_store_dword v8, v0, s[0:3], 0 offen
.LBB54_390:
	s_or_b64 exec, exec, s[4:5]
	v_pk_mov_b32 v[0:1], s[10:11], s[10:11] op_sel:[0,1]
	flat_load_dword v0, v[0:1] offset:120
	s_waitcnt vmcnt(0) lgkmcnt(0)
	v_add_u32_e32 v0, -1, v0
	v_cmp_ne_u32_e32 vcc, 30, v0
	s_and_saveexec_b64 s[4:5], vcc
	s_cbranch_execz .LBB54_392
; %bb.391:
	v_mov_b32_e32 v1, 16
	v_accvgpr_read_b32 v9, a134
	v_lshl_add_u32 v0, v0, 4, v1
	buffer_load_dword v1, v9, s[0:3], 0 offen offset:4
	buffer_load_dword v2, v9, s[0:3], 0 offen offset:8
	buffer_load_dword v3, v9, s[0:3], 0 offen offset:12
	buffer_load_dword v4, v0, s[0:3], 0 offen
	buffer_load_dword v5, v0, s[0:3], 0 offen offset:4
	buffer_load_dword v6, v0, s[0:3], 0 offen offset:8
	buffer_load_dword v7, v0, s[0:3], 0 offen offset:12
	buffer_load_dword v8, v9, s[0:3], 0 offen
	s_waitcnt vmcnt(4)
	buffer_store_dword v4, v9, s[0:3], 0 offen
	s_waitcnt vmcnt(4)
	buffer_store_dword v5, v9, s[0:3], 0 offen offset:4
	s_waitcnt vmcnt(4)
	buffer_store_dword v6, v9, s[0:3], 0 offen offset:8
	s_waitcnt vmcnt(4)
	buffer_store_dword v7, v9, s[0:3], 0 offen offset:12
	buffer_store_dword v3, v0, s[0:3], 0 offen offset:12
	buffer_store_dword v2, v0, s[0:3], 0 offen offset:8
	buffer_store_dword v1, v0, s[0:3], 0 offen offset:4
	s_waitcnt vmcnt(7)
	buffer_store_dword v8, v0, s[0:3], 0 offen
.LBB54_392:
	s_or_b64 exec, exec, s[4:5]
	v_pk_mov_b32 v[0:1], s[10:11], s[10:11] op_sel:[0,1]
	flat_load_dword v0, v[0:1] offset:116
	s_waitcnt vmcnt(0) lgkmcnt(0)
	v_add_u32_e32 v0, -1, v0
	v_cmp_ne_u32_e32 vcc, 29, v0
	s_and_saveexec_b64 s[4:5], vcc
	s_cbranch_execz .LBB54_394
; %bb.393:
	v_mov_b32_e32 v1, 16
	v_accvgpr_read_b32 v9, a135
	v_lshl_add_u32 v0, v0, 4, v1
	buffer_load_dword v1, v9, s[0:3], 0 offen offset:4
	buffer_load_dword v2, v9, s[0:3], 0 offen offset:8
	buffer_load_dword v3, v9, s[0:3], 0 offen offset:12
	buffer_load_dword v4, v0, s[0:3], 0 offen
	buffer_load_dword v5, v0, s[0:3], 0 offen offset:4
	buffer_load_dword v6, v0, s[0:3], 0 offen offset:8
	buffer_load_dword v7, v0, s[0:3], 0 offen offset:12
	buffer_load_dword v8, v9, s[0:3], 0 offen
	s_waitcnt vmcnt(4)
	buffer_store_dword v4, v9, s[0:3], 0 offen
	s_waitcnt vmcnt(4)
	buffer_store_dword v5, v9, s[0:3], 0 offen offset:4
	s_waitcnt vmcnt(4)
	buffer_store_dword v6, v9, s[0:3], 0 offen offset:8
	s_waitcnt vmcnt(4)
	buffer_store_dword v7, v9, s[0:3], 0 offen offset:12
	buffer_store_dword v3, v0, s[0:3], 0 offen offset:12
	buffer_store_dword v2, v0, s[0:3], 0 offen offset:8
	buffer_store_dword v1, v0, s[0:3], 0 offen offset:4
	s_waitcnt vmcnt(7)
	buffer_store_dword v8, v0, s[0:3], 0 offen
.LBB54_394:
	s_or_b64 exec, exec, s[4:5]
	v_pk_mov_b32 v[0:1], s[10:11], s[10:11] op_sel:[0,1]
	flat_load_dword v0, v[0:1] offset:112
	s_waitcnt vmcnt(0) lgkmcnt(0)
	v_add_u32_e32 v0, -1, v0
	v_cmp_ne_u32_e32 vcc, 28, v0
	s_and_saveexec_b64 s[4:5], vcc
	s_cbranch_execz .LBB54_396
; %bb.395:
	v_mov_b32_e32 v1, 16
	v_accvgpr_read_b32 v9, a136
	v_lshl_add_u32 v0, v0, 4, v1
	buffer_load_dword v1, v9, s[0:3], 0 offen offset:4
	buffer_load_dword v2, v9, s[0:3], 0 offen offset:8
	buffer_load_dword v3, v9, s[0:3], 0 offen offset:12
	buffer_load_dword v4, v0, s[0:3], 0 offen
	buffer_load_dword v5, v0, s[0:3], 0 offen offset:4
	buffer_load_dword v6, v0, s[0:3], 0 offen offset:8
	buffer_load_dword v7, v0, s[0:3], 0 offen offset:12
	buffer_load_dword v8, v9, s[0:3], 0 offen
	s_waitcnt vmcnt(4)
	buffer_store_dword v4, v9, s[0:3], 0 offen
	s_waitcnt vmcnt(4)
	buffer_store_dword v5, v9, s[0:3], 0 offen offset:4
	s_waitcnt vmcnt(4)
	buffer_store_dword v6, v9, s[0:3], 0 offen offset:8
	s_waitcnt vmcnt(4)
	buffer_store_dword v7, v9, s[0:3], 0 offen offset:12
	buffer_store_dword v3, v0, s[0:3], 0 offen offset:12
	buffer_store_dword v2, v0, s[0:3], 0 offen offset:8
	buffer_store_dword v1, v0, s[0:3], 0 offen offset:4
	s_waitcnt vmcnt(7)
	buffer_store_dword v8, v0, s[0:3], 0 offen
.LBB54_396:
	s_or_b64 exec, exec, s[4:5]
	v_pk_mov_b32 v[0:1], s[10:11], s[10:11] op_sel:[0,1]
	flat_load_dword v0, v[0:1] offset:108
	s_waitcnt vmcnt(0) lgkmcnt(0)
	v_add_u32_e32 v0, -1, v0
	v_cmp_ne_u32_e32 vcc, 27, v0
	s_and_saveexec_b64 s[4:5], vcc
	s_cbranch_execz .LBB54_398
; %bb.397:
	v_mov_b32_e32 v1, 16
	v_accvgpr_read_b32 v9, a137
	v_lshl_add_u32 v0, v0, 4, v1
	buffer_load_dword v1, v9, s[0:3], 0 offen offset:4
	buffer_load_dword v2, v9, s[0:3], 0 offen offset:8
	buffer_load_dword v3, v9, s[0:3], 0 offen offset:12
	buffer_load_dword v4, v0, s[0:3], 0 offen
	buffer_load_dword v5, v0, s[0:3], 0 offen offset:4
	buffer_load_dword v6, v0, s[0:3], 0 offen offset:8
	buffer_load_dword v7, v0, s[0:3], 0 offen offset:12
	buffer_load_dword v8, v9, s[0:3], 0 offen
	s_waitcnt vmcnt(4)
	buffer_store_dword v4, v9, s[0:3], 0 offen
	s_waitcnt vmcnt(4)
	buffer_store_dword v5, v9, s[0:3], 0 offen offset:4
	s_waitcnt vmcnt(4)
	buffer_store_dword v6, v9, s[0:3], 0 offen offset:8
	s_waitcnt vmcnt(4)
	buffer_store_dword v7, v9, s[0:3], 0 offen offset:12
	buffer_store_dword v3, v0, s[0:3], 0 offen offset:12
	buffer_store_dword v2, v0, s[0:3], 0 offen offset:8
	buffer_store_dword v1, v0, s[0:3], 0 offen offset:4
	s_waitcnt vmcnt(7)
	buffer_store_dword v8, v0, s[0:3], 0 offen
.LBB54_398:
	s_or_b64 exec, exec, s[4:5]
	v_pk_mov_b32 v[0:1], s[10:11], s[10:11] op_sel:[0,1]
	flat_load_dword v0, v[0:1] offset:104
	s_waitcnt vmcnt(0) lgkmcnt(0)
	v_add_u32_e32 v0, -1, v0
	v_cmp_ne_u32_e32 vcc, 26, v0
	s_and_saveexec_b64 s[4:5], vcc
	s_cbranch_execz .LBB54_400
; %bb.399:
	v_mov_b32_e32 v1, 16
	v_accvgpr_read_b32 v9, a138
	v_lshl_add_u32 v0, v0, 4, v1
	buffer_load_dword v1, v9, s[0:3], 0 offen offset:4
	buffer_load_dword v2, v9, s[0:3], 0 offen offset:8
	buffer_load_dword v3, v9, s[0:3], 0 offen offset:12
	buffer_load_dword v4, v0, s[0:3], 0 offen
	buffer_load_dword v5, v0, s[0:3], 0 offen offset:4
	buffer_load_dword v6, v0, s[0:3], 0 offen offset:8
	buffer_load_dword v7, v0, s[0:3], 0 offen offset:12
	buffer_load_dword v8, v9, s[0:3], 0 offen
	s_waitcnt vmcnt(4)
	buffer_store_dword v4, v9, s[0:3], 0 offen
	s_waitcnt vmcnt(4)
	buffer_store_dword v5, v9, s[0:3], 0 offen offset:4
	s_waitcnt vmcnt(4)
	buffer_store_dword v6, v9, s[0:3], 0 offen offset:8
	s_waitcnt vmcnt(4)
	buffer_store_dword v7, v9, s[0:3], 0 offen offset:12
	buffer_store_dword v3, v0, s[0:3], 0 offen offset:12
	buffer_store_dword v2, v0, s[0:3], 0 offen offset:8
	buffer_store_dword v1, v0, s[0:3], 0 offen offset:4
	s_waitcnt vmcnt(7)
	buffer_store_dword v8, v0, s[0:3], 0 offen
.LBB54_400:
	s_or_b64 exec, exec, s[4:5]
	v_pk_mov_b32 v[0:1], s[10:11], s[10:11] op_sel:[0,1]
	flat_load_dword v0, v[0:1] offset:100
	s_waitcnt vmcnt(0) lgkmcnt(0)
	v_add_u32_e32 v0, -1, v0
	v_cmp_ne_u32_e32 vcc, 25, v0
	s_and_saveexec_b64 s[4:5], vcc
	s_cbranch_execz .LBB54_402
; %bb.401:
	v_mov_b32_e32 v1, 16
	v_accvgpr_read_b32 v9, a139
	v_lshl_add_u32 v0, v0, 4, v1
	buffer_load_dword v1, v9, s[0:3], 0 offen offset:4
	buffer_load_dword v2, v9, s[0:3], 0 offen offset:8
	buffer_load_dword v3, v9, s[0:3], 0 offen offset:12
	buffer_load_dword v4, v0, s[0:3], 0 offen
	buffer_load_dword v5, v0, s[0:3], 0 offen offset:4
	buffer_load_dword v6, v0, s[0:3], 0 offen offset:8
	buffer_load_dword v7, v0, s[0:3], 0 offen offset:12
	buffer_load_dword v8, v9, s[0:3], 0 offen
	s_waitcnt vmcnt(4)
	buffer_store_dword v4, v9, s[0:3], 0 offen
	s_waitcnt vmcnt(4)
	buffer_store_dword v5, v9, s[0:3], 0 offen offset:4
	s_waitcnt vmcnt(4)
	buffer_store_dword v6, v9, s[0:3], 0 offen offset:8
	s_waitcnt vmcnt(4)
	buffer_store_dword v7, v9, s[0:3], 0 offen offset:12
	buffer_store_dword v3, v0, s[0:3], 0 offen offset:12
	buffer_store_dword v2, v0, s[0:3], 0 offen offset:8
	buffer_store_dword v1, v0, s[0:3], 0 offen offset:4
	s_waitcnt vmcnt(7)
	buffer_store_dword v8, v0, s[0:3], 0 offen
.LBB54_402:
	s_or_b64 exec, exec, s[4:5]
	v_pk_mov_b32 v[0:1], s[10:11], s[10:11] op_sel:[0,1]
	flat_load_dword v0, v[0:1] offset:96
	s_waitcnt vmcnt(0) lgkmcnt(0)
	v_add_u32_e32 v0, -1, v0
	v_cmp_ne_u32_e32 vcc, 24, v0
	s_and_saveexec_b64 s[4:5], vcc
	s_cbranch_execz .LBB54_404
; %bb.403:
	v_mov_b32_e32 v1, 16
	v_accvgpr_read_b32 v9, a140
	v_lshl_add_u32 v0, v0, 4, v1
	buffer_load_dword v1, v9, s[0:3], 0 offen offset:4
	buffer_load_dword v2, v9, s[0:3], 0 offen offset:8
	buffer_load_dword v3, v9, s[0:3], 0 offen offset:12
	buffer_load_dword v4, v0, s[0:3], 0 offen
	buffer_load_dword v5, v0, s[0:3], 0 offen offset:4
	buffer_load_dword v6, v0, s[0:3], 0 offen offset:8
	buffer_load_dword v7, v0, s[0:3], 0 offen offset:12
	buffer_load_dword v8, v9, s[0:3], 0 offen
	s_waitcnt vmcnt(4)
	buffer_store_dword v4, v9, s[0:3], 0 offen
	s_waitcnt vmcnt(4)
	buffer_store_dword v5, v9, s[0:3], 0 offen offset:4
	s_waitcnt vmcnt(4)
	buffer_store_dword v6, v9, s[0:3], 0 offen offset:8
	s_waitcnt vmcnt(4)
	buffer_store_dword v7, v9, s[0:3], 0 offen offset:12
	buffer_store_dword v3, v0, s[0:3], 0 offen offset:12
	buffer_store_dword v2, v0, s[0:3], 0 offen offset:8
	buffer_store_dword v1, v0, s[0:3], 0 offen offset:4
	s_waitcnt vmcnt(7)
	buffer_store_dword v8, v0, s[0:3], 0 offen
.LBB54_404:
	s_or_b64 exec, exec, s[4:5]
	v_pk_mov_b32 v[0:1], s[10:11], s[10:11] op_sel:[0,1]
	flat_load_dword v0, v[0:1] offset:92
	s_waitcnt vmcnt(0) lgkmcnt(0)
	v_add_u32_e32 v0, -1, v0
	v_cmp_ne_u32_e32 vcc, 23, v0
	s_and_saveexec_b64 s[4:5], vcc
	s_cbranch_execz .LBB54_406
; %bb.405:
	v_mov_b32_e32 v1, 16
	v_accvgpr_read_b32 v9, a141
	v_lshl_add_u32 v0, v0, 4, v1
	buffer_load_dword v1, v9, s[0:3], 0 offen offset:4
	buffer_load_dword v2, v9, s[0:3], 0 offen offset:8
	buffer_load_dword v3, v9, s[0:3], 0 offen offset:12
	buffer_load_dword v4, v0, s[0:3], 0 offen
	buffer_load_dword v5, v0, s[0:3], 0 offen offset:4
	buffer_load_dword v6, v0, s[0:3], 0 offen offset:8
	buffer_load_dword v7, v0, s[0:3], 0 offen offset:12
	buffer_load_dword v8, v9, s[0:3], 0 offen
	s_waitcnt vmcnt(4)
	buffer_store_dword v4, v9, s[0:3], 0 offen
	s_waitcnt vmcnt(4)
	buffer_store_dword v5, v9, s[0:3], 0 offen offset:4
	s_waitcnt vmcnt(4)
	buffer_store_dword v6, v9, s[0:3], 0 offen offset:8
	s_waitcnt vmcnt(4)
	buffer_store_dword v7, v9, s[0:3], 0 offen offset:12
	buffer_store_dword v3, v0, s[0:3], 0 offen offset:12
	buffer_store_dword v2, v0, s[0:3], 0 offen offset:8
	buffer_store_dword v1, v0, s[0:3], 0 offen offset:4
	s_waitcnt vmcnt(7)
	buffer_store_dword v8, v0, s[0:3], 0 offen
.LBB54_406:
	s_or_b64 exec, exec, s[4:5]
	v_pk_mov_b32 v[0:1], s[10:11], s[10:11] op_sel:[0,1]
	flat_load_dword v0, v[0:1] offset:88
	s_waitcnt vmcnt(0) lgkmcnt(0)
	v_add_u32_e32 v0, -1, v0
	v_cmp_ne_u32_e32 vcc, 22, v0
	s_and_saveexec_b64 s[4:5], vcc
	s_cbranch_execz .LBB54_408
; %bb.407:
	v_mov_b32_e32 v1, 16
	v_accvgpr_read_b32 v9, a142
	v_lshl_add_u32 v0, v0, 4, v1
	buffer_load_dword v1, v9, s[0:3], 0 offen offset:4
	buffer_load_dword v2, v9, s[0:3], 0 offen offset:8
	buffer_load_dword v3, v9, s[0:3], 0 offen offset:12
	buffer_load_dword v4, v0, s[0:3], 0 offen
	buffer_load_dword v5, v0, s[0:3], 0 offen offset:4
	buffer_load_dword v6, v0, s[0:3], 0 offen offset:8
	buffer_load_dword v7, v0, s[0:3], 0 offen offset:12
	buffer_load_dword v8, v9, s[0:3], 0 offen
	s_waitcnt vmcnt(4)
	buffer_store_dword v4, v9, s[0:3], 0 offen
	s_waitcnt vmcnt(4)
	buffer_store_dword v5, v9, s[0:3], 0 offen offset:4
	s_waitcnt vmcnt(4)
	buffer_store_dword v6, v9, s[0:3], 0 offen offset:8
	s_waitcnt vmcnt(4)
	buffer_store_dword v7, v9, s[0:3], 0 offen offset:12
	buffer_store_dword v3, v0, s[0:3], 0 offen offset:12
	buffer_store_dword v2, v0, s[0:3], 0 offen offset:8
	buffer_store_dword v1, v0, s[0:3], 0 offen offset:4
	s_waitcnt vmcnt(7)
	buffer_store_dword v8, v0, s[0:3], 0 offen
.LBB54_408:
	s_or_b64 exec, exec, s[4:5]
	v_pk_mov_b32 v[0:1], s[10:11], s[10:11] op_sel:[0,1]
	flat_load_dword v0, v[0:1] offset:84
	s_waitcnt vmcnt(0) lgkmcnt(0)
	v_add_u32_e32 v0, -1, v0
	v_cmp_ne_u32_e32 vcc, 21, v0
	s_and_saveexec_b64 s[4:5], vcc
	s_cbranch_execz .LBB54_410
; %bb.409:
	v_mov_b32_e32 v1, 16
	v_accvgpr_read_b32 v9, a143
	v_lshl_add_u32 v0, v0, 4, v1
	buffer_load_dword v1, v9, s[0:3], 0 offen offset:4
	buffer_load_dword v2, v9, s[0:3], 0 offen offset:8
	buffer_load_dword v3, v9, s[0:3], 0 offen offset:12
	buffer_load_dword v4, v0, s[0:3], 0 offen
	buffer_load_dword v5, v0, s[0:3], 0 offen offset:4
	buffer_load_dword v6, v0, s[0:3], 0 offen offset:8
	buffer_load_dword v7, v0, s[0:3], 0 offen offset:12
	buffer_load_dword v8, v9, s[0:3], 0 offen
	s_waitcnt vmcnt(4)
	buffer_store_dword v4, v9, s[0:3], 0 offen
	s_waitcnt vmcnt(4)
	buffer_store_dword v5, v9, s[0:3], 0 offen offset:4
	s_waitcnt vmcnt(4)
	buffer_store_dword v6, v9, s[0:3], 0 offen offset:8
	s_waitcnt vmcnt(4)
	buffer_store_dword v7, v9, s[0:3], 0 offen offset:12
	buffer_store_dword v3, v0, s[0:3], 0 offen offset:12
	buffer_store_dword v2, v0, s[0:3], 0 offen offset:8
	buffer_store_dword v1, v0, s[0:3], 0 offen offset:4
	s_waitcnt vmcnt(7)
	buffer_store_dword v8, v0, s[0:3], 0 offen
.LBB54_410:
	s_or_b64 exec, exec, s[4:5]
	v_pk_mov_b32 v[0:1], s[10:11], s[10:11] op_sel:[0,1]
	flat_load_dword v0, v[0:1] offset:80
	s_waitcnt vmcnt(0) lgkmcnt(0)
	v_add_u32_e32 v0, -1, v0
	v_cmp_ne_u32_e32 vcc, 20, v0
	s_and_saveexec_b64 s[4:5], vcc
	s_cbranch_execz .LBB54_412
; %bb.411:
	v_mov_b32_e32 v1, 16
	v_accvgpr_read_b32 v9, a144
	v_lshl_add_u32 v0, v0, 4, v1
	buffer_load_dword v1, v9, s[0:3], 0 offen offset:4
	buffer_load_dword v2, v9, s[0:3], 0 offen offset:8
	buffer_load_dword v3, v9, s[0:3], 0 offen offset:12
	buffer_load_dword v4, v0, s[0:3], 0 offen
	buffer_load_dword v5, v0, s[0:3], 0 offen offset:4
	buffer_load_dword v6, v0, s[0:3], 0 offen offset:8
	buffer_load_dword v7, v0, s[0:3], 0 offen offset:12
	buffer_load_dword v8, v9, s[0:3], 0 offen
	s_waitcnt vmcnt(4)
	buffer_store_dword v4, v9, s[0:3], 0 offen
	s_waitcnt vmcnt(4)
	buffer_store_dword v5, v9, s[0:3], 0 offen offset:4
	s_waitcnt vmcnt(4)
	buffer_store_dword v6, v9, s[0:3], 0 offen offset:8
	s_waitcnt vmcnt(4)
	buffer_store_dword v7, v9, s[0:3], 0 offen offset:12
	buffer_store_dword v3, v0, s[0:3], 0 offen offset:12
	buffer_store_dword v2, v0, s[0:3], 0 offen offset:8
	buffer_store_dword v1, v0, s[0:3], 0 offen offset:4
	s_waitcnt vmcnt(7)
	buffer_store_dword v8, v0, s[0:3], 0 offen
.LBB54_412:
	s_or_b64 exec, exec, s[4:5]
	v_pk_mov_b32 v[0:1], s[10:11], s[10:11] op_sel:[0,1]
	flat_load_dword v0, v[0:1] offset:76
	s_waitcnt vmcnt(0) lgkmcnt(0)
	v_add_u32_e32 v0, -1, v0
	v_cmp_ne_u32_e32 vcc, 19, v0
	s_and_saveexec_b64 s[4:5], vcc
	s_cbranch_execz .LBB54_414
; %bb.413:
	v_mov_b32_e32 v1, 16
	v_accvgpr_read_b32 v9, a145
	v_lshl_add_u32 v0, v0, 4, v1
	buffer_load_dword v1, v9, s[0:3], 0 offen offset:4
	buffer_load_dword v2, v9, s[0:3], 0 offen offset:8
	buffer_load_dword v3, v9, s[0:3], 0 offen offset:12
	buffer_load_dword v4, v0, s[0:3], 0 offen
	buffer_load_dword v5, v0, s[0:3], 0 offen offset:4
	buffer_load_dword v6, v0, s[0:3], 0 offen offset:8
	buffer_load_dword v7, v0, s[0:3], 0 offen offset:12
	buffer_load_dword v8, v9, s[0:3], 0 offen
	s_waitcnt vmcnt(4)
	buffer_store_dword v4, v9, s[0:3], 0 offen
	s_waitcnt vmcnt(4)
	buffer_store_dword v5, v9, s[0:3], 0 offen offset:4
	s_waitcnt vmcnt(4)
	buffer_store_dword v6, v9, s[0:3], 0 offen offset:8
	s_waitcnt vmcnt(4)
	buffer_store_dword v7, v9, s[0:3], 0 offen offset:12
	buffer_store_dword v3, v0, s[0:3], 0 offen offset:12
	buffer_store_dword v2, v0, s[0:3], 0 offen offset:8
	buffer_store_dword v1, v0, s[0:3], 0 offen offset:4
	s_waitcnt vmcnt(7)
	buffer_store_dword v8, v0, s[0:3], 0 offen
.LBB54_414:
	s_or_b64 exec, exec, s[4:5]
	v_pk_mov_b32 v[0:1], s[10:11], s[10:11] op_sel:[0,1]
	flat_load_dword v0, v[0:1] offset:72
	s_waitcnt vmcnt(0) lgkmcnt(0)
	v_add_u32_e32 v0, -1, v0
	v_cmp_ne_u32_e32 vcc, 18, v0
	s_and_saveexec_b64 s[4:5], vcc
	s_cbranch_execz .LBB54_416
; %bb.415:
	v_mov_b32_e32 v1, 16
	v_accvgpr_read_b32 v9, a146
	v_lshl_add_u32 v0, v0, 4, v1
	buffer_load_dword v1, v9, s[0:3], 0 offen offset:4
	buffer_load_dword v2, v9, s[0:3], 0 offen offset:8
	buffer_load_dword v3, v9, s[0:3], 0 offen offset:12
	buffer_load_dword v4, v0, s[0:3], 0 offen
	buffer_load_dword v5, v0, s[0:3], 0 offen offset:4
	buffer_load_dword v6, v0, s[0:3], 0 offen offset:8
	buffer_load_dword v7, v0, s[0:3], 0 offen offset:12
	buffer_load_dword v8, v9, s[0:3], 0 offen
	s_waitcnt vmcnt(4)
	buffer_store_dword v4, v9, s[0:3], 0 offen
	s_waitcnt vmcnt(4)
	buffer_store_dword v5, v9, s[0:3], 0 offen offset:4
	s_waitcnt vmcnt(4)
	buffer_store_dword v6, v9, s[0:3], 0 offen offset:8
	s_waitcnt vmcnt(4)
	buffer_store_dword v7, v9, s[0:3], 0 offen offset:12
	buffer_store_dword v3, v0, s[0:3], 0 offen offset:12
	buffer_store_dword v2, v0, s[0:3], 0 offen offset:8
	buffer_store_dword v1, v0, s[0:3], 0 offen offset:4
	s_waitcnt vmcnt(7)
	buffer_store_dword v8, v0, s[0:3], 0 offen
.LBB54_416:
	s_or_b64 exec, exec, s[4:5]
	v_pk_mov_b32 v[0:1], s[10:11], s[10:11] op_sel:[0,1]
	flat_load_dword v0, v[0:1] offset:68
	s_waitcnt vmcnt(0) lgkmcnt(0)
	v_add_u32_e32 v0, -1, v0
	v_cmp_ne_u32_e32 vcc, 17, v0
	s_and_saveexec_b64 s[4:5], vcc
	s_cbranch_execz .LBB54_418
; %bb.417:
	v_mov_b32_e32 v1, 16
	v_accvgpr_read_b32 v9, a147
	v_lshl_add_u32 v0, v0, 4, v1
	buffer_load_dword v1, v9, s[0:3], 0 offen offset:4
	buffer_load_dword v2, v9, s[0:3], 0 offen offset:8
	buffer_load_dword v3, v9, s[0:3], 0 offen offset:12
	buffer_load_dword v4, v0, s[0:3], 0 offen
	buffer_load_dword v5, v0, s[0:3], 0 offen offset:4
	buffer_load_dword v6, v0, s[0:3], 0 offen offset:8
	buffer_load_dword v7, v0, s[0:3], 0 offen offset:12
	buffer_load_dword v8, v9, s[0:3], 0 offen
	s_waitcnt vmcnt(4)
	buffer_store_dword v4, v9, s[0:3], 0 offen
	s_waitcnt vmcnt(4)
	buffer_store_dword v5, v9, s[0:3], 0 offen offset:4
	s_waitcnt vmcnt(4)
	buffer_store_dword v6, v9, s[0:3], 0 offen offset:8
	s_waitcnt vmcnt(4)
	buffer_store_dword v7, v9, s[0:3], 0 offen offset:12
	buffer_store_dword v3, v0, s[0:3], 0 offen offset:12
	buffer_store_dword v2, v0, s[0:3], 0 offen offset:8
	buffer_store_dword v1, v0, s[0:3], 0 offen offset:4
	s_waitcnt vmcnt(7)
	buffer_store_dword v8, v0, s[0:3], 0 offen
.LBB54_418:
	s_or_b64 exec, exec, s[4:5]
	v_pk_mov_b32 v[0:1], s[10:11], s[10:11] op_sel:[0,1]
	flat_load_dword v0, v[0:1] offset:64
	s_waitcnt vmcnt(0) lgkmcnt(0)
	v_add_u32_e32 v0, -1, v0
	v_cmp_ne_u32_e32 vcc, 16, v0
	s_and_saveexec_b64 s[4:5], vcc
	s_cbranch_execz .LBB54_420
; %bb.419:
	v_mov_b32_e32 v1, 16
	v_accvgpr_read_b32 v9, a148
	v_lshl_add_u32 v0, v0, 4, v1
	buffer_load_dword v1, v9, s[0:3], 0 offen offset:4
	buffer_load_dword v2, v9, s[0:3], 0 offen offset:8
	buffer_load_dword v3, v9, s[0:3], 0 offen offset:12
	buffer_load_dword v4, v0, s[0:3], 0 offen
	buffer_load_dword v5, v0, s[0:3], 0 offen offset:4
	buffer_load_dword v6, v0, s[0:3], 0 offen offset:8
	buffer_load_dword v7, v0, s[0:3], 0 offen offset:12
	buffer_load_dword v8, v9, s[0:3], 0 offen
	s_waitcnt vmcnt(4)
	buffer_store_dword v4, v9, s[0:3], 0 offen
	s_waitcnt vmcnt(4)
	buffer_store_dword v5, v9, s[0:3], 0 offen offset:4
	s_waitcnt vmcnt(4)
	buffer_store_dword v6, v9, s[0:3], 0 offen offset:8
	s_waitcnt vmcnt(4)
	buffer_store_dword v7, v9, s[0:3], 0 offen offset:12
	buffer_store_dword v3, v0, s[0:3], 0 offen offset:12
	buffer_store_dword v2, v0, s[0:3], 0 offen offset:8
	buffer_store_dword v1, v0, s[0:3], 0 offen offset:4
	s_waitcnt vmcnt(7)
	buffer_store_dword v8, v0, s[0:3], 0 offen
.LBB54_420:
	s_or_b64 exec, exec, s[4:5]
	v_pk_mov_b32 v[0:1], s[10:11], s[10:11] op_sel:[0,1]
	flat_load_dword v0, v[0:1] offset:60
	s_waitcnt vmcnt(0) lgkmcnt(0)
	v_add_u32_e32 v0, -1, v0
	v_cmp_ne_u32_e32 vcc, 15, v0
	s_and_saveexec_b64 s[4:5], vcc
	s_cbranch_execz .LBB54_422
; %bb.421:
	v_mov_b32_e32 v1, 16
	v_accvgpr_read_b32 v9, a149
	v_lshl_add_u32 v0, v0, 4, v1
	buffer_load_dword v1, v9, s[0:3], 0 offen offset:4
	buffer_load_dword v2, v9, s[0:3], 0 offen offset:8
	buffer_load_dword v3, v9, s[0:3], 0 offen offset:12
	buffer_load_dword v4, v0, s[0:3], 0 offen
	buffer_load_dword v5, v0, s[0:3], 0 offen offset:4
	buffer_load_dword v6, v0, s[0:3], 0 offen offset:8
	buffer_load_dword v7, v0, s[0:3], 0 offen offset:12
	buffer_load_dword v8, v9, s[0:3], 0 offen
	s_waitcnt vmcnt(4)
	buffer_store_dword v4, v9, s[0:3], 0 offen
	s_waitcnt vmcnt(4)
	buffer_store_dword v5, v9, s[0:3], 0 offen offset:4
	s_waitcnt vmcnt(4)
	buffer_store_dword v6, v9, s[0:3], 0 offen offset:8
	s_waitcnt vmcnt(4)
	buffer_store_dword v7, v9, s[0:3], 0 offen offset:12
	buffer_store_dword v3, v0, s[0:3], 0 offen offset:12
	buffer_store_dword v2, v0, s[0:3], 0 offen offset:8
	buffer_store_dword v1, v0, s[0:3], 0 offen offset:4
	s_waitcnt vmcnt(7)
	buffer_store_dword v8, v0, s[0:3], 0 offen
.LBB54_422:
	s_or_b64 exec, exec, s[4:5]
	v_pk_mov_b32 v[0:1], s[10:11], s[10:11] op_sel:[0,1]
	flat_load_dword v0, v[0:1] offset:56
	s_waitcnt vmcnt(0) lgkmcnt(0)
	v_add_u32_e32 v0, -1, v0
	v_cmp_ne_u32_e32 vcc, 14, v0
	s_and_saveexec_b64 s[4:5], vcc
	s_cbranch_execz .LBB54_424
; %bb.423:
	v_mov_b32_e32 v1, 16
	v_accvgpr_read_b32 v9, a150
	v_lshl_add_u32 v0, v0, 4, v1
	buffer_load_dword v1, v9, s[0:3], 0 offen offset:4
	buffer_load_dword v2, v9, s[0:3], 0 offen offset:8
	buffer_load_dword v3, v9, s[0:3], 0 offen offset:12
	buffer_load_dword v4, v0, s[0:3], 0 offen
	buffer_load_dword v5, v0, s[0:3], 0 offen offset:4
	buffer_load_dword v6, v0, s[0:3], 0 offen offset:8
	buffer_load_dword v7, v0, s[0:3], 0 offen offset:12
	buffer_load_dword v8, v9, s[0:3], 0 offen
	s_waitcnt vmcnt(4)
	buffer_store_dword v4, v9, s[0:3], 0 offen
	s_waitcnt vmcnt(4)
	buffer_store_dword v5, v9, s[0:3], 0 offen offset:4
	s_waitcnt vmcnt(4)
	buffer_store_dword v6, v9, s[0:3], 0 offen offset:8
	s_waitcnt vmcnt(4)
	buffer_store_dword v7, v9, s[0:3], 0 offen offset:12
	buffer_store_dword v3, v0, s[0:3], 0 offen offset:12
	buffer_store_dword v2, v0, s[0:3], 0 offen offset:8
	buffer_store_dword v1, v0, s[0:3], 0 offen offset:4
	s_waitcnt vmcnt(7)
	buffer_store_dword v8, v0, s[0:3], 0 offen
.LBB54_424:
	s_or_b64 exec, exec, s[4:5]
	v_pk_mov_b32 v[0:1], s[10:11], s[10:11] op_sel:[0,1]
	flat_load_dword v0, v[0:1] offset:52
	s_waitcnt vmcnt(0) lgkmcnt(0)
	v_add_u32_e32 v0, -1, v0
	v_cmp_ne_u32_e32 vcc, 13, v0
	s_and_saveexec_b64 s[4:5], vcc
	s_cbranch_execz .LBB54_426
; %bb.425:
	v_mov_b32_e32 v1, 16
	v_accvgpr_read_b32 v9, a151
	v_lshl_add_u32 v0, v0, 4, v1
	buffer_load_dword v1, v9, s[0:3], 0 offen offset:4
	buffer_load_dword v2, v9, s[0:3], 0 offen offset:8
	buffer_load_dword v3, v9, s[0:3], 0 offen offset:12
	buffer_load_dword v4, v0, s[0:3], 0 offen
	buffer_load_dword v5, v0, s[0:3], 0 offen offset:4
	buffer_load_dword v6, v0, s[0:3], 0 offen offset:8
	buffer_load_dword v7, v0, s[0:3], 0 offen offset:12
	buffer_load_dword v8, v9, s[0:3], 0 offen
	s_waitcnt vmcnt(4)
	buffer_store_dword v4, v9, s[0:3], 0 offen
	s_waitcnt vmcnt(4)
	buffer_store_dword v5, v9, s[0:3], 0 offen offset:4
	s_waitcnt vmcnt(4)
	buffer_store_dword v6, v9, s[0:3], 0 offen offset:8
	s_waitcnt vmcnt(4)
	buffer_store_dword v7, v9, s[0:3], 0 offen offset:12
	buffer_store_dword v3, v0, s[0:3], 0 offen offset:12
	buffer_store_dword v2, v0, s[0:3], 0 offen offset:8
	buffer_store_dword v1, v0, s[0:3], 0 offen offset:4
	s_waitcnt vmcnt(7)
	buffer_store_dword v8, v0, s[0:3], 0 offen
.LBB54_426:
	s_or_b64 exec, exec, s[4:5]
	v_pk_mov_b32 v[0:1], s[10:11], s[10:11] op_sel:[0,1]
	flat_load_dword v0, v[0:1] offset:48
	s_waitcnt vmcnt(0) lgkmcnt(0)
	v_add_u32_e32 v0, -1, v0
	v_cmp_ne_u32_e32 vcc, 12, v0
	s_and_saveexec_b64 s[4:5], vcc
	s_cbranch_execz .LBB54_428
; %bb.427:
	v_mov_b32_e32 v1, 16
	v_accvgpr_read_b32 v9, a152
	v_lshl_add_u32 v0, v0, 4, v1
	buffer_load_dword v1, v9, s[0:3], 0 offen offset:4
	buffer_load_dword v2, v9, s[0:3], 0 offen offset:8
	buffer_load_dword v3, v9, s[0:3], 0 offen offset:12
	buffer_load_dword v4, v0, s[0:3], 0 offen
	buffer_load_dword v5, v0, s[0:3], 0 offen offset:4
	buffer_load_dword v6, v0, s[0:3], 0 offen offset:8
	buffer_load_dword v7, v0, s[0:3], 0 offen offset:12
	buffer_load_dword v8, v9, s[0:3], 0 offen
	s_waitcnt vmcnt(4)
	buffer_store_dword v4, v9, s[0:3], 0 offen
	s_waitcnt vmcnt(4)
	buffer_store_dword v5, v9, s[0:3], 0 offen offset:4
	s_waitcnt vmcnt(4)
	buffer_store_dword v6, v9, s[0:3], 0 offen offset:8
	s_waitcnt vmcnt(4)
	buffer_store_dword v7, v9, s[0:3], 0 offen offset:12
	buffer_store_dword v3, v0, s[0:3], 0 offen offset:12
	buffer_store_dword v2, v0, s[0:3], 0 offen offset:8
	buffer_store_dword v1, v0, s[0:3], 0 offen offset:4
	s_waitcnt vmcnt(7)
	buffer_store_dword v8, v0, s[0:3], 0 offen
.LBB54_428:
	s_or_b64 exec, exec, s[4:5]
	v_pk_mov_b32 v[0:1], s[10:11], s[10:11] op_sel:[0,1]
	flat_load_dword v0, v[0:1] offset:44
	s_waitcnt vmcnt(0) lgkmcnt(0)
	v_add_u32_e32 v0, -1, v0
	v_cmp_ne_u32_e32 vcc, 11, v0
	s_and_saveexec_b64 s[4:5], vcc
	s_cbranch_execz .LBB54_430
; %bb.429:
	v_mov_b32_e32 v1, 16
	v_accvgpr_read_b32 v9, a153
	v_lshl_add_u32 v0, v0, 4, v1
	buffer_load_dword v1, v9, s[0:3], 0 offen offset:4
	buffer_load_dword v2, v9, s[0:3], 0 offen offset:8
	buffer_load_dword v3, v9, s[0:3], 0 offen offset:12
	buffer_load_dword v4, v0, s[0:3], 0 offen
	buffer_load_dword v5, v0, s[0:3], 0 offen offset:4
	buffer_load_dword v6, v0, s[0:3], 0 offen offset:8
	buffer_load_dword v7, v0, s[0:3], 0 offen offset:12
	buffer_load_dword v8, v9, s[0:3], 0 offen
	s_waitcnt vmcnt(4)
	buffer_store_dword v4, v9, s[0:3], 0 offen
	s_waitcnt vmcnt(4)
	buffer_store_dword v5, v9, s[0:3], 0 offen offset:4
	s_waitcnt vmcnt(4)
	buffer_store_dword v6, v9, s[0:3], 0 offen offset:8
	s_waitcnt vmcnt(4)
	buffer_store_dword v7, v9, s[0:3], 0 offen offset:12
	buffer_store_dword v3, v0, s[0:3], 0 offen offset:12
	buffer_store_dword v2, v0, s[0:3], 0 offen offset:8
	buffer_store_dword v1, v0, s[0:3], 0 offen offset:4
	s_waitcnt vmcnt(7)
	buffer_store_dword v8, v0, s[0:3], 0 offen
.LBB54_430:
	s_or_b64 exec, exec, s[4:5]
	v_pk_mov_b32 v[0:1], s[10:11], s[10:11] op_sel:[0,1]
	flat_load_dword v0, v[0:1] offset:40
	s_waitcnt vmcnt(0) lgkmcnt(0)
	v_add_u32_e32 v0, -1, v0
	v_cmp_ne_u32_e32 vcc, 10, v0
	s_and_saveexec_b64 s[4:5], vcc
	s_cbranch_execz .LBB54_432
; %bb.431:
	v_mov_b32_e32 v1, 16
	v_accvgpr_read_b32 v9, a154
	v_lshl_add_u32 v0, v0, 4, v1
	buffer_load_dword v1, v9, s[0:3], 0 offen offset:4
	buffer_load_dword v2, v9, s[0:3], 0 offen offset:8
	buffer_load_dword v3, v9, s[0:3], 0 offen offset:12
	buffer_load_dword v4, v0, s[0:3], 0 offen
	buffer_load_dword v5, v0, s[0:3], 0 offen offset:4
	buffer_load_dword v6, v0, s[0:3], 0 offen offset:8
	buffer_load_dword v7, v0, s[0:3], 0 offen offset:12
	buffer_load_dword v8, v9, s[0:3], 0 offen
	s_waitcnt vmcnt(4)
	buffer_store_dword v4, v9, s[0:3], 0 offen
	s_waitcnt vmcnt(4)
	buffer_store_dword v5, v9, s[0:3], 0 offen offset:4
	s_waitcnt vmcnt(4)
	buffer_store_dword v6, v9, s[0:3], 0 offen offset:8
	s_waitcnt vmcnt(4)
	buffer_store_dword v7, v9, s[0:3], 0 offen offset:12
	buffer_store_dword v3, v0, s[0:3], 0 offen offset:12
	buffer_store_dword v2, v0, s[0:3], 0 offen offset:8
	buffer_store_dword v1, v0, s[0:3], 0 offen offset:4
	s_waitcnt vmcnt(7)
	buffer_store_dword v8, v0, s[0:3], 0 offen
.LBB54_432:
	s_or_b64 exec, exec, s[4:5]
	v_pk_mov_b32 v[0:1], s[10:11], s[10:11] op_sel:[0,1]
	flat_load_dword v0, v[0:1] offset:36
	s_waitcnt vmcnt(0) lgkmcnt(0)
	v_add_u32_e32 v0, -1, v0
	v_cmp_ne_u32_e32 vcc, 9, v0
	s_and_saveexec_b64 s[4:5], vcc
	s_cbranch_execz .LBB54_434
; %bb.433:
	v_mov_b32_e32 v1, 16
	v_accvgpr_read_b32 v9, a155
	v_lshl_add_u32 v0, v0, 4, v1
	buffer_load_dword v1, v9, s[0:3], 0 offen offset:4
	buffer_load_dword v2, v9, s[0:3], 0 offen offset:8
	buffer_load_dword v3, v9, s[0:3], 0 offen offset:12
	buffer_load_dword v4, v0, s[0:3], 0 offen
	buffer_load_dword v5, v0, s[0:3], 0 offen offset:4
	buffer_load_dword v6, v0, s[0:3], 0 offen offset:8
	buffer_load_dword v7, v0, s[0:3], 0 offen offset:12
	buffer_load_dword v8, v9, s[0:3], 0 offen
	s_waitcnt vmcnt(4)
	buffer_store_dword v4, v9, s[0:3], 0 offen
	s_waitcnt vmcnt(4)
	buffer_store_dword v5, v9, s[0:3], 0 offen offset:4
	s_waitcnt vmcnt(4)
	buffer_store_dword v6, v9, s[0:3], 0 offen offset:8
	s_waitcnt vmcnt(4)
	buffer_store_dword v7, v9, s[0:3], 0 offen offset:12
	buffer_store_dword v3, v0, s[0:3], 0 offen offset:12
	buffer_store_dword v2, v0, s[0:3], 0 offen offset:8
	buffer_store_dword v1, v0, s[0:3], 0 offen offset:4
	s_waitcnt vmcnt(7)
	buffer_store_dword v8, v0, s[0:3], 0 offen
.LBB54_434:
	s_or_b64 exec, exec, s[4:5]
	v_pk_mov_b32 v[0:1], s[10:11], s[10:11] op_sel:[0,1]
	flat_load_dword v0, v[0:1] offset:32
	s_waitcnt vmcnt(0) lgkmcnt(0)
	v_add_u32_e32 v0, -1, v0
	v_cmp_ne_u32_e32 vcc, 8, v0
	s_and_saveexec_b64 s[4:5], vcc
	s_cbranch_execz .LBB54_436
; %bb.435:
	v_mov_b32_e32 v1, 16
	v_accvgpr_read_b32 v9, a156
	v_lshl_add_u32 v0, v0, 4, v1
	buffer_load_dword v1, v9, s[0:3], 0 offen offset:4
	buffer_load_dword v2, v9, s[0:3], 0 offen offset:8
	buffer_load_dword v3, v9, s[0:3], 0 offen offset:12
	buffer_load_dword v4, v0, s[0:3], 0 offen
	buffer_load_dword v5, v0, s[0:3], 0 offen offset:4
	buffer_load_dword v6, v0, s[0:3], 0 offen offset:8
	buffer_load_dword v7, v0, s[0:3], 0 offen offset:12
	buffer_load_dword v8, v9, s[0:3], 0 offen
	s_waitcnt vmcnt(4)
	buffer_store_dword v4, v9, s[0:3], 0 offen
	s_waitcnt vmcnt(4)
	buffer_store_dword v5, v9, s[0:3], 0 offen offset:4
	s_waitcnt vmcnt(4)
	buffer_store_dword v6, v9, s[0:3], 0 offen offset:8
	s_waitcnt vmcnt(4)
	buffer_store_dword v7, v9, s[0:3], 0 offen offset:12
	buffer_store_dword v3, v0, s[0:3], 0 offen offset:12
	buffer_store_dword v2, v0, s[0:3], 0 offen offset:8
	buffer_store_dword v1, v0, s[0:3], 0 offen offset:4
	s_waitcnt vmcnt(7)
	buffer_store_dword v8, v0, s[0:3], 0 offen
.LBB54_436:
	s_or_b64 exec, exec, s[4:5]
	v_pk_mov_b32 v[0:1], s[10:11], s[10:11] op_sel:[0,1]
	flat_load_dword v0, v[0:1] offset:28
	s_waitcnt vmcnt(0) lgkmcnt(0)
	v_add_u32_e32 v0, -1, v0
	v_cmp_ne_u32_e32 vcc, 7, v0
	s_and_saveexec_b64 s[4:5], vcc
	s_cbranch_execz .LBB54_438
; %bb.437:
	v_mov_b32_e32 v1, 16
	v_accvgpr_read_b32 v9, a157
	v_lshl_add_u32 v0, v0, 4, v1
	buffer_load_dword v1, v9, s[0:3], 0 offen offset:4
	buffer_load_dword v2, v9, s[0:3], 0 offen offset:8
	buffer_load_dword v3, v9, s[0:3], 0 offen offset:12
	buffer_load_dword v4, v0, s[0:3], 0 offen
	buffer_load_dword v5, v0, s[0:3], 0 offen offset:4
	buffer_load_dword v6, v0, s[0:3], 0 offen offset:8
	buffer_load_dword v7, v0, s[0:3], 0 offen offset:12
	buffer_load_dword v8, v9, s[0:3], 0 offen
	s_waitcnt vmcnt(4)
	buffer_store_dword v4, v9, s[0:3], 0 offen
	s_waitcnt vmcnt(4)
	buffer_store_dword v5, v9, s[0:3], 0 offen offset:4
	s_waitcnt vmcnt(4)
	buffer_store_dword v6, v9, s[0:3], 0 offen offset:8
	s_waitcnt vmcnt(4)
	buffer_store_dword v7, v9, s[0:3], 0 offen offset:12
	buffer_store_dword v3, v0, s[0:3], 0 offen offset:12
	buffer_store_dword v2, v0, s[0:3], 0 offen offset:8
	buffer_store_dword v1, v0, s[0:3], 0 offen offset:4
	s_waitcnt vmcnt(7)
	buffer_store_dword v8, v0, s[0:3], 0 offen
.LBB54_438:
	s_or_b64 exec, exec, s[4:5]
	v_pk_mov_b32 v[0:1], s[10:11], s[10:11] op_sel:[0,1]
	flat_load_dword v0, v[0:1] offset:24
	s_waitcnt vmcnt(0) lgkmcnt(0)
	v_add_u32_e32 v0, -1, v0
	v_cmp_ne_u32_e32 vcc, 6, v0
	s_and_saveexec_b64 s[4:5], vcc
	s_cbranch_execz .LBB54_440
; %bb.439:
	v_mov_b32_e32 v1, 16
	v_accvgpr_read_b32 v9, a158
	v_lshl_add_u32 v0, v0, 4, v1
	buffer_load_dword v1, v9, s[0:3], 0 offen offset:4
	buffer_load_dword v2, v9, s[0:3], 0 offen offset:8
	buffer_load_dword v3, v9, s[0:3], 0 offen offset:12
	buffer_load_dword v4, v0, s[0:3], 0 offen
	buffer_load_dword v5, v0, s[0:3], 0 offen offset:4
	buffer_load_dword v6, v0, s[0:3], 0 offen offset:8
	buffer_load_dword v7, v0, s[0:3], 0 offen offset:12
	buffer_load_dword v8, v9, s[0:3], 0 offen
	s_waitcnt vmcnt(4)
	buffer_store_dword v4, v9, s[0:3], 0 offen
	s_waitcnt vmcnt(4)
	buffer_store_dword v5, v9, s[0:3], 0 offen offset:4
	s_waitcnt vmcnt(4)
	buffer_store_dword v6, v9, s[0:3], 0 offen offset:8
	s_waitcnt vmcnt(4)
	buffer_store_dword v7, v9, s[0:3], 0 offen offset:12
	buffer_store_dword v3, v0, s[0:3], 0 offen offset:12
	buffer_store_dword v2, v0, s[0:3], 0 offen offset:8
	buffer_store_dword v1, v0, s[0:3], 0 offen offset:4
	s_waitcnt vmcnt(7)
	buffer_store_dword v8, v0, s[0:3], 0 offen
.LBB54_440:
	s_or_b64 exec, exec, s[4:5]
	v_pk_mov_b32 v[0:1], s[10:11], s[10:11] op_sel:[0,1]
	flat_load_dword v0, v[0:1] offset:20
	s_waitcnt vmcnt(0) lgkmcnt(0)
	v_add_u32_e32 v0, -1, v0
	v_cmp_ne_u32_e32 vcc, 5, v0
	s_and_saveexec_b64 s[4:5], vcc
	s_cbranch_execz .LBB54_442
; %bb.441:
	v_mov_b32_e32 v1, 16
	v_accvgpr_read_b32 v9, a159
	v_lshl_add_u32 v0, v0, 4, v1
	buffer_load_dword v1, v9, s[0:3], 0 offen offset:4
	buffer_load_dword v2, v9, s[0:3], 0 offen offset:8
	buffer_load_dword v3, v9, s[0:3], 0 offen offset:12
	buffer_load_dword v4, v0, s[0:3], 0 offen
	buffer_load_dword v5, v0, s[0:3], 0 offen offset:4
	buffer_load_dword v6, v0, s[0:3], 0 offen offset:8
	buffer_load_dword v7, v0, s[0:3], 0 offen offset:12
	buffer_load_dword v8, v9, s[0:3], 0 offen
	s_waitcnt vmcnt(4)
	buffer_store_dword v4, v9, s[0:3], 0 offen
	s_waitcnt vmcnt(4)
	buffer_store_dword v5, v9, s[0:3], 0 offen offset:4
	s_waitcnt vmcnt(4)
	buffer_store_dword v6, v9, s[0:3], 0 offen offset:8
	s_waitcnt vmcnt(4)
	buffer_store_dword v7, v9, s[0:3], 0 offen offset:12
	buffer_store_dword v3, v0, s[0:3], 0 offen offset:12
	buffer_store_dword v2, v0, s[0:3], 0 offen offset:8
	buffer_store_dword v1, v0, s[0:3], 0 offen offset:4
	s_waitcnt vmcnt(7)
	buffer_store_dword v8, v0, s[0:3], 0 offen
.LBB54_442:
	s_or_b64 exec, exec, s[4:5]
	v_pk_mov_b32 v[0:1], s[10:11], s[10:11] op_sel:[0,1]
	flat_load_dword v0, v[0:1] offset:16
	s_waitcnt vmcnt(0) lgkmcnt(0)
	v_add_u32_e32 v0, -1, v0
	v_cmp_ne_u32_e32 vcc, 4, v0
	s_and_saveexec_b64 s[4:5], vcc
	s_cbranch_execz .LBB54_444
; %bb.443:
	v_mov_b32_e32 v1, 16
	v_accvgpr_read_b32 v9, a160
	v_lshl_add_u32 v0, v0, 4, v1
	buffer_load_dword v1, v9, s[0:3], 0 offen offset:4
	buffer_load_dword v2, v9, s[0:3], 0 offen offset:8
	buffer_load_dword v3, v9, s[0:3], 0 offen offset:12
	buffer_load_dword v4, v0, s[0:3], 0 offen
	buffer_load_dword v5, v0, s[0:3], 0 offen offset:4
	buffer_load_dword v6, v0, s[0:3], 0 offen offset:8
	buffer_load_dword v7, v0, s[0:3], 0 offen offset:12
	buffer_load_dword v8, v9, s[0:3], 0 offen
	s_waitcnt vmcnt(4)
	buffer_store_dword v4, v9, s[0:3], 0 offen
	s_waitcnt vmcnt(4)
	buffer_store_dword v5, v9, s[0:3], 0 offen offset:4
	s_waitcnt vmcnt(4)
	buffer_store_dword v6, v9, s[0:3], 0 offen offset:8
	s_waitcnt vmcnt(4)
	buffer_store_dword v7, v9, s[0:3], 0 offen offset:12
	buffer_store_dword v3, v0, s[0:3], 0 offen offset:12
	buffer_store_dword v2, v0, s[0:3], 0 offen offset:8
	buffer_store_dword v1, v0, s[0:3], 0 offen offset:4
	s_waitcnt vmcnt(7)
	buffer_store_dword v8, v0, s[0:3], 0 offen
.LBB54_444:
	s_or_b64 exec, exec, s[4:5]
	v_pk_mov_b32 v[0:1], s[10:11], s[10:11] op_sel:[0,1]
	flat_load_dword v0, v[0:1] offset:12
	s_waitcnt vmcnt(0) lgkmcnt(0)
	v_add_u32_e32 v0, -1, v0
	v_cmp_ne_u32_e32 vcc, 3, v0
	s_and_saveexec_b64 s[4:5], vcc
	s_cbranch_execz .LBB54_446
; %bb.445:
	v_mov_b32_e32 v1, 16
	v_accvgpr_read_b32 v9, a161
	v_lshl_add_u32 v0, v0, 4, v1
	buffer_load_dword v1, v9, s[0:3], 0 offen offset:4
	buffer_load_dword v2, v9, s[0:3], 0 offen offset:8
	buffer_load_dword v3, v9, s[0:3], 0 offen offset:12
	buffer_load_dword v4, v0, s[0:3], 0 offen
	buffer_load_dword v5, v0, s[0:3], 0 offen offset:4
	buffer_load_dword v6, v0, s[0:3], 0 offen offset:8
	buffer_load_dword v7, v0, s[0:3], 0 offen offset:12
	buffer_load_dword v8, v9, s[0:3], 0 offen
	s_waitcnt vmcnt(4)
	buffer_store_dword v4, v9, s[0:3], 0 offen
	s_waitcnt vmcnt(4)
	buffer_store_dword v5, v9, s[0:3], 0 offen offset:4
	s_waitcnt vmcnt(4)
	buffer_store_dword v6, v9, s[0:3], 0 offen offset:8
	s_waitcnt vmcnt(4)
	buffer_store_dword v7, v9, s[0:3], 0 offen offset:12
	buffer_store_dword v3, v0, s[0:3], 0 offen offset:12
	buffer_store_dword v2, v0, s[0:3], 0 offen offset:8
	buffer_store_dword v1, v0, s[0:3], 0 offen offset:4
	s_waitcnt vmcnt(7)
	buffer_store_dword v8, v0, s[0:3], 0 offen
.LBB54_446:
	s_or_b64 exec, exec, s[4:5]
	v_pk_mov_b32 v[0:1], s[10:11], s[10:11] op_sel:[0,1]
	flat_load_dword v0, v[0:1] offset:8
	s_waitcnt vmcnt(0) lgkmcnt(0)
	v_add_u32_e32 v0, -1, v0
	v_cmp_ne_u32_e32 vcc, 2, v0
	s_and_saveexec_b64 s[4:5], vcc
	s_cbranch_execz .LBB54_448
; %bb.447:
	v_mov_b32_e32 v1, 16
	v_accvgpr_read_b32 v9, a162
	v_lshl_add_u32 v0, v0, 4, v1
	buffer_load_dword v1, v9, s[0:3], 0 offen offset:4
	buffer_load_dword v2, v9, s[0:3], 0 offen offset:8
	buffer_load_dword v3, v9, s[0:3], 0 offen offset:12
	buffer_load_dword v4, v0, s[0:3], 0 offen
	buffer_load_dword v5, v0, s[0:3], 0 offen offset:4
	buffer_load_dword v6, v0, s[0:3], 0 offen offset:8
	buffer_load_dword v7, v0, s[0:3], 0 offen offset:12
	buffer_load_dword v8, v9, s[0:3], 0 offen
	s_waitcnt vmcnt(4)
	buffer_store_dword v4, v9, s[0:3], 0 offen
	s_waitcnt vmcnt(4)
	buffer_store_dword v5, v9, s[0:3], 0 offen offset:4
	s_waitcnt vmcnt(4)
	buffer_store_dword v6, v9, s[0:3], 0 offen offset:8
	s_waitcnt vmcnt(4)
	buffer_store_dword v7, v9, s[0:3], 0 offen offset:12
	buffer_store_dword v3, v0, s[0:3], 0 offen offset:12
	buffer_store_dword v2, v0, s[0:3], 0 offen offset:8
	buffer_store_dword v1, v0, s[0:3], 0 offen offset:4
	s_waitcnt vmcnt(7)
	buffer_store_dword v8, v0, s[0:3], 0 offen
.LBB54_448:
	s_or_b64 exec, exec, s[4:5]
	v_pk_mov_b32 v[0:1], s[10:11], s[10:11] op_sel:[0,1]
	flat_load_dword v0, v[0:1] offset:4
	s_waitcnt vmcnt(0) lgkmcnt(0)
	v_add_u32_e32 v0, -1, v0
	v_cmp_ne_u32_e32 vcc, 1, v0
	s_and_saveexec_b64 s[4:5], vcc
	s_cbranch_execz .LBB54_450
; %bb.449:
	v_mov_b32_e32 v1, 16
	v_accvgpr_read_b32 v9, a163
	v_lshl_add_u32 v0, v0, 4, v1
	buffer_load_dword v1, v9, s[0:3], 0 offen offset:4
	buffer_load_dword v2, v9, s[0:3], 0 offen offset:8
	buffer_load_dword v3, v9, s[0:3], 0 offen offset:12
	buffer_load_dword v4, v0, s[0:3], 0 offen
	buffer_load_dword v5, v0, s[0:3], 0 offen offset:4
	buffer_load_dword v6, v0, s[0:3], 0 offen offset:8
	buffer_load_dword v7, v0, s[0:3], 0 offen offset:12
	buffer_load_dword v8, v9, s[0:3], 0 offen
	s_waitcnt vmcnt(4)
	buffer_store_dword v4, v9, s[0:3], 0 offen
	s_waitcnt vmcnt(4)
	buffer_store_dword v5, v9, s[0:3], 0 offen offset:4
	s_waitcnt vmcnt(4)
	buffer_store_dword v6, v9, s[0:3], 0 offen offset:8
	s_waitcnt vmcnt(4)
	buffer_store_dword v7, v9, s[0:3], 0 offen offset:12
	buffer_store_dword v3, v0, s[0:3], 0 offen offset:12
	buffer_store_dword v2, v0, s[0:3], 0 offen offset:8
	buffer_store_dword v1, v0, s[0:3], 0 offen offset:4
	s_waitcnt vmcnt(7)
	buffer_store_dword v8, v0, s[0:3], 0 offen
.LBB54_450:
	s_or_b64 exec, exec, s[4:5]
	v_pk_mov_b32 v[0:1], s[10:11], s[10:11] op_sel:[0,1]
	flat_load_dword v0, v[0:1]
	s_waitcnt vmcnt(0) lgkmcnt(0)
	v_add_u32_e32 v0, -1, v0
	v_cmp_ne_u32_e32 vcc, 0, v0
	s_and_saveexec_b64 s[4:5], vcc
	s_cbranch_execz .LBB54_452
; %bb.451:
	v_mov_b32_e32 v1, 16
	v_lshl_add_u32 v0, v0, 4, v1
	buffer_load_dword v1, v0, s[0:3], 0 offen
	buffer_load_dword v2, v0, s[0:3], 0 offen offset:4
	buffer_load_dword v3, v0, s[0:3], 0 offen offset:8
	;; [unrolled: 1-line block ×3, first 2 shown]
	buffer_load_dword v5, off, s[0:3], 0 offset:28
	buffer_load_dword v6, off, s[0:3], 0 offset:24
	;; [unrolled: 1-line block ×4, first 2 shown]
	s_waitcnt vmcnt(7)
	buffer_store_dword v1, off, s[0:3], 0 offset:16
	s_waitcnt vmcnt(7)
	buffer_store_dword v2, off, s[0:3], 0 offset:20
	;; [unrolled: 2-line block ×4, first 2 shown]
	s_waitcnt vmcnt(7)
	buffer_store_dword v5, v0, s[0:3], 0 offen offset:12
	s_waitcnt vmcnt(7)
	buffer_store_dword v6, v0, s[0:3], 0 offen offset:8
	;; [unrolled: 2-line block ×3, first 2 shown]
	s_waitcnt vmcnt(7)
	buffer_store_dword v8, v0, s[0:3], 0 offen
.LBB54_452:
	s_or_b64 exec, exec, s[4:5]
.LBB54_453:
	buffer_load_dword v0, off, s[0:3], 0 offset:16
	buffer_load_dword v1, off, s[0:3], 0 offset:20
	;; [unrolled: 1-line block ×4, first 2 shown]
	v_accvgpr_read_b32 v5, a1
	v_accvgpr_read_b32 v4, a0
	s_waitcnt vmcnt(0)
	global_store_dwordx4 v[4:5], v[0:3], off
	s_nop 0
	v_accvgpr_read_b32 v3, a163
	buffer_load_dword v0, v3, s[0:3], 0 offen
	buffer_load_dword v1, v3, s[0:3], 0 offen offset:4
	buffer_load_dword v2, v3, s[0:3], 0 offen offset:8
	s_nop 0
	buffer_load_dword v3, v3, s[0:3], 0 offen offset:12
	v_accvgpr_read_b32 v5, a3
	v_accvgpr_read_b32 v4, a2
	s_waitcnt vmcnt(0)
	global_store_dwordx4 v[4:5], v[0:3], off
	s_nop 0
	v_accvgpr_read_b32 v3, a162
	buffer_load_dword v0, v3, s[0:3], 0 offen
	buffer_load_dword v1, v3, s[0:3], 0 offen offset:4
	buffer_load_dword v2, v3, s[0:3], 0 offen offset:8
	s_nop 0
	buffer_load_dword v3, v3, s[0:3], 0 offen offset:12
	;; [unrolled: 11-line block ×13, first 2 shown]
	v_accvgpr_read_b32 v4, a26
	v_accvgpr_read_b32 v5, a27
	s_waitcnt vmcnt(0)
	global_store_dwordx4 v[4:5], v[0:3], off
	v_accvgpr_read_b32 v4, a150
	buffer_load_dword v0, v4, s[0:3], 0 offen
	buffer_load_dword v1, v4, s[0:3], 0 offen offset:4
	buffer_load_dword v2, v4, s[0:3], 0 offen offset:8
	buffer_load_dword v3, v4, s[0:3], 0 offen offset:12
	v_accvgpr_read_b32 v4, a28
	v_accvgpr_read_b32 v5, a29
	s_waitcnt vmcnt(0)
	global_store_dwordx4 v[4:5], v[0:3], off
	v_accvgpr_read_b32 v4, a149
	buffer_load_dword v0, v4, s[0:3], 0 offen
	buffer_load_dword v1, v4, s[0:3], 0 offen offset:4
	buffer_load_dword v2, v4, s[0:3], 0 offen offset:8
	buffer_load_dword v3, v4, s[0:3], 0 offen offset:12
	;; [unrolled: 9-line block ×41, first 2 shown]
	v_accvgpr_read_b32 v4, a70
	v_accvgpr_read_b32 v5, a71
	s_waitcnt vmcnt(0)
	global_store_dwordx4 v[4:5], v[0:3], off
	s_endpgm
	.section	.rodata,"a",@progbits
	.p2align	6, 0x0
	.amdhsa_kernel _ZN9rocsolver6v33100L18getri_kernel_smallILi55E19rocblas_complex_numIdEPS3_EEvT1_iilPiilS6_bb
		.amdhsa_group_segment_fixed_size 1768
		.amdhsa_private_segment_fixed_size 912
		.amdhsa_kernarg_size 60
		.amdhsa_user_sgpr_count 8
		.amdhsa_user_sgpr_private_segment_buffer 1
		.amdhsa_user_sgpr_dispatch_ptr 0
		.amdhsa_user_sgpr_queue_ptr 0
		.amdhsa_user_sgpr_kernarg_segment_ptr 1
		.amdhsa_user_sgpr_dispatch_id 0
		.amdhsa_user_sgpr_flat_scratch_init 1
		.amdhsa_user_sgpr_kernarg_preload_length 0
		.amdhsa_user_sgpr_kernarg_preload_offset 0
		.amdhsa_user_sgpr_private_segment_size 0
		.amdhsa_uses_dynamic_stack 0
		.amdhsa_system_sgpr_private_segment_wavefront_offset 1
		.amdhsa_system_sgpr_workgroup_id_x 1
		.amdhsa_system_sgpr_workgroup_id_y 0
		.amdhsa_system_sgpr_workgroup_id_z 0
		.amdhsa_system_sgpr_workgroup_info 0
		.amdhsa_system_vgpr_workitem_id 0
		.amdhsa_next_free_vgpr 456
		.amdhsa_next_free_sgpr 23
		.amdhsa_accum_offset 256
		.amdhsa_reserve_vcc 1
		.amdhsa_reserve_flat_scratch 1
		.amdhsa_float_round_mode_32 0
		.amdhsa_float_round_mode_16_64 0
		.amdhsa_float_denorm_mode_32 3
		.amdhsa_float_denorm_mode_16_64 3
		.amdhsa_dx10_clamp 1
		.amdhsa_ieee_mode 1
		.amdhsa_fp16_overflow 0
		.amdhsa_tg_split 0
		.amdhsa_exception_fp_ieee_invalid_op 0
		.amdhsa_exception_fp_denorm_src 0
		.amdhsa_exception_fp_ieee_div_zero 0
		.amdhsa_exception_fp_ieee_overflow 0
		.amdhsa_exception_fp_ieee_underflow 0
		.amdhsa_exception_fp_ieee_inexact 0
		.amdhsa_exception_int_div_zero 0
	.end_amdhsa_kernel
	.section	.text._ZN9rocsolver6v33100L18getri_kernel_smallILi55E19rocblas_complex_numIdEPS3_EEvT1_iilPiilS6_bb,"axG",@progbits,_ZN9rocsolver6v33100L18getri_kernel_smallILi55E19rocblas_complex_numIdEPS3_EEvT1_iilPiilS6_bb,comdat
.Lfunc_end54:
	.size	_ZN9rocsolver6v33100L18getri_kernel_smallILi55E19rocblas_complex_numIdEPS3_EEvT1_iilPiilS6_bb, .Lfunc_end54-_ZN9rocsolver6v33100L18getri_kernel_smallILi55E19rocblas_complex_numIdEPS3_EEvT1_iilPiilS6_bb
                                        ; -- End function
	.section	.AMDGPU.csdata,"",@progbits
; Kernel info:
; codeLenInByte = 189424
; NumSgprs: 29
; NumVgprs: 256
; NumAgprs: 200
; TotalNumVgprs: 456
; ScratchSize: 912
; MemoryBound: 0
; FloatMode: 240
; IeeeMode: 1
; LDSByteSize: 1768 bytes/workgroup (compile time only)
; SGPRBlocks: 3
; VGPRBlocks: 56
; NumSGPRsForWavesPerEU: 29
; NumVGPRsForWavesPerEU: 456
; AccumOffset: 256
; Occupancy: 1
; WaveLimiterHint : 1
; COMPUTE_PGM_RSRC2:SCRATCH_EN: 1
; COMPUTE_PGM_RSRC2:USER_SGPR: 8
; COMPUTE_PGM_RSRC2:TRAP_HANDLER: 0
; COMPUTE_PGM_RSRC2:TGID_X_EN: 1
; COMPUTE_PGM_RSRC2:TGID_Y_EN: 0
; COMPUTE_PGM_RSRC2:TGID_Z_EN: 0
; COMPUTE_PGM_RSRC2:TIDIG_COMP_CNT: 0
; COMPUTE_PGM_RSRC3_GFX90A:ACCUM_OFFSET: 63
; COMPUTE_PGM_RSRC3_GFX90A:TG_SPLIT: 0
	.section	.text._ZN9rocsolver6v33100L18getri_kernel_smallILi56E19rocblas_complex_numIdEPS3_EEvT1_iilPiilS6_bb,"axG",@progbits,_ZN9rocsolver6v33100L18getri_kernel_smallILi56E19rocblas_complex_numIdEPS3_EEvT1_iilPiilS6_bb,comdat
	.globl	_ZN9rocsolver6v33100L18getri_kernel_smallILi56E19rocblas_complex_numIdEPS3_EEvT1_iilPiilS6_bb ; -- Begin function _ZN9rocsolver6v33100L18getri_kernel_smallILi56E19rocblas_complex_numIdEPS3_EEvT1_iilPiilS6_bb
	.p2align	8
	.type	_ZN9rocsolver6v33100L18getri_kernel_smallILi56E19rocblas_complex_numIdEPS3_EEvT1_iilPiilS6_bb,@function
_ZN9rocsolver6v33100L18getri_kernel_smallILi56E19rocblas_complex_numIdEPS3_EEvT1_iilPiilS6_bb: ; @_ZN9rocsolver6v33100L18getri_kernel_smallILi56E19rocblas_complex_numIdEPS3_EEvT1_iilPiilS6_bb
; %bb.0:
	s_add_u32 flat_scratch_lo, s6, s9
	s_addc_u32 flat_scratch_hi, s7, 0
	s_add_u32 s0, s0, s9
	s_addc_u32 s1, s1, 0
	v_cmp_gt_u32_e32 vcc, 56, v0
	s_and_saveexec_b64 s[6:7], vcc
	s_cbranch_execz .LBB55_238
; %bb.1:
	s_load_dword s22, s[4:5], 0x38
	s_load_dwordx4 s[16:19], s[4:5], 0x10
	s_load_dwordx4 s[12:15], s[4:5], 0x28
                                        ; implicit-def: $sgpr10_sgpr11
	s_waitcnt lgkmcnt(0)
	s_bitcmp1_b32 s22, 8
	s_cselect_b64 s[20:21], -1, 0
	s_ashr_i32 s9, s8, 31
	s_bfe_u32 s6, s22, 0x10008
	s_cmp_eq_u32 s6, 0
	s_cbranch_scc1 .LBB55_3
; %bb.2:
	s_load_dword s6, s[4:5], 0x20
	s_mul_i32 s7, s8, s13
	s_mul_hi_u32 s10, s8, s12
	s_mul_i32 s11, s9, s12
	s_add_i32 s10, s10, s7
	s_add_i32 s11, s10, s11
	s_mul_i32 s10, s8, s12
	s_waitcnt lgkmcnt(0)
	s_ashr_i32 s7, s6, 31
	s_lshl_b64 s[10:11], s[10:11], 2
	s_add_u32 s10, s18, s10
	s_addc_u32 s11, s19, s11
	s_lshl_b64 s[6:7], s[6:7], 2
	s_add_u32 s10, s10, s6
	s_addc_u32 s11, s11, s7
.LBB55_3:
	s_load_dwordx4 s[4:7], s[4:5], 0x0
	s_mul_i32 s12, s8, s17
	s_mul_hi_u32 s13, s8, s16
	s_add_i32 s17, s13, s12
	v_lshlrev_b32_e32 v1, 4, v0
	s_waitcnt lgkmcnt(0)
	s_ashr_i32 s13, s6, 31
	s_mov_b32 s12, s6
	s_mul_i32 s6, s9, s16
	s_add_i32 s17, s17, s6
	s_mul_i32 s16, s8, s16
	s_lshl_b64 s[16:17], s[16:17], 4
	s_add_u32 s6, s4, s16
	s_addc_u32 s16, s5, s17
	s_lshl_b64 s[4:5], s[12:13], 4
	s_add_u32 s4, s6, s4
	s_addc_u32 s5, s16, s5
	s_add_i32 s6, s7, s7
	v_add_u32_e32 v4, s6, v0
	v_ashrrev_i32_e32 v5, 31, v4
	v_add_u32_e32 v2, s7, v4
	v_lshlrev_b64 v[4:5], 4, v[4:5]
	v_mov_b32_e32 v3, s5
	v_add_co_u32_e32 v4, vcc, s4, v4
	v_addc_co_u32_e32 v5, vcc, v3, v5, vcc
	global_load_dwordx4 v[90:93], v1, s[4:5]
	v_add_co_u32_e32 v82, vcc, s4, v1
	s_ashr_i32 s13, s7, 31
	s_mov_b32 s12, s7
	v_addc_co_u32_e32 v83, vcc, 0, v3, vcc
	s_lshl_b64 s[12:13], s[12:13], 4
	v_mov_b32_e32 v3, s13
	v_add_co_u32_e32 v80, vcc, s12, v82
	v_addc_co_u32_e32 v81, vcc, v83, v3, vcc
	global_load_dwordx4 v[94:97], v[80:81], off
	global_load_dwordx4 v[98:101], v[4:5], off
	v_ashrrev_i32_e32 v3, 31, v2
	v_add_u32_e32 v10, s7, v2
	v_accvgpr_write_b32 a103, v81
	v_accvgpr_write_b32 a81, v5
	v_lshlrev_b64 v[2:3], 4, v[2:3]
	v_accvgpr_write_b32 a102, v80
	v_accvgpr_write_b32 a80, v4
	v_mov_b32_e32 v4, s5
	v_add_co_u32_e32 v80, vcc, s4, v2
	v_addc_co_u32_e32 v81, vcc, v4, v3, vcc
	v_ashrrev_i32_e32 v11, 31, v10
	global_load_dwordx4 v[102:105], v[80:81], off
	v_lshlrev_b64 v[2:3], 4, v[10:11]
	v_add_co_u32_e32 v2, vcc, s4, v2
	v_add_u32_e32 v12, s7, v10
	v_addc_co_u32_e32 v3, vcc, v4, v3, vcc
	v_accvgpr_write_b32 a83, v3
	global_load_dwordx4 v[106:109], v[2:3], off
	v_ashrrev_i32_e32 v13, 31, v12
	v_accvgpr_write_b32 a82, v2
	v_lshlrev_b64 v[2:3], 4, v[12:13]
	v_add_co_u32_e32 v10, vcc, s4, v2
	v_add_u32_e32 v20, s7, v12
	v_addc_co_u32_e32 v11, vcc, v4, v3, vcc
	v_ashrrev_i32_e32 v21, 31, v20
	global_load_dwordx4 v[110:113], v[10:11], off
	v_lshlrev_b64 v[2:3], 4, v[20:21]
	v_add_co_u32_e32 v2, vcc, s4, v2
	v_add_u32_e32 v22, s7, v20
	v_addc_co_u32_e32 v3, vcc, v4, v3, vcc
	global_load_dwordx4 v[114:117], v[2:3], off
	v_accvgpr_write_b32 a69, v3
	v_ashrrev_i32_e32 v23, 31, v22
	v_accvgpr_write_b32 a85, v11
	v_accvgpr_write_b32 a68, v2
	v_lshlrev_b64 v[2:3], 4, v[22:23]
	v_accvgpr_write_b32 a84, v10
	v_add_co_u32_e32 v10, vcc, s4, v2
	v_add_u32_e32 v28, s7, v22
	v_addc_co_u32_e32 v11, vcc, v4, v3, vcc
	v_ashrrev_i32_e32 v29, 31, v28
	global_load_dwordx4 v[118:121], v[10:11], off
	v_add_u32_e32 v30, s7, v28
	v_lshlrev_b64 v[2:3], 4, v[28:29]
	v_add_u32_e32 v38, s7, v30
	v_add_co_u32_e32 v2, vcc, s4, v2
	v_add_u32_e32 v40, s7, v38
	v_addc_co_u32_e32 v3, vcc, v4, v3, vcc
	global_load_dwordx4 v[122:125], v[2:3], off
	v_add_u32_e32 v50, s7, v40
	v_accvgpr_write_b32 a61, v3
	v_ashrrev_i32_e32 v31, 31, v30
	v_add_u32_e32 v52, s7, v50
	v_accvgpr_write_b32 a75, v11
	v_accvgpr_write_b32 a60, v2
	v_lshlrev_b64 v[2:3], 4, v[30:31]
	v_add_u32_e32 v62, s7, v52
	v_accvgpr_write_b32 a74, v10
	v_add_co_u32_e32 v10, vcc, s4, v2
	v_add_u32_e32 v6, s7, v62
	v_addc_co_u32_e32 v11, vcc, v4, v3, vcc
	v_add_u32_e32 v8, s7, v6
	v_ashrrev_i32_e32 v39, 31, v38
	global_load_dwordx4 v[126:129], v[10:11], off
	v_add_u32_e32 v14, s7, v8
	v_lshlrev_b64 v[2:3], 4, v[38:39]
	v_add_u32_e32 v16, s7, v14
	v_add_co_u32_e32 v2, vcc, s4, v2
	v_add_u32_e32 v18, s7, v16
	v_addc_co_u32_e32 v3, vcc, v4, v3, vcc
	global_load_dwordx4 v[130:133], v[2:3], off
	v_add_u32_e32 v24, s7, v18
	v_accvgpr_write_b32 a53, v3
	v_ashrrev_i32_e32 v41, 31, v40
	v_add_u32_e32 v26, s7, v24
	v_accvgpr_write_b32 a63, v11
	v_accvgpr_write_b32 a52, v2
	v_lshlrev_b64 v[2:3], 4, v[40:41]
	v_add_u32_e32 v34, s7, v26
	v_accvgpr_write_b32 a62, v10
	v_add_co_u32_e32 v10, vcc, s4, v2
	v_add_u32_e32 v36, s7, v34
	v_addc_co_u32_e32 v11, vcc, v4, v3, vcc
	v_add_u32_e32 v46, s7, v36
	;; [unrolled: 22-line block ×3, first 2 shown]
	v_ashrrev_i32_e32 v63, 31, v62
	global_load_dwordx4 v[142:145], v[10:11], off
	v_add_u32_e32 v76, s7, v74
	v_lshlrev_b64 v[2:3], 4, v[62:63]
	v_add_u32_e32 v78, s7, v76
	v_add_co_u32_e32 v2, vcc, s4, v2
	v_add_u32_e32 v32, s7, v78
	v_accvgpr_write_b32 a43, v11
	v_addc_co_u32_e32 v3, vcc, v4, v3, vcc
	v_add_u32_e32 v42, s7, v32
	v_accvgpr_write_b32 a42, v10
	global_load_dwordx4 v[10:13], v[2:3], off
	v_add_u32_e32 v44, s7, v42
	v_add_u32_e32 v54, s7, v44
	;; [unrolled: 1-line block ×6, first 2 shown]
	v_accvgpr_write_b32 a109, v83
	v_add_u32_e32 v84, s7, v86
	v_accvgpr_write_b32 a108, v82
	v_accvgpr_write_b32 a95, v81
	v_add_u32_e32 v82, s7, v84
	v_accvgpr_write_b32 a94, v80
	v_add_u32_e32 v80, s7, v82
	v_add_u32_e32 v62, s7, v80
	v_add_u32_e32 v52, s7, v62
	v_add_u32_e32 v50, s7, v52
	v_add_u32_e32 v40, s7, v50
	v_add_u32_e32 v38, s7, v40
	v_add_u32_e32 v30, s7, v38
	v_add_u32_e32 v28, s7, v30
	v_add_u32_e32 v22, s7, v28
	v_accvgpr_write_b32 a35, v3
	v_add_u32_e32 v20, s7, v22
	v_accvgpr_write_b32 a34, v2
	v_add_u32_e32 v2, s7, v20
	v_ashrrev_i32_e32 v3, 31, v2
	v_lshlrev_b64 v[2:3], 4, v[2:3]
	v_add_co_u32_e32 v2, vcc, s4, v2
	v_ashrrev_i32_e32 v7, 31, v6
	v_addc_co_u32_e32 v3, vcc, v4, v3, vcc
	v_accvgpr_write_b32 a0, v2
	v_lshlrev_b64 v[6:7], 4, v[6:7]
	v_accvgpr_write_b32 a1, v3
	global_load_dwordx4 v[2:5], v[2:3], off
	s_waitcnt vmcnt(15)
	buffer_store_dword v93, off, s[0:3], 0 offset:28
	buffer_store_dword v92, off, s[0:3], 0 offset:24
	buffer_store_dword v91, off, s[0:3], 0 offset:20
	buffer_store_dword v90, off, s[0:3], 0 offset:16
	s_waitcnt vmcnt(18)
	buffer_store_dword v97, off, s[0:3], 0 offset:44
	buffer_store_dword v96, off, s[0:3], 0 offset:40
	buffer_store_dword v95, off, s[0:3], 0 offset:36
	buffer_store_dword v94, off, s[0:3], 0 offset:32
	;; [unrolled: 5-line block ×14, first 2 shown]
	s_waitcnt vmcnt(57)
	buffer_store_dword v13, off, s[0:3], 0 offset:252
	v_mov_b32_e32 v9, s5
	v_add_co_u32_e32 v90, vcc, s4, v6
	v_addc_co_u32_e32 v91, vcc, v9, v7, vcc
	v_ashrrev_i32_e32 v9, 31, v8
	v_accvgpr_write_b32 a111, v91
	v_lshlrev_b64 v[6:7], 4, v[8:9]
	v_accvgpr_write_b32 a110, v90
	global_load_dwordx4 v[90:93], v[90:91], off
	v_mov_b32_e32 v8, s5
	v_add_co_u32_e32 v6, vcc, s4, v6
	v_addc_co_u32_e32 v7, vcc, v8, v7, vcc
	global_load_dwordx4 v[94:97], v[6:7], off
	v_accvgpr_write_b32 a105, v7
	v_ashrrev_i32_e32 v15, 31, v14
	v_accvgpr_write_b32 a104, v6
	v_lshlrev_b64 v[6:7], 4, v[14:15]
	v_add_co_u32_e32 v14, vcc, s4, v6
	v_addc_co_u32_e32 v15, vcc, v8, v7, vcc
	v_ashrrev_i32_e32 v17, 31, v16
	v_accvgpr_write_b32 a107, v15
	v_lshlrev_b64 v[6:7], 4, v[16:17]
	v_accvgpr_write_b32 a106, v14
	global_load_dwordx4 v[14:17], v[14:15], off
	v_add_co_u32_e32 v6, vcc, s4, v6
	v_addc_co_u32_e32 v7, vcc, v8, v7, vcc
	global_load_dwordx4 v[98:101], v[6:7], off
	v_accvgpr_write_b32 a99, v7
	v_ashrrev_i32_e32 v19, 31, v18
	v_accvgpr_write_b32 a98, v6
	v_lshlrev_b64 v[6:7], 4, v[18:19]
	v_add_co_u32_e32 v18, vcc, s4, v6
	v_addc_co_u32_e32 v19, vcc, v8, v7, vcc
	v_ashrrev_i32_e32 v25, 31, v24
	global_load_dwordx4 v[102:105], v[18:19], off
	v_lshlrev_b64 v[6:7], 4, v[24:25]
	v_add_co_u32_e32 v6, vcc, s4, v6
	v_addc_co_u32_e32 v7, vcc, v8, v7, vcc
	global_load_dwordx4 v[106:109], v[6:7], off
	v_accvgpr_write_b32 a91, v7
	v_ashrrev_i32_e32 v27, 31, v26
	v_accvgpr_write_b32 a101, v19
	v_accvgpr_write_b32 a90, v6
	v_lshlrev_b64 v[6:7], 4, v[26:27]
	v_accvgpr_write_b32 a100, v18
	v_add_co_u32_e32 v18, vcc, s4, v6
	v_addc_co_u32_e32 v19, vcc, v8, v7, vcc
	v_ashrrev_i32_e32 v35, 31, v34
	global_load_dwordx4 v[24:27], v[18:19], off
	v_lshlrev_b64 v[6:7], 4, v[34:35]
	v_add_co_u32_e32 v6, vcc, s4, v6
	v_addc_co_u32_e32 v7, vcc, v8, v7, vcc
	global_load_dwordx4 v[110:113], v[6:7], off
	v_accvgpr_write_b32 a77, v7
	v_ashrrev_i32_e32 v37, 31, v36
	v_accvgpr_write_b32 a93, v19
	v_accvgpr_write_b32 a76, v6
	v_lshlrev_b64 v[6:7], 4, v[36:37]
	v_accvgpr_write_b32 a92, v18
	;; [unrolled: 14-line block ×7, first 2 shown]
	v_add_co_u32_e32 v18, vcc, s4, v6
	v_addc_co_u32_e32 v19, vcc, v8, v7, vcc
	v_ashrrev_i32_e32 v79, 31, v78
	v_lshlrev_b64 v[6:7], 4, v[78:79]
	global_load_dwordx4 v[74:77], v[18:19], off
	v_add_co_u32_e32 v6, vcc, s4, v6
	v_addc_co_u32_e32 v7, vcc, v8, v7, vcc
	v_accvgpr_write_b32 a13, v7
	v_accvgpr_write_b32 a12, v6
	global_load_dwordx4 v[6:9], v[6:7], off
	v_ashrrev_i32_e32 v33, 31, v32
	buffer_store_dword v12, off, s[0:3], 0 offset:248
	buffer_store_dword v11, off, s[0:3], 0 offset:244
	buffer_store_dword v10, off, s[0:3], 0 offset:240
	s_waitcnt vmcnt(22)
	buffer_store_dword v93, off, s[0:3], 0 offset:268
	buffer_store_dword v92, off, s[0:3], 0 offset:264
	buffer_store_dword v91, off, s[0:3], 0 offset:260
	buffer_store_dword v90, off, s[0:3], 0 offset:256
	s_waitcnt vmcnt(25)
	buffer_store_dword v97, off, s[0:3], 0 offset:284
	;; [unrolled: 5-line block ×15, first 2 shown]
	buffer_store_dword v68, off, s[0:3], 0 offset:488
	buffer_store_dword v67, off, s[0:3], 0 offset:484
	;; [unrolled: 1-line block ×11, first 2 shown]
	s_waitcnt vmcnt(62)
	buffer_store_dword v133, off, s[0:3], 0 offset:540
	buffer_store_dword v132, off, s[0:3], 0 offset:536
	;; [unrolled: 1-line block ×9, first 2 shown]
	v_lshlrev_b64 v[10:11], 4, v[32:33]
	v_mov_b32_e32 v9, s5
	v_add_co_u32_e32 v12, vcc, s4, v10
	v_ashrrev_i32_e32 v43, 31, v42
	v_addc_co_u32_e32 v13, vcc, v9, v11, vcc
	v_lshlrev_b64 v[10:11], 4, v[42:43]
	v_add_co_u32_e32 v14, vcc, s4, v10
	v_accvgpr_write_b32 a97, v13
	v_addc_co_u32_e32 v15, vcc, v9, v11, vcc
	v_accvgpr_write_b32 a96, v12
	global_load_dwordx4 v[10:13], v[12:13], off
	v_accvgpr_write_b32 a21, v19
	v_accvgpr_write_b32 a87, v15
	v_ashrrev_i32_e32 v45, 31, v44
	v_accvgpr_write_b32 a20, v18
	v_accvgpr_write_b32 a86, v14
	global_load_dwordx4 v[14:17], v[14:15], off
	v_lshlrev_b64 v[18:19], 4, v[44:45]
	v_add_co_u32_e32 v24, vcc, s4, v18
	v_addc_co_u32_e32 v25, vcc, v9, v19, vcc
	v_accvgpr_write_b32 a89, v25
	v_ashrrev_i32_e32 v55, 31, v54
	v_accvgpr_write_b32 a88, v24
	global_load_dwordx4 v[24:27], v[24:25], off
	v_lshlrev_b64 v[18:19], 4, v[54:55]
	v_add_co_u32_e32 v18, vcc, s4, v18
	v_addc_co_u32_e32 v19, vcc, v9, v19, vcc
	global_load_dwordx4 v[32:35], v[18:19], off
	v_accvgpr_write_b32 a71, v19
	v_ashrrev_i32_e32 v57, 31, v56
	v_accvgpr_write_b32 a70, v18
	v_lshlrev_b64 v[18:19], 4, v[56:57]
	v_add_co_u32_e32 v36, vcc, s4, v18
	v_addc_co_u32_e32 v37, vcc, v9, v19, vcc
	v_ashrrev_i32_e32 v65, 31, v64
	global_load_dwordx4 v[42:45], v[36:37], off
	v_lshlrev_b64 v[18:19], 4, v[64:65]
	v_add_co_u32_e32 v18, vcc, s4, v18
	v_addc_co_u32_e32 v19, vcc, v9, v19, vcc
	global_load_dwordx4 v[46:49], v[18:19], off
	v_accvgpr_write_b32 a57, v19
	v_ashrrev_i32_e32 v89, 31, v88
	v_accvgpr_write_b32 a73, v37
	v_accvgpr_write_b32 a56, v18
	v_lshlrev_b64 v[18:19], 4, v[88:89]
	v_accvgpr_write_b32 a72, v36
	v_add_co_u32_e32 v36, vcc, s4, v18
	v_addc_co_u32_e32 v37, vcc, v9, v19, vcc
	v_ashrrev_i32_e32 v87, 31, v86
	global_load_dwordx4 v[54:57], v[36:37], off
	v_lshlrev_b64 v[18:19], 4, v[86:87]
	v_add_co_u32_e32 v18, vcc, s4, v18
	v_addc_co_u32_e32 v19, vcc, v9, v19, vcc
	global_load_dwordx4 v[58:61], v[18:19], off
	v_accvgpr_write_b32 a45, v19
	v_ashrrev_i32_e32 v85, 31, v84
	v_accvgpr_write_b32 a59, v37
	v_accvgpr_write_b32 a44, v18
	v_lshlrev_b64 v[18:19], 4, v[84:85]
	v_accvgpr_write_b32 a58, v36
	;; [unrolled: 14-line block ×4, first 2 shown]
	v_add_co_u32_e32 v36, vcc, s4, v18
	v_addc_co_u32_e32 v37, vcc, v9, v19, vcc
	v_ashrrev_i32_e32 v51, 31, v50
	v_lshlrev_b64 v[18:19], 4, v[50:51]
	global_load_dwordx4 v[50:53], v[36:37], off
	v_add_co_u32_e32 v18, vcc, s4, v18
	v_addc_co_u32_e32 v19, vcc, v9, v19, vcc
	global_load_dwordx4 v[80:83], v[18:19], off
	v_accvgpr_write_b32 a14, v18
	v_ashrrev_i32_e32 v41, 31, v40
	v_accvgpr_write_b32 a24, v36
	v_accvgpr_write_b32 a15, v19
	v_lshlrev_b64 v[18:19], 4, v[40:41]
	v_accvgpr_write_b32 a25, v37
	v_add_co_u32_e32 v36, vcc, s4, v18
	v_addc_co_u32_e32 v37, vcc, v9, v19, vcc
	v_ashrrev_i32_e32 v39, 31, v38
	v_accvgpr_write_b32 a16, v36
	v_lshlrev_b64 v[18:19], 4, v[38:39]
	v_accvgpr_write_b32 a17, v37
	global_load_dwordx4 v[36:39], v[36:37], off
	v_add_co_u32_e32 v18, vcc, s4, v18
	v_addc_co_u32_e32 v19, vcc, v9, v19, vcc
	global_load_dwordx4 v[84:87], v[18:19], off
	v_accvgpr_write_b32 a8, v18
	v_ashrrev_i32_e32 v31, 31, v30
	v_accvgpr_write_b32 a9, v19
	v_lshlrev_b64 v[18:19], 4, v[30:31]
	v_add_co_u32_e32 v30, vcc, s4, v18
	v_addc_co_u32_e32 v31, vcc, v9, v19, vcc
	v_ashrrev_i32_e32 v29, 31, v28
	v_accvgpr_write_b32 a10, v30
	v_lshlrev_b64 v[18:19], 4, v[28:29]
	v_accvgpr_write_b32 a11, v31
	global_load_dwordx4 v[28:31], v[30:31], off
	v_add_co_u32_e32 v18, vcc, s4, v18
	v_addc_co_u32_e32 v19, vcc, v9, v19, vcc
	global_load_dwordx4 v[88:91], v[18:19], off
	v_accvgpr_write_b32 a4, v18
	v_ashrrev_i32_e32 v23, 31, v22
	v_accvgpr_write_b32 a5, v19
	v_lshlrev_b64 v[18:19], 4, v[22:23]
	v_add_co_u32_e32 v18, vcc, s4, v18
	v_addc_co_u32_e32 v19, vcc, v9, v19, vcc
	v_ashrrev_i32_e32 v21, 31, v20
	v_accvgpr_write_b32 a6, v18
	v_lshlrev_b64 v[22:23], 4, v[20:21]
	v_accvgpr_write_b32 a7, v19
	global_load_dwordx4 v[18:21], v[18:19], off
	v_add_co_u32_e32 v22, vcc, s4, v22
	v_addc_co_u32_e32 v23, vcc, v9, v23, vcc
	global_load_dwordx4 v[92:95], v[22:23], off
	s_nop 0
	buffer_store_dword v8, off, s[0:3], 0 offset:568
	buffer_store_dword v7, off, s[0:3], 0 offset:564
	buffer_store_dword v6, off, s[0:3], 0 offset:560
	s_waitcnt vmcnt(22)
	buffer_store_dword v13, off, s[0:3], 0 offset:588
	buffer_store_dword v12, off, s[0:3], 0 offset:584
	buffer_store_dword v11, off, s[0:3], 0 offset:580
	buffer_store_dword v10, off, s[0:3], 0 offset:576
	s_waitcnt vmcnt(25)
	buffer_store_dword v17, off, s[0:3], 0 offset:604
	;; [unrolled: 5-line block ×15, first 2 shown]
	buffer_store_dword v38, off, s[0:3], 0 offset:808
	buffer_store_dword v37, off, s[0:3], 0 offset:804
	buffer_store_dword v36, off, s[0:3], 0 offset:800
	buffer_store_dword v87, off, s[0:3], 0 offset:828
	buffer_store_dword v86, off, s[0:3], 0 offset:824
	buffer_store_dword v85, off, s[0:3], 0 offset:820
	buffer_store_dword v84, off, s[0:3], 0 offset:816
	buffer_store_dword v31, off, s[0:3], 0 offset:844
	buffer_store_dword v30, off, s[0:3], 0 offset:840
	buffer_store_dword v29, off, s[0:3], 0 offset:836
	buffer_store_dword v28, off, s[0:3], 0 offset:832
	s_waitcnt vmcnt(62)
	buffer_store_dword v91, off, s[0:3], 0 offset:860
	buffer_store_dword v90, off, s[0:3], 0 offset:856
	;; [unrolled: 1-line block ×16, first 2 shown]
	v_mov_b32_e32 v2, 16
	v_add_u32_e32 v3, 16, v2
	v_accvgpr_write_b32 a166, v3
	v_add_u32_e32 v3, 32, v2
	v_accvgpr_write_b32 a165, v3
	;; [unrolled: 2-line block ×53, first 2 shown]
	v_accvgpr_write_b32 a114, v3
	v_add_u32_e32 v3, 0x360, v2
	v_add_u32_e32 v2, 0x370, v2
	v_accvgpr_write_b32 a3, v23
	s_bitcmp0_b32 s22, 0
	v_accvgpr_write_b32 a113, v3
	v_accvgpr_write_b32 a112, v2
	s_mov_b64 s[6:7], -1
	s_cbranch_scc1 .LBB55_236
; %bb.4:
	v_cmp_eq_u32_e64 s[4:5], 0, v0
	s_and_saveexec_b64 s[6:7], s[4:5]
	s_cbranch_execz .LBB55_6
; %bb.5:
	v_mov_b32_e32 v2, 0
	ds_write_b32 v2, v2 offset:1792
.LBB55_6:
	s_or_b64 exec, exec, s[6:7]
	v_mov_b32_e32 v2, 16
	v_lshl_add_u32 v12, v0, 4, v2
	s_waitcnt lgkmcnt(0)
	; wave barrier
	s_waitcnt lgkmcnt(0)
	buffer_load_dword v2, v12, s[0:3], 0 offen
	buffer_load_dword v3, v12, s[0:3], 0 offen offset:4
	buffer_load_dword v4, v12, s[0:3], 0 offen offset:8
	;; [unrolled: 1-line block ×3, first 2 shown]
	s_waitcnt vmcnt(2)
	v_cmp_eq_f64_e32 vcc, 0, v[2:3]
	s_waitcnt vmcnt(0)
	v_cmp_eq_f64_e64 s[6:7], 0, v[4:5]
	s_and_b64 s[6:7], vcc, s[6:7]
	s_and_saveexec_b64 s[12:13], s[6:7]
	s_cbranch_execz .LBB55_10
; %bb.7:
	v_mov_b32_e32 v2, 0
	ds_read_b32 v4, v2 offset:1792
	v_add_u32_e32 v3, 1, v0
	s_waitcnt lgkmcnt(0)
	v_readfirstlane_b32 s6, v4
	s_cmp_eq_u32 s6, 0
	s_cselect_b64 s[16:17], -1, 0
	v_cmp_gt_i32_e32 vcc, s6, v3
	s_or_b64 s[16:17], s[16:17], vcc
	s_and_b64 exec, exec, s[16:17]
	s_cbranch_execz .LBB55_10
; %bb.8:
	s_mov_b64 s[16:17], 0
	v_mov_b32_e32 v4, s6
.LBB55_9:                               ; =>This Inner Loop Header: Depth=1
	ds_cmpst_rtn_b32 v4, v2, v4, v3 offset:1792
	s_waitcnt lgkmcnt(0)
	v_cmp_ne_u32_e32 vcc, 0, v4
	v_cmp_le_i32_e64 s[6:7], v4, v3
	s_and_b64 s[6:7], vcc, s[6:7]
	s_and_b64 s[6:7], exec, s[6:7]
	s_or_b64 s[16:17], s[6:7], s[16:17]
	s_andn2_b64 exec, exec, s[16:17]
	s_cbranch_execnz .LBB55_9
.LBB55_10:
	s_or_b64 exec, exec, s[12:13]
	v_mov_b32_e32 v3, 0
	s_waitcnt lgkmcnt(0)
	; wave barrier
	ds_read_b32 v2, v3 offset:1792
	s_and_saveexec_b64 s[6:7], s[4:5]
	s_cbranch_execz .LBB55_12
; %bb.11:
	s_lshl_b64 s[12:13], s[8:9], 2
	s_add_u32 s12, s14, s12
	s_addc_u32 s13, s15, s13
	s_waitcnt lgkmcnt(0)
	global_store_dword v3, v2, s[12:13]
.LBB55_12:
	s_or_b64 exec, exec, s[6:7]
	s_waitcnt lgkmcnt(0)
	v_cmp_ne_u32_e32 vcc, 0, v2
	s_mov_b64 s[6:7], 0
	s_cbranch_vccnz .LBB55_236
; %bb.13:
	buffer_load_dword v7, v12, s[0:3], 0 offen offset:4
	buffer_load_dword v6, v12, s[0:3], 0 offen
	buffer_load_dword v9, v12, s[0:3], 0 offen offset:12
	buffer_load_dword v8, v12, s[0:3], 0 offen offset:8
                                        ; implicit-def: $vgpr10_vgpr11
	s_waitcnt vmcnt(3)
	v_xor_b32_e32 v3, 0x80000000, v7
	s_waitcnt vmcnt(2)
	v_cmp_gt_f64_e32 vcc, 0, v[6:7]
	s_waitcnt vmcnt(1)
	v_xor_b32_e32 v4, 0x80000000, v9
	v_cndmask_b32_e32 v3, v7, v3, vcc
	s_waitcnt vmcnt(0)
	v_cmp_gt_f64_e32 vcc, 0, v[8:9]
	v_mov_b32_e32 v2, v6
	v_cndmask_b32_e32 v5, v9, v4, vcc
	v_mov_b32_e32 v4, v8
	v_cmp_ngt_f64_e32 vcc, v[2:3], v[4:5]
                                        ; implicit-def: $vgpr4_vgpr5
	s_and_saveexec_b64 s[6:7], vcc
	s_xor_b64 s[6:7], exec, s[6:7]
	s_cbranch_execz .LBB55_15
; %bb.14:
	v_div_scale_f64 v[2:3], s[12:13], v[8:9], v[8:9], v[6:7]
	v_rcp_f64_e32 v[4:5], v[2:3]
	v_div_scale_f64 v[10:11], vcc, v[6:7], v[8:9], v[6:7]
	v_fma_f64 v[14:15], -v[2:3], v[4:5], 1.0
	v_fmac_f64_e32 v[4:5], v[4:5], v[14:15]
	v_fma_f64 v[14:15], -v[2:3], v[4:5], 1.0
	v_fmac_f64_e32 v[4:5], v[4:5], v[14:15]
	v_mul_f64 v[14:15], v[10:11], v[4:5]
	v_fma_f64 v[2:3], -v[2:3], v[14:15], v[10:11]
	v_div_fmas_f64 v[2:3], v[2:3], v[4:5], v[14:15]
	v_div_fixup_f64 v[2:3], v[2:3], v[8:9], v[6:7]
	v_fmac_f64_e32 v[8:9], v[6:7], v[2:3]
	v_div_scale_f64 v[4:5], s[12:13], v[8:9], v[8:9], 1.0
	v_rcp_f64_e32 v[6:7], v[4:5]
	v_fma_f64 v[10:11], -v[4:5], v[6:7], 1.0
	v_fmac_f64_e32 v[6:7], v[6:7], v[10:11]
	v_fma_f64 v[10:11], -v[4:5], v[6:7], 1.0
	v_fmac_f64_e32 v[6:7], v[6:7], v[10:11]
	v_div_scale_f64 v[10:11], vcc, 1.0, v[8:9], 1.0
	v_mul_f64 v[14:15], v[10:11], v[6:7]
	v_fma_f64 v[4:5], -v[4:5], v[14:15], v[10:11]
	s_nop 1
	v_div_fmas_f64 v[4:5], v[4:5], v[6:7], v[14:15]
	v_div_fixup_f64 v[4:5], v[4:5], v[8:9], 1.0
	v_mul_f64 v[10:11], v[2:3], v[4:5]
	v_xor_b32_e32 v5, 0x80000000, v5
	v_xor_b32_e32 v3, 0x80000000, v11
	v_mov_b32_e32 v2, v10
                                        ; implicit-def: $vgpr6_vgpr7
                                        ; implicit-def: $vgpr8_vgpr9
.LBB55_15:
	s_andn2_saveexec_b64 s[6:7], s[6:7]
	s_cbranch_execz .LBB55_17
; %bb.16:
	v_div_scale_f64 v[2:3], s[12:13], v[6:7], v[6:7], v[8:9]
	v_rcp_f64_e32 v[4:5], v[2:3]
	v_div_scale_f64 v[10:11], vcc, v[8:9], v[6:7], v[8:9]
	v_fma_f64 v[14:15], -v[2:3], v[4:5], 1.0
	v_fmac_f64_e32 v[4:5], v[4:5], v[14:15]
	v_fma_f64 v[14:15], -v[2:3], v[4:5], 1.0
	v_fmac_f64_e32 v[4:5], v[4:5], v[14:15]
	v_mul_f64 v[14:15], v[10:11], v[4:5]
	v_fma_f64 v[2:3], -v[2:3], v[14:15], v[10:11]
	v_div_fmas_f64 v[2:3], v[2:3], v[4:5], v[14:15]
	v_div_fixup_f64 v[4:5], v[2:3], v[6:7], v[8:9]
	v_fmac_f64_e32 v[6:7], v[8:9], v[4:5]
	v_div_scale_f64 v[2:3], s[12:13], v[6:7], v[6:7], 1.0
	v_rcp_f64_e32 v[8:9], v[2:3]
	v_fma_f64 v[10:11], -v[2:3], v[8:9], 1.0
	v_fmac_f64_e32 v[8:9], v[8:9], v[10:11]
	v_fma_f64 v[10:11], -v[2:3], v[8:9], 1.0
	v_fmac_f64_e32 v[8:9], v[8:9], v[10:11]
	v_div_scale_f64 v[10:11], vcc, 1.0, v[6:7], 1.0
	v_mul_f64 v[14:15], v[10:11], v[8:9]
	v_fma_f64 v[2:3], -v[2:3], v[14:15], v[10:11]
	s_nop 1
	v_div_fmas_f64 v[2:3], v[2:3], v[8:9], v[14:15]
	v_div_fixup_f64 v[10:11], v[2:3], v[6:7], 1.0
	v_xor_b32_e32 v3, 0x80000000, v11
	v_mov_b32_e32 v2, v10
	v_mul_f64 v[4:5], v[4:5], -v[10:11]
.LBB55_17:
	s_or_b64 exec, exec, s[6:7]
	buffer_store_dword v11, v12, s[0:3], 0 offen offset:4
	buffer_store_dword v10, v12, s[0:3], 0 offen
	buffer_store_dword v5, v12, s[0:3], 0 offen offset:12
	buffer_store_dword v4, v12, s[0:3], 0 offen offset:8
	v_accvgpr_read_b32 v6, a166
	buffer_load_dword v11, v6, s[0:3], 0 offen offset:12
	buffer_load_dword v10, v6, s[0:3], 0 offen offset:8
	;; [unrolled: 1-line block ×3, first 2 shown]
	buffer_load_dword v8, v6, s[0:3], 0 offen
	v_xor_b32_e32 v5, 0x80000000, v5
	v_add_u32_e32 v6, 0x380, v1
	ds_write_b128 v1, v[2:5]
	s_waitcnt vmcnt(0)
	ds_write_b128 v1, v[8:11] offset:896
	s_waitcnt lgkmcnt(0)
	; wave barrier
	s_waitcnt lgkmcnt(0)
	s_and_saveexec_b64 s[6:7], s[4:5]
	s_cbranch_execz .LBB55_19
; %bb.18:
	buffer_load_dword v14, v12, s[0:3], 0 offen offset:8
	buffer_load_dword v15, v12, s[0:3], 0 offen offset:12
	buffer_load_dword v16, v12, s[0:3], 0 offen
	buffer_load_dword v17, v12, s[0:3], 0 offen offset:4
	ds_read_b128 v[2:5], v6
	v_mov_b32_e32 v7, 0
	ds_read_b128 v[8:11], v7 offset:16
	s_waitcnt vmcnt(2) lgkmcnt(1)
	v_mul_f64 v[18:19], v[4:5], v[14:15]
	v_mul_f64 v[14:15], v[2:3], v[14:15]
	s_waitcnt vmcnt(0)
	v_fmac_f64_e32 v[14:15], v[4:5], v[16:17]
	v_fma_f64 v[2:3], v[2:3], v[16:17], -v[18:19]
	v_add_f64 v[4:5], v[14:15], 0
	v_add_f64 v[2:3], v[2:3], 0
	s_waitcnt lgkmcnt(0)
	v_mul_f64 v[14:15], v[4:5], v[10:11]
	v_mul_f64 v[10:11], v[2:3], v[10:11]
	v_fma_f64 v[2:3], v[2:3], v[8:9], -v[14:15]
	v_fmac_f64_e32 v[10:11], v[4:5], v[8:9]
	buffer_store_dword v2, off, s[0:3], 0 offset:32
	buffer_store_dword v3, off, s[0:3], 0 offset:36
	;; [unrolled: 1-line block ×4, first 2 shown]
.LBB55_19:
	s_or_b64 exec, exec, s[6:7]
	v_accvgpr_read_b32 v5, a165
	s_waitcnt lgkmcnt(0)
	; wave barrier
	buffer_load_dword v2, v5, s[0:3], 0 offen
	buffer_load_dword v3, v5, s[0:3], 0 offen offset:4
	buffer_load_dword v4, v5, s[0:3], 0 offen offset:8
	s_nop 0
	buffer_load_dword v5, v5, s[0:3], 0 offen offset:12
	v_cmp_gt_u32_e32 vcc, 2, v0
	s_waitcnt vmcnt(0)
	ds_write_b128 v6, v[2:5]
	s_waitcnt lgkmcnt(0)
	; wave barrier
	s_waitcnt lgkmcnt(0)
	s_and_saveexec_b64 s[6:7], vcc
	s_cbranch_execz .LBB55_23
; %bb.20:
	buffer_load_dword v8, v12, s[0:3], 0 offen offset:8
	buffer_load_dword v9, v12, s[0:3], 0 offen offset:12
	buffer_load_dword v10, v12, s[0:3], 0 offen
	buffer_load_dword v11, v12, s[0:3], 0 offen offset:4
	ds_read_b128 v[2:5], v6
	s_waitcnt vmcnt(2) lgkmcnt(0)
	v_mul_f64 v[12:13], v[4:5], v[8:9]
	v_mul_f64 v[8:9], v[2:3], v[8:9]
	s_waitcnt vmcnt(0)
	v_fma_f64 v[2:3], v[2:3], v[10:11], -v[12:13]
	v_fmac_f64_e32 v[8:9], v[4:5], v[10:11]
	v_add_f64 v[4:5], v[2:3], 0
	v_add_f64 v[2:3], v[8:9], 0
	s_and_saveexec_b64 s[12:13], s[4:5]
	s_cbranch_execz .LBB55_22
; %bb.21:
	buffer_load_dword v12, off, s[0:3], 0 offset:40
	buffer_load_dword v13, off, s[0:3], 0 offset:44
	;; [unrolled: 1-line block ×4, first 2 shown]
	v_mov_b32_e32 v7, 0
	ds_read_b128 v[8:11], v7 offset:912
	s_waitcnt vmcnt(2) lgkmcnt(0)
	v_mul_f64 v[16:17], v[8:9], v[12:13]
	v_mul_f64 v[12:13], v[10:11], v[12:13]
	s_waitcnt vmcnt(0)
	v_fmac_f64_e32 v[16:17], v[10:11], v[14:15]
	v_fma_f64 v[8:9], v[8:9], v[14:15], -v[12:13]
	v_add_f64 v[2:3], v[2:3], v[16:17]
	v_add_f64 v[4:5], v[4:5], v[8:9]
.LBB55_22:
	s_or_b64 exec, exec, s[12:13]
	v_mov_b32_e32 v7, 0
	ds_read_b128 v[8:11], v7 offset:32
	s_waitcnt lgkmcnt(0)
	v_mul_f64 v[12:13], v[2:3], v[10:11]
	v_mul_f64 v[10:11], v[4:5], v[10:11]
	v_fma_f64 v[4:5], v[4:5], v[8:9], -v[12:13]
	v_fmac_f64_e32 v[10:11], v[2:3], v[8:9]
	buffer_store_dword v5, off, s[0:3], 0 offset:52
	buffer_store_dword v4, off, s[0:3], 0 offset:48
	;; [unrolled: 1-line block ×4, first 2 shown]
.LBB55_23:
	s_or_b64 exec, exec, s[6:7]
	v_accvgpr_read_b32 v5, a164
	s_waitcnt lgkmcnt(0)
	; wave barrier
	buffer_load_dword v2, v5, s[0:3], 0 offen
	buffer_load_dword v3, v5, s[0:3], 0 offen offset:4
	buffer_load_dword v4, v5, s[0:3], 0 offen offset:8
	s_nop 0
	buffer_load_dword v5, v5, s[0:3], 0 offen offset:12
	v_cmp_gt_u32_e32 vcc, 3, v0
	v_add_u32_e32 v7, -1, v0
	s_waitcnt vmcnt(0)
	ds_write_b128 v6, v[2:5]
	s_waitcnt lgkmcnt(0)
	; wave barrier
	s_waitcnt lgkmcnt(0)
	s_and_saveexec_b64 s[4:5], vcc
	s_cbranch_execz .LBB55_27
; %bb.24:
	v_pk_mov_b32 v[2:3], 0, 0
	v_add_u32_e32 v8, -1, v0
	v_add_u32_e32 v9, 0x380, v1
	v_add_u32_e32 v10, 16, v1
	s_mov_b64 s[6:7], 0
	v_pk_mov_b32 v[4:5], v[2:3], v[2:3] op_sel:[0,1]
.LBB55_25:                              ; =>This Inner Loop Header: Depth=1
	buffer_load_dword v16, v10, s[0:3], 0 offen offset:8
	buffer_load_dword v17, v10, s[0:3], 0 offen offset:12
	buffer_load_dword v18, v10, s[0:3], 0 offen
	buffer_load_dword v19, v10, s[0:3], 0 offen offset:4
	ds_read_b128 v[12:15], v9
	v_add_u32_e32 v8, 1, v8
	v_cmp_lt_u32_e32 vcc, 1, v8
	v_add_u32_e32 v9, 16, v9
	v_add_u32_e32 v10, 16, v10
	s_or_b64 s[6:7], vcc, s[6:7]
	s_waitcnt vmcnt(2) lgkmcnt(0)
	v_mul_f64 v[20:21], v[14:15], v[16:17]
	v_mul_f64 v[16:17], v[12:13], v[16:17]
	s_waitcnt vmcnt(0)
	v_fma_f64 v[12:13], v[12:13], v[18:19], -v[20:21]
	v_fmac_f64_e32 v[16:17], v[14:15], v[18:19]
	v_add_f64 v[4:5], v[4:5], v[12:13]
	v_add_f64 v[2:3], v[2:3], v[16:17]
	s_andn2_b64 exec, exec, s[6:7]
	s_cbranch_execnz .LBB55_25
; %bb.26:
	s_or_b64 exec, exec, s[6:7]
	v_mov_b32_e32 v8, 0
	ds_read_b128 v[8:11], v8 offset:48
	s_waitcnt lgkmcnt(0)
	v_mul_f64 v[12:13], v[2:3], v[10:11]
	v_mul_f64 v[10:11], v[4:5], v[10:11]
	v_fma_f64 v[4:5], v[4:5], v[8:9], -v[12:13]
	v_fmac_f64_e32 v[10:11], v[2:3], v[8:9]
	buffer_store_dword v5, off, s[0:3], 0 offset:68
	buffer_store_dword v4, off, s[0:3], 0 offset:64
	buffer_store_dword v11, off, s[0:3], 0 offset:76
	buffer_store_dword v10, off, s[0:3], 0 offset:72
.LBB55_27:
	s_or_b64 exec, exec, s[4:5]
	v_accvgpr_read_b32 v5, a163
	s_waitcnt lgkmcnt(0)
	; wave barrier
	buffer_load_dword v2, v5, s[0:3], 0 offen
	buffer_load_dword v3, v5, s[0:3], 0 offen offset:4
	buffer_load_dword v4, v5, s[0:3], 0 offen offset:8
	s_nop 0
	buffer_load_dword v5, v5, s[0:3], 0 offen offset:12
	v_cmp_gt_u32_e32 vcc, 4, v0
	s_waitcnt vmcnt(0)
	ds_write_b128 v6, v[2:5]
	s_waitcnt lgkmcnt(0)
	; wave barrier
	s_waitcnt lgkmcnt(0)
	s_and_saveexec_b64 s[4:5], vcc
	s_cbranch_execz .LBB55_31
; %bb.28:
	v_pk_mov_b32 v[2:3], 0, 0
	v_add_u32_e32 v8, -1, v0
	v_add_u32_e32 v9, 0x380, v1
	v_add_u32_e32 v10, 16, v1
	s_mov_b64 s[6:7], 0
	v_pk_mov_b32 v[4:5], v[2:3], v[2:3] op_sel:[0,1]
.LBB55_29:                              ; =>This Inner Loop Header: Depth=1
	buffer_load_dword v16, v10, s[0:3], 0 offen offset:8
	buffer_load_dword v17, v10, s[0:3], 0 offen offset:12
	buffer_load_dword v18, v10, s[0:3], 0 offen
	buffer_load_dword v19, v10, s[0:3], 0 offen offset:4
	ds_read_b128 v[12:15], v9
	v_add_u32_e32 v8, 1, v8
	v_cmp_lt_u32_e32 vcc, 2, v8
	v_add_u32_e32 v9, 16, v9
	v_add_u32_e32 v10, 16, v10
	s_or_b64 s[6:7], vcc, s[6:7]
	s_waitcnt vmcnt(2) lgkmcnt(0)
	v_mul_f64 v[20:21], v[14:15], v[16:17]
	v_mul_f64 v[16:17], v[12:13], v[16:17]
	s_waitcnt vmcnt(0)
	v_fma_f64 v[12:13], v[12:13], v[18:19], -v[20:21]
	v_fmac_f64_e32 v[16:17], v[14:15], v[18:19]
	v_add_f64 v[4:5], v[4:5], v[12:13]
	v_add_f64 v[2:3], v[2:3], v[16:17]
	s_andn2_b64 exec, exec, s[6:7]
	s_cbranch_execnz .LBB55_29
; %bb.30:
	s_or_b64 exec, exec, s[6:7]
	v_mov_b32_e32 v8, 0
	ds_read_b128 v[8:11], v8 offset:64
	s_waitcnt lgkmcnt(0)
	v_mul_f64 v[12:13], v[2:3], v[10:11]
	v_mul_f64 v[10:11], v[4:5], v[10:11]
	v_fma_f64 v[4:5], v[4:5], v[8:9], -v[12:13]
	v_fmac_f64_e32 v[10:11], v[2:3], v[8:9]
	buffer_store_dword v5, off, s[0:3], 0 offset:84
	buffer_store_dword v4, off, s[0:3], 0 offset:80
	buffer_store_dword v11, off, s[0:3], 0 offset:92
	buffer_store_dword v10, off, s[0:3], 0 offset:88
.LBB55_31:
	s_or_b64 exec, exec, s[4:5]
	v_accvgpr_read_b32 v5, a162
	s_waitcnt lgkmcnt(0)
	; wave barrier
	buffer_load_dword v2, v5, s[0:3], 0 offen
	buffer_load_dword v3, v5, s[0:3], 0 offen offset:4
	buffer_load_dword v4, v5, s[0:3], 0 offen offset:8
	s_nop 0
	buffer_load_dword v5, v5, s[0:3], 0 offen offset:12
	v_cmp_gt_u32_e32 vcc, 5, v0
	;; [unrolled: 59-line block ×19, first 2 shown]
	s_waitcnt vmcnt(0)
	ds_write_b128 v6, v[2:5]
	s_waitcnt lgkmcnt(0)
	; wave barrier
	s_waitcnt lgkmcnt(0)
	s_and_saveexec_b64 s[4:5], vcc
	s_cbranch_execz .LBB55_103
; %bb.100:
	v_pk_mov_b32 v[2:3], 0, 0
	v_add_u32_e32 v8, -1, v0
	v_add_u32_e32 v9, 0x380, v1
	v_add_u32_e32 v10, 16, v1
	s_mov_b64 s[6:7], 0
	v_pk_mov_b32 v[4:5], v[2:3], v[2:3] op_sel:[0,1]
.LBB55_101:                             ; =>This Inner Loop Header: Depth=1
	buffer_load_dword v16, v10, s[0:3], 0 offen offset:8
	buffer_load_dword v17, v10, s[0:3], 0 offen offset:12
	buffer_load_dword v18, v10, s[0:3], 0 offen
	buffer_load_dword v19, v10, s[0:3], 0 offen offset:4
	ds_read_b128 v[12:15], v9
	v_add_u32_e32 v8, 1, v8
	v_cmp_lt_u32_e32 vcc, 20, v8
	v_add_u32_e32 v9, 16, v9
	v_add_u32_e32 v10, 16, v10
	s_or_b64 s[6:7], vcc, s[6:7]
	s_waitcnt vmcnt(2) lgkmcnt(0)
	v_mul_f64 v[20:21], v[14:15], v[16:17]
	v_mul_f64 v[16:17], v[12:13], v[16:17]
	s_waitcnt vmcnt(0)
	v_fma_f64 v[12:13], v[12:13], v[18:19], -v[20:21]
	v_fmac_f64_e32 v[16:17], v[14:15], v[18:19]
	v_add_f64 v[4:5], v[4:5], v[12:13]
	v_add_f64 v[2:3], v[2:3], v[16:17]
	s_andn2_b64 exec, exec, s[6:7]
	s_cbranch_execnz .LBB55_101
; %bb.102:
	s_or_b64 exec, exec, s[6:7]
	v_mov_b32_e32 v8, 0
	ds_read_b128 v[8:11], v8 offset:352
	s_waitcnt lgkmcnt(0)
	v_mul_f64 v[12:13], v[2:3], v[10:11]
	v_mul_f64 v[10:11], v[4:5], v[10:11]
	v_fma_f64 v[4:5], v[4:5], v[8:9], -v[12:13]
	v_fmac_f64_e32 v[10:11], v[2:3], v[8:9]
	buffer_store_dword v5, off, s[0:3], 0 offset:372
	buffer_store_dword v4, off, s[0:3], 0 offset:368
	buffer_store_dword v11, off, s[0:3], 0 offset:380
	buffer_store_dword v10, off, s[0:3], 0 offset:376
.LBB55_103:
	s_or_b64 exec, exec, s[4:5]
	v_accvgpr_read_b32 v5, a144
	s_waitcnt lgkmcnt(0)
	; wave barrier
	buffer_load_dword v2, v5, s[0:3], 0 offen
	buffer_load_dword v3, v5, s[0:3], 0 offen offset:4
	buffer_load_dword v4, v5, s[0:3], 0 offen offset:8
	s_nop 0
	buffer_load_dword v5, v5, s[0:3], 0 offen offset:12
	v_cmp_gt_u32_e32 vcc, 23, v0
	s_waitcnt vmcnt(0)
	ds_write_b128 v6, v[2:5]
	s_waitcnt lgkmcnt(0)
	; wave barrier
	s_waitcnt lgkmcnt(0)
	s_and_saveexec_b64 s[4:5], vcc
	s_cbranch_execz .LBB55_107
; %bb.104:
	v_pk_mov_b32 v[2:3], 0, 0
	v_add_u32_e32 v8, -1, v0
	v_add_u32_e32 v9, 0x380, v1
	v_add_u32_e32 v10, 16, v1
	s_mov_b64 s[6:7], 0
	v_pk_mov_b32 v[4:5], v[2:3], v[2:3] op_sel:[0,1]
.LBB55_105:                             ; =>This Inner Loop Header: Depth=1
	buffer_load_dword v16, v10, s[0:3], 0 offen offset:8
	buffer_load_dword v17, v10, s[0:3], 0 offen offset:12
	buffer_load_dword v18, v10, s[0:3], 0 offen
	buffer_load_dword v19, v10, s[0:3], 0 offen offset:4
	ds_read_b128 v[12:15], v9
	v_add_u32_e32 v8, 1, v8
	v_cmp_lt_u32_e32 vcc, 21, v8
	v_add_u32_e32 v9, 16, v9
	v_add_u32_e32 v10, 16, v10
	s_or_b64 s[6:7], vcc, s[6:7]
	s_waitcnt vmcnt(2) lgkmcnt(0)
	v_mul_f64 v[20:21], v[14:15], v[16:17]
	v_mul_f64 v[16:17], v[12:13], v[16:17]
	s_waitcnt vmcnt(0)
	v_fma_f64 v[12:13], v[12:13], v[18:19], -v[20:21]
	v_fmac_f64_e32 v[16:17], v[14:15], v[18:19]
	v_add_f64 v[4:5], v[4:5], v[12:13]
	v_add_f64 v[2:3], v[2:3], v[16:17]
	s_andn2_b64 exec, exec, s[6:7]
	s_cbranch_execnz .LBB55_105
; %bb.106:
	s_or_b64 exec, exec, s[6:7]
	v_mov_b32_e32 v8, 0
	ds_read_b128 v[8:11], v8 offset:368
	s_waitcnt lgkmcnt(0)
	v_mul_f64 v[12:13], v[2:3], v[10:11]
	v_mul_f64 v[10:11], v[4:5], v[10:11]
	v_fma_f64 v[4:5], v[4:5], v[8:9], -v[12:13]
	v_fmac_f64_e32 v[10:11], v[2:3], v[8:9]
	buffer_store_dword v5, off, s[0:3], 0 offset:388
	buffer_store_dword v4, off, s[0:3], 0 offset:384
	buffer_store_dword v11, off, s[0:3], 0 offset:396
	buffer_store_dword v10, off, s[0:3], 0 offset:392
.LBB55_107:
	s_or_b64 exec, exec, s[4:5]
	v_accvgpr_read_b32 v5, a143
	s_waitcnt lgkmcnt(0)
	; wave barrier
	buffer_load_dword v2, v5, s[0:3], 0 offen
	buffer_load_dword v3, v5, s[0:3], 0 offen offset:4
	buffer_load_dword v4, v5, s[0:3], 0 offen offset:8
	s_nop 0
	buffer_load_dword v5, v5, s[0:3], 0 offen offset:12
	v_cmp_gt_u32_e32 vcc, 24, v0
	;; [unrolled: 59-line block ×32, first 2 shown]
	s_waitcnt vmcnt(0)
	ds_write_b128 v6, v[2:5]
	s_waitcnt lgkmcnt(0)
	; wave barrier
	s_waitcnt lgkmcnt(0)
	s_and_saveexec_b64 s[4:5], vcc
	s_cbranch_execz .LBB55_231
; %bb.228:
	v_pk_mov_b32 v[2:3], 0, 0
	v_add_u32_e32 v8, -1, v0
	v_add_u32_e32 v9, 0x380, v1
	v_add_u32_e32 v10, 16, v1
	s_mov_b64 s[6:7], 0
	v_pk_mov_b32 v[4:5], v[2:3], v[2:3] op_sel:[0,1]
.LBB55_229:                             ; =>This Inner Loop Header: Depth=1
	buffer_load_dword v16, v10, s[0:3], 0 offen offset:8
	buffer_load_dword v17, v10, s[0:3], 0 offen offset:12
	buffer_load_dword v18, v10, s[0:3], 0 offen
	buffer_load_dword v19, v10, s[0:3], 0 offen offset:4
	ds_read_b128 v[12:15], v9
	v_add_u32_e32 v8, 1, v8
	v_cmp_lt_u32_e32 vcc, 52, v8
	v_add_u32_e32 v9, 16, v9
	v_add_u32_e32 v10, 16, v10
	s_or_b64 s[6:7], vcc, s[6:7]
	s_waitcnt vmcnt(2) lgkmcnt(0)
	v_mul_f64 v[20:21], v[14:15], v[16:17]
	v_mul_f64 v[16:17], v[12:13], v[16:17]
	s_waitcnt vmcnt(0)
	v_fma_f64 v[12:13], v[12:13], v[18:19], -v[20:21]
	v_fmac_f64_e32 v[16:17], v[14:15], v[18:19]
	v_add_f64 v[4:5], v[4:5], v[12:13]
	v_add_f64 v[2:3], v[2:3], v[16:17]
	s_andn2_b64 exec, exec, s[6:7]
	s_cbranch_execnz .LBB55_229
; %bb.230:
	s_or_b64 exec, exec, s[6:7]
	v_mov_b32_e32 v8, 0
	ds_read_b128 v[8:11], v8 offset:864
	s_waitcnt lgkmcnt(0)
	v_mul_f64 v[12:13], v[2:3], v[10:11]
	v_mul_f64 v[10:11], v[4:5], v[10:11]
	v_fma_f64 v[4:5], v[4:5], v[8:9], -v[12:13]
	v_fmac_f64_e32 v[10:11], v[2:3], v[8:9]
	buffer_store_dword v5, off, s[0:3], 0 offset:884
	buffer_store_dword v4, off, s[0:3], 0 offset:880
	;; [unrolled: 1-line block ×4, first 2 shown]
.LBB55_231:
	s_or_b64 exec, exec, s[4:5]
	v_accvgpr_read_b32 v5, a112
	s_waitcnt lgkmcnt(0)
	; wave barrier
	buffer_load_dword v2, v5, s[0:3], 0 offen
	buffer_load_dword v3, v5, s[0:3], 0 offen offset:4
	buffer_load_dword v4, v5, s[0:3], 0 offen offset:8
	s_nop 0
	buffer_load_dword v5, v5, s[0:3], 0 offen offset:12
	v_cmp_ne_u32_e32 vcc, 55, v0
	s_waitcnt vmcnt(0)
	ds_write_b128 v6, v[2:5]
	s_waitcnt lgkmcnt(0)
	; wave barrier
	s_waitcnt lgkmcnt(0)
	s_and_saveexec_b64 s[4:5], vcc
	s_cbranch_execz .LBB55_235
; %bb.232:
	v_pk_mov_b32 v[2:3], 0, 0
	v_add_u32_e32 v6, 0x380, v1
	v_add_u32_e32 v1, 16, v1
	s_mov_b64 s[6:7], 0
	v_pk_mov_b32 v[4:5], v[2:3], v[2:3] op_sel:[0,1]
.LBB55_233:                             ; =>This Inner Loop Header: Depth=1
	buffer_load_dword v12, v1, s[0:3], 0 offen offset:8
	buffer_load_dword v13, v1, s[0:3], 0 offen offset:12
	buffer_load_dword v14, v1, s[0:3], 0 offen
	buffer_load_dword v15, v1, s[0:3], 0 offen offset:4
	ds_read_b128 v[8:11], v6
	v_add_u32_e32 v7, 1, v7
	v_cmp_lt_u32_e32 vcc, 53, v7
	v_add_u32_e32 v6, 16, v6
	v_add_u32_e32 v1, 16, v1
	s_or_b64 s[6:7], vcc, s[6:7]
	s_waitcnt vmcnt(2) lgkmcnt(0)
	v_mul_f64 v[16:17], v[10:11], v[12:13]
	v_mul_f64 v[12:13], v[8:9], v[12:13]
	s_waitcnt vmcnt(0)
	v_fma_f64 v[8:9], v[8:9], v[14:15], -v[16:17]
	v_fmac_f64_e32 v[12:13], v[10:11], v[14:15]
	v_add_f64 v[4:5], v[4:5], v[8:9]
	v_add_f64 v[2:3], v[2:3], v[12:13]
	s_andn2_b64 exec, exec, s[6:7]
	s_cbranch_execnz .LBB55_233
; %bb.234:
	s_or_b64 exec, exec, s[6:7]
	v_mov_b32_e32 v1, 0
	ds_read_b128 v[6:9], v1 offset:880
	s_waitcnt lgkmcnt(0)
	v_mul_f64 v[10:11], v[2:3], v[8:9]
	v_mul_f64 v[8:9], v[4:5], v[8:9]
	v_fma_f64 v[4:5], v[4:5], v[6:7], -v[10:11]
	v_fmac_f64_e32 v[8:9], v[2:3], v[6:7]
	buffer_store_dword v5, off, s[0:3], 0 offset:900
	buffer_store_dword v4, off, s[0:3], 0 offset:896
	;; [unrolled: 1-line block ×4, first 2 shown]
.LBB55_235:
	s_or_b64 exec, exec, s[4:5]
	s_mov_b64 s[6:7], -1
	s_waitcnt lgkmcnt(0)
	; wave barrier
.LBB55_236:
	s_and_b64 vcc, exec, s[6:7]
	s_cbranch_vccz .LBB55_238
; %bb.237:
	s_lshl_b64 s[4:5], s[8:9], 2
	s_add_u32 s4, s14, s4
	s_addc_u32 s5, s15, s5
	v_mov_b32_e32 v1, 0
	global_load_dword v1, v1, s[4:5]
	s_waitcnt vmcnt(0)
	v_cmp_ne_u32_e32 vcc, 0, v1
	s_cbranch_vccz .LBB55_239
.LBB55_238:
	s_endpgm
.LBB55_239:
	v_mov_b32_e32 v1, 0x380
	v_lshl_add_u32 v1, v0, 4, v1
	v_accvgpr_write_b32 a167, v1
	v_cmp_eq_u32_e32 vcc, 55, v0
	s_and_saveexec_b64 s[4:5], vcc
	s_cbranch_execz .LBB55_241
; %bb.240:
	v_accvgpr_read_b32 v1, a113
	buffer_load_dword v2, v1, s[0:3], 0 offen
	buffer_load_dword v3, v1, s[0:3], 0 offen offset:4
	buffer_load_dword v4, v1, s[0:3], 0 offen offset:8
	;; [unrolled: 1-line block ×3, first 2 shown]
	v_mov_b32_e32 v1, 0
	v_accvgpr_read_b32 v6, a167
	buffer_store_dword v1, off, s[0:3], 0 offset:880
	buffer_store_dword v1, off, s[0:3], 0 offset:884
	;; [unrolled: 1-line block ×4, first 2 shown]
	s_waitcnt vmcnt(4)
	ds_write_b128 v6, v[2:5]
.LBB55_241:
	s_or_b64 exec, exec, s[4:5]
	s_waitcnt lgkmcnt(0)
	; wave barrier
	s_waitcnt lgkmcnt(0)
	buffer_load_dword v6, off, s[0:3], 0 offset:904
	buffer_load_dword v7, off, s[0:3], 0 offset:908
	;; [unrolled: 1-line block ×8, first 2 shown]
	v_mov_b32_e32 v1, 0
	ds_read_b128 v[2:5], v1 offset:1776
	v_cmp_lt_u32_e32 vcc, 53, v0
	s_waitcnt vmcnt(6) lgkmcnt(0)
	v_mul_f64 v[14:15], v[2:3], v[6:7]
	v_mul_f64 v[6:7], v[4:5], v[6:7]
	s_waitcnt vmcnt(4)
	v_fma_f64 v[2:3], v[2:3], v[8:9], -v[6:7]
	v_fmac_f64_e32 v[14:15], v[4:5], v[8:9]
	v_add_f64 v[2:3], v[2:3], 0
	v_add_f64 v[4:5], v[14:15], 0
	s_waitcnt vmcnt(2)
	v_add_f64 v[2:3], v[10:11], -v[2:3]
	s_waitcnt vmcnt(0)
	v_add_f64 v[4:5], v[12:13], -v[4:5]
	buffer_store_dword v2, off, s[0:3], 0 offset:880
	buffer_store_dword v3, off, s[0:3], 0 offset:884
	;; [unrolled: 1-line block ×4, first 2 shown]
	s_and_saveexec_b64 s[4:5], vcc
	s_cbranch_execz .LBB55_243
; %bb.242:
	v_accvgpr_read_b32 v5, a114
	buffer_load_dword v2, v5, s[0:3], 0 offen
	buffer_load_dword v3, v5, s[0:3], 0 offen offset:4
	buffer_load_dword v4, v5, s[0:3], 0 offen offset:8
	s_nop 0
	buffer_load_dword v5, v5, s[0:3], 0 offen offset:12
	v_accvgpr_read_b32 v6, a167
	buffer_store_dword v1, off, s[0:3], 0 offset:864
	buffer_store_dword v1, off, s[0:3], 0 offset:868
	;; [unrolled: 1-line block ×4, first 2 shown]
	s_waitcnt vmcnt(4)
	ds_write_b128 v6, v[2:5]
.LBB55_243:
	s_or_b64 exec, exec, s[4:5]
	s_waitcnt lgkmcnt(0)
	; wave barrier
	s_waitcnt lgkmcnt(0)
	buffer_load_dword v10, off, s[0:3], 0 offset:888
	buffer_load_dword v11, off, s[0:3], 0 offset:892
	;; [unrolled: 1-line block ×12, first 2 shown]
	ds_read_b128 v[2:5], v1 offset:1760
	ds_read_b128 v[6:9], v1 offset:1776
	v_cmp_lt_u32_e32 vcc, 52, v0
	s_waitcnt vmcnt(10) lgkmcnt(1)
	v_mul_f64 v[22:23], v[2:3], v[10:11]
	v_mul_f64 v[10:11], v[4:5], v[10:11]
	s_waitcnt vmcnt(8) lgkmcnt(0)
	v_mul_f64 v[24:25], v[6:7], v[12:13]
	v_mul_f64 v[12:13], v[8:9], v[12:13]
	s_waitcnt vmcnt(6)
	v_fma_f64 v[2:3], v[2:3], v[14:15], -v[10:11]
	v_fmac_f64_e32 v[22:23], v[4:5], v[14:15]
	s_waitcnt vmcnt(4)
	v_fma_f64 v[4:5], v[6:7], v[16:17], -v[12:13]
	v_add_f64 v[2:3], v[2:3], 0
	v_fmac_f64_e32 v[24:25], v[8:9], v[16:17]
	v_add_f64 v[6:7], v[22:23], 0
	v_add_f64 v[2:3], v[2:3], v[4:5]
	;; [unrolled: 1-line block ×3, first 2 shown]
	s_waitcnt vmcnt(2)
	v_add_f64 v[2:3], v[18:19], -v[2:3]
	s_waitcnt vmcnt(0)
	v_add_f64 v[4:5], v[20:21], -v[6:7]
	buffer_store_dword v2, off, s[0:3], 0 offset:864
	buffer_store_dword v3, off, s[0:3], 0 offset:868
	;; [unrolled: 1-line block ×4, first 2 shown]
	s_and_saveexec_b64 s[4:5], vcc
	s_cbranch_execz .LBB55_245
; %bb.244:
	v_accvgpr_read_b32 v1, a115
	buffer_load_dword v2, v1, s[0:3], 0 offen
	buffer_load_dword v3, v1, s[0:3], 0 offen offset:4
	buffer_load_dword v4, v1, s[0:3], 0 offen offset:8
	;; [unrolled: 1-line block ×3, first 2 shown]
	v_mov_b32_e32 v1, 0
	v_accvgpr_read_b32 v6, a167
	buffer_store_dword v1, off, s[0:3], 0 offset:848
	buffer_store_dword v1, off, s[0:3], 0 offset:852
	;; [unrolled: 1-line block ×4, first 2 shown]
	s_waitcnt vmcnt(4)
	ds_write_b128 v6, v[2:5]
.LBB55_245:
	s_or_b64 exec, exec, s[4:5]
	s_waitcnt lgkmcnt(0)
	; wave barrier
	s_waitcnt lgkmcnt(0)
	buffer_load_dword v14, off, s[0:3], 0 offset:872
	buffer_load_dword v15, off, s[0:3], 0 offset:876
	;; [unrolled: 1-line block ×16, first 2 shown]
	v_mov_b32_e32 v1, 0
	ds_read_b128 v[2:5], v1 offset:1744
	ds_read_b128 v[6:9], v1 offset:1760
	;; [unrolled: 1-line block ×3, first 2 shown]
	v_cmp_lt_u32_e32 vcc, 51, v0
	s_waitcnt vmcnt(14) lgkmcnt(2)
	v_mul_f64 v[30:31], v[2:3], v[14:15]
	v_mul_f64 v[14:15], v[4:5], v[14:15]
	s_waitcnt vmcnt(12) lgkmcnt(1)
	v_mul_f64 v[32:33], v[6:7], v[16:17]
	v_mul_f64 v[16:17], v[8:9], v[16:17]
	;; [unrolled: 3-line block ×3, first 2 shown]
	s_waitcnt vmcnt(8)
	v_fma_f64 v[2:3], v[2:3], v[20:21], -v[14:15]
	v_fmac_f64_e32 v[30:31], v[4:5], v[20:21]
	s_waitcnt vmcnt(6)
	v_fma_f64 v[4:5], v[6:7], v[22:23], -v[16:17]
	v_add_f64 v[2:3], v[2:3], 0
	v_fmac_f64_e32 v[32:33], v[8:9], v[22:23]
	s_waitcnt vmcnt(4)
	v_fma_f64 v[6:7], v[10:11], v[24:25], -v[18:19]
	v_add_f64 v[8:9], v[30:31], 0
	v_add_f64 v[2:3], v[2:3], v[4:5]
	v_fmac_f64_e32 v[34:35], v[12:13], v[24:25]
	v_add_f64 v[8:9], v[8:9], v[32:33]
	v_add_f64 v[2:3], v[2:3], v[6:7]
	;; [unrolled: 1-line block ×3, first 2 shown]
	s_waitcnt vmcnt(2)
	v_add_f64 v[2:3], v[26:27], -v[2:3]
	s_waitcnt vmcnt(0)
	v_add_f64 v[4:5], v[28:29], -v[4:5]
	buffer_store_dword v2, off, s[0:3], 0 offset:848
	buffer_store_dword v3, off, s[0:3], 0 offset:852
	;; [unrolled: 1-line block ×4, first 2 shown]
	s_and_saveexec_b64 s[4:5], vcc
	s_cbranch_execz .LBB55_247
; %bb.246:
	v_accvgpr_read_b32 v5, a116
	buffer_load_dword v2, v5, s[0:3], 0 offen
	buffer_load_dword v3, v5, s[0:3], 0 offen offset:4
	buffer_load_dword v4, v5, s[0:3], 0 offen offset:8
	s_nop 0
	buffer_load_dword v5, v5, s[0:3], 0 offen offset:12
	v_accvgpr_read_b32 v6, a167
	buffer_store_dword v1, off, s[0:3], 0 offset:832
	buffer_store_dword v1, off, s[0:3], 0 offset:836
	;; [unrolled: 1-line block ×4, first 2 shown]
	s_waitcnt vmcnt(4)
	ds_write_b128 v6, v[2:5]
.LBB55_247:
	s_or_b64 exec, exec, s[4:5]
	s_waitcnt lgkmcnt(0)
	; wave barrier
	s_waitcnt lgkmcnt(0)
	buffer_load_dword v18, off, s[0:3], 0 offset:856
	buffer_load_dword v19, off, s[0:3], 0 offset:860
	;; [unrolled: 1-line block ×20, first 2 shown]
	ds_read_b128 v[2:5], v1 offset:1728
	ds_read_b128 v[6:9], v1 offset:1744
	;; [unrolled: 1-line block ×4, first 2 shown]
	v_cmp_lt_u32_e32 vcc, 50, v0
	s_waitcnt vmcnt(18) lgkmcnt(3)
	v_mul_f64 v[38:39], v[2:3], v[18:19]
	v_mul_f64 v[18:19], v[4:5], v[18:19]
	s_waitcnt vmcnt(16) lgkmcnt(2)
	v_mul_f64 v[40:41], v[6:7], v[20:21]
	v_mul_f64 v[20:21], v[8:9], v[20:21]
	;; [unrolled: 3-line block ×4, first 2 shown]
	s_waitcnt vmcnt(10)
	v_fma_f64 v[2:3], v[2:3], v[26:27], -v[18:19]
	v_fmac_f64_e32 v[38:39], v[4:5], v[26:27]
	s_waitcnt vmcnt(8)
	v_fma_f64 v[4:5], v[6:7], v[28:29], -v[20:21]
	v_add_f64 v[2:3], v[2:3], 0
	v_fmac_f64_e32 v[40:41], v[8:9], v[28:29]
	s_waitcnt vmcnt(6)
	v_fma_f64 v[6:7], v[10:11], v[30:31], -v[22:23]
	v_add_f64 v[10:11], v[38:39], 0
	v_add_f64 v[2:3], v[2:3], v[4:5]
	v_fmac_f64_e32 v[42:43], v[12:13], v[30:31]
	s_waitcnt vmcnt(4)
	v_fma_f64 v[8:9], v[14:15], v[32:33], -v[24:25]
	v_add_f64 v[10:11], v[10:11], v[40:41]
	v_add_f64 v[2:3], v[2:3], v[6:7]
	v_fmac_f64_e32 v[44:45], v[16:17], v[32:33]
	v_add_f64 v[4:5], v[10:11], v[42:43]
	v_add_f64 v[2:3], v[2:3], v[8:9]
	;; [unrolled: 1-line block ×3, first 2 shown]
	s_waitcnt vmcnt(2)
	v_add_f64 v[2:3], v[34:35], -v[2:3]
	s_waitcnt vmcnt(0)
	v_add_f64 v[4:5], v[36:37], -v[4:5]
	buffer_store_dword v2, off, s[0:3], 0 offset:832
	buffer_store_dword v3, off, s[0:3], 0 offset:836
	;; [unrolled: 1-line block ×4, first 2 shown]
	s_and_saveexec_b64 s[4:5], vcc
	s_cbranch_execz .LBB55_249
; %bb.248:
	v_accvgpr_read_b32 v1, a117
	buffer_load_dword v2, v1, s[0:3], 0 offen
	buffer_load_dword v3, v1, s[0:3], 0 offen offset:4
	buffer_load_dword v4, v1, s[0:3], 0 offen offset:8
	;; [unrolled: 1-line block ×3, first 2 shown]
	v_mov_b32_e32 v1, 0
	v_accvgpr_read_b32 v6, a167
	buffer_store_dword v1, off, s[0:3], 0 offset:816
	buffer_store_dword v1, off, s[0:3], 0 offset:820
	;; [unrolled: 1-line block ×4, first 2 shown]
	s_waitcnt vmcnt(4)
	ds_write_b128 v6, v[2:5]
.LBB55_249:
	s_or_b64 exec, exec, s[4:5]
	s_waitcnt lgkmcnt(0)
	; wave barrier
	s_waitcnt lgkmcnt(0)
	buffer_load_dword v22, off, s[0:3], 0 offset:840
	buffer_load_dword v23, off, s[0:3], 0 offset:844
	;; [unrolled: 1-line block ×24, first 2 shown]
	v_mov_b32_e32 v1, 0
	ds_read_b128 v[2:5], v1 offset:1712
	ds_read_b128 v[6:9], v1 offset:1728
	ds_read_b128 v[10:13], v1 offset:1744
	ds_read_b128 v[14:17], v1 offset:1760
	ds_read_b128 v[18:21], v1 offset:1776
	v_cmp_lt_u32_e32 vcc, 49, v0
	s_waitcnt vmcnt(22) lgkmcnt(4)
	v_mul_f64 v[46:47], v[2:3], v[22:23]
	v_mul_f64 v[22:23], v[4:5], v[22:23]
	s_waitcnt vmcnt(20) lgkmcnt(3)
	v_mul_f64 v[48:49], v[6:7], v[24:25]
	v_mul_f64 v[24:25], v[8:9], v[24:25]
	;; [unrolled: 3-line block ×4, first 2 shown]
	s_waitcnt vmcnt(13) lgkmcnt(0)
	v_mul_f64 v[54:55], v[18:19], v[28:29]
	s_waitcnt vmcnt(11)
	v_fma_f64 v[2:3], v[2:3], v[34:35], -v[22:23]
	v_fmac_f64_e32 v[46:47], v[4:5], v[34:35]
	s_waitcnt vmcnt(9)
	v_fma_f64 v[4:5], v[6:7], v[36:37], -v[24:25]
	v_add_f64 v[2:3], v[2:3], 0
	v_fmac_f64_e32 v[48:49], v[8:9], v[36:37]
	s_waitcnt vmcnt(7)
	v_fmac_f64_e32 v[50:51], v[12:13], v[38:39]
	v_fma_f64 v[6:7], v[10:11], v[38:39], -v[26:27]
	v_add_f64 v[12:13], v[46:47], 0
	v_add_f64 v[2:3], v[2:3], v[4:5]
	v_mul_f64 v[28:29], v[20:21], v[28:29]
	s_waitcnt vmcnt(5)
	v_fma_f64 v[8:9], v[14:15], v[40:41], -v[32:33]
	v_add_f64 v[12:13], v[12:13], v[48:49]
	v_add_f64 v[2:3], v[2:3], v[6:7]
	v_fmac_f64_e32 v[52:53], v[16:17], v[40:41]
	s_waitcnt vmcnt(4)
	v_fma_f64 v[10:11], v[18:19], v[30:31], -v[28:29]
	v_add_f64 v[4:5], v[12:13], v[50:51]
	v_add_f64 v[2:3], v[2:3], v[8:9]
	v_fmac_f64_e32 v[54:55], v[20:21], v[30:31]
	v_add_f64 v[4:5], v[4:5], v[52:53]
	v_add_f64 v[2:3], v[2:3], v[10:11]
	v_add_f64 v[4:5], v[4:5], v[54:55]
	s_waitcnt vmcnt(2)
	v_add_f64 v[2:3], v[42:43], -v[2:3]
	s_waitcnt vmcnt(0)
	v_add_f64 v[4:5], v[44:45], -v[4:5]
	buffer_store_dword v3, off, s[0:3], 0 offset:820
	buffer_store_dword v2, off, s[0:3], 0 offset:816
	;; [unrolled: 1-line block ×4, first 2 shown]
	s_and_saveexec_b64 s[4:5], vcc
	s_cbranch_execz .LBB55_251
; %bb.250:
	v_accvgpr_read_b32 v5, a118
	buffer_load_dword v2, v5, s[0:3], 0 offen
	buffer_load_dword v3, v5, s[0:3], 0 offen offset:4
	buffer_load_dword v4, v5, s[0:3], 0 offen offset:8
	s_nop 0
	buffer_load_dword v5, v5, s[0:3], 0 offen offset:12
	v_accvgpr_read_b32 v6, a167
	buffer_store_dword v1, off, s[0:3], 0 offset:800
	buffer_store_dword v1, off, s[0:3], 0 offset:804
	;; [unrolled: 1-line block ×4, first 2 shown]
	s_waitcnt vmcnt(4)
	ds_write_b128 v6, v[2:5]
.LBB55_251:
	s_or_b64 exec, exec, s[4:5]
	s_waitcnt lgkmcnt(0)
	; wave barrier
	s_waitcnt lgkmcnt(0)
	buffer_load_dword v26, off, s[0:3], 0 offset:824
	buffer_load_dword v27, off, s[0:3], 0 offset:828
	;; [unrolled: 1-line block ×28, first 2 shown]
	ds_read_b128 v[2:5], v1 offset:1696
	ds_read_b128 v[6:9], v1 offset:1712
	;; [unrolled: 1-line block ×6, first 2 shown]
	v_cmp_lt_u32_e32 vcc, 48, v0
	s_waitcnt vmcnt(26) lgkmcnt(5)
	v_mul_f64 v[54:55], v[2:3], v[26:27]
	v_mul_f64 v[26:27], v[4:5], v[26:27]
	s_waitcnt vmcnt(24) lgkmcnt(4)
	v_mul_f64 v[56:57], v[6:7], v[28:29]
	v_mul_f64 v[28:29], v[8:9], v[28:29]
	;; [unrolled: 3-line block ×4, first 2 shown]
	s_waitcnt vmcnt(17)
	v_mul_f64 v[60:61], v[14:15], v[36:37]
	v_mul_f64 v[36:37], v[16:17], v[36:37]
	s_waitcnt vmcnt(15) lgkmcnt(0)
	v_mul_f64 v[64:65], v[22:23], v[38:39]
	v_mul_f64 v[38:39], v[24:25], v[38:39]
	s_waitcnt vmcnt(14)
	v_fmac_f64_e32 v[62:63], v[20:21], v[34:35]
	s_waitcnt vmcnt(12)
	v_fma_f64 v[2:3], v[2:3], v[40:41], -v[26:27]
	v_fmac_f64_e32 v[54:55], v[4:5], v[40:41]
	s_waitcnt vmcnt(10)
	v_fma_f64 v[4:5], v[6:7], v[42:43], -v[28:29]
	v_add_f64 v[2:3], v[2:3], 0
	v_fmac_f64_e32 v[56:57], v[8:9], v[42:43]
	s_waitcnt vmcnt(8)
	v_fma_f64 v[6:7], v[10:11], v[44:45], -v[30:31]
	s_waitcnt vmcnt(6)
	v_fma_f64 v[8:9], v[14:15], v[46:47], -v[36:37]
	v_add_f64 v[14:15], v[54:55], 0
	v_add_f64 v[2:3], v[2:3], v[4:5]
	v_fmac_f64_e32 v[58:59], v[12:13], v[44:45]
	v_add_f64 v[14:15], v[14:15], v[56:57]
	v_add_f64 v[2:3], v[2:3], v[6:7]
	v_fmac_f64_e32 v[60:61], v[16:17], v[46:47]
	v_fma_f64 v[10:11], v[18:19], v[34:35], -v[32:33]
	v_add_f64 v[4:5], v[14:15], v[58:59]
	v_add_f64 v[2:3], v[2:3], v[8:9]
	s_waitcnt vmcnt(4)
	v_fma_f64 v[12:13], v[22:23], v[48:49], -v[38:39]
	v_add_f64 v[4:5], v[4:5], v[60:61]
	v_add_f64 v[2:3], v[2:3], v[10:11]
	v_fmac_f64_e32 v[64:65], v[24:25], v[48:49]
	v_add_f64 v[4:5], v[4:5], v[62:63]
	v_add_f64 v[2:3], v[2:3], v[12:13]
	;; [unrolled: 1-line block ×3, first 2 shown]
	s_waitcnt vmcnt(2)
	v_add_f64 v[2:3], v[50:51], -v[2:3]
	s_waitcnt vmcnt(0)
	v_add_f64 v[4:5], v[52:53], -v[4:5]
	buffer_store_dword v3, off, s[0:3], 0 offset:804
	buffer_store_dword v2, off, s[0:3], 0 offset:800
	;; [unrolled: 1-line block ×4, first 2 shown]
	s_and_saveexec_b64 s[4:5], vcc
	s_cbranch_execz .LBB55_253
; %bb.252:
	v_accvgpr_read_b32 v1, a119
	buffer_load_dword v2, v1, s[0:3], 0 offen
	buffer_load_dword v3, v1, s[0:3], 0 offen offset:4
	buffer_load_dword v4, v1, s[0:3], 0 offen offset:8
	;; [unrolled: 1-line block ×3, first 2 shown]
	v_mov_b32_e32 v1, 0
	v_accvgpr_read_b32 v6, a167
	buffer_store_dword v1, off, s[0:3], 0 offset:784
	buffer_store_dword v1, off, s[0:3], 0 offset:788
	;; [unrolled: 1-line block ×4, first 2 shown]
	s_waitcnt vmcnt(4)
	ds_write_b128 v6, v[2:5]
.LBB55_253:
	s_or_b64 exec, exec, s[4:5]
	s_waitcnt lgkmcnt(0)
	; wave barrier
	s_waitcnt lgkmcnt(0)
	buffer_load_dword v30, off, s[0:3], 0 offset:808
	buffer_load_dword v31, off, s[0:3], 0 offset:812
	;; [unrolled: 1-line block ×32, first 2 shown]
	v_mov_b32_e32 v1, 0
	ds_read_b128 v[2:5], v1 offset:1680
	ds_read_b128 v[6:9], v1 offset:1696
	;; [unrolled: 1-line block ×7, first 2 shown]
	v_cmp_lt_u32_e32 vcc, 47, v0
	s_waitcnt vmcnt(30) lgkmcnt(6)
	v_mul_f64 v[62:63], v[2:3], v[30:31]
	v_mul_f64 v[30:31], v[4:5], v[30:31]
	s_waitcnt vmcnt(28) lgkmcnt(5)
	v_mul_f64 v[64:65], v[6:7], v[32:33]
	v_mul_f64 v[32:33], v[8:9], v[32:33]
	;; [unrolled: 3-line block ×4, first 2 shown]
	s_waitcnt vmcnt(21)
	v_mul_f64 v[68:69], v[14:15], v[40:41]
	v_mul_f64 v[40:41], v[16:17], v[40:41]
	s_waitcnt vmcnt(17) lgkmcnt(1)
	v_mul_f64 v[72:73], v[22:23], v[46:47]
	v_mul_f64 v[46:47], v[24:25], v[46:47]
	s_waitcnt vmcnt(16) lgkmcnt(0)
	v_mul_f64 v[74:75], v[26:27], v[42:43]
	v_mul_f64 v[42:43], v[28:29], v[42:43]
	s_waitcnt vmcnt(13)
	v_fma_f64 v[2:3], v[2:3], v[48:49], -v[30:31]
	v_fmac_f64_e32 v[62:63], v[4:5], v[48:49]
	s_waitcnt vmcnt(11)
	v_fma_f64 v[4:5], v[6:7], v[50:51], -v[32:33]
	v_add_f64 v[2:3], v[2:3], 0
	v_fmac_f64_e32 v[64:65], v[8:9], v[50:51]
	s_waitcnt vmcnt(9)
	v_fma_f64 v[6:7], v[10:11], v[52:53], -v[34:35]
	s_waitcnt vmcnt(7)
	v_fmac_f64_e32 v[68:69], v[16:17], v[54:55]
	v_add_f64 v[16:17], v[62:63], 0
	v_add_f64 v[2:3], v[2:3], v[4:5]
	v_fmac_f64_e32 v[66:67], v[12:13], v[52:53]
	v_fma_f64 v[8:9], v[14:15], v[54:55], -v[40:41]
	v_add_f64 v[16:17], v[16:17], v[64:65]
	v_add_f64 v[2:3], v[2:3], v[6:7]
	v_fma_f64 v[10:11], v[18:19], v[38:39], -v[36:37]
	v_add_f64 v[4:5], v[16:17], v[66:67]
	v_add_f64 v[2:3], v[2:3], v[8:9]
	v_fmac_f64_e32 v[70:71], v[20:21], v[38:39]
	s_waitcnt vmcnt(5)
	v_fma_f64 v[12:13], v[22:23], v[56:57], -v[46:47]
	v_add_f64 v[4:5], v[4:5], v[68:69]
	v_add_f64 v[2:3], v[2:3], v[10:11]
	v_fmac_f64_e32 v[72:73], v[24:25], v[56:57]
	s_waitcnt vmcnt(4)
	v_fma_f64 v[14:15], v[26:27], v[44:45], -v[42:43]
	v_add_f64 v[4:5], v[4:5], v[70:71]
	v_add_f64 v[2:3], v[2:3], v[12:13]
	v_fmac_f64_e32 v[74:75], v[28:29], v[44:45]
	v_add_f64 v[4:5], v[4:5], v[72:73]
	v_add_f64 v[2:3], v[2:3], v[14:15]
	;; [unrolled: 1-line block ×3, first 2 shown]
	s_waitcnt vmcnt(2)
	v_add_f64 v[2:3], v[58:59], -v[2:3]
	s_waitcnt vmcnt(0)
	v_add_f64 v[4:5], v[60:61], -v[4:5]
	buffer_store_dword v3, off, s[0:3], 0 offset:788
	buffer_store_dword v2, off, s[0:3], 0 offset:784
	buffer_store_dword v5, off, s[0:3], 0 offset:796
	buffer_store_dword v4, off, s[0:3], 0 offset:792
	s_and_saveexec_b64 s[4:5], vcc
	s_cbranch_execz .LBB55_255
; %bb.254:
	v_accvgpr_read_b32 v5, a120
	buffer_load_dword v2, v5, s[0:3], 0 offen
	buffer_load_dword v3, v5, s[0:3], 0 offen offset:4
	buffer_load_dword v4, v5, s[0:3], 0 offen offset:8
	s_nop 0
	buffer_load_dword v5, v5, s[0:3], 0 offen offset:12
	v_accvgpr_read_b32 v6, a167
	buffer_store_dword v1, off, s[0:3], 0 offset:768
	buffer_store_dword v1, off, s[0:3], 0 offset:772
	;; [unrolled: 1-line block ×4, first 2 shown]
	s_waitcnt vmcnt(4)
	ds_write_b128 v6, v[2:5]
.LBB55_255:
	s_or_b64 exec, exec, s[4:5]
	s_waitcnt lgkmcnt(0)
	; wave barrier
	s_waitcnt lgkmcnt(0)
	buffer_load_dword v34, off, s[0:3], 0 offset:792
	buffer_load_dword v35, off, s[0:3], 0 offset:796
	;; [unrolled: 1-line block ×36, first 2 shown]
	ds_read_b128 v[2:5], v1 offset:1664
	ds_read_b128 v[6:9], v1 offset:1680
	;; [unrolled: 1-line block ×8, first 2 shown]
	v_cmp_lt_u32_e32 vcc, 46, v0
	s_waitcnt vmcnt(34) lgkmcnt(7)
	v_mul_f64 v[70:71], v[2:3], v[34:35]
	v_mul_f64 v[34:35], v[4:5], v[34:35]
	s_waitcnt vmcnt(32) lgkmcnt(6)
	v_mul_f64 v[72:73], v[6:7], v[36:37]
	v_mul_f64 v[36:37], v[8:9], v[36:37]
	;; [unrolled: 3-line block ×4, first 2 shown]
	s_waitcnt vmcnt(25)
	v_mul_f64 v[76:77], v[14:15], v[44:45]
	v_mul_f64 v[44:45], v[16:17], v[44:45]
	s_waitcnt vmcnt(23) lgkmcnt(1)
	v_mul_f64 v[82:83], v[26:27], v[46:47]
	v_mul_f64 v[46:47], v[28:29], v[46:47]
	s_waitcnt vmcnt(20)
	v_mul_f64 v[80:81], v[22:23], v[50:51]
	v_mul_f64 v[50:51], v[24:25], v[50:51]
	s_waitcnt vmcnt(18) lgkmcnt(0)
	v_mul_f64 v[84:85], v[30:31], v[52:53]
	s_waitcnt vmcnt(17)
	v_fmac_f64_e32 v[78:79], v[20:21], v[42:43]
	s_waitcnt vmcnt(16)
	v_fmac_f64_e32 v[82:83], v[28:29], v[48:49]
	s_waitcnt vmcnt(14)
	v_fma_f64 v[2:3], v[2:3], v[54:55], -v[34:35]
	v_fmac_f64_e32 v[70:71], v[4:5], v[54:55]
	s_waitcnt vmcnt(12)
	v_fma_f64 v[4:5], v[6:7], v[56:57], -v[36:37]
	v_add_f64 v[2:3], v[2:3], 0
	v_fmac_f64_e32 v[72:73], v[8:9], v[56:57]
	s_waitcnt vmcnt(10)
	v_fma_f64 v[6:7], v[10:11], v[58:59], -v[38:39]
	s_waitcnt vmcnt(8)
	v_fmac_f64_e32 v[76:77], v[16:17], v[60:61]
	v_add_f64 v[16:17], v[70:71], 0
	v_add_f64 v[2:3], v[2:3], v[4:5]
	v_fmac_f64_e32 v[74:75], v[12:13], v[58:59]
	v_fma_f64 v[8:9], v[14:15], v[60:61], -v[44:45]
	v_add_f64 v[16:17], v[16:17], v[72:73]
	v_add_f64 v[2:3], v[2:3], v[6:7]
	v_fma_f64 v[10:11], v[18:19], v[42:43], -v[40:41]
	v_add_f64 v[4:5], v[16:17], v[74:75]
	v_add_f64 v[2:3], v[2:3], v[8:9]
	s_waitcnt vmcnt(6)
	v_fma_f64 v[12:13], v[22:23], v[62:63], -v[50:51]
	v_add_f64 v[4:5], v[4:5], v[76:77]
	v_add_f64 v[2:3], v[2:3], v[10:11]
	v_fmac_f64_e32 v[80:81], v[24:25], v[62:63]
	v_fma_f64 v[14:15], v[26:27], v[48:49], -v[46:47]
	v_add_f64 v[4:5], v[4:5], v[78:79]
	v_add_f64 v[2:3], v[2:3], v[12:13]
	v_mul_f64 v[6:7], v[32:33], v[52:53]
	v_add_f64 v[4:5], v[4:5], v[80:81]
	v_add_f64 v[2:3], v[2:3], v[14:15]
	s_waitcnt vmcnt(4)
	v_fma_f64 v[6:7], v[30:31], v[64:65], -v[6:7]
	v_fmac_f64_e32 v[84:85], v[32:33], v[64:65]
	v_add_f64 v[4:5], v[4:5], v[82:83]
	v_add_f64 v[2:3], v[2:3], v[6:7]
	;; [unrolled: 1-line block ×3, first 2 shown]
	s_waitcnt vmcnt(2)
	v_add_f64 v[2:3], v[66:67], -v[2:3]
	s_waitcnt vmcnt(0)
	v_add_f64 v[4:5], v[68:69], -v[4:5]
	buffer_store_dword v3, off, s[0:3], 0 offset:772
	buffer_store_dword v2, off, s[0:3], 0 offset:768
	;; [unrolled: 1-line block ×4, first 2 shown]
	s_and_saveexec_b64 s[4:5], vcc
	s_cbranch_execz .LBB55_257
; %bb.256:
	v_accvgpr_read_b32 v1, a121
	buffer_load_dword v2, v1, s[0:3], 0 offen
	buffer_load_dword v3, v1, s[0:3], 0 offen offset:4
	buffer_load_dword v4, v1, s[0:3], 0 offen offset:8
	buffer_load_dword v5, v1, s[0:3], 0 offen offset:12
	v_mov_b32_e32 v1, 0
	v_accvgpr_read_b32 v6, a167
	buffer_store_dword v1, off, s[0:3], 0 offset:752
	buffer_store_dword v1, off, s[0:3], 0 offset:756
	;; [unrolled: 1-line block ×4, first 2 shown]
	s_waitcnt vmcnt(4)
	ds_write_b128 v6, v[2:5]
.LBB55_257:
	s_or_b64 exec, exec, s[4:5]
	v_mov_b32_e32 v1, 0
	s_waitcnt lgkmcnt(0)
	; wave barrier
	s_waitcnt lgkmcnt(0)
	ds_read_b128 v[18:21], v1 offset:1648
	ds_read_b128 v[14:17], v1 offset:1664
	;; [unrolled: 1-line block ×4, first 2 shown]
	buffer_load_dword v40, off, s[0:3], 0 offset:752
	buffer_load_dword v41, off, s[0:3], 0 offset:756
	buffer_load_dword v38, off, s[0:3], 0 offset:760
	buffer_load_dword v39, off, s[0:3], 0 offset:764
	buffer_load_dword v44, off, s[0:3], 0 offset:768
	buffer_load_dword v45, off, s[0:3], 0 offset:772
	buffer_load_dword v56, off, s[0:3], 0 offset:776
	buffer_load_dword v57, off, s[0:3], 0 offset:780
	buffer_load_dword v50, off, s[0:3], 0 offset:784
	buffer_load_dword v51, off, s[0:3], 0 offset:788
	buffer_load_dword v54, off, s[0:3], 0 offset:792
	buffer_load_dword v55, off, s[0:3], 0 offset:796
	buffer_load_dword v48, off, s[0:3], 0 offset:800
	buffer_load_dword v49, off, s[0:3], 0 offset:804
	buffer_load_dword v52, off, s[0:3], 0 offset:808
	buffer_load_dword v53, off, s[0:3], 0 offset:812
	buffer_load_dword v47, off, s[0:3], 0 offset:820
	buffer_load_dword v46, off, s[0:3], 0 offset:816
	buffer_load_dword v59, off, s[0:3], 0 offset:828
	buffer_load_dword v58, off, s[0:3], 0 offset:824
	v_cmp_lt_u32_e32 vcc, 45, v0
	s_waitcnt vmcnt(12) lgkmcnt(3)
	v_mul_f64 v[6:7], v[18:19], v[56:57]
	v_fmac_f64_e32 v[6:7], v[20:21], v[44:45]
	v_add_f64 v[6:7], v[6:7], 0
	v_mul_f64 v[20:21], v[20:21], v[56:57]
	s_waitcnt vmcnt(8) lgkmcnt(2)
	v_mul_f64 v[8:9], v[14:15], v[54:55]
	v_fmac_f64_e32 v[8:9], v[16:17], v[50:51]
	v_add_f64 v[6:7], v[6:7], v[8:9]
	v_fma_f64 v[18:19], v[18:19], v[44:45], -v[20:21]
	s_waitcnt vmcnt(4) lgkmcnt(1)
	v_mul_f64 v[8:9], v[10:11], v[52:53]
	v_fmac_f64_e32 v[8:9], v[12:13], v[48:49]
	v_add_f64 v[6:7], v[6:7], v[8:9]
	s_waitcnt vmcnt(0) lgkmcnt(0)
	v_mul_f64 v[8:9], v[2:3], v[58:59]
	v_fmac_f64_e32 v[8:9], v[4:5], v[46:47]
	v_add_f64 v[22:23], v[6:7], v[8:9]
	ds_read_b128 v[6:9], v1 offset:1712
	buffer_load_dword v43, off, s[0:3], 0 offset:836
	buffer_load_dword v42, off, s[0:3], 0 offset:832
	;; [unrolled: 1-line block ×4, first 2 shown]
	v_mul_f64 v[16:17], v[16:17], v[54:55]
	v_add_f64 v[18:19], v[18:19], 0
	v_fma_f64 v[14:15], v[14:15], v[50:51], -v[16:17]
	v_mul_f64 v[12:13], v[12:13], v[52:53]
	v_add_f64 v[14:15], v[18:19], v[14:15]
	v_fma_f64 v[10:11], v[10:11], v[48:49], -v[12:13]
	;; [unrolled: 3-line block ×3, first 2 shown]
	v_add_f64 v[2:3], v[10:11], v[2:3]
	s_waitcnt vmcnt(0) lgkmcnt(0)
	v_mul_f64 v[24:25], v[6:7], v[60:61]
	v_fmac_f64_e32 v[24:25], v[8:9], v[42:43]
	v_add_f64 v[26:27], v[22:23], v[24:25]
	ds_read_b128 v[22:25], v1 offset:1728
	buffer_load_dword v63, off, s[0:3], 0 offset:852
	buffer_load_dword v62, off, s[0:3], 0 offset:848
	buffer_load_dword v65, off, s[0:3], 0 offset:860
	buffer_load_dword v64, off, s[0:3], 0 offset:856
	v_mul_f64 v[4:5], v[8:9], v[60:61]
	v_fma_f64 v[4:5], v[6:7], v[42:43], -v[4:5]
	v_add_f64 v[2:3], v[2:3], v[4:5]
	s_waitcnt vmcnt(0) lgkmcnt(0)
	v_mul_f64 v[28:29], v[22:23], v[64:65]
	v_fmac_f64_e32 v[28:29], v[24:25], v[62:63]
	v_add_f64 v[30:31], v[26:27], v[28:29]
	ds_read_b128 v[26:29], v1 offset:1744
	buffer_load_dword v67, off, s[0:3], 0 offset:868
	buffer_load_dword v66, off, s[0:3], 0 offset:864
	buffer_load_dword v69, off, s[0:3], 0 offset:876
	buffer_load_dword v68, off, s[0:3], 0 offset:872
	v_mul_f64 v[4:5], v[24:25], v[64:65]
	v_fma_f64 v[4:5], v[22:23], v[62:63], -v[4:5]
	;; [unrolled: 12-line block ×4, first 2 shown]
	v_add_f64 v[2:3], v[2:3], v[4:5]
	s_waitcnt vmcnt(0) lgkmcnt(0)
	v_mul_f64 v[4:5], v[36:37], v[76:77]
	v_mul_f64 v[80:81], v[34:35], v[76:77]
	v_fma_f64 v[4:5], v[34:35], v[74:75], -v[4:5]
	v_fmac_f64_e32 v[80:81], v[36:37], v[74:75]
	v_add_f64 v[2:3], v[2:3], v[4:5]
	v_add_f64 v[78:79], v[78:79], v[80:81]
	v_add_f64 v[2:3], v[40:41], -v[2:3]
	v_add_f64 v[4:5], v[38:39], -v[78:79]
	buffer_store_dword v3, off, s[0:3], 0 offset:756
	buffer_store_dword v2, off, s[0:3], 0 offset:752
	;; [unrolled: 1-line block ×4, first 2 shown]
	s_and_saveexec_b64 s[4:5], vcc
	s_cbranch_execz .LBB55_259
; %bb.258:
	v_accvgpr_read_b32 v5, a122
	buffer_load_dword v2, v5, s[0:3], 0 offen
	buffer_load_dword v3, v5, s[0:3], 0 offen offset:4
	buffer_load_dword v4, v5, s[0:3], 0 offen offset:8
	s_nop 0
	buffer_load_dword v5, v5, s[0:3], 0 offen offset:12
	v_accvgpr_read_b32 v6, a167
	buffer_store_dword v1, off, s[0:3], 0 offset:736
	buffer_store_dword v1, off, s[0:3], 0 offset:740
	;; [unrolled: 1-line block ×4, first 2 shown]
	s_waitcnt vmcnt(4)
	ds_write_b128 v6, v[2:5]
.LBB55_259:
	s_or_b64 exec, exec, s[4:5]
	s_waitcnt lgkmcnt(0)
	; wave barrier
	s_waitcnt lgkmcnt(0)
	ds_read_b128 v[18:21], v1 offset:1632
	ds_read_b128 v[10:13], v1 offset:1648
	;; [unrolled: 1-line block ×4, first 2 shown]
	buffer_load_dword v44, off, s[0:3], 0 offset:736
	buffer_load_dword v45, off, s[0:3], 0 offset:740
	;; [unrolled: 1-line block ×20, first 2 shown]
	v_cmp_lt_u32_e32 vcc, 44, v0
	s_waitcnt vmcnt(12) lgkmcnt(3)
	v_mul_f64 v[14:15], v[18:19], v[62:63]
	v_fmac_f64_e32 v[14:15], v[20:21], v[58:59]
	v_add_f64 v[14:15], v[14:15], 0
	v_mul_f64 v[20:21], v[20:21], v[62:63]
	s_waitcnt vmcnt(8) lgkmcnt(2)
	v_mul_f64 v[16:17], v[10:11], v[60:61]
	v_fmac_f64_e32 v[16:17], v[12:13], v[56:57]
	v_add_f64 v[14:15], v[14:15], v[16:17]
	v_fma_f64 v[18:19], v[18:19], v[58:59], -v[20:21]
	s_waitcnt vmcnt(4) lgkmcnt(1)
	v_mul_f64 v[16:17], v[6:7], v[48:49]
	v_fmac_f64_e32 v[16:17], v[8:9], v[46:47]
	v_add_f64 v[14:15], v[14:15], v[16:17]
	s_waitcnt vmcnt(0) lgkmcnt(0)
	v_mul_f64 v[16:17], v[2:3], v[52:53]
	v_fmac_f64_e32 v[16:17], v[4:5], v[50:51]
	v_add_f64 v[22:23], v[14:15], v[16:17]
	ds_read_b128 v[14:17], v1 offset:1696
	buffer_load_dword v55, off, s[0:3], 0 offset:820
	buffer_load_dword v54, off, s[0:3], 0 offset:816
	;; [unrolled: 1-line block ×4, first 2 shown]
	v_mul_f64 v[12:13], v[12:13], v[60:61]
	v_add_f64 v[18:19], v[18:19], 0
	v_fma_f64 v[10:11], v[10:11], v[56:57], -v[12:13]
	v_mul_f64 v[8:9], v[8:9], v[48:49]
	v_add_f64 v[10:11], v[18:19], v[10:11]
	v_fma_f64 v[6:7], v[6:7], v[46:47], -v[8:9]
	;; [unrolled: 3-line block ×3, first 2 shown]
	v_add_f64 v[2:3], v[6:7], v[2:3]
	s_waitcnt vmcnt(0) lgkmcnt(0)
	v_mul_f64 v[24:25], v[14:15], v[64:65]
	v_fmac_f64_e32 v[24:25], v[16:17], v[54:55]
	v_add_f64 v[26:27], v[22:23], v[24:25]
	ds_read_b128 v[22:25], v1 offset:1712
	buffer_load_dword v67, off, s[0:3], 0 offset:836
	buffer_load_dword v66, off, s[0:3], 0 offset:832
	buffer_load_dword v69, off, s[0:3], 0 offset:844
	buffer_load_dword v68, off, s[0:3], 0 offset:840
	v_mul_f64 v[4:5], v[16:17], v[64:65]
	v_fma_f64 v[4:5], v[14:15], v[54:55], -v[4:5]
	v_add_f64 v[2:3], v[2:3], v[4:5]
	s_waitcnt vmcnt(0) lgkmcnt(0)
	v_mul_f64 v[28:29], v[22:23], v[68:69]
	v_fmac_f64_e32 v[28:29], v[24:25], v[66:67]
	v_add_f64 v[30:31], v[26:27], v[28:29]
	ds_read_b128 v[26:29], v1 offset:1728
	buffer_load_dword v71, off, s[0:3], 0 offset:852
	buffer_load_dword v70, off, s[0:3], 0 offset:848
	buffer_load_dword v73, off, s[0:3], 0 offset:860
	buffer_load_dword v72, off, s[0:3], 0 offset:856
	v_mul_f64 v[4:5], v[24:25], v[68:69]
	v_fma_f64 v[4:5], v[22:23], v[66:67], -v[4:5]
	;; [unrolled: 12-line block ×5, first 2 shown]
	v_add_f64 v[2:3], v[2:3], v[4:5]
	s_waitcnt vmcnt(0) lgkmcnt(0)
	v_mul_f64 v[4:5], v[40:41], v[86:87]
	v_mul_f64 v[88:89], v[38:39], v[86:87]
	v_fma_f64 v[4:5], v[38:39], v[82:83], -v[4:5]
	v_fmac_f64_e32 v[88:89], v[40:41], v[82:83]
	v_add_f64 v[2:3], v[2:3], v[4:5]
	v_add_f64 v[84:85], v[84:85], v[88:89]
	v_add_f64 v[2:3], v[44:45], -v[2:3]
	v_add_f64 v[4:5], v[42:43], -v[84:85]
	buffer_store_dword v3, off, s[0:3], 0 offset:740
	buffer_store_dword v2, off, s[0:3], 0 offset:736
	;; [unrolled: 1-line block ×4, first 2 shown]
	s_and_saveexec_b64 s[4:5], vcc
	s_cbranch_execz .LBB55_261
; %bb.260:
	v_accvgpr_read_b32 v1, a123
	buffer_load_dword v2, v1, s[0:3], 0 offen
	buffer_load_dword v3, v1, s[0:3], 0 offen offset:4
	buffer_load_dword v4, v1, s[0:3], 0 offen offset:8
	;; [unrolled: 1-line block ×3, first 2 shown]
	v_mov_b32_e32 v1, 0
	v_accvgpr_read_b32 v6, a167
	buffer_store_dword v1, off, s[0:3], 0 offset:720
	buffer_store_dword v1, off, s[0:3], 0 offset:724
	;; [unrolled: 1-line block ×4, first 2 shown]
	s_waitcnt vmcnt(4)
	ds_write_b128 v6, v[2:5]
.LBB55_261:
	s_or_b64 exec, exec, s[4:5]
	v_mov_b32_e32 v1, 0
	s_waitcnt lgkmcnt(0)
	; wave barrier
	s_waitcnt lgkmcnt(0)
	ds_read_b128 v[14:17], v1 offset:1616
	ds_read_b128 v[10:13], v1 offset:1632
	;; [unrolled: 1-line block ×4, first 2 shown]
	buffer_load_dword v48, off, s[0:3], 0 offset:720
	buffer_load_dword v49, off, s[0:3], 0 offset:724
	;; [unrolled: 1-line block ×20, first 2 shown]
	v_cmp_lt_u32_e32 vcc, 43, v0
	s_waitcnt vmcnt(12) lgkmcnt(3)
	v_mul_f64 v[18:19], v[14:15], v[56:57]
	v_fmac_f64_e32 v[18:19], v[16:17], v[50:51]
	v_add_f64 v[18:19], v[18:19], 0
	v_mul_f64 v[16:17], v[16:17], v[56:57]
	s_waitcnt vmcnt(8) lgkmcnt(2)
	v_mul_f64 v[20:21], v[10:11], v[58:59]
	v_fmac_f64_e32 v[20:21], v[12:13], v[52:53]
	v_add_f64 v[18:19], v[18:19], v[20:21]
	v_fma_f64 v[14:15], v[14:15], v[50:51], -v[16:17]
	s_waitcnt vmcnt(4) lgkmcnt(1)
	v_mul_f64 v[20:21], v[6:7], v[60:61]
	v_fmac_f64_e32 v[20:21], v[8:9], v[54:55]
	v_add_f64 v[18:19], v[18:19], v[20:21]
	s_waitcnt vmcnt(0) lgkmcnt(0)
	v_mul_f64 v[20:21], v[2:3], v[64:65]
	v_fmac_f64_e32 v[20:21], v[4:5], v[62:63]
	v_add_f64 v[22:23], v[18:19], v[20:21]
	ds_read_b128 v[18:21], v1 offset:1680
	buffer_load_dword v67, off, s[0:3], 0 offset:804
	buffer_load_dword v66, off, s[0:3], 0 offset:800
	;; [unrolled: 1-line block ×4, first 2 shown]
	v_mul_f64 v[12:13], v[12:13], v[58:59]
	v_add_f64 v[14:15], v[14:15], 0
	v_fma_f64 v[10:11], v[10:11], v[52:53], -v[12:13]
	v_mul_f64 v[8:9], v[8:9], v[60:61]
	v_add_f64 v[10:11], v[14:15], v[10:11]
	v_fma_f64 v[6:7], v[6:7], v[54:55], -v[8:9]
	;; [unrolled: 3-line block ×3, first 2 shown]
	v_add_f64 v[2:3], v[6:7], v[2:3]
	s_waitcnt vmcnt(0) lgkmcnt(0)
	v_mul_f64 v[24:25], v[18:19], v[68:69]
	v_fmac_f64_e32 v[24:25], v[20:21], v[66:67]
	v_add_f64 v[26:27], v[22:23], v[24:25]
	ds_read_b128 v[22:25], v1 offset:1696
	buffer_load_dword v71, off, s[0:3], 0 offset:820
	buffer_load_dword v70, off, s[0:3], 0 offset:816
	buffer_load_dword v73, off, s[0:3], 0 offset:828
	buffer_load_dword v72, off, s[0:3], 0 offset:824
	v_mul_f64 v[4:5], v[20:21], v[68:69]
	v_fma_f64 v[4:5], v[18:19], v[66:67], -v[4:5]
	v_add_f64 v[2:3], v[2:3], v[4:5]
	s_waitcnt vmcnt(0) lgkmcnt(0)
	v_mul_f64 v[28:29], v[22:23], v[72:73]
	v_fmac_f64_e32 v[28:29], v[24:25], v[70:71]
	v_add_f64 v[30:31], v[26:27], v[28:29]
	ds_read_b128 v[26:29], v1 offset:1712
	buffer_load_dword v75, off, s[0:3], 0 offset:836
	buffer_load_dword v74, off, s[0:3], 0 offset:832
	buffer_load_dword v77, off, s[0:3], 0 offset:844
	buffer_load_dword v76, off, s[0:3], 0 offset:840
	v_mul_f64 v[4:5], v[24:25], v[72:73]
	v_fma_f64 v[4:5], v[22:23], v[70:71], -v[4:5]
	;; [unrolled: 12-line block ×6, first 2 shown]
	v_add_f64 v[2:3], v[2:3], v[4:5]
	s_waitcnt vmcnt(0) lgkmcnt(0)
	v_mul_f64 v[4:5], v[44:45], v[92:93]
	v_mul_f64 v[96:97], v[42:43], v[92:93]
	v_fma_f64 v[4:5], v[42:43], v[90:91], -v[4:5]
	v_fmac_f64_e32 v[96:97], v[44:45], v[90:91]
	v_add_f64 v[2:3], v[2:3], v[4:5]
	v_add_f64 v[94:95], v[94:95], v[96:97]
	v_add_f64 v[2:3], v[48:49], -v[2:3]
	v_add_f64 v[4:5], v[46:47], -v[94:95]
	buffer_store_dword v3, off, s[0:3], 0 offset:724
	buffer_store_dword v2, off, s[0:3], 0 offset:720
	;; [unrolled: 1-line block ×4, first 2 shown]
	s_and_saveexec_b64 s[4:5], vcc
	s_cbranch_execz .LBB55_263
; %bb.262:
	v_accvgpr_read_b32 v5, a124
	buffer_load_dword v2, v5, s[0:3], 0 offen
	buffer_load_dword v3, v5, s[0:3], 0 offen offset:4
	buffer_load_dword v4, v5, s[0:3], 0 offen offset:8
	s_nop 0
	buffer_load_dword v5, v5, s[0:3], 0 offen offset:12
	v_accvgpr_read_b32 v6, a167
	buffer_store_dword v1, off, s[0:3], 0 offset:704
	buffer_store_dword v1, off, s[0:3], 0 offset:708
	;; [unrolled: 1-line block ×4, first 2 shown]
	s_waitcnt vmcnt(4)
	ds_write_b128 v6, v[2:5]
.LBB55_263:
	s_or_b64 exec, exec, s[4:5]
	s_waitcnt lgkmcnt(0)
	; wave barrier
	s_waitcnt lgkmcnt(0)
	ds_read_b128 v[14:17], v1 offset:1600
	ds_read_b128 v[10:13], v1 offset:1616
	;; [unrolled: 1-line block ×4, first 2 shown]
	buffer_load_dword v48, off, s[0:3], 0 offset:704
	buffer_load_dword v49, off, s[0:3], 0 offset:708
	;; [unrolled: 1-line block ×20, first 2 shown]
	v_cmp_lt_u32_e32 vcc, 42, v0
	s_waitcnt vmcnt(12) lgkmcnt(3)
	v_mul_f64 v[18:19], v[14:15], v[56:57]
	v_fmac_f64_e32 v[18:19], v[16:17], v[50:51]
	v_add_f64 v[18:19], v[18:19], 0
	v_mul_f64 v[16:17], v[16:17], v[56:57]
	s_waitcnt vmcnt(8) lgkmcnt(2)
	v_mul_f64 v[20:21], v[10:11], v[58:59]
	v_fmac_f64_e32 v[20:21], v[12:13], v[52:53]
	v_add_f64 v[18:19], v[18:19], v[20:21]
	v_fma_f64 v[14:15], v[14:15], v[50:51], -v[16:17]
	s_waitcnt vmcnt(4) lgkmcnt(1)
	v_mul_f64 v[20:21], v[6:7], v[60:61]
	v_fmac_f64_e32 v[20:21], v[8:9], v[54:55]
	v_add_f64 v[18:19], v[18:19], v[20:21]
	s_waitcnt vmcnt(0) lgkmcnt(0)
	v_mul_f64 v[20:21], v[2:3], v[64:65]
	v_fmac_f64_e32 v[20:21], v[4:5], v[62:63]
	v_add_f64 v[22:23], v[18:19], v[20:21]
	ds_read_b128 v[18:21], v1 offset:1664
	buffer_load_dword v67, off, s[0:3], 0 offset:788
	buffer_load_dword v66, off, s[0:3], 0 offset:784
	;; [unrolled: 1-line block ×4, first 2 shown]
	v_mul_f64 v[12:13], v[12:13], v[58:59]
	v_add_f64 v[14:15], v[14:15], 0
	v_fma_f64 v[10:11], v[10:11], v[52:53], -v[12:13]
	v_mul_f64 v[8:9], v[8:9], v[60:61]
	v_add_f64 v[10:11], v[14:15], v[10:11]
	v_fma_f64 v[6:7], v[6:7], v[54:55], -v[8:9]
	v_mul_f64 v[4:5], v[4:5], v[64:65]
	v_add_f64 v[6:7], v[10:11], v[6:7]
	v_fma_f64 v[2:3], v[2:3], v[62:63], -v[4:5]
	v_add_f64 v[2:3], v[6:7], v[2:3]
	s_waitcnt vmcnt(0) lgkmcnt(0)
	v_mul_f64 v[24:25], v[18:19], v[68:69]
	v_fmac_f64_e32 v[24:25], v[20:21], v[66:67]
	v_add_f64 v[26:27], v[22:23], v[24:25]
	ds_read_b128 v[22:25], v1 offset:1680
	buffer_load_dword v71, off, s[0:3], 0 offset:804
	buffer_load_dword v70, off, s[0:3], 0 offset:800
	buffer_load_dword v73, off, s[0:3], 0 offset:812
	buffer_load_dword v72, off, s[0:3], 0 offset:808
	v_mul_f64 v[4:5], v[20:21], v[68:69]
	v_fma_f64 v[4:5], v[18:19], v[66:67], -v[4:5]
	v_add_f64 v[2:3], v[2:3], v[4:5]
	s_waitcnt vmcnt(0) lgkmcnt(0)
	v_mul_f64 v[28:29], v[22:23], v[72:73]
	v_fmac_f64_e32 v[28:29], v[24:25], v[70:71]
	v_add_f64 v[30:31], v[26:27], v[28:29]
	ds_read_b128 v[26:29], v1 offset:1696
	buffer_load_dword v75, off, s[0:3], 0 offset:820
	buffer_load_dword v74, off, s[0:3], 0 offset:816
	buffer_load_dword v77, off, s[0:3], 0 offset:828
	buffer_load_dword v76, off, s[0:3], 0 offset:824
	v_mul_f64 v[4:5], v[24:25], v[72:73]
	v_fma_f64 v[4:5], v[22:23], v[70:71], -v[4:5]
	;; [unrolled: 12-line block ×7, first 2 shown]
	v_add_f64 v[2:3], v[2:3], v[4:5]
	s_waitcnt vmcnt(0) lgkmcnt(0)
	v_mul_f64 v[4:5], v[96:97], v[102:103]
	v_mul_f64 v[104:105], v[94:95], v[102:103]
	v_fma_f64 v[4:5], v[94:95], v[100:101], -v[4:5]
	v_fmac_f64_e32 v[104:105], v[96:97], v[100:101]
	v_add_f64 v[2:3], v[2:3], v[4:5]
	v_add_f64 v[98:99], v[98:99], v[104:105]
	v_add_f64 v[2:3], v[48:49], -v[2:3]
	v_add_f64 v[4:5], v[46:47], -v[98:99]
	buffer_store_dword v3, off, s[0:3], 0 offset:708
	buffer_store_dword v2, off, s[0:3], 0 offset:704
	;; [unrolled: 1-line block ×4, first 2 shown]
	s_and_saveexec_b64 s[4:5], vcc
	s_cbranch_execz .LBB55_265
; %bb.264:
	v_accvgpr_read_b32 v1, a125
	buffer_load_dword v2, v1, s[0:3], 0 offen
	buffer_load_dword v3, v1, s[0:3], 0 offen offset:4
	buffer_load_dword v4, v1, s[0:3], 0 offen offset:8
	;; [unrolled: 1-line block ×3, first 2 shown]
	v_mov_b32_e32 v1, 0
	v_accvgpr_read_b32 v6, a167
	buffer_store_dword v1, off, s[0:3], 0 offset:688
	buffer_store_dword v1, off, s[0:3], 0 offset:692
	;; [unrolled: 1-line block ×4, first 2 shown]
	s_waitcnt vmcnt(4)
	ds_write_b128 v6, v[2:5]
.LBB55_265:
	s_or_b64 exec, exec, s[4:5]
	s_waitcnt lgkmcnt(0)
	; wave barrier
	s_waitcnt lgkmcnt(0)
	buffer_load_dword v2, off, s[0:3], 0 offset:704
	buffer_load_dword v3, off, s[0:3], 0 offset:708
	;; [unrolled: 1-line block ×56, first 2 shown]
	v_mov_b32_e32 v1, 0
	ds_read_b128 v[30:33], v1 offset:1584
	ds_read_b128 v[34:37], v1 offset:1600
	;; [unrolled: 1-line block ×9, first 2 shown]
	v_cmp_lt_u32_e32 vcc, 41, v0
	s_waitcnt vmcnt(52) lgkmcnt(8)
	v_mul_f64 v[62:63], v[30:31], v[6:7]
	v_fmac_f64_e32 v[62:63], v[32:33], v[2:3]
	v_mul_f64 v[6:7], v[32:33], v[6:7]
	v_add_f64 v[62:63], v[62:63], 0
	s_waitcnt vmcnt(48) lgkmcnt(7)
	v_mul_f64 v[64:65], v[34:35], v[8:9]
	v_fmac_f64_e32 v[64:65], v[36:37], v[4:5]
	s_waitcnt vmcnt(46) lgkmcnt(6)
	v_mul_f64 v[66:67], v[38:39], v[10:11]
	v_fma_f64 v[2:3], v[30:31], v[2:3], -v[6:7]
	v_mul_f64 v[6:7], v[36:37], v[8:9]
	s_waitcnt vmcnt(44) lgkmcnt(5)
	v_mul_f64 v[68:69], v[42:43], v[12:13]
	v_add_f64 v[62:63], v[62:63], v[64:65]
	v_add_f64 v[2:3], v[2:3], 0
	v_fma_f64 v[4:5], v[34:35], v[4:5], -v[6:7]
	v_add_f64 v[2:3], v[2:3], v[4:5]
	v_mul_f64 v[4:5], v[40:41], v[10:11]
	s_waitcnt vmcnt(37) lgkmcnt(4)
	v_mul_f64 v[70:71], v[46:47], v[20:21]
	s_waitcnt lgkmcnt(3)
	v_mul_f64 v[72:73], v[50:51], v[18:19]
	s_waitcnt vmcnt(35)
	v_fmac_f64_e32 v[70:71], v[48:49], v[22:23]
	s_waitcnt lgkmcnt(2)
	v_mul_f64 v[74:75], v[54:55], v[14:15]
	s_waitcnt vmcnt(33)
	v_fmac_f64_e32 v[66:67], v[40:41], v[28:29]
	v_add_f64 v[62:63], v[62:63], v[66:67]
	s_waitcnt vmcnt(31)
	v_fmac_f64_e32 v[68:69], v[44:45], v[26:27]
	v_add_f64 v[62:63], v[62:63], v[68:69]
	v_fma_f64 v[4:5], v[38:39], v[28:29], -v[4:5]
	s_waitcnt vmcnt(29)
	v_fmac_f64_e32 v[72:73], v[52:53], v[24:25]
	v_add_f64 v[62:63], v[62:63], v[70:71]
	v_add_f64 v[2:3], v[2:3], v[4:5]
	v_mul_f64 v[4:5], v[44:45], v[12:13]
	s_waitcnt vmcnt(28)
	v_fmac_f64_e32 v[74:75], v[56:57], v[16:17]
	v_add_f64 v[62:63], v[62:63], v[72:73]
	v_fma_f64 v[4:5], v[42:43], v[26:27], -v[4:5]
	v_add_f64 v[66:67], v[62:63], v[74:75]
	ds_read_b128 v[62:65], v1 offset:1712
	s_waitcnt vmcnt(24) lgkmcnt(2)
	v_mul_f64 v[68:69], v[58:59], v[86:87]
	v_add_f64 v[2:3], v[2:3], v[4:5]
	v_mul_f64 v[4:5], v[48:49], v[20:21]
	s_waitcnt vmcnt(22)
	v_fmac_f64_e32 v[68:69], v[60:61], v[88:89]
	v_fma_f64 v[4:5], v[46:47], v[22:23], -v[4:5]
	v_add_f64 v[70:71], v[66:67], v[68:69]
	ds_read_b128 v[66:69], v1 offset:1728
	v_add_f64 v[2:3], v[2:3], v[4:5]
	v_mul_f64 v[4:5], v[52:53], v[18:19]
	v_fma_f64 v[4:5], v[50:51], v[24:25], -v[4:5]
	v_add_f64 v[2:3], v[2:3], v[4:5]
	v_mul_f64 v[4:5], v[56:57], v[14:15]
	s_waitcnt vmcnt(21) lgkmcnt(1)
	v_mul_f64 v[72:73], v[62:63], v[82:83]
	v_fma_f64 v[4:5], v[54:55], v[16:17], -v[4:5]
	s_waitcnt vmcnt(20)
	v_fmac_f64_e32 v[72:73], v[64:65], v[84:85]
	v_add_f64 v[2:3], v[2:3], v[4:5]
	v_mul_f64 v[4:5], v[60:61], v[86:87]
	v_add_f64 v[74:75], v[70:71], v[72:73]
	ds_read_b128 v[70:73], v1 offset:1744
	s_waitcnt vmcnt(16) lgkmcnt(1)
	v_mul_f64 v[76:77], v[66:67], v[94:95]
	v_fma_f64 v[4:5], v[58:59], v[88:89], -v[4:5]
	s_waitcnt vmcnt(14)
	v_fmac_f64_e32 v[76:77], v[68:69], v[96:97]
	v_add_f64 v[2:3], v[2:3], v[4:5]
	v_mul_f64 v[4:5], v[64:65], v[82:83]
	v_add_f64 v[110:111], v[74:75], v[76:77]
	ds_read_b128 v[74:77], v1 offset:1760
	v_fma_f64 v[4:5], v[62:63], v[84:85], -v[4:5]
	v_add_f64 v[2:3], v[2:3], v[4:5]
	v_mul_f64 v[4:5], v[68:69], v[94:95]
	v_fma_f64 v[4:5], v[66:67], v[96:97], -v[4:5]
	v_add_f64 v[2:3], v[2:3], v[4:5]
	s_waitcnt vmcnt(13) lgkmcnt(1)
	v_mul_f64 v[4:5], v[72:73], v[90:91]
	v_mul_f64 v[112:113], v[70:71], v[90:91]
	s_waitcnt vmcnt(12)
	v_fma_f64 v[4:5], v[70:71], v[92:93], -v[4:5]
	v_fmac_f64_e32 v[112:113], v[72:73], v[92:93]
	v_add_f64 v[2:3], v[2:3], v[4:5]
	s_waitcnt vmcnt(8) lgkmcnt(0)
	v_mul_f64 v[4:5], v[76:77], v[102:103]
	v_add_f64 v[110:111], v[110:111], v[112:113]
	v_mul_f64 v[112:113], v[74:75], v[102:103]
	s_waitcnt vmcnt(6)
	v_fma_f64 v[4:5], v[74:75], v[104:105], -v[4:5]
	v_fmac_f64_e32 v[112:113], v[76:77], v[104:105]
	v_add_f64 v[2:3], v[2:3], v[4:5]
	s_waitcnt vmcnt(5)
	v_mul_f64 v[4:5], v[80:81], v[98:99]
	v_add_f64 v[110:111], v[110:111], v[112:113]
	v_mul_f64 v[112:113], v[78:79], v[98:99]
	s_waitcnt vmcnt(4)
	v_fma_f64 v[4:5], v[78:79], v[100:101], -v[4:5]
	v_fmac_f64_e32 v[112:113], v[80:81], v[100:101]
	v_add_f64 v[2:3], v[2:3], v[4:5]
	v_add_f64 v[110:111], v[110:111], v[112:113]
	s_waitcnt vmcnt(2)
	v_add_f64 v[2:3], v[106:107], -v[2:3]
	s_waitcnt vmcnt(0)
	v_add_f64 v[4:5], v[108:109], -v[110:111]
	buffer_store_dword v3, off, s[0:3], 0 offset:692
	buffer_store_dword v2, off, s[0:3], 0 offset:688
	;; [unrolled: 1-line block ×4, first 2 shown]
	s_and_saveexec_b64 s[4:5], vcc
	s_cbranch_execz .LBB55_267
; %bb.266:
	v_accvgpr_read_b32 v5, a126
	buffer_load_dword v2, v5, s[0:3], 0 offen
	buffer_load_dword v3, v5, s[0:3], 0 offen offset:4
	buffer_load_dword v4, v5, s[0:3], 0 offen offset:8
	s_nop 0
	buffer_load_dword v5, v5, s[0:3], 0 offen offset:12
	v_accvgpr_read_b32 v6, a167
	buffer_store_dword v1, off, s[0:3], 0 offset:672
	buffer_store_dword v1, off, s[0:3], 0 offset:676
	;; [unrolled: 1-line block ×4, first 2 shown]
	s_waitcnt vmcnt(4)
	ds_write_b128 v6, v[2:5]
.LBB55_267:
	s_or_b64 exec, exec, s[4:5]
	s_waitcnt lgkmcnt(0)
	; wave barrier
	s_waitcnt lgkmcnt(0)
	buffer_load_dword v2, off, s[0:3], 0 offset:688
	buffer_load_dword v3, off, s[0:3], 0 offset:692
	;; [unrolled: 1-line block ×60, first 2 shown]
	ds_read_b128 v[30:33], v1 offset:1568
	ds_read_b128 v[34:37], v1 offset:1584
	;; [unrolled: 1-line block ×8, first 2 shown]
	v_cmp_lt_u32_e32 vcc, 40, v0
	ds_read_b128 v[82:85], v1 offset:1776
	s_waitcnt vmcnt(56) lgkmcnt(8)
	v_mul_f64 v[62:63], v[30:31], v[6:7]
	v_fmac_f64_e32 v[62:63], v[32:33], v[2:3]
	v_add_f64 v[62:63], v[62:63], 0
	v_mul_f64 v[6:7], v[32:33], v[6:7]
	s_waitcnt vmcnt(52) lgkmcnt(7)
	v_mul_f64 v[64:65], v[34:35], v[8:9]
	v_fmac_f64_e32 v[64:65], v[36:37], v[4:5]
	s_waitcnt vmcnt(50) lgkmcnt(6)
	v_mul_f64 v[66:67], v[38:39], v[10:11]
	v_add_f64 v[62:63], v[62:63], v[64:65]
	s_waitcnt vmcnt(48) lgkmcnt(4)
	v_mul_f64 v[70:71], v[46:47], v[12:13]
	v_fma_f64 v[2:3], v[30:31], v[2:3], -v[6:7]
	s_waitcnt vmcnt(46)
	v_fmac_f64_e32 v[70:71], v[48:49], v[14:15]
	v_mul_f64 v[6:7], v[36:37], v[8:9]
	s_waitcnt vmcnt(44)
	v_mul_f64 v[68:69], v[42:43], v[16:17]
	v_add_f64 v[2:3], v[2:3], 0
	v_fma_f64 v[4:5], v[34:35], v[4:5], -v[6:7]
	v_add_f64 v[2:3], v[2:3], v[4:5]
	s_waitcnt vmcnt(40) lgkmcnt(3)
	v_mul_f64 v[72:73], v[50:51], v[22:23]
	v_mul_f64 v[4:5], v[40:41], v[10:11]
	s_waitcnt vmcnt(38)
	v_fmac_f64_e32 v[66:67], v[40:41], v[28:29]
	v_add_f64 v[62:63], v[62:63], v[66:67]
	s_waitcnt vmcnt(36)
	v_fmac_f64_e32 v[68:69], v[44:45], v[26:27]
	v_add_f64 v[62:63], v[62:63], v[68:69]
	;; [unrolled: 3-line block ×3, first 2 shown]
	s_waitcnt vmcnt(33) lgkmcnt(2)
	v_mul_f64 v[64:65], v[54:55], v[18:19]
	v_add_f64 v[62:63], v[62:63], v[72:73]
	s_waitcnt vmcnt(32)
	v_fmac_f64_e32 v[64:65], v[56:57], v[20:21]
	v_add_f64 v[66:67], v[62:63], v[64:65]
	ds_read_b128 v[62:65], v1 offset:1696
	v_fma_f64 v[4:5], v[38:39], v[28:29], -v[4:5]
	v_add_f64 v[2:3], v[2:3], v[4:5]
	v_mul_f64 v[4:5], v[44:45], v[16:17]
	v_fma_f64 v[4:5], v[42:43], v[26:27], -v[4:5]
	s_waitcnt vmcnt(28) lgkmcnt(2)
	v_mul_f64 v[68:69], v[58:59], v[90:91]
	v_add_f64 v[2:3], v[2:3], v[4:5]
	v_mul_f64 v[4:5], v[48:49], v[12:13]
	s_waitcnt vmcnt(26)
	v_fmac_f64_e32 v[68:69], v[60:61], v[92:93]
	v_fma_f64 v[4:5], v[46:47], v[14:15], -v[4:5]
	v_add_f64 v[70:71], v[66:67], v[68:69]
	ds_read_b128 v[66:69], v1 offset:1712
	s_waitcnt vmcnt(25) lgkmcnt(1)
	v_mul_f64 v[72:73], v[62:63], v[86:87]
	v_add_f64 v[2:3], v[2:3], v[4:5]
	v_mul_f64 v[4:5], v[52:53], v[22:23]
	s_waitcnt vmcnt(24)
	v_fmac_f64_e32 v[72:73], v[64:65], v[88:89]
	v_fma_f64 v[4:5], v[50:51], v[24:25], -v[4:5]
	v_add_f64 v[74:75], v[70:71], v[72:73]
	ds_read_b128 v[70:73], v1 offset:1728
	v_add_f64 v[2:3], v[2:3], v[4:5]
	v_mul_f64 v[4:5], v[56:57], v[18:19]
	v_fma_f64 v[4:5], v[54:55], v[20:21], -v[4:5]
	v_add_f64 v[2:3], v[2:3], v[4:5]
	v_mul_f64 v[4:5], v[60:61], v[90:91]
	s_waitcnt vmcnt(20) lgkmcnt(1)
	v_mul_f64 v[76:77], v[66:67], v[98:99]
	v_fma_f64 v[4:5], v[58:59], v[92:93], -v[4:5]
	s_waitcnt vmcnt(18)
	v_fmac_f64_e32 v[76:77], v[68:69], v[100:101]
	v_add_f64 v[2:3], v[2:3], v[4:5]
	v_mul_f64 v[4:5], v[64:65], v[86:87]
	v_add_f64 v[78:79], v[74:75], v[76:77]
	ds_read_b128 v[74:77], v1 offset:1744
	s_waitcnt vmcnt(17) lgkmcnt(1)
	v_mul_f64 v[80:81], v[70:71], v[94:95]
	v_fma_f64 v[4:5], v[62:63], v[88:89], -v[4:5]
	s_waitcnt vmcnt(16)
	v_fmac_f64_e32 v[80:81], v[72:73], v[96:97]
	v_add_f64 v[2:3], v[2:3], v[4:5]
	v_mul_f64 v[4:5], v[68:69], v[98:99]
	v_add_f64 v[118:119], v[78:79], v[80:81]
	ds_read_b128 v[78:81], v1 offset:1760
	v_fma_f64 v[4:5], v[66:67], v[100:101], -v[4:5]
	v_add_f64 v[2:3], v[2:3], v[4:5]
	v_mul_f64 v[4:5], v[72:73], v[94:95]
	v_fma_f64 v[4:5], v[70:71], v[96:97], -v[4:5]
	v_add_f64 v[2:3], v[2:3], v[4:5]
	s_waitcnt vmcnt(12) lgkmcnt(1)
	v_mul_f64 v[4:5], v[76:77], v[106:107]
	v_mul_f64 v[120:121], v[74:75], v[106:107]
	s_waitcnt vmcnt(10)
	v_fma_f64 v[4:5], v[74:75], v[108:109], -v[4:5]
	v_fmac_f64_e32 v[120:121], v[76:77], v[108:109]
	v_add_f64 v[2:3], v[2:3], v[4:5]
	s_waitcnt vmcnt(9) lgkmcnt(0)
	v_mul_f64 v[4:5], v[80:81], v[102:103]
	v_add_f64 v[118:119], v[118:119], v[120:121]
	v_mul_f64 v[120:121], v[78:79], v[102:103]
	s_waitcnt vmcnt(8)
	v_fma_f64 v[4:5], v[78:79], v[104:105], -v[4:5]
	v_fmac_f64_e32 v[120:121], v[80:81], v[104:105]
	v_add_f64 v[2:3], v[2:3], v[4:5]
	s_waitcnt vmcnt(6)
	v_mul_f64 v[4:5], v[84:85], v[110:111]
	v_add_f64 v[118:119], v[118:119], v[120:121]
	v_mul_f64 v[120:121], v[82:83], v[110:111]
	s_waitcnt vmcnt(4)
	v_fma_f64 v[4:5], v[82:83], v[112:113], -v[4:5]
	v_fmac_f64_e32 v[120:121], v[84:85], v[112:113]
	v_add_f64 v[2:3], v[2:3], v[4:5]
	v_add_f64 v[118:119], v[118:119], v[120:121]
	s_waitcnt vmcnt(2)
	v_add_f64 v[2:3], v[114:115], -v[2:3]
	s_waitcnt vmcnt(0)
	v_add_f64 v[4:5], v[116:117], -v[118:119]
	buffer_store_dword v3, off, s[0:3], 0 offset:676
	buffer_store_dword v2, off, s[0:3], 0 offset:672
	;; [unrolled: 1-line block ×4, first 2 shown]
	s_and_saveexec_b64 s[4:5], vcc
	s_cbranch_execz .LBB55_269
; %bb.268:
	v_accvgpr_read_b32 v1, a127
	buffer_load_dword v2, v1, s[0:3], 0 offen
	buffer_load_dword v3, v1, s[0:3], 0 offen offset:4
	buffer_load_dword v4, v1, s[0:3], 0 offen offset:8
	;; [unrolled: 1-line block ×3, first 2 shown]
	v_mov_b32_e32 v1, 0
	v_accvgpr_read_b32 v6, a167
	buffer_store_dword v1, off, s[0:3], 0 offset:656
	buffer_store_dword v1, off, s[0:3], 0 offset:660
	;; [unrolled: 1-line block ×4, first 2 shown]
	s_waitcnt vmcnt(4)
	ds_write_b128 v6, v[2:5]
.LBB55_269:
	s_or_b64 exec, exec, s[4:5]
	s_waitcnt lgkmcnt(0)
	; wave barrier
	s_waitcnt lgkmcnt(0)
	buffer_load_dword v2, off, s[0:3], 0 offset:672
	buffer_load_dword v3, off, s[0:3], 0 offset:676
	;; [unrolled: 1-line block ×64, first 2 shown]
	v_mov_b32_e32 v1, 0
	ds_read_b128 v[38:41], v1 offset:1552
	ds_read_b128 v[42:45], v1 offset:1568
	;; [unrolled: 1-line block ×7, first 2 shown]
	v_cmp_lt_u32_e32 vcc, 39, v0
	s_waitcnt vmcnt(60) lgkmcnt(6)
	v_mul_f64 v[62:63], v[38:39], v[4:5]
	v_fmac_f64_e32 v[62:63], v[40:41], v[2:3]
	s_waitcnt vmcnt(58) lgkmcnt(5)
	v_mul_f64 v[64:65], v[42:43], v[6:7]
	v_add_f64 v[62:63], v[62:63], 0
	s_waitcnt vmcnt(56) lgkmcnt(4)
	v_mul_f64 v[66:67], v[46:47], v[8:9]
	v_mul_f64 v[4:5], v[40:41], v[4:5]
	s_waitcnt vmcnt(54) lgkmcnt(2)
	v_mul_f64 v[70:71], v[54:55], v[10:11]
	v_fma_f64 v[2:3], v[38:39], v[2:3], -v[4:5]
	v_mul_f64 v[4:5], v[44:45], v[6:7]
	s_waitcnt vmcnt(51)
	v_mul_f64 v[68:69], v[50:51], v[14:15]
	v_add_f64 v[2:3], v[2:3], 0
	s_waitcnt vmcnt(49)
	v_fmac_f64_e32 v[64:65], v[44:45], v[20:21]
	v_add_f64 v[62:63], v[62:63], v[64:65]
	s_waitcnt vmcnt(47)
	v_fmac_f64_e32 v[66:67], v[48:49], v[18:19]
	;; [unrolled: 3-line block ×4, first 2 shown]
	v_add_f64 v[66:67], v[62:63], v[70:71]
	ds_read_b128 v[62:65], v1 offset:1648
	s_waitcnt vmcnt(40) lgkmcnt(2)
	v_mul_f64 v[68:69], v[58:59], v[26:27]
	v_fma_f64 v[4:5], v[42:43], v[20:21], -v[4:5]
	s_waitcnt vmcnt(38)
	v_fmac_f64_e32 v[68:69], v[60:61], v[28:29]
	v_add_f64 v[70:71], v[66:67], v[68:69]
	ds_read_b128 v[66:69], v1 offset:1664
	s_waitcnt vmcnt(37) lgkmcnt(1)
	v_mul_f64 v[72:73], v[62:63], v[22:23]
	s_waitcnt vmcnt(36)
	v_fmac_f64_e32 v[72:73], v[64:65], v[24:25]
	v_add_f64 v[2:3], v[2:3], v[4:5]
	v_mul_f64 v[4:5], v[48:49], v[8:9]
	v_add_f64 v[74:75], v[70:71], v[72:73]
	ds_read_b128 v[70:73], v1 offset:1680
	s_waitcnt vmcnt(32) lgkmcnt(1)
	v_mul_f64 v[76:77], v[66:67], v[34:35]
	v_fma_f64 v[4:5], v[46:47], v[18:19], -v[4:5]
	s_waitcnt vmcnt(30)
	v_fmac_f64_e32 v[76:77], v[68:69], v[36:37]
	v_add_f64 v[2:3], v[2:3], v[4:5]
	v_mul_f64 v[4:5], v[52:53], v[14:15]
	v_add_f64 v[78:79], v[74:75], v[76:77]
	ds_read_b128 v[74:77], v1 offset:1696
	v_fma_f64 v[4:5], v[50:51], v[16:17], -v[4:5]
	v_add_f64 v[2:3], v[2:3], v[4:5]
	v_mul_f64 v[4:5], v[56:57], v[10:11]
	v_fma_f64 v[4:5], v[54:55], v[12:13], -v[4:5]
	s_waitcnt vmcnt(29) lgkmcnt(1)
	v_mul_f64 v[80:81], v[70:71], v[30:31]
	v_add_f64 v[2:3], v[2:3], v[4:5]
	v_mul_f64 v[4:5], v[60:61], v[26:27]
	s_waitcnt vmcnt(28)
	v_fmac_f64_e32 v[80:81], v[72:73], v[32:33]
	v_fma_f64 v[4:5], v[58:59], v[28:29], -v[4:5]
	v_add_f64 v[82:83], v[78:79], v[80:81]
	ds_read_b128 v[78:81], v1 offset:1712
	s_waitcnt vmcnt(24) lgkmcnt(1)
	v_mul_f64 v[84:85], v[74:75], v[102:103]
	v_add_f64 v[2:3], v[2:3], v[4:5]
	v_mul_f64 v[4:5], v[64:65], v[22:23]
	s_waitcnt vmcnt(22)
	v_fmac_f64_e32 v[84:85], v[76:77], v[104:105]
	v_fma_f64 v[4:5], v[62:63], v[24:25], -v[4:5]
	v_add_f64 v[86:87], v[82:83], v[84:85]
	ds_read_b128 v[82:85], v1 offset:1728
	v_add_f64 v[2:3], v[2:3], v[4:5]
	v_mul_f64 v[4:5], v[68:69], v[34:35]
	v_fma_f64 v[4:5], v[66:67], v[36:37], -v[4:5]
	v_add_f64 v[2:3], v[2:3], v[4:5]
	v_mul_f64 v[4:5], v[72:73], v[30:31]
	s_waitcnt vmcnt(21) lgkmcnt(1)
	v_mul_f64 v[88:89], v[78:79], v[98:99]
	v_fma_f64 v[4:5], v[70:71], v[32:33], -v[4:5]
	s_waitcnt vmcnt(20)
	v_fmac_f64_e32 v[88:89], v[80:81], v[100:101]
	v_add_f64 v[2:3], v[2:3], v[4:5]
	v_mul_f64 v[4:5], v[76:77], v[102:103]
	v_add_f64 v[90:91], v[86:87], v[88:89]
	ds_read_b128 v[86:89], v1 offset:1744
	s_waitcnt vmcnt(16) lgkmcnt(1)
	v_mul_f64 v[92:93], v[82:83], v[110:111]
	v_fma_f64 v[4:5], v[74:75], v[104:105], -v[4:5]
	s_waitcnt vmcnt(14)
	v_fmac_f64_e32 v[92:93], v[84:85], v[112:113]
	v_add_f64 v[2:3], v[2:3], v[4:5]
	v_mul_f64 v[4:5], v[80:81], v[98:99]
	v_add_f64 v[126:127], v[90:91], v[92:93]
	ds_read_b128 v[90:93], v1 offset:1760
	v_fma_f64 v[4:5], v[78:79], v[100:101], -v[4:5]
	v_add_f64 v[2:3], v[2:3], v[4:5]
	v_mul_f64 v[4:5], v[84:85], v[110:111]
	v_fma_f64 v[4:5], v[82:83], v[112:113], -v[4:5]
	v_add_f64 v[2:3], v[2:3], v[4:5]
	s_waitcnt vmcnt(13) lgkmcnt(1)
	v_mul_f64 v[4:5], v[88:89], v[106:107]
	v_mul_f64 v[128:129], v[86:87], v[106:107]
	s_waitcnt vmcnt(12)
	v_fma_f64 v[4:5], v[86:87], v[108:109], -v[4:5]
	v_fmac_f64_e32 v[128:129], v[88:89], v[108:109]
	v_add_f64 v[2:3], v[2:3], v[4:5]
	s_waitcnt vmcnt(8) lgkmcnt(0)
	v_mul_f64 v[4:5], v[92:93], v[118:119]
	v_add_f64 v[126:127], v[126:127], v[128:129]
	v_mul_f64 v[128:129], v[90:91], v[118:119]
	s_waitcnt vmcnt(6)
	v_fma_f64 v[4:5], v[90:91], v[120:121], -v[4:5]
	v_fmac_f64_e32 v[128:129], v[92:93], v[120:121]
	v_add_f64 v[2:3], v[2:3], v[4:5]
	s_waitcnt vmcnt(5)
	v_mul_f64 v[4:5], v[96:97], v[114:115]
	v_add_f64 v[126:127], v[126:127], v[128:129]
	v_mul_f64 v[128:129], v[94:95], v[114:115]
	s_waitcnt vmcnt(4)
	v_fma_f64 v[4:5], v[94:95], v[116:117], -v[4:5]
	v_fmac_f64_e32 v[128:129], v[96:97], v[116:117]
	v_add_f64 v[2:3], v[2:3], v[4:5]
	v_add_f64 v[126:127], v[126:127], v[128:129]
	s_waitcnt vmcnt(2)
	v_add_f64 v[2:3], v[122:123], -v[2:3]
	s_waitcnt vmcnt(0)
	v_add_f64 v[4:5], v[124:125], -v[126:127]
	buffer_store_dword v3, off, s[0:3], 0 offset:660
	buffer_store_dword v2, off, s[0:3], 0 offset:656
	buffer_store_dword v5, off, s[0:3], 0 offset:668
	buffer_store_dword v4, off, s[0:3], 0 offset:664
	s_and_saveexec_b64 s[4:5], vcc
	s_cbranch_execz .LBB55_271
; %bb.270:
	v_accvgpr_read_b32 v5, a128
	buffer_load_dword v2, v5, s[0:3], 0 offen
	buffer_load_dword v3, v5, s[0:3], 0 offen offset:4
	buffer_load_dword v4, v5, s[0:3], 0 offen offset:8
	s_nop 0
	buffer_load_dword v5, v5, s[0:3], 0 offen offset:12
	v_accvgpr_read_b32 v6, a167
	buffer_store_dword v1, off, s[0:3], 0 offset:640
	buffer_store_dword v1, off, s[0:3], 0 offset:644
	;; [unrolled: 1-line block ×4, first 2 shown]
	s_waitcnt vmcnt(4)
	ds_write_b128 v6, v[2:5]
.LBB55_271:
	s_or_b64 exec, exec, s[4:5]
	s_waitcnt lgkmcnt(0)
	; wave barrier
	s_waitcnt lgkmcnt(0)
	buffer_load_dword v2, off, s[0:3], 0 offset:656
	buffer_load_dword v3, off, s[0:3], 0 offset:660
	;; [unrolled: 1-line block ×64, first 2 shown]
	ds_read_b128 v[46:49], v1 offset:1536
	ds_read_b128 v[50:53], v1 offset:1552
	ds_read_b128 v[54:57], v1 offset:1568
	ds_read_b128 v[58:61], v1 offset:1584
	buffer_load_dword v130, off, s[0:3], 0 offset:640
	buffer_load_dword v131, off, s[0:3], 0 offset:644
	;; [unrolled: 1-line block ×4, first 2 shown]
	v_cmp_lt_u32_e32 vcc, 38, v0
	ds_read_b128 v[106:109], v1 offset:1776
	s_waitcnt vmcnt(62) lgkmcnt(4)
	v_mul_f64 v[62:63], v[46:47], v[4:5]
	v_fmac_f64_e32 v[62:63], v[48:49], v[2:3]
	v_add_f64 v[62:63], v[62:63], 0
	s_waitcnt lgkmcnt(2)
	v_mul_f64 v[66:67], v[54:55], v[6:7]
	v_mul_f64 v[4:5], v[48:49], v[4:5]
	v_fma_f64 v[2:3], v[46:47], v[2:3], -v[4:5]
	s_waitcnt vmcnt(58) lgkmcnt(1)
	v_mul_f64 v[68:69], v[58:59], v[12:13]
	v_add_f64 v[2:3], v[2:3], 0
	s_waitcnt vmcnt(56)
	v_mul_f64 v[64:65], v[50:51], v[18:19]
	v_mul_f64 v[4:5], v[52:53], v[18:19]
	s_waitcnt vmcnt(53)
	v_fmac_f64_e32 v[66:67], v[56:57], v[16:17]
	s_waitcnt vmcnt(52)
	v_fmac_f64_e32 v[64:65], v[52:53], v[20:21]
	v_add_f64 v[70:71], v[62:63], v[64:65]
	ds_read_b128 v[62:65], v1 offset:1600
	v_add_f64 v[66:67], v[70:71], v[66:67]
	s_waitcnt vmcnt(50)
	v_fmac_f64_e32 v[68:69], v[60:61], v[14:15]
	v_add_f64 v[70:71], v[66:67], v[68:69]
	ds_read_b128 v[66:69], v1 offset:1616
	s_waitcnt vmcnt(49) lgkmcnt(1)
	v_mul_f64 v[72:73], v[62:63], v[8:9]
	s_waitcnt vmcnt(48)
	v_fmac_f64_e32 v[72:73], v[64:65], v[10:11]
	v_add_f64 v[74:75], v[70:71], v[72:73]
	ds_read_b128 v[70:73], v1 offset:1632
	s_waitcnt vmcnt(44) lgkmcnt(1)
	v_mul_f64 v[76:77], v[66:67], v[26:27]
	s_waitcnt vmcnt(42)
	v_fmac_f64_e32 v[76:77], v[68:69], v[28:29]
	v_add_f64 v[78:79], v[74:75], v[76:77]
	ds_read_b128 v[74:77], v1 offset:1648
	s_waitcnt vmcnt(41) lgkmcnt(1)
	v_mul_f64 v[80:81], v[70:71], v[22:23]
	s_waitcnt vmcnt(40)
	v_fmac_f64_e32 v[80:81], v[72:73], v[24:25]
	v_add_f64 v[82:83], v[78:79], v[80:81]
	ds_read_b128 v[78:81], v1 offset:1664
	v_fma_f64 v[4:5], v[50:51], v[20:21], -v[4:5]
	v_add_f64 v[2:3], v[2:3], v[4:5]
	v_mul_f64 v[4:5], v[56:57], v[6:7]
	s_waitcnt vmcnt(36) lgkmcnt(1)
	v_mul_f64 v[84:85], v[74:75], v[34:35]
	v_fma_f64 v[4:5], v[54:55], v[16:17], -v[4:5]
	s_waitcnt vmcnt(34)
	v_fmac_f64_e32 v[84:85], v[76:77], v[36:37]
	v_add_f64 v[2:3], v[2:3], v[4:5]
	v_mul_f64 v[4:5], v[60:61], v[12:13]
	v_add_f64 v[86:87], v[82:83], v[84:85]
	ds_read_b128 v[82:85], v1 offset:1680
	s_waitcnt vmcnt(33) lgkmcnt(1)
	v_mul_f64 v[88:89], v[78:79], v[30:31]
	v_fma_f64 v[4:5], v[58:59], v[14:15], -v[4:5]
	s_waitcnt vmcnt(32)
	v_fmac_f64_e32 v[88:89], v[80:81], v[32:33]
	v_add_f64 v[2:3], v[2:3], v[4:5]
	v_mul_f64 v[4:5], v[64:65], v[8:9]
	v_add_f64 v[90:91], v[86:87], v[88:89]
	ds_read_b128 v[86:89], v1 offset:1696
	v_fma_f64 v[4:5], v[62:63], v[10:11], -v[4:5]
	v_add_f64 v[2:3], v[2:3], v[4:5]
	v_mul_f64 v[4:5], v[68:69], v[26:27]
	v_fma_f64 v[4:5], v[66:67], v[28:29], -v[4:5]
	s_waitcnt vmcnt(28) lgkmcnt(1)
	v_mul_f64 v[92:93], v[82:83], v[42:43]
	v_add_f64 v[2:3], v[2:3], v[4:5]
	v_mul_f64 v[4:5], v[72:73], v[22:23]
	s_waitcnt vmcnt(26)
	v_fmac_f64_e32 v[92:93], v[84:85], v[44:45]
	v_fma_f64 v[4:5], v[70:71], v[24:25], -v[4:5]
	v_add_f64 v[94:95], v[90:91], v[92:93]
	ds_read_b128 v[90:93], v1 offset:1712
	s_waitcnt vmcnt(25) lgkmcnt(1)
	v_mul_f64 v[96:97], v[86:87], v[38:39]
	v_add_f64 v[2:3], v[2:3], v[4:5]
	v_mul_f64 v[4:5], v[76:77], v[34:35]
	s_waitcnt vmcnt(24)
	v_fmac_f64_e32 v[96:97], v[88:89], v[40:41]
	v_fma_f64 v[4:5], v[74:75], v[36:37], -v[4:5]
	v_add_f64 v[98:99], v[94:95], v[96:97]
	ds_read_b128 v[94:97], v1 offset:1728
	v_add_f64 v[2:3], v[2:3], v[4:5]
	v_mul_f64 v[4:5], v[80:81], v[30:31]
	v_fma_f64 v[4:5], v[78:79], v[32:33], -v[4:5]
	v_add_f64 v[2:3], v[2:3], v[4:5]
	v_mul_f64 v[4:5], v[84:85], v[42:43]
	s_waitcnt vmcnt(20) lgkmcnt(1)
	v_mul_f64 v[100:101], v[90:91], v[114:115]
	v_fma_f64 v[4:5], v[82:83], v[44:45], -v[4:5]
	s_waitcnt vmcnt(18)
	v_fmac_f64_e32 v[100:101], v[92:93], v[116:117]
	v_add_f64 v[2:3], v[2:3], v[4:5]
	v_mul_f64 v[4:5], v[88:89], v[38:39]
	v_add_f64 v[102:103], v[98:99], v[100:101]
	ds_read_b128 v[98:101], v1 offset:1744
	s_waitcnt vmcnt(17) lgkmcnt(1)
	v_mul_f64 v[104:105], v[94:95], v[110:111]
	v_fma_f64 v[4:5], v[86:87], v[40:41], -v[4:5]
	s_waitcnt vmcnt(16)
	v_fmac_f64_e32 v[104:105], v[96:97], v[112:113]
	v_add_f64 v[2:3], v[2:3], v[4:5]
	v_mul_f64 v[4:5], v[92:93], v[114:115]
	v_add_f64 v[134:135], v[102:103], v[104:105]
	ds_read_b128 v[102:105], v1 offset:1760
	v_fma_f64 v[4:5], v[90:91], v[116:117], -v[4:5]
	v_add_f64 v[2:3], v[2:3], v[4:5]
	v_mul_f64 v[4:5], v[96:97], v[110:111]
	v_fma_f64 v[4:5], v[94:95], v[112:113], -v[4:5]
	v_add_f64 v[2:3], v[2:3], v[4:5]
	s_waitcnt vmcnt(12) lgkmcnt(1)
	v_mul_f64 v[4:5], v[100:101], v[122:123]
	v_mul_f64 v[136:137], v[98:99], v[122:123]
	s_waitcnt vmcnt(10)
	v_fma_f64 v[4:5], v[98:99], v[124:125], -v[4:5]
	v_fmac_f64_e32 v[136:137], v[100:101], v[124:125]
	v_add_f64 v[2:3], v[2:3], v[4:5]
	s_waitcnt vmcnt(9) lgkmcnt(0)
	v_mul_f64 v[4:5], v[104:105], v[118:119]
	v_add_f64 v[134:135], v[134:135], v[136:137]
	v_mul_f64 v[136:137], v[102:103], v[118:119]
	s_waitcnt vmcnt(8)
	v_fma_f64 v[4:5], v[102:103], v[120:121], -v[4:5]
	v_fmac_f64_e32 v[136:137], v[104:105], v[120:121]
	v_add_f64 v[2:3], v[2:3], v[4:5]
	s_waitcnt vmcnt(6)
	v_mul_f64 v[4:5], v[108:109], v[126:127]
	v_add_f64 v[134:135], v[134:135], v[136:137]
	v_mul_f64 v[136:137], v[106:107], v[126:127]
	s_waitcnt vmcnt(4)
	v_fma_f64 v[4:5], v[106:107], v[128:129], -v[4:5]
	v_fmac_f64_e32 v[136:137], v[108:109], v[128:129]
	v_add_f64 v[2:3], v[2:3], v[4:5]
	v_add_f64 v[134:135], v[134:135], v[136:137]
	s_waitcnt vmcnt(2)
	v_add_f64 v[2:3], v[130:131], -v[2:3]
	s_waitcnt vmcnt(0)
	v_add_f64 v[4:5], v[132:133], -v[134:135]
	buffer_store_dword v3, off, s[0:3], 0 offset:644
	buffer_store_dword v2, off, s[0:3], 0 offset:640
	;; [unrolled: 1-line block ×4, first 2 shown]
	s_and_saveexec_b64 s[4:5], vcc
	s_cbranch_execz .LBB55_273
; %bb.272:
	v_accvgpr_read_b32 v1, a129
	buffer_load_dword v2, v1, s[0:3], 0 offen
	buffer_load_dword v3, v1, s[0:3], 0 offen offset:4
	buffer_load_dword v4, v1, s[0:3], 0 offen offset:8
	;; [unrolled: 1-line block ×3, first 2 shown]
	v_mov_b32_e32 v1, 0
	v_accvgpr_read_b32 v6, a167
	buffer_store_dword v1, off, s[0:3], 0 offset:624
	buffer_store_dword v1, off, s[0:3], 0 offset:628
	;; [unrolled: 1-line block ×4, first 2 shown]
	s_waitcnt vmcnt(4)
	ds_write_b128 v6, v[2:5]
.LBB55_273:
	s_or_b64 exec, exec, s[4:5]
	s_waitcnt lgkmcnt(0)
	; wave barrier
	s_waitcnt lgkmcnt(0)
	buffer_load_dword v2, off, s[0:3], 0 offset:640
	buffer_load_dword v3, off, s[0:3], 0 offset:644
	;; [unrolled: 1-line block ×68, first 2 shown]
	v_mov_b32_e32 v1, 0
	buffer_load_dword v138, off, s[0:3], 0 offset:624
	buffer_load_dword v139, off, s[0:3], 0 offset:628
	;; [unrolled: 1-line block ×3, first 2 shown]
	ds_read_b128 v[46:49], v1 offset:1520
	ds_read_b128 v[50:53], v1 offset:1536
	buffer_load_dword v141, off, s[0:3], 0 offset:636
	ds_read_b128 v[54:57], v1 offset:1552
	ds_read_b128 v[58:61], v1 offset:1568
	;; [unrolled: 1-line block ×3, first 2 shown]
	v_cmp_lt_u32_e32 vcc, 37, v0
	s_waitcnt vmcnt(62) lgkmcnt(4)
	v_mul_f64 v[62:63], v[46:47], v[6:7]
	v_fmac_f64_e32 v[62:63], v[48:49], v[2:3]
	v_add_f64 v[62:63], v[62:63], 0
	v_mul_f64 v[6:7], v[48:49], v[6:7]
	s_waitcnt lgkmcnt(3)
	v_mul_f64 v[64:65], v[50:51], v[10:11]
	v_fmac_f64_e32 v[64:65], v[52:53], v[4:5]
	v_add_f64 v[62:63], v[62:63], v[64:65]
	v_fma_f64 v[2:3], v[46:47], v[2:3], -v[6:7]
	s_waitcnt vmcnt(60) lgkmcnt(2)
	v_mul_f64 v[64:65], v[54:55], v[12:13]
	v_fmac_f64_e32 v[64:65], v[56:57], v[8:9]
	v_add_f64 v[66:67], v[62:63], v[64:65]
	ds_read_b128 v[62:65], v1 offset:1584
	s_waitcnt vmcnt(56) lgkmcnt(2)
	v_mul_f64 v[68:69], v[58:59], v[18:19]
	v_mul_f64 v[6:7], v[52:53], v[10:11]
	s_waitcnt vmcnt(54)
	v_fmac_f64_e32 v[68:69], v[60:61], v[20:21]
	v_add_f64 v[70:71], v[66:67], v[68:69]
	ds_read_b128 v[66:69], v1 offset:1600
	s_waitcnt vmcnt(53) lgkmcnt(1)
	v_mul_f64 v[72:73], v[62:63], v[14:15]
	s_waitcnt vmcnt(52)
	v_fmac_f64_e32 v[72:73], v[64:65], v[16:17]
	v_add_f64 v[74:75], v[70:71], v[72:73]
	ds_read_b128 v[70:73], v1 offset:1616
	s_waitcnt vmcnt(48) lgkmcnt(1)
	;; [unrolled: 6-line block ×4, first 2 shown]
	v_mul_f64 v[84:85], v[74:75], v[34:35]
	s_waitcnt vmcnt(38)
	v_fmac_f64_e32 v[84:85], v[76:77], v[36:37]
	v_add_f64 v[2:3], v[2:3], 0
	v_fma_f64 v[4:5], v[50:51], v[4:5], -v[6:7]
	v_add_f64 v[86:87], v[82:83], v[84:85]
	ds_read_b128 v[82:85], v1 offset:1664
	v_add_f64 v[2:3], v[2:3], v[4:5]
	v_mul_f64 v[4:5], v[56:57], v[12:13]
	v_fma_f64 v[4:5], v[54:55], v[8:9], -v[4:5]
	v_add_f64 v[2:3], v[2:3], v[4:5]
	v_mul_f64 v[4:5], v[60:61], v[18:19]
	s_waitcnt vmcnt(37) lgkmcnt(1)
	v_mul_f64 v[88:89], v[78:79], v[30:31]
	v_fma_f64 v[4:5], v[58:59], v[20:21], -v[4:5]
	s_waitcnt vmcnt(36)
	v_fmac_f64_e32 v[88:89], v[80:81], v[32:33]
	v_add_f64 v[2:3], v[2:3], v[4:5]
	v_mul_f64 v[4:5], v[64:65], v[14:15]
	v_add_f64 v[90:91], v[86:87], v[88:89]
	ds_read_b128 v[86:89], v1 offset:1680
	s_waitcnt vmcnt(32) lgkmcnt(1)
	v_mul_f64 v[92:93], v[82:83], v[42:43]
	v_fma_f64 v[4:5], v[62:63], v[16:17], -v[4:5]
	s_waitcnt vmcnt(30)
	v_fmac_f64_e32 v[92:93], v[84:85], v[44:45]
	v_add_f64 v[2:3], v[2:3], v[4:5]
	v_mul_f64 v[4:5], v[68:69], v[26:27]
	v_add_f64 v[94:95], v[90:91], v[92:93]
	ds_read_b128 v[90:93], v1 offset:1696
	v_fma_f64 v[4:5], v[66:67], v[28:29], -v[4:5]
	v_add_f64 v[2:3], v[2:3], v[4:5]
	v_mul_f64 v[4:5], v[72:73], v[22:23]
	v_fma_f64 v[4:5], v[70:71], v[24:25], -v[4:5]
	s_waitcnt vmcnt(29) lgkmcnt(1)
	v_mul_f64 v[96:97], v[86:87], v[38:39]
	v_add_f64 v[2:3], v[2:3], v[4:5]
	v_mul_f64 v[4:5], v[76:77], v[34:35]
	s_waitcnt vmcnt(28)
	v_fmac_f64_e32 v[96:97], v[88:89], v[40:41]
	v_fma_f64 v[4:5], v[74:75], v[36:37], -v[4:5]
	v_add_f64 v[98:99], v[94:95], v[96:97]
	ds_read_b128 v[94:97], v1 offset:1712
	s_waitcnt vmcnt(24) lgkmcnt(1)
	v_mul_f64 v[100:101], v[90:91], v[118:119]
	v_add_f64 v[2:3], v[2:3], v[4:5]
	v_mul_f64 v[4:5], v[80:81], v[30:31]
	s_waitcnt vmcnt(22)
	v_fmac_f64_e32 v[100:101], v[92:93], v[120:121]
	v_fma_f64 v[4:5], v[78:79], v[32:33], -v[4:5]
	v_add_f64 v[102:103], v[98:99], v[100:101]
	ds_read_b128 v[98:101], v1 offset:1728
	v_add_f64 v[2:3], v[2:3], v[4:5]
	v_mul_f64 v[4:5], v[84:85], v[42:43]
	v_fma_f64 v[4:5], v[82:83], v[44:45], -v[4:5]
	v_add_f64 v[2:3], v[2:3], v[4:5]
	v_mul_f64 v[4:5], v[88:89], v[38:39]
	s_waitcnt vmcnt(21) lgkmcnt(1)
	v_mul_f64 v[104:105], v[94:95], v[114:115]
	v_fma_f64 v[4:5], v[86:87], v[40:41], -v[4:5]
	s_waitcnt vmcnt(20)
	v_fmac_f64_e32 v[104:105], v[96:97], v[116:117]
	v_add_f64 v[2:3], v[2:3], v[4:5]
	v_mul_f64 v[4:5], v[92:93], v[118:119]
	v_add_f64 v[106:107], v[102:103], v[104:105]
	ds_read_b128 v[102:105], v1 offset:1744
	s_waitcnt vmcnt(16) lgkmcnt(1)
	v_mul_f64 v[108:109], v[98:99], v[126:127]
	v_fma_f64 v[4:5], v[90:91], v[120:121], -v[4:5]
	s_waitcnt vmcnt(14)
	v_fmac_f64_e32 v[108:109], v[100:101], v[128:129]
	v_add_f64 v[2:3], v[2:3], v[4:5]
	v_mul_f64 v[4:5], v[96:97], v[114:115]
	v_add_f64 v[142:143], v[106:107], v[108:109]
	ds_read_b128 v[106:109], v1 offset:1760
	v_fma_f64 v[4:5], v[94:95], v[116:117], -v[4:5]
	v_add_f64 v[2:3], v[2:3], v[4:5]
	v_mul_f64 v[4:5], v[100:101], v[126:127]
	v_fma_f64 v[4:5], v[98:99], v[128:129], -v[4:5]
	v_add_f64 v[2:3], v[2:3], v[4:5]
	s_waitcnt vmcnt(13) lgkmcnt(1)
	v_mul_f64 v[4:5], v[104:105], v[122:123]
	v_mul_f64 v[144:145], v[102:103], v[122:123]
	s_waitcnt vmcnt(12)
	v_fma_f64 v[4:5], v[102:103], v[124:125], -v[4:5]
	v_fmac_f64_e32 v[144:145], v[104:105], v[124:125]
	v_add_f64 v[2:3], v[2:3], v[4:5]
	s_waitcnt vmcnt(8) lgkmcnt(0)
	v_mul_f64 v[4:5], v[108:109], v[134:135]
	v_add_f64 v[142:143], v[142:143], v[144:145]
	v_mul_f64 v[144:145], v[106:107], v[134:135]
	s_waitcnt vmcnt(6)
	v_fma_f64 v[4:5], v[106:107], v[136:137], -v[4:5]
	v_fmac_f64_e32 v[144:145], v[108:109], v[136:137]
	v_add_f64 v[2:3], v[2:3], v[4:5]
	s_waitcnt vmcnt(5)
	v_mul_f64 v[4:5], v[112:113], v[130:131]
	v_add_f64 v[142:143], v[142:143], v[144:145]
	v_mul_f64 v[144:145], v[110:111], v[130:131]
	s_waitcnt vmcnt(4)
	v_fma_f64 v[4:5], v[110:111], v[132:133], -v[4:5]
	v_fmac_f64_e32 v[144:145], v[112:113], v[132:133]
	v_add_f64 v[2:3], v[2:3], v[4:5]
	v_add_f64 v[142:143], v[142:143], v[144:145]
	s_waitcnt vmcnt(2)
	v_add_f64 v[2:3], v[138:139], -v[2:3]
	s_waitcnt vmcnt(0)
	v_add_f64 v[4:5], v[140:141], -v[142:143]
	buffer_store_dword v3, off, s[0:3], 0 offset:628
	buffer_store_dword v2, off, s[0:3], 0 offset:624
	;; [unrolled: 1-line block ×4, first 2 shown]
	s_and_saveexec_b64 s[4:5], vcc
	s_cbranch_execz .LBB55_275
; %bb.274:
	v_accvgpr_read_b32 v5, a130
	buffer_load_dword v2, v5, s[0:3], 0 offen
	buffer_load_dword v3, v5, s[0:3], 0 offen offset:4
	buffer_load_dword v4, v5, s[0:3], 0 offen offset:8
	s_nop 0
	buffer_load_dword v5, v5, s[0:3], 0 offen offset:12
	v_accvgpr_read_b32 v6, a167
	buffer_store_dword v1, off, s[0:3], 0 offset:608
	buffer_store_dword v1, off, s[0:3], 0 offset:612
	;; [unrolled: 1-line block ×4, first 2 shown]
	s_waitcnt vmcnt(4)
	ds_write_b128 v6, v[2:5]
.LBB55_275:
	s_or_b64 exec, exec, s[4:5]
	s_waitcnt lgkmcnt(0)
	; wave barrier
	s_waitcnt lgkmcnt(0)
	buffer_load_dword v2, off, s[0:3], 0 offset:624
	buffer_load_dword v3, off, s[0:3], 0 offset:628
	;; [unrolled: 1-line block ×72, first 2 shown]
	ds_read_b128 v[52:55], v1 offset:1504
	buffer_load_dword v146, off, s[0:3], 0 offset:608
	buffer_load_dword v147, off, s[0:3], 0 offset:612
	;; [unrolled: 1-line block ×4, first 2 shown]
	ds_read_b128 v[56:59], v1 offset:1520
	ds_read_b128 v[60:63], v1 offset:1536
	;; [unrolled: 1-line block ×3, first 2 shown]
	v_cmp_lt_u32_e32 vcc, 36, v0
	ds_read_b128 v[120:123], v1 offset:1776
	s_waitcnt vmcnt(62) lgkmcnt(4)
	v_mul_f64 v[68:69], v[52:53], v[8:9]
	v_fmac_f64_e32 v[68:69], v[54:55], v[2:3]
	v_add_f64 v[68:69], v[68:69], 0
	v_mul_f64 v[8:9], v[54:55], v[8:9]
	s_waitcnt lgkmcnt(3)
	v_mul_f64 v[70:71], v[56:57], v[10:11]
	v_fmac_f64_e32 v[70:71], v[58:59], v[4:5]
	v_add_f64 v[68:69], v[68:69], v[70:71]
	v_fma_f64 v[2:3], v[52:53], v[2:3], -v[8:9]
	s_waitcnt lgkmcnt(2)
	v_mul_f64 v[70:71], v[60:61], v[12:13]
	v_fmac_f64_e32 v[70:71], v[62:63], v[6:7]
	v_add_f64 v[72:73], v[68:69], v[70:71]
	ds_read_b128 v[68:71], v1 offset:1568
	s_waitcnt vmcnt(60) lgkmcnt(2)
	v_mul_f64 v[74:75], v[64:65], v[18:19]
	v_mul_f64 v[8:9], v[58:59], v[10:11]
	s_waitcnt vmcnt(58)
	v_fmac_f64_e32 v[74:75], v[66:67], v[20:21]
	v_add_f64 v[76:77], v[72:73], v[74:75]
	ds_read_b128 v[72:75], v1 offset:1584
	s_waitcnt vmcnt(57) lgkmcnt(1)
	v_mul_f64 v[78:79], v[68:69], v[14:15]
	s_waitcnt vmcnt(56)
	v_fmac_f64_e32 v[78:79], v[70:71], v[16:17]
	v_add_f64 v[80:81], v[76:77], v[78:79]
	ds_read_b128 v[76:79], v1 offset:1600
	s_waitcnt vmcnt(52) lgkmcnt(1)
	v_mul_f64 v[82:83], v[72:73], v[26:27]
	s_waitcnt vmcnt(50)
	v_fmac_f64_e32 v[82:83], v[74:75], v[28:29]
	v_add_f64 v[84:85], v[80:81], v[82:83]
	ds_read_b128 v[80:83], v1 offset:1616
	s_waitcnt vmcnt(49) lgkmcnt(1)
	v_mul_f64 v[86:87], v[76:77], v[22:23]
	s_waitcnt vmcnt(48)
	v_fmac_f64_e32 v[86:87], v[78:79], v[24:25]
	v_add_f64 v[88:89], v[84:85], v[86:87]
	ds_read_b128 v[84:87], v1 offset:1632
	s_waitcnt vmcnt(44) lgkmcnt(1)
	v_mul_f64 v[90:91], v[80:81], v[34:35]
	s_waitcnt vmcnt(42)
	v_fmac_f64_e32 v[90:91], v[82:83], v[36:37]
	v_add_f64 v[2:3], v[2:3], 0
	v_fma_f64 v[4:5], v[56:57], v[4:5], -v[8:9]
	v_add_f64 v[92:93], v[88:89], v[90:91]
	ds_read_b128 v[88:91], v1 offset:1648
	s_waitcnt vmcnt(41) lgkmcnt(1)
	v_mul_f64 v[94:95], v[84:85], v[30:31]
	v_add_f64 v[2:3], v[2:3], v[4:5]
	v_mul_f64 v[4:5], v[62:63], v[12:13]
	s_waitcnt vmcnt(40)
	v_fmac_f64_e32 v[94:95], v[86:87], v[32:33]
	v_fma_f64 v[4:5], v[60:61], v[6:7], -v[4:5]
	v_add_f64 v[96:97], v[92:93], v[94:95]
	ds_read_b128 v[92:95], v1 offset:1664
	v_add_f64 v[2:3], v[2:3], v[4:5]
	v_mul_f64 v[4:5], v[66:67], v[18:19]
	v_fma_f64 v[4:5], v[64:65], v[20:21], -v[4:5]
	v_add_f64 v[2:3], v[2:3], v[4:5]
	v_mul_f64 v[4:5], v[70:71], v[14:15]
	s_waitcnt vmcnt(36) lgkmcnt(1)
	v_mul_f64 v[98:99], v[88:89], v[42:43]
	v_fma_f64 v[4:5], v[68:69], v[16:17], -v[4:5]
	s_waitcnt vmcnt(34)
	v_fmac_f64_e32 v[98:99], v[90:91], v[44:45]
	v_add_f64 v[2:3], v[2:3], v[4:5]
	v_mul_f64 v[4:5], v[74:75], v[26:27]
	v_add_f64 v[100:101], v[96:97], v[98:99]
	ds_read_b128 v[96:99], v1 offset:1680
	s_waitcnt vmcnt(33) lgkmcnt(1)
	v_mul_f64 v[102:103], v[92:93], v[38:39]
	v_fma_f64 v[4:5], v[72:73], v[28:29], -v[4:5]
	s_waitcnt vmcnt(32)
	v_fmac_f64_e32 v[102:103], v[94:95], v[40:41]
	v_add_f64 v[2:3], v[2:3], v[4:5]
	v_mul_f64 v[4:5], v[78:79], v[22:23]
	v_add_f64 v[104:105], v[100:101], v[102:103]
	ds_read_b128 v[100:103], v1 offset:1696
	v_fma_f64 v[4:5], v[76:77], v[24:25], -v[4:5]
	v_add_f64 v[2:3], v[2:3], v[4:5]
	v_mul_f64 v[4:5], v[82:83], v[34:35]
	v_fma_f64 v[4:5], v[80:81], v[36:37], -v[4:5]
	s_waitcnt vmcnt(28) lgkmcnt(1)
	v_mul_f64 v[106:107], v[96:97], v[50:51]
	v_add_f64 v[2:3], v[2:3], v[4:5]
	v_mul_f64 v[4:5], v[86:87], v[30:31]
	s_waitcnt vmcnt(26)
	v_fmac_f64_e32 v[106:107], v[98:99], v[124:125]
	v_fma_f64 v[4:5], v[84:85], v[32:33], -v[4:5]
	v_add_f64 v[108:109], v[104:105], v[106:107]
	ds_read_b128 v[104:107], v1 offset:1712
	s_waitcnt vmcnt(25) lgkmcnt(1)
	v_mul_f64 v[110:111], v[100:101], v[46:47]
	v_add_f64 v[2:3], v[2:3], v[4:5]
	v_mul_f64 v[4:5], v[90:91], v[42:43]
	s_waitcnt vmcnt(24)
	v_fmac_f64_e32 v[110:111], v[102:103], v[48:49]
	v_fma_f64 v[4:5], v[88:89], v[44:45], -v[4:5]
	v_add_f64 v[112:113], v[108:109], v[110:111]
	ds_read_b128 v[108:111], v1 offset:1728
	v_add_f64 v[2:3], v[2:3], v[4:5]
	v_mul_f64 v[4:5], v[94:95], v[38:39]
	v_fma_f64 v[4:5], v[92:93], v[40:41], -v[4:5]
	v_add_f64 v[2:3], v[2:3], v[4:5]
	v_mul_f64 v[4:5], v[98:99], v[50:51]
	s_waitcnt vmcnt(20) lgkmcnt(1)
	v_mul_f64 v[114:115], v[104:105], v[130:131]
	v_fma_f64 v[4:5], v[96:97], v[124:125], -v[4:5]
	s_waitcnt vmcnt(18)
	v_fmac_f64_e32 v[114:115], v[106:107], v[132:133]
	v_add_f64 v[2:3], v[2:3], v[4:5]
	v_mul_f64 v[4:5], v[102:103], v[46:47]
	v_add_f64 v[116:117], v[112:113], v[114:115]
	ds_read_b128 v[112:115], v1 offset:1744
	s_waitcnt vmcnt(17) lgkmcnt(1)
	v_mul_f64 v[118:119], v[108:109], v[126:127]
	v_fma_f64 v[4:5], v[100:101], v[48:49], -v[4:5]
	s_waitcnt vmcnt(16)
	v_fmac_f64_e32 v[118:119], v[110:111], v[128:129]
	v_add_f64 v[2:3], v[2:3], v[4:5]
	v_mul_f64 v[4:5], v[106:107], v[130:131]
	v_add_f64 v[150:151], v[116:117], v[118:119]
	ds_read_b128 v[116:119], v1 offset:1760
	v_fma_f64 v[4:5], v[104:105], v[132:133], -v[4:5]
	v_add_f64 v[2:3], v[2:3], v[4:5]
	v_mul_f64 v[4:5], v[110:111], v[126:127]
	v_fma_f64 v[4:5], v[108:109], v[128:129], -v[4:5]
	v_add_f64 v[2:3], v[2:3], v[4:5]
	s_waitcnt vmcnt(12) lgkmcnt(1)
	v_mul_f64 v[4:5], v[114:115], v[138:139]
	v_mul_f64 v[152:153], v[112:113], v[138:139]
	s_waitcnt vmcnt(10)
	v_fma_f64 v[4:5], v[112:113], v[140:141], -v[4:5]
	v_fmac_f64_e32 v[152:153], v[114:115], v[140:141]
	v_add_f64 v[2:3], v[2:3], v[4:5]
	s_waitcnt vmcnt(9) lgkmcnt(0)
	v_mul_f64 v[4:5], v[118:119], v[134:135]
	v_add_f64 v[150:151], v[150:151], v[152:153]
	v_mul_f64 v[152:153], v[116:117], v[134:135]
	s_waitcnt vmcnt(8)
	v_fma_f64 v[4:5], v[116:117], v[136:137], -v[4:5]
	v_fmac_f64_e32 v[152:153], v[118:119], v[136:137]
	v_add_f64 v[2:3], v[2:3], v[4:5]
	s_waitcnt vmcnt(6)
	v_mul_f64 v[4:5], v[122:123], v[142:143]
	v_add_f64 v[150:151], v[150:151], v[152:153]
	v_mul_f64 v[152:153], v[120:121], v[142:143]
	s_waitcnt vmcnt(4)
	v_fma_f64 v[4:5], v[120:121], v[144:145], -v[4:5]
	v_fmac_f64_e32 v[152:153], v[122:123], v[144:145]
	v_add_f64 v[2:3], v[2:3], v[4:5]
	v_add_f64 v[150:151], v[150:151], v[152:153]
	s_waitcnt vmcnt(2)
	v_add_f64 v[2:3], v[146:147], -v[2:3]
	s_waitcnt vmcnt(0)
	v_add_f64 v[4:5], v[148:149], -v[150:151]
	buffer_store_dword v3, off, s[0:3], 0 offset:612
	buffer_store_dword v2, off, s[0:3], 0 offset:608
	buffer_store_dword v5, off, s[0:3], 0 offset:620
	buffer_store_dword v4, off, s[0:3], 0 offset:616
	s_and_saveexec_b64 s[4:5], vcc
	s_cbranch_execz .LBB55_277
; %bb.276:
	v_accvgpr_read_b32 v1, a131
	buffer_load_dword v2, v1, s[0:3], 0 offen
	buffer_load_dword v3, v1, s[0:3], 0 offen offset:4
	buffer_load_dword v4, v1, s[0:3], 0 offen offset:8
	;; [unrolled: 1-line block ×3, first 2 shown]
	v_mov_b32_e32 v1, 0
	v_accvgpr_read_b32 v6, a167
	buffer_store_dword v1, off, s[0:3], 0 offset:592
	buffer_store_dword v1, off, s[0:3], 0 offset:596
	;; [unrolled: 1-line block ×4, first 2 shown]
	s_waitcnt vmcnt(4)
	ds_write_b128 v6, v[2:5]
.LBB55_277:
	s_or_b64 exec, exec, s[4:5]
	s_waitcnt lgkmcnt(0)
	; wave barrier
	s_waitcnt lgkmcnt(0)
	buffer_load_dword v2, off, s[0:3], 0 offset:608
	buffer_load_dword v3, off, s[0:3], 0 offset:612
	;; [unrolled: 1-line block ×76, first 2 shown]
	v_mov_b32_e32 v1, 0
	ds_read_b128 v[54:57], v1 offset:1488
	buffer_load_dword v154, off, s[0:3], 0 offset:592
	buffer_load_dword v155, off, s[0:3], 0 offset:596
	;; [unrolled: 1-line block ×4, first 2 shown]
	ds_read_b128 v[58:61], v1 offset:1504
	ds_read_b128 v[62:65], v1 offset:1520
	;; [unrolled: 1-line block ×4, first 2 shown]
	v_cmp_lt_u32_e32 vcc, 35, v0
	s_waitcnt vmcnt(62) lgkmcnt(4)
	v_mul_f64 v[70:71], v[54:55], v[8:9]
	v_fmac_f64_e32 v[70:71], v[56:57], v[2:3]
	v_add_f64 v[70:71], v[70:71], 0
	v_mul_f64 v[8:9], v[56:57], v[8:9]
	s_waitcnt lgkmcnt(3)
	v_mul_f64 v[72:73], v[58:59], v[10:11]
	v_fmac_f64_e32 v[72:73], v[60:61], v[4:5]
	v_add_f64 v[70:71], v[70:71], v[72:73]
	v_fma_f64 v[2:3], v[54:55], v[2:3], -v[8:9]
	s_waitcnt lgkmcnt(2)
	v_mul_f64 v[72:73], v[62:63], v[12:13]
	v_fmac_f64_e32 v[72:73], v[64:65], v[6:7]
	v_add_f64 v[74:75], v[70:71], v[72:73]
	ds_read_b128 v[70:73], v1 offset:1552
	s_waitcnt lgkmcnt(2)
	v_mul_f64 v[76:77], v[66:67], v[18:19]
	v_mul_f64 v[8:9], v[60:61], v[10:11]
	v_fmac_f64_e32 v[76:77], v[68:69], v[20:21]
	v_add_f64 v[78:79], v[74:75], v[76:77]
	ds_read_b128 v[74:77], v1 offset:1568
	s_waitcnt vmcnt(61) lgkmcnt(1)
	v_mul_f64 v[80:81], v[70:71], v[14:15]
	s_waitcnt vmcnt(60)
	v_fmac_f64_e32 v[80:81], v[72:73], v[16:17]
	v_add_f64 v[82:83], v[78:79], v[80:81]
	ds_read_b128 v[78:81], v1 offset:1584
	s_waitcnt vmcnt(56) lgkmcnt(1)
	v_mul_f64 v[84:85], v[74:75], v[26:27]
	s_waitcnt vmcnt(54)
	;; [unrolled: 6-line block ×4, first 2 shown]
	v_fmac_f64_e32 v[92:93], v[84:85], v[36:37]
	v_add_f64 v[94:95], v[90:91], v[92:93]
	ds_read_b128 v[90:93], v1 offset:1632
	v_add_f64 v[2:3], v[2:3], 0
	v_fma_f64 v[4:5], v[58:59], v[4:5], -v[8:9]
	s_waitcnt vmcnt(45) lgkmcnt(1)
	v_mul_f64 v[96:97], v[86:87], v[30:31]
	v_add_f64 v[2:3], v[2:3], v[4:5]
	v_mul_f64 v[4:5], v[64:65], v[12:13]
	s_waitcnt vmcnt(44)
	v_fmac_f64_e32 v[96:97], v[88:89], v[32:33]
	v_fma_f64 v[4:5], v[62:63], v[6:7], -v[4:5]
	v_add_f64 v[98:99], v[94:95], v[96:97]
	ds_read_b128 v[94:97], v1 offset:1648
	s_waitcnt vmcnt(40) lgkmcnt(1)
	v_mul_f64 v[100:101], v[90:91], v[42:43]
	v_add_f64 v[2:3], v[2:3], v[4:5]
	v_mul_f64 v[4:5], v[68:69], v[18:19]
	s_waitcnt vmcnt(38)
	v_fmac_f64_e32 v[100:101], v[92:93], v[44:45]
	v_fma_f64 v[4:5], v[66:67], v[20:21], -v[4:5]
	v_add_f64 v[102:103], v[98:99], v[100:101]
	ds_read_b128 v[98:101], v1 offset:1664
	v_add_f64 v[2:3], v[2:3], v[4:5]
	v_mul_f64 v[4:5], v[72:73], v[14:15]
	v_fma_f64 v[4:5], v[70:71], v[16:17], -v[4:5]
	v_add_f64 v[2:3], v[2:3], v[4:5]
	v_mul_f64 v[4:5], v[76:77], v[26:27]
	s_waitcnt vmcnt(37) lgkmcnt(1)
	v_mul_f64 v[104:105], v[94:95], v[38:39]
	v_fma_f64 v[4:5], v[74:75], v[28:29], -v[4:5]
	s_waitcnt vmcnt(36)
	v_fmac_f64_e32 v[104:105], v[96:97], v[40:41]
	v_add_f64 v[2:3], v[2:3], v[4:5]
	v_mul_f64 v[4:5], v[80:81], v[22:23]
	v_add_f64 v[106:107], v[102:103], v[104:105]
	ds_read_b128 v[102:105], v1 offset:1680
	s_waitcnt vmcnt(32) lgkmcnt(1)
	v_mul_f64 v[108:109], v[98:99], v[50:51]
	v_fma_f64 v[4:5], v[78:79], v[24:25], -v[4:5]
	s_waitcnt vmcnt(30)
	v_fmac_f64_e32 v[108:109], v[100:101], v[52:53]
	v_add_f64 v[2:3], v[2:3], v[4:5]
	v_mul_f64 v[4:5], v[84:85], v[34:35]
	v_add_f64 v[110:111], v[106:107], v[108:109]
	ds_read_b128 v[106:109], v1 offset:1696
	v_fma_f64 v[4:5], v[82:83], v[36:37], -v[4:5]
	v_add_f64 v[2:3], v[2:3], v[4:5]
	v_mul_f64 v[4:5], v[88:89], v[30:31]
	v_fma_f64 v[4:5], v[86:87], v[32:33], -v[4:5]
	s_waitcnt vmcnt(29) lgkmcnt(1)
	v_mul_f64 v[112:113], v[102:103], v[46:47]
	v_add_f64 v[2:3], v[2:3], v[4:5]
	v_mul_f64 v[4:5], v[92:93], v[42:43]
	s_waitcnt vmcnt(28)
	v_fmac_f64_e32 v[112:113], v[104:105], v[48:49]
	v_fma_f64 v[4:5], v[90:91], v[44:45], -v[4:5]
	v_add_f64 v[114:115], v[110:111], v[112:113]
	ds_read_b128 v[110:113], v1 offset:1712
	s_waitcnt vmcnt(24) lgkmcnt(1)
	v_mul_f64 v[116:117], v[106:107], v[134:135]
	v_add_f64 v[2:3], v[2:3], v[4:5]
	v_mul_f64 v[4:5], v[96:97], v[38:39]
	s_waitcnt vmcnt(22)
	v_fmac_f64_e32 v[116:117], v[108:109], v[136:137]
	v_fma_f64 v[4:5], v[94:95], v[40:41], -v[4:5]
	v_add_f64 v[118:119], v[114:115], v[116:117]
	ds_read_b128 v[114:117], v1 offset:1728
	v_add_f64 v[2:3], v[2:3], v[4:5]
	v_mul_f64 v[4:5], v[100:101], v[50:51]
	v_fma_f64 v[4:5], v[98:99], v[52:53], -v[4:5]
	v_add_f64 v[2:3], v[2:3], v[4:5]
	v_mul_f64 v[4:5], v[104:105], v[46:47]
	s_waitcnt vmcnt(21) lgkmcnt(1)
	v_mul_f64 v[120:121], v[110:111], v[130:131]
	v_fma_f64 v[4:5], v[102:103], v[48:49], -v[4:5]
	s_waitcnt vmcnt(20)
	v_fmac_f64_e32 v[120:121], v[112:113], v[132:133]
	v_add_f64 v[2:3], v[2:3], v[4:5]
	v_mul_f64 v[4:5], v[108:109], v[134:135]
	v_add_f64 v[122:123], v[118:119], v[120:121]
	ds_read_b128 v[118:121], v1 offset:1744
	s_waitcnt vmcnt(16) lgkmcnt(1)
	v_mul_f64 v[124:125], v[114:115], v[142:143]
	v_fma_f64 v[4:5], v[106:107], v[136:137], -v[4:5]
	s_waitcnt vmcnt(14)
	v_fmac_f64_e32 v[124:125], v[116:117], v[144:145]
	v_add_f64 v[2:3], v[2:3], v[4:5]
	v_mul_f64 v[4:5], v[112:113], v[130:131]
	v_add_f64 v[158:159], v[122:123], v[124:125]
	ds_read_b128 v[122:125], v1 offset:1760
	v_fma_f64 v[4:5], v[110:111], v[132:133], -v[4:5]
	v_add_f64 v[2:3], v[2:3], v[4:5]
	v_mul_f64 v[4:5], v[116:117], v[142:143]
	v_fma_f64 v[4:5], v[114:115], v[144:145], -v[4:5]
	v_add_f64 v[2:3], v[2:3], v[4:5]
	s_waitcnt vmcnt(13) lgkmcnt(1)
	v_mul_f64 v[4:5], v[120:121], v[138:139]
	v_mul_f64 v[160:161], v[118:119], v[138:139]
	s_waitcnt vmcnt(12)
	v_fma_f64 v[4:5], v[118:119], v[140:141], -v[4:5]
	v_fmac_f64_e32 v[160:161], v[120:121], v[140:141]
	v_add_f64 v[2:3], v[2:3], v[4:5]
	s_waitcnt vmcnt(8) lgkmcnt(0)
	v_mul_f64 v[4:5], v[124:125], v[150:151]
	v_add_f64 v[158:159], v[158:159], v[160:161]
	v_mul_f64 v[160:161], v[122:123], v[150:151]
	s_waitcnt vmcnt(6)
	v_fma_f64 v[4:5], v[122:123], v[152:153], -v[4:5]
	v_fmac_f64_e32 v[160:161], v[124:125], v[152:153]
	v_add_f64 v[2:3], v[2:3], v[4:5]
	s_waitcnt vmcnt(5)
	v_mul_f64 v[4:5], v[128:129], v[146:147]
	v_add_f64 v[158:159], v[158:159], v[160:161]
	v_mul_f64 v[160:161], v[126:127], v[146:147]
	s_waitcnt vmcnt(4)
	v_fma_f64 v[4:5], v[126:127], v[148:149], -v[4:5]
	v_fmac_f64_e32 v[160:161], v[128:129], v[148:149]
	v_add_f64 v[2:3], v[2:3], v[4:5]
	v_add_f64 v[158:159], v[158:159], v[160:161]
	s_waitcnt vmcnt(2)
	v_add_f64 v[2:3], v[154:155], -v[2:3]
	s_waitcnt vmcnt(0)
	v_add_f64 v[4:5], v[156:157], -v[158:159]
	buffer_store_dword v3, off, s[0:3], 0 offset:596
	buffer_store_dword v2, off, s[0:3], 0 offset:592
	;; [unrolled: 1-line block ×4, first 2 shown]
	s_and_saveexec_b64 s[4:5], vcc
	s_cbranch_execz .LBB55_279
; %bb.278:
	v_accvgpr_read_b32 v5, a132
	buffer_load_dword v2, v5, s[0:3], 0 offen
	buffer_load_dword v3, v5, s[0:3], 0 offen offset:4
	buffer_load_dword v4, v5, s[0:3], 0 offen offset:8
	s_nop 0
	buffer_load_dword v5, v5, s[0:3], 0 offen offset:12
	v_accvgpr_read_b32 v6, a167
	buffer_store_dword v1, off, s[0:3], 0 offset:576
	buffer_store_dword v1, off, s[0:3], 0 offset:580
	;; [unrolled: 1-line block ×4, first 2 shown]
	s_waitcnt vmcnt(4)
	ds_write_b128 v6, v[2:5]
.LBB55_279:
	s_or_b64 exec, exec, s[4:5]
	s_waitcnt lgkmcnt(0)
	; wave barrier
	s_waitcnt lgkmcnt(0)
	buffer_load_dword v2, off, s[0:3], 0 offset:592
	buffer_load_dword v3, off, s[0:3], 0 offset:596
	;; [unrolled: 1-line block ×76, first 2 shown]
	ds_read_b128 v[54:57], v1 offset:1472
	buffer_load_dword v159, off, s[0:3], 0 offset:908
	buffer_load_dword v158, off, s[0:3], 0 offset:904
	;; [unrolled: 1-line block ×8, first 2 shown]
	ds_read_b128 v[58:61], v1 offset:1488
	ds_read_b128 v[62:65], v1 offset:1504
	;; [unrolled: 1-line block ×3, first 2 shown]
	v_cmp_lt_u32_e32 vcc, 34, v0
	ds_read_b128 v[130:133], v1 offset:1776
	s_waitcnt vmcnt(62) lgkmcnt(4)
	v_mul_f64 v[70:71], v[54:55], v[8:9]
	v_fmac_f64_e32 v[70:71], v[56:57], v[2:3]
	v_add_f64 v[70:71], v[70:71], 0
	v_mul_f64 v[8:9], v[56:57], v[8:9]
	s_waitcnt lgkmcnt(3)
	v_mul_f64 v[72:73], v[58:59], v[10:11]
	v_fmac_f64_e32 v[72:73], v[60:61], v[4:5]
	v_add_f64 v[70:71], v[70:71], v[72:73]
	v_fma_f64 v[2:3], v[54:55], v[2:3], -v[8:9]
	s_waitcnt lgkmcnt(2)
	v_mul_f64 v[72:73], v[62:63], v[12:13]
	v_fmac_f64_e32 v[72:73], v[64:65], v[6:7]
	v_add_f64 v[74:75], v[70:71], v[72:73]
	ds_read_b128 v[70:73], v1 offset:1536
	v_mul_f64 v[8:9], v[60:61], v[10:11]
	v_add_f64 v[2:3], v[2:3], 0
	s_waitcnt lgkmcnt(2)
	v_mul_f64 v[76:77], v[66:67], v[18:19]
	v_fma_f64 v[4:5], v[58:59], v[4:5], -v[8:9]
	v_fmac_f64_e32 v[76:77], v[68:69], v[20:21]
	v_add_f64 v[78:79], v[74:75], v[76:77]
	ds_read_b128 v[74:77], v1 offset:1552
	s_waitcnt lgkmcnt(1)
	v_mul_f64 v[80:81], v[70:71], v[14:15]
	v_fmac_f64_e32 v[80:81], v[72:73], v[16:17]
	v_add_f64 v[82:83], v[78:79], v[80:81]
	ds_read_b128 v[78:81], v1 offset:1568
	s_waitcnt vmcnt(58) lgkmcnt(1)
	v_mul_f64 v[84:85], v[74:75], v[26:27]
	s_waitcnt vmcnt(56)
	v_fmac_f64_e32 v[84:85], v[76:77], v[28:29]
	v_add_f64 v[86:87], v[82:83], v[84:85]
	ds_read_b128 v[82:85], v1 offset:1584
	s_waitcnt lgkmcnt(1)
	v_mul_f64 v[88:89], v[78:79], v[22:23]
	v_fmac_f64_e32 v[88:89], v[80:81], v[24:25]
	v_add_f64 v[90:91], v[86:87], v[88:89]
	ds_read_b128 v[86:89], v1 offset:1600
	s_waitcnt vmcnt(50) lgkmcnt(1)
	v_mul_f64 v[92:93], v[82:83], v[34:35]
	s_waitcnt vmcnt(48)
	v_fmac_f64_e32 v[92:93], v[84:85], v[36:37]
	v_add_f64 v[94:95], v[90:91], v[92:93]
	ds_read_b128 v[90:93], v1 offset:1616
	s_waitcnt lgkmcnt(1)
	v_mul_f64 v[96:97], v[86:87], v[30:31]
	v_fmac_f64_e32 v[96:97], v[88:89], v[32:33]
	v_add_f64 v[98:99], v[94:95], v[96:97]
	ds_read_b128 v[94:97], v1 offset:1632
	v_add_f64 v[2:3], v[2:3], v[4:5]
	v_mul_f64 v[4:5], v[64:65], v[12:13]
	v_fma_f64 v[4:5], v[62:63], v[6:7], -v[4:5]
	s_waitcnt vmcnt(42) lgkmcnt(1)
	v_mul_f64 v[100:101], v[90:91], v[42:43]
	v_add_f64 v[2:3], v[2:3], v[4:5]
	v_mul_f64 v[4:5], v[68:69], v[18:19]
	s_waitcnt vmcnt(40)
	v_fmac_f64_e32 v[100:101], v[92:93], v[44:45]
	v_fma_f64 v[4:5], v[66:67], v[20:21], -v[4:5]
	v_add_f64 v[102:103], v[98:99], v[100:101]
	ds_read_b128 v[98:101], v1 offset:1648
	s_waitcnt lgkmcnt(1)
	v_mul_f64 v[104:105], v[94:95], v[38:39]
	v_add_f64 v[2:3], v[2:3], v[4:5]
	v_mul_f64 v[4:5], v[72:73], v[14:15]
	v_fmac_f64_e32 v[104:105], v[96:97], v[40:41]
	v_fma_f64 v[4:5], v[70:71], v[16:17], -v[4:5]
	v_add_f64 v[106:107], v[102:103], v[104:105]
	ds_read_b128 v[102:105], v1 offset:1664
	v_add_f64 v[2:3], v[2:3], v[4:5]
	v_mul_f64 v[4:5], v[76:77], v[26:27]
	v_fma_f64 v[4:5], v[74:75], v[28:29], -v[4:5]
	v_add_f64 v[2:3], v[2:3], v[4:5]
	v_mul_f64 v[4:5], v[80:81], v[22:23]
	s_waitcnt vmcnt(34) lgkmcnt(1)
	v_mul_f64 v[108:109], v[98:99], v[50:51]
	v_fma_f64 v[4:5], v[78:79], v[24:25], -v[4:5]
	s_waitcnt vmcnt(32)
	v_fmac_f64_e32 v[108:109], v[100:101], v[52:53]
	v_add_f64 v[2:3], v[2:3], v[4:5]
	v_mul_f64 v[4:5], v[84:85], v[34:35]
	v_add_f64 v[110:111], v[106:107], v[108:109]
	ds_read_b128 v[106:109], v1 offset:1680
	s_waitcnt lgkmcnt(1)
	v_mul_f64 v[112:113], v[102:103], v[46:47]
	v_fma_f64 v[4:5], v[82:83], v[36:37], -v[4:5]
	v_fmac_f64_e32 v[112:113], v[104:105], v[48:49]
	v_add_f64 v[2:3], v[2:3], v[4:5]
	v_mul_f64 v[4:5], v[88:89], v[30:31]
	v_add_f64 v[114:115], v[110:111], v[112:113]
	ds_read_b128 v[110:113], v1 offset:1696
	v_fma_f64 v[4:5], v[86:87], v[32:33], -v[4:5]
	v_add_f64 v[2:3], v[2:3], v[4:5]
	v_mul_f64 v[4:5], v[92:93], v[42:43]
	v_fma_f64 v[4:5], v[90:91], v[44:45], -v[4:5]
	s_waitcnt vmcnt(26) lgkmcnt(1)
	v_mul_f64 v[116:117], v[106:107], v[138:139]
	v_add_f64 v[2:3], v[2:3], v[4:5]
	v_mul_f64 v[4:5], v[96:97], v[38:39]
	s_waitcnt vmcnt(24)
	v_fmac_f64_e32 v[116:117], v[108:109], v[140:141]
	v_fma_f64 v[4:5], v[94:95], v[40:41], -v[4:5]
	v_add_f64 v[118:119], v[114:115], v[116:117]
	ds_read_b128 v[114:117], v1 offset:1712
	s_waitcnt lgkmcnt(1)
	v_mul_f64 v[120:121], v[110:111], v[134:135]
	v_add_f64 v[2:3], v[2:3], v[4:5]
	v_mul_f64 v[4:5], v[100:101], v[50:51]
	v_fmac_f64_e32 v[120:121], v[112:113], v[136:137]
	v_fma_f64 v[4:5], v[98:99], v[52:53], -v[4:5]
	v_add_f64 v[122:123], v[118:119], v[120:121]
	ds_read_b128 v[118:121], v1 offset:1728
	v_add_f64 v[2:3], v[2:3], v[4:5]
	v_mul_f64 v[4:5], v[104:105], v[46:47]
	v_fma_f64 v[4:5], v[102:103], v[48:49], -v[4:5]
	v_add_f64 v[2:3], v[2:3], v[4:5]
	v_mul_f64 v[4:5], v[108:109], v[138:139]
	s_waitcnt vmcnt(18) lgkmcnt(1)
	v_mul_f64 v[124:125], v[114:115], v[146:147]
	v_fma_f64 v[4:5], v[106:107], v[140:141], -v[4:5]
	s_waitcnt vmcnt(16)
	v_fmac_f64_e32 v[124:125], v[116:117], v[148:149]
	v_add_f64 v[2:3], v[2:3], v[4:5]
	v_mul_f64 v[4:5], v[112:113], v[134:135]
	v_add_f64 v[126:127], v[122:123], v[124:125]
	ds_read_b128 v[122:125], v1 offset:1744
	s_waitcnt lgkmcnt(1)
	v_mul_f64 v[128:129], v[118:119], v[142:143]
	v_fma_f64 v[4:5], v[110:111], v[136:137], -v[4:5]
	v_fmac_f64_e32 v[128:129], v[120:121], v[144:145]
	v_add_f64 v[2:3], v[2:3], v[4:5]
	v_mul_f64 v[4:5], v[116:117], v[146:147]
	v_add_f64 v[166:167], v[126:127], v[128:129]
	ds_read_b128 v[126:129], v1 offset:1760
	v_fma_f64 v[4:5], v[114:115], v[148:149], -v[4:5]
	v_add_f64 v[2:3], v[2:3], v[4:5]
	v_mul_f64 v[4:5], v[120:121], v[142:143]
	v_fma_f64 v[4:5], v[118:119], v[144:145], -v[4:5]
	v_add_f64 v[2:3], v[2:3], v[4:5]
	s_waitcnt vmcnt(10) lgkmcnt(1)
	v_mul_f64 v[4:5], v[124:125], v[154:155]
	v_mul_f64 v[168:169], v[122:123], v[154:155]
	s_waitcnt vmcnt(8)
	v_fma_f64 v[4:5], v[122:123], v[156:157], -v[4:5]
	v_fmac_f64_e32 v[168:169], v[124:125], v[156:157]
	v_add_f64 v[2:3], v[2:3], v[4:5]
	s_waitcnt lgkmcnt(0)
	v_mul_f64 v[4:5], v[128:129], v[150:151]
	v_add_f64 v[166:167], v[166:167], v[168:169]
	v_mul_f64 v[168:169], v[126:127], v[150:151]
	v_fma_f64 v[4:5], v[126:127], v[152:153], -v[4:5]
	v_fmac_f64_e32 v[168:169], v[128:129], v[152:153]
	v_add_f64 v[2:3], v[2:3], v[4:5]
	s_waitcnt vmcnt(6)
	v_mul_f64 v[4:5], v[132:133], v[158:159]
	v_add_f64 v[166:167], v[166:167], v[168:169]
	v_mul_f64 v[168:169], v[130:131], v[158:159]
	s_waitcnt vmcnt(4)
	v_fma_f64 v[4:5], v[130:131], v[160:161], -v[4:5]
	v_fmac_f64_e32 v[168:169], v[132:133], v[160:161]
	v_add_f64 v[2:3], v[2:3], v[4:5]
	v_add_f64 v[166:167], v[166:167], v[168:169]
	s_waitcnt vmcnt(2)
	v_add_f64 v[2:3], v[162:163], -v[2:3]
	s_waitcnt vmcnt(0)
	v_add_f64 v[4:5], v[164:165], -v[166:167]
	buffer_store_dword v3, off, s[0:3], 0 offset:580
	buffer_store_dword v2, off, s[0:3], 0 offset:576
	;; [unrolled: 1-line block ×4, first 2 shown]
	s_and_saveexec_b64 s[4:5], vcc
	s_cbranch_execz .LBB55_281
; %bb.280:
	v_accvgpr_read_b32 v1, a133
	buffer_load_dword v2, v1, s[0:3], 0 offen
	buffer_load_dword v3, v1, s[0:3], 0 offen offset:4
	buffer_load_dword v4, v1, s[0:3], 0 offen offset:8
	;; [unrolled: 1-line block ×3, first 2 shown]
	v_mov_b32_e32 v1, 0
	v_accvgpr_read_b32 v6, a167
	buffer_store_dword v1, off, s[0:3], 0 offset:560
	buffer_store_dword v1, off, s[0:3], 0 offset:564
	;; [unrolled: 1-line block ×4, first 2 shown]
	s_waitcnt vmcnt(4)
	ds_write_b128 v6, v[2:5]
.LBB55_281:
	s_or_b64 exec, exec, s[4:5]
	s_waitcnt lgkmcnt(0)
	; wave barrier
	s_waitcnt lgkmcnt(0)
	buffer_load_dword v4, off, s[0:3], 0 offset:560
	buffer_load_dword v5, off, s[0:3], 0 offset:564
	;; [unrolled: 1-line block ×84, first 2 shown]
	v_mov_b32_e32 v1, 0
	ds_read_b128 v[66:69], v1 offset:1456
	buffer_load_dword v171, off, s[0:3], 0 offset:908
	buffer_load_dword v170, off, s[0:3], 0 offset:904
	;; [unrolled: 1-line block ×4, first 2 shown]
	ds_read_b128 v[70:73], v1 offset:1472
	ds_read_b128 v[74:77], v1 offset:1488
	;; [unrolled: 1-line block ×4, first 2 shown]
	v_cmp_lt_u32_e32 vcc, 33, v0
	s_waitcnt vmcnt(62) lgkmcnt(4)
	v_mul_f64 v[82:83], v[66:67], v[12:13]
	v_fmac_f64_e32 v[82:83], v[68:69], v[6:7]
	s_waitcnt lgkmcnt(3)
	v_mul_f64 v[84:85], v[70:71], v[14:15]
	v_add_f64 v[82:83], v[82:83], 0
	v_fmac_f64_e32 v[84:85], v[72:73], v[8:9]
	v_add_f64 v[82:83], v[82:83], v[84:85]
	s_waitcnt lgkmcnt(2)
	v_mul_f64 v[84:85], v[74:75], v[16:17]
	v_fmac_f64_e32 v[84:85], v[76:77], v[10:11]
	v_add_f64 v[86:87], v[82:83], v[84:85]
	ds_read_b128 v[82:85], v1 offset:1520
	v_mul_f64 v[12:13], v[68:69], v[12:13]
	s_waitcnt lgkmcnt(2)
	v_mul_f64 v[88:89], v[78:79], v[22:23]
	v_fma_f64 v[6:7], v[66:67], v[6:7], -v[12:13]
	v_fmac_f64_e32 v[88:89], v[80:81], v[24:25]
	v_add_f64 v[90:91], v[86:87], v[88:89]
	ds_read_b128 v[86:89], v1 offset:1536
	s_waitcnt lgkmcnt(1)
	v_mul_f64 v[92:93], v[82:83], v[18:19]
	v_fmac_f64_e32 v[92:93], v[84:85], v[20:21]
	v_add_f64 v[94:95], v[90:91], v[92:93]
	ds_read_b128 v[90:93], v1 offset:1552
	s_waitcnt vmcnt(58) lgkmcnt(1)
	v_mul_f64 v[96:97], v[86:87], v[30:31]
	s_waitcnt vmcnt(56)
	v_fmac_f64_e32 v[96:97], v[88:89], v[32:33]
	v_add_f64 v[98:99], v[94:95], v[96:97]
	ds_read_b128 v[94:97], v1 offset:1568
	s_waitcnt lgkmcnt(1)
	v_mul_f64 v[100:101], v[90:91], v[26:27]
	v_fmac_f64_e32 v[100:101], v[92:93], v[28:29]
	v_add_f64 v[102:103], v[98:99], v[100:101]
	ds_read_b128 v[98:101], v1 offset:1584
	s_waitcnt vmcnt(50) lgkmcnt(1)
	v_mul_f64 v[104:105], v[94:95], v[38:39]
	s_waitcnt vmcnt(48)
	v_fmac_f64_e32 v[104:105], v[96:97], v[40:41]
	v_add_f64 v[106:107], v[102:103], v[104:105]
	ds_read_b128 v[102:105], v1 offset:1600
	s_waitcnt lgkmcnt(1)
	v_mul_f64 v[108:109], v[98:99], v[34:35]
	v_fmac_f64_e32 v[108:109], v[100:101], v[36:37]
	v_mul_f64 v[12:13], v[72:73], v[14:15]
	v_add_f64 v[110:111], v[106:107], v[108:109]
	ds_read_b128 v[106:109], v1 offset:1616
	s_waitcnt vmcnt(42) lgkmcnt(1)
	v_mul_f64 v[112:113], v[102:103], v[46:47]
	v_add_f64 v[6:7], v[6:7], 0
	v_fma_f64 v[8:9], v[70:71], v[8:9], -v[12:13]
	s_waitcnt vmcnt(40)
	v_fmac_f64_e32 v[112:113], v[104:105], v[48:49]
	v_add_f64 v[6:7], v[6:7], v[8:9]
	v_mul_f64 v[8:9], v[76:77], v[16:17]
	v_add_f64 v[114:115], v[110:111], v[112:113]
	ds_read_b128 v[110:113], v1 offset:1632
	v_fma_f64 v[8:9], v[74:75], v[10:11], -v[8:9]
	v_add_f64 v[6:7], v[6:7], v[8:9]
	v_mul_f64 v[8:9], v[80:81], v[22:23]
	v_fma_f64 v[8:9], v[78:79], v[24:25], -v[8:9]
	s_waitcnt lgkmcnt(1)
	v_mul_f64 v[116:117], v[106:107], v[42:43]
	v_add_f64 v[6:7], v[6:7], v[8:9]
	v_mul_f64 v[8:9], v[84:85], v[18:19]
	v_fmac_f64_e32 v[116:117], v[108:109], v[44:45]
	v_fma_f64 v[8:9], v[82:83], v[20:21], -v[8:9]
	v_add_f64 v[118:119], v[114:115], v[116:117]
	ds_read_b128 v[114:117], v1 offset:1648
	s_waitcnt vmcnt(34) lgkmcnt(1)
	v_mul_f64 v[120:121], v[110:111], v[54:55]
	v_add_f64 v[6:7], v[6:7], v[8:9]
	v_mul_f64 v[8:9], v[88:89], v[30:31]
	s_waitcnt vmcnt(32)
	v_fmac_f64_e32 v[120:121], v[112:113], v[56:57]
	v_fma_f64 v[8:9], v[86:87], v[32:33], -v[8:9]
	v_add_f64 v[122:123], v[118:119], v[120:121]
	ds_read_b128 v[118:121], v1 offset:1664
	v_add_f64 v[6:7], v[6:7], v[8:9]
	v_mul_f64 v[8:9], v[92:93], v[26:27]
	v_fma_f64 v[8:9], v[90:91], v[28:29], -v[8:9]
	v_add_f64 v[6:7], v[6:7], v[8:9]
	v_mul_f64 v[8:9], v[96:97], v[38:39]
	s_waitcnt lgkmcnt(1)
	v_mul_f64 v[124:125], v[114:115], v[50:51]
	v_fma_f64 v[8:9], v[94:95], v[40:41], -v[8:9]
	v_fmac_f64_e32 v[124:125], v[116:117], v[52:53]
	v_add_f64 v[6:7], v[6:7], v[8:9]
	v_mul_f64 v[8:9], v[100:101], v[34:35]
	v_add_f64 v[126:127], v[122:123], v[124:125]
	ds_read_b128 v[122:125], v1 offset:1680
	s_waitcnt vmcnt(26) lgkmcnt(1)
	v_mul_f64 v[128:129], v[118:119], v[62:63]
	v_fma_f64 v[8:9], v[98:99], v[36:37], -v[8:9]
	s_waitcnt vmcnt(24)
	v_fmac_f64_e32 v[128:129], v[120:121], v[64:65]
	v_add_f64 v[6:7], v[6:7], v[8:9]
	v_mul_f64 v[8:9], v[104:105], v[46:47]
	v_add_f64 v[130:131], v[126:127], v[128:129]
	ds_read_b128 v[126:129], v1 offset:1696
	v_fma_f64 v[8:9], v[102:103], v[48:49], -v[8:9]
	v_add_f64 v[6:7], v[6:7], v[8:9]
	v_mul_f64 v[8:9], v[108:109], v[42:43]
	v_fma_f64 v[8:9], v[106:107], v[44:45], -v[8:9]
	s_waitcnt lgkmcnt(1)
	v_mul_f64 v[132:133], v[122:123], v[58:59]
	v_add_f64 v[6:7], v[6:7], v[8:9]
	v_mul_f64 v[8:9], v[112:113], v[54:55]
	v_fmac_f64_e32 v[132:133], v[124:125], v[60:61]
	v_fma_f64 v[8:9], v[110:111], v[56:57], -v[8:9]
	v_add_f64 v[134:135], v[130:131], v[132:133]
	ds_read_b128 v[130:133], v1 offset:1712
	s_waitcnt vmcnt(18) lgkmcnt(1)
	v_mul_f64 v[136:137], v[126:127], v[154:155]
	v_add_f64 v[6:7], v[6:7], v[8:9]
	v_mul_f64 v[8:9], v[116:117], v[50:51]
	s_waitcnt vmcnt(16)
	v_fmac_f64_e32 v[136:137], v[128:129], v[156:157]
	v_fma_f64 v[8:9], v[114:115], v[52:53], -v[8:9]
	v_add_f64 v[138:139], v[134:135], v[136:137]
	ds_read_b128 v[134:137], v1 offset:1728
	v_add_f64 v[6:7], v[6:7], v[8:9]
	v_mul_f64 v[8:9], v[120:121], v[62:63]
	v_fma_f64 v[8:9], v[118:119], v[64:65], -v[8:9]
	v_add_f64 v[6:7], v[6:7], v[8:9]
	v_mul_f64 v[8:9], v[124:125], v[58:59]
	s_waitcnt lgkmcnt(1)
	v_mul_f64 v[140:141], v[130:131], v[150:151]
	v_fma_f64 v[8:9], v[122:123], v[60:61], -v[8:9]
	v_fmac_f64_e32 v[140:141], v[132:133], v[152:153]
	v_add_f64 v[6:7], v[6:7], v[8:9]
	v_mul_f64 v[8:9], v[128:129], v[154:155]
	v_add_f64 v[142:143], v[138:139], v[140:141]
	ds_read_b128 v[138:141], v1 offset:1744
	s_waitcnt vmcnt(10) lgkmcnt(1)
	v_mul_f64 v[144:145], v[134:135], v[162:163]
	v_fma_f64 v[8:9], v[126:127], v[156:157], -v[8:9]
	s_waitcnt vmcnt(8)
	v_fmac_f64_e32 v[144:145], v[136:137], v[164:165]
	v_add_f64 v[6:7], v[6:7], v[8:9]
	v_mul_f64 v[8:9], v[132:133], v[150:151]
	v_add_f64 v[174:175], v[142:143], v[144:145]
	ds_read_b128 v[142:145], v1 offset:1760
	v_fma_f64 v[8:9], v[130:131], v[152:153], -v[8:9]
	v_add_f64 v[6:7], v[6:7], v[8:9]
	v_mul_f64 v[8:9], v[136:137], v[162:163]
	v_fma_f64 v[8:9], v[134:135], v[164:165], -v[8:9]
	v_add_f64 v[6:7], v[6:7], v[8:9]
	s_waitcnt lgkmcnt(1)
	v_mul_f64 v[8:9], v[140:141], v[158:159]
	v_mul_f64 v[176:177], v[138:139], v[158:159]
	v_fma_f64 v[8:9], v[138:139], v[160:161], -v[8:9]
	v_fmac_f64_e32 v[176:177], v[140:141], v[160:161]
	v_add_f64 v[6:7], v[6:7], v[8:9]
	s_waitcnt vmcnt(6) lgkmcnt(0)
	v_mul_f64 v[8:9], v[144:145], v[166:167]
	v_add_f64 v[174:175], v[174:175], v[176:177]
	v_mul_f64 v[176:177], v[142:143], v[166:167]
	s_waitcnt vmcnt(4)
	v_fma_f64 v[8:9], v[142:143], v[168:169], -v[8:9]
	v_fmac_f64_e32 v[176:177], v[144:145], v[168:169]
	v_add_f64 v[6:7], v[6:7], v[8:9]
	s_waitcnt vmcnt(2)
	v_mul_f64 v[8:9], v[148:149], v[170:171]
	v_add_f64 v[174:175], v[174:175], v[176:177]
	v_mul_f64 v[176:177], v[146:147], v[170:171]
	s_waitcnt vmcnt(0)
	v_fma_f64 v[8:9], v[146:147], v[172:173], -v[8:9]
	v_fmac_f64_e32 v[176:177], v[148:149], v[172:173]
	v_add_f64 v[6:7], v[6:7], v[8:9]
	v_add_f64 v[174:175], v[174:175], v[176:177]
	v_add_f64 v[4:5], v[4:5], -v[6:7]
	v_add_f64 v[2:3], v[2:3], -v[174:175]
	buffer_store_dword v5, off, s[0:3], 0 offset:564
	buffer_store_dword v4, off, s[0:3], 0 offset:560
	;; [unrolled: 1-line block ×4, first 2 shown]
	s_and_saveexec_b64 s[4:5], vcc
	s_cbranch_execz .LBB55_283
; %bb.282:
	v_accvgpr_read_b32 v5, a134
	buffer_load_dword v2, v5, s[0:3], 0 offen
	buffer_load_dword v3, v5, s[0:3], 0 offen offset:4
	buffer_load_dword v4, v5, s[0:3], 0 offen offset:8
	s_nop 0
	buffer_load_dword v5, v5, s[0:3], 0 offen offset:12
	v_accvgpr_read_b32 v6, a167
	buffer_store_dword v1, off, s[0:3], 0 offset:544
	buffer_store_dword v1, off, s[0:3], 0 offset:548
	;; [unrolled: 1-line block ×4, first 2 shown]
	s_waitcnt vmcnt(4)
	ds_write_b128 v6, v[2:5]
.LBB55_283:
	s_or_b64 exec, exec, s[4:5]
	s_waitcnt lgkmcnt(0)
	; wave barrier
	s_waitcnt lgkmcnt(0)
	ds_read_b128 v[14:17], v1 offset:1440
	ds_read_b128 v[10:13], v1 offset:1456
	;; [unrolled: 1-line block ×4, first 2 shown]
	buffer_load_dword v20, off, s[0:3], 0 offset:544
	buffer_load_dword v21, off, s[0:3], 0 offset:548
	;; [unrolled: 1-line block ×92, first 2 shown]
	s_waitcnt vmcnt(62) lgkmcnt(3)
	v_mul_f64 v[86:87], v[14:15], v[28:29]
	v_fmac_f64_e32 v[86:87], v[16:17], v[22:23]
	s_waitcnt lgkmcnt(2)
	v_mul_f64 v[88:89], v[10:11], v[30:31]
	v_add_f64 v[86:87], v[86:87], 0
	v_fmac_f64_e32 v[88:89], v[12:13], v[24:25]
	v_add_f64 v[86:87], v[86:87], v[88:89]
	s_waitcnt lgkmcnt(1)
	v_mul_f64 v[88:89], v[6:7], v[32:33]
	v_fmac_f64_e32 v[88:89], v[8:9], v[26:27]
	v_add_f64 v[90:91], v[86:87], v[88:89]
	ds_read_b128 v[86:89], v1 offset:1504
	v_mul_f64 v[16:17], v[16:17], v[28:29]
	v_fma_f64 v[14:15], v[14:15], v[22:23], -v[16:17]
	s_waitcnt lgkmcnt(1)
	v_mul_f64 v[92:93], v[2:3], v[38:39]
	v_mul_f64 v[12:13], v[12:13], v[30:31]
	v_fmac_f64_e32 v[92:93], v[4:5], v[40:41]
	v_add_f64 v[94:95], v[90:91], v[92:93]
	ds_read_b128 v[90:93], v1 offset:1520
	s_waitcnt lgkmcnt(1)
	v_mul_f64 v[96:97], v[86:87], v[34:35]
	v_fmac_f64_e32 v[96:97], v[88:89], v[36:37]
	v_add_f64 v[98:99], v[94:95], v[96:97]
	ds_read_b128 v[94:97], v1 offset:1536
	s_waitcnt lgkmcnt(1)
	v_mul_f64 v[100:101], v[90:91], v[46:47]
	s_waitcnt vmcnt(60)
	v_fmac_f64_e32 v[100:101], v[92:93], v[48:49]
	v_add_f64 v[102:103], v[98:99], v[100:101]
	ds_read_b128 v[98:101], v1 offset:1552
	s_waitcnt lgkmcnt(1)
	v_mul_f64 v[104:105], v[94:95], v[42:43]
	v_fmac_f64_e32 v[104:105], v[96:97], v[44:45]
	v_add_f64 v[106:107], v[102:103], v[104:105]
	ds_read_b128 v[102:105], v1 offset:1568
	s_waitcnt vmcnt(54) lgkmcnt(1)
	v_mul_f64 v[108:109], v[98:99], v[54:55]
	s_waitcnt vmcnt(52)
	v_fmac_f64_e32 v[108:109], v[100:101], v[56:57]
	v_add_f64 v[110:111], v[106:107], v[108:109]
	ds_read_b128 v[106:109], v1 offset:1584
	s_waitcnt lgkmcnt(1)
	v_mul_f64 v[112:113], v[102:103], v[50:51]
	v_fmac_f64_e32 v[112:113], v[104:105], v[52:53]
	v_add_f64 v[114:115], v[110:111], v[112:113]
	ds_read_b128 v[110:113], v1 offset:1600
	s_waitcnt vmcnt(46) lgkmcnt(1)
	v_mul_f64 v[116:117], v[106:107], v[62:63]
	s_waitcnt vmcnt(44)
	v_fmac_f64_e32 v[116:117], v[108:109], v[64:65]
	v_add_f64 v[118:119], v[114:115], v[116:117]
	ds_read_b128 v[114:117], v1 offset:1616
	s_waitcnt lgkmcnt(1)
	v_mul_f64 v[120:121], v[110:111], v[58:59]
	v_fmac_f64_e32 v[120:121], v[112:113], v[60:61]
	v_add_f64 v[14:15], v[14:15], 0
	v_fma_f64 v[10:11], v[10:11], v[24:25], -v[12:13]
	v_mul_f64 v[8:9], v[8:9], v[32:33]
	v_add_f64 v[122:123], v[118:119], v[120:121]
	ds_read_b128 v[118:121], v1 offset:1632
	v_add_f64 v[10:11], v[14:15], v[10:11]
	v_fma_f64 v[6:7], v[6:7], v[26:27], -v[8:9]
	v_mul_f64 v[4:5], v[4:5], v[38:39]
	v_add_f64 v[6:7], v[10:11], v[6:7]
	v_fma_f64 v[2:3], v[2:3], v[40:41], -v[4:5]
	v_mul_f64 v[4:5], v[88:89], v[34:35]
	v_add_f64 v[2:3], v[6:7], v[2:3]
	v_fma_f64 v[4:5], v[86:87], v[36:37], -v[4:5]
	s_waitcnt vmcnt(38) lgkmcnt(1)
	v_mul_f64 v[124:125], v[114:115], v[70:71]
	v_add_f64 v[2:3], v[2:3], v[4:5]
	v_mul_f64 v[4:5], v[92:93], v[46:47]
	s_waitcnt vmcnt(36)
	v_fmac_f64_e32 v[124:125], v[116:117], v[72:73]
	v_fma_f64 v[4:5], v[90:91], v[48:49], -v[4:5]
	v_add_f64 v[126:127], v[122:123], v[124:125]
	ds_read_b128 v[122:125], v1 offset:1648
	s_waitcnt lgkmcnt(1)
	v_mul_f64 v[128:129], v[118:119], v[66:67]
	v_add_f64 v[2:3], v[2:3], v[4:5]
	v_mul_f64 v[4:5], v[96:97], v[42:43]
	v_fmac_f64_e32 v[128:129], v[120:121], v[68:69]
	v_fma_f64 v[4:5], v[94:95], v[44:45], -v[4:5]
	v_add_f64 v[130:131], v[126:127], v[128:129]
	ds_read_b128 v[126:129], v1 offset:1664
	v_add_f64 v[2:3], v[2:3], v[4:5]
	v_mul_f64 v[4:5], v[100:101], v[54:55]
	v_fma_f64 v[4:5], v[98:99], v[56:57], -v[4:5]
	v_add_f64 v[2:3], v[2:3], v[4:5]
	v_mul_f64 v[4:5], v[104:105], v[50:51]
	s_waitcnt vmcnt(30) lgkmcnt(1)
	v_mul_f64 v[132:133], v[122:123], v[78:79]
	v_fma_f64 v[4:5], v[102:103], v[52:53], -v[4:5]
	s_waitcnt vmcnt(28)
	v_fmac_f64_e32 v[132:133], v[124:125], v[80:81]
	v_add_f64 v[2:3], v[2:3], v[4:5]
	v_mul_f64 v[4:5], v[108:109], v[62:63]
	v_add_f64 v[134:135], v[130:131], v[132:133]
	ds_read_b128 v[130:133], v1 offset:1680
	s_waitcnt lgkmcnt(1)
	v_mul_f64 v[136:137], v[126:127], v[74:75]
	v_fma_f64 v[4:5], v[106:107], v[64:65], -v[4:5]
	v_fmac_f64_e32 v[136:137], v[128:129], v[76:77]
	v_add_f64 v[2:3], v[2:3], v[4:5]
	v_mul_f64 v[4:5], v[112:113], v[58:59]
	v_add_f64 v[138:139], v[134:135], v[136:137]
	ds_read_b128 v[134:137], v1 offset:1696
	v_fma_f64 v[4:5], v[110:111], v[60:61], -v[4:5]
	v_add_f64 v[2:3], v[2:3], v[4:5]
	v_mul_f64 v[4:5], v[116:117], v[70:71]
	v_fma_f64 v[4:5], v[114:115], v[72:73], -v[4:5]
	s_waitcnt vmcnt(22) lgkmcnt(1)
	v_mul_f64 v[140:141], v[130:131], v[158:159]
	v_add_f64 v[2:3], v[2:3], v[4:5]
	v_mul_f64 v[4:5], v[120:121], v[66:67]
	s_waitcnt vmcnt(20)
	v_fmac_f64_e32 v[140:141], v[132:133], v[160:161]
	v_fma_f64 v[4:5], v[118:119], v[68:69], -v[4:5]
	v_add_f64 v[142:143], v[138:139], v[140:141]
	ds_read_b128 v[138:141], v1 offset:1712
	s_waitcnt lgkmcnt(1)
	v_mul_f64 v[144:145], v[134:135], v[82:83]
	v_add_f64 v[2:3], v[2:3], v[4:5]
	v_mul_f64 v[4:5], v[124:125], v[78:79]
	v_fmac_f64_e32 v[144:145], v[136:137], v[84:85]
	v_fma_f64 v[4:5], v[122:123], v[80:81], -v[4:5]
	v_add_f64 v[146:147], v[142:143], v[144:145]
	ds_read_b128 v[142:145], v1 offset:1728
	v_add_f64 v[2:3], v[2:3], v[4:5]
	v_mul_f64 v[4:5], v[128:129], v[74:75]
	v_fma_f64 v[4:5], v[126:127], v[76:77], -v[4:5]
	v_add_f64 v[2:3], v[2:3], v[4:5]
	v_mul_f64 v[4:5], v[132:133], v[158:159]
	s_waitcnt vmcnt(14) lgkmcnt(1)
	v_mul_f64 v[148:149], v[138:139], v[166:167]
	v_fma_f64 v[4:5], v[130:131], v[160:161], -v[4:5]
	s_waitcnt vmcnt(12)
	v_fmac_f64_e32 v[148:149], v[140:141], v[168:169]
	v_add_f64 v[2:3], v[2:3], v[4:5]
	v_mul_f64 v[4:5], v[136:137], v[82:83]
	v_add_f64 v[150:151], v[146:147], v[148:149]
	ds_read_b128 v[146:149], v1 offset:1744
	s_waitcnt lgkmcnt(1)
	v_mul_f64 v[152:153], v[142:143], v[162:163]
	v_fma_f64 v[4:5], v[134:135], v[84:85], -v[4:5]
	v_fmac_f64_e32 v[152:153], v[144:145], v[164:165]
	v_add_f64 v[2:3], v[2:3], v[4:5]
	v_mul_f64 v[4:5], v[140:141], v[166:167]
	v_add_f64 v[182:183], v[150:151], v[152:153]
	ds_read_b128 v[150:153], v1 offset:1760
	ds_read_b128 v[154:157], v1 offset:1776
	v_fma_f64 v[4:5], v[138:139], v[168:169], -v[4:5]
	v_add_f64 v[2:3], v[2:3], v[4:5]
	v_mul_f64 v[4:5], v[144:145], v[162:163]
	v_fma_f64 v[4:5], v[142:143], v[164:165], -v[4:5]
	v_add_f64 v[2:3], v[2:3], v[4:5]
	s_waitcnt vmcnt(6) lgkmcnt(2)
	v_mul_f64 v[4:5], v[148:149], v[174:175]
	v_mul_f64 v[184:185], v[146:147], v[174:175]
	s_waitcnt vmcnt(4)
	v_fma_f64 v[4:5], v[146:147], v[176:177], -v[4:5]
	v_fmac_f64_e32 v[184:185], v[148:149], v[176:177]
	v_add_f64 v[2:3], v[2:3], v[4:5]
	s_waitcnt lgkmcnt(1)
	v_mul_f64 v[4:5], v[152:153], v[170:171]
	v_add_f64 v[182:183], v[182:183], v[184:185]
	v_mul_f64 v[184:185], v[150:151], v[170:171]
	v_fma_f64 v[4:5], v[150:151], v[172:173], -v[4:5]
	v_fmac_f64_e32 v[184:185], v[152:153], v[172:173]
	v_add_f64 v[2:3], v[2:3], v[4:5]
	s_waitcnt vmcnt(2) lgkmcnt(0)
	v_mul_f64 v[4:5], v[156:157], v[178:179]
	v_add_f64 v[182:183], v[182:183], v[184:185]
	v_mul_f64 v[184:185], v[154:155], v[178:179]
	s_waitcnt vmcnt(0)
	v_fma_f64 v[4:5], v[154:155], v[180:181], -v[4:5]
	v_fmac_f64_e32 v[184:185], v[156:157], v[180:181]
	v_add_f64 v[2:3], v[2:3], v[4:5]
	v_add_f64 v[182:183], v[182:183], v[184:185]
	v_add_f64 v[2:3], v[20:21], -v[2:3]
	v_cmp_lt_u32_e32 vcc, 32, v0
	v_add_f64 v[4:5], v[18:19], -v[182:183]
	buffer_store_dword v3, off, s[0:3], 0 offset:548
	buffer_store_dword v2, off, s[0:3], 0 offset:544
	;; [unrolled: 1-line block ×4, first 2 shown]
	s_and_saveexec_b64 s[4:5], vcc
	s_cbranch_execz .LBB55_285
; %bb.284:
	v_accvgpr_read_b32 v1, a135
	buffer_load_dword v2, v1, s[0:3], 0 offen
	buffer_load_dword v3, v1, s[0:3], 0 offen offset:4
	buffer_load_dword v4, v1, s[0:3], 0 offen offset:8
	;; [unrolled: 1-line block ×3, first 2 shown]
	v_mov_b32_e32 v1, 0
	v_accvgpr_read_b32 v6, a167
	buffer_store_dword v1, off, s[0:3], 0 offset:528
	buffer_store_dword v1, off, s[0:3], 0 offset:532
	;; [unrolled: 1-line block ×4, first 2 shown]
	s_waitcnt vmcnt(4)
	ds_write_b128 v6, v[2:5]
.LBB55_285:
	s_or_b64 exec, exec, s[4:5]
	s_waitcnt lgkmcnt(0)
	; wave barrier
	s_waitcnt lgkmcnt(0)
	buffer_load_dword v9, off, s[0:3], 0 offset:556
	buffer_load_dword v6, off, s[0:3], 0 offset:568
	;; [unrolled: 1-line block ×64, first 2 shown]
	v_mov_b32_e32 v1, 0
	ds_read_b128 v[74:77], v1 offset:1424
	ds_read_b128 v[78:81], v1 offset:1440
	buffer_load_dword v67, off, s[0:3], 0 offset:812
	buffer_load_dword v66, off, s[0:3], 0 offset:808
	;; [unrolled: 1-line block ×8, first 2 shown]
	ds_read_b128 v[82:85], v1 offset:1456
	ds_read_b128 v[86:89], v1 offset:1472
	buffer_load_dword v167, off, s[0:3], 0 offset:844
	buffer_load_dword v166, off, s[0:3], 0 offset:840
	;; [unrolled: 1-line block ×24, first 2 shown]
	ds_read_b128 v[162:165], v1 offset:1776
	v_cmp_lt_u32_e32 vcc, 31, v0
	s_waitcnt vmcnt(62) lgkmcnt(1)
	v_mul_f64 v[96:97], v[86:87], v[22:23]
	v_fmac_f64_e32 v[96:97], v[88:89], v[24:25]
	v_mul_f64 v[92:93], v[78:79], v[6:7]
	v_mul_f64 v[90:91], v[74:75], v[8:9]
	;; [unrolled: 1-line block ×3, first 2 shown]
	v_fmac_f64_e32 v[90:91], v[76:77], v[10:11]
	v_add_f64 v[90:91], v[90:91], 0
	v_fma_f64 v[8:9], v[74:75], v[10:11], -v[8:9]
	v_mul_f64 v[6:7], v[80:81], v[6:7]
	v_add_f64 v[8:9], v[8:9], 0
	v_fmac_f64_e32 v[92:93], v[80:81], v[14:15]
	v_add_f64 v[90:91], v[90:91], v[92:93]
	v_mul_f64 v[92:93], v[82:83], v[16:17]
	v_fmac_f64_e32 v[92:93], v[84:85], v[12:13]
	v_add_f64 v[94:95], v[90:91], v[92:93]
	ds_read_b128 v[90:93], v1 offset:1488
	v_add_f64 v[98:99], v[94:95], v[96:97]
	ds_read_b128 v[94:97], v1 offset:1504
	v_fma_f64 v[6:7], v[78:79], v[14:15], -v[6:7]
	v_add_f64 v[6:7], v[8:9], v[6:7]
	s_waitcnt lgkmcnt(1)
	v_mul_f64 v[100:101], v[90:91], v[18:19]
	v_fmac_f64_e32 v[100:101], v[92:93], v[20:21]
	v_add_f64 v[102:103], v[98:99], v[100:101]
	ds_read_b128 v[98:101], v1 offset:1520
	s_waitcnt lgkmcnt(1)
	v_mul_f64 v[104:105], v[94:95], v[30:31]
	v_fmac_f64_e32 v[104:105], v[96:97], v[32:33]
	v_add_f64 v[106:107], v[102:103], v[104:105]
	ds_read_b128 v[102:105], v1 offset:1536
	;; [unrolled: 5-line block ×3, first 2 shown]
	s_waitcnt vmcnt(58) lgkmcnt(1)
	v_mul_f64 v[112:113], v[102:103], v[38:39]
	s_waitcnt vmcnt(56)
	v_fmac_f64_e32 v[112:113], v[104:105], v[40:41]
	v_add_f64 v[114:115], v[110:111], v[112:113]
	ds_read_b128 v[110:113], v1 offset:1568
	s_waitcnt lgkmcnt(1)
	v_mul_f64 v[116:117], v[106:107], v[34:35]
	v_fmac_f64_e32 v[116:117], v[108:109], v[36:37]
	v_add_f64 v[118:119], v[114:115], v[116:117]
	ds_read_b128 v[114:117], v1 offset:1584
	s_waitcnt vmcnt(50) lgkmcnt(1)
	v_mul_f64 v[120:121], v[110:111], v[46:47]
	s_waitcnt vmcnt(48)
	v_fmac_f64_e32 v[120:121], v[112:113], v[48:49]
	v_add_f64 v[122:123], v[118:119], v[120:121]
	ds_read_b128 v[118:121], v1 offset:1600
	v_mul_f64 v[8:9], v[84:85], v[16:17]
	s_waitcnt lgkmcnt(1)
	v_mul_f64 v[124:125], v[114:115], v[42:43]
	v_fma_f64 v[8:9], v[82:83], v[12:13], -v[8:9]
	v_fmac_f64_e32 v[124:125], v[116:117], v[44:45]
	v_add_f64 v[6:7], v[6:7], v[8:9]
	v_mul_f64 v[8:9], v[88:89], v[22:23]
	v_add_f64 v[126:127], v[122:123], v[124:125]
	ds_read_b128 v[122:125], v1 offset:1616
	s_waitcnt vmcnt(42) lgkmcnt(1)
	v_mul_f64 v[128:129], v[118:119], v[54:55]
	v_fma_f64 v[8:9], v[86:87], v[24:25], -v[8:9]
	s_waitcnt vmcnt(40)
	v_fmac_f64_e32 v[128:129], v[120:121], v[56:57]
	v_add_f64 v[6:7], v[6:7], v[8:9]
	v_mul_f64 v[8:9], v[92:93], v[18:19]
	v_add_f64 v[130:131], v[126:127], v[128:129]
	ds_read_b128 v[126:129], v1 offset:1632
	v_fma_f64 v[8:9], v[90:91], v[20:21], -v[8:9]
	v_add_f64 v[6:7], v[6:7], v[8:9]
	v_mul_f64 v[8:9], v[96:97], v[30:31]
	v_fma_f64 v[8:9], v[94:95], v[32:33], -v[8:9]
	s_waitcnt lgkmcnt(1)
	v_mul_f64 v[132:133], v[122:123], v[50:51]
	v_add_f64 v[6:7], v[6:7], v[8:9]
	v_mul_f64 v[8:9], v[100:101], v[26:27]
	v_fmac_f64_e32 v[132:133], v[124:125], v[52:53]
	v_fma_f64 v[8:9], v[98:99], v[28:29], -v[8:9]
	v_add_f64 v[134:135], v[130:131], v[132:133]
	ds_read_b128 v[130:133], v1 offset:1648
	s_waitcnt vmcnt(34) lgkmcnt(1)
	v_mul_f64 v[136:137], v[126:127], v[62:63]
	v_add_f64 v[6:7], v[6:7], v[8:9]
	v_mul_f64 v[8:9], v[104:105], v[38:39]
	s_waitcnt vmcnt(32)
	v_fmac_f64_e32 v[136:137], v[128:129], v[64:65]
	v_fma_f64 v[8:9], v[102:103], v[40:41], -v[8:9]
	v_add_f64 v[138:139], v[134:135], v[136:137]
	ds_read_b128 v[134:137], v1 offset:1664
	v_add_f64 v[6:7], v[6:7], v[8:9]
	v_mul_f64 v[8:9], v[108:109], v[34:35]
	v_fma_f64 v[8:9], v[106:107], v[36:37], -v[8:9]
	v_add_f64 v[6:7], v[6:7], v[8:9]
	v_mul_f64 v[8:9], v[112:113], v[46:47]
	s_waitcnt lgkmcnt(1)
	v_mul_f64 v[140:141], v[130:131], v[58:59]
	v_fma_f64 v[8:9], v[110:111], v[48:49], -v[8:9]
	v_fmac_f64_e32 v[140:141], v[132:133], v[60:61]
	v_add_f64 v[6:7], v[6:7], v[8:9]
	v_mul_f64 v[8:9], v[116:117], v[42:43]
	v_add_f64 v[142:143], v[138:139], v[140:141]
	ds_read_b128 v[138:141], v1 offset:1680
	s_waitcnt vmcnt(26) lgkmcnt(1)
	v_mul_f64 v[144:145], v[134:135], v[70:71]
	v_fma_f64 v[8:9], v[114:115], v[44:45], -v[8:9]
	s_waitcnt vmcnt(24)
	v_fmac_f64_e32 v[144:145], v[136:137], v[72:73]
	v_add_f64 v[6:7], v[6:7], v[8:9]
	v_mul_f64 v[8:9], v[120:121], v[54:55]
	v_add_f64 v[146:147], v[142:143], v[144:145]
	ds_read_b128 v[142:145], v1 offset:1696
	v_fma_f64 v[8:9], v[118:119], v[56:57], -v[8:9]
	v_add_f64 v[6:7], v[6:7], v[8:9]
	v_mul_f64 v[8:9], v[124:125], v[50:51]
	v_fma_f64 v[8:9], v[122:123], v[52:53], -v[8:9]
	s_waitcnt lgkmcnt(1)
	v_mul_f64 v[148:149], v[138:139], v[66:67]
	v_add_f64 v[6:7], v[6:7], v[8:9]
	v_mul_f64 v[8:9], v[128:129], v[62:63]
	v_fmac_f64_e32 v[148:149], v[140:141], v[68:69]
	v_fma_f64 v[8:9], v[126:127], v[64:65], -v[8:9]
	v_add_f64 v[150:151], v[146:147], v[148:149]
	ds_read_b128 v[146:149], v1 offset:1712
	s_waitcnt vmcnt(18) lgkmcnt(1)
	v_mul_f64 v[152:153], v[142:143], v[170:171]
	v_add_f64 v[6:7], v[6:7], v[8:9]
	v_mul_f64 v[8:9], v[132:133], v[58:59]
	s_waitcnt vmcnt(16)
	v_fmac_f64_e32 v[152:153], v[144:145], v[172:173]
	v_fma_f64 v[8:9], v[130:131], v[60:61], -v[8:9]
	v_add_f64 v[154:155], v[150:151], v[152:153]
	ds_read_b128 v[150:153], v1 offset:1728
	v_add_f64 v[6:7], v[6:7], v[8:9]
	v_mul_f64 v[8:9], v[136:137], v[70:71]
	v_fma_f64 v[8:9], v[134:135], v[72:73], -v[8:9]
	v_add_f64 v[6:7], v[6:7], v[8:9]
	v_mul_f64 v[8:9], v[140:141], v[66:67]
	s_waitcnt lgkmcnt(1)
	v_mul_f64 v[156:157], v[146:147], v[166:167]
	v_fma_f64 v[8:9], v[138:139], v[68:69], -v[8:9]
	v_fmac_f64_e32 v[156:157], v[148:149], v[168:169]
	v_add_f64 v[6:7], v[6:7], v[8:9]
	v_mul_f64 v[8:9], v[144:145], v[170:171]
	v_add_f64 v[158:159], v[154:155], v[156:157]
	ds_read_b128 v[154:157], v1 offset:1744
	s_waitcnt vmcnt(10) lgkmcnt(1)
	v_mul_f64 v[160:161], v[150:151], v[178:179]
	v_fma_f64 v[8:9], v[142:143], v[172:173], -v[8:9]
	s_waitcnt vmcnt(8)
	v_fmac_f64_e32 v[160:161], v[152:153], v[180:181]
	v_add_f64 v[6:7], v[6:7], v[8:9]
	v_mul_f64 v[8:9], v[148:149], v[166:167]
	v_add_f64 v[190:191], v[158:159], v[160:161]
	ds_read_b128 v[158:161], v1 offset:1760
	v_fma_f64 v[8:9], v[146:147], v[168:169], -v[8:9]
	v_add_f64 v[6:7], v[6:7], v[8:9]
	v_mul_f64 v[8:9], v[152:153], v[178:179]
	v_fma_f64 v[8:9], v[150:151], v[180:181], -v[8:9]
	v_add_f64 v[6:7], v[6:7], v[8:9]
	s_waitcnt lgkmcnt(1)
	v_mul_f64 v[8:9], v[156:157], v[174:175]
	v_mul_f64 v[192:193], v[154:155], v[174:175]
	v_fma_f64 v[8:9], v[154:155], v[176:177], -v[8:9]
	v_fmac_f64_e32 v[192:193], v[156:157], v[176:177]
	v_add_f64 v[6:7], v[6:7], v[8:9]
	s_waitcnt vmcnt(2) lgkmcnt(0)
	v_mul_f64 v[8:9], v[160:161], v[186:187]
	v_add_f64 v[190:191], v[190:191], v[192:193]
	v_mul_f64 v[192:193], v[158:159], v[186:187]
	s_waitcnt vmcnt(0)
	v_fma_f64 v[8:9], v[158:159], v[188:189], -v[8:9]
	v_fmac_f64_e32 v[192:193], v[160:161], v[188:189]
	v_add_f64 v[6:7], v[6:7], v[8:9]
	v_mul_f64 v[8:9], v[164:165], v[182:183]
	v_add_f64 v[190:191], v[190:191], v[192:193]
	v_mul_f64 v[192:193], v[162:163], v[182:183]
	v_fma_f64 v[8:9], v[162:163], v[184:185], -v[8:9]
	v_fmac_f64_e32 v[192:193], v[164:165], v[184:185]
	v_add_f64 v[6:7], v[6:7], v[8:9]
	v_add_f64 v[190:191], v[190:191], v[192:193]
	v_add_f64 v[4:5], v[4:5], -v[6:7]
	v_add_f64 v[2:3], v[2:3], -v[190:191]
	buffer_store_dword v5, off, s[0:3], 0 offset:532
	buffer_store_dword v4, off, s[0:3], 0 offset:528
	;; [unrolled: 1-line block ×4, first 2 shown]
	s_and_saveexec_b64 s[4:5], vcc
	s_cbranch_execz .LBB55_287
; %bb.286:
	v_accvgpr_read_b32 v5, a136
	buffer_load_dword v2, v5, s[0:3], 0 offen
	buffer_load_dword v3, v5, s[0:3], 0 offen offset:4
	buffer_load_dword v4, v5, s[0:3], 0 offen offset:8
	s_nop 0
	buffer_load_dword v5, v5, s[0:3], 0 offen offset:12
	v_accvgpr_read_b32 v6, a167
	buffer_store_dword v1, off, s[0:3], 0 offset:512
	buffer_store_dword v1, off, s[0:3], 0 offset:516
	;; [unrolled: 1-line block ×4, first 2 shown]
	s_waitcnt vmcnt(4)
	ds_write_b128 v6, v[2:5]
.LBB55_287:
	s_or_b64 exec, exec, s[4:5]
	s_waitcnt lgkmcnt(0)
	; wave barrier
	s_waitcnt lgkmcnt(0)
	buffer_load_dword v22, off, s[0:3], 0 offset:528
	buffer_load_dword v23, off, s[0:3], 0 offset:532
	;; [unrolled: 1-line block ×16, first 2 shown]
	ds_read_b128 v[2:5], v1 offset:1408
	ds_read_b128 v[6:9], v1 offset:1424
	;; [unrolled: 1-line block ×4, first 2 shown]
	buffer_load_dword v35, off, s[0:3], 0 offset:604
	buffer_load_dword v34, off, s[0:3], 0 offset:600
	;; [unrolled: 1-line block ×48, first 2 shown]
	v_cmp_lt_u32_e32 vcc, 30, v0
	s_waitcnt vmcnt(42) lgkmcnt(0)
	v_mul_f64 v[104:105], v[14:15], v[38:39]
	s_waitcnt vmcnt(40)
	v_fmac_f64_e32 v[104:105], v[16:17], v[40:41]
	v_mul_f64 v[82:83], v[2:3], v[24:25]
	v_fmac_f64_e32 v[82:83], v[4:5], v[22:23]
	v_add_f64 v[82:83], v[82:83], 0
	v_mul_f64 v[4:5], v[4:5], v[24:25]
	v_mul_f64 v[84:85], v[6:7], v[32:33]
	v_fma_f64 v[2:3], v[2:3], v[22:23], -v[4:5]
	v_mul_f64 v[98:99], v[10:11], v[26:27]
	v_fmac_f64_e32 v[98:99], v[12:13], v[30:31]
	v_fmac_f64_e32 v[84:85], v[8:9], v[28:29]
	v_add_f64 v[100:101], v[82:83], v[84:85]
	buffer_load_dword v83, off, s[0:3], 0 offset:796
	buffer_load_dword v82, off, s[0:3], 0 offset:792
	;; [unrolled: 1-line block ×32, first 2 shown]
	v_add_f64 v[102:103], v[100:101], v[98:99]
	ds_read_b128 v[98:101], v1 offset:1472
	buffer_load_dword v195, off, s[0:3], 0 offset:908
	buffer_load_dword v194, off, s[0:3], 0 offset:904
	;; [unrolled: 1-line block ×4, first 2 shown]
	v_add_f64 v[106:107], v[102:103], v[104:105]
	ds_read_b128 v[102:105], v1 offset:1488
	v_mul_f64 v[4:5], v[8:9], v[32:33]
	s_waitcnt lgkmcnt(1)
	v_mul_f64 v[108:109], v[98:99], v[34:35]
	v_fmac_f64_e32 v[108:109], v[100:101], v[36:37]
	v_add_f64 v[110:111], v[106:107], v[108:109]
	ds_read_b128 v[106:109], v1 offset:1504
	s_waitcnt vmcnt(62) lgkmcnt(1)
	v_mul_f64 v[112:113], v[102:103], v[46:47]
	v_fmac_f64_e32 v[112:113], v[104:105], v[48:49]
	v_add_f64 v[114:115], v[110:111], v[112:113]
	ds_read_b128 v[110:113], v1 offset:1520
	s_waitcnt lgkmcnt(1)
	v_mul_f64 v[116:117], v[106:107], v[42:43]
	v_fmac_f64_e32 v[116:117], v[108:109], v[44:45]
	v_add_f64 v[118:119], v[114:115], v[116:117]
	ds_read_b128 v[114:117], v1 offset:1536
	s_waitcnt lgkmcnt(1)
	v_mul_f64 v[120:121], v[110:111], v[54:55]
	s_waitcnt vmcnt(60)
	v_fmac_f64_e32 v[120:121], v[112:113], v[56:57]
	v_add_f64 v[122:123], v[118:119], v[120:121]
	ds_read_b128 v[118:121], v1 offset:1552
	s_waitcnt lgkmcnt(1)
	v_mul_f64 v[124:125], v[114:115], v[50:51]
	v_fmac_f64_e32 v[124:125], v[116:117], v[52:53]
	v_add_f64 v[126:127], v[122:123], v[124:125]
	ds_read_b128 v[122:125], v1 offset:1568
	s_waitcnt vmcnt(54) lgkmcnt(1)
	v_mul_f64 v[128:129], v[118:119], v[62:63]
	s_waitcnt vmcnt(52)
	v_fmac_f64_e32 v[128:129], v[120:121], v[64:65]
	v_add_f64 v[130:131], v[126:127], v[128:129]
	ds_read_b128 v[126:129], v1 offset:1584
	s_waitcnt lgkmcnt(1)
	v_mul_f64 v[132:133], v[122:123], v[58:59]
	v_fmac_f64_e32 v[132:133], v[124:125], v[60:61]
	v_add_f64 v[2:3], v[2:3], 0
	v_fma_f64 v[4:5], v[6:7], v[28:29], -v[4:5]
	v_add_f64 v[134:135], v[130:131], v[132:133]
	ds_read_b128 v[130:133], v1 offset:1600
	v_add_f64 v[2:3], v[2:3], v[4:5]
	v_mul_f64 v[4:5], v[12:13], v[26:27]
	v_fma_f64 v[4:5], v[10:11], v[30:31], -v[4:5]
	v_add_f64 v[2:3], v[2:3], v[4:5]
	v_mul_f64 v[4:5], v[16:17], v[38:39]
	s_waitcnt vmcnt(46) lgkmcnt(1)
	v_mul_f64 v[136:137], v[126:127], v[70:71]
	v_fma_f64 v[4:5], v[14:15], v[40:41], -v[4:5]
	s_waitcnt vmcnt(44)
	v_fmac_f64_e32 v[136:137], v[128:129], v[72:73]
	v_add_f64 v[2:3], v[2:3], v[4:5]
	v_mul_f64 v[4:5], v[100:101], v[34:35]
	v_add_f64 v[138:139], v[134:135], v[136:137]
	ds_read_b128 v[134:137], v1 offset:1616
	s_waitcnt lgkmcnt(1)
	v_mul_f64 v[140:141], v[130:131], v[66:67]
	v_fma_f64 v[4:5], v[98:99], v[36:37], -v[4:5]
	v_fmac_f64_e32 v[140:141], v[132:133], v[68:69]
	v_add_f64 v[2:3], v[2:3], v[4:5]
	v_mul_f64 v[4:5], v[104:105], v[46:47]
	v_add_f64 v[142:143], v[138:139], v[140:141]
	ds_read_b128 v[138:141], v1 offset:1632
	v_fma_f64 v[4:5], v[102:103], v[48:49], -v[4:5]
	v_add_f64 v[2:3], v[2:3], v[4:5]
	v_mul_f64 v[4:5], v[108:109], v[42:43]
	v_fma_f64 v[4:5], v[106:107], v[44:45], -v[4:5]
	s_waitcnt vmcnt(38) lgkmcnt(1)
	v_mul_f64 v[144:145], v[134:135], v[78:79]
	v_add_f64 v[2:3], v[2:3], v[4:5]
	v_mul_f64 v[4:5], v[112:113], v[54:55]
	s_waitcnt vmcnt(36)
	v_fmac_f64_e32 v[144:145], v[136:137], v[80:81]
	v_fma_f64 v[4:5], v[110:111], v[56:57], -v[4:5]
	v_add_f64 v[146:147], v[142:143], v[144:145]
	ds_read_b128 v[142:145], v1 offset:1648
	s_waitcnt lgkmcnt(1)
	v_mul_f64 v[148:149], v[138:139], v[74:75]
	v_add_f64 v[2:3], v[2:3], v[4:5]
	v_mul_f64 v[4:5], v[116:117], v[50:51]
	v_fmac_f64_e32 v[148:149], v[140:141], v[76:77]
	v_fma_f64 v[4:5], v[114:115], v[52:53], -v[4:5]
	v_add_f64 v[150:151], v[146:147], v[148:149]
	ds_read_b128 v[146:149], v1 offset:1664
	v_add_f64 v[2:3], v[2:3], v[4:5]
	v_mul_f64 v[4:5], v[120:121], v[62:63]
	v_fma_f64 v[4:5], v[118:119], v[64:65], -v[4:5]
	v_add_f64 v[2:3], v[2:3], v[4:5]
	v_mul_f64 v[4:5], v[124:125], v[58:59]
	s_waitcnt vmcnt(30) lgkmcnt(1)
	v_mul_f64 v[152:153], v[142:143], v[86:87]
	v_fma_f64 v[4:5], v[122:123], v[60:61], -v[4:5]
	s_waitcnt vmcnt(28)
	v_fmac_f64_e32 v[152:153], v[144:145], v[88:89]
	v_add_f64 v[2:3], v[2:3], v[4:5]
	v_mul_f64 v[4:5], v[128:129], v[70:71]
	v_add_f64 v[154:155], v[150:151], v[152:153]
	ds_read_b128 v[150:153], v1 offset:1680
	s_waitcnt lgkmcnt(1)
	v_mul_f64 v[156:157], v[146:147], v[82:83]
	v_fma_f64 v[4:5], v[126:127], v[72:73], -v[4:5]
	v_fmac_f64_e32 v[156:157], v[148:149], v[84:85]
	v_add_f64 v[2:3], v[2:3], v[4:5]
	v_mul_f64 v[4:5], v[132:133], v[66:67]
	v_add_f64 v[158:159], v[154:155], v[156:157]
	ds_read_b128 v[154:157], v1 offset:1696
	v_fma_f64 v[4:5], v[130:131], v[68:69], -v[4:5]
	v_add_f64 v[2:3], v[2:3], v[4:5]
	v_mul_f64 v[4:5], v[136:137], v[78:79]
	v_fma_f64 v[4:5], v[134:135], v[80:81], -v[4:5]
	s_waitcnt vmcnt(22) lgkmcnt(1)
	v_mul_f64 v[160:161], v[150:151], v[94:95]
	v_add_f64 v[2:3], v[2:3], v[4:5]
	v_mul_f64 v[4:5], v[140:141], v[74:75]
	s_waitcnt vmcnt(20)
	v_fmac_f64_e32 v[160:161], v[152:153], v[96:97]
	v_fma_f64 v[4:5], v[138:139], v[76:77], -v[4:5]
	v_add_f64 v[162:163], v[158:159], v[160:161]
	ds_read_b128 v[158:161], v1 offset:1712
	s_waitcnt lgkmcnt(1)
	v_mul_f64 v[164:165], v[154:155], v[90:91]
	v_add_f64 v[2:3], v[2:3], v[4:5]
	v_mul_f64 v[4:5], v[144:145], v[86:87]
	v_fmac_f64_e32 v[164:165], v[156:157], v[92:93]
	v_fma_f64 v[4:5], v[142:143], v[88:89], -v[4:5]
	v_add_f64 v[166:167], v[162:163], v[164:165]
	ds_read_b128 v[162:165], v1 offset:1728
	v_add_f64 v[2:3], v[2:3], v[4:5]
	v_mul_f64 v[4:5], v[148:149], v[82:83]
	v_fma_f64 v[4:5], v[146:147], v[84:85], -v[4:5]
	v_add_f64 v[2:3], v[2:3], v[4:5]
	v_mul_f64 v[4:5], v[152:153], v[94:95]
	s_waitcnt vmcnt(14) lgkmcnt(1)
	v_mul_f64 v[168:169], v[158:159], v[182:183]
	v_fma_f64 v[4:5], v[150:151], v[96:97], -v[4:5]
	s_waitcnt vmcnt(12)
	v_fmac_f64_e32 v[168:169], v[160:161], v[184:185]
	v_add_f64 v[2:3], v[2:3], v[4:5]
	v_mul_f64 v[4:5], v[156:157], v[90:91]
	v_add_f64 v[170:171], v[166:167], v[168:169]
	ds_read_b128 v[166:169], v1 offset:1744
	s_waitcnt lgkmcnt(1)
	v_mul_f64 v[172:173], v[162:163], v[178:179]
	v_fma_f64 v[4:5], v[154:155], v[92:93], -v[4:5]
	v_fmac_f64_e32 v[172:173], v[164:165], v[180:181]
	v_add_f64 v[2:3], v[2:3], v[4:5]
	v_mul_f64 v[4:5], v[160:161], v[182:183]
	v_add_f64 v[198:199], v[170:171], v[172:173]
	ds_read_b128 v[170:173], v1 offset:1760
	v_fma_f64 v[4:5], v[158:159], v[184:185], -v[4:5]
	v_add_f64 v[2:3], v[2:3], v[4:5]
	v_mul_f64 v[4:5], v[164:165], v[178:179]
	ds_read_b128 v[174:177], v1 offset:1776
	v_fma_f64 v[4:5], v[162:163], v[180:181], -v[4:5]
	v_add_f64 v[2:3], v[2:3], v[4:5]
	s_waitcnt vmcnt(6) lgkmcnt(2)
	v_mul_f64 v[4:5], v[168:169], v[190:191]
	v_mul_f64 v[200:201], v[166:167], v[190:191]
	s_waitcnt vmcnt(4)
	v_fma_f64 v[4:5], v[166:167], v[192:193], -v[4:5]
	v_fmac_f64_e32 v[200:201], v[168:169], v[192:193]
	v_add_f64 v[2:3], v[2:3], v[4:5]
	s_waitcnt lgkmcnt(1)
	v_mul_f64 v[4:5], v[172:173], v[186:187]
	v_add_f64 v[198:199], v[198:199], v[200:201]
	v_mul_f64 v[200:201], v[170:171], v[186:187]
	v_fma_f64 v[4:5], v[170:171], v[188:189], -v[4:5]
	v_fmac_f64_e32 v[200:201], v[172:173], v[188:189]
	v_add_f64 v[2:3], v[2:3], v[4:5]
	s_waitcnt vmcnt(2) lgkmcnt(0)
	v_mul_f64 v[4:5], v[176:177], v[194:195]
	v_add_f64 v[198:199], v[198:199], v[200:201]
	v_mul_f64 v[200:201], v[174:175], v[194:195]
	s_waitcnt vmcnt(0)
	v_fma_f64 v[4:5], v[174:175], v[196:197], -v[4:5]
	v_fmac_f64_e32 v[200:201], v[176:177], v[196:197]
	v_add_f64 v[2:3], v[2:3], v[4:5]
	v_add_f64 v[198:199], v[198:199], v[200:201]
	v_add_f64 v[2:3], v[20:21], -v[2:3]
	v_add_f64 v[4:5], v[18:19], -v[198:199]
	buffer_store_dword v3, off, s[0:3], 0 offset:516
	buffer_store_dword v2, off, s[0:3], 0 offset:512
	buffer_store_dword v5, off, s[0:3], 0 offset:524
	buffer_store_dword v4, off, s[0:3], 0 offset:520
	s_and_saveexec_b64 s[4:5], vcc
	s_cbranch_execz .LBB55_289
; %bb.288:
	v_accvgpr_read_b32 v1, a137
	buffer_load_dword v2, v1, s[0:3], 0 offen
	buffer_load_dword v3, v1, s[0:3], 0 offen offset:4
	buffer_load_dword v4, v1, s[0:3], 0 offen offset:8
	;; [unrolled: 1-line block ×3, first 2 shown]
	v_mov_b32_e32 v1, 0
	v_accvgpr_read_b32 v6, a167
	buffer_store_dword v1, off, s[0:3], 0 offset:496
	buffer_store_dword v1, off, s[0:3], 0 offset:500
	;; [unrolled: 1-line block ×4, first 2 shown]
	s_waitcnt vmcnt(4)
	ds_write_b128 v6, v[2:5]
.LBB55_289:
	s_or_b64 exec, exec, s[4:5]
	s_waitcnt lgkmcnt(0)
	; wave barrier
	s_waitcnt lgkmcnt(0)
	buffer_load_dword v22, off, s[0:3], 0 offset:512
	buffer_load_dword v23, off, s[0:3], 0 offset:516
	;; [unrolled: 1-line block ×64, first 2 shown]
	v_mov_b32_e32 v1, 0
	ds_read_b128 v[18:21], v1 offset:1392
	ds_read_b128 v[14:17], v1 offset:1408
	ds_read_b128 v[10:13], v1 offset:1424
	ds_read_b128 v[6:9], v1 offset:1440
	ds_read_b128 v[2:5], v1 offset:1456
	v_cmp_lt_u32_e32 vcc, 29, v0
	s_waitcnt vmcnt(60) lgkmcnt(4)
	v_mul_f64 v[86:87], v[18:19], v[26:27]
	v_fmac_f64_e32 v[86:87], v[20:21], v[22:23]
	v_add_f64 v[86:87], v[86:87], 0
	v_mul_f64 v[20:21], v[20:21], v[26:27]
	s_waitcnt vmcnt(56) lgkmcnt(3)
	v_mul_f64 v[88:89], v[14:15], v[28:29]
	v_fmac_f64_e32 v[88:89], v[16:17], v[24:25]
	s_waitcnt vmcnt(54) lgkmcnt(2)
	v_mul_f64 v[90:91], v[10:11], v[30:31]
	v_add_f64 v[86:87], v[86:87], v[88:89]
	v_fma_f64 v[18:19], v[18:19], v[22:23], -v[20:21]
	v_mul_f64 v[16:17], v[16:17], v[28:29]
	s_waitcnt vmcnt(50) lgkmcnt(1)
	v_mul_f64 v[102:103], v[6:7], v[40:41]
	v_add_f64 v[18:19], v[18:19], 0
	s_waitcnt vmcnt(48)
	v_fmac_f64_e32 v[90:91], v[12:13], v[44:45]
	v_add_f64 v[104:105], v[86:87], v[90:91]
	buffer_load_dword v87, off, s[0:3], 0 offset:780
	buffer_load_dword v86, off, s[0:3], 0 offset:776
	;; [unrolled: 1-line block ×40, first 2 shown]
	s_waitcnt vmcnt(62)
	v_fmac_f64_e32 v[102:103], v[8:9], v[42:43]
	v_add_f64 v[106:107], v[104:105], v[102:103]
	ds_read_b128 v[102:105], v1 offset:1472
	s_waitcnt lgkmcnt(1)
	v_mul_f64 v[108:109], v[2:3], v[36:37]
	v_fmac_f64_e32 v[108:109], v[4:5], v[38:39]
	v_add_f64 v[110:111], v[106:107], v[108:109]
	ds_read_b128 v[106:109], v1 offset:1488
	s_waitcnt lgkmcnt(1)
	v_mul_f64 v[112:113], v[102:103], v[50:51]
	;; [unrolled: 5-line block ×5, first 2 shown]
	v_fmac_f64_e32 v[124:125], v[116:117], v[56:57]
	v_add_f64 v[126:127], v[122:123], v[124:125]
	ds_read_b128 v[122:125], v1 offset:1552
	s_waitcnt vmcnt(58) lgkmcnt(1)
	v_mul_f64 v[128:129], v[118:119], v[66:67]
	s_waitcnt vmcnt(56)
	v_fmac_f64_e32 v[128:129], v[120:121], v[68:69]
	v_add_f64 v[130:131], v[126:127], v[128:129]
	ds_read_b128 v[126:129], v1 offset:1568
	s_waitcnt lgkmcnt(1)
	v_mul_f64 v[132:133], v[122:123], v[62:63]
	v_fmac_f64_e32 v[132:133], v[124:125], v[64:65]
	v_add_f64 v[134:135], v[130:131], v[132:133]
	ds_read_b128 v[130:133], v1 offset:1584
	s_waitcnt vmcnt(50) lgkmcnt(1)
	v_mul_f64 v[136:137], v[126:127], v[74:75]
	s_waitcnt vmcnt(48)
	v_fmac_f64_e32 v[136:137], v[128:129], v[76:77]
	v_add_f64 v[138:139], v[134:135], v[136:137]
	ds_read_b128 v[134:137], v1 offset:1600
	v_fma_f64 v[14:15], v[14:15], v[24:25], -v[16:17]
	v_mul_f64 v[12:13], v[12:13], v[30:31]
	v_add_f64 v[14:15], v[18:19], v[14:15]
	v_fma_f64 v[10:11], v[10:11], v[44:45], -v[12:13]
	v_mul_f64 v[8:9], v[8:9], v[40:41]
	s_waitcnt lgkmcnt(1)
	v_mul_f64 v[140:141], v[130:131], v[70:71]
	v_add_f64 v[10:11], v[14:15], v[10:11]
	v_fma_f64 v[6:7], v[6:7], v[42:43], -v[8:9]
	v_mul_f64 v[4:5], v[4:5], v[36:37]
	v_fmac_f64_e32 v[140:141], v[132:133], v[72:73]
	v_add_f64 v[6:7], v[10:11], v[6:7]
	v_fma_f64 v[2:3], v[2:3], v[38:39], -v[4:5]
	v_mul_f64 v[4:5], v[104:105], v[50:51]
	v_add_f64 v[142:143], v[138:139], v[140:141]
	ds_read_b128 v[138:141], v1 offset:1616
	s_waitcnt vmcnt(42) lgkmcnt(1)
	v_mul_f64 v[144:145], v[134:135], v[82:83]
	v_add_f64 v[2:3], v[6:7], v[2:3]
	v_fma_f64 v[4:5], v[102:103], v[52:53], -v[4:5]
	s_waitcnt vmcnt(40)
	v_fmac_f64_e32 v[144:145], v[136:137], v[84:85]
	v_add_f64 v[2:3], v[2:3], v[4:5]
	v_mul_f64 v[4:5], v[108:109], v[46:47]
	v_add_f64 v[146:147], v[142:143], v[144:145]
	ds_read_b128 v[142:145], v1 offset:1632
	v_fma_f64 v[4:5], v[106:107], v[48:49], -v[4:5]
	v_add_f64 v[2:3], v[2:3], v[4:5]
	v_mul_f64 v[4:5], v[112:113], v[58:59]
	v_fma_f64 v[4:5], v[110:111], v[60:61], -v[4:5]
	s_waitcnt lgkmcnt(1)
	v_mul_f64 v[148:149], v[138:139], v[78:79]
	v_add_f64 v[2:3], v[2:3], v[4:5]
	v_mul_f64 v[4:5], v[116:117], v[54:55]
	v_fmac_f64_e32 v[148:149], v[140:141], v[80:81]
	v_fma_f64 v[4:5], v[114:115], v[56:57], -v[4:5]
	v_add_f64 v[150:151], v[146:147], v[148:149]
	ds_read_b128 v[146:149], v1 offset:1648
	s_waitcnt vmcnt(34) lgkmcnt(1)
	v_mul_f64 v[152:153], v[142:143], v[90:91]
	v_add_f64 v[2:3], v[2:3], v[4:5]
	v_mul_f64 v[4:5], v[120:121], v[66:67]
	s_waitcnt vmcnt(32)
	v_fmac_f64_e32 v[152:153], v[144:145], v[92:93]
	v_fma_f64 v[4:5], v[118:119], v[68:69], -v[4:5]
	v_add_f64 v[154:155], v[150:151], v[152:153]
	ds_read_b128 v[150:153], v1 offset:1664
	v_add_f64 v[2:3], v[2:3], v[4:5]
	v_mul_f64 v[4:5], v[124:125], v[62:63]
	v_fma_f64 v[4:5], v[122:123], v[64:65], -v[4:5]
	v_add_f64 v[2:3], v[2:3], v[4:5]
	v_mul_f64 v[4:5], v[128:129], v[74:75]
	s_waitcnt lgkmcnt(1)
	v_mul_f64 v[156:157], v[146:147], v[86:87]
	v_fma_f64 v[4:5], v[126:127], v[76:77], -v[4:5]
	v_fmac_f64_e32 v[156:157], v[148:149], v[88:89]
	v_add_f64 v[2:3], v[2:3], v[4:5]
	v_mul_f64 v[4:5], v[132:133], v[70:71]
	v_add_f64 v[158:159], v[154:155], v[156:157]
	ds_read_b128 v[154:157], v1 offset:1680
	s_waitcnt vmcnt(26) lgkmcnt(1)
	v_mul_f64 v[160:161], v[150:151], v[98:99]
	v_fma_f64 v[4:5], v[130:131], v[72:73], -v[4:5]
	s_waitcnt vmcnt(24)
	v_fmac_f64_e32 v[160:161], v[152:153], v[100:101]
	v_add_f64 v[2:3], v[2:3], v[4:5]
	v_mul_f64 v[4:5], v[136:137], v[82:83]
	v_add_f64 v[162:163], v[158:159], v[160:161]
	ds_read_b128 v[158:161], v1 offset:1696
	v_fma_f64 v[4:5], v[134:135], v[84:85], -v[4:5]
	v_add_f64 v[2:3], v[2:3], v[4:5]
	v_mul_f64 v[4:5], v[140:141], v[78:79]
	v_fma_f64 v[4:5], v[138:139], v[80:81], -v[4:5]
	s_waitcnt lgkmcnt(1)
	v_mul_f64 v[164:165], v[154:155], v[94:95]
	v_add_f64 v[2:3], v[2:3], v[4:5]
	v_mul_f64 v[4:5], v[144:145], v[90:91]
	v_fmac_f64_e32 v[164:165], v[156:157], v[96:97]
	v_fma_f64 v[4:5], v[142:143], v[92:93], -v[4:5]
	v_add_f64 v[166:167], v[162:163], v[164:165]
	ds_read_b128 v[162:165], v1 offset:1712
	s_waitcnt vmcnt(18) lgkmcnt(1)
	v_mul_f64 v[168:169], v[158:159], v[186:187]
	v_add_f64 v[2:3], v[2:3], v[4:5]
	v_mul_f64 v[4:5], v[148:149], v[86:87]
	s_waitcnt vmcnt(16)
	v_fmac_f64_e32 v[168:169], v[160:161], v[188:189]
	v_fma_f64 v[4:5], v[146:147], v[88:89], -v[4:5]
	v_add_f64 v[170:171], v[166:167], v[168:169]
	ds_read_b128 v[166:169], v1 offset:1728
	v_add_f64 v[2:3], v[2:3], v[4:5]
	v_mul_f64 v[4:5], v[152:153], v[98:99]
	v_fma_f64 v[4:5], v[150:151], v[100:101], -v[4:5]
	v_add_f64 v[2:3], v[2:3], v[4:5]
	v_mul_f64 v[4:5], v[156:157], v[94:95]
	s_waitcnt lgkmcnt(1)
	v_mul_f64 v[172:173], v[162:163], v[182:183]
	v_fma_f64 v[4:5], v[154:155], v[96:97], -v[4:5]
	v_fmac_f64_e32 v[172:173], v[164:165], v[184:185]
	v_add_f64 v[2:3], v[2:3], v[4:5]
	v_mul_f64 v[4:5], v[160:161], v[186:187]
	v_add_f64 v[174:175], v[170:171], v[172:173]
	ds_read_b128 v[170:173], v1 offset:1744
	s_waitcnt vmcnt(10) lgkmcnt(1)
	v_mul_f64 v[176:177], v[166:167], v[194:195]
	v_fma_f64 v[4:5], v[158:159], v[188:189], -v[4:5]
	s_waitcnt vmcnt(8)
	v_fmac_f64_e32 v[176:177], v[168:169], v[196:197]
	v_add_f64 v[2:3], v[2:3], v[4:5]
	v_mul_f64 v[4:5], v[164:165], v[182:183]
	v_add_f64 v[206:207], v[174:175], v[176:177]
	ds_read_b128 v[174:177], v1 offset:1760
	ds_read_b128 v[178:181], v1 offset:1776
	v_fma_f64 v[4:5], v[162:163], v[184:185], -v[4:5]
	v_add_f64 v[2:3], v[2:3], v[4:5]
	v_mul_f64 v[4:5], v[168:169], v[194:195]
	v_fma_f64 v[4:5], v[166:167], v[196:197], -v[4:5]
	v_add_f64 v[2:3], v[2:3], v[4:5]
	s_waitcnt lgkmcnt(2)
	v_mul_f64 v[4:5], v[172:173], v[190:191]
	v_mul_f64 v[208:209], v[170:171], v[190:191]
	v_fma_f64 v[4:5], v[170:171], v[192:193], -v[4:5]
	v_fmac_f64_e32 v[208:209], v[172:173], v[192:193]
	v_add_f64 v[2:3], v[2:3], v[4:5]
	s_waitcnt vmcnt(2) lgkmcnt(1)
	v_mul_f64 v[4:5], v[176:177], v[202:203]
	v_add_f64 v[206:207], v[206:207], v[208:209]
	v_mul_f64 v[208:209], v[174:175], v[202:203]
	s_waitcnt vmcnt(0)
	v_fma_f64 v[4:5], v[174:175], v[204:205], -v[4:5]
	v_fmac_f64_e32 v[208:209], v[176:177], v[204:205]
	v_add_f64 v[2:3], v[2:3], v[4:5]
	s_waitcnt lgkmcnt(0)
	v_mul_f64 v[4:5], v[180:181], v[198:199]
	v_add_f64 v[206:207], v[206:207], v[208:209]
	v_mul_f64 v[208:209], v[178:179], v[198:199]
	v_fma_f64 v[4:5], v[178:179], v[200:201], -v[4:5]
	v_fmac_f64_e32 v[208:209], v[180:181], v[200:201]
	v_add_f64 v[2:3], v[2:3], v[4:5]
	v_add_f64 v[206:207], v[206:207], v[208:209]
	v_add_f64 v[2:3], v[34:35], -v[2:3]
	v_add_f64 v[4:5], v[32:33], -v[206:207]
	buffer_store_dword v3, off, s[0:3], 0 offset:500
	buffer_store_dword v2, off, s[0:3], 0 offset:496
	;; [unrolled: 1-line block ×4, first 2 shown]
	s_and_saveexec_b64 s[4:5], vcc
	s_cbranch_execz .LBB55_291
; %bb.290:
	v_accvgpr_read_b32 v5, a138
	buffer_load_dword v2, v5, s[0:3], 0 offen
	buffer_load_dword v3, v5, s[0:3], 0 offen offset:4
	buffer_load_dword v4, v5, s[0:3], 0 offen offset:8
	s_nop 0
	buffer_load_dword v5, v5, s[0:3], 0 offen offset:12
	v_accvgpr_read_b32 v6, a167
	buffer_store_dword v1, off, s[0:3], 0 offset:480
	buffer_store_dword v1, off, s[0:3], 0 offset:484
	;; [unrolled: 1-line block ×4, first 2 shown]
	s_waitcnt vmcnt(4)
	ds_write_b128 v6, v[2:5]
.LBB55_291:
	s_or_b64 exec, exec, s[4:5]
	s_waitcnt lgkmcnt(0)
	; wave barrier
	s_waitcnt lgkmcnt(0)
	buffer_load_dword v26, off, s[0:3], 0 offset:496
	buffer_load_dword v27, off, s[0:3], 0 offset:500
	;; [unrolled: 1-line block ×24, first 2 shown]
	ds_read_b128 v[22:25], v1 offset:1376
	ds_read_b128 v[18:21], v1 offset:1392
	;; [unrolled: 1-line block ×6, first 2 shown]
	buffer_load_dword v51, off, s[0:3], 0 offset:604
	buffer_load_dword v50, off, s[0:3], 0 offset:600
	;; [unrolled: 1-line block ×40, first 2 shown]
	v_cmp_lt_u32_e32 vcc, 28, v0
	s_waitcnt vmcnt(34) lgkmcnt(0)
	v_mul_f64 v[120:121], v[14:15], v[54:55]
	s_waitcnt vmcnt(32)
	v_fmac_f64_e32 v[120:121], v[16:17], v[56:57]
	v_mul_f64 v[90:91], v[22:23], v[28:29]
	v_fmac_f64_e32 v[90:91], v[24:25], v[26:27]
	v_mul_f64 v[92:93], v[18:19], v[30:31]
	v_add_f64 v[90:91], v[90:91], 0
	v_mul_f64 v[94:95], v[10:11], v[32:33]
	v_mul_f64 v[24:25], v[24:25], v[28:29]
	;; [unrolled: 1-line block ×3, first 2 shown]
	v_fma_f64 v[22:23], v[22:23], v[26:27], -v[24:25]
	v_add_f64 v[22:23], v[22:23], 0
	v_mul_f64 v[96:97], v[6:7], v[42:43]
	v_fmac_f64_e32 v[92:93], v[20:21], v[48:49]
	v_add_f64 v[90:91], v[90:91], v[92:93]
	v_fmac_f64_e32 v[94:95], v[12:13], v[46:47]
	v_add_f64 v[90:91], v[90:91], v[94:95]
	;; [unrolled: 2-line block ×3, first 2 shown]
	buffer_load_dword v91, off, s[0:3], 0 offset:764
	buffer_load_dword v90, off, s[0:3], 0 offset:760
	;; [unrolled: 1-line block ×40, first 2 shown]
	v_fmac_f64_e32 v[114:115], v[4:5], v[40:41]
	v_add_f64 v[118:119], v[116:117], v[114:115]
	ds_read_b128 v[114:117], v1 offset:1472
	buffer_load_dword v211, off, s[0:3], 0 offset:908
	buffer_load_dword v210, off, s[0:3], 0 offset:904
	;; [unrolled: 1-line block ×4, first 2 shown]
	v_add_f64 v[122:123], v[118:119], v[120:121]
	ds_read_b128 v[118:121], v1 offset:1488
	v_mul_f64 v[20:21], v[20:21], v[30:31]
	s_waitcnt lgkmcnt(1)
	v_mul_f64 v[124:125], v[114:115], v[50:51]
	v_fmac_f64_e32 v[124:125], v[116:117], v[52:53]
	v_add_f64 v[126:127], v[122:123], v[124:125]
	ds_read_b128 v[122:125], v1 offset:1504
	s_waitcnt vmcnt(62) lgkmcnt(1)
	v_mul_f64 v[128:129], v[118:119], v[62:63]
	v_fmac_f64_e32 v[128:129], v[120:121], v[64:65]
	v_add_f64 v[130:131], v[126:127], v[128:129]
	ds_read_b128 v[126:129], v1 offset:1520
	s_waitcnt lgkmcnt(1)
	v_mul_f64 v[132:133], v[122:123], v[58:59]
	v_fmac_f64_e32 v[132:133], v[124:125], v[60:61]
	v_add_f64 v[134:135], v[130:131], v[132:133]
	ds_read_b128 v[130:133], v1 offset:1536
	s_waitcnt lgkmcnt(1)
	v_mul_f64 v[136:137], v[126:127], v[70:71]
	s_waitcnt vmcnt(60)
	v_fmac_f64_e32 v[136:137], v[128:129], v[72:73]
	v_add_f64 v[138:139], v[134:135], v[136:137]
	ds_read_b128 v[134:137], v1 offset:1552
	s_waitcnt lgkmcnt(1)
	v_mul_f64 v[140:141], v[130:131], v[66:67]
	v_fmac_f64_e32 v[140:141], v[132:133], v[68:69]
	v_add_f64 v[142:143], v[138:139], v[140:141]
	ds_read_b128 v[138:141], v1 offset:1568
	s_waitcnt vmcnt(54) lgkmcnt(1)
	v_mul_f64 v[144:145], v[134:135], v[78:79]
	s_waitcnt vmcnt(52)
	v_fmac_f64_e32 v[144:145], v[136:137], v[80:81]
	v_add_f64 v[146:147], v[142:143], v[144:145]
	ds_read_b128 v[142:145], v1 offset:1584
	s_waitcnt lgkmcnt(1)
	v_mul_f64 v[148:149], v[138:139], v[74:75]
	v_fmac_f64_e32 v[148:149], v[140:141], v[76:77]
	v_fma_f64 v[18:19], v[18:19], v[48:49], -v[20:21]
	v_mul_f64 v[12:13], v[12:13], v[32:33]
	v_add_f64 v[150:151], v[146:147], v[148:149]
	ds_read_b128 v[146:149], v1 offset:1600
	v_add_f64 v[18:19], v[22:23], v[18:19]
	v_fma_f64 v[10:11], v[10:11], v[46:47], -v[12:13]
	v_mul_f64 v[8:9], v[8:9], v[42:43]
	v_add_f64 v[10:11], v[18:19], v[10:11]
	v_fma_f64 v[6:7], v[6:7], v[44:45], -v[8:9]
	v_mul_f64 v[4:5], v[4:5], v[38:39]
	;; [unrolled: 3-line block ×3, first 2 shown]
	s_waitcnt vmcnt(46) lgkmcnt(1)
	v_mul_f64 v[152:153], v[142:143], v[86:87]
	v_add_f64 v[2:3], v[6:7], v[2:3]
	v_fma_f64 v[4:5], v[14:15], v[56:57], -v[4:5]
	s_waitcnt vmcnt(44)
	v_fmac_f64_e32 v[152:153], v[144:145], v[88:89]
	v_add_f64 v[2:3], v[2:3], v[4:5]
	v_mul_f64 v[4:5], v[116:117], v[50:51]
	v_add_f64 v[154:155], v[150:151], v[152:153]
	ds_read_b128 v[150:153], v1 offset:1616
	s_waitcnt lgkmcnt(1)
	v_mul_f64 v[156:157], v[146:147], v[82:83]
	v_fma_f64 v[4:5], v[114:115], v[52:53], -v[4:5]
	v_fmac_f64_e32 v[156:157], v[148:149], v[84:85]
	v_add_f64 v[2:3], v[2:3], v[4:5]
	v_mul_f64 v[4:5], v[120:121], v[62:63]
	v_add_f64 v[158:159], v[154:155], v[156:157]
	ds_read_b128 v[154:157], v1 offset:1632
	v_fma_f64 v[4:5], v[118:119], v[64:65], -v[4:5]
	v_add_f64 v[2:3], v[2:3], v[4:5]
	v_mul_f64 v[4:5], v[124:125], v[58:59]
	v_fma_f64 v[4:5], v[122:123], v[60:61], -v[4:5]
	s_waitcnt vmcnt(38) lgkmcnt(1)
	v_mul_f64 v[160:161], v[150:151], v[94:95]
	v_add_f64 v[2:3], v[2:3], v[4:5]
	v_mul_f64 v[4:5], v[128:129], v[70:71]
	s_waitcnt vmcnt(36)
	v_fmac_f64_e32 v[160:161], v[152:153], v[96:97]
	v_fma_f64 v[4:5], v[126:127], v[72:73], -v[4:5]
	v_add_f64 v[162:163], v[158:159], v[160:161]
	ds_read_b128 v[158:161], v1 offset:1648
	s_waitcnt lgkmcnt(1)
	v_mul_f64 v[164:165], v[154:155], v[90:91]
	v_add_f64 v[2:3], v[2:3], v[4:5]
	v_mul_f64 v[4:5], v[132:133], v[66:67]
	v_fmac_f64_e32 v[164:165], v[156:157], v[92:93]
	v_fma_f64 v[4:5], v[130:131], v[68:69], -v[4:5]
	v_add_f64 v[166:167], v[162:163], v[164:165]
	ds_read_b128 v[162:165], v1 offset:1664
	v_add_f64 v[2:3], v[2:3], v[4:5]
	v_mul_f64 v[4:5], v[136:137], v[78:79]
	v_fma_f64 v[4:5], v[134:135], v[80:81], -v[4:5]
	v_add_f64 v[2:3], v[2:3], v[4:5]
	v_mul_f64 v[4:5], v[140:141], v[74:75]
	s_waitcnt vmcnt(30) lgkmcnt(1)
	v_mul_f64 v[168:169], v[158:159], v[102:103]
	v_fma_f64 v[4:5], v[138:139], v[76:77], -v[4:5]
	s_waitcnt vmcnt(28)
	v_fmac_f64_e32 v[168:169], v[160:161], v[104:105]
	v_add_f64 v[2:3], v[2:3], v[4:5]
	v_mul_f64 v[4:5], v[144:145], v[86:87]
	v_add_f64 v[170:171], v[166:167], v[168:169]
	ds_read_b128 v[166:169], v1 offset:1680
	s_waitcnt lgkmcnt(1)
	v_mul_f64 v[172:173], v[162:163], v[98:99]
	v_fma_f64 v[4:5], v[142:143], v[88:89], -v[4:5]
	v_fmac_f64_e32 v[172:173], v[164:165], v[100:101]
	v_add_f64 v[2:3], v[2:3], v[4:5]
	v_mul_f64 v[4:5], v[148:149], v[82:83]
	v_add_f64 v[174:175], v[170:171], v[172:173]
	ds_read_b128 v[170:173], v1 offset:1696
	v_fma_f64 v[4:5], v[146:147], v[84:85], -v[4:5]
	v_add_f64 v[2:3], v[2:3], v[4:5]
	v_mul_f64 v[4:5], v[152:153], v[94:95]
	v_fma_f64 v[4:5], v[150:151], v[96:97], -v[4:5]
	s_waitcnt vmcnt(22) lgkmcnt(1)
	v_mul_f64 v[176:177], v[166:167], v[110:111]
	v_add_f64 v[2:3], v[2:3], v[4:5]
	v_mul_f64 v[4:5], v[156:157], v[90:91]
	s_waitcnt vmcnt(20)
	v_fmac_f64_e32 v[176:177], v[168:169], v[112:113]
	v_fma_f64 v[4:5], v[154:155], v[92:93], -v[4:5]
	v_add_f64 v[178:179], v[174:175], v[176:177]
	ds_read_b128 v[174:177], v1 offset:1712
	s_waitcnt lgkmcnt(1)
	v_mul_f64 v[180:181], v[170:171], v[106:107]
	v_add_f64 v[2:3], v[2:3], v[4:5]
	v_mul_f64 v[4:5], v[160:161], v[102:103]
	v_fmac_f64_e32 v[180:181], v[172:173], v[108:109]
	v_fma_f64 v[4:5], v[158:159], v[104:105], -v[4:5]
	v_add_f64 v[182:183], v[178:179], v[180:181]
	ds_read_b128 v[178:181], v1 offset:1728
	v_add_f64 v[2:3], v[2:3], v[4:5]
	v_mul_f64 v[4:5], v[164:165], v[98:99]
	v_fma_f64 v[4:5], v[162:163], v[100:101], -v[4:5]
	v_add_f64 v[2:3], v[2:3], v[4:5]
	v_mul_f64 v[4:5], v[168:169], v[110:111]
	s_waitcnt vmcnt(14) lgkmcnt(1)
	v_mul_f64 v[184:185], v[174:175], v[198:199]
	v_fma_f64 v[4:5], v[166:167], v[112:113], -v[4:5]
	s_waitcnt vmcnt(12)
	v_fmac_f64_e32 v[184:185], v[176:177], v[200:201]
	v_add_f64 v[2:3], v[2:3], v[4:5]
	v_mul_f64 v[4:5], v[172:173], v[106:107]
	v_add_f64 v[186:187], v[182:183], v[184:185]
	ds_read_b128 v[182:185], v1 offset:1744
	s_waitcnt lgkmcnt(1)
	v_mul_f64 v[188:189], v[178:179], v[194:195]
	v_fma_f64 v[4:5], v[170:171], v[108:109], -v[4:5]
	v_fmac_f64_e32 v[188:189], v[180:181], v[196:197]
	v_add_f64 v[2:3], v[2:3], v[4:5]
	v_mul_f64 v[4:5], v[176:177], v[198:199]
	v_add_f64 v[214:215], v[186:187], v[188:189]
	ds_read_b128 v[186:189], v1 offset:1760
	v_fma_f64 v[4:5], v[174:175], v[200:201], -v[4:5]
	v_add_f64 v[2:3], v[2:3], v[4:5]
	v_mul_f64 v[4:5], v[180:181], v[194:195]
	ds_read_b128 v[190:193], v1 offset:1776
	v_fma_f64 v[4:5], v[178:179], v[196:197], -v[4:5]
	v_add_f64 v[2:3], v[2:3], v[4:5]
	s_waitcnt vmcnt(6) lgkmcnt(2)
	v_mul_f64 v[4:5], v[184:185], v[206:207]
	v_mul_f64 v[216:217], v[182:183], v[206:207]
	s_waitcnt vmcnt(4)
	v_fma_f64 v[4:5], v[182:183], v[208:209], -v[4:5]
	v_fmac_f64_e32 v[216:217], v[184:185], v[208:209]
	v_add_f64 v[2:3], v[2:3], v[4:5]
	s_waitcnt lgkmcnt(1)
	v_mul_f64 v[4:5], v[188:189], v[202:203]
	v_add_f64 v[214:215], v[214:215], v[216:217]
	v_mul_f64 v[216:217], v[186:187], v[202:203]
	v_fma_f64 v[4:5], v[186:187], v[204:205], -v[4:5]
	v_fmac_f64_e32 v[216:217], v[188:189], v[204:205]
	v_add_f64 v[2:3], v[2:3], v[4:5]
	s_waitcnt vmcnt(2) lgkmcnt(0)
	v_mul_f64 v[4:5], v[192:193], v[210:211]
	v_add_f64 v[214:215], v[214:215], v[216:217]
	v_mul_f64 v[216:217], v[190:191], v[210:211]
	s_waitcnt vmcnt(0)
	v_fma_f64 v[4:5], v[190:191], v[212:213], -v[4:5]
	v_fmac_f64_e32 v[216:217], v[192:193], v[212:213]
	v_add_f64 v[2:3], v[2:3], v[4:5]
	v_add_f64 v[214:215], v[214:215], v[216:217]
	v_add_f64 v[2:3], v[36:37], -v[2:3]
	v_add_f64 v[4:5], v[34:35], -v[214:215]
	buffer_store_dword v3, off, s[0:3], 0 offset:484
	buffer_store_dword v2, off, s[0:3], 0 offset:480
	buffer_store_dword v5, off, s[0:3], 0 offset:492
	buffer_store_dword v4, off, s[0:3], 0 offset:488
	s_and_saveexec_b64 s[4:5], vcc
	s_cbranch_execz .LBB55_293
; %bb.292:
	v_accvgpr_read_b32 v1, a139
	buffer_load_dword v2, v1, s[0:3], 0 offen
	buffer_load_dword v3, v1, s[0:3], 0 offen offset:4
	buffer_load_dword v4, v1, s[0:3], 0 offen offset:8
	;; [unrolled: 1-line block ×3, first 2 shown]
	v_mov_b32_e32 v1, 0
	v_accvgpr_read_b32 v6, a167
	buffer_store_dword v1, off, s[0:3], 0 offset:464
	buffer_store_dword v1, off, s[0:3], 0 offset:468
	;; [unrolled: 1-line block ×4, first 2 shown]
	s_waitcnt vmcnt(4)
	ds_write_b128 v6, v[2:5]
.LBB55_293:
	s_or_b64 exec, exec, s[4:5]
	s_waitcnt lgkmcnt(0)
	; wave barrier
	s_waitcnt lgkmcnt(0)
	buffer_load_dword v30, off, s[0:3], 0 offset:480
	buffer_load_dword v31, off, s[0:3], 0 offset:484
	;; [unrolled: 1-line block ×56, first 2 shown]
	v_mov_b32_e32 v1, 0
	ds_read_b128 v[26:29], v1 offset:1360
	ds_read_b128 v[22:25], v1 offset:1376
	;; [unrolled: 1-line block ×7, first 2 shown]
	v_cmp_lt_u32_e32 vcc, 27, v0
	s_waitcnt vmcnt(52) lgkmcnt(6)
	v_mul_f64 v[86:87], v[26:27], v[34:35]
	v_fmac_f64_e32 v[86:87], v[28:29], v[30:31]
	v_add_f64 v[86:87], v[86:87], 0
	v_mul_f64 v[28:29], v[28:29], v[34:35]
	s_waitcnt vmcnt(48) lgkmcnt(5)
	v_mul_f64 v[88:89], v[22:23], v[36:37]
	v_fmac_f64_e32 v[88:89], v[24:25], v[32:33]
	s_waitcnt vmcnt(46) lgkmcnt(4)
	v_mul_f64 v[90:91], v[18:19], v[38:39]
	v_add_f64 v[86:87], v[86:87], v[88:89]
	s_waitcnt vmcnt(44) lgkmcnt(2)
	v_mul_f64 v[94:95], v[10:11], v[40:41]
	v_fma_f64 v[26:27], v[26:27], v[30:31], -v[28:29]
	s_waitcnt vmcnt(42)
	v_fmac_f64_e32 v[94:95], v[12:13], v[42:43]
	v_mul_f64 v[24:25], v[24:25], v[36:37]
	s_waitcnt vmcnt(40)
	v_mul_f64 v[92:93], v[14:15], v[48:49]
	v_add_f64 v[26:27], v[26:27], 0
	v_fma_f64 v[22:23], v[22:23], v[32:33], -v[24:25]
	v_add_f64 v[22:23], v[26:27], v[22:23]
	s_waitcnt vmcnt(36) lgkmcnt(1)
	v_mul_f64 v[110:111], v[6:7], v[54:55]
	v_mul_f64 v[12:13], v[12:13], v[40:41]
	s_waitcnt vmcnt(34)
	v_fmac_f64_e32 v[90:91], v[20:21], v[60:61]
	v_add_f64 v[86:87], v[86:87], v[90:91]
	s_waitcnt vmcnt(32)
	v_fmac_f64_e32 v[92:93], v[16:17], v[58:59]
	v_add_f64 v[86:87], v[86:87], v[92:93]
	v_add_f64 v[116:117], v[86:87], v[94:95]
	buffer_load_dword v87, off, s[0:3], 0 offset:716
	buffer_load_dword v86, off, s[0:3], 0 offset:712
	;; [unrolled: 1-line block ×56, first 2 shown]
	ds_read_b128 v[124:127], v1 offset:1472
	ds_read_b128 v[128:131], v1 offset:1488
	v_mul_f64 v[20:21], v[20:21], v[38:39]
	v_fma_f64 v[18:19], v[18:19], v[60:61], -v[20:21]
	v_mul_f64 v[16:17], v[16:17], v[48:49]
	s_waitcnt vmcnt(62)
	v_fmac_f64_e32 v[110:111], v[8:9], v[56:57]
	v_add_f64 v[18:19], v[22:23], v[18:19]
	v_fma_f64 v[14:15], v[14:15], v[58:59], -v[16:17]
	v_add_f64 v[110:111], v[116:117], v[110:111]
	s_waitcnt lgkmcnt(2)
	v_mul_f64 v[116:117], v[2:3], v[50:51]
	v_add_f64 v[14:15], v[18:19], v[14:15]
	v_fma_f64 v[10:11], v[10:11], v[42:43], -v[12:13]
	v_mul_f64 v[8:9], v[8:9], v[54:55]
	v_fmac_f64_e32 v[116:117], v[4:5], v[52:53]
	ds_read_b128 v[132:135], v1 offset:1504
	ds_read_b128 v[136:139], v1 offset:1520
	v_add_f64 v[10:11], v[14:15], v[10:11]
	v_fma_f64 v[6:7], v[6:7], v[56:57], -v[8:9]
	v_mul_f64 v[4:5], v[4:5], v[50:51]
	v_add_f64 v[6:7], v[10:11], v[6:7]
	v_fma_f64 v[2:3], v[2:3], v[52:53], -v[4:5]
	s_waitcnt lgkmcnt(3)
	v_mul_f64 v[4:5], v[126:127], v[66:67]
	v_add_f64 v[110:111], v[110:111], v[116:117]
	v_mul_f64 v[116:117], v[124:125], v[66:67]
	v_add_f64 v[2:3], v[6:7], v[2:3]
	v_fma_f64 v[4:5], v[124:125], v[68:69], -v[4:5]
	v_fmac_f64_e32 v[116:117], v[126:127], v[68:69]
	v_add_f64 v[2:3], v[2:3], v[4:5]
	s_waitcnt lgkmcnt(2)
	v_mul_f64 v[4:5], v[130:131], v[62:63]
	v_add_f64 v[110:111], v[110:111], v[116:117]
	v_mul_f64 v[116:117], v[128:129], v[62:63]
	ds_read_b128 v[140:143], v1 offset:1536
	ds_read_b128 v[144:147], v1 offset:1552
	v_fma_f64 v[4:5], v[128:129], v[64:65], -v[4:5]
	v_fmac_f64_e32 v[116:117], v[130:131], v[64:65]
	v_add_f64 v[2:3], v[2:3], v[4:5]
	s_waitcnt lgkmcnt(3)
	v_mul_f64 v[4:5], v[134:135], v[74:75]
	v_add_f64 v[110:111], v[110:111], v[116:117]
	v_mul_f64 v[116:117], v[132:133], v[74:75]
	v_fma_f64 v[4:5], v[132:133], v[76:77], -v[4:5]
	v_fmac_f64_e32 v[116:117], v[134:135], v[76:77]
	v_add_f64 v[2:3], v[2:3], v[4:5]
	s_waitcnt lgkmcnt(2)
	v_mul_f64 v[4:5], v[138:139], v[70:71]
	v_add_f64 v[110:111], v[110:111], v[116:117]
	v_mul_f64 v[116:117], v[136:137], v[70:71]
	ds_read_b128 v[148:151], v1 offset:1568
	ds_read_b128 v[152:155], v1 offset:1584
	v_fma_f64 v[4:5], v[136:137], v[72:73], -v[4:5]
	v_fmac_f64_e32 v[116:117], v[138:139], v[72:73]
	v_add_f64 v[2:3], v[2:3], v[4:5]
	s_waitcnt vmcnt(58) lgkmcnt(3)
	v_mul_f64 v[4:5], v[142:143], v[82:83]
	v_add_f64 v[110:111], v[110:111], v[116:117]
	v_mul_f64 v[116:117], v[140:141], v[82:83]
	s_waitcnt vmcnt(56)
	v_fma_f64 v[4:5], v[140:141], v[84:85], -v[4:5]
	v_fmac_f64_e32 v[116:117], v[142:143], v[84:85]
	v_add_f64 v[2:3], v[2:3], v[4:5]
	s_waitcnt lgkmcnt(2)
	v_mul_f64 v[4:5], v[146:147], v[78:79]
	v_add_f64 v[110:111], v[110:111], v[116:117]
	v_mul_f64 v[116:117], v[144:145], v[78:79]
	ds_read_b128 v[156:159], v1 offset:1600
	ds_read_b128 v[160:163], v1 offset:1616
	v_fma_f64 v[4:5], v[144:145], v[80:81], -v[4:5]
	v_fmac_f64_e32 v[116:117], v[146:147], v[80:81]
	v_add_f64 v[2:3], v[2:3], v[4:5]
	s_waitcnt vmcnt(50) lgkmcnt(3)
	v_mul_f64 v[4:5], v[150:151], v[90:91]
	v_add_f64 v[110:111], v[110:111], v[116:117]
	v_mul_f64 v[116:117], v[148:149], v[90:91]
	s_waitcnt vmcnt(48)
	;; [unrolled: 17-line block ×7, first 2 shown]
	v_fma_f64 v[4:5], v[188:189], v[216:217], -v[4:5]
	v_fmac_f64_e32 v[116:117], v[190:191], v[216:217]
	v_add_f64 v[2:3], v[2:3], v[4:5]
	s_waitcnt lgkmcnt(2)
	v_mul_f64 v[4:5], v[194:195], v[210:211]
	v_add_f64 v[110:111], v[110:111], v[116:117]
	v_mul_f64 v[116:117], v[192:193], v[210:211]
	v_fma_f64 v[4:5], v[192:193], v[212:213], -v[4:5]
	v_fmac_f64_e32 v[116:117], v[194:195], v[212:213]
	v_add_f64 v[2:3], v[2:3], v[4:5]
	s_waitcnt vmcnt(2) lgkmcnt(1)
	v_mul_f64 v[4:5], v[198:199], v[222:223]
	v_add_f64 v[110:111], v[110:111], v[116:117]
	v_mul_f64 v[116:117], v[196:197], v[222:223]
	s_waitcnt vmcnt(0)
	v_fma_f64 v[4:5], v[196:197], v[224:225], -v[4:5]
	v_fmac_f64_e32 v[116:117], v[198:199], v[224:225]
	v_add_f64 v[2:3], v[2:3], v[4:5]
	s_waitcnt lgkmcnt(0)
	v_mul_f64 v[4:5], v[202:203], v[218:219]
	v_add_f64 v[110:111], v[110:111], v[116:117]
	v_mul_f64 v[116:117], v[200:201], v[218:219]
	v_fma_f64 v[4:5], v[200:201], v[220:221], -v[4:5]
	v_fmac_f64_e32 v[116:117], v[202:203], v[220:221]
	v_add_f64 v[2:3], v[2:3], v[4:5]
	v_add_f64 v[110:111], v[110:111], v[116:117]
	v_add_f64 v[2:3], v[46:47], -v[2:3]
	v_add_f64 v[4:5], v[44:45], -v[110:111]
	buffer_store_dword v3, off, s[0:3], 0 offset:468
	buffer_store_dword v2, off, s[0:3], 0 offset:464
	;; [unrolled: 1-line block ×4, first 2 shown]
	s_and_saveexec_b64 s[4:5], vcc
	s_cbranch_execz .LBB55_295
; %bb.294:
	v_accvgpr_read_b32 v5, a140
	buffer_load_dword v2, v5, s[0:3], 0 offen
	buffer_load_dword v3, v5, s[0:3], 0 offen offset:4
	buffer_load_dword v4, v5, s[0:3], 0 offen offset:8
	s_nop 0
	buffer_load_dword v5, v5, s[0:3], 0 offen offset:12
	v_accvgpr_read_b32 v6, a167
	buffer_store_dword v1, off, s[0:3], 0 offset:448
	buffer_store_dword v1, off, s[0:3], 0 offset:452
	;; [unrolled: 1-line block ×4, first 2 shown]
	s_waitcnt vmcnt(4)
	ds_write_b128 v6, v[2:5]
.LBB55_295:
	s_or_b64 exec, exec, s[4:5]
	s_waitcnt lgkmcnt(0)
	; wave barrier
	s_waitcnt lgkmcnt(0)
	buffer_load_dword v34, off, s[0:3], 0 offset:464
	buffer_load_dword v35, off, s[0:3], 0 offset:468
	;; [unrolled: 1-line block ×32, first 2 shown]
	ds_read_b128 v[30:33], v1 offset:1344
	ds_read_b128 v[26:29], v1 offset:1360
	;; [unrolled: 1-line block ×8, first 2 shown]
	buffer_load_dword v67, off, s[0:3], 0 offset:604
	buffer_load_dword v66, off, s[0:3], 0 offset:600
	;; [unrolled: 1-line block ×24, first 2 shown]
	v_cmp_lt_u32_e32 vcc, 26, v0
	s_waitcnt vmcnt(52) lgkmcnt(7)
	v_mul_f64 v[90:91], v[30:31], v[38:39]
	v_fmac_f64_e32 v[90:91], v[32:33], v[34:35]
	v_add_f64 v[90:91], v[90:91], 0
	v_mul_f64 v[32:33], v[32:33], v[38:39]
	s_waitcnt vmcnt(48) lgkmcnt(6)
	v_mul_f64 v[92:93], v[26:27], v[40:41]
	v_fmac_f64_e32 v[92:93], v[28:29], v[36:37]
	s_waitcnt vmcnt(46) lgkmcnt(5)
	v_mul_f64 v[94:95], v[22:23], v[42:43]
	v_add_f64 v[90:91], v[90:91], v[92:93]
	s_waitcnt vmcnt(44) lgkmcnt(4)
	v_mul_f64 v[96:97], v[18:19], v[48:49]
	v_fma_f64 v[30:31], v[30:31], v[34:35], -v[32:33]
	s_waitcnt vmcnt(42) lgkmcnt(1)
	v_mul_f64 v[122:123], v[2:3], v[50:51]
	v_mul_f64 v[28:29], v[28:29], v[40:41]
	s_waitcnt vmcnt(18) lgkmcnt(0)
	v_mul_f64 v[136:137], v[14:15], v[70:71]
	v_mul_f64 v[100:101], v[6:7], v[54:55]
	s_waitcnt vmcnt(16)
	v_fmac_f64_e32 v[136:137], v[16:17], v[72:73]
	v_mul_f64 v[98:99], v[10:11], v[56:57]
	v_add_f64 v[30:31], v[30:31], 0
	v_fmac_f64_e32 v[98:99], v[12:13], v[58:59]
	v_fma_f64 v[26:27], v[26:27], v[36:37], -v[28:29]
	v_fmac_f64_e32 v[94:95], v[24:25], v[64:65]
	v_add_f64 v[90:91], v[90:91], v[94:95]
	v_fmac_f64_e32 v[96:97], v[20:21], v[62:63]
	v_add_f64 v[90:91], v[90:91], v[96:97]
	v_fmac_f64_e32 v[100:101], v[8:9], v[60:61]
	v_add_f64 v[90:91], v[90:91], v[98:99]
	v_add_f64 v[124:125], v[90:91], v[100:101]
	buffer_load_dword v91, off, s[0:3], 0 offset:700
	buffer_load_dword v90, off, s[0:3], 0 offset:696
	;; [unrolled: 1-line block ×56, first 2 shown]
	v_fmac_f64_e32 v[122:123], v[4:5], v[52:53]
	v_add_f64 v[134:135], v[124:125], v[122:123]
	ds_read_b128 v[122:125], v1 offset:1472
	buffer_load_dword v227, off, s[0:3], 0 offset:908
	buffer_load_dword v226, off, s[0:3], 0 offset:904
	;; [unrolled: 1-line block ×4, first 2 shown]
	v_add_f64 v[138:139], v[134:135], v[136:137]
	ds_read_b128 v[134:137], v1 offset:1488
	v_mul_f64 v[24:25], v[24:25], v[42:43]
	s_waitcnt lgkmcnt(1)
	v_mul_f64 v[140:141], v[122:123], v[66:67]
	v_fmac_f64_e32 v[140:141], v[124:125], v[68:69]
	v_add_f64 v[142:143], v[138:139], v[140:141]
	ds_read_b128 v[138:141], v1 offset:1504
	s_waitcnt vmcnt(62) lgkmcnt(1)
	v_mul_f64 v[144:145], v[134:135], v[78:79]
	v_fmac_f64_e32 v[144:145], v[136:137], v[80:81]
	v_add_f64 v[146:147], v[142:143], v[144:145]
	ds_read_b128 v[142:145], v1 offset:1520
	s_waitcnt lgkmcnt(1)
	v_mul_f64 v[148:149], v[138:139], v[74:75]
	v_fmac_f64_e32 v[148:149], v[140:141], v[76:77]
	v_add_f64 v[150:151], v[146:147], v[148:149]
	ds_read_b128 v[146:149], v1 offset:1536
	s_waitcnt lgkmcnt(1)
	v_mul_f64 v[152:153], v[142:143], v[86:87]
	s_waitcnt vmcnt(60)
	v_fmac_f64_e32 v[152:153], v[144:145], v[88:89]
	v_add_f64 v[154:155], v[150:151], v[152:153]
	ds_read_b128 v[150:153], v1 offset:1552
	s_waitcnt lgkmcnt(1)
	v_mul_f64 v[156:157], v[146:147], v[82:83]
	v_fmac_f64_e32 v[156:157], v[148:149], v[84:85]
	v_add_f64 v[158:159], v[154:155], v[156:157]
	ds_read_b128 v[154:157], v1 offset:1568
	v_add_f64 v[26:27], v[30:31], v[26:27]
	v_fma_f64 v[22:23], v[22:23], v[64:65], -v[24:25]
	s_waitcnt vmcnt(54) lgkmcnt(1)
	v_mul_f64 v[160:161], v[150:151], v[94:95]
	v_mul_f64 v[20:21], v[20:21], v[48:49]
	s_waitcnt vmcnt(52)
	v_fmac_f64_e32 v[160:161], v[152:153], v[96:97]
	v_add_f64 v[162:163], v[158:159], v[160:161]
	ds_read_b128 v[158:161], v1 offset:1584
	s_waitcnt lgkmcnt(1)
	v_mul_f64 v[164:165], v[154:155], v[90:91]
	v_fmac_f64_e32 v[164:165], v[156:157], v[92:93]
	v_add_f64 v[22:23], v[26:27], v[22:23]
	v_fma_f64 v[18:19], v[18:19], v[62:63], -v[20:21]
	v_mul_f64 v[12:13], v[12:13], v[56:57]
	v_add_f64 v[166:167], v[162:163], v[164:165]
	ds_read_b128 v[162:165], v1 offset:1600
	v_add_f64 v[18:19], v[22:23], v[18:19]
	v_fma_f64 v[10:11], v[10:11], v[58:59], -v[12:13]
	v_mul_f64 v[8:9], v[8:9], v[54:55]
	v_add_f64 v[10:11], v[18:19], v[10:11]
	v_fma_f64 v[6:7], v[6:7], v[60:61], -v[8:9]
	v_mul_f64 v[4:5], v[4:5], v[50:51]
	;; [unrolled: 3-line block ×3, first 2 shown]
	s_waitcnt vmcnt(46) lgkmcnt(1)
	v_mul_f64 v[168:169], v[158:159], v[102:103]
	v_add_f64 v[2:3], v[6:7], v[2:3]
	v_fma_f64 v[4:5], v[14:15], v[72:73], -v[4:5]
	s_waitcnt vmcnt(44)
	v_fmac_f64_e32 v[168:169], v[160:161], v[104:105]
	v_add_f64 v[2:3], v[2:3], v[4:5]
	v_mul_f64 v[4:5], v[124:125], v[66:67]
	v_add_f64 v[170:171], v[166:167], v[168:169]
	ds_read_b128 v[166:169], v1 offset:1616
	s_waitcnt lgkmcnt(1)
	v_mul_f64 v[172:173], v[162:163], v[98:99]
	v_fma_f64 v[4:5], v[122:123], v[68:69], -v[4:5]
	v_fmac_f64_e32 v[172:173], v[164:165], v[100:101]
	v_add_f64 v[2:3], v[2:3], v[4:5]
	v_mul_f64 v[4:5], v[136:137], v[78:79]
	v_add_f64 v[174:175], v[170:171], v[172:173]
	ds_read_b128 v[170:173], v1 offset:1632
	v_fma_f64 v[4:5], v[134:135], v[80:81], -v[4:5]
	v_add_f64 v[2:3], v[2:3], v[4:5]
	v_mul_f64 v[4:5], v[140:141], v[74:75]
	v_fma_f64 v[4:5], v[138:139], v[76:77], -v[4:5]
	s_waitcnt vmcnt(38) lgkmcnt(1)
	v_mul_f64 v[176:177], v[166:167], v[110:111]
	v_add_f64 v[2:3], v[2:3], v[4:5]
	v_mul_f64 v[4:5], v[144:145], v[86:87]
	s_waitcnt vmcnt(36)
	v_fmac_f64_e32 v[176:177], v[168:169], v[112:113]
	v_fma_f64 v[4:5], v[142:143], v[88:89], -v[4:5]
	v_add_f64 v[178:179], v[174:175], v[176:177]
	ds_read_b128 v[174:177], v1 offset:1648
	s_waitcnt lgkmcnt(1)
	v_mul_f64 v[180:181], v[170:171], v[106:107]
	v_add_f64 v[2:3], v[2:3], v[4:5]
	v_mul_f64 v[4:5], v[148:149], v[82:83]
	v_fmac_f64_e32 v[180:181], v[172:173], v[108:109]
	v_fma_f64 v[4:5], v[146:147], v[84:85], -v[4:5]
	v_add_f64 v[182:183], v[178:179], v[180:181]
	ds_read_b128 v[178:181], v1 offset:1664
	v_add_f64 v[2:3], v[2:3], v[4:5]
	v_mul_f64 v[4:5], v[152:153], v[94:95]
	v_fma_f64 v[4:5], v[150:151], v[96:97], -v[4:5]
	v_add_f64 v[2:3], v[2:3], v[4:5]
	v_mul_f64 v[4:5], v[156:157], v[90:91]
	s_waitcnt vmcnt(30) lgkmcnt(1)
	v_mul_f64 v[184:185], v[174:175], v[118:119]
	v_fma_f64 v[4:5], v[154:155], v[92:93], -v[4:5]
	s_waitcnt vmcnt(28)
	v_fmac_f64_e32 v[184:185], v[176:177], v[120:121]
	v_add_f64 v[2:3], v[2:3], v[4:5]
	v_mul_f64 v[4:5], v[160:161], v[102:103]
	v_add_f64 v[186:187], v[182:183], v[184:185]
	ds_read_b128 v[182:185], v1 offset:1680
	s_waitcnt lgkmcnt(1)
	v_mul_f64 v[188:189], v[178:179], v[114:115]
	v_fma_f64 v[4:5], v[158:159], v[104:105], -v[4:5]
	v_fmac_f64_e32 v[188:189], v[180:181], v[116:117]
	v_add_f64 v[2:3], v[2:3], v[4:5]
	v_mul_f64 v[4:5], v[164:165], v[98:99]
	v_add_f64 v[190:191], v[186:187], v[188:189]
	ds_read_b128 v[186:189], v1 offset:1696
	v_fma_f64 v[4:5], v[162:163], v[100:101], -v[4:5]
	v_add_f64 v[2:3], v[2:3], v[4:5]
	v_mul_f64 v[4:5], v[168:169], v[110:111]
	v_fma_f64 v[4:5], v[166:167], v[112:113], -v[4:5]
	s_waitcnt vmcnt(22) lgkmcnt(1)
	v_mul_f64 v[192:193], v[182:183], v[130:131]
	v_add_f64 v[2:3], v[2:3], v[4:5]
	v_mul_f64 v[4:5], v[172:173], v[106:107]
	s_waitcnt vmcnt(20)
	v_fmac_f64_e32 v[192:193], v[184:185], v[132:133]
	v_fma_f64 v[4:5], v[170:171], v[108:109], -v[4:5]
	v_add_f64 v[194:195], v[190:191], v[192:193]
	ds_read_b128 v[190:193], v1 offset:1712
	s_waitcnt lgkmcnt(1)
	v_mul_f64 v[196:197], v[186:187], v[126:127]
	v_add_f64 v[2:3], v[2:3], v[4:5]
	v_mul_f64 v[4:5], v[176:177], v[118:119]
	v_fmac_f64_e32 v[196:197], v[188:189], v[128:129]
	v_fma_f64 v[4:5], v[174:175], v[120:121], -v[4:5]
	v_add_f64 v[198:199], v[194:195], v[196:197]
	ds_read_b128 v[194:197], v1 offset:1728
	v_add_f64 v[2:3], v[2:3], v[4:5]
	v_mul_f64 v[4:5], v[180:181], v[114:115]
	v_fma_f64 v[4:5], v[178:179], v[116:117], -v[4:5]
	v_add_f64 v[2:3], v[2:3], v[4:5]
	v_mul_f64 v[4:5], v[184:185], v[130:131]
	s_waitcnt vmcnt(14) lgkmcnt(1)
	v_mul_f64 v[200:201], v[190:191], v[214:215]
	v_fma_f64 v[4:5], v[182:183], v[132:133], -v[4:5]
	s_waitcnt vmcnt(12)
	v_fmac_f64_e32 v[200:201], v[192:193], v[216:217]
	v_add_f64 v[2:3], v[2:3], v[4:5]
	v_mul_f64 v[4:5], v[188:189], v[126:127]
	v_add_f64 v[202:203], v[198:199], v[200:201]
	ds_read_b128 v[198:201], v1 offset:1744
	s_waitcnt lgkmcnt(1)
	v_mul_f64 v[204:205], v[194:195], v[210:211]
	v_fma_f64 v[4:5], v[186:187], v[128:129], -v[4:5]
	v_fmac_f64_e32 v[204:205], v[196:197], v[212:213]
	v_add_f64 v[2:3], v[2:3], v[4:5]
	v_mul_f64 v[4:5], v[192:193], v[214:215]
	v_add_f64 v[230:231], v[202:203], v[204:205]
	ds_read_b128 v[202:205], v1 offset:1760
	v_fma_f64 v[4:5], v[190:191], v[216:217], -v[4:5]
	v_add_f64 v[2:3], v[2:3], v[4:5]
	v_mul_f64 v[4:5], v[196:197], v[210:211]
	ds_read_b128 v[206:209], v1 offset:1776
	v_fma_f64 v[4:5], v[194:195], v[212:213], -v[4:5]
	v_add_f64 v[2:3], v[2:3], v[4:5]
	s_waitcnt vmcnt(6) lgkmcnt(2)
	v_mul_f64 v[4:5], v[200:201], v[222:223]
	v_mul_f64 v[232:233], v[198:199], v[222:223]
	s_waitcnt vmcnt(4)
	v_fma_f64 v[4:5], v[198:199], v[224:225], -v[4:5]
	v_fmac_f64_e32 v[232:233], v[200:201], v[224:225]
	v_add_f64 v[2:3], v[2:3], v[4:5]
	s_waitcnt lgkmcnt(1)
	v_mul_f64 v[4:5], v[204:205], v[218:219]
	v_add_f64 v[230:231], v[230:231], v[232:233]
	v_mul_f64 v[232:233], v[202:203], v[218:219]
	v_fma_f64 v[4:5], v[202:203], v[220:221], -v[4:5]
	v_fmac_f64_e32 v[232:233], v[204:205], v[220:221]
	v_add_f64 v[2:3], v[2:3], v[4:5]
	s_waitcnt vmcnt(2) lgkmcnt(0)
	v_mul_f64 v[4:5], v[208:209], v[226:227]
	v_add_f64 v[230:231], v[230:231], v[232:233]
	v_mul_f64 v[232:233], v[206:207], v[226:227]
	s_waitcnt vmcnt(0)
	v_fma_f64 v[4:5], v[206:207], v[228:229], -v[4:5]
	v_fmac_f64_e32 v[232:233], v[208:209], v[228:229]
	v_add_f64 v[2:3], v[2:3], v[4:5]
	v_add_f64 v[230:231], v[230:231], v[232:233]
	v_add_f64 v[2:3], v[46:47], -v[2:3]
	v_add_f64 v[4:5], v[44:45], -v[230:231]
	buffer_store_dword v3, off, s[0:3], 0 offset:452
	buffer_store_dword v2, off, s[0:3], 0 offset:448
	;; [unrolled: 1-line block ×4, first 2 shown]
	s_and_saveexec_b64 s[4:5], vcc
	s_cbranch_execz .LBB55_297
; %bb.296:
	v_accvgpr_read_b32 v1, a141
	buffer_load_dword v2, v1, s[0:3], 0 offen
	buffer_load_dword v3, v1, s[0:3], 0 offen offset:4
	buffer_load_dword v4, v1, s[0:3], 0 offen offset:8
	buffer_load_dword v5, v1, s[0:3], 0 offen offset:12
	v_mov_b32_e32 v1, 0
	v_accvgpr_read_b32 v6, a167
	buffer_store_dword v1, off, s[0:3], 0 offset:432
	buffer_store_dword v1, off, s[0:3], 0 offset:436
	;; [unrolled: 1-line block ×4, first 2 shown]
	s_waitcnt vmcnt(4)
	ds_write_b128 v6, v[2:5]
.LBB55_297:
	s_or_b64 exec, exec, s[4:5]
	s_waitcnt lgkmcnt(0)
	; wave barrier
	s_waitcnt lgkmcnt(0)
	buffer_load_dword v38, off, s[0:3], 0 offset:448
	buffer_load_dword v39, off, s[0:3], 0 offset:452
	;; [unrolled: 1-line block ×48, first 2 shown]
	v_mov_b32_e32 v1, 0
	ds_read_b128 v[34:37], v1 offset:1328
	ds_read_b128 v[30:33], v1 offset:1344
	;; [unrolled: 1-line block ×9, first 2 shown]
	v_cmp_lt_u32_e32 vcc, 25, v0
	s_waitcnt vmcnt(44) lgkmcnt(8)
	v_mul_f64 v[86:87], v[34:35], v[42:43]
	v_fmac_f64_e32 v[86:87], v[36:37], v[38:39]
	v_add_f64 v[86:87], v[86:87], 0
	v_mul_f64 v[36:37], v[36:37], v[42:43]
	s_waitcnt vmcnt(40) lgkmcnt(7)
	v_mul_f64 v[88:89], v[30:31], v[44:45]
	v_fmac_f64_e32 v[88:89], v[32:33], v[40:41]
	s_waitcnt vmcnt(38) lgkmcnt(6)
	v_mul_f64 v[90:91], v[26:27], v[46:47]
	v_add_f64 v[86:87], v[86:87], v[88:89]
	s_waitcnt vmcnt(36) lgkmcnt(4)
	v_mul_f64 v[94:95], v[18:19], v[48:49]
	v_fma_f64 v[34:35], v[34:35], v[38:39], -v[36:37]
	s_waitcnt vmcnt(34)
	v_fmac_f64_e32 v[94:95], v[20:21], v[50:51]
	v_mul_f64 v[32:33], v[32:33], v[44:45]
	s_waitcnt vmcnt(32)
	v_mul_f64 v[92:93], v[22:23], v[52:53]
	v_add_f64 v[34:35], v[34:35], 0
	s_waitcnt vmcnt(30) lgkmcnt(2)
	v_mul_f64 v[98:99], v[10:11], v[54:55]
	v_fma_f64 v[30:31], v[30:31], v[40:41], -v[32:33]
	s_waitcnt vmcnt(28)
	v_fmac_f64_e32 v[98:99], v[12:13], v[56:57]
	v_add_f64 v[30:31], v[34:35], v[30:31]
	s_waitcnt vmcnt(26)
	v_mul_f64 v[96:97], v[14:15], v[58:59]
	v_mul_f64 v[20:21], v[20:21], v[48:49]
	v_fma_f64 v[18:19], v[18:19], v[50:51], -v[20:21]
	v_mul_f64 v[12:13], v[12:13], v[54:55]
	s_waitcnt vmcnt(22) lgkmcnt(1)
	v_mul_f64 v[110:111], v[6:7], v[68:69]
	v_fma_f64 v[10:11], v[10:11], v[56:57], -v[12:13]
	s_waitcnt vmcnt(20)
	v_fmac_f64_e32 v[90:91], v[28:29], v[76:77]
	v_add_f64 v[86:87], v[86:87], v[90:91]
	s_waitcnt vmcnt(18)
	v_fmac_f64_e32 v[92:93], v[24:25], v[74:75]
	v_add_f64 v[86:87], v[86:87], v[92:93]
	;; [unrolled: 3-line block ×3, first 2 shown]
	v_add_f64 v[86:87], v[86:87], v[96:97]
	v_add_f64 v[112:113], v[86:87], v[98:99]
	buffer_load_dword v87, off, s[0:3], 0 offset:652
	buffer_load_dword v86, off, s[0:3], 0 offset:648
	;; [unrolled: 1-line block ×72, first 2 shown]
	s_waitcnt vmcnt(62)
	v_fmac_f64_e32 v[110:111], v[8:9], v[70:71]
	v_add_f64 v[142:143], v[112:113], v[110:111]
	ds_read_b128 v[110:113], v1 offset:1472
	s_waitcnt lgkmcnt(1)
	v_mul_f64 v[144:145], v[2:3], v[64:65]
	v_fmac_f64_e32 v[144:145], v[4:5], v[66:67]
	v_add_f64 v[146:147], v[142:143], v[144:145]
	ds_read_b128 v[142:145], v1 offset:1488
	s_waitcnt lgkmcnt(1)
	v_mul_f64 v[148:149], v[110:111], v[82:83]
	;; [unrolled: 5-line block ×5, first 2 shown]
	v_fmac_f64_e32 v[160:161], v[152:153], v[88:89]
	v_add_f64 v[162:163], v[158:159], v[160:161]
	ds_read_b128 v[158:161], v1 offset:1552
	s_waitcnt vmcnt(58) lgkmcnt(1)
	v_mul_f64 v[164:165], v[154:155], v[98:99]
	s_waitcnt vmcnt(56)
	v_fmac_f64_e32 v[164:165], v[156:157], v[100:101]
	v_add_f64 v[166:167], v[162:163], v[164:165]
	ds_read_b128 v[162:165], v1 offset:1568
	s_waitcnt lgkmcnt(1)
	v_mul_f64 v[168:169], v[158:159], v[94:95]
	v_fmac_f64_e32 v[168:169], v[160:161], v[96:97]
	v_mul_f64 v[28:29], v[28:29], v[46:47]
	v_add_f64 v[170:171], v[166:167], v[168:169]
	ds_read_b128 v[166:169], v1 offset:1584
	s_waitcnt vmcnt(50) lgkmcnt(1)
	v_mul_f64 v[172:173], v[162:163], v[106:107]
	v_fma_f64 v[26:27], v[26:27], v[76:77], -v[28:29]
	v_mul_f64 v[24:25], v[24:25], v[52:53]
	s_waitcnt vmcnt(48)
	v_fmac_f64_e32 v[172:173], v[164:165], v[108:109]
	v_add_f64 v[26:27], v[30:31], v[26:27]
	v_fma_f64 v[22:23], v[22:23], v[74:75], -v[24:25]
	v_add_f64 v[174:175], v[170:171], v[172:173]
	ds_read_b128 v[170:173], v1 offset:1600
	v_add_f64 v[22:23], v[26:27], v[22:23]
	v_mul_f64 v[16:17], v[16:17], v[58:59]
	v_add_f64 v[18:19], v[22:23], v[18:19]
	v_fma_f64 v[14:15], v[14:15], v[72:73], -v[16:17]
	v_add_f64 v[14:15], v[18:19], v[14:15]
	v_mul_f64 v[8:9], v[8:9], v[68:69]
	s_waitcnt lgkmcnt(1)
	v_mul_f64 v[176:177], v[166:167], v[102:103]
	v_add_f64 v[10:11], v[14:15], v[10:11]
	v_fma_f64 v[6:7], v[6:7], v[70:71], -v[8:9]
	v_mul_f64 v[4:5], v[4:5], v[64:65]
	v_fmac_f64_e32 v[176:177], v[168:169], v[104:105]
	v_add_f64 v[6:7], v[10:11], v[6:7]
	v_fma_f64 v[2:3], v[2:3], v[66:67], -v[4:5]
	v_mul_f64 v[4:5], v[112:113], v[82:83]
	v_add_f64 v[178:179], v[174:175], v[176:177]
	ds_read_b128 v[174:177], v1 offset:1616
	s_waitcnt vmcnt(42) lgkmcnt(1)
	v_mul_f64 v[180:181], v[170:171], v[118:119]
	v_add_f64 v[2:3], v[6:7], v[2:3]
	v_fma_f64 v[4:5], v[110:111], v[84:85], -v[4:5]
	s_waitcnt vmcnt(40)
	v_fmac_f64_e32 v[180:181], v[172:173], v[120:121]
	v_add_f64 v[2:3], v[2:3], v[4:5]
	v_mul_f64 v[4:5], v[144:145], v[78:79]
	v_add_f64 v[182:183], v[178:179], v[180:181]
	ds_read_b128 v[178:181], v1 offset:1632
	v_fma_f64 v[4:5], v[142:143], v[80:81], -v[4:5]
	v_add_f64 v[2:3], v[2:3], v[4:5]
	v_mul_f64 v[4:5], v[148:149], v[90:91]
	v_fma_f64 v[4:5], v[146:147], v[92:93], -v[4:5]
	s_waitcnt lgkmcnt(1)
	v_mul_f64 v[184:185], v[174:175], v[114:115]
	v_add_f64 v[2:3], v[2:3], v[4:5]
	v_mul_f64 v[4:5], v[152:153], v[86:87]
	v_fmac_f64_e32 v[184:185], v[176:177], v[116:117]
	v_fma_f64 v[4:5], v[150:151], v[88:89], -v[4:5]
	v_add_f64 v[186:187], v[182:183], v[184:185]
	ds_read_b128 v[182:185], v1 offset:1648
	s_waitcnt vmcnt(34) lgkmcnt(1)
	v_mul_f64 v[188:189], v[178:179], v[126:127]
	v_add_f64 v[2:3], v[2:3], v[4:5]
	v_mul_f64 v[4:5], v[156:157], v[98:99]
	s_waitcnt vmcnt(32)
	v_fmac_f64_e32 v[188:189], v[180:181], v[128:129]
	v_fma_f64 v[4:5], v[154:155], v[100:101], -v[4:5]
	v_add_f64 v[190:191], v[186:187], v[188:189]
	ds_read_b128 v[186:189], v1 offset:1664
	v_add_f64 v[2:3], v[2:3], v[4:5]
	v_mul_f64 v[4:5], v[160:161], v[94:95]
	v_fma_f64 v[4:5], v[158:159], v[96:97], -v[4:5]
	v_add_f64 v[2:3], v[2:3], v[4:5]
	v_mul_f64 v[4:5], v[164:165], v[106:107]
	s_waitcnt lgkmcnt(1)
	v_mul_f64 v[192:193], v[182:183], v[122:123]
	v_fma_f64 v[4:5], v[162:163], v[108:109], -v[4:5]
	v_fmac_f64_e32 v[192:193], v[184:185], v[124:125]
	v_add_f64 v[2:3], v[2:3], v[4:5]
	v_mul_f64 v[4:5], v[168:169], v[102:103]
	v_add_f64 v[194:195], v[190:191], v[192:193]
	ds_read_b128 v[190:193], v1 offset:1680
	s_waitcnt vmcnt(26) lgkmcnt(1)
	v_mul_f64 v[196:197], v[186:187], v[134:135]
	v_fma_f64 v[4:5], v[166:167], v[104:105], -v[4:5]
	s_waitcnt vmcnt(24)
	v_fmac_f64_e32 v[196:197], v[188:189], v[136:137]
	v_add_f64 v[2:3], v[2:3], v[4:5]
	v_mul_f64 v[4:5], v[172:173], v[118:119]
	v_add_f64 v[198:199], v[194:195], v[196:197]
	ds_read_b128 v[194:197], v1 offset:1696
	v_fma_f64 v[4:5], v[170:171], v[120:121], -v[4:5]
	v_add_f64 v[2:3], v[2:3], v[4:5]
	v_mul_f64 v[4:5], v[176:177], v[114:115]
	v_fma_f64 v[4:5], v[174:175], v[116:117], -v[4:5]
	s_waitcnt lgkmcnt(1)
	v_mul_f64 v[200:201], v[190:191], v[130:131]
	v_add_f64 v[2:3], v[2:3], v[4:5]
	v_mul_f64 v[4:5], v[180:181], v[126:127]
	v_fmac_f64_e32 v[200:201], v[192:193], v[132:133]
	v_fma_f64 v[4:5], v[178:179], v[128:129], -v[4:5]
	v_add_f64 v[202:203], v[198:199], v[200:201]
	ds_read_b128 v[198:201], v1 offset:1712
	s_waitcnt vmcnt(18) lgkmcnt(1)
	v_mul_f64 v[204:205], v[194:195], v[218:219]
	v_add_f64 v[2:3], v[2:3], v[4:5]
	v_mul_f64 v[4:5], v[184:185], v[122:123]
	s_waitcnt vmcnt(16)
	v_fmac_f64_e32 v[204:205], v[196:197], v[220:221]
	v_fma_f64 v[4:5], v[182:183], v[124:125], -v[4:5]
	v_add_f64 v[206:207], v[202:203], v[204:205]
	ds_read_b128 v[202:205], v1 offset:1728
	v_add_f64 v[2:3], v[2:3], v[4:5]
	v_mul_f64 v[4:5], v[188:189], v[134:135]
	v_fma_f64 v[4:5], v[186:187], v[136:137], -v[4:5]
	v_add_f64 v[2:3], v[2:3], v[4:5]
	v_mul_f64 v[4:5], v[192:193], v[130:131]
	s_waitcnt lgkmcnt(1)
	v_mul_f64 v[208:209], v[198:199], v[138:139]
	v_fma_f64 v[4:5], v[190:191], v[132:133], -v[4:5]
	v_fmac_f64_e32 v[208:209], v[200:201], v[140:141]
	v_add_f64 v[2:3], v[2:3], v[4:5]
	v_mul_f64 v[4:5], v[196:197], v[218:219]
	v_add_f64 v[210:211], v[206:207], v[208:209]
	ds_read_b128 v[206:209], v1 offset:1744
	s_waitcnt vmcnt(10) lgkmcnt(1)
	v_mul_f64 v[212:213], v[202:203], v[226:227]
	v_fma_f64 v[4:5], v[194:195], v[220:221], -v[4:5]
	s_waitcnt vmcnt(8)
	v_fmac_f64_e32 v[212:213], v[204:205], v[228:229]
	v_add_f64 v[2:3], v[2:3], v[4:5]
	v_mul_f64 v[4:5], v[200:201], v[138:139]
	v_add_f64 v[238:239], v[210:211], v[212:213]
	ds_read_b128 v[210:213], v1 offset:1760
	ds_read_b128 v[214:217], v1 offset:1776
	v_fma_f64 v[4:5], v[198:199], v[140:141], -v[4:5]
	v_add_f64 v[2:3], v[2:3], v[4:5]
	v_mul_f64 v[4:5], v[204:205], v[226:227]
	v_fma_f64 v[4:5], v[202:203], v[228:229], -v[4:5]
	v_add_f64 v[2:3], v[2:3], v[4:5]
	s_waitcnt lgkmcnt(2)
	v_mul_f64 v[4:5], v[208:209], v[222:223]
	v_mul_f64 v[240:241], v[206:207], v[222:223]
	v_fma_f64 v[4:5], v[206:207], v[224:225], -v[4:5]
	v_fmac_f64_e32 v[240:241], v[208:209], v[224:225]
	v_add_f64 v[2:3], v[2:3], v[4:5]
	s_waitcnt vmcnt(2) lgkmcnt(1)
	v_mul_f64 v[4:5], v[212:213], v[234:235]
	v_add_f64 v[238:239], v[238:239], v[240:241]
	v_mul_f64 v[240:241], v[210:211], v[234:235]
	s_waitcnt vmcnt(0)
	v_fma_f64 v[4:5], v[210:211], v[236:237], -v[4:5]
	v_fmac_f64_e32 v[240:241], v[212:213], v[236:237]
	v_add_f64 v[2:3], v[2:3], v[4:5]
	s_waitcnt lgkmcnt(0)
	v_mul_f64 v[4:5], v[216:217], v[230:231]
	v_add_f64 v[238:239], v[238:239], v[240:241]
	v_mul_f64 v[240:241], v[214:215], v[230:231]
	v_fma_f64 v[4:5], v[214:215], v[232:233], -v[4:5]
	v_fmac_f64_e32 v[240:241], v[216:217], v[232:233]
	v_add_f64 v[2:3], v[2:3], v[4:5]
	v_add_f64 v[238:239], v[238:239], v[240:241]
	v_add_f64 v[2:3], v[62:63], -v[2:3]
	v_add_f64 v[4:5], v[60:61], -v[238:239]
	buffer_store_dword v3, off, s[0:3], 0 offset:436
	buffer_store_dword v2, off, s[0:3], 0 offset:432
	;; [unrolled: 1-line block ×4, first 2 shown]
	s_and_saveexec_b64 s[4:5], vcc
	s_cbranch_execz .LBB55_299
; %bb.298:
	v_accvgpr_read_b32 v5, a142
	buffer_load_dword v2, v5, s[0:3], 0 offen
	buffer_load_dword v3, v5, s[0:3], 0 offen offset:4
	buffer_load_dword v4, v5, s[0:3], 0 offen offset:8
	s_nop 0
	buffer_load_dword v5, v5, s[0:3], 0 offen offset:12
	v_accvgpr_read_b32 v6, a167
	buffer_store_dword v1, off, s[0:3], 0 offset:416
	buffer_store_dword v1, off, s[0:3], 0 offset:420
	;; [unrolled: 1-line block ×4, first 2 shown]
	s_waitcnt vmcnt(4)
	ds_write_b128 v6, v[2:5]
.LBB55_299:
	s_or_b64 exec, exec, s[4:5]
	s_waitcnt lgkmcnt(0)
	; wave barrier
	s_waitcnt lgkmcnt(0)
	buffer_load_dword v48, off, s[0:3], 0 offset:432
	buffer_load_dword v49, off, s[0:3], 0 offset:436
	;; [unrolled: 1-line block ×40, first 2 shown]
	ds_read_b128 v[38:41], v1 offset:1312
	ds_read_b128 v[34:37], v1 offset:1328
	;; [unrolled: 1-line block ×10, first 2 shown]
	buffer_load_dword v83, off, s[0:3], 0 offset:604
	buffer_load_dword v82, off, s[0:3], 0 offset:600
	;; [unrolled: 1-line block ×8, first 2 shown]
	v_cmp_lt_u32_e32 vcc, 24, v0
	s_waitcnt vmcnt(44) lgkmcnt(9)
	v_mul_f64 v[90:91], v[38:39], v[50:51]
	v_fmac_f64_e32 v[90:91], v[40:41], v[48:49]
	v_add_f64 v[90:91], v[90:91], 0
	v_mul_f64 v[40:41], v[40:41], v[50:51]
	s_waitcnt vmcnt(40) lgkmcnt(8)
	v_mul_f64 v[92:93], v[34:35], v[44:45]
	v_fmac_f64_e32 v[92:93], v[36:37], v[42:43]
	s_waitcnt vmcnt(38) lgkmcnt(7)
	v_mul_f64 v[94:95], v[30:31], v[46:47]
	v_add_f64 v[90:91], v[90:91], v[92:93]
	s_waitcnt vmcnt(36) lgkmcnt(5)
	v_mul_f64 v[98:99], v[22:23], v[52:53]
	v_mul_f64 v[36:37], v[36:37], v[44:45]
	s_waitcnt vmcnt(34)
	v_fmac_f64_e32 v[98:99], v[24:25], v[54:55]
	v_fma_f64 v[34:35], v[34:35], v[42:43], -v[36:37]
	s_waitcnt vmcnt(32)
	v_mul_f64 v[96:97], v[26:27], v[56:57]
	v_mul_f64 v[24:25], v[24:25], v[52:53]
	s_waitcnt vmcnt(30) lgkmcnt(4)
	v_mul_f64 v[100:101], v[18:19], v[62:63]
	v_fma_f64 v[22:23], v[22:23], v[54:55], -v[24:25]
	s_waitcnt vmcnt(28) lgkmcnt(1)
	v_mul_f64 v[122:123], v[2:3], v[64:65]
	s_waitcnt vmcnt(25)
	v_mul_f64 v[104:105], v[6:7], v[68:69]
	s_waitcnt vmcnt(23)
	;; [unrolled: 2-line block ×3, first 2 shown]
	v_fmac_f64_e32 v[102:103], v[12:13], v[72:73]
	v_mul_f64 v[12:13], v[12:13], v[70:71]
	s_waitcnt vmcnt(19)
	v_fmac_f64_e32 v[94:95], v[32:33], v[80:81]
	v_add_f64 v[90:91], v[90:91], v[94:95]
	s_waitcnt vmcnt(17)
	v_fmac_f64_e32 v[96:97], v[28:29], v[78:79]
	v_add_f64 v[90:91], v[90:91], v[96:97]
	;; [unrolled: 3-line block ×3, first 2 shown]
	v_add_f64 v[90:91], v[90:91], v[100:101]
	s_waitcnt vmcnt(13)
	v_fmac_f64_e32 v[104:105], v[8:9], v[74:75]
	v_add_f64 v[90:91], v[90:91], v[102:103]
	v_add_f64 v[124:125], v[90:91], v[104:105]
	buffer_load_dword v91, off, s[0:3], 0 offset:636
	buffer_load_dword v90, off, s[0:3], 0 offset:632
	;; [unrolled: 1-line block ×72, first 2 shown]
	s_waitcnt vmcnt(62)
	v_fmac_f64_e32 v[122:123], v[4:5], v[66:67]
	v_add_f64 v[150:151], v[124:125], v[122:123]
	ds_read_b128 v[122:125], v1 offset:1472
	s_waitcnt lgkmcnt(1)
	v_mul_f64 v[152:153], v[14:15], v[86:87]
	v_fmac_f64_e32 v[152:153], v[16:17], v[88:89]
	buffer_load_dword v235, off, s[0:3], 0 offset:908
	buffer_load_dword v234, off, s[0:3], 0 offset:904
	;; [unrolled: 1-line block ×4, first 2 shown]
	v_add_f64 v[154:155], v[150:151], v[152:153]
	s_waitcnt lgkmcnt(0)
	v_mul_f64 v[156:157], v[122:123], v[82:83]
	ds_read_b128 v[150:153], v1 offset:1488
	v_fmac_f64_e32 v[156:157], v[124:125], v[84:85]
	v_add_f64 v[158:159], v[154:155], v[156:157]
	ds_read_b128 v[154:157], v1 offset:1504
	v_mul_f64 v[32:33], v[32:33], v[46:47]
	s_waitcnt lgkmcnt(1)
	v_mul_f64 v[160:161], v[150:151], v[94:95]
	v_fma_f64 v[30:31], v[30:31], v[80:81], -v[32:33]
	v_fmac_f64_e32 v[160:161], v[152:153], v[96:97]
	s_waitcnt lgkmcnt(0)
	v_mul_f64 v[164:165], v[154:155], v[90:91]
	v_add_f64 v[162:163], v[158:159], v[160:161]
	ds_read_b128 v[158:161], v1 offset:1520
	v_fmac_f64_e32 v[164:165], v[156:157], v[92:93]
	v_add_f64 v[166:167], v[162:163], v[164:165]
	ds_read_b128 v[162:165], v1 offset:1536
	v_mul_f64 v[28:29], v[28:29], v[56:57]
	s_waitcnt vmcnt(62) lgkmcnt(1)
	v_mul_f64 v[168:169], v[158:159], v[102:103]
	s_waitcnt vmcnt(60)
	v_fmac_f64_e32 v[168:169], v[160:161], v[104:105]
	v_add_f64 v[170:171], v[166:167], v[168:169]
	s_waitcnt lgkmcnt(0)
	v_mul_f64 v[172:173], v[162:163], v[98:99]
	ds_read_b128 v[166:169], v1 offset:1552
	v_fmac_f64_e32 v[172:173], v[164:165], v[100:101]
	v_add_f64 v[174:175], v[170:171], v[172:173]
	ds_read_b128 v[170:173], v1 offset:1568
	v_fma_f64 v[26:27], v[26:27], v[78:79], -v[28:29]
	s_waitcnt vmcnt(54) lgkmcnt(1)
	v_mul_f64 v[176:177], v[166:167], v[110:111]
	s_waitcnt vmcnt(52)
	v_fmac_f64_e32 v[176:177], v[168:169], v[112:113]
	v_add_f64 v[178:179], v[174:175], v[176:177]
	s_waitcnt lgkmcnt(0)
	v_mul_f64 v[180:181], v[170:171], v[106:107]
	ds_read_b128 v[174:177], v1 offset:1584
	v_fmac_f64_e32 v[180:181], v[172:173], v[108:109]
	v_add_f64 v[182:183], v[178:179], v[180:181]
	ds_read_b128 v[178:181], v1 offset:1600
	v_mul_f64 v[20:21], v[20:21], v[62:63]
	s_waitcnt vmcnt(46) lgkmcnt(1)
	v_mul_f64 v[184:185], v[174:175], v[118:119]
	s_waitcnt vmcnt(44)
	v_fmac_f64_e32 v[184:185], v[176:177], v[120:121]
	v_add_f64 v[186:187], v[182:183], v[184:185]
	s_waitcnt lgkmcnt(0)
	v_mul_f64 v[188:189], v[178:179], v[114:115]
	ds_read_b128 v[182:185], v1 offset:1616
	v_fmac_f64_e32 v[188:189], v[180:181], v[116:117]
	v_add_f64 v[190:191], v[186:187], v[188:189]
	ds_read_b128 v[186:189], v1 offset:1632
	v_fma_f64 v[18:19], v[18:19], v[76:77], -v[20:21]
	s_waitcnt vmcnt(38) lgkmcnt(1)
	v_mul_f64 v[192:193], v[182:183], v[130:131]
	s_waitcnt vmcnt(36)
	v_fmac_f64_e32 v[192:193], v[184:185], v[132:133]
	v_add_f64 v[194:195], v[190:191], v[192:193]
	s_waitcnt lgkmcnt(0)
	v_mul_f64 v[196:197], v[186:187], v[126:127]
	ds_read_b128 v[190:193], v1 offset:1648
	v_fmac_f64_e32 v[196:197], v[188:189], v[128:129]
	v_add_f64 v[198:199], v[194:195], v[196:197]
	ds_read_b128 v[194:197], v1 offset:1664
	v_fma_f64 v[10:11], v[10:11], v[72:73], -v[12:13]
	s_waitcnt vmcnt(30) lgkmcnt(1)
	v_mul_f64 v[200:201], v[190:191], v[138:139]
	s_waitcnt vmcnt(28)
	v_fmac_f64_e32 v[200:201], v[192:193], v[140:141]
	v_add_f64 v[202:203], v[198:199], v[200:201]
	s_waitcnt lgkmcnt(0)
	v_mul_f64 v[204:205], v[194:195], v[134:135]
	ds_read_b128 v[198:201], v1 offset:1680
	v_fmac_f64_e32 v[204:205], v[196:197], v[136:137]
	v_add_f64 v[206:207], v[202:203], v[204:205]
	ds_read_b128 v[202:205], v1 offset:1696
	v_mul_f64 v[8:9], v[8:9], v[68:69]
	s_waitcnt vmcnt(22) lgkmcnt(1)
	v_mul_f64 v[208:209], v[198:199], v[146:147]
	s_waitcnt vmcnt(20)
	v_fmac_f64_e32 v[208:209], v[200:201], v[148:149]
	v_add_f64 v[210:211], v[206:207], v[208:209]
	s_waitcnt lgkmcnt(0)
	v_mul_f64 v[212:213], v[202:203], v[142:143]
	ds_read_b128 v[206:209], v1 offset:1712
	v_fmac_f64_e32 v[212:213], v[204:205], v[144:145]
	v_add_f64 v[214:215], v[210:211], v[212:213]
	ds_read_b128 v[210:213], v1 offset:1728
	v_fma_f64 v[6:7], v[6:7], v[74:75], -v[8:9]
	s_waitcnt vmcnt(14) lgkmcnt(1)
	v_mul_f64 v[216:217], v[206:207], v[222:223]
	s_waitcnt vmcnt(12)
	v_fmac_f64_e32 v[216:217], v[208:209], v[224:225]
	v_add_f64 v[238:239], v[214:215], v[216:217]
	s_waitcnt lgkmcnt(0)
	v_mul_f64 v[240:241], v[210:211], v[218:219]
	v_fmac_f64_e32 v[240:241], v[212:213], v[220:221]
	v_add_f64 v[238:239], v[238:239], v[240:241]
	v_fma_f64 v[240:241], v[38:39], v[48:49], -v[40:41]
	v_add_f64 v[240:241], v[240:241], 0
	v_add_f64 v[34:35], v[240:241], v[34:35]
	;; [unrolled: 1-line block ×7, first 2 shown]
	v_mul_f64 v[4:5], v[4:5], v[64:65]
	v_add_f64 v[6:7], v[10:11], v[6:7]
	v_fma_f64 v[2:3], v[2:3], v[66:67], -v[4:5]
	v_mul_f64 v[4:5], v[16:17], v[86:87]
	v_add_f64 v[2:3], v[6:7], v[2:3]
	v_fma_f64 v[4:5], v[14:15], v[88:89], -v[4:5]
	v_add_f64 v[2:3], v[2:3], v[4:5]
	v_mul_f64 v[4:5], v[124:125], v[82:83]
	v_fma_f64 v[4:5], v[122:123], v[84:85], -v[4:5]
	v_add_f64 v[2:3], v[2:3], v[4:5]
	v_mul_f64 v[4:5], v[152:153], v[94:95]
	;; [unrolled: 3-line block ×15, first 2 shown]
	ds_read_b128 v[214:217], v1 offset:1744
	ds_read_b128 v[38:41], v1 offset:1760
	v_fma_f64 v[4:5], v[202:203], v[144:145], -v[4:5]
	v_add_f64 v[2:3], v[2:3], v[4:5]
	v_mul_f64 v[4:5], v[208:209], v[222:223]
	v_fma_f64 v[4:5], v[206:207], v[224:225], -v[4:5]
	v_add_f64 v[2:3], v[2:3], v[4:5]
	v_mul_f64 v[4:5], v[212:213], v[218:219]
	ds_read_b128 v[48:51], v1 offset:1776
	v_fma_f64 v[4:5], v[210:211], v[220:221], -v[4:5]
	v_add_f64 v[2:3], v[2:3], v[4:5]
	s_waitcnt vmcnt(6) lgkmcnt(2)
	v_mul_f64 v[4:5], v[216:217], v[230:231]
	v_mul_f64 v[242:243], v[214:215], v[230:231]
	s_waitcnt vmcnt(4)
	v_fma_f64 v[4:5], v[214:215], v[232:233], -v[4:5]
	v_fmac_f64_e32 v[242:243], v[216:217], v[232:233]
	v_add_f64 v[2:3], v[2:3], v[4:5]
	s_waitcnt lgkmcnt(1)
	v_mul_f64 v[4:5], v[40:41], v[226:227]
	v_add_f64 v[238:239], v[238:239], v[242:243]
	v_mul_f64 v[242:243], v[38:39], v[226:227]
	v_fma_f64 v[4:5], v[38:39], v[228:229], -v[4:5]
	v_fmac_f64_e32 v[242:243], v[40:41], v[228:229]
	v_add_f64 v[2:3], v[2:3], v[4:5]
	s_waitcnt vmcnt(2) lgkmcnt(0)
	v_mul_f64 v[4:5], v[50:51], v[234:235]
	v_add_f64 v[238:239], v[238:239], v[242:243]
	v_mul_f64 v[242:243], v[48:49], v[234:235]
	s_waitcnt vmcnt(0)
	v_fma_f64 v[4:5], v[48:49], v[236:237], -v[4:5]
	v_fmac_f64_e32 v[242:243], v[50:51], v[236:237]
	v_add_f64 v[2:3], v[2:3], v[4:5]
	v_add_f64 v[238:239], v[238:239], v[242:243]
	v_add_f64 v[2:3], v[60:61], -v[2:3]
	v_add_f64 v[4:5], v[58:59], -v[238:239]
	buffer_store_dword v3, off, s[0:3], 0 offset:420
	buffer_store_dword v2, off, s[0:3], 0 offset:416
	;; [unrolled: 1-line block ×4, first 2 shown]
	s_and_saveexec_b64 s[4:5], vcc
	s_cbranch_execz .LBB55_301
; %bb.300:
	v_accvgpr_read_b32 v1, a143
	buffer_load_dword v2, v1, s[0:3], 0 offen
	buffer_load_dword v3, v1, s[0:3], 0 offen offset:4
	buffer_load_dword v4, v1, s[0:3], 0 offen offset:8
	;; [unrolled: 1-line block ×3, first 2 shown]
	v_mov_b32_e32 v1, 0
	v_accvgpr_read_b32 v6, a167
	buffer_store_dword v1, off, s[0:3], 0 offset:400
	buffer_store_dword v1, off, s[0:3], 0 offset:404
	;; [unrolled: 1-line block ×4, first 2 shown]
	s_waitcnt vmcnt(4)
	ds_write_b128 v6, v[2:5]
.LBB55_301:
	s_or_b64 exec, exec, s[4:5]
	s_waitcnt lgkmcnt(0)
	; wave barrier
	s_waitcnt lgkmcnt(0)
	buffer_load_dword v106, off, s[0:3], 0 offset:416
	buffer_load_dword v107, off, s[0:3], 0 offset:420
	;; [unrolled: 1-line block ×49, first 2 shown]
	v_mov_b32_e32 v1, 0
	ds_read_b128 v[110:113], v1 offset:1296
	ds_read_b128 v[250:253], v1 offset:1312
	;; [unrolled: 1-line block ×10, first 2 shown]
	buffer_load_dword v158, off, s[0:3], 0 offset:608
	buffer_load_dword v173, off, s[0:3], 0 offset:604
	;; [unrolled: 1-line block ×69, first 2 shown]
	v_cmp_lt_u32_e32 vcc, 23, v0
	s_waitcnt vmcnt(62) lgkmcnt(9)
	v_mul_f64 v[34:35], v[110:111], v[108:109]
	v_fmac_f64_e32 v[34:35], v[112:113], v[106:107]
	v_add_f64 v[34:35], v[34:35], 0
	v_mul_f64 v[108:109], v[112:113], v[108:109]
	s_waitcnt lgkmcnt(8)
	v_mul_f64 v[36:37], v[250:251], v[116:117]
	v_fmac_f64_e32 v[36:37], v[252:253], v[114:115]
	s_waitcnt lgkmcnt(7)
	v_mul_f64 v[38:39], v[30:31], v[118:119]
	v_add_f64 v[34:35], v[34:35], v[36:37]
	s_waitcnt lgkmcnt(5)
	v_mul_f64 v[42:43], v[22:23], v[120:121]
	v_mul_f64 v[116:117], v[252:253], v[116:117]
	v_fmac_f64_e32 v[42:43], v[24:25], v[122:123]
	v_fma_f64 v[248:249], v[110:111], v[106:107], -v[108:109]
	v_mul_f64 v[40:41], v[26:27], v[124:125]
	v_fma_f64 v[250:251], v[250:251], v[114:115], -v[116:117]
	s_waitcnt lgkmcnt(3)
	v_mul_f64 v[46:47], v[14:15], v[126:127]
	v_mul_f64 v[24:25], v[24:25], v[120:121]
	v_fmac_f64_e32 v[46:47], v[16:17], v[128:129]
	v_fma_f64 v[22:23], v[22:23], v[122:123], -v[24:25]
	v_mul_f64 v[44:45], v[18:19], v[130:131]
	v_mul_f64 v[16:17], v[16:17], v[126:127]
	s_waitcnt lgkmcnt(1)
	v_mul_f64 v[50:51], v[6:7], v[132:133]
	v_fma_f64 v[14:15], v[14:15], v[128:129], -v[16:17]
	v_fmac_f64_e32 v[50:51], v[8:9], v[134:135]
	v_mul_f64 v[8:9], v[8:9], v[132:133]
	v_mul_f64 v[48:49], v[10:11], v[140:141]
	v_fma_f64 v[6:7], v[6:7], v[134:135], -v[8:9]
	s_waitcnt lgkmcnt(0)
	v_mul_f64 v[52:53], v[2:3], v[136:137]
	v_fmac_f64_e32 v[38:39], v[32:33], v[152:153]
	v_add_f64 v[34:35], v[34:35], v[38:39]
	v_fmac_f64_e32 v[40:41], v[28:29], v[150:151]
	v_add_f64 v[34:35], v[34:35], v[40:41]
	;; [unrolled: 2-line block ×3, first 2 shown]
	v_add_f64 v[34:35], v[34:35], v[44:45]
	v_fmac_f64_e32 v[48:49], v[12:13], v[146:147]
	v_add_f64 v[34:35], v[34:35], v[46:47]
	v_add_f64 v[34:35], v[34:35], v[48:49]
	v_fmac_f64_e32 v[52:53], v[4:5], v[144:145]
	v_add_f64 v[34:35], v[34:35], v[50:51]
	v_add_f64 v[42:43], v[34:35], v[52:53]
	ds_read_b128 v[38:41], v1 offset:1456
	ds_read_b128 v[34:37], v1 offset:1472
	buffer_load_dword v231, off, s[0:3], 0 offset:908
	buffer_load_dword v230, off, s[0:3], 0 offset:904
	;; [unrolled: 1-line block ×8, first 2 shown]
	ds_read_b128 v[110:113], v1 offset:1744
	ds_read_b128 v[106:109], v1 offset:1760
	s_waitcnt lgkmcnt(3)
	v_mul_f64 v[44:45], v[38:39], v[142:143]
	v_fmac_f64_e32 v[44:45], v[40:41], v[154:155]
	v_add_f64 v[46:47], v[42:43], v[44:45]
	ds_read_b128 v[42:45], v1 offset:1488
	s_waitcnt lgkmcnt(3)
	v_mul_f64 v[48:49], v[34:35], v[172:173]
	v_fmac_f64_e32 v[48:49], v[36:37], v[176:177]
	v_add_f64 v[50:51], v[46:47], v[48:49]
	;; [unrolled: 5-line block ×3, first 2 shown]
	ds_read_b128 v[50:53], v1 offset:1520
	s_waitcnt vmcnt(62) lgkmcnt(1)
	v_mul_f64 v[56:57], v[46:47], v[180:181]
	v_fmac_f64_e32 v[56:57], v[48:49], v[184:185]
	v_add_f64 v[58:59], v[54:55], v[56:57]
	ds_read_b128 v[54:57], v1 offset:1536
	s_waitcnt lgkmcnt(1)
	v_mul_f64 v[60:61], v[50:51], v[160:161]
	v_fmac_f64_e32 v[60:61], v[52:53], v[162:163]
	v_add_f64 v[62:63], v[58:59], v[60:61]
	ds_read_b128 v[58:61], v1 offset:1552
	s_waitcnt vmcnt(58) lgkmcnt(1)
	v_mul_f64 v[64:65], v[54:55], v[188:189]
	s_waitcnt vmcnt(56)
	v_fmac_f64_e32 v[64:65], v[56:57], v[192:193]
	v_add_f64 v[66:67], v[62:63], v[64:65]
	ds_read_b128 v[62:65], v1 offset:1568
	s_waitcnt lgkmcnt(1)
	v_mul_f64 v[68:69], v[58:59], v[164:165]
	v_fmac_f64_e32 v[68:69], v[60:61], v[166:167]
	v_add_f64 v[70:71], v[66:67], v[68:69]
	ds_read_b128 v[66:69], v1 offset:1584
	s_waitcnt vmcnt(50) lgkmcnt(1)
	v_mul_f64 v[72:73], v[62:63], v[196:197]
	s_waitcnt vmcnt(48)
	;; [unrolled: 11-line block ×5, first 2 shown]
	v_fmac_f64_e32 v[96:97], v[88:89], v[218:219]
	v_add_f64 v[98:99], v[94:95], v[96:97]
	ds_read_b128 v[94:97], v1 offset:1696
	s_waitcnt lgkmcnt(1)
	v_mul_f64 v[100:101], v[90:91], v[190:191]
	v_fmac_f64_e32 v[100:101], v[92:93], v[194:195]
	v_add_f64 v[220:221], v[98:99], v[100:101]
	ds_read_b128 v[98:101], v1 offset:1712
	ds_read_b128 v[102:105], v1 offset:1728
	;; [unrolled: 1-line block ×3, first 2 shown]
	buffer_load_dword v252, off, s[0:3], 0 offset:408
	buffer_load_dword v253, off, s[0:3], 0 offset:412
	s_waitcnt vmcnt(20) lgkmcnt(3)
	v_mul_f64 v[222:223], v[94:95], v[232:233]
	s_waitcnt vmcnt(18)
	v_fmac_f64_e32 v[222:223], v[96:97], v[236:237]
	v_add_f64 v[220:221], v[220:221], v[222:223]
	s_waitcnt lgkmcnt(2)
	v_mul_f64 v[222:223], v[98:99], v[198:199]
	v_fmac_f64_e32 v[222:223], v[100:101], v[202:203]
	v_add_f64 v[220:221], v[220:221], v[222:223]
	s_waitcnt vmcnt(12) lgkmcnt(1)
	v_mul_f64 v[222:223], v[102:103], v[238:239]
	s_waitcnt vmcnt(10)
	v_fmac_f64_e32 v[222:223], v[104:105], v[240:241]
	v_add_f64 v[220:221], v[220:221], v[222:223]
	v_mul_f64 v[222:223], v[110:111], v[206:207]
	v_fmac_f64_e32 v[222:223], v[112:113], v[210:211]
	v_add_f64 v[220:221], v[220:221], v[222:223]
	s_waitcnt vmcnt(4)
	v_mul_f64 v[222:223], v[106:107], v[242:243]
	v_mul_f64 v[32:33], v[32:33], v[118:119]
	s_waitcnt vmcnt(2)
	v_fmac_f64_e32 v[222:223], v[108:109], v[244:245]
	v_add_f64 v[220:221], v[220:221], v[222:223]
	s_waitcnt lgkmcnt(0)
	v_mul_f64 v[222:223], v[114:115], v[230:231]
	v_fmac_f64_e32 v[222:223], v[116:117], v[234:235]
	v_add_f64 v[246:247], v[220:221], v[222:223]
	v_add_f64 v[220:221], v[248:249], 0
	;; [unrolled: 1-line block ×3, first 2 shown]
	v_fma_f64 v[30:31], v[30:31], v[152:153], -v[32:33]
	v_mul_f64 v[28:29], v[28:29], v[124:125]
	v_add_f64 v[30:31], v[220:221], v[30:31]
	v_fma_f64 v[26:27], v[26:27], v[150:151], -v[28:29]
	v_add_f64 v[26:27], v[30:31], v[26:27]
	v_mul_f64 v[20:21], v[20:21], v[130:131]
	v_add_f64 v[22:23], v[26:27], v[22:23]
	v_fma_f64 v[18:19], v[18:19], v[148:149], -v[20:21]
	v_add_f64 v[18:19], v[22:23], v[18:19]
	;; [unrolled: 4-line block ×3, first 2 shown]
	v_mul_f64 v[4:5], v[4:5], v[136:137]
	v_add_f64 v[6:7], v[10:11], v[6:7]
	v_fma_f64 v[2:3], v[2:3], v[144:145], -v[4:5]
	v_mul_f64 v[4:5], v[40:41], v[142:143]
	v_add_f64 v[2:3], v[6:7], v[2:3]
	v_fma_f64 v[4:5], v[38:39], v[154:155], -v[4:5]
	v_add_f64 v[2:3], v[2:3], v[4:5]
	v_mul_f64 v[4:5], v[36:37], v[172:173]
	v_fma_f64 v[4:5], v[34:35], v[176:177], -v[4:5]
	v_add_f64 v[2:3], v[2:3], v[4:5]
	v_mul_f64 v[4:5], v[44:45], v[156:157]
	;; [unrolled: 3-line block ×20, first 2 shown]
	v_fma_f64 v[4:5], v[114:115], v[234:235], -v[4:5]
	v_add_f64 v[2:3], v[2:3], v[4:5]
	v_add_f64 v[2:3], v[138:139], -v[2:3]
	s_waitcnt vmcnt(0)
	v_add_f64 v[4:5], v[252:253], -v[246:247]
	buffer_store_dword v3, off, s[0:3], 0 offset:404
	buffer_store_dword v2, off, s[0:3], 0 offset:400
	;; [unrolled: 1-line block ×4, first 2 shown]
	s_and_saveexec_b64 s[4:5], vcc
	s_cbranch_execz .LBB55_303
; %bb.302:
	v_accvgpr_read_b32 v5, a144
	buffer_load_dword v2, v5, s[0:3], 0 offen
	buffer_load_dword v3, v5, s[0:3], 0 offen offset:4
	buffer_load_dword v4, v5, s[0:3], 0 offen offset:8
	s_nop 0
	buffer_load_dword v5, v5, s[0:3], 0 offen offset:12
	v_accvgpr_read_b32 v6, a167
	buffer_store_dword v1, off, s[0:3], 0 offset:384
	buffer_store_dword v1, off, s[0:3], 0 offset:388
	;; [unrolled: 1-line block ×4, first 2 shown]
	s_waitcnt vmcnt(4)
	ds_write_b128 v6, v[2:5]
.LBB55_303:
	s_or_b64 exec, exec, s[4:5]
	s_waitcnt lgkmcnt(0)
	; wave barrier
	s_waitcnt lgkmcnt(0)
	buffer_load_dword v112, off, s[0:3], 0 offset:400
	buffer_load_dword v113, off, s[0:3], 0 offset:404
	;; [unrolled: 1-line block ×36, first 2 shown]
	ds_read_b128 v[102:105], v1 offset:1280
	ds_read_b128 v[106:109], v1 offset:1296
	;; [unrolled: 1-line block ×9, first 2 shown]
	buffer_load_dword v143, off, s[0:3], 0 offset:572
	buffer_load_dword v142, off, s[0:3], 0 offset:568
	;; [unrolled: 1-line block ×78, first 2 shown]
	v_cmp_lt_u32_e32 vcc, 22, v0
	s_waitcnt vmcnt(62) lgkmcnt(8)
	v_mul_f64 v[26:27], v[102:103], v[246:247]
	v_fmac_f64_e32 v[26:27], v[104:105], v[112:113]
	v_add_f64 v[26:27], v[26:27], 0
	v_mul_f64 v[104:105], v[104:105], v[246:247]
	s_waitcnt lgkmcnt(7)
	v_mul_f64 v[28:29], v[106:107], v[248:249]
	v_fmac_f64_e32 v[28:29], v[108:109], v[110:111]
	s_waitcnt lgkmcnt(6)
	v_mul_f64 v[30:31], v[114:115], v[244:245]
	v_add_f64 v[26:27], v[26:27], v[28:29]
	s_waitcnt lgkmcnt(4)
	v_mul_f64 v[34:35], v[18:19], v[118:119]
	v_fma_f64 v[246:247], v[102:103], v[112:113], -v[104:105]
	v_fmac_f64_e32 v[34:35], v[20:21], v[120:121]
	v_mul_f64 v[108:109], v[108:109], v[248:249]
	v_mul_f64 v[32:33], v[22:23], v[122:123]
	v_fma_f64 v[248:249], v[106:107], v[110:111], -v[108:109]
	s_waitcnt lgkmcnt(2)
	v_mul_f64 v[38:39], v[10:11], v[124:125]
	v_mul_f64 v[20:21], v[20:21], v[118:119]
	v_fmac_f64_e32 v[38:39], v[12:13], v[126:127]
	v_fma_f64 v[18:19], v[18:19], v[120:121], -v[20:21]
	v_mul_f64 v[36:37], v[14:15], v[130:131]
	v_mul_f64 v[12:13], v[12:13], v[124:125]
	s_waitcnt lgkmcnt(1)
	v_mul_f64 v[40:41], v[6:7], v[128:129]
	v_fma_f64 v[10:11], v[10:11], v[126:127], -v[12:13]
	v_fmac_f64_e32 v[30:31], v[116:117], v[250:251]
	v_add_f64 v[26:27], v[26:27], v[30:31]
	v_fmac_f64_e32 v[32:33], v[24:25], v[138:139]
	v_add_f64 v[26:27], v[26:27], v[32:33]
	;; [unrolled: 2-line block ×3, first 2 shown]
	v_add_f64 v[26:27], v[26:27], v[36:37]
	v_fmac_f64_e32 v[40:41], v[8:9], v[134:135]
	v_add_f64 v[30:31], v[26:27], v[38:39]
	v_add_f64 v[30:31], v[30:31], v[40:41]
	s_waitcnt lgkmcnt(0)
	v_mul_f64 v[32:33], v[2:3], v[132:133]
	v_fmac_f64_e32 v[32:33], v[4:5], v[140:141]
	ds_read_b128 v[26:29], v1 offset:1424
	v_add_f64 v[34:35], v[30:31], v[32:33]
	ds_read_b128 v[30:33], v1 offset:1440
	buffer_load_dword v231, off, s[0:3], 0 offset:836
	buffer_load_dword v230, off, s[0:3], 0 offset:832
	v_mul_f64 v[116:117], v[116:117], v[244:245]
	s_waitcnt lgkmcnt(1)
	v_mul_f64 v[36:37], v[26:27], v[146:147]
	v_fmac_f64_e32 v[36:37], v[28:29], v[148:149]
	v_add_f64 v[38:39], v[34:35], v[36:37]
	ds_read_b128 v[34:37], v1 offset:1456
	s_waitcnt lgkmcnt(1)
	v_mul_f64 v[40:41], v[30:31], v[142:143]
	v_fmac_f64_e32 v[40:41], v[32:33], v[144:145]
	v_add_f64 v[42:43], v[38:39], v[40:41]
	ds_read_b128 v[38:41], v1 offset:1472
	;; [unrolled: 5-line block ×4, first 2 shown]
	buffer_load_dword v233, off, s[0:3], 0 offset:892
	buffer_load_dword v235, off, s[0:3], 0 offset:876
	;; [unrolled: 1-line block ×12, first 2 shown]
	s_waitcnt vmcnt(62) lgkmcnt(1)
	v_mul_f64 v[52:53], v[42:43], v[174:175]
	v_fmac_f64_e32 v[52:53], v[44:45], v[178:179]
	v_add_f64 v[54:55], v[50:51], v[52:53]
	ds_read_b128 v[50:53], v1 offset:1520
	s_waitcnt lgkmcnt(1)
	v_mul_f64 v[56:57], v[46:47], v[154:155]
	v_fmac_f64_e32 v[56:57], v[48:49], v[156:157]
	v_add_f64 v[58:59], v[54:55], v[56:57]
	ds_read_b128 v[54:57], v1 offset:1536
	s_waitcnt lgkmcnt(1)
	v_mul_f64 v[60:61], v[50:51], v[182:183]
	s_waitcnt vmcnt(60)
	v_fmac_f64_e32 v[60:61], v[52:53], v[186:187]
	v_add_f64 v[62:63], v[58:59], v[60:61]
	ds_read_b128 v[58:61], v1 offset:1552
	s_waitcnt lgkmcnt(1)
	v_mul_f64 v[64:65], v[54:55], v[162:163]
	v_fmac_f64_e32 v[64:65], v[56:57], v[164:165]
	v_add_f64 v[66:67], v[62:63], v[64:65]
	ds_read_b128 v[62:65], v1 offset:1568
	s_waitcnt vmcnt(54) lgkmcnt(1)
	v_mul_f64 v[68:69], v[58:59], v[190:191]
	s_waitcnt vmcnt(52)
	v_fmac_f64_e32 v[68:69], v[60:61], v[194:195]
	v_add_f64 v[70:71], v[66:67], v[68:69]
	ds_read_b128 v[66:69], v1 offset:1584
	s_waitcnt lgkmcnt(1)
	v_mul_f64 v[72:73], v[62:63], v[166:167]
	v_fmac_f64_e32 v[72:73], v[64:65], v[168:169]
	v_add_f64 v[74:75], v[70:71], v[72:73]
	ds_read_b128 v[70:73], v1 offset:1600
	s_waitcnt vmcnt(46) lgkmcnt(1)
	;; [unrolled: 11-line block ×4, first 2 shown]
	v_mul_f64 v[92:93], v[82:83], v[210:211]
	s_waitcnt vmcnt(28)
	v_fmac_f64_e32 v[92:93], v[84:85], v[212:213]
	v_add_f64 v[98:99], v[90:91], v[92:93]
	ds_read_b128 v[90:93], v1 offset:1680
	ds_read_b128 v[94:97], v1 offset:1696
	s_waitcnt lgkmcnt(2)
	v_mul_f64 v[100:101], v[86:87], v[184:185]
	v_fmac_f64_e32 v[100:101], v[88:89], v[188:189]
	v_add_f64 v[98:99], v[98:99], v[100:101]
	s_waitcnt vmcnt(22) lgkmcnt(1)
	v_mul_f64 v[100:101], v[90:91], v[214:215]
	s_waitcnt vmcnt(20)
	v_fmac_f64_e32 v[100:101], v[92:93], v[216:217]
	v_add_f64 v[98:99], v[98:99], v[100:101]
	s_waitcnt lgkmcnt(0)
	v_mul_f64 v[100:101], v[94:95], v[192:193]
	v_fmac_f64_e32 v[100:101], v[96:97], v[196:197]
	v_add_f64 v[220:221], v[98:99], v[100:101]
	ds_read_b128 v[98:101], v1 offset:1712
	ds_read_b128 v[102:105], v1 offset:1728
	;; [unrolled: 1-line block ×3, first 2 shown]
	v_fma_f64 v[250:251], v[114:115], v[250:251], -v[116:117]
	ds_read_b128 v[114:117], v1 offset:1776
	s_waitcnt vmcnt(14) lgkmcnt(3)
	v_mul_f64 v[112:113], v[98:99], v[218:219]
	s_waitcnt lgkmcnt(2)
	v_mul_f64 v[110:111], v[102:103], v[200:201]
	s_waitcnt vmcnt(12)
	v_fmac_f64_e32 v[112:113], v[100:101], v[230:231]
	v_add_f64 v[112:113], v[220:221], v[112:113]
	v_fmac_f64_e32 v[110:111], v[104:105], v[204:205]
	v_add_f64 v[220:221], v[112:113], v[110:111]
	ds_read_b128 v[110:113], v1 offset:1760
	buffer_load_dword v254, off, s[0:3], 0 offset:384
	buffer_load_dword v255, off, s[0:3], 0 offset:388
	;; [unrolled: 1-line block ×4, first 2 shown]
	v_mul_f64 v[24:25], v[24:25], v[122:123]
	v_fma_f64 v[22:23], v[22:23], v[138:139], -v[24:25]
	v_mul_f64 v[16:17], v[16:17], v[130:131]
	s_waitcnt vmcnt(13) lgkmcnt(2)
	v_mul_f64 v[222:223], v[106:107], v[234:235]
	v_fma_f64 v[14:15], v[14:15], v[136:137], -v[16:17]
	s_waitcnt vmcnt(11)
	v_fmac_f64_e32 v[222:223], v[108:109], v[240:241]
	v_add_f64 v[220:221], v[220:221], v[222:223]
	s_waitcnt vmcnt(10) lgkmcnt(0)
	v_mul_f64 v[222:223], v[110:111], v[232:233]
	s_waitcnt vmcnt(8)
	v_fmac_f64_e32 v[222:223], v[112:113], v[238:239]
	v_add_f64 v[220:221], v[220:221], v[222:223]
	s_waitcnt vmcnt(6)
	v_mul_f64 v[222:223], v[114:115], v[236:237]
	v_mul_f64 v[8:9], v[8:9], v[128:129]
	s_waitcnt vmcnt(4)
	v_fmac_f64_e32 v[222:223], v[116:117], v[242:243]
	v_add_f64 v[244:245], v[220:221], v[222:223]
	v_add_f64 v[220:221], v[246:247], 0
	;; [unrolled: 1-line block ×8, first 2 shown]
	v_fma_f64 v[6:7], v[6:7], v[134:135], -v[8:9]
	v_mul_f64 v[4:5], v[4:5], v[132:133]
	v_add_f64 v[6:7], v[10:11], v[6:7]
	v_fma_f64 v[2:3], v[2:3], v[140:141], -v[4:5]
	v_mul_f64 v[4:5], v[28:29], v[146:147]
	v_add_f64 v[2:3], v[6:7], v[2:3]
	v_fma_f64 v[4:5], v[26:27], v[148:149], -v[4:5]
	v_add_f64 v[2:3], v[2:3], v[4:5]
	v_mul_f64 v[4:5], v[32:33], v[142:143]
	v_fma_f64 v[4:5], v[30:31], v[144:145], -v[4:5]
	v_add_f64 v[2:3], v[2:3], v[4:5]
	v_mul_f64 v[4:5], v[36:37], v[158:159]
	;; [unrolled: 3-line block ×22, first 2 shown]
	v_fma_f64 v[4:5], v[114:115], v[242:243], -v[4:5]
	v_add_f64 v[2:3], v[2:3], v[4:5]
	s_waitcnt vmcnt(2)
	v_add_f64 v[2:3], v[254:255], -v[2:3]
	s_waitcnt vmcnt(0)
	v_add_f64 v[4:5], v[252:253], -v[244:245]
	buffer_store_dword v3, off, s[0:3], 0 offset:388
	buffer_store_dword v2, off, s[0:3], 0 offset:384
	;; [unrolled: 1-line block ×4, first 2 shown]
	s_and_saveexec_b64 s[4:5], vcc
	s_cbranch_execz .LBB55_305
; %bb.304:
	v_accvgpr_read_b32 v1, a145
	buffer_load_dword v2, v1, s[0:3], 0 offen
	buffer_load_dword v3, v1, s[0:3], 0 offen offset:4
	buffer_load_dword v4, v1, s[0:3], 0 offen offset:8
	;; [unrolled: 1-line block ×3, first 2 shown]
	v_mov_b32_e32 v1, 0
	v_accvgpr_read_b32 v6, a167
	buffer_store_dword v1, off, s[0:3], 0 offset:368
	buffer_store_dword v1, off, s[0:3], 0 offset:372
	;; [unrolled: 1-line block ×4, first 2 shown]
	s_waitcnt vmcnt(4)
	ds_write_b128 v6, v[2:5]
.LBB55_305:
	s_or_b64 exec, exec, s[4:5]
	s_waitcnt lgkmcnt(0)
	; wave barrier
	s_waitcnt lgkmcnt(0)
	buffer_load_dword v94, off, s[0:3], 0 offset:384
	buffer_load_dword v95, off, s[0:3], 0 offset:388
	;; [unrolled: 1-line block ×52, first 2 shown]
	v_mov_b32_e32 v1, 0
	ds_read_b128 v[102:105], v1 offset:1264
	ds_read_b128 v[114:117], v1 offset:1280
	;; [unrolled: 1-line block ×10, first 2 shown]
	v_cmp_lt_u32_e32 vcc, 21, v0
	s_waitcnt vmcnt(48) lgkmcnt(9)
	v_mul_f64 v[26:27], v[102:103], v[96:97]
	v_fmac_f64_e32 v[26:27], v[104:105], v[94:95]
	v_add_f64 v[26:27], v[26:27], 0
	v_mul_f64 v[96:97], v[104:105], v[96:97]
	s_waitcnt vmcnt(44) lgkmcnt(8)
	v_mul_f64 v[28:29], v[114:115], v[100:101]
	v_fmac_f64_e32 v[28:29], v[116:117], v[98:99]
	s_waitcnt vmcnt(42) lgkmcnt(7)
	v_mul_f64 v[30:31], v[244:245], v[106:107]
	v_add_f64 v[26:27], v[26:27], v[28:29]
	s_waitcnt vmcnt(40) lgkmcnt(5)
	v_mul_f64 v[34:35], v[22:23], v[120:121]
	v_fma_f64 v[222:223], v[102:103], v[94:95], -v[96:97]
	s_waitcnt vmcnt(38)
	v_fmac_f64_e32 v[34:35], v[24:25], v[124:125]
	v_mul_f64 v[100:101], v[116:117], v[100:101]
	s_waitcnt vmcnt(36)
	v_mul_f64 v[32:33], v[250:251], v[110:111]
	v_fma_f64 v[224:225], v[114:115], v[98:99], -v[100:101]
	s_waitcnt vmcnt(34) lgkmcnt(3)
	v_mul_f64 v[38:39], v[14:15], v[118:119]
	v_mul_f64 v[106:107], v[246:247], v[106:107]
	s_waitcnt vmcnt(32)
	v_fmac_f64_e32 v[38:39], v[16:17], v[122:123]
	v_mul_f64 v[110:111], v[252:253], v[110:111]
	s_waitcnt vmcnt(30)
	v_mul_f64 v[36:37], v[18:19], v[130:131]
	v_mul_f64 v[24:25], v[24:25], v[120:121]
	v_fma_f64 v[22:23], v[22:23], v[124:125], -v[24:25]
	s_waitcnt vmcnt(27) lgkmcnt(2)
	v_mul_f64 v[40:41], v[10:11], v[128:129]
	s_waitcnt vmcnt(26) lgkmcnt(1)
	v_mul_f64 v[42:43], v[6:7], v[126:127]
	v_mul_f64 v[16:17], v[16:17], v[118:119]
	s_waitcnt vmcnt(24)
	v_fmac_f64_e32 v[30:31], v[246:247], v[108:109]
	v_add_f64 v[26:27], v[26:27], v[30:31]
	s_waitcnt vmcnt(22)
	v_fmac_f64_e32 v[32:33], v[252:253], v[112:113]
	v_add_f64 v[26:27], v[26:27], v[32:33]
	;; [unrolled: 3-line block ×3, first 2 shown]
	v_add_f64 v[26:27], v[26:27], v[36:37]
	s_waitcnt vmcnt(18)
	v_fmac_f64_e32 v[40:41], v[12:13], v[132:133]
	v_add_f64 v[26:27], v[26:27], v[38:39]
	v_add_f64 v[26:27], v[26:27], v[40:41]
	s_waitcnt vmcnt(16)
	v_fmac_f64_e32 v[42:43], v[8:9], v[138:139]
	v_add_f64 v[34:35], v[26:27], v[42:43]
	ds_read_b128 v[26:29], v1 offset:1424
	ds_read_b128 v[30:33], v1 offset:1440
	buffer_load_dword v155, off, s[0:3], 0 offset:620
	buffer_load_dword v154, off, s[0:3], 0 offset:616
	;; [unrolled: 1-line block ×56, first 2 shown]
	s_waitcnt vmcnt(62) lgkmcnt(2)
	v_mul_f64 v[36:37], v[2:3], v[142:143]
	v_fmac_f64_e32 v[36:37], v[4:5], v[144:145]
	v_add_f64 v[34:35], v[34:35], v[36:37]
	s_waitcnt lgkmcnt(1)
	v_mul_f64 v[36:37], v[26:27], v[136:137]
	v_fmac_f64_e32 v[36:37], v[28:29], v[140:141]
	v_add_f64 v[34:35], v[34:35], v[36:37]
	s_waitcnt lgkmcnt(0)
	v_mul_f64 v[36:37], v[30:31], v[146:147]
	s_waitcnt vmcnt(60)
	v_fmac_f64_e32 v[36:37], v[32:33], v[150:151]
	v_add_f64 v[42:43], v[34:35], v[36:37]
	ds_read_b128 v[34:37], v1 offset:1456
	buffer_load_dword v199, off, s[0:3], 0 offset:844
	buffer_load_dword v198, off, s[0:3], 0 offset:840
	;; [unrolled: 1-line block ×16, first 2 shown]
	ds_read_b128 v[38:41], v1 offset:1472
	buffer_load_dword v231, off, s[0:3], 0 offset:908
	buffer_load_dword v230, off, s[0:3], 0 offset:904
	;; [unrolled: 1-line block ×8, first 2 shown]
	ds_read_b128 v[98:101], v1 offset:1712
	s_waitcnt vmcnt(62) lgkmcnt(2)
	v_mul_f64 v[44:45], v[34:35], v[148:149]
	v_fmac_f64_e32 v[44:45], v[36:37], v[152:153]
	v_add_f64 v[46:47], v[42:43], v[44:45]
	ds_read_b128 v[42:45], v1 offset:1488
	v_fma_f64 v[248:249], v[244:245], v[108:109], -v[106:107]
	ds_read_b128 v[106:109], v1 offset:1744
	v_fma_f64 v[246:247], v[250:251], v[112:113], -v[110:111]
	v_mul_f64 v[20:21], v[20:21], v[130:131]
	v_fma_f64 v[18:19], v[18:19], v[134:135], -v[20:21]
	v_fma_f64 v[14:15], v[14:15], v[122:123], -v[16:17]
	v_mul_f64 v[12:13], v[12:13], v[128:129]
	v_fma_f64 v[10:11], v[10:11], v[132:133], -v[12:13]
	v_mul_f64 v[8:9], v[8:9], v[126:127]
	;; [unrolled: 2-line block ×3, first 2 shown]
	s_waitcnt lgkmcnt(3)
	v_mul_f64 v[48:49], v[38:39], v[170:171]
	v_fma_f64 v[2:3], v[2:3], v[144:145], -v[4:5]
	v_fmac_f64_e32 v[48:49], v[40:41], v[174:175]
	v_add_f64 v[50:51], v[46:47], v[48:49]
	ds_read_b128 v[46:49], v1 offset:1504
	s_waitcnt lgkmcnt(2)
	v_mul_f64 v[52:53], v[42:43], v[154:155]
	v_fmac_f64_e32 v[52:53], v[44:45], v[156:157]
	v_add_f64 v[54:55], v[50:51], v[52:53]
	ds_read_b128 v[50:53], v1 offset:1520
	s_waitcnt lgkmcnt(1)
	v_mul_f64 v[56:57], v[46:47], v[178:179]
	;; [unrolled: 5-line block ×3, first 2 shown]
	v_fmac_f64_e32 v[60:61], v[52:53], v[160:161]
	v_add_f64 v[62:63], v[58:59], v[60:61]
	ds_read_b128 v[58:61], v1 offset:1552
	s_waitcnt vmcnt(58) lgkmcnt(1)
	v_mul_f64 v[64:65], v[54:55], v[186:187]
	s_waitcnt vmcnt(56)
	v_fmac_f64_e32 v[64:65], v[56:57], v[190:191]
	v_add_f64 v[66:67], v[62:63], v[64:65]
	ds_read_b128 v[62:65], v1 offset:1568
	s_waitcnt lgkmcnt(1)
	v_mul_f64 v[68:69], v[58:59], v[162:163]
	v_fmac_f64_e32 v[68:69], v[60:61], v[164:165]
	v_add_f64 v[70:71], v[66:67], v[68:69]
	ds_read_b128 v[66:69], v1 offset:1584
	s_waitcnt vmcnt(50) lgkmcnt(1)
	v_mul_f64 v[72:73], v[62:63], v[194:195]
	s_waitcnt vmcnt(48)
	v_fmac_f64_e32 v[72:73], v[64:65], v[196:197]
	v_add_f64 v[74:75], v[70:71], v[72:73]
	ds_read_b128 v[70:73], v1 offset:1600
	s_waitcnt lgkmcnt(1)
	v_mul_f64 v[76:77], v[66:67], v[166:167]
	;; [unrolled: 11-line block ×3, first 2 shown]
	v_fmac_f64_e32 v[84:85], v[76:77], v[176:177]
	v_add_f64 v[90:91], v[82:83], v[84:85]
	ds_read_b128 v[82:85], v1 offset:1648
	ds_read_b128 v[86:89], v1 offset:1664
	s_waitcnt vmcnt(34) lgkmcnt(2)
	v_mul_f64 v[92:93], v[78:79], v[208:209]
	s_waitcnt vmcnt(32)
	v_fmac_f64_e32 v[92:93], v[80:81], v[214:215]
	v_add_f64 v[90:91], v[90:91], v[92:93]
	s_waitcnt lgkmcnt(1)
	v_mul_f64 v[92:93], v[82:83], v[180:181]
	v_fmac_f64_e32 v[92:93], v[84:85], v[184:185]
	v_add_f64 v[90:91], v[90:91], v[92:93]
	s_waitcnt vmcnt(27) lgkmcnt(0)
	v_mul_f64 v[92:93], v[86:87], v[212:213]
	s_waitcnt vmcnt(25)
	v_fmac_f64_e32 v[92:93], v[88:89], v[216:217]
	v_add_f64 v[220:221], v[90:91], v[92:93]
	ds_read_b128 v[90:93], v1 offset:1680
	ds_read_b128 v[94:97], v1 offset:1696
	;; [unrolled: 1-line block ×3, first 2 shown]
	v_mul_f64 v[4:5], v[28:29], v[136:137]
	v_fma_f64 v[4:5], v[26:27], v[140:141], -v[4:5]
	s_waitcnt lgkmcnt(2)
	v_mul_f64 v[102:103], v[90:91], v[188:189]
	s_waitcnt vmcnt(24)
	v_fmac_f64_e32 v[102:103], v[92:93], v[192:193]
	s_waitcnt vmcnt(18) lgkmcnt(1)
	v_mul_f64 v[104:105], v[94:95], v[218:219]
	v_add_f64 v[102:103], v[220:221], v[102:103]
	s_waitcnt vmcnt(16)
	v_fmac_f64_e32 v[104:105], v[96:97], v[232:233]
	v_add_f64 v[102:103], v[102:103], v[104:105]
	v_mul_f64 v[104:105], v[98:99], v[198:199]
	v_fmac_f64_e32 v[104:105], v[100:101], v[202:203]
	v_add_f64 v[114:115], v[102:103], v[104:105]
	ds_read_b128 v[102:105], v1 offset:1728
	s_waitcnt vmcnt(10) lgkmcnt(0)
	v_mul_f64 v[116:117], v[102:103], v[236:237]
	s_waitcnt vmcnt(8)
	v_fmac_f64_e32 v[116:117], v[104:105], v[238:239]
	v_add_f64 v[114:115], v[114:115], v[116:117]
	v_mul_f64 v[116:117], v[106:107], v[206:207]
	v_fmac_f64_e32 v[116:117], v[108:109], v[210:211]
	v_add_f64 v[114:115], v[114:115], v[116:117]
	s_waitcnt vmcnt(2)
	v_mul_f64 v[116:117], v[110:111], v[240:241]
	s_waitcnt vmcnt(0)
	v_fmac_f64_e32 v[116:117], v[112:113], v[242:243]
	v_add_f64 v[220:221], v[114:115], v[116:117]
	ds_read_b128 v[114:117], v1 offset:1776
	buffer_load_dword v252, off, s[0:3], 0 offset:368
	buffer_load_dword v253, off, s[0:3], 0 offset:372
	s_waitcnt lgkmcnt(0)
	v_mul_f64 v[226:227], v[114:115], v[230:231]
	v_fmac_f64_e32 v[226:227], v[116:117], v[234:235]
	v_add_f64 v[244:245], v[220:221], v[226:227]
	v_add_f64 v[220:221], v[222:223], 0
	v_add_f64 v[250:251], v[220:221], v[224:225]
	v_add_f64 v[220:221], v[250:251], v[248:249]
	buffer_load_dword v248, off, s[0:3], 0 offset:376
	buffer_load_dword v249, off, s[0:3], 0 offset:380
	v_add_f64 v[220:221], v[220:221], v[246:247]
	v_add_f64 v[22:23], v[220:221], v[22:23]
	v_add_f64 v[18:19], v[22:23], v[18:19]
	v_add_f64 v[14:15], v[18:19], v[14:15]
	v_add_f64 v[10:11], v[14:15], v[10:11]
	v_add_f64 v[6:7], v[10:11], v[6:7]
	v_add_f64 v[2:3], v[6:7], v[2:3]
	v_add_f64 v[2:3], v[2:3], v[4:5]
	v_mul_f64 v[4:5], v[32:33], v[146:147]
	v_fma_f64 v[4:5], v[30:31], v[150:151], -v[4:5]
	v_add_f64 v[2:3], v[2:3], v[4:5]
	v_mul_f64 v[4:5], v[36:37], v[148:149]
	v_fma_f64 v[4:5], v[34:35], v[152:153], -v[4:5]
	v_add_f64 v[2:3], v[2:3], v[4:5]
	v_mul_f64 v[4:5], v[40:41], v[170:171]
	v_fma_f64 v[4:5], v[38:39], v[174:175], -v[4:5]
	v_add_f64 v[2:3], v[2:3], v[4:5]
	v_mul_f64 v[4:5], v[44:45], v[154:155]
	v_fma_f64 v[4:5], v[42:43], v[156:157], -v[4:5]
	v_add_f64 v[2:3], v[2:3], v[4:5]
	v_mul_f64 v[4:5], v[48:49], v[178:179]
	v_fma_f64 v[4:5], v[46:47], v[182:183], -v[4:5]
	v_add_f64 v[2:3], v[2:3], v[4:5]
	v_mul_f64 v[4:5], v[52:53], v[158:159]
	v_fma_f64 v[4:5], v[50:51], v[160:161], -v[4:5]
	v_add_f64 v[2:3], v[2:3], v[4:5]
	v_mul_f64 v[4:5], v[56:57], v[186:187]
	v_fma_f64 v[4:5], v[54:55], v[190:191], -v[4:5]
	v_add_f64 v[2:3], v[2:3], v[4:5]
	v_mul_f64 v[4:5], v[60:61], v[162:163]
	v_fma_f64 v[4:5], v[58:59], v[164:165], -v[4:5]
	v_add_f64 v[2:3], v[2:3], v[4:5]
	v_mul_f64 v[4:5], v[64:65], v[194:195]
	v_fma_f64 v[4:5], v[62:63], v[196:197], -v[4:5]
	v_add_f64 v[2:3], v[2:3], v[4:5]
	v_mul_f64 v[4:5], v[68:69], v[166:167]
	v_fma_f64 v[4:5], v[66:67], v[168:169], -v[4:5]
	v_add_f64 v[2:3], v[2:3], v[4:5]
	v_mul_f64 v[4:5], v[72:73], v[200:201]
	v_fma_f64 v[4:5], v[70:71], v[204:205], -v[4:5]
	v_add_f64 v[2:3], v[2:3], v[4:5]
	v_mul_f64 v[4:5], v[76:77], v[172:173]
	v_fma_f64 v[4:5], v[74:75], v[176:177], -v[4:5]
	v_add_f64 v[2:3], v[2:3], v[4:5]
	v_mul_f64 v[4:5], v[80:81], v[208:209]
	v_fma_f64 v[4:5], v[78:79], v[214:215], -v[4:5]
	v_add_f64 v[2:3], v[2:3], v[4:5]
	v_mul_f64 v[4:5], v[84:85], v[180:181]
	v_fma_f64 v[4:5], v[82:83], v[184:185], -v[4:5]
	v_add_f64 v[2:3], v[2:3], v[4:5]
	v_mul_f64 v[4:5], v[88:89], v[212:213]
	v_fma_f64 v[4:5], v[86:87], v[216:217], -v[4:5]
	v_add_f64 v[2:3], v[2:3], v[4:5]
	v_mul_f64 v[4:5], v[92:93], v[188:189]
	v_fma_f64 v[4:5], v[90:91], v[192:193], -v[4:5]
	v_add_f64 v[2:3], v[2:3], v[4:5]
	v_mul_f64 v[4:5], v[96:97], v[218:219]
	v_fma_f64 v[4:5], v[94:95], v[232:233], -v[4:5]
	v_add_f64 v[2:3], v[2:3], v[4:5]
	v_mul_f64 v[4:5], v[100:101], v[198:199]
	v_fma_f64 v[4:5], v[98:99], v[202:203], -v[4:5]
	v_add_f64 v[2:3], v[2:3], v[4:5]
	v_mul_f64 v[4:5], v[104:105], v[236:237]
	v_fma_f64 v[4:5], v[102:103], v[238:239], -v[4:5]
	v_add_f64 v[2:3], v[2:3], v[4:5]
	v_mul_f64 v[4:5], v[108:109], v[206:207]
	v_fma_f64 v[4:5], v[106:107], v[210:211], -v[4:5]
	v_add_f64 v[2:3], v[2:3], v[4:5]
	v_mul_f64 v[4:5], v[112:113], v[240:241]
	v_fma_f64 v[4:5], v[110:111], v[242:243], -v[4:5]
	v_add_f64 v[2:3], v[2:3], v[4:5]
	v_mul_f64 v[4:5], v[116:117], v[230:231]
	v_fma_f64 v[4:5], v[114:115], v[234:235], -v[4:5]
	v_add_f64 v[2:3], v[2:3], v[4:5]
	s_waitcnt vmcnt(2)
	v_add_f64 v[2:3], v[252:253], -v[2:3]
	s_waitcnt vmcnt(0)
	v_add_f64 v[4:5], v[248:249], -v[244:245]
	buffer_store_dword v3, off, s[0:3], 0 offset:372
	buffer_store_dword v2, off, s[0:3], 0 offset:368
	;; [unrolled: 1-line block ×4, first 2 shown]
	s_and_saveexec_b64 s[4:5], vcc
	s_cbranch_execz .LBB55_307
; %bb.306:
	v_accvgpr_read_b32 v5, a146
	buffer_load_dword v2, v5, s[0:3], 0 offen
	buffer_load_dword v3, v5, s[0:3], 0 offen offset:4
	buffer_load_dword v4, v5, s[0:3], 0 offen offset:8
	s_nop 0
	buffer_load_dword v5, v5, s[0:3], 0 offen offset:12
	v_accvgpr_read_b32 v6, a167
	buffer_store_dword v1, off, s[0:3], 0 offset:352
	buffer_store_dword v1, off, s[0:3], 0 offset:356
	;; [unrolled: 1-line block ×4, first 2 shown]
	s_waitcnt vmcnt(4)
	ds_write_b128 v6, v[2:5]
.LBB55_307:
	s_or_b64 exec, exec, s[4:5]
	s_waitcnt lgkmcnt(0)
	; wave barrier
	s_waitcnt lgkmcnt(0)
	buffer_load_dword v86, off, s[0:3], 0 offset:368
	buffer_load_dword v87, off, s[0:3], 0 offset:372
	;; [unrolled: 1-line block ×42, first 2 shown]
	ds_read_b128 v[94:97], v1 offset:1248
	ds_read_b128 v[106:109], v1 offset:1264
	;; [unrolled: 1-line block ×10, first 2 shown]
	buffer_load_dword v145, off, s[0:3], 0 offset:516
	buffer_load_dword v144, off, s[0:3], 0 offset:512
	ds_read_b128 v[6:9], v1 offset:1408
	buffer_load_dword v141, off, s[0:3], 0 offset:572
	buffer_load_dword v140, off, s[0:3], 0 offset:568
	;; [unrolled: 1-line block ×80, first 2 shown]
	v_cmp_lt_u32_e32 vcc, 20, v0
	s_waitcnt vmcnt(62) lgkmcnt(10)
	v_mul_f64 v[26:27], v[94:95], v[88:89]
	v_fmac_f64_e32 v[26:27], v[96:97], v[86:87]
	v_add_f64 v[26:27], v[26:27], 0
	v_mul_f64 v[88:89], v[96:97], v[88:89]
	s_waitcnt lgkmcnt(9)
	v_mul_f64 v[28:29], v[106:107], v[92:93]
	v_fmac_f64_e32 v[28:29], v[108:109], v[90:91]
	s_waitcnt lgkmcnt(8)
	v_mul_f64 v[30:31], v[114:115], v[98:99]
	v_add_f64 v[26:27], v[26:27], v[28:29]
	s_waitcnt lgkmcnt(6)
	v_mul_f64 v[34:35], v[248:249], v[110:111]
	v_fma_f64 v[222:223], v[94:95], v[86:87], -v[88:89]
	v_fmac_f64_e32 v[34:35], v[250:251], v[112:113]
	v_mul_f64 v[92:93], v[108:109], v[92:93]
	v_mul_f64 v[32:33], v[244:245], v[102:103]
	;; [unrolled: 1-line block ×3, first 2 shown]
	s_waitcnt lgkmcnt(4)
	v_mul_f64 v[38:39], v[18:19], v[118:119]
	v_mul_f64 v[102:103], v[246:247], v[102:103]
	v_fmac_f64_e32 v[38:39], v[20:21], v[120:121]
	v_mul_f64 v[110:111], v[250:251], v[110:111]
	v_mul_f64 v[36:37], v[22:23], v[122:123]
	v_fma_f64 v[248:249], v[248:249], v[112:113], -v[110:111]
	s_waitcnt lgkmcnt(2)
	v_mul_f64 v[42:43], v[10:11], v[124:125]
	v_add_f64 v[222:223], v[222:223], 0
	v_mul_f64 v[20:21], v[20:21], v[118:119]
	v_mul_f64 v[40:41], v[14:15], v[130:131]
	v_fma_f64 v[18:19], v[18:19], v[120:121], -v[20:21]
	s_waitcnt lgkmcnt(1)
	v_mul_f64 v[44:45], v[2:3], v[128:129]
	v_fmac_f64_e32 v[30:31], v[116:117], v[100:101]
	v_add_f64 v[26:27], v[26:27], v[30:31]
	v_fmac_f64_e32 v[32:33], v[246:247], v[104:105]
	v_add_f64 v[26:27], v[26:27], v[32:33]
	;; [unrolled: 2-line block ×3, first 2 shown]
	v_add_f64 v[26:27], v[26:27], v[36:37]
	v_fmac_f64_e32 v[40:41], v[16:17], v[132:133]
	v_add_f64 v[26:27], v[26:27], v[38:39]
	v_fmac_f64_e32 v[42:43], v[12:13], v[126:127]
	v_add_f64 v[26:27], v[26:27], v[40:41]
	v_add_f64 v[26:27], v[26:27], v[42:43]
	s_waitcnt lgkmcnt(0)
	v_mul_f64 v[32:33], v[6:7], v[136:137]
	v_fmac_f64_e32 v[44:45], v[4:5], v[144:145]
	v_add_f64 v[30:31], v[26:27], v[44:45]
	ds_read_b128 v[26:29], v1 offset:1424
	v_fmac_f64_e32 v[32:33], v[8:9], v[138:139]
	v_add_f64 v[34:35], v[30:31], v[32:33]
	ds_read_b128 v[30:33], v1 offset:1440
	v_fma_f64 v[224:225], v[114:115], v[100:101], -v[98:99]
	s_waitcnt lgkmcnt(1)
	v_mul_f64 v[36:37], v[26:27], v[146:147]
	v_fmac_f64_e32 v[36:37], v[28:29], v[162:163]
	v_add_f64 v[38:39], v[34:35], v[36:37]
	ds_read_b128 v[34:37], v1 offset:1456
	s_waitcnt lgkmcnt(1)
	v_mul_f64 v[40:41], v[30:31], v[140:141]
	v_fmac_f64_e32 v[40:41], v[32:33], v[142:143]
	v_add_f64 v[42:43], v[38:39], v[40:41]
	ds_read_b128 v[38:41], v1 offset:1472
	;; [unrolled: 5-line block ×4, first 2 shown]
	s_waitcnt vmcnt(58) lgkmcnt(1)
	v_mul_f64 v[52:53], v[42:43], v[174:175]
	s_waitcnt vmcnt(56)
	v_fmac_f64_e32 v[52:53], v[44:45], v[178:179]
	v_add_f64 v[54:55], v[50:51], v[52:53]
	ds_read_b128 v[50:53], v1 offset:1520
	buffer_load_dword v232, off, s[0:3], 0 offset:888
	buffer_load_dword v237, off, s[0:3], 0 offset:876
	;; [unrolled: 1-line block ×8, first 2 shown]
	s_waitcnt lgkmcnt(1)
	v_mul_f64 v[56:57], v[46:47], v[152:153]
	v_fmac_f64_e32 v[56:57], v[48:49], v[154:155]
	v_add_f64 v[58:59], v[54:55], v[56:57]
	ds_read_b128 v[54:57], v1 offset:1536
	s_waitcnt vmcnt(58) lgkmcnt(1)
	v_mul_f64 v[60:61], v[50:51], v[182:183]
	s_waitcnt vmcnt(56)
	v_fmac_f64_e32 v[60:61], v[52:53], v[186:187]
	buffer_load_dword v241, off, s[0:3], 0 offset:908
	buffer_load_dword v240, off, s[0:3], 0 offset:904
	;; [unrolled: 1-line block ×4, first 2 shown]
	v_add_f64 v[62:63], v[58:59], v[60:61]
	ds_read_b128 v[58:61], v1 offset:1552
	s_waitcnt lgkmcnt(1)
	v_mul_f64 v[64:65], v[54:55], v[156:157]
	v_fmac_f64_e32 v[64:65], v[56:57], v[158:159]
	v_add_f64 v[66:67], v[62:63], v[64:65]
	ds_read_b128 v[62:65], v1 offset:1568
	s_waitcnt vmcnt(54) lgkmcnt(1)
	v_mul_f64 v[68:69], v[58:59], v[190:191]
	s_waitcnt vmcnt(52)
	v_fmac_f64_e32 v[68:69], v[60:61], v[194:195]
	v_add_f64 v[70:71], v[66:67], v[68:69]
	ds_read_b128 v[66:69], v1 offset:1584
	s_waitcnt lgkmcnt(1)
	v_mul_f64 v[72:73], v[62:63], v[160:161]
	v_fmac_f64_e32 v[72:73], v[64:65], v[164:165]
	v_add_f64 v[74:75], v[70:71], v[72:73]
	ds_read_b128 v[70:73], v1 offset:1600
	s_waitcnt vmcnt(46) lgkmcnt(1)
	v_mul_f64 v[76:77], v[66:67], v[198:199]
	s_waitcnt vmcnt(44)
	v_fmac_f64_e32 v[76:77], v[68:69], v[202:203]
	v_add_f64 v[82:83], v[74:75], v[76:77]
	ds_read_b128 v[74:77], v1 offset:1616
	ds_read_b128 v[78:81], v1 offset:1632
	s_waitcnt lgkmcnt(2)
	v_mul_f64 v[84:85], v[70:71], v[168:169]
	v_fmac_f64_e32 v[84:85], v[72:73], v[172:173]
	v_add_f64 v[82:83], v[82:83], v[84:85]
	s_waitcnt vmcnt(38) lgkmcnt(1)
	v_mul_f64 v[84:85], v[74:75], v[206:207]
	s_waitcnt vmcnt(36)
	v_fmac_f64_e32 v[84:85], v[76:77], v[208:209]
	v_add_f64 v[82:83], v[82:83], v[84:85]
	s_waitcnt lgkmcnt(0)
	v_mul_f64 v[84:85], v[78:79], v[176:177]
	v_fmac_f64_e32 v[84:85], v[80:81], v[180:181]
	v_add_f64 v[220:221], v[82:83], v[84:85]
	ds_read_b128 v[82:85], v1 offset:1648
	ds_read_b128 v[86:89], v1 offset:1664
	;; [unrolled: 1-line block ×3, first 2 shown]
	v_fma_f64 v[246:247], v[244:245], v[104:105], -v[102:103]
	ds_read_b128 v[102:105], v1 offset:1744
	ds_read_b128 v[110:113], v1 offset:1760
	s_waitcnt vmcnt(30) lgkmcnt(4)
	v_mul_f64 v[94:95], v[82:83], v[210:211]
	s_waitcnt vmcnt(28)
	v_fmac_f64_e32 v[94:95], v[84:85], v[212:213]
	v_add_f64 v[94:95], v[220:221], v[94:95]
	v_fma_f64 v[220:221], v[106:107], v[90:91], -v[92:93]
	ds_read_b128 v[90:93], v1 offset:1680
	s_waitcnt lgkmcnt(4)
	v_mul_f64 v[96:97], v[86:87], v[184:185]
	v_fmac_f64_e32 v[96:97], v[88:89], v[188:189]
	v_add_f64 v[106:107], v[94:95], v[96:97]
	ds_read_b128 v[94:97], v1 offset:1696
	s_waitcnt vmcnt(22) lgkmcnt(1)
	v_mul_f64 v[108:109], v[90:91], v[214:215]
	s_waitcnt vmcnt(20)
	v_fmac_f64_e32 v[108:109], v[92:93], v[216:217]
	v_add_f64 v[106:107], v[106:107], v[108:109]
	v_add_f64 v[220:221], v[222:223], v[220:221]
	s_waitcnt lgkmcnt(0)
	v_mul_f64 v[108:109], v[94:95], v[192:193]
	v_fmac_f64_e32 v[108:109], v[96:97], v[196:197]
	v_add_f64 v[114:115], v[106:107], v[108:109]
	ds_read_b128 v[106:109], v1 offset:1728
	s_waitcnt vmcnt(14)
	v_mul_f64 v[116:117], v[98:99], v[218:219]
	s_waitcnt vmcnt(12)
	v_fmac_f64_e32 v[116:117], v[100:101], v[230:231]
	v_add_f64 v[114:115], v[114:115], v[116:117]
	v_add_f64 v[250:251], v[220:221], v[224:225]
	s_waitcnt lgkmcnt(0)
	v_mul_f64 v[116:117], v[106:107], v[200:201]
	v_fmac_f64_e32 v[116:117], v[108:109], v[204:205]
	v_add_f64 v[114:115], v[114:115], v[116:117]
	v_add_f64 v[220:221], v[250:251], v[246:247]
	v_mul_f64 v[24:25], v[24:25], v[122:123]
	v_add_f64 v[220:221], v[220:221], v[248:249]
	v_fma_f64 v[22:23], v[22:23], v[134:135], -v[24:25]
	v_add_f64 v[22:23], v[220:221], v[22:23]
	v_mul_f64 v[16:17], v[16:17], v[130:131]
	v_add_f64 v[18:19], v[22:23], v[18:19]
	v_fma_f64 v[14:15], v[14:15], v[132:133], -v[16:17]
	v_mul_f64 v[12:13], v[12:13], v[124:125]
	s_waitcnt vmcnt(9)
	v_mul_f64 v[116:117], v[102:103], v[236:237]
	v_add_f64 v[14:15], v[18:19], v[14:15]
	s_waitcnt vmcnt(7)
	v_fmac_f64_e32 v[116:117], v[104:105], v[238:239]
	v_add_f64 v[114:115], v[114:115], v[116:117]
	s_waitcnt vmcnt(5)
	v_mul_f64 v[116:117], v[110:111], v[232:233]
	s_waitcnt vmcnt(4)
	v_fmac_f64_e32 v[116:117], v[112:113], v[234:235]
	v_add_f64 v[226:227], v[114:115], v[116:117]
	ds_read_b128 v[114:117], v1 offset:1776
	buffer_load_dword v254, off, s[0:3], 0 offset:352
	buffer_load_dword v255, off, s[0:3], 0 offset:356
	;; [unrolled: 1-line block ×4, first 2 shown]
	v_fma_f64 v[10:11], v[10:11], v[126:127], -v[12:13]
	v_mul_f64 v[4:5], v[4:5], v[128:129]
	v_add_f64 v[10:11], v[14:15], v[10:11]
	v_fma_f64 v[2:3], v[2:3], v[144:145], -v[4:5]
	v_mul_f64 v[4:5], v[8:9], v[136:137]
	v_add_f64 v[2:3], v[10:11], v[2:3]
	v_fma_f64 v[4:5], v[6:7], v[138:139], -v[4:5]
	v_add_f64 v[2:3], v[2:3], v[4:5]
	v_mul_f64 v[4:5], v[28:29], v[146:147]
	v_fma_f64 v[4:5], v[26:27], v[162:163], -v[4:5]
	v_add_f64 v[2:3], v[2:3], v[4:5]
	v_mul_f64 v[4:5], v[32:33], v[140:141]
	;; [unrolled: 3-line block ×22, first 2 shown]
	v_fma_f64 v[4:5], v[110:111], v[234:235], -v[4:5]
	v_add_f64 v[2:3], v[2:3], v[4:5]
	s_waitcnt vmcnt(6) lgkmcnt(0)
	v_mul_f64 v[4:5], v[116:117], v[240:241]
	v_mul_f64 v[228:229], v[114:115], v[240:241]
	s_waitcnt vmcnt(4)
	v_fma_f64 v[4:5], v[114:115], v[242:243], -v[4:5]
	v_fmac_f64_e32 v[228:229], v[116:117], v[242:243]
	v_add_f64 v[2:3], v[2:3], v[4:5]
	v_add_f64 v[244:245], v[226:227], v[228:229]
	s_waitcnt vmcnt(2)
	v_add_f64 v[2:3], v[254:255], -v[2:3]
	s_waitcnt vmcnt(0)
	v_add_f64 v[4:5], v[252:253], -v[244:245]
	buffer_store_dword v3, off, s[0:3], 0 offset:356
	buffer_store_dword v2, off, s[0:3], 0 offset:352
	;; [unrolled: 1-line block ×4, first 2 shown]
	s_and_saveexec_b64 s[4:5], vcc
	s_cbranch_execz .LBB55_309
; %bb.308:
	v_accvgpr_read_b32 v1, a147
	buffer_load_dword v2, v1, s[0:3], 0 offen
	buffer_load_dword v3, v1, s[0:3], 0 offen offset:4
	buffer_load_dword v4, v1, s[0:3], 0 offen offset:8
	;; [unrolled: 1-line block ×3, first 2 shown]
	v_mov_b32_e32 v1, 0
	v_accvgpr_read_b32 v6, a167
	buffer_store_dword v1, off, s[0:3], 0 offset:336
	buffer_store_dword v1, off, s[0:3], 0 offset:340
	buffer_store_dword v1, off, s[0:3], 0 offset:344
	buffer_store_dword v1, off, s[0:3], 0 offset:348
	s_waitcnt vmcnt(4)
	ds_write_b128 v6, v[2:5]
.LBB55_309:
	s_or_b64 exec, exec, s[4:5]
	s_waitcnt lgkmcnt(0)
	; wave barrier
	s_waitcnt lgkmcnt(0)
	buffer_load_dword v82, off, s[0:3], 0 offset:352
	buffer_load_dword v83, off, s[0:3], 0 offset:356
	;; [unrolled: 1-line block ×54, first 2 shown]
	v_mov_b32_e32 v1, 0
	ds_read_b128 v[90:93], v1 offset:1232
	ds_read_b128 v[106:109], v1 offset:1248
	;; [unrolled: 1-line block ×9, first 2 shown]
	buffer_load_dword v149, off, s[0:3], 0 offset:580
	buffer_load_dword v148, off, s[0:3], 0 offset:576
	;; [unrolled: 1-line block ×62, first 2 shown]
	v_cmp_lt_u32_e32 vcc, 19, v0
	s_waitcnt vmcnt(62) lgkmcnt(8)
	v_mul_f64 v[14:15], v[90:91], v[84:85]
	v_fmac_f64_e32 v[14:15], v[92:93], v[82:83]
	v_add_f64 v[14:15], v[14:15], 0
	v_mul_f64 v[84:85], v[92:93], v[84:85]
	s_waitcnt lgkmcnt(7)
	v_mul_f64 v[16:17], v[106:107], v[88:89]
	v_fmac_f64_e32 v[16:17], v[108:109], v[86:87]
	s_waitcnt lgkmcnt(6)
	v_mul_f64 v[18:19], v[114:115], v[94:95]
	v_add_f64 v[14:15], v[14:15], v[16:17]
	s_waitcnt lgkmcnt(4)
	v_mul_f64 v[22:23], v[246:247], v[102:103]
	v_fma_f64 v[222:223], v[90:91], v[82:83], -v[84:85]
	v_fmac_f64_e32 v[22:23], v[248:249], v[104:105]
	v_mul_f64 v[88:89], v[108:109], v[88:89]
	v_mul_f64 v[20:21], v[242:243], v[98:99]
	v_fma_f64 v[224:225], v[106:107], v[86:87], -v[88:89]
	s_waitcnt lgkmcnt(2)
	v_mul_f64 v[26:27], v[10:11], v[118:119]
	v_mul_f64 v[94:95], v[116:117], v[94:95]
	v_fmac_f64_e32 v[26:27], v[12:13], v[120:121]
	v_mul_f64 v[98:99], v[244:245], v[98:99]
	v_mul_f64 v[24:25], v[250:251], v[110:111]
	;; [unrolled: 1-line block ×3, first 2 shown]
	s_waitcnt lgkmcnt(1)
	v_mul_f64 v[28:29], v[6:7], v[122:123]
	v_mul_f64 v[110:111], v[252:253], v[110:111]
	v_fmac_f64_e32 v[18:19], v[116:117], v[96:97]
	v_add_f64 v[14:15], v[14:15], v[18:19]
	v_fmac_f64_e32 v[20:21], v[244:245], v[100:101]
	v_add_f64 v[14:15], v[14:15], v[20:21]
	;; [unrolled: 2-line block ×3, first 2 shown]
	v_add_f64 v[14:15], v[14:15], v[24:25]
	v_fmac_f64_e32 v[28:29], v[8:9], v[126:127]
	v_add_f64 v[14:15], v[14:15], v[26:27]
	v_add_f64 v[18:19], v[14:15], v[28:29]
	ds_read_b128 v[14:17], v1 offset:1376
	s_waitcnt lgkmcnt(1)
	v_mul_f64 v[20:21], v[2:3], v[124:125]
	v_fmac_f64_e32 v[20:21], v[4:5], v[128:129]
	v_add_f64 v[22:23], v[18:19], v[20:21]
	ds_read_b128 v[18:21], v1 offset:1392
	s_waitcnt lgkmcnt(1)
	v_mul_f64 v[24:25], v[14:15], v[134:135]
	v_fmac_f64_e32 v[24:25], v[16:17], v[136:137]
	;; [unrolled: 5-line block ×5, first 2 shown]
	v_add_f64 v[38:39], v[34:35], v[36:37]
	ds_read_b128 v[34:37], v1 offset:1456
	s_waitcnt vmcnt(58) lgkmcnt(1)
	v_mul_f64 v[40:41], v[30:31], v[162:163]
	s_waitcnt vmcnt(56)
	v_fmac_f64_e32 v[40:41], v[32:33], v[166:167]
	v_add_f64 v[42:43], v[38:39], v[40:41]
	ds_read_b128 v[38:41], v1 offset:1472
	s_waitcnt lgkmcnt(1)
	v_mul_f64 v[44:45], v[34:35], v[142:143]
	v_fmac_f64_e32 v[44:45], v[36:37], v[148:149]
	v_add_f64 v[46:47], v[42:43], v[44:45]
	ds_read_b128 v[42:45], v1 offset:1488
	s_waitcnt vmcnt(50) lgkmcnt(1)
	v_mul_f64 v[48:49], v[38:39], v[170:171]
	s_waitcnt vmcnt(48)
	v_fmac_f64_e32 v[48:49], v[40:41], v[174:175]
	v_add_f64 v[50:51], v[46:47], v[48:49]
	ds_read_b128 v[46:49], v1 offset:1504
	buffer_load_dword v211, off, s[0:3], 0 offset:828
	buffer_load_dword v210, off, s[0:3], 0 offset:824
	;; [unrolled: 1-line block ×8, first 2 shown]
	s_waitcnt lgkmcnt(1)
	v_mul_f64 v[52:53], v[42:43], v[150:151]
	v_fmac_f64_e32 v[52:53], v[44:45], v[152:153]
	v_add_f64 v[54:55], v[50:51], v[52:53]
	ds_read_b128 v[50:53], v1 offset:1520
	s_waitcnt vmcnt(50) lgkmcnt(1)
	v_mul_f64 v[56:57], v[46:47], v[178:179]
	s_waitcnt vmcnt(48)
	v_fmac_f64_e32 v[56:57], v[48:49], v[182:183]
	buffer_load_dword v215, off, s[0:3], 0 offset:876
	buffer_load_dword v231, off, s[0:3], 0 offset:860
	buffer_load_dword v230, off, s[0:3], 0 offset:856
	buffer_load_dword v237, off, s[0:3], 0 offset:852
	buffer_load_dword v236, off, s[0:3], 0 offset:848
	buffer_load_dword v214, off, s[0:3], 0 offset:872
	buffer_load_dword v235, off, s[0:3], 0 offset:868
	buffer_load_dword v234, off, s[0:3], 0 offset:864
	buffer_load_dword v233, off, s[0:3], 0 offset:892
	buffer_load_dword v232, off, s[0:3], 0 offset:888
	buffer_load_dword v239, off, s[0:3], 0 offset:884
	buffer_load_dword v238, off, s[0:3], 0 offset:880
	v_add_f64 v[58:59], v[54:55], v[56:57]
	ds_read_b128 v[54:57], v1 offset:1536
	s_waitcnt lgkmcnt(1)
	v_mul_f64 v[60:61], v[50:51], v[154:155]
	v_fmac_f64_e32 v[60:61], v[52:53], v[156:157]
	v_add_f64 v[62:63], v[58:59], v[60:61]
	ds_read_b128 v[58:61], v1 offset:1552
	s_waitcnt vmcnt(54) lgkmcnt(1)
	v_mul_f64 v[64:65], v[54:55], v[186:187]
	s_waitcnt vmcnt(52)
	v_fmac_f64_e32 v[64:65], v[56:57], v[190:191]
	v_add_f64 v[66:67], v[62:63], v[64:65]
	ds_read_b128 v[62:65], v1 offset:1568
	s_waitcnt lgkmcnt(1)
	v_mul_f64 v[68:69], v[58:59], v[158:159]
	v_fmac_f64_e32 v[68:69], v[60:61], v[160:161]
	v_add_f64 v[70:71], v[66:67], v[68:69]
	ds_read_b128 v[66:69], v1 offset:1584
	s_waitcnt vmcnt(46) lgkmcnt(1)
	v_mul_f64 v[72:73], v[62:63], v[194:195]
	s_waitcnt vmcnt(44)
	v_fmac_f64_e32 v[72:73], v[64:65], v[196:197]
	v_add_f64 v[78:79], v[70:71], v[72:73]
	ds_read_b128 v[70:73], v1 offset:1600
	ds_read_b128 v[74:77], v1 offset:1616
	s_waitcnt lgkmcnt(2)
	v_mul_f64 v[80:81], v[66:67], v[164:165]
	v_fmac_f64_e32 v[80:81], v[68:69], v[168:169]
	v_add_f64 v[78:79], v[78:79], v[80:81]
	s_waitcnt vmcnt(38) lgkmcnt(1)
	v_mul_f64 v[80:81], v[70:71], v[198:199]
	s_waitcnt vmcnt(36)
	v_fmac_f64_e32 v[80:81], v[72:73], v[200:201]
	v_add_f64 v[78:79], v[78:79], v[80:81]
	s_waitcnt lgkmcnt(0)
	v_mul_f64 v[80:81], v[74:75], v[172:173]
	v_fmac_f64_e32 v[80:81], v[76:77], v[176:177]
	v_add_f64 v[220:221], v[78:79], v[80:81]
	ds_read_b128 v[78:81], v1 offset:1632
	ds_read_b128 v[82:85], v1 offset:1648
	;; [unrolled: 1-line block ×3, first 2 shown]
	v_fma_f64 v[226:227], v[242:243], v[100:101], -v[98:99]
	ds_read_b128 v[98:101], v1 offset:1712
	s_waitcnt vmcnt(30) lgkmcnt(3)
	v_mul_f64 v[90:91], v[78:79], v[202:203]
	s_waitcnt vmcnt(28)
	v_fmac_f64_e32 v[90:91], v[80:81], v[204:205]
	s_waitcnt lgkmcnt(2)
	v_mul_f64 v[92:93], v[82:83], v[180:181]
	v_add_f64 v[90:91], v[220:221], v[90:91]
	v_fmac_f64_e32 v[92:93], v[84:85], v[184:185]
	v_add_f64 v[90:91], v[90:91], v[92:93]
	v_fma_f64 v[220:221], v[114:115], v[96:97], -v[94:95]
	ds_read_b128 v[94:97], v1 offset:1696
	s_waitcnt vmcnt(22) lgkmcnt(2)
	v_mul_f64 v[92:93], v[86:87], v[206:207]
	s_waitcnt vmcnt(20)
	v_fmac_f64_e32 v[92:93], v[88:89], v[208:209]
	v_add_f64 v[106:107], v[90:91], v[92:93]
	ds_read_b128 v[90:93], v1 offset:1680
	buffer_load_dword v240, off, s[0:3], 0 offset:904
	v_fma_f64 v[228:229], v[246:247], v[104:105], -v[102:103]
	ds_read_b128 v[102:105], v1 offset:1728
	v_fma_f64 v[250:251], v[250:251], v[112:113], -v[110:111]
	s_waitcnt lgkmcnt(1)
	v_mul_f64 v[108:109], v[90:91], v[188:189]
	v_fmac_f64_e32 v[108:109], v[92:93], v[192:193]
	v_add_f64 v[106:107], v[106:107], v[108:109]
	ds_read_b128 v[110:113], v1 offset:1760
	v_add_f64 v[222:223], v[222:223], 0
	v_add_f64 v[222:223], v[222:223], v[224:225]
	;; [unrolled: 1-line block ×5, first 2 shown]
	v_mul_f64 v[12:13], v[12:13], v[118:119]
	v_add_f64 v[220:221], v[252:253], v[250:251]
	v_fma_f64 v[10:11], v[10:11], v[120:121], -v[12:13]
	v_mul_f64 v[8:9], v[8:9], v[122:123]
	v_add_f64 v[10:11], v[220:221], v[10:11]
	v_fma_f64 v[6:7], v[6:7], v[126:127], -v[8:9]
	;; [unrolled: 3-line block ×3, first 2 shown]
	v_mul_f64 v[4:5], v[16:17], v[134:135]
	v_add_f64 v[2:3], v[6:7], v[2:3]
	s_waitcnt vmcnt(19)
	v_mul_f64 v[108:109], v[94:95], v[210:211]
	v_fma_f64 v[4:5], v[14:15], v[136:137], -v[4:5]
	s_waitcnt vmcnt(17)
	v_fmac_f64_e32 v[108:109], v[96:97], v[212:213]
	v_add_f64 v[106:107], v[106:107], v[108:109]
	s_waitcnt vmcnt(15)
	v_mul_f64 v[108:109], v[98:99], v[216:217]
	s_waitcnt vmcnt(13)
	v_fmac_f64_e32 v[108:109], v[100:101], v[218:219]
	v_add_f64 v[114:115], v[106:107], v[108:109]
	ds_read_b128 v[106:109], v1 offset:1744
	buffer_load_dword v244, off, s[0:3], 0 offset:896
	buffer_load_dword v241, off, s[0:3], 0 offset:908
	;; [unrolled: 1-line block ×3, first 2 shown]
	s_waitcnt vmcnt(13) lgkmcnt(2)
	v_mul_f64 v[116:117], v[102:103], v[230:231]
	s_waitcnt vmcnt(11)
	v_fmac_f64_e32 v[116:117], v[104:105], v[236:237]
	v_add_f64 v[114:115], v[114:115], v[116:117]
	s_waitcnt vmcnt(10) lgkmcnt(0)
	v_mul_f64 v[116:117], v[106:107], v[214:215]
	s_waitcnt vmcnt(8)
	v_fmac_f64_e32 v[116:117], v[108:109], v[234:235]
	v_add_f64 v[114:115], v[114:115], v[116:117]
	s_waitcnt vmcnt(6)
	v_mul_f64 v[116:117], v[110:111], v[232:233]
	s_waitcnt vmcnt(4)
	v_fmac_f64_e32 v[116:117], v[112:113], v[238:239]
	v_add_f64 v[242:243], v[114:115], v[116:117]
	ds_read_b128 v[114:117], v1 offset:1776
	buffer_load_dword v248, off, s[0:3], 0 offset:336
	buffer_load_dword v249, off, s[0:3], 0 offset:340
	v_add_f64 v[2:3], v[2:3], v[4:5]
	v_mul_f64 v[4:5], v[20:21], v[130:131]
	v_fma_f64 v[4:5], v[18:19], v[132:133], -v[4:5]
	v_add_f64 v[2:3], v[2:3], v[4:5]
	v_mul_f64 v[4:5], v[24:25], v[144:145]
	v_fma_f64 v[4:5], v[22:23], v[146:147], -v[4:5]
	;; [unrolled: 3-line block ×22, first 2 shown]
	v_add_f64 v[2:3], v[2:3], v[4:5]
	s_waitcnt vmcnt(3) lgkmcnt(0)
	v_mul_f64 v[246:247], v[114:115], v[240:241]
	s_waitcnt vmcnt(2)
	v_fmac_f64_e32 v[246:247], v[116:117], v[244:245]
	v_add_f64 v[242:243], v[242:243], v[246:247]
	buffer_load_dword v246, off, s[0:3], 0 offset:344
	buffer_load_dword v247, off, s[0:3], 0 offset:348
	v_mul_f64 v[4:5], v[108:109], v[214:215]
	v_fma_f64 v[4:5], v[106:107], v[234:235], -v[4:5]
	v_add_f64 v[2:3], v[2:3], v[4:5]
	v_mul_f64 v[4:5], v[112:113], v[232:233]
	v_fma_f64 v[4:5], v[110:111], v[238:239], -v[4:5]
	v_add_f64 v[2:3], v[2:3], v[4:5]
	;; [unrolled: 3-line block ×3, first 2 shown]
	s_waitcnt vmcnt(2)
	v_add_f64 v[2:3], v[248:249], -v[2:3]
	s_waitcnt vmcnt(0)
	v_add_f64 v[4:5], v[246:247], -v[242:243]
	buffer_store_dword v3, off, s[0:3], 0 offset:340
	buffer_store_dword v2, off, s[0:3], 0 offset:336
	;; [unrolled: 1-line block ×4, first 2 shown]
	s_and_saveexec_b64 s[4:5], vcc
	s_cbranch_execz .LBB55_311
; %bb.310:
	v_accvgpr_read_b32 v5, a148
	buffer_load_dword v2, v5, s[0:3], 0 offen
	buffer_load_dword v3, v5, s[0:3], 0 offen offset:4
	buffer_load_dword v4, v5, s[0:3], 0 offen offset:8
	s_nop 0
	buffer_load_dword v5, v5, s[0:3], 0 offen offset:12
	v_accvgpr_read_b32 v6, a167
	buffer_store_dword v1, off, s[0:3], 0 offset:320
	buffer_store_dword v1, off, s[0:3], 0 offset:324
	;; [unrolled: 1-line block ×4, first 2 shown]
	s_waitcnt vmcnt(4)
	ds_write_b128 v6, v[2:5]
.LBB55_311:
	s_or_b64 exec, exec, s[4:5]
	s_waitcnt lgkmcnt(0)
	; wave barrier
	s_waitcnt lgkmcnt(0)
	buffer_load_dword v84, off, s[0:3], 0 offset:336
	buffer_load_dword v85, off, s[0:3], 0 offset:340
	;; [unrolled: 1-line block ×34, first 2 shown]
	ds_read_b128 v[74:77], v1 offset:1216
	ds_read_b128 v[78:81], v1 offset:1232
	ds_read_b128 v[86:89], v1 offset:1248
	ds_read_b128 v[90:93], v1 offset:1264
	ds_read_b128 v[98:101], v1 offset:1280
	ds_read_b128 v[102:105], v1 offset:1296
	ds_read_b128 v[110:113], v1 offset:1312
	ds_read_b128 v[2:5], v1 offset:1328
	buffer_load_dword v125, off, s[0:3], 0 offset:452
	buffer_load_dword v124, off, s[0:3], 0 offset:448
	ds_read_b128 v[6:9], v1 offset:1344
	buffer_load_dword v127, off, s[0:3], 0 offset:508
	buffer_load_dword v126, off, s[0:3], 0 offset:504
	;; [unrolled: 1-line block ×80, first 2 shown]
	v_cmp_lt_u32_e32 vcc, 18, v0
	s_waitcnt vmcnt(62) lgkmcnt(8)
	v_mul_f64 v[10:11], v[74:75], v[106:107]
	v_fmac_f64_e32 v[10:11], v[76:77], v[84:85]
	v_add_f64 v[10:11], v[10:11], 0
	v_mul_f64 v[76:77], v[76:77], v[106:107]
	s_waitcnt lgkmcnt(7)
	v_mul_f64 v[12:13], v[78:79], v[96:97]
	v_fmac_f64_e32 v[12:13], v[80:81], v[82:83]
	s_waitcnt lgkmcnt(6)
	v_mul_f64 v[14:15], v[86:87], v[94:95]
	v_add_f64 v[10:11], v[10:11], v[12:13]
	s_waitcnt lgkmcnt(4)
	v_mul_f64 v[18:19], v[98:99], v[108:109]
	v_fma_f64 v[222:223], v[74:75], v[84:85], -v[76:77]
	v_fmac_f64_e32 v[18:19], v[100:101], v[114:115]
	v_mul_f64 v[80:81], v[80:81], v[96:97]
	v_mul_f64 v[16:17], v[90:91], v[116:117]
	v_fma_f64 v[224:225], v[78:79], v[82:83], -v[80:81]
	s_waitcnt lgkmcnt(2)
	v_mul_f64 v[22:23], v[110:111], v[240:241]
	v_mul_f64 v[100:101], v[100:101], v[108:109]
	v_fma_f64 v[228:229], v[98:99], v[114:115], -v[100:101]
	v_mul_f64 v[20:21], v[102:103], v[244:245]
	v_add_f64 v[222:223], v[222:223], 0
	s_waitcnt lgkmcnt(1)
	v_mul_f64 v[24:25], v[2:3], v[118:119]
	v_add_f64 v[222:223], v[222:223], v[224:225]
	v_fmac_f64_e32 v[14:15], v[88:89], v[250:251]
	v_add_f64 v[10:11], v[10:11], v[14:15]
	v_fmac_f64_e32 v[16:17], v[92:93], v[248:249]
	;; [unrolled: 2-line block ×4, first 2 shown]
	v_add_f64 v[10:11], v[10:11], v[20:21]
	v_add_f64 v[10:11], v[10:11], v[22:23]
	s_waitcnt lgkmcnt(0)
	v_mul_f64 v[16:17], v[6:7], v[120:121]
	v_fmac_f64_e32 v[16:17], v[8:9], v[122:123]
	v_fmac_f64_e32 v[24:25], v[4:5], v[124:125]
	v_add_f64 v[14:15], v[10:11], v[24:25]
	ds_read_b128 v[10:13], v1 offset:1360
	v_add_f64 v[18:19], v[14:15], v[16:17]
	ds_read_b128 v[14:17], v1 offset:1376
	v_mul_f64 v[88:89], v[88:89], v[94:95]
	v_mul_f64 v[92:93], v[92:93], v[116:117]
	s_waitcnt lgkmcnt(1)
	v_mul_f64 v[20:21], v[10:11], v[130:131]
	v_fmac_f64_e32 v[20:21], v[12:13], v[132:133]
	s_waitcnt lgkmcnt(0)
	v_mul_f64 v[24:25], v[14:15], v[126:127]
	v_add_f64 v[22:23], v[18:19], v[20:21]
	ds_read_b128 v[18:21], v1 offset:1392
	v_fmac_f64_e32 v[24:25], v[16:17], v[128:129]
	v_add_f64 v[26:27], v[22:23], v[24:25]
	ds_read_b128 v[22:25], v1 offset:1408
	v_fma_f64 v[226:227], v[90:91], v[248:249], -v[92:93]
	s_waitcnt lgkmcnt(1)
	v_mul_f64 v[28:29], v[18:19], v[142:143]
	v_fmac_f64_e32 v[28:29], v[20:21], v[144:145]
	v_add_f64 v[30:31], v[26:27], v[28:29]
	s_waitcnt lgkmcnt(0)
	v_mul_f64 v[32:33], v[22:23], v[134:135]
	ds_read_b128 v[26:29], v1 offset:1424
	v_fmac_f64_e32 v[32:33], v[24:25], v[136:137]
	v_add_f64 v[34:35], v[30:31], v[32:33]
	ds_read_b128 v[30:33], v1 offset:1440
	v_mul_f64 v[104:105], v[104:105], v[244:245]
	s_waitcnt vmcnt(58) lgkmcnt(1)
	v_mul_f64 v[36:37], v[26:27], v[158:159]
	s_waitcnt vmcnt(56)
	v_fmac_f64_e32 v[36:37], v[28:29], v[162:163]
	v_add_f64 v[38:39], v[34:35], v[36:37]
	s_waitcnt lgkmcnt(0)
	v_mul_f64 v[40:41], v[30:31], v[138:139]
	ds_read_b128 v[34:37], v1 offset:1456
	v_fmac_f64_e32 v[40:41], v[32:33], v[140:141]
	v_add_f64 v[42:43], v[38:39], v[40:41]
	ds_read_b128 v[38:41], v1 offset:1472
	v_mul_f64 v[112:113], v[112:113], v[240:241]
	s_waitcnt vmcnt(50) lgkmcnt(1)
	v_mul_f64 v[44:45], v[34:35], v[166:167]
	s_waitcnt vmcnt(48)
	v_fmac_f64_e32 v[44:45], v[36:37], v[170:171]
	v_add_f64 v[46:47], v[42:43], v[44:45]
	s_waitcnt lgkmcnt(0)
	v_mul_f64 v[48:49], v[38:39], v[146:147]
	v_fmac_f64_e32 v[48:49], v[40:41], v[148:149]
	ds_read_b128 v[42:45], v1 offset:1488
	v_add_f64 v[50:51], v[46:47], v[48:49]
	ds_read_b128 v[46:49], v1 offset:1504
	buffer_load_dword v207, off, s[0:3], 0 offset:828
	buffer_load_dword v209, off, s[0:3], 0 offset:812
	;; [unrolled: 1-line block ×12, first 2 shown]
	v_fma_f64 v[252:253], v[110:111], v[242:243], -v[112:113]
	s_waitcnt vmcnt(54) lgkmcnt(1)
	v_mul_f64 v[52:53], v[42:43], v[174:175]
	s_waitcnt vmcnt(52)
	v_fmac_f64_e32 v[52:53], v[44:45], v[178:179]
	v_add_f64 v[54:55], v[50:51], v[52:53]
	ds_read_b128 v[50:53], v1 offset:1520
	s_waitcnt lgkmcnt(1)
	v_mul_f64 v[56:57], v[46:47], v[150:151]
	v_fmac_f64_e32 v[56:57], v[48:49], v[152:153]
	buffer_load_dword v231, off, s[0:3], 0 offset:860
	buffer_load_dword v230, off, s[0:3], 0 offset:856
	;; [unrolled: 1-line block ×12, first 2 shown]
	v_add_f64 v[58:59], v[54:55], v[56:57]
	ds_read_b128 v[54:57], v1 offset:1536
	s_waitcnt vmcnt(58) lgkmcnt(1)
	v_mul_f64 v[60:61], v[50:51], v[182:183]
	s_waitcnt vmcnt(56)
	v_fmac_f64_e32 v[60:61], v[52:53], v[186:187]
	v_add_f64 v[62:63], v[58:59], v[60:61]
	ds_read_b128 v[58:61], v1 offset:1552
	s_waitcnt lgkmcnt(1)
	v_mul_f64 v[64:65], v[54:55], v[154:155]
	v_fmac_f64_e32 v[64:65], v[56:57], v[156:157]
	v_add_f64 v[70:71], v[62:63], v[64:65]
	ds_read_b128 v[62:65], v1 offset:1568
	ds_read_b128 v[66:69], v1 offset:1584
	s_waitcnt vmcnt(50) lgkmcnt(2)
	v_mul_f64 v[72:73], v[58:59], v[190:191]
	s_waitcnt vmcnt(48)
	v_fmac_f64_e32 v[72:73], v[60:61], v[192:193]
	v_add_f64 v[70:71], v[70:71], v[72:73]
	s_waitcnt lgkmcnt(1)
	v_mul_f64 v[72:73], v[62:63], v[160:161]
	v_fmac_f64_e32 v[72:73], v[64:65], v[164:165]
	v_add_f64 v[70:71], v[70:71], v[72:73]
	s_waitcnt vmcnt(42) lgkmcnt(0)
	v_mul_f64 v[72:73], v[66:67], v[194:195]
	s_waitcnt vmcnt(40)
	v_fmac_f64_e32 v[72:73], v[68:69], v[196:197]
	v_add_f64 v[220:221], v[70:71], v[72:73]
	ds_read_b128 v[70:73], v1 offset:1600
	ds_read_b128 v[74:77], v1 offset:1616
	;; [unrolled: 1-line block ×5, first 2 shown]
	s_waitcnt lgkmcnt(4)
	v_mul_f64 v[84:85], v[70:71], v[168:169]
	v_fmac_f64_e32 v[84:85], v[72:73], v[172:173]
	v_add_f64 v[82:83], v[220:221], v[84:85]
	s_waitcnt vmcnt(34) lgkmcnt(3)
	v_mul_f64 v[84:85], v[74:75], v[198:199]
	s_waitcnt vmcnt(32)
	v_fmac_f64_e32 v[84:85], v[76:77], v[200:201]
	v_add_f64 v[82:83], v[82:83], v[84:85]
	v_fma_f64 v[220:221], v[86:87], v[250:251], -v[88:89]
	ds_read_b128 v[86:89], v1 offset:1664
	s_waitcnt lgkmcnt(3)
	v_mul_f64 v[84:85], v[78:79], v[176:177]
	v_fmac_f64_e32 v[84:85], v[80:81], v[180:181]
	v_add_f64 v[96:97], v[82:83], v[84:85]
	ds_read_b128 v[82:85], v1 offset:1648
	v_fma_f64 v[250:251], v[102:103], v[246:247], -v[104:105]
	ds_read_b128 v[110:113], v1 offset:1760
	v_add_f64 v[220:221], v[222:223], v[220:221]
	v_add_f64 v[220:221], v[220:221], v[226:227]
	s_waitcnt vmcnt(26) lgkmcnt(1)
	v_mul_f64 v[94:95], v[82:83], v[202:203]
	s_waitcnt vmcnt(24)
	v_fmac_f64_e32 v[94:95], v[84:85], v[204:205]
	v_add_f64 v[94:95], v[96:97], v[94:95]
	v_mul_f64 v[96:97], v[86:87], v[184:185]
	v_fmac_f64_e32 v[96:97], v[88:89], v[188:189]
	v_add_f64 v[106:107], v[94:95], v[96:97]
	ds_read_b128 v[94:97], v1 offset:1696
	v_add_f64 v[254:255], v[220:221], v[228:229]
	v_add_f64 v[220:221], v[254:255], v[250:251]
	v_mul_f64 v[4:5], v[4:5], v[118:119]
	v_add_f64 v[220:221], v[220:221], v[252:253]
	ds_read_b128 v[102:105], v1 offset:1744
	v_fma_f64 v[2:3], v[2:3], v[124:125], -v[4:5]
	v_mul_f64 v[4:5], v[8:9], v[120:121]
	v_add_f64 v[2:3], v[220:221], v[2:3]
	v_fma_f64 v[4:5], v[6:7], v[122:123], -v[4:5]
	v_add_f64 v[2:3], v[2:3], v[4:5]
	v_mul_f64 v[4:5], v[12:13], v[130:131]
	v_fma_f64 v[4:5], v[10:11], v[132:133], -v[4:5]
	v_add_f64 v[2:3], v[2:3], v[4:5]
	v_mul_f64 v[4:5], v[16:17], v[126:127]
	s_waitcnt vmcnt(21)
	v_mul_f64 v[108:109], v[90:91], v[208:209]
	v_fma_f64 v[4:5], v[14:15], v[128:129], -v[4:5]
	s_waitcnt vmcnt(19)
	v_fmac_f64_e32 v[108:109], v[92:93], v[214:215]
	v_add_f64 v[106:107], v[106:107], v[108:109]
	s_waitcnt vmcnt(18) lgkmcnt(1)
	v_mul_f64 v[108:109], v[94:95], v[206:207]
	s_waitcnt vmcnt(16)
	v_fmac_f64_e32 v[108:109], v[96:97], v[212:213]
	v_add_f64 v[114:115], v[106:107], v[108:109]
	ds_read_b128 v[106:109], v1 offset:1728
	buffer_load_dword v243, off, s[0:3], 0 offset:908
	buffer_load_dword v242, off, s[0:3], 0 offset:904
	;; [unrolled: 1-line block ×4, first 2 shown]
	s_waitcnt vmcnt(18)
	v_mul_f64 v[116:117], v[98:99], v[210:211]
	s_waitcnt vmcnt(16)
	v_fmac_f64_e32 v[116:117], v[100:101], v[216:217]
	v_add_f64 v[114:115], v[114:115], v[116:117]
	s_waitcnt vmcnt(14) lgkmcnt(0)
	v_mul_f64 v[116:117], v[106:107], v[230:231]
	s_waitcnt vmcnt(12)
	v_fmac_f64_e32 v[116:117], v[108:109], v[232:233]
	v_add_f64 v[114:115], v[114:115], v[116:117]
	s_waitcnt vmcnt(9)
	v_mul_f64 v[116:117], v[102:103], v[236:237]
	s_waitcnt vmcnt(7)
	v_fmac_f64_e32 v[116:117], v[104:105], v[238:239]
	v_add_f64 v[114:115], v[114:115], v[116:117]
	s_waitcnt vmcnt(5)
	v_mul_f64 v[116:117], v[110:111], v[218:219]
	s_waitcnt vmcnt(4)
	v_fmac_f64_e32 v[116:117], v[112:113], v[234:235]
	v_add_f64 v[240:241], v[114:115], v[116:117]
	ds_read_b128 v[114:117], v1 offset:1776
	v_add_f64 v[2:3], v[2:3], v[4:5]
	v_mul_f64 v[4:5], v[20:21], v[142:143]
	v_fma_f64 v[4:5], v[18:19], v[144:145], -v[4:5]
	v_add_f64 v[2:3], v[2:3], v[4:5]
	v_mul_f64 v[4:5], v[24:25], v[134:135]
	v_fma_f64 v[4:5], v[22:23], v[136:137], -v[4:5]
	v_add_f64 v[2:3], v[2:3], v[4:5]
	v_mul_f64 v[4:5], v[28:29], v[158:159]
	v_fma_f64 v[4:5], v[26:27], v[162:163], -v[4:5]
	v_add_f64 v[2:3], v[2:3], v[4:5]
	v_mul_f64 v[4:5], v[32:33], v[138:139]
	v_fma_f64 v[4:5], v[30:31], v[140:141], -v[4:5]
	v_add_f64 v[2:3], v[2:3], v[4:5]
	v_mul_f64 v[4:5], v[36:37], v[166:167]
	v_fma_f64 v[4:5], v[34:35], v[170:171], -v[4:5]
	v_add_f64 v[2:3], v[2:3], v[4:5]
	v_mul_f64 v[4:5], v[40:41], v[146:147]
	v_fma_f64 v[4:5], v[38:39], v[148:149], -v[4:5]
	v_add_f64 v[2:3], v[2:3], v[4:5]
	v_mul_f64 v[4:5], v[44:45], v[174:175]
	v_fma_f64 v[4:5], v[42:43], v[178:179], -v[4:5]
	v_add_f64 v[2:3], v[2:3], v[4:5]
	v_mul_f64 v[4:5], v[48:49], v[150:151]
	v_fma_f64 v[4:5], v[46:47], v[152:153], -v[4:5]
	v_add_f64 v[2:3], v[2:3], v[4:5]
	v_mul_f64 v[4:5], v[52:53], v[182:183]
	v_fma_f64 v[4:5], v[50:51], v[186:187], -v[4:5]
	v_add_f64 v[2:3], v[2:3], v[4:5]
	v_mul_f64 v[4:5], v[56:57], v[154:155]
	v_fma_f64 v[4:5], v[54:55], v[156:157], -v[4:5]
	v_add_f64 v[2:3], v[2:3], v[4:5]
	v_mul_f64 v[4:5], v[60:61], v[190:191]
	v_fma_f64 v[4:5], v[58:59], v[192:193], -v[4:5]
	v_add_f64 v[2:3], v[2:3], v[4:5]
	v_mul_f64 v[4:5], v[64:65], v[160:161]
	v_fma_f64 v[4:5], v[62:63], v[164:165], -v[4:5]
	v_add_f64 v[2:3], v[2:3], v[4:5]
	v_mul_f64 v[4:5], v[68:69], v[194:195]
	v_fma_f64 v[4:5], v[66:67], v[196:197], -v[4:5]
	v_add_f64 v[2:3], v[2:3], v[4:5]
	v_mul_f64 v[4:5], v[72:73], v[168:169]
	v_fma_f64 v[4:5], v[70:71], v[172:173], -v[4:5]
	v_add_f64 v[2:3], v[2:3], v[4:5]
	v_mul_f64 v[4:5], v[76:77], v[198:199]
	v_fma_f64 v[4:5], v[74:75], v[200:201], -v[4:5]
	v_add_f64 v[2:3], v[2:3], v[4:5]
	v_mul_f64 v[4:5], v[80:81], v[176:177]
	v_fma_f64 v[4:5], v[78:79], v[180:181], -v[4:5]
	v_add_f64 v[2:3], v[2:3], v[4:5]
	v_mul_f64 v[4:5], v[84:85], v[202:203]
	v_fma_f64 v[4:5], v[82:83], v[204:205], -v[4:5]
	v_add_f64 v[2:3], v[2:3], v[4:5]
	v_mul_f64 v[4:5], v[88:89], v[184:185]
	v_fma_f64 v[4:5], v[86:87], v[188:189], -v[4:5]
	v_add_f64 v[2:3], v[2:3], v[4:5]
	v_mul_f64 v[4:5], v[92:93], v[208:209]
	v_fma_f64 v[4:5], v[90:91], v[214:215], -v[4:5]
	v_add_f64 v[2:3], v[2:3], v[4:5]
	v_mul_f64 v[4:5], v[96:97], v[206:207]
	v_fma_f64 v[4:5], v[94:95], v[212:213], -v[4:5]
	v_add_f64 v[2:3], v[2:3], v[4:5]
	v_mul_f64 v[4:5], v[100:101], v[210:211]
	v_fma_f64 v[4:5], v[98:99], v[216:217], -v[4:5]
	v_add_f64 v[2:3], v[2:3], v[4:5]
	s_waitcnt vmcnt(2) lgkmcnt(0)
	v_mul_f64 v[246:247], v[114:115], v[242:243]
	v_mul_f64 v[4:5], v[108:109], v[230:231]
	s_waitcnt vmcnt(0)
	v_fmac_f64_e32 v[246:247], v[116:117], v[244:245]
	v_add_f64 v[240:241], v[240:241], v[246:247]
	buffer_load_dword v248, off, s[0:3], 0 offset:320
	buffer_load_dword v249, off, s[0:3], 0 offset:324
	;; [unrolled: 1-line block ×4, first 2 shown]
	v_fma_f64 v[4:5], v[106:107], v[232:233], -v[4:5]
	v_add_f64 v[2:3], v[2:3], v[4:5]
	v_mul_f64 v[4:5], v[104:105], v[236:237]
	v_fma_f64 v[4:5], v[102:103], v[238:239], -v[4:5]
	v_add_f64 v[2:3], v[2:3], v[4:5]
	v_mul_f64 v[4:5], v[112:113], v[218:219]
	v_fma_f64 v[4:5], v[110:111], v[234:235], -v[4:5]
	v_add_f64 v[2:3], v[2:3], v[4:5]
	v_mul_f64 v[4:5], v[116:117], v[242:243]
	v_fma_f64 v[4:5], v[114:115], v[244:245], -v[4:5]
	v_add_f64 v[2:3], v[2:3], v[4:5]
	s_waitcnt vmcnt(2)
	v_add_f64 v[2:3], v[248:249], -v[2:3]
	s_waitcnt vmcnt(0)
	v_add_f64 v[4:5], v[246:247], -v[240:241]
	buffer_store_dword v3, off, s[0:3], 0 offset:324
	buffer_store_dword v2, off, s[0:3], 0 offset:320
	;; [unrolled: 1-line block ×4, first 2 shown]
	s_and_saveexec_b64 s[4:5], vcc
	s_cbranch_execz .LBB55_313
; %bb.312:
	v_accvgpr_read_b32 v1, a149
	buffer_load_dword v2, v1, s[0:3], 0 offen
	buffer_load_dword v3, v1, s[0:3], 0 offen offset:4
	buffer_load_dword v4, v1, s[0:3], 0 offen offset:8
	;; [unrolled: 1-line block ×3, first 2 shown]
	v_mov_b32_e32 v1, 0
	v_accvgpr_read_b32 v6, a167
	buffer_store_dword v1, off, s[0:3], 0 offset:304
	buffer_store_dword v1, off, s[0:3], 0 offset:308
	;; [unrolled: 1-line block ×4, first 2 shown]
	s_waitcnt vmcnt(4)
	ds_write_b128 v6, v[2:5]
.LBB55_313:
	s_or_b64 exec, exec, s[4:5]
	s_waitcnt lgkmcnt(0)
	; wave barrier
	s_waitcnt lgkmcnt(0)
	buffer_load_dword v66, off, s[0:3], 0 offset:320
	buffer_load_dword v67, off, s[0:3], 0 offset:324
	;; [unrolled: 1-line block ×55, first 2 shown]
	v_mov_b32_e32 v1, 0
	ds_read_b128 v[74:77], v1 offset:1200
	ds_read_b128 v[86:89], v1 offset:1216
	;; [unrolled: 1-line block ×9, first 2 shown]
	buffer_load_dword v136, off, s[0:3], 0 offset:544
	buffer_load_dword v155, off, s[0:3], 0 offset:540
	;; [unrolled: 1-line block ×61, first 2 shown]
	v_cmp_lt_u32_e32 vcc, 17, v0
	s_waitcnt vmcnt(62) lgkmcnt(8)
	v_mul_f64 v[6:7], v[74:75], v[68:69]
	v_fmac_f64_e32 v[6:7], v[76:77], v[66:67]
	v_add_f64 v[6:7], v[6:7], 0
	v_mul_f64 v[68:69], v[76:77], v[68:69]
	s_waitcnt lgkmcnt(7)
	v_mul_f64 v[8:9], v[86:87], v[72:73]
	v_fmac_f64_e32 v[8:9], v[88:89], v[70:71]
	s_waitcnt lgkmcnt(6)
	v_mul_f64 v[10:11], v[98:99], v[78:79]
	v_add_f64 v[6:7], v[6:7], v[8:9]
	s_waitcnt lgkmcnt(4)
	v_mul_f64 v[14:15], v[114:115], v[90:91]
	v_fma_f64 v[222:223], v[74:75], v[66:67], -v[68:69]
	v_fmac_f64_e32 v[14:15], v[116:117], v[92:93]
	v_mul_f64 v[72:73], v[88:89], v[72:73]
	v_mul_f64 v[12:13], v[110:111], v[82:83]
	v_mul_f64 v[78:79], v[100:101], v[78:79]
	s_waitcnt lgkmcnt(2)
	v_mul_f64 v[18:19], v[244:245], v[102:103]
	v_mul_f64 v[82:83], v[112:113], v[82:83]
	v_mul_f64 v[90:91], v[116:117], v[90:91]
	v_mul_f64 v[16:17], v[240:241], v[94:95]
	v_fma_f64 v[228:229], v[114:115], v[92:93], -v[90:91]
	s_waitcnt lgkmcnt(1)
	v_mul_f64 v[20:21], v[248:249], v[106:107]
	v_fmac_f64_e32 v[20:21], v[250:251], v[108:109]
	v_fmac_f64_e32 v[10:11], v[100:101], v[80:81]
	v_add_f64 v[6:7], v[6:7], v[10:11]
	v_fmac_f64_e32 v[12:13], v[112:113], v[84:85]
	v_add_f64 v[6:7], v[6:7], v[12:13]
	;; [unrolled: 2-line block ×4, first 2 shown]
	v_add_f64 v[6:7], v[6:7], v[18:19]
	v_add_f64 v[10:11], v[6:7], v[20:21]
	ds_read_b128 v[6:9], v1 offset:1344
	s_waitcnt lgkmcnt(1)
	v_mul_f64 v[12:13], v[2:3], v[118:119]
	v_fmac_f64_e32 v[12:13], v[4:5], v[120:121]
	v_add_f64 v[14:15], v[10:11], v[12:13]
	ds_read_b128 v[10:13], v1 offset:1360
	s_waitcnt lgkmcnt(1)
	v_mul_f64 v[16:17], v[6:7], v[126:127]
	v_fmac_f64_e32 v[16:17], v[8:9], v[128:129]
	;; [unrolled: 5-line block ×5, first 2 shown]
	v_add_f64 v[30:31], v[26:27], v[28:29]
	ds_read_b128 v[26:29], v1 offset:1424
	s_waitcnt vmcnt(58) lgkmcnt(1)
	v_mul_f64 v[32:33], v[22:23], v[154:155]
	s_waitcnt vmcnt(56)
	v_fmac_f64_e32 v[32:33], v[24:25], v[158:159]
	v_add_f64 v[34:35], v[30:31], v[32:33]
	ds_read_b128 v[30:33], v1 offset:1440
	s_waitcnt lgkmcnt(1)
	v_mul_f64 v[36:37], v[26:27], v[134:135]
	v_fmac_f64_e32 v[36:37], v[28:29], v[136:137]
	v_add_f64 v[38:39], v[34:35], v[36:37]
	ds_read_b128 v[34:37], v1 offset:1456
	s_waitcnt vmcnt(50) lgkmcnt(1)
	v_mul_f64 v[40:41], v[30:31], v[162:163]
	s_waitcnt vmcnt(48)
	v_fmac_f64_e32 v[40:41], v[32:33], v[166:167]
	v_add_f64 v[42:43], v[38:39], v[40:41]
	ds_read_b128 v[38:41], v1 offset:1472
	s_waitcnt lgkmcnt(1)
	v_mul_f64 v[44:45], v[34:35], v[142:143]
	v_fmac_f64_e32 v[44:45], v[36:37], v[144:145]
	v_add_f64 v[46:47], v[42:43], v[44:45]
	ds_read_b128 v[42:45], v1 offset:1488
	s_waitcnt vmcnt(42) lgkmcnt(1)
	v_mul_f64 v[48:49], v[38:39], v[170:171]
	s_waitcnt vmcnt(40)
	v_fmac_f64_e32 v[48:49], v[40:41], v[174:175]
	v_add_f64 v[50:51], v[46:47], v[48:49]
	ds_read_b128 v[46:49], v1 offset:1504
	buffer_load_dword v203, off, s[0:3], 0 offset:796
	buffer_load_dword v202, off, s[0:3], 0 offset:792
	;; [unrolled: 1-line block ×4, first 2 shown]
	s_waitcnt lgkmcnt(1)
	v_mul_f64 v[52:53], v[42:43], v[146:147]
	v_fmac_f64_e32 v[52:53], v[44:45], v[148:149]
	v_add_f64 v[54:55], v[50:51], v[52:53]
	ds_read_b128 v[50:53], v1 offset:1520
	buffer_load_dword v207, off, s[0:3], 0 offset:812
	buffer_load_dword v206, off, s[0:3], 0 offset:808
	;; [unrolled: 1-line block ×8, first 2 shown]
	s_waitcnt vmcnt(46) lgkmcnt(1)
	v_mul_f64 v[56:57], v[46:47], v[178:179]
	s_waitcnt vmcnt(44)
	v_fmac_f64_e32 v[56:57], v[48:49], v[182:183]
	v_add_f64 v[58:59], v[54:55], v[56:57]
	ds_read_b128 v[54:57], v1 offset:1536
	buffer_load_dword v217, off, s[0:3], 0 offset:844
	buffer_load_dword v216, off, s[0:3], 0 offset:840
	;; [unrolled: 1-line block ×12, first 2 shown]
	s_waitcnt lgkmcnt(1)
	v_mul_f64 v[60:61], v[50:51], v[150:151]
	v_fmac_f64_e32 v[60:61], v[52:53], v[152:153]
	v_add_f64 v[62:63], v[58:59], v[60:61]
	ds_read_b128 v[58:61], v1 offset:1552
	s_waitcnt vmcnt(50) lgkmcnt(1)
	v_mul_f64 v[64:65], v[54:55], v[186:187]
	s_waitcnt vmcnt(48)
	v_fmac_f64_e32 v[64:65], v[56:57], v[188:189]
	v_add_f64 v[62:63], v[62:63], v[64:65]
	buffer_load_dword v237, off, s[0:3], 0 offset:892
	buffer_load_dword v236, off, s[0:3], 0 offset:888
	;; [unrolled: 1-line block ×4, first 2 shown]
	s_waitcnt lgkmcnt(0)
	v_mul_f64 v[64:65], v[58:59], v[156:157]
	v_fmac_f64_e32 v[64:65], v[60:61], v[160:161]
	v_add_f64 v[220:221], v[62:63], v[64:65]
	ds_read_b128 v[62:65], v1 offset:1568
	ds_read_b128 v[66:69], v1 offset:1584
	v_fma_f64 v[224:225], v[98:99], v[80:81], -v[78:79]
	ds_read_b128 v[78:81], v1 offset:1632
	v_fma_f64 v[226:227], v[110:111], v[84:85], -v[82:83]
	ds_read_b128 v[82:85], v1 offset:1648
	s_waitcnt vmcnt(46) lgkmcnt(3)
	v_mul_f64 v[74:75], v[62:63], v[190:191]
	s_waitcnt vmcnt(44)
	v_fmac_f64_e32 v[74:75], v[64:65], v[192:193]
	v_add_f64 v[74:75], v[220:221], v[74:75]
	v_fma_f64 v[220:221], v[86:87], v[70:71], -v[72:73]
	ds_read_b128 v[70:73], v1 offset:1600
	s_waitcnt lgkmcnt(3)
	v_mul_f64 v[76:77], v[66:67], v[164:165]
	v_fmac_f64_e32 v[76:77], v[68:69], v[168:169]
	v_add_f64 v[86:87], v[74:75], v[76:77]
	ds_read_b128 v[74:77], v1 offset:1616
	s_waitcnt vmcnt(38) lgkmcnt(1)
	v_mul_f64 v[88:89], v[70:71], v[194:195]
	s_waitcnt vmcnt(36)
	v_fmac_f64_e32 v[88:89], v[72:73], v[196:197]
	v_add_f64 v[86:87], v[86:87], v[88:89]
	ds_read_b128 v[90:93], v1 offset:1680
	s_waitcnt lgkmcnt(1)
	v_mul_f64 v[88:89], v[74:75], v[172:173]
	v_fmac_f64_e32 v[88:89], v[76:77], v[176:177]
	v_add_f64 v[86:87], v[86:87], v[88:89]
	s_waitcnt vmcnt(30)
	v_mul_f64 v[88:89], v[78:79], v[198:199]
	s_waitcnt vmcnt(28)
	v_fmac_f64_e32 v[88:89], v[80:81], v[200:201]
	v_add_f64 v[86:87], v[86:87], v[88:89]
	v_mul_f64 v[88:89], v[82:83], v[180:181]
	v_fmac_f64_e32 v[88:89], v[84:85], v[184:185]
	v_add_f64 v[98:99], v[86:87], v[88:89]
	ds_read_b128 v[86:89], v1 offset:1664
	v_mul_f64 v[94:95], v[242:243], v[94:95]
	v_fma_f64 v[252:253], v[240:241], v[96:97], -v[94:95]
	ds_read_b128 v[94:97], v1 offset:1696
	v_mul_f64 v[102:103], v[246:247], v[102:103]
	v_fma_f64 v[246:247], v[244:245], v[104:105], -v[102:103]
	;; [unrolled: 3-line block ×3, first 2 shown]
	v_add_f64 v[222:223], v[222:223], 0
	v_add_f64 v[220:221], v[222:223], v[220:221]
	;; [unrolled: 1-line block ×7, first 2 shown]
	v_mul_f64 v[4:5], v[4:5], v[118:119]
	v_add_f64 v[220:221], v[252:253], v[250:251]
	v_fma_f64 v[2:3], v[2:3], v[120:121], -v[4:5]
	v_mul_f64 v[4:5], v[8:9], v[126:127]
	v_add_f64 v[2:3], v[220:221], v[2:3]
	v_fma_f64 v[4:5], v[6:7], v[128:129], -v[4:5]
	v_add_f64 v[2:3], v[2:3], v[4:5]
	ds_read_b128 v[106:109], v1 offset:1744
	v_mul_f64 v[4:5], v[12:13], v[122:123]
	v_fma_f64 v[4:5], v[10:11], v[124:125], -v[4:5]
	v_add_f64 v[2:3], v[2:3], v[4:5]
	s_waitcnt vmcnt(26) lgkmcnt(3)
	v_mul_f64 v[100:101], v[86:87], v[202:203]
	v_mul_f64 v[4:5], v[16:17], v[138:139]
	s_waitcnt vmcnt(24)
	v_fmac_f64_e32 v[100:101], v[88:89], v[204:205]
	v_add_f64 v[98:99], v[98:99], v[100:101]
	s_waitcnt vmcnt(22)
	v_mul_f64 v[100:101], v[90:91], v[206:207]
	s_waitcnt vmcnt(20)
	v_fmac_f64_e32 v[100:101], v[92:93], v[210:211]
	v_add_f64 v[98:99], v[98:99], v[100:101]
	s_waitcnt vmcnt(18) lgkmcnt(2)
	v_mul_f64 v[100:101], v[94:95], v[208:209]
	s_waitcnt vmcnt(16)
	v_fmac_f64_e32 v[100:101], v[96:97], v[212:213]
	v_add_f64 v[110:111], v[98:99], v[100:101]
	ds_read_b128 v[98:101], v1 offset:1712
	v_fma_f64 v[4:5], v[14:15], v[140:141], -v[4:5]
	v_add_f64 v[2:3], v[2:3], v[4:5]
	v_mul_f64 v[4:5], v[20:21], v[130:131]
	v_fma_f64 v[4:5], v[18:19], v[132:133], -v[4:5]
	s_waitcnt vmcnt(14) lgkmcnt(0)
	v_mul_f64 v[112:113], v[98:99], v[216:217]
	s_waitcnt vmcnt(12)
	v_fmac_f64_e32 v[112:113], v[100:101], v[218:219]
	v_add_f64 v[110:111], v[110:111], v[112:113]
	s_waitcnt vmcnt(9)
	v_mul_f64 v[112:113], v[102:103], v[232:233]
	s_waitcnt vmcnt(7)
	v_fmac_f64_e32 v[112:113], v[104:105], v[234:235]
	v_add_f64 v[110:111], v[110:111], v[112:113]
	s_waitcnt vmcnt(5)
	v_mul_f64 v[112:113], v[106:107], v[214:215]
	s_waitcnt vmcnt(4)
	v_fmac_f64_e32 v[112:113], v[108:109], v[230:231]
	v_add_f64 v[114:115], v[110:111], v[112:113]
	ds_read_b128 v[110:113], v1 offset:1760
	buffer_load_dword v242, off, s[0:3], 0 offset:904
	buffer_load_dword v243, off, s[0:3], 0 offset:908
	;; [unrolled: 1-line block ×4, first 2 shown]
	v_add_f64 v[2:3], v[2:3], v[4:5]
	v_mul_f64 v[4:5], v[24:25], v[154:155]
	v_fma_f64 v[4:5], v[22:23], v[158:159], -v[4:5]
	s_waitcnt vmcnt(6) lgkmcnt(0)
	v_mul_f64 v[116:117], v[110:111], v[236:237]
	s_waitcnt vmcnt(4)
	v_fmac_f64_e32 v[116:117], v[112:113], v[238:239]
	v_add_f64 v[240:241], v[114:115], v[116:117]
	ds_read_b128 v[114:117], v1 offset:1776
	v_add_f64 v[2:3], v[2:3], v[4:5]
	v_mul_f64 v[4:5], v[28:29], v[134:135]
	v_fma_f64 v[4:5], v[26:27], v[136:137], -v[4:5]
	v_add_f64 v[2:3], v[2:3], v[4:5]
	v_mul_f64 v[4:5], v[32:33], v[162:163]
	v_fma_f64 v[4:5], v[30:31], v[166:167], -v[4:5]
	;; [unrolled: 3-line block ×22, first 2 shown]
	v_add_f64 v[2:3], v[2:3], v[4:5]
	s_waitcnt vmcnt(2) lgkmcnt(0)
	v_mul_f64 v[248:249], v[114:115], v[242:243]
	v_mul_f64 v[4:5], v[116:117], v[242:243]
	s_waitcnt vmcnt(0)
	v_fmac_f64_e32 v[248:249], v[116:117], v[244:245]
	v_add_f64 v[240:241], v[240:241], v[248:249]
	buffer_load_dword v248, off, s[0:3], 0 offset:304
	buffer_load_dword v249, off, s[0:3], 0 offset:308
	;; [unrolled: 1-line block ×4, first 2 shown]
	v_fma_f64 v[4:5], v[114:115], v[244:245], -v[4:5]
	v_add_f64 v[2:3], v[2:3], v[4:5]
	s_waitcnt vmcnt(2)
	v_add_f64 v[2:3], v[248:249], -v[2:3]
	s_waitcnt vmcnt(0)
	v_add_f64 v[4:5], v[246:247], -v[240:241]
	buffer_store_dword v3, off, s[0:3], 0 offset:308
	buffer_store_dword v2, off, s[0:3], 0 offset:304
	;; [unrolled: 1-line block ×4, first 2 shown]
	s_and_saveexec_b64 s[4:5], vcc
	s_cbranch_execz .LBB55_315
; %bb.314:
	v_accvgpr_read_b32 v5, a150
	buffer_load_dword v2, v5, s[0:3], 0 offen
	buffer_load_dword v3, v5, s[0:3], 0 offen offset:4
	buffer_load_dword v4, v5, s[0:3], 0 offen offset:8
	s_nop 0
	buffer_load_dword v5, v5, s[0:3], 0 offen offset:12
	v_accvgpr_read_b32 v6, a167
	buffer_store_dword v1, off, s[0:3], 0 offset:288
	buffer_store_dword v1, off, s[0:3], 0 offset:292
	;; [unrolled: 1-line block ×4, first 2 shown]
	s_waitcnt vmcnt(4)
	ds_write_b128 v6, v[2:5]
.LBB55_315:
	s_or_b64 exec, exec, s[4:5]
	s_waitcnt lgkmcnt(0)
	; wave barrier
	s_waitcnt lgkmcnt(0)
	buffer_load_dword v66, off, s[0:3], 0 offset:304
	buffer_load_dword v67, off, s[0:3], 0 offset:308
	;; [unrolled: 1-line block ×42, first 2 shown]
	ds_read_b128 v[78:81], v1 offset:1184
	ds_read_b128 v[90:93], v1 offset:1200
	;; [unrolled: 1-line block ×10, first 2 shown]
	buffer_load_dword v129, off, s[0:3], 0 offset:452
	buffer_load_dword v128, off, s[0:3], 0 offset:448
	ds_read_b128 v[6:9], v1 offset:1344
	buffer_load_dword v125, off, s[0:3], 0 offset:508
	buffer_load_dword v124, off, s[0:3], 0 offset:504
	;; [unrolled: 1-line block ×80, first 2 shown]
	v_cmp_lt_u32_e32 vcc, 16, v0
	s_waitcnt vmcnt(62) lgkmcnt(10)
	v_mul_f64 v[10:11], v[78:79], v[68:69]
	v_fmac_f64_e32 v[10:11], v[80:81], v[66:67]
	v_add_f64 v[10:11], v[10:11], 0
	v_mul_f64 v[68:69], v[80:81], v[68:69]
	s_waitcnt lgkmcnt(9)
	v_mul_f64 v[12:13], v[90:91], v[64:65]
	v_fmac_f64_e32 v[12:13], v[92:93], v[62:63]
	s_waitcnt lgkmcnt(8)
	v_mul_f64 v[14:15], v[102:103], v[70:71]
	v_add_f64 v[10:11], v[10:11], v[12:13]
	s_waitcnt lgkmcnt(6)
	v_mul_f64 v[18:19], v[114:115], v[82:83]
	v_mul_f64 v[64:65], v[92:93], v[64:65]
	v_fmac_f64_e32 v[18:19], v[116:117], v[84:85]
	v_fma_f64 v[224:225], v[90:91], v[62:63], -v[64:65]
	v_mul_f64 v[16:17], v[110:111], v[74:75]
	v_fma_f64 v[222:223], v[78:79], v[66:67], -v[68:69]
	s_waitcnt lgkmcnt(4)
	v_mul_f64 v[22:23], v[244:245], v[94:95]
	v_mul_f64 v[70:71], v[104:105], v[70:71]
	v_fmac_f64_e32 v[22:23], v[246:247], v[96:97]
	v_mul_f64 v[74:75], v[112:113], v[74:75]
	v_mul_f64 v[20:21], v[240:241], v[86:87]
	;; [unrolled: 1-line block ×3, first 2 shown]
	s_waitcnt lgkmcnt(2)
	v_mul_f64 v[26:27], v[252:253], v[106:107]
	v_fma_f64 v[228:229], v[114:115], v[84:85], -v[82:83]
	v_mul_f64 v[86:87], v[242:243], v[86:87]
	v_mul_f64 v[24:25], v[248:249], v[98:99]
	v_mul_f64 v[94:95], v[246:247], v[94:95]
	s_waitcnt lgkmcnt(1)
	v_mul_f64 v[28:29], v[118:119], v[4:5]
	v_fma_f64 v[246:247], v[244:245], v[96:97], -v[94:95]
	v_fmac_f64_e32 v[14:15], v[104:105], v[72:73]
	v_add_f64 v[10:11], v[10:11], v[14:15]
	v_fmac_f64_e32 v[16:17], v[112:113], v[76:77]
	v_add_f64 v[10:11], v[10:11], v[16:17]
	;; [unrolled: 2-line block ×3, first 2 shown]
	v_add_f64 v[10:11], v[10:11], v[20:21]
	v_fmac_f64_e32 v[24:25], v[250:251], v[100:101]
	v_add_f64 v[10:11], v[10:11], v[22:23]
	v_fmac_f64_e32 v[26:27], v[254:255], v[108:109]
	v_add_f64 v[10:11], v[10:11], v[24:25]
	v_add_f64 v[10:11], v[10:11], v[26:27]
	s_waitcnt lgkmcnt(0)
	v_mul_f64 v[16:17], v[6:7], v[2:3]
	v_fmac_f64_e32 v[28:29], v[120:121], v[128:129]
	v_add_f64 v[14:15], v[10:11], v[28:29]
	ds_read_b128 v[10:13], v1 offset:1360
	v_fmac_f64_e32 v[16:17], v[8:9], v[122:123]
	v_add_f64 v[18:19], v[14:15], v[16:17]
	ds_read_b128 v[14:17], v1 offset:1376
	v_fma_f64 v[226:227], v[110:111], v[76:77], -v[74:75]
	s_waitcnt lgkmcnt(1)
	v_mul_f64 v[20:21], v[10:11], v[130:131]
	v_fmac_f64_e32 v[20:21], v[12:13], v[146:147]
	v_add_f64 v[22:23], v[18:19], v[20:21]
	ds_read_b128 v[18:21], v1 offset:1392
	s_waitcnt lgkmcnt(1)
	v_mul_f64 v[24:25], v[14:15], v[124:125]
	v_fmac_f64_e32 v[24:25], v[16:17], v[126:127]
	v_add_f64 v[26:27], v[22:23], v[24:25]
	ds_read_b128 v[22:25], v1 offset:1408
	;; [unrolled: 5-line block ×4, first 2 shown]
	s_waitcnt vmcnt(58) lgkmcnt(1)
	v_mul_f64 v[36:37], v[26:27], v[158:159]
	s_waitcnt vmcnt(56)
	v_fmac_f64_e32 v[36:37], v[28:29], v[162:163]
	v_add_f64 v[38:39], v[34:35], v[36:37]
	ds_read_b128 v[34:37], v1 offset:1456
	s_waitcnt lgkmcnt(1)
	v_mul_f64 v[40:41], v[30:31], v[136:137]
	v_fmac_f64_e32 v[40:41], v[32:33], v[138:139]
	v_add_f64 v[42:43], v[38:39], v[40:41]
	ds_read_b128 v[38:41], v1 offset:1472
	s_waitcnt vmcnt(50) lgkmcnt(1)
	v_mul_f64 v[44:45], v[34:35], v[166:167]
	s_waitcnt vmcnt(48)
	v_fmac_f64_e32 v[44:45], v[36:37], v[170:171]
	v_add_f64 v[46:47], v[42:43], v[44:45]
	ds_read_b128 v[42:45], v1 offset:1488
	s_waitcnt lgkmcnt(1)
	v_mul_f64 v[48:49], v[38:39], v[140:141]
	v_fmac_f64_e32 v[48:49], v[40:41], v[142:143]
	v_add_f64 v[50:51], v[46:47], v[48:49]
	ds_read_b128 v[46:49], v1 offset:1504
	s_waitcnt vmcnt(42) lgkmcnt(1)
	v_mul_f64 v[52:53], v[42:43], v[174:175]
	s_waitcnt vmcnt(40)
	v_fmac_f64_e32 v[52:53], v[44:45], v[178:179]
	v_add_f64 v[54:55], v[50:51], v[52:53]
	ds_read_b128 v[50:53], v1 offset:1520
	s_waitcnt lgkmcnt(1)
	v_mul_f64 v[56:57], v[46:47], v[144:145]
	buffer_load_dword v207, off, s[0:3], 0 offset:812
	buffer_load_dword v206, off, s[0:3], 0 offset:808
	;; [unrolled: 1-line block ×4, first 2 shown]
	v_fmac_f64_e32 v[56:57], v[48:49], v[148:149]
	v_add_f64 v[58:59], v[54:55], v[56:57]
	ds_read_b128 v[54:57], v1 offset:1536
	buffer_load_dword v212, off, s[0:3], 0 offset:824
	buffer_load_dword v214, off, s[0:3], 0 offset:816
	;; [unrolled: 1-line block ×16, first 2 shown]
	s_waitcnt vmcnt(54) lgkmcnt(1)
	v_mul_f64 v[60:61], v[50:51], v[182:183]
	s_waitcnt vmcnt(52)
	v_fmac_f64_e32 v[60:61], v[52:53], v[186:187]
	v_add_f64 v[220:221], v[58:59], v[60:61]
	ds_read_b128 v[58:61], v1 offset:1552
	buffer_load_dword v236, off, s[0:3], 0 offset:888
	buffer_load_dword v238, off, s[0:3], 0 offset:880
	;; [unrolled: 1-line block ×4, first 2 shown]
	ds_read_b128 v[62:65], v1 offset:1568
	s_waitcnt lgkmcnt(2)
	v_mul_f64 v[66:67], v[54:55], v[152:153]
	v_fmac_f64_e32 v[66:67], v[56:57], v[156:157]
	s_waitcnt vmcnt(50) lgkmcnt(1)
	v_mul_f64 v[68:69], v[58:59], v[190:191]
	v_add_f64 v[66:67], v[220:221], v[66:67]
	s_waitcnt vmcnt(48)
	v_fmac_f64_e32 v[68:69], v[60:61], v[192:193]
	v_add_f64 v[66:67], v[66:67], v[68:69]
	v_fma_f64 v[220:221], v[102:103], v[72:73], -v[70:71]
	ds_read_b128 v[70:73], v1 offset:1600
	s_waitcnt lgkmcnt(1)
	v_mul_f64 v[68:69], v[62:63], v[160:161]
	v_fmac_f64_e32 v[68:69], v[64:65], v[164:165]
	v_add_f64 v[78:79], v[66:67], v[68:69]
	ds_read_b128 v[66:69], v1 offset:1584
	ds_read_b128 v[74:77], v1 offset:1616
	ds_read_b128 v[82:85], v1 offset:1648
	v_accvgpr_write_b32 a169, v3
	v_accvgpr_write_b32 a168, v2
	s_waitcnt vmcnt(42) lgkmcnt(2)
	v_mul_f64 v[80:81], v[66:67], v[194:195]
	s_waitcnt vmcnt(40)
	v_fmac_f64_e32 v[80:81], v[68:69], v[196:197]
	v_add_f64 v[78:79], v[78:79], v[80:81]
	v_mul_f64 v[80:81], v[70:71], v[168:169]
	v_fmac_f64_e32 v[80:81], v[72:73], v[172:173]
	v_add_f64 v[90:91], v[78:79], v[80:81]
	ds_read_b128 v[78:81], v1 offset:1632
	s_waitcnt vmcnt(34) lgkmcnt(2)
	v_mul_f64 v[92:93], v[74:75], v[198:199]
	s_waitcnt vmcnt(32)
	v_fmac_f64_e32 v[92:93], v[76:77], v[200:201]
	v_fma_f64 v[2:3], v[240:241], v[88:89], -v[86:87]
	ds_read_b128 v[86:89], v1 offset:1664
	ds_read_b128 v[94:97], v1 offset:1696
	v_add_f64 v[90:91], v[90:91], v[92:93]
	s_waitcnt lgkmcnt(2)
	v_mul_f64 v[92:93], v[78:79], v[176:177]
	v_fmac_f64_e32 v[92:93], v[80:81], v[180:181]
	v_add_f64 v[90:91], v[90:91], v[92:93]
	s_waitcnt vmcnt(26)
	v_mul_f64 v[92:93], v[82:83], v[202:203]
	s_waitcnt vmcnt(24)
	v_fmac_f64_e32 v[92:93], v[84:85], v[204:205]
	v_add_f64 v[90:91], v[90:91], v[92:93]
	s_waitcnt lgkmcnt(1)
	v_mul_f64 v[92:93], v[86:87], v[184:185]
	v_fmac_f64_e32 v[92:93], v[88:89], v[188:189]
	v_add_f64 v[102:103], v[90:91], v[92:93]
	ds_read_b128 v[90:93], v1 offset:1680
	v_mul_f64 v[98:99], v[250:251], v[98:99]
	v_fma_f64 v[250:251], v[248:249], v[100:101], -v[98:99]
	ds_read_b128 v[98:101], v1 offset:1712
	v_mul_f64 v[106:107], v[254:255], v[106:107]
	v_fma_f64 v[252:253], v[252:253], v[108:109], -v[106:107]
	v_add_f64 v[222:223], v[222:223], 0
	v_add_f64 v[222:223], v[222:223], v[224:225]
	v_add_f64 v[220:221], v[222:223], v[220:221]
	v_add_f64 v[220:221], v[220:221], v[226:227]
	v_add_f64 v[220:221], v[220:221], v[228:229]
	v_add_f64 v[2:3], v[220:221], v[2:3]
	v_add_f64 v[254:255], v[2:3], v[246:247]
	v_add_f64 v[2:3], v[254:255], v[250:251]
	v_mul_f64 v[4:5], v[120:121], v[4:5]
	v_add_f64 v[2:3], v[2:3], v[252:253]
	v_fma_f64 v[4:5], v[118:119], v[128:129], -v[4:5]
	v_add_f64 v[2:3], v[2:3], v[4:5]
	v_accvgpr_read_b32 v4, a168
	v_accvgpr_read_b32 v5, a169
	v_mul_f64 v[4:5], v[8:9], v[4:5]
	ds_read_b128 v[106:109], v1 offset:1744
	v_fma_f64 v[4:5], v[6:7], v[122:123], -v[4:5]
	v_add_f64 v[2:3], v[2:3], v[4:5]
	v_mul_f64 v[4:5], v[12:13], v[130:131]
	v_fma_f64 v[4:5], v[10:11], v[146:147], -v[4:5]
	s_waitcnt vmcnt(13) lgkmcnt(1)
	v_mul_f64 v[112:113], v[98:99], v[216:217]
	v_add_f64 v[2:3], v[2:3], v[4:5]
	v_mul_f64 v[104:105], v[90:91], v[206:207]
	s_waitcnt vmcnt(11)
	v_fmac_f64_e32 v[112:113], v[100:101], v[232:233]
	v_fmac_f64_e32 v[104:105], v[92:93], v[208:209]
	v_add_f64 v[102:103], v[102:103], v[104:105]
	v_mul_f64 v[4:5], v[16:17], v[124:125]
	v_mul_f64 v[104:105], v[94:95], v[212:213]
	v_fmac_f64_e32 v[104:105], v[96:97], v[214:215]
	v_add_f64 v[110:111], v[102:103], v[104:105]
	ds_read_b128 v[102:105], v1 offset:1728
	v_add_f64 v[110:111], v[110:111], v[112:113]
	v_fma_f64 v[4:5], v[14:15], v[126:127], -v[4:5]
	v_add_f64 v[2:3], v[2:3], v[4:5]
	v_mul_f64 v[4:5], v[20:21], v[150:151]
	s_waitcnt vmcnt(10) lgkmcnt(0)
	v_mul_f64 v[112:113], v[102:103], v[210:211]
	s_waitcnt vmcnt(8)
	v_fmac_f64_e32 v[112:113], v[104:105], v[230:231]
	v_add_f64 v[110:111], v[110:111], v[112:113]
	s_waitcnt vmcnt(6)
	v_mul_f64 v[112:113], v[106:107], v[218:219]
	s_waitcnt vmcnt(4)
	v_fmac_f64_e32 v[112:113], v[108:109], v[234:235]
	v_add_f64 v[114:115], v[110:111], v[112:113]
	ds_read_b128 v[110:113], v1 offset:1760
	buffer_load_dword v243, off, s[0:3], 0 offset:908
	buffer_load_dword v242, off, s[0:3], 0 offset:904
	;; [unrolled: 1-line block ×4, first 2 shown]
	v_fma_f64 v[4:5], v[18:19], v[154:155], -v[4:5]
	v_add_f64 v[2:3], v[2:3], v[4:5]
	v_mul_f64 v[4:5], v[24:25], v[132:133]
	s_waitcnt vmcnt(5) lgkmcnt(0)
	v_mul_f64 v[116:117], v[110:111], v[236:237]
	s_waitcnt vmcnt(4)
	v_fmac_f64_e32 v[116:117], v[112:113], v[238:239]
	v_add_f64 v[240:241], v[114:115], v[116:117]
	ds_read_b128 v[114:117], v1 offset:1776
	v_fma_f64 v[4:5], v[22:23], v[134:135], -v[4:5]
	v_add_f64 v[2:3], v[2:3], v[4:5]
	v_mul_f64 v[4:5], v[28:29], v[158:159]
	v_fma_f64 v[4:5], v[26:27], v[162:163], -v[4:5]
	v_add_f64 v[2:3], v[2:3], v[4:5]
	v_mul_f64 v[4:5], v[32:33], v[136:137]
	;; [unrolled: 3-line block ×22, first 2 shown]
	v_fma_f64 v[4:5], v[110:111], v[238:239], -v[4:5]
	v_add_f64 v[2:3], v[2:3], v[4:5]
	s_waitcnt vmcnt(2) lgkmcnt(0)
	v_mul_f64 v[248:249], v[114:115], v[242:243]
	v_mul_f64 v[4:5], v[116:117], v[242:243]
	s_waitcnt vmcnt(0)
	v_fmac_f64_e32 v[248:249], v[116:117], v[244:245]
	v_add_f64 v[240:241], v[240:241], v[248:249]
	buffer_load_dword v248, off, s[0:3], 0 offset:288
	buffer_load_dword v249, off, s[0:3], 0 offset:292
	;; [unrolled: 1-line block ×4, first 2 shown]
	v_fma_f64 v[4:5], v[114:115], v[244:245], -v[4:5]
	v_add_f64 v[2:3], v[2:3], v[4:5]
	s_waitcnt vmcnt(2)
	v_add_f64 v[2:3], v[248:249], -v[2:3]
	s_waitcnt vmcnt(0)
	v_add_f64 v[4:5], v[246:247], -v[240:241]
	buffer_store_dword v3, off, s[0:3], 0 offset:292
	buffer_store_dword v2, off, s[0:3], 0 offset:288
	;; [unrolled: 1-line block ×4, first 2 shown]
	s_and_saveexec_b64 s[4:5], vcc
	s_cbranch_execz .LBB55_317
; %bb.316:
	v_accvgpr_read_b32 v1, a151
	buffer_load_dword v2, v1, s[0:3], 0 offen
	buffer_load_dword v3, v1, s[0:3], 0 offen offset:4
	buffer_load_dword v4, v1, s[0:3], 0 offen offset:8
	;; [unrolled: 1-line block ×3, first 2 shown]
	v_mov_b32_e32 v1, 0
	v_accvgpr_read_b32 v6, a167
	buffer_store_dword v1, off, s[0:3], 0 offset:272
	buffer_store_dword v1, off, s[0:3], 0 offset:276
	;; [unrolled: 1-line block ×4, first 2 shown]
	s_waitcnt vmcnt(4)
	ds_write_b128 v6, v[2:5]
.LBB55_317:
	s_or_b64 exec, exec, s[4:5]
	s_waitcnt lgkmcnt(0)
	; wave barrier
	s_waitcnt lgkmcnt(0)
	buffer_load_dword v54, off, s[0:3], 0 offset:288
	buffer_load_dword v55, off, s[0:3], 0 offset:292
	buffer_load_dword v56, off, s[0:3], 0 offset:296
	buffer_load_dword v57, off, s[0:3], 0 offset:300
	buffer_load_dword v58, off, s[0:3], 0 offset:304
	buffer_load_dword v59, off, s[0:3], 0 offset:308
	buffer_load_dword v60, off, s[0:3], 0 offset:312
	buffer_load_dword v61, off, s[0:3], 0 offset:316
	buffer_load_dword v66, off, s[0:3], 0 offset:328
	buffer_load_dword v67, off, s[0:3], 0 offset:332
	buffer_load_dword v79, off, s[0:3], 0 offset:364
	buffer_load_dword v78, off, s[0:3], 0 offset:360
	buffer_load_dword v81, off, s[0:3], 0 offset:356
	buffer_load_dword v80, off, s[0:3], 0 offset:352
	buffer_load_dword v71, off, s[0:3], 0 offset:348
	buffer_load_dword v70, off, s[0:3], 0 offset:344
	buffer_load_dword v91, off, s[0:3], 0 offset:396
	buffer_load_dword v90, off, s[0:3], 0 offset:392
	buffer_load_dword v93, off, s[0:3], 0 offset:388
	buffer_load_dword v92, off, s[0:3], 0 offset:384
	buffer_load_dword v83, off, s[0:3], 0 offset:380
	buffer_load_dword v82, off, s[0:3], 0 offset:376
	buffer_load_dword v103, off, s[0:3], 0 offset:428
	buffer_load_dword v102, off, s[0:3], 0 offset:424
	buffer_load_dword v104, off, s[0:3], 0 offset:416
	buffer_load_dword v95, off, s[0:3], 0 offset:412
	buffer_load_dword v94, off, s[0:3], 0 offset:408
	buffer_load_dword v107, off, s[0:3], 0 offset:444
	buffer_load_dword v106, off, s[0:3], 0 offset:440
	buffer_load_dword v68, off, s[0:3], 0 offset:320
	buffer_load_dword v69, off, s[0:3], 0 offset:324
	buffer_load_dword v73, off, s[0:3], 0 offset:340
	buffer_load_dword v72, off, s[0:3], 0 offset:336
	buffer_load_dword v85, off, s[0:3], 0 offset:372
	buffer_load_dword v84, off, s[0:3], 0 offset:368
	buffer_load_dword v97, off, s[0:3], 0 offset:404
	buffer_load_dword v96, off, s[0:3], 0 offset:400
	buffer_load_dword v105, off, s[0:3], 0 offset:420
	buffer_load_dword v4, off, s[0:3], 0 offset:456
	buffer_load_dword v2, off, s[0:3], 0 offset:448
	buffer_load_dword v3, off, s[0:3], 0 offset:452
	buffer_load_dword v5, off, s[0:3], 0 offset:460
	buffer_load_dword v109, off, s[0:3], 0 offset:436
	buffer_load_dword v108, off, s[0:3], 0 offset:432
	buffer_load_dword v123, off, s[0:3], 0 offset:492
	buffer_load_dword v122, off, s[0:3], 0 offset:488
	buffer_load_dword v125, off, s[0:3], 0 offset:484
	buffer_load_dword v124, off, s[0:3], 0 offset:480
	buffer_load_dword v127, off, s[0:3], 0 offset:476
	v_mov_b32_e32 v1, 0
	ds_read_b128 v[62:65], v1 offset:1168
	ds_read_b128 v[74:77], v1 offset:1184
	;; [unrolled: 1-line block ×11, first 2 shown]
	buffer_load_dword v126, off, s[0:3], 0 offset:472
	buffer_load_dword v143, off, s[0:3], 0 offset:468
	;; [unrolled: 1-line block ×75, first 2 shown]
	v_cmp_lt_u32_e32 vcc, 15, v0
	s_waitcnt vmcnt(62) lgkmcnt(10)
	v_mul_f64 v[6:7], v[62:63], v[56:57]
	v_fmac_f64_e32 v[6:7], v[64:65], v[54:55]
	v_add_f64 v[6:7], v[6:7], 0
	v_mul_f64 v[56:57], v[64:65], v[56:57]
	s_waitcnt lgkmcnt(9)
	v_mul_f64 v[8:9], v[74:75], v[60:61]
	v_fmac_f64_e32 v[8:9], v[76:77], v[58:59]
	s_waitcnt lgkmcnt(8)
	v_mul_f64 v[10:11], v[86:87], v[66:67]
	v_add_f64 v[6:7], v[6:7], v[8:9]
	s_waitcnt lgkmcnt(6)
	v_mul_f64 v[14:15], v[110:111], v[78:79]
	v_fma_f64 v[222:223], v[62:63], v[54:55], -v[56:57]
	v_fmac_f64_e32 v[14:15], v[112:113], v[80:81]
	v_mul_f64 v[60:61], v[76:77], v[60:61]
	v_mul_f64 v[12:13], v[98:99], v[70:71]
	v_fma_f64 v[224:225], v[74:75], v[58:59], -v[60:61]
	s_waitcnt lgkmcnt(4)
	v_mul_f64 v[18:19], v[236:237], v[90:91]
	v_mul_f64 v[66:67], v[88:89], v[66:67]
	v_fmac_f64_e32 v[18:19], v[238:239], v[92:93]
	v_mul_f64 v[70:71], v[100:101], v[70:71]
	v_mul_f64 v[16:17], v[114:115], v[82:83]
	;; [unrolled: 1-line block ×3, first 2 shown]
	s_waitcnt lgkmcnt(2)
	v_mul_f64 v[22:23], v[244:245], v[102:103]
	v_fma_f64 v[228:229], v[110:111], v[80:81], -v[78:79]
	v_mul_f64 v[82:83], v[116:117], v[82:83]
	v_mul_f64 v[20:21], v[240:241], v[94:95]
	;; [unrolled: 1-line block ×3, first 2 shown]
	s_waitcnt lgkmcnt(1)
	v_mul_f64 v[24:25], v[248:249], v[106:107]
	v_fma_f64 v[254:255], v[236:237], v[92:93], -v[90:91]
	v_fmac_f64_e32 v[10:11], v[88:89], v[68:69]
	v_add_f64 v[6:7], v[6:7], v[10:11]
	v_fmac_f64_e32 v[12:13], v[100:101], v[72:73]
	v_add_f64 v[6:7], v[6:7], v[12:13]
	;; [unrolled: 2-line block ×3, first 2 shown]
	v_add_f64 v[6:7], v[6:7], v[16:17]
	v_fmac_f64_e32 v[20:21], v[242:243], v[96:97]
	v_add_f64 v[6:7], v[6:7], v[18:19]
	v_fmac_f64_e32 v[22:23], v[246:247], v[104:105]
	v_add_f64 v[6:7], v[6:7], v[20:21]
	v_add_f64 v[6:7], v[6:7], v[22:23]
	v_fmac_f64_e32 v[24:25], v[250:251], v[108:109]
	v_add_f64 v[10:11], v[6:7], v[24:25]
	ds_read_b128 v[6:9], v1 offset:1344
	s_waitcnt lgkmcnt(1)
	v_mul_f64 v[12:13], v[118:119], v[4:5]
	v_fmac_f64_e32 v[12:13], v[120:121], v[2:3]
	v_add_f64 v[14:15], v[10:11], v[12:13]
	ds_read_b128 v[10:13], v1 offset:1360
	s_waitcnt lgkmcnt(1)
	v_mul_f64 v[16:17], v[6:7], v[126:127]
	;; [unrolled: 5-line block ×5, first 2 shown]
	v_fmac_f64_e32 v[28:29], v[20:21], v[130:131]
	v_add_f64 v[30:31], v[26:27], v[28:29]
	ds_read_b128 v[26:29], v1 offset:1424
	s_waitcnt vmcnt(58) lgkmcnt(1)
	v_mul_f64 v[32:33], v[22:23], v[154:155]
	s_waitcnt vmcnt(56)
	v_fmac_f64_e32 v[32:33], v[24:25], v[158:159]
	v_add_f64 v[34:35], v[30:31], v[32:33]
	ds_read_b128 v[30:33], v1 offset:1440
	s_waitcnt lgkmcnt(1)
	v_mul_f64 v[36:37], v[26:27], v[132:133]
	v_fmac_f64_e32 v[36:37], v[28:29], v[134:135]
	v_add_f64 v[38:39], v[34:35], v[36:37]
	ds_read_b128 v[34:37], v1 offset:1456
	s_waitcnt vmcnt(50) lgkmcnt(1)
	v_mul_f64 v[40:41], v[30:31], v[162:163]
	s_waitcnt vmcnt(48)
	v_fmac_f64_e32 v[40:41], v[32:33], v[166:167]
	v_add_f64 v[42:43], v[38:39], v[40:41]
	ds_read_b128 v[38:41], v1 offset:1472
	s_waitcnt lgkmcnt(1)
	v_mul_f64 v[44:45], v[34:35], v[136:137]
	;; [unrolled: 11-line block ×3, first 2 shown]
	buffer_load_dword v203, off, s[0:3], 0 offset:796
	buffer_load_dword v202, off, s[0:3], 0 offset:792
	;; [unrolled: 1-line block ×4, first 2 shown]
	v_fmac_f64_e32 v[52:53], v[44:45], v[144:145]
	v_add_f64 v[210:211], v[50:51], v[52:53]
	ds_read_b128 v[50:53], v1 offset:1520
	buffer_load_dword v206, off, s[0:3], 0 offset:808
	buffer_load_dword v208, off, s[0:3], 0 offset:800
	;; [unrolled: 1-line block ×4, first 2 shown]
	s_waitcnt vmcnt(42) lgkmcnt(1)
	v_mul_f64 v[212:213], v[46:47], v[178:179]
	s_waitcnt vmcnt(40)
	v_fmac_f64_e32 v[212:213], v[48:49], v[182:183]
	v_add_f64 v[220:221], v[210:211], v[212:213]
	buffer_load_dword v213, off, s[0:3], 0 offset:828
	buffer_load_dword v212, off, s[0:3], 0 offset:824
	buffer_load_dword v217, off, s[0:3], 0 offset:820
	buffer_load_dword v216, off, s[0:3], 0 offset:816
	buffer_load_dword v215, off, s[0:3], 0 offset:844
	buffer_load_dword v214, off, s[0:3], 0 offset:840
	buffer_load_dword v219, off, s[0:3], 0 offset:836
	buffer_load_dword v218, off, s[0:3], 0 offset:832
	buffer_load_dword v210, off, s[0:3], 0 offset:872
	buffer_load_dword v233, off, s[0:3], 0 offset:860
	buffer_load_dword v232, off, s[0:3], 0 offset:856
	buffer_load_dword v235, off, s[0:3], 0 offset:852
	buffer_load_dword v234, off, s[0:3], 0 offset:848
	buffer_load_dword v230, off, s[0:3], 0 offset:864
	buffer_load_dword v211, off, s[0:3], 0 offset:876
	buffer_load_dword v231, off, s[0:3], 0 offset:868
	ds_read_b128 v[54:57], v1 offset:1536
	ds_read_b128 v[58:61], v1 offset:1552
	s_waitcnt lgkmcnt(2)
	v_mul_f64 v[62:63], v[50:51], v[148:149]
	v_fmac_f64_e32 v[62:63], v[52:53], v[152:153]
	v_add_f64 v[62:63], v[220:221], v[62:63]
	s_waitcnt vmcnt(50) lgkmcnt(1)
	v_mul_f64 v[64:65], v[54:55], v[186:187]
	s_waitcnt vmcnt(48)
	v_fmac_f64_e32 v[64:65], v[56:57], v[188:189]
	v_add_f64 v[62:63], v[62:63], v[64:65]
	s_waitcnt lgkmcnt(0)
	v_mul_f64 v[64:65], v[58:59], v[156:157]
	v_fmac_f64_e32 v[64:65], v[60:61], v[160:161]
	v_add_f64 v[74:75], v[62:63], v[64:65]
	ds_read_b128 v[62:65], v1 offset:1568
	v_fma_f64 v[220:221], v[86:87], v[68:69], -v[66:67]
	ds_read_b128 v[66:69], v1 offset:1584
	v_fma_f64 v[226:227], v[98:99], v[72:73], -v[70:71]
	ds_read_b128 v[70:73], v1 offset:1600
	s_waitcnt vmcnt(42) lgkmcnt(2)
	v_mul_f64 v[76:77], v[62:63], v[190:191]
	s_waitcnt vmcnt(40)
	v_fmac_f64_e32 v[76:77], v[64:65], v[192:193]
	v_add_f64 v[74:75], v[74:75], v[76:77]
	s_waitcnt lgkmcnt(1)
	v_mul_f64 v[76:77], v[66:67], v[164:165]
	v_fmac_f64_e32 v[76:77], v[68:69], v[168:169]
	v_add_f64 v[86:87], v[74:75], v[76:77]
	ds_read_b128 v[74:77], v1 offset:1616
	ds_read_b128 v[78:81], v1 offset:1632
	s_waitcnt vmcnt(34) lgkmcnt(2)
	v_mul_f64 v[88:89], v[70:71], v[194:195]
	s_waitcnt vmcnt(32)
	v_fmac_f64_e32 v[88:89], v[72:73], v[196:197]
	v_fma_f64 v[252:253], v[114:115], v[84:85], -v[82:83]
	ds_read_b128 v[82:85], v1 offset:1648
	v_add_f64 v[86:87], v[86:87], v[88:89]
	s_waitcnt lgkmcnt(2)
	v_mul_f64 v[88:89], v[74:75], v[172:173]
	v_fmac_f64_e32 v[88:89], v[76:77], v[176:177]
	v_add_f64 v[86:87], v[86:87], v[88:89]
	s_waitcnt vmcnt(26) lgkmcnt(1)
	v_mul_f64 v[88:89], v[78:79], v[198:199]
	s_waitcnt vmcnt(24)
	v_fmac_f64_e32 v[88:89], v[80:81], v[200:201]
	v_add_f64 v[86:87], v[86:87], v[88:89]
	s_waitcnt lgkmcnt(0)
	v_mul_f64 v[88:89], v[82:83], v[180:181]
	v_fmac_f64_e32 v[88:89], v[84:85], v[184:185]
	v_add_f64 v[98:99], v[86:87], v[88:89]
	ds_read_b128 v[86:89], v1 offset:1664
	ds_read_b128 v[90:93], v1 offset:1680
	v_accvgpr_write_b32 a169, v3
	v_mul_f64 v[94:95], v[242:243], v[94:95]
	v_accvgpr_write_b32 a168, v2
	v_fma_f64 v[2:3], v[240:241], v[96:97], -v[94:95]
	ds_read_b128 v[94:97], v1 offset:1696
	v_mul_f64 v[102:103], v[246:247], v[102:103]
	v_fma_f64 v[246:247], v[244:245], v[104:105], -v[102:103]
	ds_read_b128 v[102:105], v1 offset:1728
	v_mul_f64 v[106:107], v[250:251], v[106:107]
	v_fma_f64 v[250:251], v[248:249], v[108:109], -v[106:107]
	ds_read_b128 v[106:109], v1 offset:1744
	v_add_f64 v[222:223], v[222:223], 0
	v_add_f64 v[222:223], v[222:223], v[224:225]
	;; [unrolled: 1-line block ×9, first 2 shown]
	v_mul_f64 v[4:5], v[120:121], v[4:5]
	v_accvgpr_read_b32 v120, a168
	v_accvgpr_read_b32 v121, a169
	v_add_f64 v[2:3], v[252:253], v[250:251]
	v_fma_f64 v[4:5], v[118:119], v[120:121], -v[4:5]
	v_add_f64 v[2:3], v[2:3], v[4:5]
	v_mul_f64 v[4:5], v[8:9], v[126:127]
	v_fma_f64 v[4:5], v[6:7], v[142:143], -v[4:5]
	s_waitcnt vmcnt(22) lgkmcnt(4)
	v_mul_f64 v[100:101], v[86:87], v[202:203]
	v_add_f64 v[2:3], v[2:3], v[4:5]
	s_waitcnt vmcnt(20)
	v_fmac_f64_e32 v[100:101], v[88:89], v[204:205]
	v_add_f64 v[98:99], v[98:99], v[100:101]
	v_mul_f64 v[4:5], v[12:13], v[122:123]
	s_waitcnt vmcnt(17) lgkmcnt(3)
	v_mul_f64 v[100:101], v[90:91], v[206:207]
	s_waitcnt vmcnt(16)
	v_fmac_f64_e32 v[100:101], v[92:93], v[208:209]
	v_add_f64 v[110:111], v[98:99], v[100:101]
	ds_read_b128 v[98:101], v1 offset:1712
	s_waitcnt vmcnt(14) lgkmcnt(3)
	v_mul_f64 v[112:113], v[94:95], v[212:213]
	s_waitcnt vmcnt(12)
	v_fmac_f64_e32 v[112:113], v[96:97], v[216:217]
	buffer_load_dword v237, off, s[0:3], 0 offset:892
	buffer_load_dword v236, off, s[0:3], 0 offset:888
	;; [unrolled: 1-line block ×4, first 2 shown]
	v_add_f64 v[110:111], v[110:111], v[112:113]
	s_waitcnt vmcnt(14) lgkmcnt(0)
	v_mul_f64 v[112:113], v[98:99], v[214:215]
	s_waitcnt vmcnt(12)
	v_fmac_f64_e32 v[112:113], v[100:101], v[218:219]
	v_add_f64 v[110:111], v[110:111], v[112:113]
	s_waitcnt vmcnt(9)
	v_mul_f64 v[112:113], v[102:103], v[232:233]
	s_waitcnt vmcnt(7)
	v_fmac_f64_e32 v[112:113], v[104:105], v[234:235]
	v_add_f64 v[110:111], v[110:111], v[112:113]
	s_waitcnt vmcnt(5)
	v_mul_f64 v[112:113], v[106:107], v[210:211]
	s_waitcnt vmcnt(4)
	v_fmac_f64_e32 v[112:113], v[108:109], v[230:231]
	v_add_f64 v[114:115], v[110:111], v[112:113]
	ds_read_b128 v[110:113], v1 offset:1760
	buffer_load_dword v242, off, s[0:3], 0 offset:904
	buffer_load_dword v243, off, s[0:3], 0 offset:908
	;; [unrolled: 1-line block ×4, first 2 shown]
	v_fma_f64 v[4:5], v[10:11], v[124:125], -v[4:5]
	v_add_f64 v[2:3], v[2:3], v[4:5]
	v_mul_f64 v[4:5], v[16:17], v[146:147]
	v_fma_f64 v[4:5], v[14:15], v[150:151], -v[4:5]
	v_add_f64 v[2:3], v[2:3], v[4:5]
	v_mul_f64 v[4:5], v[20:21], v[128:129]
	;; [unrolled: 3-line block ×21, first 2 shown]
	v_fma_f64 v[4:5], v[94:95], v[216:217], -v[4:5]
	v_add_f64 v[2:3], v[2:3], v[4:5]
	s_waitcnt vmcnt(6) lgkmcnt(0)
	v_mul_f64 v[116:117], v[110:111], v[236:237]
	v_mul_f64 v[4:5], v[100:101], v[214:215]
	s_waitcnt vmcnt(4)
	v_fmac_f64_e32 v[116:117], v[112:113], v[238:239]
	v_add_f64 v[240:241], v[114:115], v[116:117]
	ds_read_b128 v[114:117], v1 offset:1776
	v_fma_f64 v[4:5], v[98:99], v[218:219], -v[4:5]
	v_add_f64 v[2:3], v[2:3], v[4:5]
	v_mul_f64 v[4:5], v[104:105], v[232:233]
	v_fma_f64 v[4:5], v[102:103], v[234:235], -v[4:5]
	v_add_f64 v[2:3], v[2:3], v[4:5]
	v_mul_f64 v[4:5], v[108:109], v[210:211]
	v_fma_f64 v[4:5], v[106:107], v[230:231], -v[4:5]
	s_waitcnt vmcnt(2) lgkmcnt(0)
	v_mul_f64 v[248:249], v[114:115], v[242:243]
	v_add_f64 v[2:3], v[2:3], v[4:5]
	s_waitcnt vmcnt(0)
	v_fmac_f64_e32 v[248:249], v[116:117], v[244:245]
	v_add_f64 v[240:241], v[240:241], v[248:249]
	buffer_load_dword v248, off, s[0:3], 0 offset:272
	buffer_load_dword v249, off, s[0:3], 0 offset:276
	;; [unrolled: 1-line block ×4, first 2 shown]
	v_mul_f64 v[4:5], v[112:113], v[236:237]
	v_fma_f64 v[4:5], v[110:111], v[238:239], -v[4:5]
	v_add_f64 v[2:3], v[2:3], v[4:5]
	v_mul_f64 v[4:5], v[116:117], v[242:243]
	v_fma_f64 v[4:5], v[114:115], v[244:245], -v[4:5]
	v_add_f64 v[2:3], v[2:3], v[4:5]
	s_waitcnt vmcnt(2)
	v_add_f64 v[2:3], v[248:249], -v[2:3]
	s_waitcnt vmcnt(0)
	v_add_f64 v[4:5], v[246:247], -v[240:241]
	buffer_store_dword v3, off, s[0:3], 0 offset:276
	buffer_store_dword v2, off, s[0:3], 0 offset:272
	;; [unrolled: 1-line block ×4, first 2 shown]
	s_and_saveexec_b64 s[4:5], vcc
	s_cbranch_execz .LBB55_319
; %bb.318:
	v_accvgpr_read_b32 v5, a152
	buffer_load_dword v2, v5, s[0:3], 0 offen
	buffer_load_dword v3, v5, s[0:3], 0 offen offset:4
	buffer_load_dword v4, v5, s[0:3], 0 offen offset:8
	s_nop 0
	buffer_load_dword v5, v5, s[0:3], 0 offen offset:12
	v_accvgpr_read_b32 v6, a167
	buffer_store_dword v1, off, s[0:3], 0 offset:256
	buffer_store_dword v1, off, s[0:3], 0 offset:260
	;; [unrolled: 1-line block ×4, first 2 shown]
	s_waitcnt vmcnt(4)
	ds_write_b128 v6, v[2:5]
.LBB55_319:
	s_or_b64 exec, exec, s[4:5]
	s_waitcnt lgkmcnt(0)
	; wave barrier
	s_waitcnt lgkmcnt(0)
	buffer_load_dword v56, off, s[0:3], 0 offset:272
	buffer_load_dword v57, off, s[0:3], 0 offset:276
	;; [unrolled: 1-line block ×42, first 2 shown]
	ds_read_b128 v[78:81], v1 offset:1152
	ds_read_b128 v[90:93], v1 offset:1168
	;; [unrolled: 1-line block ×10, first 2 shown]
	buffer_load_dword v105, off, s[0:3], 0 offset:420
	buffer_load_dword v104, off, s[0:3], 0 offset:416
	ds_read_b128 v[106:109], v1 offset:1312
	buffer_load_dword v3, off, s[0:3], 0 offset:476
	buffer_load_dword v2, off, s[0:3], 0 offset:472
	v_cmp_lt_u32_e32 vcc, 14, v0
	s_waitcnt vmcnt(38) lgkmcnt(9)
	v_mul_f64 v[4:5], v[90:91], v[62:63]
	v_fmac_f64_e32 v[4:5], v[92:93], v[54:55]
	s_waitcnt vmcnt(36) lgkmcnt(8)
	v_mul_f64 v[6:7], v[114:115], v[58:59]
	v_mul_f64 v[58:59], v[116:117], v[58:59]
	s_waitcnt vmcnt(34) lgkmcnt(6)
	v_mul_f64 v[10:11], v[240:241], v[70:71]
	v_mul_f64 v[70:71], v[242:243], v[70:71]
	s_waitcnt vmcnt(32)
	v_fmac_f64_e32 v[10:11], v[242:243], v[72:73]
	v_fma_f64 v[240:241], v[240:241], v[72:73], -v[70:71]
	s_waitcnt vmcnt(30)
	v_mul_f64 v[8:9], v[236:237], v[64:65]
	s_waitcnt vmcnt(28) lgkmcnt(4)
	v_mul_f64 v[14:15], v[248:249], v[82:83]
	v_mul_f64 v[82:83], v[250:251], v[82:83]
	s_waitcnt vmcnt(26)
	v_fmac_f64_e32 v[14:15], v[250:251], v[84:85]
	v_fma_f64 v[248:249], v[248:249], v[84:85], -v[82:83]
	s_waitcnt vmcnt(24)
	v_mul_f64 v[12:13], v[244:245], v[74:75]
	v_mul_f64 v[74:75], v[246:247], v[74:75]
	s_waitcnt vmcnt(22) lgkmcnt(2)
	v_mul_f64 v[18:19], v[220:221], v[94:95]
	v_mul_f64 v[94:95], v[222:223], v[94:95]
	s_waitcnt vmcnt(19)
	v_mul_f64 v[16:17], v[252:253], v[86:87]
	v_mul_f64 v[86:87], v[254:255], v[86:87]
	s_waitcnt vmcnt(17) lgkmcnt(1)
	v_mul_f64 v[20:21], v[98:99], v[102:103]
	s_waitcnt vmcnt(15)
	v_fmac_f64_e32 v[6:7], v[116:117], v[68:69]
	s_waitcnt vmcnt(13)
	v_fmac_f64_e32 v[8:9], v[238:239], v[66:67]
	;; [unrolled: 2-line block ×3, first 2 shown]
	v_fma_f64 v[246:247], v[244:245], v[76:77], -v[74:75]
	s_waitcnt vmcnt(9)
	v_fmac_f64_e32 v[16:17], v[254:255], v[88:89]
	s_waitcnt vmcnt(8)
	v_fmac_f64_e32 v[18:19], v[222:223], v[96:97]
	v_fma_f64 v[254:255], v[252:253], v[88:89], -v[86:87]
	v_fma_f64 v[220:221], v[220:221], v[96:97], -v[94:95]
	s_waitcnt vmcnt(2)
	v_fmac_f64_e32 v[20:21], v[100:101], v[104:105]
	v_mul_f64 v[100:101], v[100:101], v[102:103]
	s_waitcnt vmcnt(0)
	v_pk_mov_b32 v[22:23], v[2:3], v[2:3] op_sel:[0,1]
	buffer_load_dword v3, off, s[0:3], 0 offset:468
	buffer_load_dword v2, off, s[0:3], 0 offset:464
	;; [unrolled: 1-line block ×78, first 2 shown]
	ds_read_b128 v[118:121], v1 offset:1328
	v_accvgpr_write_b32 a169, v23
	v_accvgpr_write_b32 a168, v22
	v_fma_f64 v[250:251], v[98:99], v[104:105], -v[100:101]
	s_waitcnt vmcnt(62)
	v_pk_mov_b32 v[24:25], v[2:3], v[2:3] op_sel:[0,1]
	v_mul_f64 v[2:3], v[78:79], v[60:61]
	v_fmac_f64_e32 v[2:3], v[80:81], v[56:57]
	v_add_f64 v[2:3], v[2:3], 0
	v_add_f64 v[2:3], v[2:3], v[4:5]
	;; [unrolled: 1-line block ×9, first 2 shown]
	s_waitcnt lgkmcnt(1)
	v_mul_f64 v[8:9], v[106:107], v[110:111]
	v_add_f64 v[6:7], v[2:3], v[20:21]
	v_fmac_f64_e32 v[8:9], v[108:109], v[112:113]
	v_add_f64 v[10:11], v[6:7], v[8:9]
	ds_read_b128 v[6:9], v1 offset:1344
	s_waitcnt lgkmcnt(1)
	v_mul_f64 v[12:13], v[118:119], v[122:123]
	v_fmac_f64_e32 v[12:13], v[120:121], v[138:139]
	v_add_f64 v[14:15], v[10:11], v[12:13]
	ds_read_b128 v[10:13], v1 offset:1360
	s_waitcnt lgkmcnt(1)
	v_mul_f64 v[16:17], v[6:7], v[22:23]
	;; [unrolled: 5-line block ×3, first 2 shown]
	v_fmac_f64_e32 v[20:21], v[12:13], v[146:147]
	v_add_f64 v[22:23], v[18:19], v[20:21]
	ds_read_b128 v[18:21], v1 offset:1392
	v_accvgpr_write_b32 a171, v25
	v_accvgpr_write_b32 a170, v24
	s_waitcnt lgkmcnt(1)
	v_mul_f64 v[24:25], v[14:15], v[124:125]
	v_fmac_f64_e32 v[24:25], v[16:17], v[126:127]
	v_add_f64 v[26:27], v[22:23], v[24:25]
	ds_read_b128 v[22:25], v1 offset:1408
	s_waitcnt vmcnt(58) lgkmcnt(1)
	v_mul_f64 v[28:29], v[18:19], v[150:151]
	s_waitcnt vmcnt(56)
	v_fmac_f64_e32 v[28:29], v[20:21], v[154:155]
	v_add_f64 v[30:31], v[26:27], v[28:29]
	ds_read_b128 v[26:29], v1 offset:1424
	s_waitcnt lgkmcnt(1)
	v_mul_f64 v[32:33], v[22:23], v[128:129]
	v_fmac_f64_e32 v[32:33], v[24:25], v[130:131]
	v_add_f64 v[34:35], v[30:31], v[32:33]
	ds_read_b128 v[30:33], v1 offset:1440
	s_waitcnt vmcnt(50) lgkmcnt(1)
	v_mul_f64 v[36:37], v[26:27], v[158:159]
	s_waitcnt vmcnt(48)
	v_fmac_f64_e32 v[36:37], v[28:29], v[162:163]
	v_add_f64 v[38:39], v[34:35], v[36:37]
	ds_read_b128 v[34:37], v1 offset:1456
	;; [unrolled: 11-line block ×4, first 2 shown]
	buffer_load_dword v198, off, s[0:3], 0 offset:792
	buffer_load_dword v203, off, s[0:3], 0 offset:780
	;; [unrolled: 1-line block ×8, first 2 shown]
	s_waitcnt lgkmcnt(1)
	v_mul_f64 v[208:209], v[46:47], v[144:145]
	v_fmac_f64_e32 v[208:209], v[48:49], v[148:149]
	v_add_f64 v[224:225], v[206:207], v[208:209]
	buffer_load_dword v207, off, s[0:3], 0 offset:812
	buffer_load_dword v206, off, s[0:3], 0 offset:808
	buffer_load_dword v209, off, s[0:3], 0 offset:804
	buffer_load_dword v208, off, s[0:3], 0 offset:800
	buffer_load_dword v213, off, s[0:3], 0 offset:828
	buffer_load_dword v212, off, s[0:3], 0 offset:824
	buffer_load_dword v215, off, s[0:3], 0 offset:820
	buffer_load_dword v214, off, s[0:3], 0 offset:816
	buffer_load_dword v210, off, s[0:3], 0 offset:856
	buffer_load_dword v219, off, s[0:3], 0 offset:844
	buffer_load_dword v218, off, s[0:3], 0 offset:840
	buffer_load_dword v233, off, s[0:3], 0 offset:836
	buffer_load_dword v232, off, s[0:3], 0 offset:832
	buffer_load_dword v216, off, s[0:3], 0 offset:848
	buffer_load_dword v211, off, s[0:3], 0 offset:860
	buffer_load_dword v217, off, s[0:3], 0 offset:852
	buffer_load_dword v231, off, s[0:3], 0 offset:876
	buffer_load_dword v230, off, s[0:3], 0 offset:872
	buffer_load_dword v235, off, s[0:3], 0 offset:868
	buffer_load_dword v234, off, s[0:3], 0 offset:864
	v_mul_f64 v[60:61], v[80:81], v[60:61]
	s_waitcnt vmcnt(54) lgkmcnt(0)
	v_mul_f64 v[226:227], v[50:51], v[182:183]
	v_fma_f64 v[228:229], v[78:79], v[56:57], -v[60:61]
	v_mul_f64 v[56:57], v[92:93], v[62:63]
	v_fma_f64 v[2:3], v[90:91], v[54:55], -v[56:57]
	s_waitcnt vmcnt(52)
	v_fmac_f64_e32 v[226:227], v[52:53], v[184:185]
	ds_read_b128 v[54:57], v1 offset:1536
	v_add_f64 v[4:5], v[224:225], v[226:227]
	v_fma_f64 v[224:225], v[114:115], v[68:69], -v[58:59]
	ds_read_b128 v[58:61], v1 offset:1552
	v_mul_f64 v[62:63], v[238:239], v[64:65]
	v_fma_f64 v[226:227], v[236:237], v[66:67], -v[62:63]
	ds_read_b128 v[62:65], v1 offset:1568
	ds_read_b128 v[70:73], v1 offset:1600
	s_waitcnt lgkmcnt(3)
	v_mul_f64 v[68:69], v[54:55], v[152:153]
	v_fmac_f64_e32 v[68:69], v[56:57], v[156:157]
	s_waitcnt vmcnt(46) lgkmcnt(2)
	v_mul_f64 v[66:67], v[58:59], v[186:187]
	v_add_f64 v[4:5], v[4:5], v[68:69]
	s_waitcnt vmcnt(44)
	v_fmac_f64_e32 v[66:67], v[60:61], v[188:189]
	v_add_f64 v[4:5], v[4:5], v[66:67]
	s_waitcnt lgkmcnt(1)
	v_mul_f64 v[66:67], v[62:63], v[160:161]
	v_fmac_f64_e32 v[66:67], v[64:65], v[164:165]
	v_add_f64 v[4:5], v[4:5], v[66:67]
	ds_read_b128 v[66:69], v1 offset:1584
	ds_read_b128 v[74:77], v1 offset:1616
	;; [unrolled: 1-line block ×5, first 2 shown]
	s_waitcnt vmcnt(38) lgkmcnt(4)
	v_mul_f64 v[78:79], v[66:67], v[190:191]
	s_waitcnt vmcnt(36)
	v_fmac_f64_e32 v[78:79], v[68:69], v[192:193]
	v_add_f64 v[4:5], v[4:5], v[78:79]
	v_mul_f64 v[78:79], v[70:71], v[168:169]
	v_fmac_f64_e32 v[78:79], v[72:73], v[172:173]
	v_add_f64 v[4:5], v[4:5], v[78:79]
	s_waitcnt vmcnt(30) lgkmcnt(3)
	v_mul_f64 v[78:79], v[74:75], v[194:195]
	s_waitcnt vmcnt(28)
	v_fmac_f64_e32 v[78:79], v[76:77], v[196:197]
	v_add_f64 v[4:5], v[4:5], v[78:79]
	ds_read_b128 v[78:81], v1 offset:1632
	v_mul_f64 v[108:109], v[108:109], v[110:111]
	v_fma_f64 v[252:253], v[106:107], v[112:113], -v[108:109]
	v_mul_f64 v[120:121], v[120:121], v[122:123]
	v_fma_f64 v[118:119], v[118:119], v[138:139], -v[120:121]
	s_waitcnt lgkmcnt(0)
	v_mul_f64 v[90:91], v[78:79], v[176:177]
	v_fmac_f64_e32 v[90:91], v[80:81], v[180:181]
	v_add_f64 v[4:5], v[4:5], v[90:91]
	ds_read_b128 v[98:101], v1 offset:1712
	ds_read_b128 v[106:109], v1 offset:1744
	s_waitcnt vmcnt(25)
	v_mul_f64 v[90:91], v[82:83], v[202:203]
	s_waitcnt vmcnt(23)
	v_fmac_f64_e32 v[90:91], v[84:85], v[204:205]
	v_add_f64 v[4:5], v[4:5], v[90:91]
	s_waitcnt vmcnt(21)
	v_mul_f64 v[90:91], v[86:87], v[198:199]
	s_waitcnt vmcnt(20)
	v_fmac_f64_e32 v[90:91], v[88:89], v[200:201]
	v_add_f64 v[4:5], v[4:5], v[90:91]
	ds_read_b128 v[90:93], v1 offset:1680
	s_waitcnt vmcnt(14)
	v_mul_f64 v[102:103], v[94:95], v[212:213]
	s_waitcnt vmcnt(9) lgkmcnt(2)
	v_mul_f64 v[110:111], v[98:99], v[218:219]
	v_fmac_f64_e32 v[102:103], v[96:97], v[214:215]
	s_waitcnt vmcnt(7)
	v_fmac_f64_e32 v[110:111], v[100:101], v[232:233]
	s_waitcnt lgkmcnt(0)
	v_mul_f64 v[114:115], v[90:91], v[206:207]
	v_fmac_f64_e32 v[114:115], v[92:93], v[208:209]
	v_add_f64 v[4:5], v[4:5], v[114:115]
	v_add_f64 v[4:5], v[4:5], v[102:103]
	ds_read_b128 v[102:105], v1 offset:1728
	buffer_load_dword v236, off, s[0:3], 0 offset:888
	buffer_load_dword v237, off, s[0:3], 0 offset:892
	buffer_load_dword v238, off, s[0:3], 0 offset:880
	buffer_load_dword v239, off, s[0:3], 0 offset:884
	v_add_f64 v[4:5], v[4:5], v[110:111]
	s_waitcnt vmcnt(9) lgkmcnt(0)
	v_mul_f64 v[110:111], v[102:103], v[210:211]
	s_waitcnt vmcnt(8)
	v_fmac_f64_e32 v[110:111], v[104:105], v[216:217]
	v_add_f64 v[4:5], v[4:5], v[110:111]
	s_waitcnt vmcnt(6)
	v_mul_f64 v[110:111], v[106:107], v[230:231]
	s_waitcnt vmcnt(4)
	v_fmac_f64_e32 v[110:111], v[108:109], v[234:235]
	v_add_f64 v[4:5], v[4:5], v[110:111]
	ds_read_b128 v[110:113], v1 offset:1760
	buffer_load_dword v243, off, s[0:3], 0 offset:908
	buffer_load_dword v242, off, s[0:3], 0 offset:904
	;; [unrolled: 1-line block ×4, first 2 shown]
	s_waitcnt vmcnt(6) lgkmcnt(0)
	v_mul_f64 v[114:115], v[110:111], v[236:237]
	s_waitcnt vmcnt(4)
	v_fmac_f64_e32 v[114:115], v[112:113], v[238:239]
	v_add_f64 v[4:5], v[4:5], v[114:115]
	ds_read_b128 v[114:117], v1 offset:1776
	s_waitcnt vmcnt(2) lgkmcnt(0)
	v_mul_f64 v[222:223], v[114:115], v[242:243]
	s_waitcnt vmcnt(0)
	v_fmac_f64_e32 v[222:223], v[116:117], v[244:245]
	v_add_f64 v[4:5], v[4:5], v[222:223]
	v_add_f64 v[222:223], v[228:229], 0
	;; [unrolled: 1-line block ×8, first 2 shown]
	buffer_load_dword v248, off, s[0:3], 0 offset:256
	buffer_load_dword v249, off, s[0:3], 0 offset:260
	;; [unrolled: 1-line block ×4, first 2 shown]
	v_add_f64 v[2:3], v[2:3], v[254:255]
	v_add_f64 v[254:255], v[2:3], v[220:221]
	;; [unrolled: 1-line block ×5, first 2 shown]
	v_accvgpr_read_b32 v118, a168
	v_accvgpr_read_b32 v119, a169
	v_mul_f64 v[8:9], v[8:9], v[118:119]
	v_accvgpr_read_b32 v118, a170
	v_accvgpr_read_b32 v119, a171
	v_fma_f64 v[6:7], v[6:7], v[118:119], -v[8:9]
	v_add_f64 v[2:3], v[2:3], v[6:7]
	v_mul_f64 v[6:7], v[12:13], v[142:143]
	v_fma_f64 v[6:7], v[10:11], v[146:147], -v[6:7]
	v_add_f64 v[2:3], v[2:3], v[6:7]
	v_mul_f64 v[6:7], v[16:17], v[124:125]
	;; [unrolled: 3-line block ×27, first 2 shown]
	v_fma_f64 v[6:7], v[114:115], v[244:245], -v[6:7]
	v_add_f64 v[2:3], v[2:3], v[6:7]
	s_waitcnt vmcnt(2)
	v_add_f64 v[2:3], v[248:249], -v[2:3]
	s_waitcnt vmcnt(0)
	v_add_f64 v[4:5], v[246:247], -v[4:5]
	buffer_store_dword v3, off, s[0:3], 0 offset:260
	buffer_store_dword v2, off, s[0:3], 0 offset:256
	;; [unrolled: 1-line block ×4, first 2 shown]
	s_and_saveexec_b64 s[4:5], vcc
	s_cbranch_execz .LBB55_321
; %bb.320:
	v_accvgpr_read_b32 v1, a153
	buffer_load_dword v2, v1, s[0:3], 0 offen
	buffer_load_dword v3, v1, s[0:3], 0 offen offset:4
	buffer_load_dword v4, v1, s[0:3], 0 offen offset:8
	;; [unrolled: 1-line block ×3, first 2 shown]
	v_mov_b32_e32 v1, 0
	v_accvgpr_read_b32 v6, a167
	buffer_store_dword v1, off, s[0:3], 0 offset:240
	buffer_store_dword v1, off, s[0:3], 0 offset:244
	;; [unrolled: 1-line block ×4, first 2 shown]
	s_waitcnt vmcnt(4)
	ds_write_b128 v6, v[2:5]
.LBB55_321:
	s_or_b64 exec, exec, s[4:5]
	s_waitcnt lgkmcnt(0)
	; wave barrier
	s_waitcnt lgkmcnt(0)
	buffer_load_dword v54, off, s[0:3], 0 offset:256
	buffer_load_dword v55, off, s[0:3], 0 offset:260
	;; [unrolled: 1-line block ×46, first 2 shown]
	v_mov_b32_e32 v1, 0
	v_cmp_lt_u32_e32 vcc, 13, v0
	s_waitcnt vmcnt(0)
	v_pk_mov_b32 v[22:23], v[2:3], v[2:3] op_sel:[0,1]
	buffer_load_dword v3, off, s[0:3], 0 offset:452
	buffer_load_dword v2, off, s[0:3], 0 offset:448
	;; [unrolled: 1-line block ×3, first 2 shown]
	ds_read_b128 v[94:97], v1 offset:1136
	ds_read_b128 v[108:111], v1 offset:1152
	;; [unrolled: 1-line block ×11, first 2 shown]
	buffer_load_dword v106, off, s[0:3], 0 offset:440
	buffer_load_dword v117, off, s[0:3], 0 offset:436
	;; [unrolled: 1-line block ×75, first 2 shown]
	s_waitcnt lgkmcnt(9)
	v_mul_f64 v[4:5], v[108:109], v[62:63]
	s_waitcnt lgkmcnt(8)
	v_mul_f64 v[6:7], v[112:113], v[60:61]
	v_fmac_f64_e32 v[4:5], v[110:111], v[58:59]
	s_waitcnt lgkmcnt(7)
	v_mul_f64 v[8:9], v[220:221], v[68:69]
	v_fmac_f64_e32 v[6:7], v[114:115], v[84:85]
	;; [unrolled: 3-line block ×5, first 2 shown]
	ds_read_b128 v[232:235], v1 offset:1312
	ds_read_b128 v[118:121], v1 offset:1328
	s_waitcnt lgkmcnt(5)
	v_mul_f64 v[16:17], v[248:249], v[78:79]
	v_fmac_f64_e32 v[14:15], v[246:247], v[76:77]
	s_waitcnt lgkmcnt(4)
	v_mul_f64 v[18:19], v[252:253], v[86:87]
	v_fmac_f64_e32 v[16:17], v[250:251], v[80:81]
	;; [unrolled: 3-line block ×3, first 2 shown]
	v_fmac_f64_e32 v[20:21], v[226:227], v[92:93]
	v_accvgpr_write_b32 a169, v23
	v_accvgpr_write_b32 a168, v22
	v_mul_f64 v[62:63], v[110:111], v[62:63]
	v_mul_f64 v[74:75], v[246:247], v[74:75]
	v_fma_f64 v[246:247], v[244:245], v[76:77], -v[74:75]
	v_mul_f64 v[78:79], v[250:251], v[78:79]
	v_fma_f64 v[248:249], v[248:249], v[80:81], -v[78:79]
	v_mul_f64 v[86:87], v[254:255], v[86:87]
	v_mul_f64 v[90:91], v[226:227], v[90:91]
	v_fma_f64 v[252:253], v[252:253], v[88:89], -v[86:87]
	v_fma_f64 v[254:255], v[224:225], v[92:93], -v[90:91]
	s_waitcnt vmcnt(62)
	v_pk_mov_b32 v[24:25], v[2:3], v[2:3] op_sel:[0,1]
	v_mul_f64 v[2:3], v[94:95], v[56:57]
	v_fmac_f64_e32 v[2:3], v[96:97], v[54:55]
	v_add_f64 v[2:3], v[2:3], 0
	v_add_f64 v[2:3], v[2:3], v[4:5]
	;; [unrolled: 1-line block ×9, first 2 shown]
	s_waitcnt lgkmcnt(2)
	v_mul_f64 v[4:5], v[98:99], v[102:103]
	v_add_f64 v[2:3], v[2:3], v[20:21]
	v_fmac_f64_e32 v[4:5], v[100:101], v[104:105]
	s_waitcnt lgkmcnt(1)
	v_mul_f64 v[8:9], v[232:233], v[106:107]
	v_add_f64 v[6:7], v[2:3], v[4:5]
	v_fmac_f64_e32 v[8:9], v[234:235], v[116:117]
	s_waitcnt lgkmcnt(0)
	v_mul_f64 v[12:13], v[118:119], v[22:23]
	v_add_f64 v[10:11], v[6:7], v[8:9]
	ds_read_b128 v[6:9], v1 offset:1344
	v_fmac_f64_e32 v[12:13], v[120:121], v[24:25]
	v_add_f64 v[14:15], v[10:11], v[12:13]
	ds_read_b128 v[10:13], v1 offset:1360
	v_accvgpr_write_b32 a171, v25
	s_waitcnt lgkmcnt(1)
	v_mul_f64 v[16:17], v[6:7], v[138:139]
	v_fmac_f64_e32 v[16:17], v[8:9], v[142:143]
	v_add_f64 v[18:19], v[14:15], v[16:17]
	s_waitcnt lgkmcnt(0)
	v_mul_f64 v[20:21], v[10:11], v[122:123]
	ds_read_b128 v[14:17], v1 offset:1376
	v_fmac_f64_e32 v[20:21], v[12:13], v[124:125]
	v_add_f64 v[22:23], v[18:19], v[20:21]
	ds_read_b128 v[18:21], v1 offset:1392
	v_accvgpr_write_b32 a170, v24
	s_waitcnt vmcnt(58) lgkmcnt(1)
	v_mul_f64 v[24:25], v[14:15], v[146:147]
	s_waitcnt vmcnt(56)
	v_fmac_f64_e32 v[24:25], v[16:17], v[150:151]
	v_add_f64 v[26:27], v[22:23], v[24:25]
	s_waitcnt lgkmcnt(0)
	v_mul_f64 v[28:29], v[18:19], v[126:127]
	ds_read_b128 v[22:25], v1 offset:1408
	v_fmac_f64_e32 v[28:29], v[20:21], v[128:129]
	v_add_f64 v[30:31], v[26:27], v[28:29]
	ds_read_b128 v[26:29], v1 offset:1424
	v_mul_f64 v[56:57], v[96:97], v[56:57]
	s_waitcnt vmcnt(50) lgkmcnt(1)
	v_mul_f64 v[32:33], v[22:23], v[154:155]
	s_waitcnt vmcnt(48)
	v_fmac_f64_e32 v[32:33], v[24:25], v[158:159]
	v_add_f64 v[34:35], v[30:31], v[32:33]
	s_waitcnt lgkmcnt(0)
	v_mul_f64 v[36:37], v[26:27], v[130:131]
	ds_read_b128 v[30:33], v1 offset:1440
	v_fmac_f64_e32 v[36:37], v[28:29], v[132:133]
	v_add_f64 v[38:39], v[34:35], v[36:37]
	ds_read_b128 v[34:37], v1 offset:1456
	v_fma_f64 v[2:3], v[94:95], v[54:55], -v[56:57]
	s_waitcnt vmcnt(42) lgkmcnt(1)
	v_mul_f64 v[40:41], v[30:31], v[162:163]
	s_waitcnt vmcnt(40)
	v_fmac_f64_e32 v[40:41], v[32:33], v[166:167]
	v_add_f64 v[42:43], v[38:39], v[40:41]
	s_waitcnt lgkmcnt(0)
	v_mul_f64 v[44:45], v[34:35], v[134:135]
	ds_read_b128 v[38:41], v1 offset:1472
	v_fmac_f64_e32 v[44:45], v[36:37], v[136:137]
	v_add_f64 v[46:47], v[42:43], v[44:45]
	ds_read_b128 v[42:45], v1 offset:1488
	v_fma_f64 v[94:95], v[108:109], v[58:59], -v[62:63]
	s_waitcnt vmcnt(34) lgkmcnt(1)
	v_mul_f64 v[48:49], v[38:39], v[170:171]
	s_waitcnt vmcnt(32)
	v_fmac_f64_e32 v[48:49], v[40:41], v[174:175]
	v_add_f64 v[50:51], v[46:47], v[48:49]
	s_waitcnt lgkmcnt(0)
	v_mul_f64 v[52:53], v[42:43], v[140:141]
	v_fmac_f64_e32 v[52:53], v[44:45], v[144:145]
	ds_read_b128 v[46:49], v1 offset:1504
	v_add_f64 v[198:199], v[50:51], v[52:53]
	ds_read_b128 v[50:53], v1 offset:1520
	buffer_load_dword v195, off, s[0:3], 0 offset:764
	buffer_load_dword v194, off, s[0:3], 0 offset:760
	;; [unrolled: 1-line block ×4, first 2 shown]
	v_mul_f64 v[58:59], v[114:115], v[60:61]
	s_waitcnt vmcnt(30) lgkmcnt(1)
	v_mul_f64 v[200:201], v[46:47], v[178:179]
	s_waitcnt vmcnt(28)
	v_fmac_f64_e32 v[200:201], v[48:49], v[180:181]
	v_add_f64 v[228:229], v[198:199], v[200:201]
	buffer_load_dword v200, off, s[0:3], 0 offset:776
	buffer_load_dword v202, off, s[0:3], 0 offset:768
	;; [unrolled: 1-line block ×12, first 2 shown]
	ds_read_b128 v[54:57], v1 offset:1536
	s_waitcnt lgkmcnt(1)
	v_mul_f64 v[4:5], v[50:51], v[148:149]
	v_fma_f64 v[96:97], v[112:113], v[84:85], -v[58:59]
	v_fmac_f64_e32 v[4:5], v[52:53], v[152:153]
	v_mul_f64 v[58:59], v[222:223], v[68:69]
	v_add_f64 v[4:5], v[228:229], v[4:5]
	v_fma_f64 v[228:229], v[220:221], v[82:83], -v[58:59]
	s_waitcnt vmcnt(34) lgkmcnt(0)
	v_mul_f64 v[58:59], v[54:55], v[182:183]
	s_waitcnt vmcnt(32)
	v_fmac_f64_e32 v[58:59], v[56:57], v[184:185]
	buffer_load_dword v211, off, s[0:3], 0 offset:828
	buffer_load_dword v210, off, s[0:3], 0 offset:824
	buffer_load_dword v213, off, s[0:3], 0 offset:820
	buffer_load_dword v212, off, s[0:3], 0 offset:816
	buffer_load_dword v214, off, s[0:3], 0 offset:840
	buffer_load_dword v216, off, s[0:3], 0 offset:832
	buffer_load_dword v215, off, s[0:3], 0 offset:844
	buffer_load_dword v217, off, s[0:3], 0 offset:836
	buffer_load_dword v219, off, s[0:3], 0 offset:860
	buffer_load_dword v218, off, s[0:3], 0 offset:856
	buffer_load_dword v231, off, s[0:3], 0 offset:852
	buffer_load_dword v230, off, s[0:3], 0 offset:848
	buffer_load_dword v220, off, s[0:3], 0 offset:872
	buffer_load_dword v222, off, s[0:3], 0 offset:864
	buffer_load_dword v221, off, s[0:3], 0 offset:876
	buffer_load_dword v223, off, s[0:3], 0 offset:868
	v_add_f64 v[4:5], v[4:5], v[58:59]
	ds_read_b128 v[58:61], v1 offset:1552
	v_mul_f64 v[62:63], v[238:239], v[64:65]
	v_fma_f64 v[108:109], v[236:237], v[66:67], -v[62:63]
	ds_read_b128 v[62:65], v1 offset:1568
	v_mul_f64 v[66:67], v[242:243], v[70:71]
	v_fma_f64 v[240:241], v[240:241], v[72:73], -v[66:67]
	ds_read_b128 v[66:69], v1 offset:1584
	ds_read_b128 v[74:77], v1 offset:1616
	s_waitcnt lgkmcnt(3)
	v_mul_f64 v[82:83], v[58:59], v[156:157]
	v_fmac_f64_e32 v[82:83], v[60:61], v[160:161]
	s_waitcnt vmcnt(42) lgkmcnt(2)
	v_mul_f64 v[70:71], v[62:63], v[186:187]
	v_add_f64 v[4:5], v[4:5], v[82:83]
	s_waitcnt vmcnt(40)
	v_fmac_f64_e32 v[70:71], v[64:65], v[188:189]
	v_add_f64 v[4:5], v[4:5], v[70:71]
	s_waitcnt lgkmcnt(1)
	v_mul_f64 v[70:71], v[66:67], v[164:165]
	v_fmac_f64_e32 v[70:71], v[68:69], v[168:169]
	v_add_f64 v[4:5], v[4:5], v[70:71]
	ds_read_b128 v[70:73], v1 offset:1600
	ds_read_b128 v[78:81], v1 offset:1632
	v_mul_f64 v[100:101], v[100:101], v[102:103]
	v_mul_f64 v[102:103], v[234:235], v[106:107]
	v_fma_f64 v[102:103], v[232:233], v[116:117], -v[102:103]
	s_waitcnt vmcnt(34) lgkmcnt(1)
	v_mul_f64 v[82:83], v[70:71], v[190:191]
	s_waitcnt vmcnt(32)
	v_fmac_f64_e32 v[82:83], v[72:73], v[192:193]
	v_add_f64 v[4:5], v[4:5], v[82:83]
	v_mul_f64 v[82:83], v[74:75], v[172:173]
	v_fmac_f64_e32 v[82:83], v[76:77], v[176:177]
	v_add_f64 v[4:5], v[4:5], v[82:83]
	v_accvgpr_write_b32 a173, v103
	ds_read_b128 v[90:93], v1 offset:1680
	ds_read_b128 v[224:227], v1 offset:1696
	v_fma_f64 v[250:251], v[98:99], v[104:105], -v[100:101]
	ds_read_b128 v[98:101], v1 offset:1712
	v_accvgpr_write_b32 a172, v102
	ds_read_b128 v[102:105], v1 offset:1728
	ds_read_b128 v[232:235], v1 offset:1744
	v_add_f64 v[2:3], v[2:3], 0
	ds_read_b128 v[86:89], v1 offset:1664
	v_add_f64 v[2:3], v[2:3], v[94:95]
	v_add_f64 v[2:3], v[2:3], v[96:97]
	;; [unrolled: 1-line block ×9, first 2 shown]
	v_accvgpr_read_b32 v94, a168
	v_add_f64 v[252:253], v[2:3], v[250:251]
	v_accvgpr_read_b32 v2, a172
	v_accvgpr_read_b32 v95, a169
	;; [unrolled: 1-line block ×4, first 2 shown]
	v_mul_f64 v[94:95], v[120:121], v[94:95]
	v_accvgpr_read_b32 v97, a171
	v_add_f64 v[2:3], v[252:253], v[2:3]
	v_fma_f64 v[94:95], v[118:119], v[96:97], -v[94:95]
	v_mul_f64 v[8:9], v[8:9], v[138:139]
	s_waitcnt vmcnt(30) lgkmcnt(6)
	v_mul_f64 v[82:83], v[78:79], v[194:195]
	v_add_f64 v[2:3], v[2:3], v[94:95]
	s_waitcnt vmcnt(28)
	v_fmac_f64_e32 v[82:83], v[80:81], v[196:197]
	v_add_f64 v[4:5], v[4:5], v[82:83]
	ds_read_b128 v[82:85], v1 offset:1648
	buffer_load_dword v237, off, s[0:3], 0 offset:892
	buffer_load_dword v236, off, s[0:3], 0 offset:888
	;; [unrolled: 1-line block ×4, first 2 shown]
	v_fma_f64 v[6:7], v[6:7], v[142:143], -v[8:9]
	v_add_f64 v[2:3], v[2:3], v[6:7]
	v_mul_f64 v[6:7], v[12:13], v[122:123]
	s_waitcnt vmcnt(29) lgkmcnt(0)
	v_mul_f64 v[110:111], v[82:83], v[200:201]
	s_waitcnt vmcnt(28)
	v_fmac_f64_e32 v[110:111], v[84:85], v[202:203]
	v_add_f64 v[4:5], v[4:5], v[110:111]
	s_waitcnt vmcnt(25)
	v_mul_f64 v[110:111], v[86:87], v[204:205]
	s_waitcnt vmcnt(23)
	v_fmac_f64_e32 v[110:111], v[88:89], v[208:209]
	v_add_f64 v[4:5], v[4:5], v[110:111]
	s_waitcnt vmcnt(22)
	;; [unrolled: 5-line block ×6, first 2 shown]
	v_mul_f64 v[110:111], v[232:233], v[220:221]
	s_waitcnt vmcnt(4)
	v_fmac_f64_e32 v[110:111], v[234:235], v[222:223]
	v_add_f64 v[4:5], v[4:5], v[110:111]
	ds_read_b128 v[110:113], v1 offset:1760
	buffer_load_dword v242, off, s[0:3], 0 offset:904
	buffer_load_dword v243, off, s[0:3], 0 offset:908
	;; [unrolled: 1-line block ×4, first 2 shown]
	v_fma_f64 v[6:7], v[10:11], v[124:125], -v[6:7]
	v_add_f64 v[2:3], v[2:3], v[6:7]
	v_mul_f64 v[6:7], v[16:17], v[146:147]
	v_fma_f64 v[6:7], v[14:15], v[150:151], -v[6:7]
	v_add_f64 v[2:3], v[2:3], v[6:7]
	v_mul_f64 v[6:7], v[20:21], v[126:127]
	;; [unrolled: 3-line block ×17, first 2 shown]
	s_waitcnt vmcnt(6) lgkmcnt(0)
	v_mul_f64 v[114:115], v[110:111], v[236:237]
	v_fma_f64 v[6:7], v[78:79], v[196:197], -v[6:7]
	s_waitcnt vmcnt(4)
	v_fmac_f64_e32 v[114:115], v[112:113], v[238:239]
	v_add_f64 v[4:5], v[4:5], v[114:115]
	ds_read_b128 v[114:117], v1 offset:1776
	buffer_load_dword v248, off, s[0:3], 0 offset:240
	buffer_load_dword v249, off, s[0:3], 0 offset:244
	;; [unrolled: 1-line block ×4, first 2 shown]
	v_add_f64 v[2:3], v[2:3], v[6:7]
	v_mul_f64 v[6:7], v[84:85], v[200:201]
	v_fma_f64 v[6:7], v[82:83], v[202:203], -v[6:7]
	v_add_f64 v[2:3], v[2:3], v[6:7]
	v_mul_f64 v[6:7], v[88:89], v[204:205]
	v_fma_f64 v[6:7], v[86:87], v[208:209], -v[6:7]
	;; [unrolled: 3-line block ×8, first 2 shown]
	v_add_f64 v[2:3], v[2:3], v[6:7]
	s_waitcnt vmcnt(6) lgkmcnt(0)
	v_mul_f64 v[6:7], v[116:117], v[242:243]
	v_mul_f64 v[106:107], v[114:115], v[242:243]
	s_waitcnt vmcnt(4)
	v_fma_f64 v[6:7], v[114:115], v[244:245], -v[6:7]
	v_fmac_f64_e32 v[106:107], v[116:117], v[244:245]
	v_add_f64 v[2:3], v[2:3], v[6:7]
	v_add_f64 v[4:5], v[4:5], v[106:107]
	s_waitcnt vmcnt(2)
	v_add_f64 v[2:3], v[248:249], -v[2:3]
	s_waitcnt vmcnt(0)
	v_add_f64 v[4:5], v[246:247], -v[4:5]
	buffer_store_dword v3, off, s[0:3], 0 offset:244
	buffer_store_dword v2, off, s[0:3], 0 offset:240
	;; [unrolled: 1-line block ×4, first 2 shown]
	s_and_saveexec_b64 s[4:5], vcc
	s_cbranch_execz .LBB55_323
; %bb.322:
	v_accvgpr_read_b32 v5, a154
	buffer_load_dword v2, v5, s[0:3], 0 offen
	buffer_load_dword v3, v5, s[0:3], 0 offen offset:4
	buffer_load_dword v4, v5, s[0:3], 0 offen offset:8
	s_nop 0
	buffer_load_dword v5, v5, s[0:3], 0 offen offset:12
	v_accvgpr_read_b32 v6, a167
	buffer_store_dword v1, off, s[0:3], 0 offset:224
	buffer_store_dword v1, off, s[0:3], 0 offset:228
	;; [unrolled: 1-line block ×4, first 2 shown]
	s_waitcnt vmcnt(4)
	ds_write_b128 v6, v[2:5]
.LBB55_323:
	s_or_b64 exec, exec, s[4:5]
	s_waitcnt lgkmcnt(0)
	; wave barrier
	s_waitcnt lgkmcnt(0)
	buffer_load_dword v58, off, s[0:3], 0 offset:240
	buffer_load_dword v59, off, s[0:3], 0 offset:244
	;; [unrolled: 1-line block ×42, first 2 shown]
	ds_read_b128 v[110:113], v1 offset:1120
	ds_read_b128 v[114:117], v1 offset:1136
	;; [unrolled: 1-line block ×10, first 2 shown]
	buffer_load_dword v229, off, s[0:3], 0 offset:388
	buffer_load_dword v228, off, s[0:3], 0 offset:384
	ds_read_b128 v[90:93], v1 offset:1280
	buffer_load_dword v105, off, s[0:3], 0 offset:444
	buffer_load_dword v104, off, s[0:3], 0 offset:440
	;; [unrolled: 1-line block ×6, first 2 shown]
	v_cmp_lt_u32_e32 vcc, 12, v0
	s_waitcnt vmcnt(46) lgkmcnt(10)
	v_mul_f64 v[2:3], v[110:111], v[60:61]
	v_fmac_f64_e32 v[2:3], v[112:113], v[58:59]
	v_add_f64 v[2:3], v[2:3], 0
	v_mul_f64 v[60:61], v[112:113], v[60:61]
	s_waitcnt vmcnt(42) lgkmcnt(9)
	v_mul_f64 v[4:5], v[114:115], v[62:63]
	v_fmac_f64_e32 v[4:5], v[116:117], v[56:57]
	v_add_f64 v[2:3], v[2:3], v[4:5]
	buffer_load_dword v233, off, s[0:3], 0 offset:420
	buffer_load_dword v232, off, s[0:3], 0 offset:416
	;; [unrolled: 1-line block ×4, first 2 shown]
	s_waitcnt vmcnt(44) lgkmcnt(8)
	v_mul_f64 v[6:7], v[210:211], v[218:219]
	s_waitcnt vmcnt(42) lgkmcnt(6)
	v_mul_f64 v[10:11], v[220:221], v[64:65]
	s_waitcnt vmcnt(40)
	v_fmac_f64_e32 v[10:11], v[222:223], v[66:67]
	s_waitcnt vmcnt(38)
	v_mul_f64 v[8:9], v[214:215], v[68:69]
	s_waitcnt vmcnt(36) lgkmcnt(4)
	v_mul_f64 v[14:15], v[236:237], v[70:71]
	s_waitcnt vmcnt(34)
	v_fmac_f64_e32 v[14:15], v[238:239], v[72:73]
	s_waitcnt vmcnt(32)
	v_mul_f64 v[12:13], v[224:225], v[74:75]
	s_waitcnt vmcnt(30) lgkmcnt(2)
	v_mul_f64 v[18:19], v[244:245], v[78:79]
	v_mul_f64 v[78:79], v[246:247], v[78:79]
	s_waitcnt vmcnt(27)
	v_mul_f64 v[16:17], v[240:241], v[76:77]
	s_waitcnt vmcnt(25) lgkmcnt(1)
	v_mul_f64 v[20:21], v[82:83], v[86:87]
	s_waitcnt vmcnt(23)
	v_fmac_f64_e32 v[6:7], v[212:213], v[100:101]
	v_add_f64 v[2:3], v[2:3], v[6:7]
	s_waitcnt vmcnt(21)
	v_fmac_f64_e32 v[8:9], v[216:217], v[98:99]
	v_add_f64 v[2:3], v[2:3], v[8:9]
	;; [unrolled: 3-line block ×3, first 2 shown]
	v_add_f64 v[2:3], v[2:3], v[12:13]
	s_waitcnt vmcnt(17)
	v_fmac_f64_e32 v[16:17], v[242:243], v[88:89]
	v_add_f64 v[2:3], v[2:3], v[14:15]
	s_waitcnt vmcnt(16)
	v_fmac_f64_e32 v[18:19], v[246:247], v[80:81]
	v_add_f64 v[2:3], v[2:3], v[16:17]
	v_add_f64 v[2:3], v[2:3], v[18:19]
	v_fma_f64 v[246:247], v[244:245], v[80:81], -v[78:79]
	s_waitcnt vmcnt(10)
	v_fmac_f64_e32 v[20:21], v[84:85], v[228:229]
	v_add_f64 v[2:3], v[2:3], v[20:21]
	v_mul_f64 v[84:85], v[84:85], v[86:87]
	s_waitcnt vmcnt(0)
	v_pk_mov_b32 v[18:19], v[4:5], v[4:5] op_sel:[0,1]
	buffer_load_dword v5, off, s[0:3], 0 offset:468
	buffer_load_dword v4, off, s[0:3], 0 offset:464
	v_accvgpr_write_b32 a169, v19
	v_accvgpr_write_b32 a168, v18
	s_waitcnt vmcnt(0)
	v_pk_mov_b32 v[22:23], v[4:5], v[4:5] op_sel:[0,1]
	buffer_load_dword v135, off, s[0:3], 0 offset:460
	buffer_load_dword v134, off, s[0:3], 0 offset:456
	;; [unrolled: 1-line block ×6, first 2 shown]
	v_accvgpr_write_b32 a171, v23
	v_accvgpr_write_b32 a170, v22
	s_waitcnt vmcnt(0)
	v_pk_mov_b32 v[26:27], v[4:5], v[4:5] op_sel:[0,1]
	buffer_load_dword v5, off, s[0:3], 0 offset:500
	buffer_load_dword v4, off, s[0:3], 0 offset:496
	v_accvgpr_write_b32 a173, v27
	v_accvgpr_write_b32 a172, v26
	s_waitcnt vmcnt(0)
	v_pk_mov_b32 v[28:29], v[4:5], v[4:5] op_sel:[0,1]
	buffer_load_dword v143, off, s[0:3], 0 offset:492
	buffer_load_dword v142, off, s[0:3], 0 offset:488
	;; [unrolled: 1-line block ×60, first 2 shown]
	ds_read_b128 v[248:251], v1 offset:1296
	ds_read_b128 v[252:255], v1 offset:1312
	;; [unrolled: 1-line block ×5, first 2 shown]
	v_accvgpr_write_b32 a175, v29
	s_waitcnt lgkmcnt(3)
	v_mul_f64 v[8:9], v[252:253], v[104:105]
	v_fmac_f64_e32 v[8:9], v[254:255], v[106:107]
	s_waitcnt lgkmcnt(2)
	v_mul_f64 v[12:13], v[118:119], v[134:135]
	v_fmac_f64_e32 v[12:13], v[120:121], v[138:139]
	;; [unrolled: 3-line block ×3, first 2 shown]
	v_accvgpr_write_b32 a174, v28
	s_waitcnt vmcnt(54)
	v_pk_mov_b32 v[34:35], v[4:5], v[4:5] op_sel:[0,1]
	v_mul_f64 v[4:5], v[90:91], v[96:97]
	v_fmac_f64_e32 v[4:5], v[92:93], v[102:103]
	v_add_f64 v[2:3], v[2:3], v[4:5]
	v_mul_f64 v[4:5], v[248:249], v[108:109]
	v_fmac_f64_e32 v[4:5], v[250:251], v[232:233]
	v_add_f64 v[6:7], v[2:3], v[4:5]
	v_add_f64 v[10:11], v[6:7], v[8:9]
	;; [unrolled: 1-line block ×4, first 2 shown]
	ds_read_b128 v[14:17], v1 offset:1376
	s_waitcnt lgkmcnt(1)
	v_mul_f64 v[20:21], v[122:123], v[142:143]
	v_fmac_f64_e32 v[20:21], v[124:125], v[146:147]
	v_add_f64 v[22:23], v[18:19], v[20:21]
	ds_read_b128 v[18:21], v1 offset:1392
	s_waitcnt lgkmcnt(1)
	v_mul_f64 v[24:25], v[14:15], v[26:27]
	v_fmac_f64_e32 v[24:25], v[16:17], v[28:29]
	v_add_f64 v[26:27], v[22:23], v[24:25]
	ds_read_b128 v[22:25], v1 offset:1408
	s_waitcnt vmcnt(50) lgkmcnt(1)
	v_mul_f64 v[28:29], v[18:19], v[150:151]
	s_waitcnt vmcnt(48)
	v_fmac_f64_e32 v[28:29], v[20:21], v[154:155]
	v_add_f64 v[30:31], v[26:27], v[28:29]
	ds_read_b128 v[26:29], v1 offset:1424
	s_waitcnt lgkmcnt(1)
	v_mul_f64 v[32:33], v[22:23], v[34:35]
	v_accvgpr_write_b32 a177, v35
	v_fmac_f64_e32 v[32:33], v[24:25], v[128:129]
	v_accvgpr_write_b32 a176, v34
	v_add_f64 v[34:35], v[30:31], v[32:33]
	ds_read_b128 v[30:33], v1 offset:1440
	s_waitcnt vmcnt(42) lgkmcnt(1)
	v_mul_f64 v[36:37], v[26:27], v[158:159]
	s_waitcnt vmcnt(40)
	v_fmac_f64_e32 v[36:37], v[28:29], v[162:163]
	v_add_f64 v[38:39], v[34:35], v[36:37]
	ds_read_b128 v[34:37], v1 offset:1456
	s_waitcnt lgkmcnt(1)
	v_mul_f64 v[40:41], v[30:31], v[130:131]
	v_fmac_f64_e32 v[40:41], v[32:33], v[132:133]
	v_add_f64 v[42:43], v[38:39], v[40:41]
	ds_read_b128 v[38:41], v1 offset:1472
	s_waitcnt vmcnt(34) lgkmcnt(1)
	v_mul_f64 v[44:45], v[34:35], v[166:167]
	s_waitcnt vmcnt(32)
	v_fmac_f64_e32 v[44:45], v[36:37], v[170:171]
	v_add_f64 v[46:47], v[42:43], v[44:45]
	ds_read_b128 v[42:45], v1 offset:1488
	s_waitcnt lgkmcnt(1)
	v_mul_f64 v[48:49], v[38:39], v[136:137]
	v_fmac_f64_e32 v[48:49], v[40:41], v[140:141]
	v_add_f64 v[50:51], v[46:47], v[48:49]
	ds_read_b128 v[46:49], v1 offset:1504
	s_waitcnt vmcnt(26) lgkmcnt(1)
	v_mul_f64 v[52:53], v[42:43], v[174:175]
	s_waitcnt vmcnt(24)
	v_fmac_f64_e32 v[52:53], v[44:45], v[176:177]
	v_add_f64 v[234:235], v[50:51], v[52:53]
	ds_read_b128 v[50:53], v1 offset:1520
	buffer_load_dword v13, off, s[0:3], 0 offset:748
	buffer_load_dword v12, off, s[0:3], 0 offset:744
	buffer_load_dword v127, off, s[0:3], 0 offset:740
	buffer_load_dword v126, off, s[0:3], 0 offset:736
	buffer_load_dword v196, off, s[0:3], 0 offset:760
	buffer_load_dword v198, off, s[0:3], 0 offset:752
	buffer_load_dword v197, off, s[0:3], 0 offset:764
	buffer_load_dword v199, off, s[0:3], 0 offset:756
	buffer_load_dword v195, off, s[0:3], 0 offset:796
	buffer_load_dword v201, off, s[0:3], 0 offset:780
	buffer_load_dword v200, off, s[0:3], 0 offset:776
	buffer_load_dword v207, off, s[0:3], 0 offset:772
	buffer_load_dword v206, off, s[0:3], 0 offset:768
	buffer_load_dword v194, off, s[0:3], 0 offset:792
	buffer_load_dword v205, off, s[0:3], 0 offset:788
	buffer_load_dword v204, off, s[0:3], 0 offset:784
	buffer_load_dword v203, off, s[0:3], 0 offset:812
	buffer_load_dword v202, off, s[0:3], 0 offset:808
	buffer_load_dword v209, off, s[0:3], 0 offset:804
	buffer_load_dword v208, off, s[0:3], 0 offset:800
	v_mul_f64 v[4:5], v[116:117], v[62:63]
	v_fma_f64 v[8:9], v[114:115], v[56:57], -v[4:5]
	v_mul_f64 v[56:57], v[212:213], v[218:219]
	v_fma_f64 v[10:11], v[110:111], v[58:59], -v[60:61]
	v_fma_f64 v[58:59], v[210:211], v[100:101], -v[56:57]
	v_mul_f64 v[56:57], v[216:217], v[68:69]
	v_fma_f64 v[60:61], v[214:215], v[98:99], -v[56:57]
	buffer_load_dword v212, off, s[0:3], 0 offset:824
	buffer_load_dword v214, off, s[0:3], 0 offset:816
	;; [unrolled: 1-line block ×12, first 2 shown]
	s_waitcnt lgkmcnt(1)
	v_mul_f64 v[54:55], v[46:47], v[144:145]
	v_fmac_f64_e32 v[54:55], v[48:49], v[148:149]
	v_add_f64 v[62:63], v[234:235], v[54:55]
	v_mul_f64 v[54:55], v[222:223], v[64:65]
	v_fma_f64 v[98:99], v[220:221], v[66:67], -v[54:55]
	buffer_load_dword v221, off, s[0:3], 0 offset:876
	buffer_load_dword v220, off, s[0:3], 0 offset:872
	;; [unrolled: 1-line block ×4, first 2 shown]
	s_waitcnt vmcnt(54) lgkmcnt(0)
	v_mul_f64 v[64:65], v[50:51], v[178:179]
	ds_read_b128 v[54:57], v1 offset:1536
	s_waitcnt vmcnt(52)
	v_fmac_f64_e32 v[64:65], v[52:53], v[180:181]
	v_add_f64 v[62:63], v[62:63], v[64:65]
	v_mul_f64 v[64:65], v[226:227], v[74:75]
	v_fma_f64 v[100:101], v[224:225], v[94:95], -v[64:65]
	ds_read_b128 v[222:225], v1 offset:1552
	s_waitcnt lgkmcnt(1)
	v_mul_f64 v[64:65], v[54:55], v[152:153]
	v_fmac_f64_e32 v[64:65], v[56:57], v[156:157]
	v_add_f64 v[74:75], v[62:63], v[64:65]
	ds_read_b128 v[62:65], v1 offset:1568
	v_mul_f64 v[66:67], v[238:239], v[70:71]
	s_waitcnt vmcnt(46) lgkmcnt(1)
	v_mul_f64 v[70:71], v[222:223], v[182:183]
	v_fma_f64 v[236:237], v[236:237], v[72:73], -v[66:67]
	ds_read_b128 v[66:69], v1 offset:1584
	s_waitcnt vmcnt(44)
	v_fmac_f64_e32 v[70:71], v[224:225], v[184:185]
	v_add_f64 v[74:75], v[74:75], v[70:71]
	v_mul_f64 v[70:71], v[242:243], v[76:77]
	v_fma_f64 v[6:7], v[240:241], v[88:89], -v[70:71]
	ds_read_b128 v[70:73], v1 offset:1600
	ds_read_b128 v[78:81], v1 offset:1632
	s_waitcnt lgkmcnt(3)
	v_mul_f64 v[94:95], v[62:63], v[160:161]
	v_fmac_f64_e32 v[94:95], v[64:65], v[164:165]
	s_waitcnt vmcnt(38) lgkmcnt(2)
	v_mul_f64 v[76:77], v[66:67], v[186:187]
	v_add_f64 v[74:75], v[74:75], v[94:95]
	s_waitcnt vmcnt(36)
	v_fmac_f64_e32 v[76:77], v[68:69], v[188:189]
	v_add_f64 v[74:75], v[74:75], v[76:77]
	s_waitcnt lgkmcnt(1)
	v_mul_f64 v[76:77], v[70:71], v[168:169]
	v_fmac_f64_e32 v[76:77], v[72:73], v[172:173]
	v_add_f64 v[88:89], v[74:75], v[76:77]
	ds_read_b128 v[74:77], v1 offset:1616
	v_fma_f64 v[4:5], v[82:83], v[228:229], -v[84:85]
	ds_read_b128 v[82:85], v1 offset:1648
	v_mul_f64 v[92:93], v[92:93], v[96:97]
	v_fma_f64 v[2:3], v[90:91], v[102:103], -v[92:93]
	ds_read_b128 v[226:229], v1 offset:1696
	v_mul_f64 v[102:103], v[250:251], v[108:109]
	v_fma_f64 v[250:251], v[248:249], v[232:233], -v[102:103]
	v_mul_f64 v[102:103], v[254:255], v[104:105]
	v_fma_f64 v[252:253], v[252:253], v[106:107], -v[102:103]
	ds_read_b128 v[102:105], v1 offset:1728
	v_add_f64 v[10:11], v[10:11], 0
	v_add_f64 v[8:9], v[10:11], v[8:9]
	;; [unrolled: 1-line block ×4, first 2 shown]
	ds_read_b128 v[90:93], v1 offset:1680
	v_add_f64 v[8:9], v[8:9], v[98:99]
	v_add_f64 v[8:9], v[8:9], v[100:101]
	;; [unrolled: 1-line block ×8, first 2 shown]
	v_mul_f64 v[4:5], v[120:121], v[134:135]
	v_add_f64 v[2:3], v[2:3], v[252:253]
	s_waitcnt vmcnt(25) lgkmcnt(3)
	v_mul_f64 v[96:97], v[82:83], v[200:201]
	v_fma_f64 v[4:5], v[118:119], v[138:139], -v[4:5]
	s_waitcnt vmcnt(23)
	v_fmac_f64_e32 v[96:97], v[84:85], v[206:207]
	v_add_f64 v[2:3], v[2:3], v[4:5]
	v_mul_f64 v[94:95], v[74:75], v[12:13]
	v_accvgpr_read_b32 v4, a168
	v_fmac_f64_e32 v[94:95], v[76:77], v[126:127]
	v_mul_f64 v[86:87], v[78:79], v[196:197]
	v_add_f64 v[88:89], v[88:89], v[94:95]
	v_fmac_f64_e32 v[86:87], v[80:81], v[198:199]
	v_add_f64 v[94:95], v[88:89], v[86:87]
	ds_read_b128 v[86:89], v1 offset:1664
	v_add_f64 v[94:95], v[94:95], v[96:97]
	v_accvgpr_read_b32 v5, a169
	v_accvgpr_read_b32 v6, a170
	v_mul_f64 v[4:5], v[192:193], v[4:5]
	s_waitcnt vmcnt(22) lgkmcnt(0)
	v_mul_f64 v[96:97], v[86:87], v[194:195]
	s_waitcnt vmcnt(20)
	v_fmac_f64_e32 v[96:97], v[88:89], v[204:205]
	v_add_f64 v[94:95], v[94:95], v[96:97]
	s_waitcnt vmcnt(18)
	v_mul_f64 v[96:97], v[90:91], v[202:203]
	s_waitcnt vmcnt(16)
	v_fmac_f64_e32 v[96:97], v[92:93], v[208:209]
	v_add_f64 v[108:109], v[94:95], v[96:97]
	ds_read_b128 v[94:97], v1 offset:1712
	s_waitcnt vmcnt(13)
	v_mul_f64 v[106:107], v[226:227], v[212:213]
	s_waitcnt vmcnt(12)
	v_fmac_f64_e32 v[106:107], v[228:229], v[214:215]
	v_add_f64 v[106:107], v[108:109], v[106:107]
	v_accvgpr_read_b32 v7, a171
	s_waitcnt vmcnt(9) lgkmcnt(0)
	v_mul_f64 v[108:109], v[94:95], v[218:219]
	s_waitcnt vmcnt(7)
	v_fmac_f64_e32 v[108:109], v[96:97], v[230:231]
	v_add_f64 v[106:107], v[106:107], v[108:109]
	s_waitcnt vmcnt(5)
	v_mul_f64 v[108:109], v[102:103], v[210:211]
	s_waitcnt vmcnt(4)
	v_fmac_f64_e32 v[108:109], v[104:105], v[216:217]
	v_add_f64 v[110:111], v[106:107], v[108:109]
	ds_read_b128 v[106:109], v1 offset:1744
	buffer_load_dword v232, off, s[0:3], 0 offset:888
	buffer_load_dword v233, off, s[0:3], 0 offset:892
	;; [unrolled: 1-line block ×4, first 2 shown]
	v_fma_f64 v[4:5], v[190:191], v[6:7], -v[4:5]
	v_add_f64 v[2:3], v[2:3], v[4:5]
	v_mul_f64 v[4:5], v[124:125], v[142:143]
	s_waitcnt vmcnt(6) lgkmcnt(0)
	v_mul_f64 v[112:113], v[106:107], v[220:221]
	s_waitcnt vmcnt(4)
	v_fmac_f64_e32 v[112:113], v[108:109], v[234:235]
	v_add_f64 v[114:115], v[110:111], v[112:113]
	ds_read_b128 v[110:113], v1 offset:1760
	buffer_load_dword v243, off, s[0:3], 0 offset:908
	buffer_load_dword v242, off, s[0:3], 0 offset:904
	;; [unrolled: 1-line block ×4, first 2 shown]
	v_fma_f64 v[4:5], v[122:123], v[146:147], -v[4:5]
	v_add_f64 v[2:3], v[2:3], v[4:5]
	v_accvgpr_read_b32 v4, a172
	v_accvgpr_read_b32 v5, a173
	;; [unrolled: 1-line block ×3, first 2 shown]
	v_mul_f64 v[4:5], v[16:17], v[4:5]
	v_accvgpr_read_b32 v7, a175
	v_fma_f64 v[4:5], v[14:15], v[6:7], -v[4:5]
	v_add_f64 v[2:3], v[2:3], v[4:5]
	v_mul_f64 v[4:5], v[20:21], v[150:151]
	v_fma_f64 v[4:5], v[18:19], v[154:155], -v[4:5]
	v_add_f64 v[2:3], v[2:3], v[4:5]
	v_accvgpr_read_b32 v4, a176
	v_accvgpr_read_b32 v5, a177
	v_mul_f64 v[4:5], v[24:25], v[4:5]
	v_fma_f64 v[4:5], v[22:23], v[128:129], -v[4:5]
	v_add_f64 v[2:3], v[2:3], v[4:5]
	v_mul_f64 v[4:5], v[28:29], v[158:159]
	v_fma_f64 v[4:5], v[26:27], v[162:163], -v[4:5]
	v_add_f64 v[2:3], v[2:3], v[4:5]
	;; [unrolled: 3-line block ×18, first 2 shown]
	v_mul_f64 v[4:5], v[228:229], v[212:213]
	s_waitcnt vmcnt(6) lgkmcnt(0)
	v_mul_f64 v[116:117], v[110:111], v[232:233]
	v_fma_f64 v[4:5], v[226:227], v[214:215], -v[4:5]
	s_waitcnt vmcnt(4)
	v_fmac_f64_e32 v[116:117], v[112:113], v[238:239]
	v_add_f64 v[240:241], v[114:115], v[116:117]
	ds_read_b128 v[114:117], v1 offset:1776
	v_add_f64 v[2:3], v[2:3], v[4:5]
	v_mul_f64 v[4:5], v[96:97], v[218:219]
	v_fma_f64 v[4:5], v[94:95], v[230:231], -v[4:5]
	v_add_f64 v[2:3], v[2:3], v[4:5]
	s_waitcnt vmcnt(2) lgkmcnt(0)
	v_mul_f64 v[248:249], v[114:115], v[242:243]
	s_waitcnt vmcnt(0)
	v_fmac_f64_e32 v[248:249], v[116:117], v[244:245]
	v_add_f64 v[240:241], v[240:241], v[248:249]
	buffer_load_dword v248, off, s[0:3], 0 offset:224
	buffer_load_dword v249, off, s[0:3], 0 offset:228
	;; [unrolled: 1-line block ×4, first 2 shown]
	v_mul_f64 v[4:5], v[104:105], v[210:211]
	v_fma_f64 v[4:5], v[102:103], v[216:217], -v[4:5]
	v_add_f64 v[2:3], v[2:3], v[4:5]
	v_mul_f64 v[4:5], v[108:109], v[220:221]
	v_fma_f64 v[4:5], v[106:107], v[234:235], -v[4:5]
	v_add_f64 v[2:3], v[2:3], v[4:5]
	;; [unrolled: 3-line block ×4, first 2 shown]
	s_waitcnt vmcnt(2)
	v_add_f64 v[2:3], v[248:249], -v[2:3]
	s_waitcnt vmcnt(0)
	v_add_f64 v[4:5], v[246:247], -v[240:241]
	buffer_store_dword v3, off, s[0:3], 0 offset:228
	buffer_store_dword v2, off, s[0:3], 0 offset:224
	;; [unrolled: 1-line block ×4, first 2 shown]
	s_and_saveexec_b64 s[4:5], vcc
	s_cbranch_execz .LBB55_325
; %bb.324:
	v_accvgpr_read_b32 v1, a155
	buffer_load_dword v2, v1, s[0:3], 0 offen
	buffer_load_dword v3, v1, s[0:3], 0 offen offset:4
	buffer_load_dword v4, v1, s[0:3], 0 offen offset:8
	;; [unrolled: 1-line block ×3, first 2 shown]
	v_mov_b32_e32 v1, 0
	v_accvgpr_read_b32 v6, a167
	buffer_store_dword v1, off, s[0:3], 0 offset:208
	buffer_store_dword v1, off, s[0:3], 0 offset:212
	;; [unrolled: 1-line block ×4, first 2 shown]
	s_waitcnt vmcnt(4)
	ds_write_b128 v6, v[2:5]
.LBB55_325:
	s_or_b64 exec, exec, s[4:5]
	s_waitcnt lgkmcnt(0)
	; wave barrier
	s_waitcnt lgkmcnt(0)
	buffer_load_dword v50, off, s[0:3], 0 offset:224
	buffer_load_dword v51, off, s[0:3], 0 offset:228
	buffer_load_dword v198, off, s[0:3], 0 offset:232
	buffer_load_dword v199, off, s[0:3], 0 offset:236
	buffer_load_dword v52, off, s[0:3], 0 offset:240
	buffer_load_dword v53, off, s[0:3], 0 offset:244
	buffer_load_dword v58, off, s[0:3], 0 offset:248
	buffer_load_dword v59, off, s[0:3], 0 offset:252
	buffer_load_dword v202, off, s[0:3], 0 offset:264
	buffer_load_dword v203, off, s[0:3], 0 offset:268
	buffer_load_dword v211, off, s[0:3], 0 offset:300
	buffer_load_dword v210, off, s[0:3], 0 offset:296
	buffer_load_dword v61, off, s[0:3], 0 offset:292
	buffer_load_dword v60, off, s[0:3], 0 offset:288
	buffer_load_dword v65, off, s[0:3], 0 offset:284
	buffer_load_dword v64, off, s[0:3], 0 offset:280
	buffer_load_dword v67, off, s[0:3], 0 offset:332
	buffer_load_dword v66, off, s[0:3], 0 offset:328
	buffer_load_dword v71, off, s[0:3], 0 offset:324
	buffer_load_dword v70, off, s[0:3], 0 offset:320
	buffer_load_dword v77, off, s[0:3], 0 offset:316
	buffer_load_dword v76, off, s[0:3], 0 offset:312
	buffer_load_dword v69, off, s[0:3], 0 offset:348
	buffer_load_dword v68, off, s[0:3], 0 offset:344
	buffer_load_dword v82, off, s[0:3], 0 offset:256
	buffer_load_dword v83, off, s[0:3], 0 offset:260
	buffer_load_dword v81, off, s[0:3], 0 offset:276
	buffer_load_dword v80, off, s[0:3], 0 offset:272
	buffer_load_dword v79, off, s[0:3], 0 offset:308
	buffer_load_dword v78, off, s[0:3], 0 offset:304
	buffer_load_dword v73, off, s[0:3], 0 offset:340
	buffer_load_dword v72, off, s[0:3], 0 offset:336
	buffer_load_dword v74, off, s[0:3], 0 offset:360
	buffer_load_dword v84, off, s[0:3], 0 offset:352
	buffer_load_dword v85, off, s[0:3], 0 offset:356
	buffer_load_dword v75, off, s[0:3], 0 offset:364
	buffer_load_dword v87, off, s[0:3], 0 offset:396
	buffer_load_dword v86, off, s[0:3], 0 offset:392
	buffer_load_dword v89, off, s[0:3], 0 offset:388
	buffer_load_dword v88, off, s[0:3], 0 offset:384
	buffer_load_dword v91, off, s[0:3], 0 offset:380
	buffer_load_dword v90, off, s[0:3], 0 offset:376
	buffer_load_dword v93, off, s[0:3], 0 offset:372
	buffer_load_dword v92, off, s[0:3], 0 offset:368
	buffer_load_dword v95, off, s[0:3], 0 offset:428
	buffer_load_dword v94, off, s[0:3], 0 offset:424
	buffer_load_dword v97, off, s[0:3], 0 offset:420
	buffer_load_dword v96, off, s[0:3], 0 offset:416
	buffer_load_dword v99, off, s[0:3], 0 offset:412
	buffer_load_dword v98, off, s[0:3], 0 offset:408
	buffer_load_dword v101, off, s[0:3], 0 offset:404
	buffer_load_dword v100, off, s[0:3], 0 offset:400
	buffer_load_dword v3, off, s[0:3], 0 offset:460
	buffer_load_dword v2, off, s[0:3], 0 offset:456
	v_mov_b32_e32 v1, 0
	ds_read_b128 v[102:105], v1 offset:1104
	ds_read_b128 v[106:109], v1 offset:1120
	;; [unrolled: 1-line block ×9, first 2 shown]
	v_cmp_lt_u32_e32 vcc, 11, v0
	s_waitcnt vmcnt(46) lgkmcnt(7)
	v_mul_f64 v[4:5], v[106:107], v[58:59]
	v_fmac_f64_e32 v[4:5], v[108:109], v[52:53]
	s_waitcnt vmcnt(44) lgkmcnt(6)
	v_mul_f64 v[6:7], v[110:111], v[202:203]
	s_waitcnt vmcnt(42) lgkmcnt(4)
	v_mul_f64 v[10:11], v[206:207], v[210:211]
	s_waitcnt vmcnt(40)
	v_fmac_f64_e32 v[10:11], v[208:209], v[60:61]
	s_waitcnt vmcnt(38)
	v_mul_f64 v[8:9], v[114:115], v[64:65]
	s_waitcnt vmcnt(36) lgkmcnt(2)
	v_mul_f64 v[14:15], v[224:225], v[66:67]
	s_waitcnt vmcnt(34)
	v_fmac_f64_e32 v[14:15], v[226:227], v[70:71]
	s_waitcnt vmcnt(32)
	;; [unrolled: 6-line block ×3, first 2 shown]
	v_fmac_f64_e32 v[8:9], v[116:117], v[80:81]
	s_waitcnt vmcnt(24)
	v_fmac_f64_e32 v[12:13], v[222:223], v[78:79]
	s_waitcnt vmcnt(22)
	;; [unrolled: 2-line block ×3, first 2 shown]
	v_pk_mov_b32 v[18:19], v[2:3], v[2:3] op_sel:[0,1]
	v_mul_f64 v[2:3], v[102:103], v[198:199]
	v_fmac_f64_e32 v[2:3], v[104:105], v[50:51]
	v_add_f64 v[2:3], v[2:3], 0
	v_add_f64 v[2:3], v[2:3], v[4:5]
	buffer_load_dword v5, off, s[0:3], 0 offset:452
	buffer_load_dword v4, off, s[0:3], 0 offset:448
	v_add_f64 v[2:3], v[2:3], v[6:7]
	v_add_f64 v[2:3], v[2:3], v[8:9]
	;; [unrolled: 1-line block ×6, first 2 shown]
	v_accvgpr_write_b32 a169, v19
	v_accvgpr_write_b32 a168, v18
	s_waitcnt vmcnt(0)
	v_pk_mov_b32 v[14:15], v[4:5], v[4:5] op_sel:[0,1]
	buffer_load_dword v229, off, s[0:3], 0 offset:444
	buffer_load_dword v228, off, s[0:3], 0 offset:440
	;; [unrolled: 1-line block ×6, first 2 shown]
	v_accvgpr_write_b32 a171, v15
	v_accvgpr_write_b32 a170, v14
	s_waitcnt vmcnt(0)
	v_pk_mov_b32 v[22:23], v[4:5], v[4:5] op_sel:[0,1]
	buffer_load_dword v5, off, s[0:3], 0 offset:484
	buffer_load_dword v4, off, s[0:3], 0 offset:480
	v_accvgpr_write_b32 a173, v23
	v_accvgpr_write_b32 a172, v22
	s_waitcnt vmcnt(0)
	v_pk_mov_b32 v[24:25], v[4:5], v[4:5] op_sel:[0,1]
	buffer_load_dword v139, off, s[0:3], 0 offset:476
	buffer_load_dword v138, off, s[0:3], 0 offset:472
	;; [unrolled: 1-line block ×52, first 2 shown]
	ds_read_b128 v[240:243], v1 offset:1248
	ds_read_b128 v[244:247], v1 offset:1264
	;; [unrolled: 1-line block ×8, first 2 shown]
	v_accvgpr_write_b32 a175, v25
	s_waitcnt lgkmcnt(3)
	v_mul_f64 v[8:9], v[54:55], v[228:229]
	v_fmac_f64_e32 v[8:9], v[56:57], v[62:63]
	s_waitcnt lgkmcnt(2)
	v_mul_f64 v[12:13], v[122:123], v[18:19]
	v_fmac_f64_e32 v[12:13], v[124:125], v[14:15]
	;; [unrolled: 3-line block ×3, first 2 shown]
	v_accvgpr_write_b32 a174, v24
	v_mul_f64 v[56:57], v[56:57], v[228:229]
	s_waitcnt vmcnt(50)
	v_mul_f64 v[16:17], v[118:119], v[138:139]
	s_waitcnt vmcnt(48)
	v_fmac_f64_e32 v[16:17], v[120:121], v[142:143]
	s_waitcnt vmcnt(46)
	v_pk_mov_b32 v[30:31], v[4:5], v[4:5] op_sel:[0,1]
	v_mul_f64 v[4:5], v[236:237], v[74:75]
	v_fmac_f64_e32 v[4:5], v[238:239], v[84:85]
	v_add_f64 v[2:3], v[2:3], v[4:5]
	v_mul_f64 v[4:5], v[240:241], v[90:91]
	v_fmac_f64_e32 v[4:5], v[242:243], v[92:93]
	v_add_f64 v[2:3], v[2:3], v[4:5]
	v_mul_f64 v[4:5], v[244:245], v[86:87]
	v_fmac_f64_e32 v[4:5], v[246:247], v[88:89]
	v_add_f64 v[2:3], v[2:3], v[4:5]
	v_mul_f64 v[4:5], v[248:249], v[98:99]
	v_fmac_f64_e32 v[4:5], v[250:251], v[100:101]
	v_add_f64 v[2:3], v[2:3], v[4:5]
	v_mul_f64 v[4:5], v[252:253], v[94:95]
	v_fmac_f64_e32 v[4:5], v[254:255], v[96:97]
	v_add_f64 v[6:7], v[2:3], v[4:5]
	v_add_f64 v[10:11], v[6:7], v[8:9]
	v_add_f64 v[14:15], v[10:11], v[12:13]
	;; [unrolled: 1-line block ×3, first 2 shown]
	ds_read_b128 v[14:17], v1 offset:1376
	v_add_f64 v[22:23], v[18:19], v[20:21]
	ds_read_b128 v[18:21], v1 offset:1392
	v_accvgpr_write_b32 a177, v31
	v_accvgpr_write_b32 a176, v30
	s_waitcnt vmcnt(42) lgkmcnt(1)
	v_mul_f64 v[24:25], v[14:15], v[146:147]
	s_waitcnt vmcnt(40)
	v_fmac_f64_e32 v[24:25], v[16:17], v[150:151]
	s_waitcnt lgkmcnt(0)
	v_mul_f64 v[28:29], v[18:19], v[30:31]
	v_add_f64 v[26:27], v[22:23], v[24:25]
	ds_read_b128 v[22:25], v1 offset:1408
	v_fmac_f64_e32 v[28:29], v[20:21], v[128:129]
	v_add_f64 v[30:31], v[26:27], v[28:29]
	ds_read_b128 v[26:29], v1 offset:1424
	v_mul_f64 v[4:5], v[104:105], v[198:199]
	s_waitcnt vmcnt(34) lgkmcnt(1)
	v_mul_f64 v[32:33], v[22:23], v[154:155]
	s_waitcnt vmcnt(32)
	v_fmac_f64_e32 v[32:33], v[24:25], v[158:159]
	v_add_f64 v[34:35], v[30:31], v[32:33]
	s_waitcnt lgkmcnt(0)
	v_mul_f64 v[36:37], v[26:27], v[130:131]
	ds_read_b128 v[30:33], v1 offset:1440
	v_fmac_f64_e32 v[36:37], v[28:29], v[132:133]
	v_add_f64 v[38:39], v[34:35], v[36:37]
	ds_read_b128 v[34:37], v1 offset:1456
	v_fma_f64 v[10:11], v[102:103], v[50:51], -v[4:5]
	s_waitcnt vmcnt(26) lgkmcnt(1)
	v_mul_f64 v[40:41], v[30:31], v[162:163]
	s_waitcnt vmcnt(24)
	v_fmac_f64_e32 v[40:41], v[32:33], v[164:165]
	v_add_f64 v[42:43], v[38:39], v[40:41]
	s_waitcnt lgkmcnt(0)
	v_mul_f64 v[44:45], v[34:35], v[134:135]
	v_fmac_f64_e32 v[44:45], v[36:37], v[136:137]
	ds_read_b128 v[38:41], v1 offset:1472
	v_add_f64 v[46:47], v[42:43], v[44:45]
	ds_read_b128 v[42:45], v1 offset:1488
	buffer_load_dword v13, off, s[0:3], 0 offset:716
	buffer_load_dword v127, off, s[0:3], 0 offset:700
	;; [unrolled: 1-line block ×8, first 2 shown]
	v_mul_f64 v[50:51], v[108:109], v[58:59]
	s_waitcnt vmcnt(26) lgkmcnt(1)
	v_mul_f64 v[48:49], v[38:39], v[166:167]
	s_waitcnt vmcnt(24)
	v_fmac_f64_e32 v[48:49], v[40:41], v[168:169]
	v_add_f64 v[190:191], v[46:47], v[48:49]
	ds_read_b128 v[46:49], v1 offset:1504
	buffer_load_dword v187, off, s[0:3], 0 offset:732
	buffer_load_dword v186, off, s[0:3], 0 offset:728
	;; [unrolled: 1-line block ×4, first 2 shown]
	s_waitcnt lgkmcnt(1)
	v_mul_f64 v[192:193], v[42:43], v[140:141]
	v_fmac_f64_e32 v[192:193], v[44:45], v[144:145]
	v_add_f64 v[2:3], v[190:191], v[192:193]
	buffer_load_dword v191, off, s[0:3], 0 offset:748
	buffer_load_dword v190, off, s[0:3], 0 offset:744
	;; [unrolled: 1-line block ×12, first 2 shown]
	v_fma_f64 v[212:213], v[106:107], v[52:53], -v[50:51]
	v_mul_f64 v[50:51], v[112:113], v[202:203]
	v_fma_f64 v[102:103], v[110:111], v[82:83], -v[50:51]
	buffer_load_dword v203, off, s[0:3], 0 offset:796
	buffer_load_dword v202, off, s[0:3], 0 offset:792
	;; [unrolled: 1-line block ×4, first 2 shown]
	v_mul_f64 v[50:51], v[116:117], v[64:65]
	v_fma_f64 v[104:105], v[114:115], v[80:81], -v[50:51]
	v_mul_f64 v[50:51], v[208:209], v[210:211]
	buffer_load_dword v209, off, s[0:3], 0 offset:812
	buffer_load_dword v208, off, s[0:3], 0 offset:808
	;; [unrolled: 1-line block ×4, first 2 shown]
	v_fma_f64 v[6:7], v[206:207], v[60:61], -v[50:51]
	buffer_load_dword v207, off, s[0:3], 0 offset:844
	buffer_load_dword v65, off, s[0:3], 0 offset:828
	;; [unrolled: 1-line block ×12, first 2 shown]
	ds_read_b128 v[50:53], v1 offset:1520
	v_mul_f64 v[58:59], v[222:223], v[76:77]
	v_fma_f64 v[4:5], v[220:221], v[78:79], -v[58:59]
	ds_read_b128 v[220:223], v1 offset:1536
	s_waitcnt vmcnt(54) lgkmcnt(2)
	v_mul_f64 v[8:9], v[46:47], v[170:171]
	s_waitcnt vmcnt(52)
	v_fmac_f64_e32 v[8:9], v[48:49], v[172:173]
	v_add_f64 v[2:3], v[2:3], v[8:9]
	s_waitcnt lgkmcnt(1)
	v_mul_f64 v[8:9], v[50:51], v[148:149]
	v_fmac_f64_e32 v[8:9], v[52:53], v[152:153]
	v_add_f64 v[2:3], v[2:3], v[8:9]
	s_waitcnt vmcnt(46) lgkmcnt(0)
	v_mul_f64 v[8:9], v[220:221], v[174:175]
	s_waitcnt vmcnt(44)
	v_fmac_f64_e32 v[8:9], v[222:223], v[176:177]
	ds_read_b128 v[58:61], v1 offset:1552
	v_add_f64 v[2:3], v[2:3], v[8:9]
	v_mul_f64 v[8:9], v[226:227], v[66:67]
	v_fma_f64 v[8:9], v[224:225], v[70:71], -v[8:9]
	ds_read_b128 v[224:227], v1 offset:1568
	v_mul_f64 v[66:67], v[234:235], v[68:69]
	v_fma_f64 v[232:233], v[232:233], v[72:73], -v[66:67]
	ds_read_b128 v[66:69], v1 offset:1584
	s_waitcnt lgkmcnt(2)
	v_mul_f64 v[70:71], v[58:59], v[156:157]
	v_fmac_f64_e32 v[70:71], v[60:61], v[160:161]
	v_add_f64 v[2:3], v[2:3], v[70:71]
	v_mul_f64 v[74:75], v[238:239], v[74:75]
	v_fma_f64 v[234:235], v[236:237], v[84:85], -v[74:75]
	ds_read_b128 v[74:77], v1 offset:1616
	v_mul_f64 v[78:79], v[242:243], v[90:91]
	v_fma_f64 v[240:241], v[240:241], v[92:93], -v[78:79]
	v_mul_f64 v[86:87], v[246:247], v[86:87]
	v_fma_f64 v[246:247], v[244:245], v[88:89], -v[86:87]
	;; [unrolled: 2-line block ×3, first 2 shown]
	v_add_f64 v[10:11], v[10:11], 0
	v_add_f64 v[10:11], v[10:11], v[212:213]
	v_add_f64 v[10:11], v[10:11], v[102:103]
	ds_read_b128 v[78:81], v1 offset:1632
	v_add_f64 v[10:11], v[10:11], v[104:105]
	v_add_f64 v[6:7], v[10:11], v[6:7]
	;; [unrolled: 1-line block ×8, first 2 shown]
	v_accvgpr_read_b32 v6, a168
	v_accvgpr_read_b32 v7, a169
	ds_read_b128 v[86:89], v1 offset:1664
	v_accvgpr_read_b32 v8, a170
	v_mul_f64 v[6:7], v[124:125], v[6:7]
	v_accvgpr_read_b32 v9, a171
	v_fma_f64 v[6:7], v[122:123], v[8:9], -v[6:7]
	v_accvgpr_read_b32 v8, a174
	s_waitcnt vmcnt(41) lgkmcnt(4)
	v_mul_f64 v[70:71], v[224:225], v[126:127]
	v_accvgpr_read_b32 v9, a175
	s_waitcnt vmcnt(39)
	v_fmac_f64_e32 v[70:71], v[226:227], v[184:185]
	v_add_f64 v[2:3], v[2:3], v[70:71]
	s_waitcnt vmcnt(38) lgkmcnt(3)
	v_mul_f64 v[70:71], v[66:67], v[12:13]
	s_waitcnt vmcnt(36)
	v_fmac_f64_e32 v[70:71], v[68:69], v[182:183]
	v_add_f64 v[2:3], v[2:3], v[70:71]
	ds_read_b128 v[70:73], v1 offset:1600
	ds_read_b128 v[94:97], v1 offset:1696
	s_waitcnt vmcnt(34) lgkmcnt(1)
	v_mul_f64 v[82:83], v[70:71], v[186:187]
	s_waitcnt vmcnt(32)
	v_fmac_f64_e32 v[82:83], v[72:73], v[188:189]
	v_add_f64 v[2:3], v[2:3], v[82:83]
	s_waitcnt vmcnt(30)
	v_mul_f64 v[82:83], v[74:75], v[190:191]
	s_waitcnt vmcnt(28)
	v_fmac_f64_e32 v[82:83], v[76:77], v[194:195]
	v_add_f64 v[2:3], v[2:3], v[82:83]
	s_waitcnt vmcnt(26)
	v_mul_f64 v[82:83], v[78:79], v[192:193]
	s_waitcnt vmcnt(24)
	v_fmac_f64_e32 v[82:83], v[80:81], v[196:197]
	v_add_f64 v[2:3], v[2:3], v[82:83]
	ds_read_b128 v[82:85], v1 offset:1648
	s_waitcnt vmcnt(21) lgkmcnt(0)
	v_mul_f64 v[90:91], v[82:83], v[198:199]
	s_waitcnt vmcnt(20)
	v_fmac_f64_e32 v[90:91], v[84:85], v[200:201]
	v_add_f64 v[106:107], v[2:3], v[90:91]
	v_mul_f64 v[90:91], v[250:251], v[98:99]
	v_fma_f64 v[248:249], v[248:249], v[100:101], -v[90:91]
	ds_read_b128 v[90:93], v1 offset:1680
	s_waitcnt vmcnt(18)
	v_mul_f64 v[98:99], v[86:87], v[202:203]
	s_waitcnt vmcnt(16)
	v_fmac_f64_e32 v[98:99], v[88:89], v[204:205]
	v_add_f64 v[98:99], v[106:107], v[98:99]
	v_fma_f64 v[250:251], v[54:55], v[62:63], -v[56:57]
	s_waitcnt vmcnt(14) lgkmcnt(0)
	v_mul_f64 v[100:101], v[90:91], v[208:209]
	s_waitcnt vmcnt(12)
	v_fmac_f64_e32 v[100:101], v[92:93], v[210:211]
	v_add_f64 v[106:107], v[98:99], v[100:101]
	ds_read_b128 v[98:101], v1 offset:1712
	ds_read_b128 v[54:57], v1 offset:1728
	s_waitcnt vmcnt(9)
	v_mul_f64 v[62:63], v[94:95], v[64:65]
	s_waitcnt vmcnt(7)
	v_fmac_f64_e32 v[62:63], v[96:97], v[218:219]
	v_add_f64 v[62:63], v[106:107], v[62:63]
	s_waitcnt vmcnt(6) lgkmcnt(1)
	v_mul_f64 v[106:107], v[98:99], v[206:207]
	s_waitcnt vmcnt(4)
	v_fmac_f64_e32 v[106:107], v[100:101], v[216:217]
	v_add_f64 v[62:63], v[62:63], v[106:107]
	s_waitcnt vmcnt(2) lgkmcnt(0)
	v_mul_f64 v[106:107], v[54:55], v[214:215]
	buffer_load_dword v2, off, s[0:3], 0 offset:872
	s_waitcnt vmcnt(1)
	v_fmac_f64_e32 v[106:107], v[56:57], v[230:231]
	v_add_f64 v[110:111], v[62:63], v[106:107]
	buffer_load_dword v62, off, s[0:3], 0 offset:864
	buffer_load_dword v3, off, s[0:3], 0 offset:876
	;; [unrolled: 1-line block ×3, first 2 shown]
	ds_read_b128 v[106:109], v1 offset:1744
	buffer_load_dword v237, off, s[0:3], 0 offset:892
	buffer_load_dword v236, off, s[0:3], 0 offset:888
	;; [unrolled: 1-line block ×4, first 2 shown]
	v_add_f64 v[4:5], v[4:5], v[248:249]
	v_add_f64 v[252:253], v[4:5], v[252:253]
	;; [unrolled: 1-line block ×4, first 2 shown]
	v_mul_f64 v[6:7], v[120:121], v[138:139]
	v_fma_f64 v[6:7], v[118:119], v[142:143], -v[6:7]
	v_add_f64 v[4:5], v[4:5], v[6:7]
	v_accvgpr_read_b32 v6, a172
	v_accvgpr_read_b32 v7, a173
	v_mul_f64 v[6:7], v[180:181], v[6:7]
	v_fma_f64 v[6:7], v[178:179], v[8:9], -v[6:7]
	v_add_f64 v[4:5], v[4:5], v[6:7]
	v_mul_f64 v[6:7], v[16:17], v[146:147]
	v_fma_f64 v[6:7], v[14:15], v[150:151], -v[6:7]
	v_add_f64 v[4:5], v[4:5], v[6:7]
	v_accvgpr_read_b32 v6, a176
	v_accvgpr_read_b32 v7, a177
	v_mul_f64 v[6:7], v[20:21], v[6:7]
	v_fma_f64 v[6:7], v[18:19], v[128:129], -v[6:7]
	v_add_f64 v[4:5], v[4:5], v[6:7]
	v_mul_f64 v[6:7], v[24:25], v[154:155]
	v_fma_f64 v[6:7], v[22:23], v[158:159], -v[6:7]
	v_add_f64 v[4:5], v[4:5], v[6:7]
	;; [unrolled: 3-line block ×19, first 2 shown]
	v_mul_f64 v[6:7], v[96:97], v[64:65]
	v_fma_f64 v[6:7], v[94:95], v[218:219], -v[6:7]
	s_waitcnt vmcnt(5) lgkmcnt(0)
	v_mul_f64 v[112:113], v[106:107], v[2:3]
	s_waitcnt vmcnt(4)
	v_fmac_f64_e32 v[112:113], v[108:109], v[62:63]
	v_add_f64 v[114:115], v[110:111], v[112:113]
	ds_read_b128 v[110:113], v1 offset:1760
	buffer_load_dword v242, off, s[0:3], 0 offset:904
	buffer_load_dword v243, off, s[0:3], 0 offset:908
	;; [unrolled: 1-line block ×4, first 2 shown]
	v_add_f64 v[4:5], v[4:5], v[6:7]
	v_mul_f64 v[6:7], v[100:101], v[206:207]
	v_fma_f64 v[6:7], v[98:99], v[216:217], -v[6:7]
	s_waitcnt vmcnt(6) lgkmcnt(0)
	v_mul_f64 v[116:117], v[110:111], v[236:237]
	s_waitcnt vmcnt(4)
	v_fmac_f64_e32 v[116:117], v[112:113], v[238:239]
	v_add_f64 v[228:229], v[114:115], v[116:117]
	ds_read_b128 v[114:117], v1 offset:1776
	buffer_load_dword v248, off, s[0:3], 0 offset:208
	buffer_load_dword v249, off, s[0:3], 0 offset:212
	;; [unrolled: 1-line block ×4, first 2 shown]
	v_add_f64 v[4:5], v[4:5], v[6:7]
	v_mul_f64 v[6:7], v[56:57], v[214:215]
	v_fma_f64 v[6:7], v[54:55], v[230:231], -v[6:7]
	v_mul_f64 v[2:3], v[108:109], v[2:3]
	v_add_f64 v[4:5], v[4:5], v[6:7]
	v_fma_f64 v[2:3], v[106:107], v[62:63], -v[2:3]
	v_add_f64 v[2:3], v[4:5], v[2:3]
	v_mul_f64 v[4:5], v[112:113], v[236:237]
	v_fma_f64 v[4:5], v[110:111], v[238:239], -v[4:5]
	v_add_f64 v[2:3], v[2:3], v[4:5]
	s_waitcnt vmcnt(6) lgkmcnt(0)
	v_mul_f64 v[4:5], v[116:117], v[242:243]
	v_mul_f64 v[254:255], v[114:115], v[242:243]
	s_waitcnt vmcnt(4)
	v_fma_f64 v[4:5], v[114:115], v[244:245], -v[4:5]
	v_fmac_f64_e32 v[254:255], v[116:117], v[244:245]
	v_add_f64 v[2:3], v[2:3], v[4:5]
	v_add_f64 v[228:229], v[228:229], v[254:255]
	s_waitcnt vmcnt(2)
	v_add_f64 v[2:3], v[248:249], -v[2:3]
	s_waitcnt vmcnt(0)
	v_add_f64 v[4:5], v[246:247], -v[228:229]
	buffer_store_dword v3, off, s[0:3], 0 offset:212
	buffer_store_dword v2, off, s[0:3], 0 offset:208
	buffer_store_dword v5, off, s[0:3], 0 offset:220
	buffer_store_dword v4, off, s[0:3], 0 offset:216
	s_and_saveexec_b64 s[4:5], vcc
	s_cbranch_execz .LBB55_327
; %bb.326:
	v_accvgpr_read_b32 v5, a156
	buffer_load_dword v2, v5, s[0:3], 0 offen
	buffer_load_dword v3, v5, s[0:3], 0 offen offset:4
	buffer_load_dword v4, v5, s[0:3], 0 offen offset:8
	s_nop 0
	buffer_load_dword v5, v5, s[0:3], 0 offen offset:12
	v_accvgpr_read_b32 v6, a167
	buffer_store_dword v1, off, s[0:3], 0 offset:192
	buffer_store_dword v1, off, s[0:3], 0 offset:196
	;; [unrolled: 1-line block ×4, first 2 shown]
	s_waitcnt vmcnt(4)
	ds_write_b128 v6, v[2:5]
.LBB55_327:
	s_or_b64 exec, exec, s[4:5]
	s_waitcnt lgkmcnt(0)
	; wave barrier
	s_waitcnt lgkmcnt(0)
	buffer_load_dword v184, off, s[0:3], 0 offset:208
	buffer_load_dword v185, off, s[0:3], 0 offset:212
	;; [unrolled: 1-line block ×36, first 2 shown]
	ds_read_b128 v[82:85], v1 offset:1088
	ds_read_b128 v[78:81], v1 offset:1104
	;; [unrolled: 1-line block ×9, first 2 shown]
	buffer_load_dword v235, off, s[0:3], 0 offset:380
	buffer_load_dword v234, off, s[0:3], 0 offset:376
	;; [unrolled: 1-line block ×19, first 2 shown]
	v_cmp_lt_u32_e32 vcc, 10, v0
	s_waitcnt vmcnt(51) lgkmcnt(8)
	v_mul_f64 v[2:3], v[82:83], v[192:193]
	v_fmac_f64_e32 v[2:3], v[84:85], v[184:185]
	v_add_f64 v[2:3], v[2:3], 0
	s_waitcnt vmcnt(47) lgkmcnt(7)
	v_mul_f64 v[4:5], v[78:79], v[196:197]
	v_fmac_f64_e32 v[4:5], v[80:81], v[194:195]
	v_add_f64 v[2:3], v[2:3], v[4:5]
	buffer_load_dword v244, off, s[0:3], 0 offset:432
	buffer_load_dword v229, off, s[0:3], 0 offset:428
	;; [unrolled: 1-line block ×7, first 2 shown]
	s_waitcnt vmcnt(52) lgkmcnt(6)
	v_mul_f64 v[6:7], v[74:75], v[200:201]
	s_waitcnt vmcnt(50) lgkmcnt(4)
	v_mul_f64 v[10:11], v[62:63], v[210:211]
	s_waitcnt vmcnt(48)
	v_fmac_f64_e32 v[10:11], v[64:65], v[212:213]
	v_mul_f64 v[80:81], v[80:81], v[196:197]
	s_waitcnt vmcnt(46)
	v_mul_f64 v[8:9], v[70:71], v[202:203]
	v_fma_f64 v[78:79], v[78:79], v[194:195], -v[80:81]
	s_waitcnt vmcnt(44) lgkmcnt(2)
	v_mul_f64 v[14:15], v[54:55], v[104:105]
	v_mul_f64 v[64:65], v[64:65], v[210:211]
	s_waitcnt vmcnt(42)
	v_fmac_f64_e32 v[14:15], v[56:57], v[108:109]
	v_fma_f64 v[210:211], v[62:63], v[212:213], -v[64:65]
	s_waitcnt vmcnt(40)
	v_mul_f64 v[12:13], v[50:51], v[112:113]
	s_waitcnt vmcnt(38) lgkmcnt(1)
	v_mul_f64 v[16:17], v[58:59], v[106:107]
	s_waitcnt vmcnt(36)
	v_fmac_f64_e32 v[6:7], v[76:77], v[198:199]
	v_add_f64 v[2:3], v[2:3], v[6:7]
	s_waitcnt vmcnt(34)
	v_fmac_f64_e32 v[8:9], v[72:73], v[116:117]
	v_add_f64 v[2:3], v[2:3], v[8:9]
	;; [unrolled: 3-line block ×3, first 2 shown]
	v_add_f64 v[2:3], v[2:3], v[12:13]
	s_waitcnt vmcnt(30)
	v_fmac_f64_e32 v[16:17], v[60:61], v[110:111]
	v_add_f64 v[2:3], v[2:3], v[14:15]
	v_add_f64 v[2:3], v[2:3], v[16:17]
	v_mul_f64 v[76:77], v[76:77], v[200:201]
	v_fma_f64 v[80:81], v[74:75], v[198:199], -v[76:77]
	v_mul_f64 v[72:73], v[72:73], v[202:203]
	v_mul_f64 v[52:53], v[52:53], v[112:113]
	;; [unrolled: 1-line block ×3, first 2 shown]
	v_fma_f64 v[116:117], v[70:71], v[116:117], -v[72:73]
	s_waitcnt vmcnt(0)
	v_pk_mov_b32 v[18:19], v[4:5], v[4:5] op_sel:[0,1]
	buffer_load_dword v5, off, s[0:3], 0 offset:468
	buffer_load_dword v4, off, s[0:3], 0 offset:464
	v_accvgpr_write_b32 a169, v19
	v_accvgpr_write_b32 a168, v18
	s_waitcnt vmcnt(0)
	v_pk_mov_b32 v[20:21], v[4:5], v[4:5] op_sel:[0,1]
	buffer_load_dword v135, off, s[0:3], 0 offset:460
	buffer_load_dword v134, off, s[0:3], 0 offset:456
	buffer_load_dword v139, off, s[0:3], 0 offset:452
	buffer_load_dword v138, off, s[0:3], 0 offset:448
	buffer_load_dword v5, off, s[0:3], 0 offset:508
	buffer_load_dword v4, off, s[0:3], 0 offset:504
	v_accvgpr_write_b32 a171, v21
	v_accvgpr_write_b32 a170, v20
	s_waitcnt vmcnt(0)
	v_pk_mov_b32 v[26:27], v[4:5], v[4:5] op_sel:[0,1]
	buffer_load_dword v5, off, s[0:3], 0 offset:500
	buffer_load_dword v4, off, s[0:3], 0 offset:496
	v_accvgpr_write_b32 a173, v27
	v_accvgpr_write_b32 a172, v26
	s_waitcnt vmcnt(0)
	v_pk_mov_b32 v[28:29], v[4:5], v[4:5] op_sel:[0,1]
	buffer_load_dword v143, off, s[0:3], 0 offset:492
	buffer_load_dword v142, off, s[0:3], 0 offset:488
	buffer_load_dword v147, off, s[0:3], 0 offset:484
	buffer_load_dword v146, off, s[0:3], 0 offset:480
	buffer_load_dword v5, off, s[0:3], 0 offset:540
	buffer_load_dword v4, off, s[0:3], 0 offset:536
	v_accvgpr_write_b32 a175, v29
	v_accvgpr_write_b32 a174, v28
	;; [unrolled: 16-line block ×3, first 2 shown]
	s_waitcnt vmcnt(0)
	v_pk_mov_b32 v[42:43], v[4:5], v[4:5] op_sel:[0,1]
	buffer_load_dword v5, off, s[0:3], 0 offset:564
	buffer_load_dword v4, off, s[0:3], 0 offset:560
	;; [unrolled: 1-line block ×30, first 2 shown]
	ds_read_b128 v[220:223], v1 offset:1232
	ds_read_b128 v[224:227], v1 offset:1248
	;; [unrolled: 1-line block ×10, first 2 shown]
	s_waitcnt lgkmcnt(4)
	v_mul_f64 v[8:9], v[98:99], v[242:243]
	v_fmac_f64_e32 v[8:9], v[100:101], v[244:245]
	s_waitcnt lgkmcnt(3)
	v_mul_f64 v[12:13], v[130:131], v[134:135]
	v_fmac_f64_e32 v[12:13], v[132:133], v[138:139]
	;; [unrolled: 3-line block ×5, first 2 shown]
	v_accvgpr_write_b32 a181, v43
	v_accvgpr_write_b32 a180, v42
	v_mul_f64 v[70:71], v[222:223], v[238:239]
	v_mul_f64 v[100:101], v[100:101], v[242:243]
	s_waitcnt vmcnt(28)
	v_pk_mov_b32 v[44:45], v[4:5], v[4:5] op_sel:[0,1]
	v_mul_f64 v[4:5], v[66:67], v[102:103]
	v_fmac_f64_e32 v[4:5], v[68:69], v[232:233]
	v_add_f64 v[2:3], v[2:3], v[4:5]
	v_mul_f64 v[4:5], v[220:221], v[238:239]
	v_fmac_f64_e32 v[4:5], v[222:223], v[240:241]
	v_add_f64 v[2:3], v[2:3], v[4:5]
	;; [unrolled: 3-line block ×6, first 2 shown]
	v_add_f64 v[10:11], v[6:7], v[8:9]
	v_add_f64 v[14:15], v[10:11], v[12:13]
	;; [unrolled: 1-line block ×4, first 2 shown]
	ds_read_b128 v[18:21], v1 offset:1392
	v_add_f64 v[26:27], v[22:23], v[24:25]
	ds_read_b128 v[22:25], v1 offset:1408
	v_accvgpr_write_b32 a183, v45
	v_accvgpr_write_b32 a182, v44
	s_waitcnt lgkmcnt(1)
	v_mul_f64 v[28:29], v[18:19], v[150:151]
	v_fmac_f64_e32 v[28:29], v[20:21], v[154:155]
	v_add_f64 v[30:31], v[26:27], v[28:29]
	ds_read_b128 v[26:29], v1 offset:1424
	s_waitcnt lgkmcnt(1)
	v_mul_f64 v[32:33], v[22:23], v[34:35]
	v_fmac_f64_e32 v[32:33], v[24:25], v[36:37]
	v_add_f64 v[34:35], v[30:31], v[32:33]
	ds_read_b128 v[30:33], v1 offset:1440
	s_waitcnt vmcnt(26) lgkmcnt(1)
	v_mul_f64 v[36:37], v[26:27], v[158:159]
	s_waitcnt vmcnt(24)
	v_fmac_f64_e32 v[36:37], v[28:29], v[160:161]
	v_add_f64 v[38:39], v[34:35], v[36:37]
	ds_read_b128 v[34:37], v1 offset:1456
	s_waitcnt lgkmcnt(1)
	v_mul_f64 v[40:41], v[30:31], v[42:43]
	v_fmac_f64_e32 v[40:41], v[32:33], v[44:45]
	v_add_f64 v[42:43], v[38:39], v[40:41]
	ds_read_b128 v[38:41], v1 offset:1472
	s_waitcnt vmcnt(18) lgkmcnt(1)
	v_mul_f64 v[44:45], v[34:35], v[162:163]
	s_waitcnt vmcnt(16)
	v_fmac_f64_e32 v[44:45], v[36:37], v[164:165]
	v_add_f64 v[46:47], v[42:43], v[44:45]
	ds_read_b128 v[42:45], v1 offset:1488
	buffer_load_dword v175, off, s[0:3], 0 offset:684
	buffer_load_dword v174, off, s[0:3], 0 offset:680
	;; [unrolled: 1-line block ×4, first 2 shown]
	s_waitcnt lgkmcnt(1)
	v_mul_f64 v[48:49], v[38:39], v[136:137]
	v_fmac_f64_e32 v[48:49], v[40:41], v[140:141]
	v_add_f64 v[178:179], v[46:47], v[48:49]
	ds_read_b128 v[46:49], v1 offset:1504
	buffer_load_dword v181, off, s[0:3], 0 offset:700
	buffer_load_dword v180, off, s[0:3], 0 offset:696
	;; [unrolled: 1-line block ×4, first 2 shown]
	s_waitcnt vmcnt(18) lgkmcnt(1)
	v_mul_f64 v[186:187], v[42:43], v[166:167]
	s_waitcnt vmcnt(16)
	v_fmac_f64_e32 v[186:187], v[44:45], v[168:169]
	v_add_f64 v[2:3], v[178:179], v[186:187]
	buffer_load_dword v179, off, s[0:3], 0 offset:732
	buffer_load_dword v187, off, s[0:3], 0 offset:716
	;; [unrolled: 1-line block ×8, first 2 shown]
	v_mul_f64 v[4:5], v[84:85], v[192:193]
	v_fma_f64 v[14:15], v[82:83], v[184:185], -v[4:5]
	buffer_load_dword v184, off, s[0:3], 0 offset:760
	buffer_load_dword v193, off, s[0:3], 0 offset:748
	;; [unrolled: 1-line block ×20, first 2 shown]
	s_waitcnt lgkmcnt(0)
	v_mul_f64 v[8:9], v[46:47], v[144:145]
	v_fmac_f64_e32 v[8:9], v[48:49], v[148:149]
	v_fma_f64 v[10:11], v[50:51], v[114:115], -v[52:53]
	buffer_load_dword v213, off, s[0:3], 0 offset:828
	buffer_load_dword v212, off, s[0:3], 0 offset:824
	;; [unrolled: 1-line block ×12, first 2 shown]
	v_add_f64 v[2:3], v[2:3], v[8:9]
	ds_read_b128 v[50:53], v1 offset:1520
	v_mul_f64 v[8:9], v[56:57], v[104:105]
	v_fma_f64 v[8:9], v[54:55], v[108:109], -v[8:9]
	ds_read_b128 v[54:57], v1 offset:1536
	v_fma_f64 v[6:7], v[58:59], v[110:111], -v[60:61]
	ds_read_b128 v[58:61], v1 offset:1552
	s_waitcnt vmcnt(50) lgkmcnt(2)
	v_mul_f64 v[62:63], v[50:51], v[170:171]
	s_waitcnt vmcnt(48)
	v_fmac_f64_e32 v[62:63], v[52:53], v[172:173]
	s_waitcnt lgkmcnt(1)
	v_mul_f64 v[12:13], v[54:55], v[152:153]
	v_add_f64 v[2:3], v[2:3], v[62:63]
	ds_read_b128 v[62:65], v1 offset:1568
	v_fmac_f64_e32 v[12:13], v[56:57], v[156:157]
	v_add_f64 v[2:3], v[2:3], v[12:13]
	v_fma_f64 v[240:241], v[220:221], v[240:241], -v[70:71]
	v_mul_f64 v[82:83], v[226:227], v[234:235]
	v_mul_f64 v[96:97], v[96:97], v[228:229]
	v_add_f64 v[14:15], v[14:15], 0
	v_add_f64 v[14:15], v[14:15], v[78:79]
	;; [unrolled: 1-line block ×8, first 2 shown]
	v_accvgpr_read_b32 v8, a170
	v_accvgpr_read_b32 v9, a171
	ds_read_b128 v[70:73], v1 offset:1600
	ds_read_b128 v[220:223], v1 offset:1696
	s_waitcnt vmcnt(46) lgkmcnt(3)
	v_mul_f64 v[12:13], v[58:59], v[174:175]
	s_waitcnt vmcnt(44)
	v_fmac_f64_e32 v[12:13], v[60:61], v[176:177]
	v_add_f64 v[2:3], v[2:3], v[12:13]
	v_mul_f64 v[12:13], v[68:69], v[102:103]
	v_fma_f64 v[12:13], v[66:67], v[232:233], -v[12:13]
	ds_read_b128 v[66:69], v1 offset:1584
	s_waitcnt vmcnt(42) lgkmcnt(3)
	v_mul_f64 v[74:75], v[62:63], v[180:181]
	s_waitcnt vmcnt(40)
	v_fmac_f64_e32 v[74:75], v[64:65], v[182:183]
	v_add_f64 v[2:3], v[2:3], v[74:75]
	v_fma_f64 v[232:233], v[224:225], v[236:237], -v[82:83]
	s_waitcnt vmcnt(37) lgkmcnt(0)
	v_mul_f64 v[74:75], v[66:67], v[186:187]
	s_waitcnt vmcnt(35)
	v_fmac_f64_e32 v[74:75], v[68:69], v[190:191]
	v_add_f64 v[2:3], v[2:3], v[74:75]
	s_waitcnt vmcnt(34)
	v_mul_f64 v[74:75], v[70:71], v[178:179]
	s_waitcnt vmcnt(32)
	v_fmac_f64_e32 v[74:75], v[72:73], v[188:189]
	v_add_f64 v[2:3], v[2:3], v[74:75]
	ds_read_b128 v[74:77], v1 offset:1616
	ds_read_b128 v[224:227], v1 offset:1632
	v_add_f64 v[6:7], v[6:7], v[12:13]
	v_add_f64 v[6:7], v[6:7], v[240:241]
	;; [unrolled: 1-line block ×3, first 2 shown]
	s_waitcnt vmcnt(29) lgkmcnt(1)
	v_mul_f64 v[82:83], v[74:75], v[192:193]
	s_waitcnt vmcnt(27)
	v_fmac_f64_e32 v[82:83], v[76:77], v[196:197]
	v_add_f64 v[2:3], v[2:3], v[82:83]
	v_mul_f64 v[82:83], v[88:89], v[250:251]
	v_fma_f64 v[4:5], v[86:87], v[252:253], -v[82:83]
	ds_read_b128 v[82:85], v1 offset:1648
	ds_read_b128 v[86:89], v1 offset:1664
	s_waitcnt vmcnt(25) lgkmcnt(2)
	v_mul_f64 v[16:17], v[224:225], v[184:185]
	s_waitcnt vmcnt(24)
	v_fmac_f64_e32 v[16:17], v[226:227], v[194:195]
	v_add_f64 v[2:3], v[2:3], v[16:17]
	v_mul_f64 v[16:17], v[92:93], v[246:247]
	v_fma_f64 v[16:17], v[90:91], v[248:249], -v[16:17]
	ds_read_b128 v[90:93], v1 offset:1680
	s_waitcnt vmcnt(21) lgkmcnt(2)
	v_mul_f64 v[102:103], v[82:83], v[200:201]
	s_waitcnt vmcnt(19)
	v_fmac_f64_e32 v[102:103], v[84:85], v[206:207]
	v_add_f64 v[2:3], v[2:3], v[102:103]
	s_waitcnt vmcnt(18) lgkmcnt(1)
	v_mul_f64 v[102:103], v[86:87], v[198:199]
	s_waitcnt vmcnt(16)
	v_fmac_f64_e32 v[102:103], v[88:89], v[204:205]
	v_add_f64 v[2:3], v[2:3], v[102:103]
	s_waitcnt vmcnt(14) lgkmcnt(0)
	v_mul_f64 v[102:103], v[90:91], v[202:203]
	s_waitcnt vmcnt(12)
	v_fmac_f64_e32 v[102:103], v[92:93], v[208:209]
	v_fma_f64 v[250:251], v[94:95], v[254:255], -v[96:97]
	v_add_f64 v[2:3], v[2:3], v[102:103]
	ds_read_b128 v[94:97], v1 offset:1712
	ds_read_b128 v[102:105], v1 offset:1728
	buffer_load_dword v229, off, s[0:3], 0 offset:876
	buffer_load_dword v228, off, s[0:3], 0 offset:872
	;; [unrolled: 1-line block ×4, first 2 shown]
	ds_read_b128 v[106:109], v1 offset:1744
	buffer_load_dword v236, off, s[0:3], 0 offset:888
	buffer_load_dword v237, off, s[0:3], 0 offset:892
	;; [unrolled: 1-line block ×4, first 2 shown]
	v_fma_f64 v[252:253], v[98:99], v[244:245], -v[100:101]
	ds_read_b128 v[110:113], v1 offset:1760
	buffer_load_dword v243, off, s[0:3], 0 offset:908
	buffer_load_dword v242, off, s[0:3], 0 offset:904
	;; [unrolled: 1-line block ×4, first 2 shown]
	s_waitcnt vmcnt(22)
	v_mul_f64 v[98:99], v[220:221], v[212:213]
	s_waitcnt vmcnt(20)
	v_fmac_f64_e32 v[98:99], v[222:223], v[214:215]
	v_add_f64 v[2:3], v[2:3], v[98:99]
	s_waitcnt vmcnt(17) lgkmcnt(3)
	v_mul_f64 v[98:99], v[94:95], v[218:219]
	s_waitcnt vmcnt(15)
	v_fmac_f64_e32 v[98:99], v[96:97], v[230:231]
	v_add_f64 v[2:3], v[2:3], v[98:99]
	s_waitcnt vmcnt(13) lgkmcnt(2)
	v_mul_f64 v[98:99], v[102:103], v[114:115]
	s_waitcnt vmcnt(12)
	v_fmac_f64_e32 v[98:99], v[104:105], v[216:217]
	v_add_f64 v[2:3], v[2:3], v[98:99]
	v_add_f64 v[4:5], v[6:7], v[4:5]
	;; [unrolled: 1-line block ×4, first 2 shown]
	v_mul_f64 v[6:7], v[132:133], v[134:135]
	v_add_f64 v[4:5], v[4:5], v[252:253]
	v_fma_f64 v[6:7], v[130:131], v[138:139], -v[6:7]
	v_add_f64 v[4:5], v[4:5], v[6:7]
	v_accvgpr_read_b32 v6, a168
	v_accvgpr_read_b32 v7, a169
	v_mul_f64 v[6:7], v[128:129], v[6:7]
	v_fma_f64 v[6:7], v[126:127], v[8:9], -v[6:7]
	v_add_f64 v[4:5], v[4:5], v[6:7]
	v_mul_f64 v[6:7], v[124:125], v[142:143]
	v_fma_f64 v[6:7], v[122:123], v[146:147], -v[6:7]
	v_add_f64 v[4:5], v[4:5], v[6:7]
	v_accvgpr_read_b32 v6, a172
	v_accvgpr_read_b32 v7, a173
	v_accvgpr_read_b32 v8, a174
	v_mul_f64 v[6:7], v[120:121], v[6:7]
	v_accvgpr_read_b32 v9, a175
	v_fma_f64 v[6:7], v[118:119], v[8:9], -v[6:7]
	v_add_f64 v[4:5], v[4:5], v[6:7]
	v_mul_f64 v[6:7], v[20:21], v[150:151]
	v_fma_f64 v[6:7], v[18:19], v[154:155], -v[6:7]
	v_add_f64 v[4:5], v[4:5], v[6:7]
	v_accvgpr_read_b32 v6, a176
	v_accvgpr_read_b32 v7, a177
	v_accvgpr_read_b32 v8, a178
	v_mul_f64 v[6:7], v[24:25], v[6:7]
	v_accvgpr_read_b32 v9, a179
	v_fma_f64 v[6:7], v[22:23], v[8:9], -v[6:7]
	v_add_f64 v[4:5], v[4:5], v[6:7]
	v_mul_f64 v[6:7], v[28:29], v[158:159]
	v_fma_f64 v[6:7], v[26:27], v[160:161], -v[6:7]
	v_add_f64 v[4:5], v[4:5], v[6:7]
	v_accvgpr_read_b32 v6, a180
	v_accvgpr_read_b32 v7, a181
	v_accvgpr_read_b32 v8, a182
	v_mul_f64 v[6:7], v[32:33], v[6:7]
	v_accvgpr_read_b32 v9, a183
	v_fma_f64 v[6:7], v[30:31], v[8:9], -v[6:7]
	v_add_f64 v[4:5], v[4:5], v[6:7]
	v_mul_f64 v[6:7], v[36:37], v[162:163]
	v_fma_f64 v[6:7], v[34:35], v[164:165], -v[6:7]
	v_add_f64 v[4:5], v[4:5], v[6:7]
	v_mul_f64 v[6:7], v[40:41], v[136:137]
	;; [unrolled: 3-line block ×7, first 2 shown]
	v_fma_f64 v[6:7], v[58:59], v[176:177], -v[6:7]
	v_add_f64 v[4:5], v[4:5], v[6:7]
	s_waitcnt vmcnt(10) lgkmcnt(1)
	v_mul_f64 v[98:99], v[106:107], v[228:229]
	v_mul_f64 v[6:7], v[64:65], v[180:181]
	s_waitcnt vmcnt(8)
	v_fmac_f64_e32 v[98:99], v[108:109], v[234:235]
	v_add_f64 v[2:3], v[2:3], v[98:99]
	s_waitcnt vmcnt(6) lgkmcnt(0)
	v_mul_f64 v[98:99], v[110:111], v[236:237]
	s_waitcnt vmcnt(4)
	v_fmac_f64_e32 v[98:99], v[112:113], v[238:239]
	v_add_f64 v[2:3], v[2:3], v[98:99]
	ds_read_b128 v[98:101], v1 offset:1776
	v_fma_f64 v[6:7], v[62:63], v[182:183], -v[6:7]
	v_add_f64 v[4:5], v[4:5], v[6:7]
	v_mul_f64 v[6:7], v[68:69], v[186:187]
	v_fma_f64 v[6:7], v[66:67], v[190:191], -v[6:7]
	s_waitcnt vmcnt(2) lgkmcnt(0)
	v_mul_f64 v[246:247], v[98:99], v[242:243]
	s_waitcnt vmcnt(0)
	v_fmac_f64_e32 v[246:247], v[100:101], v[244:245]
	v_add_f64 v[2:3], v[2:3], v[246:247]
	buffer_load_dword v248, off, s[0:3], 0 offset:192
	buffer_load_dword v249, off, s[0:3], 0 offset:196
	;; [unrolled: 1-line block ×4, first 2 shown]
	v_add_f64 v[4:5], v[4:5], v[6:7]
	v_mul_f64 v[6:7], v[72:73], v[178:179]
	v_fma_f64 v[6:7], v[70:71], v[188:189], -v[6:7]
	v_add_f64 v[4:5], v[4:5], v[6:7]
	v_mul_f64 v[6:7], v[76:77], v[192:193]
	v_fma_f64 v[6:7], v[74:75], v[196:197], -v[6:7]
	;; [unrolled: 3-line block ×12, first 2 shown]
	v_add_f64 v[4:5], v[4:5], v[6:7]
	s_waitcnt vmcnt(2)
	v_add_f64 v[4:5], v[248:249], -v[4:5]
	s_waitcnt vmcnt(0)
	v_add_f64 v[2:3], v[246:247], -v[2:3]
	buffer_store_dword v5, off, s[0:3], 0 offset:196
	buffer_store_dword v4, off, s[0:3], 0 offset:192
	;; [unrolled: 1-line block ×4, first 2 shown]
	s_and_saveexec_b64 s[4:5], vcc
	s_cbranch_execz .LBB55_329
; %bb.328:
	v_accvgpr_read_b32 v1, a157
	buffer_load_dword v2, v1, s[0:3], 0 offen
	buffer_load_dword v3, v1, s[0:3], 0 offen offset:4
	buffer_load_dword v4, v1, s[0:3], 0 offen offset:8
	;; [unrolled: 1-line block ×3, first 2 shown]
	v_mov_b32_e32 v1, 0
	v_accvgpr_read_b32 v6, a167
	buffer_store_dword v1, off, s[0:3], 0 offset:176
	buffer_store_dword v1, off, s[0:3], 0 offset:180
	;; [unrolled: 1-line block ×4, first 2 shown]
	s_waitcnt vmcnt(4)
	ds_write_b128 v6, v[2:5]
.LBB55_329:
	s_or_b64 exec, exec, s[4:5]
	s_waitcnt lgkmcnt(0)
	; wave barrier
	s_waitcnt lgkmcnt(0)
	buffer_load_dword v56, off, s[0:3], 0 offset:192
	buffer_load_dword v57, off, s[0:3], 0 offset:196
	;; [unrolled: 1-line block ×36, first 2 shown]
	v_mov_b32_e32 v1, 0
	buffer_load_dword v87, off, s[0:3], 0 offset:364
	buffer_load_dword v86, off, s[0:3], 0 offset:360
	;; [unrolled: 1-line block ×18, first 2 shown]
	ds_read_b128 v[110:113], v1 offset:1072
	ds_read_b128 v[114:117], v1 offset:1088
	ds_read_b128 v[194:197], v1 offset:1104
	ds_read_b128 v[198:201], v1 offset:1120
	ds_read_b128 v[202:205], v1 offset:1136
	ds_read_b128 v[206:209], v1 offset:1152
	ds_read_b128 v[212:215], v1 offset:1168
	ds_read_b128 v[218:221], v1 offset:1184
	ds_read_b128 v[222:225], v1 offset:1200
	v_cmp_lt_u32_e32 vcc, 9, v0
	s_waitcnt vmcnt(50) lgkmcnt(8)
	v_mul_f64 v[2:3], v[110:111], v[180:181]
	v_fmac_f64_e32 v[2:3], v[112:113], v[56:57]
	v_add_f64 v[2:3], v[2:3], 0
	s_waitcnt vmcnt(46) lgkmcnt(7)
	v_mul_f64 v[4:5], v[114:115], v[54:55]
	v_fmac_f64_e32 v[4:5], v[116:117], v[52:53]
	v_add_f64 v[2:3], v[2:3], v[4:5]
	buffer_load_dword v105, off, s[0:3], 0 offset:420
	buffer_load_dword v104, off, s[0:3], 0 offset:416
	;; [unrolled: 1-line block ×8, first 2 shown]
	s_waitcnt vmcnt(52) lgkmcnt(6)
	v_mul_f64 v[6:7], v[194:195], v[50:51]
	s_waitcnt vmcnt(50) lgkmcnt(4)
	v_mul_f64 v[10:11], v[202:203], v[60:61]
	s_waitcnt vmcnt(48)
	v_fmac_f64_e32 v[10:11], v[204:205], v[62:63]
	v_mul_f64 v[50:51], v[196:197], v[50:51]
	s_waitcnt vmcnt(46)
	v_mul_f64 v[8:9], v[198:199], v[64:65]
	v_mul_f64 v[54:55], v[116:117], v[54:55]
	s_waitcnt vmcnt(44) lgkmcnt(2)
	v_mul_f64 v[14:15], v[212:213], v[74:75]
	v_fma_f64 v[210:211], v[114:115], v[52:53], -v[54:55]
	s_waitcnt vmcnt(42)
	v_fmac_f64_e32 v[14:15], v[214:215], v[72:73]
	v_mul_f64 v[54:55], v[214:215], v[74:75]
	s_waitcnt vmcnt(40)
	v_mul_f64 v[12:13], v[206:207], v[76:77]
	s_waitcnt vmcnt(38) lgkmcnt(1)
	v_mul_f64 v[16:17], v[218:219], v[68:69]
	s_waitcnt vmcnt(36)
	v_fmac_f64_e32 v[6:7], v[196:197], v[82:83]
	v_add_f64 v[2:3], v[2:3], v[6:7]
	s_waitcnt vmcnt(34)
	v_fmac_f64_e32 v[8:9], v[200:201], v[80:81]
	v_add_f64 v[2:3], v[2:3], v[8:9]
	;; [unrolled: 3-line block ×3, first 2 shown]
	v_add_f64 v[2:3], v[2:3], v[12:13]
	v_add_f64 v[2:3], v[2:3], v[14:15]
	s_waitcnt vmcnt(30)
	v_fmac_f64_e32 v[16:17], v[220:221], v[70:71]
	v_add_f64 v[2:3], v[2:3], v[16:17]
	s_waitcnt vmcnt(0)
	v_pk_mov_b32 v[14:15], v[4:5], v[4:5] op_sel:[0,1]
	buffer_load_dword v5, off, s[0:3], 0 offset:452
	buffer_load_dword v4, off, s[0:3], 0 offset:448
	v_accvgpr_write_b32 a169, v15
	v_accvgpr_write_b32 a168, v14
	s_waitcnt vmcnt(0)
	v_pk_mov_b32 v[18:19], v[4:5], v[4:5] op_sel:[0,1]
	buffer_load_dword v107, off, s[0:3], 0 offset:444
	buffer_load_dword v106, off, s[0:3], 0 offset:440
	buffer_load_dword v109, off, s[0:3], 0 offset:436
	buffer_load_dword v108, off, s[0:3], 0 offset:432
	buffer_load_dword v5, off, s[0:3], 0 offset:492
	buffer_load_dword v4, off, s[0:3], 0 offset:488
	v_accvgpr_write_b32 a171, v19
	v_accvgpr_write_b32 a170, v18
	s_waitcnt vmcnt(0)
	v_pk_mov_b32 v[22:23], v[4:5], v[4:5] op_sel:[0,1]
	buffer_load_dword v5, off, s[0:3], 0 offset:484
	buffer_load_dword v4, off, s[0:3], 0 offset:480
	v_accvgpr_write_b32 a173, v23
	v_accvgpr_write_b32 a172, v22
	s_waitcnt vmcnt(0)
	v_pk_mov_b32 v[24:25], v[4:5], v[4:5] op_sel:[0,1]
	buffer_load_dword v139, off, s[0:3], 0 offset:476
	buffer_load_dword v138, off, s[0:3], 0 offset:472
	buffer_load_dword v143, off, s[0:3], 0 offset:468
	buffer_load_dword v142, off, s[0:3], 0 offset:464
	buffer_load_dword v5, off, s[0:3], 0 offset:524
	buffer_load_dword v4, off, s[0:3], 0 offset:520
	v_accvgpr_write_b32 a175, v25
	v_accvgpr_write_b32 a174, v24
	;; [unrolled: 16-line block ×3, first 2 shown]
	s_waitcnt vmcnt(0)
	v_pk_mov_b32 v[38:39], v[4:5], v[4:5] op_sel:[0,1]
	buffer_load_dword v5, off, s[0:3], 0 offset:548
	buffer_load_dword v4, off, s[0:3], 0 offset:544
	;; [unrolled: 1-line block ×30, first 2 shown]
	ds_read_b128 v[232:235], v1 offset:1216
	ds_read_b128 v[236:239], v1 offset:1232
	;; [unrolled: 1-line block ×11, first 2 shown]
	s_waitcnt lgkmcnt(4)
	v_mul_f64 v[8:9], v[226:227], v[106:107]
	v_fmac_f64_e32 v[8:9], v[228:229], v[108:109]
	s_waitcnt lgkmcnt(3)
	v_mul_f64 v[12:13], v[130:131], v[14:15]
	v_fmac_f64_e32 v[12:13], v[132:133], v[18:19]
	;; [unrolled: 3-line block ×4, first 2 shown]
	v_accvgpr_write_b32 a181, v39
	v_accvgpr_write_b32 a180, v38
	s_waitcnt vmcnt(28)
	v_pk_mov_b32 v[40:41], v[4:5], v[4:5] op_sel:[0,1]
	v_mul_f64 v[4:5], v[222:223], v[66:67]
	v_fmac_f64_e32 v[4:5], v[224:225], v[84:85]
	v_add_f64 v[2:3], v[2:3], v[4:5]
	v_mul_f64 v[4:5], v[232:233], v[90:91]
	v_fmac_f64_e32 v[4:5], v[234:235], v[92:93]
	v_add_f64 v[2:3], v[2:3], v[4:5]
	v_mul_f64 v[4:5], v[236:237], v[86:87]
	v_fmac_f64_e32 v[4:5], v[238:239], v[88:89]
	v_add_f64 v[2:3], v[2:3], v[4:5]
	v_mul_f64 v[4:5], v[240:241], v[100:101]
	v_fmac_f64_e32 v[4:5], v[242:243], v[102:103]
	v_add_f64 v[2:3], v[2:3], v[4:5]
	v_mul_f64 v[4:5], v[244:245], v[96:97]
	v_fmac_f64_e32 v[4:5], v[246:247], v[98:99]
	v_add_f64 v[2:3], v[2:3], v[4:5]
	v_mul_f64 v[4:5], v[248:249], v[230:231]
	v_fmac_f64_e32 v[4:5], v[250:251], v[58:59]
	v_add_f64 v[2:3], v[2:3], v[4:5]
	v_mul_f64 v[4:5], v[252:253], v[94:95]
	v_fmac_f64_e32 v[4:5], v[254:255], v[104:105]
	v_add_f64 v[6:7], v[2:3], v[4:5]
	v_add_f64 v[10:11], v[6:7], v[8:9]
	v_add_f64 v[14:15], v[10:11], v[12:13]
	;; [unrolled: 1-line block ×4, first 2 shown]
	ds_read_b128 v[18:21], v1 offset:1392
	s_waitcnt lgkmcnt(1)
	v_mul_f64 v[24:25], v[118:119], v[146:147]
	v_fmac_f64_e32 v[24:25], v[120:121], v[150:151]
	v_add_f64 v[26:27], v[22:23], v[24:25]
	ds_read_b128 v[22:25], v1 offset:1408
	s_waitcnt lgkmcnt(1)
	v_mul_f64 v[28:29], v[18:19], v[30:31]
	v_fmac_f64_e32 v[28:29], v[20:21], v[32:33]
	v_add_f64 v[30:31], v[26:27], v[28:29]
	ds_read_b128 v[26:29], v1 offset:1424
	s_waitcnt vmcnt(26) lgkmcnt(1)
	v_mul_f64 v[32:33], v[22:23], v[154:155]
	s_waitcnt vmcnt(24)
	v_fmac_f64_e32 v[32:33], v[24:25], v[156:157]
	v_add_f64 v[34:35], v[30:31], v[32:33]
	ds_read_b128 v[30:33], v1 offset:1440
	s_waitcnt lgkmcnt(1)
	v_mul_f64 v[36:37], v[26:27], v[38:39]
	v_fmac_f64_e32 v[36:37], v[28:29], v[40:41]
	v_add_f64 v[38:39], v[34:35], v[36:37]
	ds_read_b128 v[34:37], v1 offset:1456
	v_accvgpr_write_b32 a183, v41
	v_accvgpr_write_b32 a182, v40
	s_waitcnt vmcnt(18) lgkmcnt(1)
	v_mul_f64 v[40:41], v[30:31], v[158:159]
	s_waitcnt vmcnt(16)
	v_fmac_f64_e32 v[40:41], v[32:33], v[160:161]
	v_add_f64 v[42:43], v[38:39], v[40:41]
	ds_read_b128 v[38:41], v1 offset:1472
	s_waitcnt lgkmcnt(1)
	v_mul_f64 v[44:45], v[34:35], v[134:135]
	v_fmac_f64_e32 v[44:45], v[36:37], v[136:137]
	v_add_f64 v[46:47], v[42:43], v[44:45]
	ds_read_b128 v[42:45], v1 offset:1488
	s_waitcnt vmcnt(10) lgkmcnt(1)
	v_mul_f64 v[48:49], v[38:39], v[162:163]
	s_waitcnt vmcnt(8)
	v_fmac_f64_e32 v[48:49], v[40:41], v[164:165]
	v_add_f64 v[172:173], v[46:47], v[48:49]
	ds_read_b128 v[46:49], v1 offset:1504
	s_waitcnt lgkmcnt(1)
	v_mul_f64 v[176:177], v[42:43], v[140:141]
	buffer_load_dword v171, off, s[0:3], 0 offset:668
	buffer_load_dword v170, off, s[0:3], 0 offset:664
	;; [unrolled: 1-line block ×4, first 2 shown]
	v_fmac_f64_e32 v[176:177], v[44:45], v[144:145]
	v_add_f64 v[2:3], v[172:173], v[176:177]
	buffer_load_dword v177, off, s[0:3], 0 offset:684
	buffer_load_dword v176, off, s[0:3], 0 offset:680
	;; [unrolled: 1-line block ×5, first 2 shown]
	v_mul_f64 v[4:5], v[112:113], v[180:181]
	buffer_load_dword v183, off, s[0:3], 0 offset:700
	buffer_load_dword v182, off, s[0:3], 0 offset:696
	;; [unrolled: 1-line block ×15, first 2 shown]
	v_fma_f64 v[14:15], v[110:111], v[56:57], -v[4:5]
	v_fma_f64 v[110:111], v[194:195], v[82:83], -v[50:51]
	buffer_load_dword v195, off, s[0:3], 0 offset:764
	buffer_load_dword v194, off, s[0:3], 0 offset:760
	;; [unrolled: 1-line block ×4, first 2 shown]
	v_mul_f64 v[50:51], v[200:201], v[64:65]
	v_fma_f64 v[112:113], v[198:199], v[80:81], -v[50:51]
	v_mul_f64 v[50:51], v[204:205], v[60:61]
	v_fma_f64 v[10:11], v[202:203], v[62:63], -v[50:51]
	buffer_load_dword v199, off, s[0:3], 0 offset:780
	buffer_load_dword v198, off, s[0:3], 0 offset:776
	;; [unrolled: 1-line block ×8, first 2 shown]
	ds_read_b128 v[50:53], v1 offset:1520
	v_mul_f64 v[8:9], v[208:209], v[76:77]
	buffer_load_dword v209, off, s[0:3], 0 offset:812
	buffer_load_dword v208, off, s[0:3], 0 offset:808
	;; [unrolled: 1-line block ×4, first 2 shown]
	v_fma_f64 v[8:9], v[206:207], v[78:79], -v[8:9]
	v_fma_f64 v[6:7], v[212:213], v[72:73], -v[54:55]
	buffer_load_dword v206, off, s[0:3], 0 offset:840
	buffer_load_dword v215, off, s[0:3], 0 offset:828
	;; [unrolled: 1-line block ×8, first 2 shown]
	v_mul_f64 v[54:55], v[220:221], v[68:69]
	v_fma_f64 v[4:5], v[218:219], v[70:71], -v[54:55]
	buffer_load_dword v219, off, s[0:3], 0 offset:860
	buffer_load_dword v218, off, s[0:3], 0 offset:856
	;; [unrolled: 1-line block ×4, first 2 shown]
	s_waitcnt vmcnt(54) lgkmcnt(1)
	v_mul_f64 v[12:13], v[46:47], v[166:167]
	s_waitcnt vmcnt(52)
	v_fmac_f64_e32 v[12:13], v[48:49], v[168:169]
	v_add_f64 v[2:3], v[2:3], v[12:13]
	s_waitcnt lgkmcnt(0)
	v_mul_f64 v[12:13], v[50:51], v[148:149]
	v_fmac_f64_e32 v[12:13], v[52:53], v[152:153]
	v_add_f64 v[2:3], v[2:3], v[12:13]
	ds_read_b128 v[54:57], v1 offset:1536
	v_mul_f64 v[12:13], v[224:225], v[66:67]
	v_fma_f64 v[12:13], v[222:223], v[84:85], -v[12:13]
	ds_read_b128 v[222:225], v1 offset:1552
	ds_read_b128 v[62:65], v1 offset:1568
	v_mul_f64 v[70:71], v[238:239], v[86:87]
	v_mul_f64 v[82:83], v[246:247], v[96:97]
	v_fma_f64 v[246:247], v[244:245], v[98:99], -v[82:83]
	v_mul_f64 v[86:87], v[250:251], v[230:231]
	v_fma_f64 v[230:231], v[248:249], v[58:59], -v[86:87]
	;; [unrolled: 2-line block ×3, first 2 shown]
	v_add_f64 v[14:15], v[14:15], 0
	v_add_f64 v[14:15], v[14:15], v[210:211]
	;; [unrolled: 1-line block ×9, first 2 shown]
	v_accvgpr_read_b32 v6, a168
	v_accvgpr_read_b32 v7, a169
	;; [unrolled: 1-line block ×3, first 2 shown]
	v_mul_f64 v[6:7], v[132:133], v[6:7]
	v_accvgpr_read_b32 v9, a171
	v_fma_f64 v[6:7], v[130:131], v[8:9], -v[6:7]
	v_accvgpr_read_b32 v8, a174
	v_accvgpr_read_b32 v9, a175
	ds_read_b128 v[82:85], v1 offset:1648
	s_waitcnt vmcnt(50) lgkmcnt(3)
	v_mul_f64 v[16:17], v[54:55], v[170:171]
	s_waitcnt vmcnt(48)
	v_fmac_f64_e32 v[16:17], v[56:57], v[174:175]
	s_waitcnt vmcnt(46) lgkmcnt(2)
	v_mul_f64 v[66:67], v[222:223], v[176:177]
	v_add_f64 v[2:3], v[2:3], v[16:17]
	s_waitcnt vmcnt(44)
	v_fmac_f64_e32 v[66:67], v[224:225], v[178:179]
	v_add_f64 v[2:3], v[2:3], v[66:67]
	ds_read_b128 v[66:69], v1 offset:1584
	v_mul_f64 v[16:17], v[234:235], v[90:91]
	s_waitcnt vmcnt(41) lgkmcnt(2)
	v_mul_f64 v[74:75], v[62:63], v[182:183]
	v_fma_f64 v[16:17], v[232:233], v[92:93], -v[16:17]
	v_fma_f64 v[232:233], v[236:237], v[88:89], -v[70:71]
	s_waitcnt vmcnt(39)
	v_fmac_f64_e32 v[74:75], v[64:65], v[186:187]
	ds_read_b128 v[70:73], v1 offset:1600
	v_add_f64 v[2:3], v[2:3], v[74:75]
	v_mul_f64 v[74:75], v[242:243], v[100:101]
	v_fma_f64 v[240:241], v[240:241], v[102:103], -v[74:75]
	ds_read_b128 v[74:77], v1 offset:1616
	s_waitcnt vmcnt(38) lgkmcnt(2)
	v_mul_f64 v[78:79], v[66:67], v[172:173]
	s_waitcnt vmcnt(36)
	v_fmac_f64_e32 v[78:79], v[68:69], v[184:185]
	v_add_f64 v[2:3], v[2:3], v[78:79]
	s_waitcnt vmcnt(33) lgkmcnt(1)
	v_mul_f64 v[78:79], v[70:71], v[190:191]
	s_waitcnt vmcnt(31)
	v_fmac_f64_e32 v[78:79], v[72:73], v[192:193]
	v_add_f64 v[2:3], v[2:3], v[78:79]
	;; [unrolled: 5-line block ×3, first 2 shown]
	ds_read_b128 v[78:81], v1 offset:1632
	ds_read_b128 v[86:89], v1 offset:1664
	s_waitcnt vmcnt(22)
	v_mul_f64 v[58:59], v[82:83], v[198:199]
	s_waitcnt vmcnt(20)
	v_fmac_f64_e32 v[58:59], v[84:85], v[202:203]
	ds_read_b128 v[98:101], v1 offset:1712
	s_waitcnt lgkmcnt(2)
	v_mul_f64 v[90:91], v[78:79], v[194:195]
	v_fmac_f64_e32 v[90:91], v[80:81], v[196:197]
	v_add_f64 v[2:3], v[2:3], v[90:91]
	ds_read_b128 v[90:93], v1 offset:1680
	v_add_f64 v[2:3], v[2:3], v[58:59]
	s_waitcnt vmcnt(18) lgkmcnt(2)
	v_mul_f64 v[58:59], v[86:87], v[200:201]
	s_waitcnt vmcnt(16)
	v_fmac_f64_e32 v[58:59], v[88:89], v[204:205]
	v_add_f64 v[2:3], v[2:3], v[58:59]
	v_mul_f64 v[58:59], v[254:255], v[94:95]
	ds_read_b128 v[94:97], v1 offset:1696
	v_fma_f64 v[252:253], v[252:253], v[104:105], -v[58:59]
	s_waitcnt vmcnt(14) lgkmcnt(1)
	v_mul_f64 v[58:59], v[90:91], v[208:209]
	s_waitcnt vmcnt(12)
	v_fmac_f64_e32 v[58:59], v[92:93], v[60:61]
	ds_read_b128 v[102:105], v1 offset:1728
	v_add_f64 v[2:3], v[2:3], v[58:59]
	s_waitcnt vmcnt(9) lgkmcnt(1)
	v_mul_f64 v[58:59], v[94:95], v[214:215]
	s_waitcnt vmcnt(7)
	v_fmac_f64_e32 v[58:59], v[96:97], v[216:217]
	v_add_f64 v[2:3], v[2:3], v[58:59]
	s_waitcnt vmcnt(5)
	v_mul_f64 v[58:59], v[98:99], v[206:207]
	s_waitcnt vmcnt(4)
	v_fmac_f64_e32 v[58:59], v[100:101], v[212:213]
	v_add_f64 v[2:3], v[2:3], v[58:59]
	s_waitcnt vmcnt(2) lgkmcnt(0)
	v_mul_f64 v[58:59], v[102:103], v[218:219]
	s_waitcnt vmcnt(0)
	v_fmac_f64_e32 v[58:59], v[104:105], v[220:221]
	v_add_f64 v[58:59], v[2:3], v[58:59]
	buffer_load_dword v2, off, s[0:3], 0 offset:872
	buffer_load_dword v3, off, s[0:3], 0 offset:876
	;; [unrolled: 1-line block ×4, first 2 shown]
	ds_read_b128 v[106:109], v1 offset:1744
	buffer_load_dword v237, off, s[0:3], 0 offset:892
	buffer_load_dword v236, off, s[0:3], 0 offset:888
	buffer_load_dword v239, off, s[0:3], 0 offset:884
	buffer_load_dword v238, off, s[0:3], 0 offset:880
	ds_read_b128 v[226:229], v1 offset:1760
	buffer_load_dword v242, off, s[0:3], 0 offset:904
	buffer_load_dword v243, off, s[0:3], 0 offset:908
	;; [unrolled: 1-line block ×4, first 2 shown]
	v_add_f64 v[4:5], v[4:5], v[16:17]
	v_add_f64 v[4:5], v[4:5], v[232:233]
	;; [unrolled: 1-line block ×8, first 2 shown]
	v_mul_f64 v[6:7], v[128:129], v[138:139]
	v_fma_f64 v[6:7], v[126:127], v[142:143], -v[6:7]
	v_add_f64 v[4:5], v[4:5], v[6:7]
	v_accvgpr_read_b32 v6, a172
	v_accvgpr_read_b32 v7, a173
	v_mul_f64 v[6:7], v[124:125], v[6:7]
	v_fma_f64 v[6:7], v[122:123], v[8:9], -v[6:7]
	v_add_f64 v[4:5], v[4:5], v[6:7]
	v_mul_f64 v[6:7], v[120:121], v[146:147]
	v_fma_f64 v[6:7], v[118:119], v[150:151], -v[6:7]
	v_add_f64 v[4:5], v[4:5], v[6:7]
	v_accvgpr_read_b32 v6, a176
	v_accvgpr_read_b32 v7, a177
	;; [unrolled: 1-line block ×3, first 2 shown]
	v_mul_f64 v[6:7], v[20:21], v[6:7]
	v_accvgpr_read_b32 v9, a179
	v_fma_f64 v[6:7], v[18:19], v[8:9], -v[6:7]
	v_add_f64 v[4:5], v[4:5], v[6:7]
	v_mul_f64 v[6:7], v[24:25], v[154:155]
	v_fma_f64 v[6:7], v[22:23], v[156:157], -v[6:7]
	v_add_f64 v[4:5], v[4:5], v[6:7]
	v_accvgpr_read_b32 v6, a180
	v_accvgpr_read_b32 v7, a181
	;; [unrolled: 1-line block ×3, first 2 shown]
	v_mul_f64 v[6:7], v[28:29], v[6:7]
	v_accvgpr_read_b32 v9, a183
	v_fma_f64 v[6:7], v[26:27], v[8:9], -v[6:7]
	v_add_f64 v[4:5], v[4:5], v[6:7]
	v_mul_f64 v[6:7], v[32:33], v[158:159]
	v_fma_f64 v[6:7], v[30:31], v[160:161], -v[6:7]
	v_add_f64 v[4:5], v[4:5], v[6:7]
	v_mul_f64 v[6:7], v[36:37], v[134:135]
	;; [unrolled: 3-line block ×13, first 2 shown]
	s_waitcnt vmcnt(10) lgkmcnt(1)
	v_mul_f64 v[114:115], v[106:107], v[2:3]
	v_fma_f64 v[6:7], v[78:79], v[196:197], -v[6:7]
	s_waitcnt vmcnt(8)
	v_fmac_f64_e32 v[114:115], v[108:109], v[234:235]
	v_add_f64 v[58:59], v[58:59], v[114:115]
	s_waitcnt vmcnt(6) lgkmcnt(0)
	v_mul_f64 v[114:115], v[226:227], v[236:237]
	s_waitcnt vmcnt(4)
	v_fmac_f64_e32 v[114:115], v[228:229], v[238:239]
	v_add_f64 v[58:59], v[58:59], v[114:115]
	ds_read_b128 v[114:117], v1 offset:1776
	v_add_f64 v[4:5], v[4:5], v[6:7]
	v_mul_f64 v[6:7], v[84:85], v[198:199]
	v_fma_f64 v[6:7], v[82:83], v[202:203], -v[6:7]
	v_add_f64 v[4:5], v[4:5], v[6:7]
	s_waitcnt vmcnt(2) lgkmcnt(0)
	v_mul_f64 v[248:249], v[114:115], v[242:243]
	s_waitcnt vmcnt(0)
	v_fmac_f64_e32 v[248:249], v[116:117], v[244:245]
	v_add_f64 v[58:59], v[58:59], v[248:249]
	buffer_load_dword v248, off, s[0:3], 0 offset:176
	buffer_load_dword v249, off, s[0:3], 0 offset:180
	;; [unrolled: 1-line block ×4, first 2 shown]
	v_mul_f64 v[6:7], v[88:89], v[200:201]
	v_fma_f64 v[6:7], v[86:87], v[204:205], -v[6:7]
	v_add_f64 v[4:5], v[4:5], v[6:7]
	v_mul_f64 v[6:7], v[92:93], v[208:209]
	v_fma_f64 v[6:7], v[90:91], v[60:61], -v[6:7]
	v_add_f64 v[4:5], v[4:5], v[6:7]
	;; [unrolled: 3-line block ×4, first 2 shown]
	v_mul_f64 v[6:7], v[104:105], v[218:219]
	v_fma_f64 v[6:7], v[102:103], v[220:221], -v[6:7]
	v_mul_f64 v[2:3], v[108:109], v[2:3]
	v_add_f64 v[4:5], v[4:5], v[6:7]
	v_fma_f64 v[2:3], v[106:107], v[234:235], -v[2:3]
	v_add_f64 v[2:3], v[4:5], v[2:3]
	v_mul_f64 v[4:5], v[228:229], v[236:237]
	v_fma_f64 v[4:5], v[226:227], v[238:239], -v[4:5]
	v_add_f64 v[2:3], v[2:3], v[4:5]
	v_mul_f64 v[4:5], v[116:117], v[242:243]
	v_fma_f64 v[4:5], v[114:115], v[244:245], -v[4:5]
	v_add_f64 v[2:3], v[2:3], v[4:5]
	s_waitcnt vmcnt(2)
	v_add_f64 v[2:3], v[248:249], -v[2:3]
	s_waitcnt vmcnt(0)
	v_add_f64 v[4:5], v[246:247], -v[58:59]
	buffer_store_dword v3, off, s[0:3], 0 offset:180
	buffer_store_dword v2, off, s[0:3], 0 offset:176
	;; [unrolled: 1-line block ×4, first 2 shown]
	s_and_saveexec_b64 s[4:5], vcc
	s_cbranch_execz .LBB55_331
; %bb.330:
	v_accvgpr_read_b32 v5, a158
	buffer_load_dword v2, v5, s[0:3], 0 offen
	buffer_load_dword v3, v5, s[0:3], 0 offen offset:4
	buffer_load_dword v4, v5, s[0:3], 0 offen offset:8
	s_nop 0
	buffer_load_dword v5, v5, s[0:3], 0 offen offset:12
	v_accvgpr_read_b32 v6, a167
	buffer_store_dword v1, off, s[0:3], 0 offset:160
	buffer_store_dword v1, off, s[0:3], 0 offset:164
	;; [unrolled: 1-line block ×4, first 2 shown]
	s_waitcnt vmcnt(4)
	ds_write_b128 v6, v[2:5]
.LBB55_331:
	s_or_b64 exec, exec, s[4:5]
	s_waitcnt lgkmcnt(0)
	; wave barrier
	s_waitcnt lgkmcnt(0)
	buffer_load_dword v60, off, s[0:3], 0 offset:176
	buffer_load_dword v61, off, s[0:3], 0 offset:180
	;; [unrolled: 1-line block ×42, first 2 shown]
	ds_read_b128 v[114:117], v1 offset:1056
	ds_read_b128 v[180:183], v1 offset:1072
	;; [unrolled: 1-line block ×10, first 2 shown]
	buffer_load_dword v249, off, s[0:3], 0 offset:324
	buffer_load_dword v248, off, s[0:3], 0 offset:320
	ds_read_b128 v[62:65], v1 offset:1216
	buffer_load_dword v101, off, s[0:3], 0 offset:380
	buffer_load_dword v100, off, s[0:3], 0 offset:376
	;; [unrolled: 1-line block ×6, first 2 shown]
	v_cmp_lt_u32_e32 vcc, 8, v0
	s_waitcnt vmcnt(46) lgkmcnt(10)
	v_mul_f64 v[2:3], v[114:115], v[174:175]
	v_fmac_f64_e32 v[2:3], v[116:117], v[60:61]
	v_add_f64 v[2:3], v[2:3], 0
	s_waitcnt vmcnt(42) lgkmcnt(9)
	v_mul_f64 v[4:5], v[180:181], v[58:59]
	v_fmac_f64_e32 v[4:5], v[182:183], v[50:51]
	v_add_f64 v[2:3], v[2:3], v[4:5]
	buffer_load_dword v251, off, s[0:3], 0 offset:356
	buffer_load_dword v250, off, s[0:3], 0 offset:352
	;; [unrolled: 1-line block ×20, first 2 shown]
	s_waitcnt vmcnt(60) lgkmcnt(8)
	v_mul_f64 v[6:7], v[184:185], v[52:53]
	s_waitcnt vmcnt(58) lgkmcnt(6)
	v_mul_f64 v[10:11], v[198:199], v[68:69]
	s_waitcnt vmcnt(56)
	v_fmac_f64_e32 v[10:11], v[200:201], v[70:71]
	v_mul_f64 v[58:59], v[182:183], v[58:59]
	s_waitcnt vmcnt(54)
	v_mul_f64 v[8:9], v[192:193], v[72:73]
	v_fma_f64 v[214:215], v[180:181], v[50:51], -v[58:59]
	s_waitcnt vmcnt(52) lgkmcnt(4)
	v_mul_f64 v[14:15], v[206:207], v[74:75]
	v_mul_f64 v[50:51], v[186:187], v[52:53]
	s_waitcnt vmcnt(50)
	v_fmac_f64_e32 v[14:15], v[208:209], v[76:77]
	s_waitcnt vmcnt(48)
	v_mul_f64 v[12:13], v[202:203], v[78:79]
	s_waitcnt vmcnt(46) lgkmcnt(2)
	v_mul_f64 v[18:19], v[218:219], v[82:83]
	s_waitcnt vmcnt(43)
	v_mul_f64 v[16:17], v[210:211], v[86:87]
	s_waitcnt vmcnt(41) lgkmcnt(1)
	v_mul_f64 v[20:21], v[54:55], v[80:81]
	s_waitcnt vmcnt(39)
	v_fmac_f64_e32 v[6:7], v[186:187], v[96:97]
	v_add_f64 v[2:3], v[2:3], v[6:7]
	s_waitcnt vmcnt(37)
	v_fmac_f64_e32 v[8:9], v[194:195], v[92:93]
	v_add_f64 v[2:3], v[2:3], v[8:9]
	;; [unrolled: 3-line block ×3, first 2 shown]
	v_add_f64 v[2:3], v[2:3], v[12:13]
	s_waitcnt vmcnt(33)
	v_fmac_f64_e32 v[16:17], v[212:213], v[88:89]
	v_add_f64 v[2:3], v[2:3], v[14:15]
	s_waitcnt vmcnt(32)
	v_fmac_f64_e32 v[18:19], v[220:221], v[84:85]
	v_add_f64 v[2:3], v[2:3], v[16:17]
	v_add_f64 v[2:3], v[2:3], v[18:19]
	v_fma_f64 v[96:97], v[184:185], v[96:97], -v[50:51]
	s_waitcnt vmcnt(26)
	v_fmac_f64_e32 v[20:21], v[56:57], v[248:249]
	v_add_f64 v[2:3], v[2:3], v[20:21]
	v_mul_f64 v[50:51], v[194:195], v[72:73]
	v_mul_f64 v[56:57], v[56:57], v[80:81]
	v_fma_f64 v[248:249], v[54:55], v[248:249], -v[56:57]
	s_waitcnt vmcnt(0)
	v_pk_mov_b32 v[18:19], v[4:5], v[4:5] op_sel:[0,1]
	buffer_load_dword v5, off, s[0:3], 0 offset:468
	buffer_load_dword v4, off, s[0:3], 0 offset:464
	v_accvgpr_write_b32 a171, v19
	v_accvgpr_write_b32 a170, v18
	s_waitcnt vmcnt(0)
	v_pk_mov_b32 v[22:23], v[4:5], v[4:5] op_sel:[0,1]
	buffer_load_dword v5, off, s[0:3], 0 offset:460
	buffer_load_dword v4, off, s[0:3], 0 offset:456
	v_accvgpr_write_b32 a173, v23
	v_accvgpr_write_b32 a172, v22
	s_waitcnt vmcnt(0)
	v_pk_mov_b32 v[14:15], v[4:5], v[4:5] op_sel:[0,1]
	buffer_load_dword v139, off, s[0:3], 0 offset:452
	buffer_load_dword v138, off, s[0:3], 0 offset:448
	buffer_load_dword v5, off, s[0:3], 0 offset:508
	buffer_load_dword v4, off, s[0:3], 0 offset:504
	v_accvgpr_write_b32 a169, v15
	v_accvgpr_write_b32 a168, v14
	s_waitcnt vmcnt(0)
	v_pk_mov_b32 v[26:27], v[4:5], v[4:5] op_sel:[0,1]
	buffer_load_dword v5, off, s[0:3], 0 offset:500
	buffer_load_dword v4, off, s[0:3], 0 offset:496
	v_accvgpr_write_b32 a175, v27
	v_accvgpr_write_b32 a174, v26
	s_waitcnt vmcnt(0)
	v_pk_mov_b32 v[28:29], v[4:5], v[4:5] op_sel:[0,1]
	buffer_load_dword v143, off, s[0:3], 0 offset:492
	buffer_load_dword v142, off, s[0:3], 0 offset:488
	buffer_load_dword v147, off, s[0:3], 0 offset:484
	buffer_load_dword v146, off, s[0:3], 0 offset:480
	buffer_load_dword v5, off, s[0:3], 0 offset:540
	buffer_load_dword v4, off, s[0:3], 0 offset:536
	v_accvgpr_write_b32 a177, v29
	v_accvgpr_write_b32 a176, v28
	s_waitcnt vmcnt(0)
	v_pk_mov_b32 v[34:35], v[4:5], v[4:5] op_sel:[0,1]
	buffer_load_dword v5, off, s[0:3], 0 offset:532
	buffer_load_dword v4, off, s[0:3], 0 offset:528
	v_accvgpr_write_b32 a179, v35
	v_accvgpr_write_b32 a178, v34
	s_waitcnt vmcnt(0)
	v_pk_mov_b32 v[36:37], v[4:5], v[4:5] op_sel:[0,1]
	buffer_load_dword v151, off, s[0:3], 0 offset:524
	buffer_load_dword v150, off, s[0:3], 0 offset:520
	;; [unrolled: 16-line block ×3, first 2 shown]
	buffer_load_dword v161, off, s[0:3], 0 offset:548
	buffer_load_dword v160, off, s[0:3], 0 offset:544
	;; [unrolled: 1-line block ×26, first 2 shown]
	ds_read_b128 v[222:225], v1 offset:1232
	ds_read_b128 v[226:229], v1 offset:1248
	;; [unrolled: 1-line block ×10, first 2 shown]
	s_waitcnt lgkmcnt(4)
	v_mul_f64 v[8:9], v[244:245], v[106:107]
	v_fmac_f64_e32 v[8:9], v[246:247], v[108:109]
	s_waitcnt lgkmcnt(3)
	v_mul_f64 v[12:13], v[134:135], v[14:15]
	v_fmac_f64_e32 v[12:13], v[136:137], v[138:139]
	;; [unrolled: 3-line block ×4, first 2 shown]
	ds_read_b128 v[118:121], v1 offset:1392
	s_waitcnt lgkmcnt(1)
	v_mul_f64 v[24:25], v[122:123], v[26:27]
	v_fmac_f64_e32 v[24:25], v[124:125], v[28:29]
	v_accvgpr_write_b32 a185, v45
	v_accvgpr_write_b32 a184, v44
	s_waitcnt vmcnt(22)
	v_pk_mov_b32 v[176:177], v[4:5], v[4:5] op_sel:[0,1]
	v_mul_f64 v[4:5], v[62:63], v[94:95]
	v_fmac_f64_e32 v[4:5], v[64:65], v[98:99]
	v_add_f64 v[2:3], v[2:3], v[4:5]
	v_mul_f64 v[4:5], v[222:223], v[104:105]
	v_fmac_f64_e32 v[4:5], v[224:225], v[250:251]
	v_add_f64 v[2:3], v[2:3], v[4:5]
	;; [unrolled: 3-line block ×6, first 2 shown]
	v_add_f64 v[10:11], v[6:7], v[8:9]
	v_add_f64 v[14:15], v[10:11], v[12:13]
	;; [unrolled: 1-line block ×5, first 2 shown]
	ds_read_b128 v[22:25], v1 offset:1408
	s_waitcnt lgkmcnt(1)
	v_mul_f64 v[28:29], v[118:119], v[150:151]
	v_fmac_f64_e32 v[28:29], v[120:121], v[154:155]
	v_add_f64 v[30:31], v[26:27], v[28:29]
	ds_read_b128 v[26:29], v1 offset:1424
	s_waitcnt lgkmcnt(1)
	v_mul_f64 v[32:33], v[22:23], v[34:35]
	v_fmac_f64_e32 v[32:33], v[24:25], v[36:37]
	v_add_f64 v[34:35], v[30:31], v[32:33]
	;; [unrolled: 5-line block ×4, first 2 shown]
	ds_read_b128 v[38:41], v1 offset:1472
	ds_read_b128 v[42:45], v1 offset:1488
	s_waitcnt vmcnt(18) lgkmcnt(2)
	v_mul_f64 v[48:49], v[34:35], v[162:163]
	s_waitcnt vmcnt(16)
	v_fmac_f64_e32 v[48:49], v[36:37], v[164:165]
	v_add_f64 v[46:47], v[46:47], v[48:49]
	s_waitcnt lgkmcnt(1)
	v_mul_f64 v[48:49], v[38:39], v[176:177]
	v_fmac_f64_e32 v[48:49], v[40:41], v[140:141]
	v_add_f64 v[46:47], v[46:47], v[48:49]
	s_waitcnt vmcnt(10) lgkmcnt(0)
	v_mul_f64 v[48:49], v[42:43], v[166:167]
	v_accvgpr_write_b32 a187, v177
	s_waitcnt vmcnt(8)
	v_fmac_f64_e32 v[48:49], v[44:45], v[168:169]
	v_accvgpr_write_b32 a186, v176
	v_add_f64 v[2:3], v[46:47], v[48:49]
	ds_read_b128 v[46:49], v1 offset:1504
	v_mul_f64 v[4:5], v[116:117], v[174:175]
	buffer_load_dword v175, off, s[0:3], 0 offset:684
	buffer_load_dword v174, off, s[0:3], 0 offset:680
	buffer_load_dword v179, off, s[0:3], 0 offset:676
	buffer_load_dword v178, off, s[0:3], 0 offset:672
	buffer_load_dword v176, off, s[0:3], 0 offset:696
	buffer_load_dword v180, off, s[0:3], 0 offset:688
	buffer_load_dword v177, off, s[0:3], 0 offset:700
	buffer_load_dword v181, off, s[0:3], 0 offset:692
	buffer_load_dword v185, off, s[0:3], 0 offset:716
	buffer_load_dword v184, off, s[0:3], 0 offset:712
	buffer_load_dword v189, off, s[0:3], 0 offset:708
	buffer_load_dword v188, off, s[0:3], 0 offset:704
	buffer_load_dword v187, off, s[0:3], 0 offset:732
	buffer_load_dword v186, off, s[0:3], 0 offset:728
	buffer_load_dword v191, off, s[0:3], 0 offset:724
	buffer_load_dword v190, off, s[0:3], 0 offset:720
	v_fma_f64 v[14:15], v[192:193], v[92:93], -v[50:51]
	buffer_load_dword v182, off, s[0:3], 0 offset:760
	buffer_load_dword v195, off, s[0:3], 0 offset:748
	;; [unrolled: 1-line block ×8, first 2 shown]
	v_mul_f64 v[8:9], v[200:201], v[68:69]
	v_fma_f64 v[10:11], v[198:199], v[70:71], -v[8:9]
	buffer_load_dword v199, off, s[0:3], 0 offset:780
	buffer_load_dword v198, off, s[0:3], 0 offset:776
	;; [unrolled: 1-line block ×4, first 2 shown]
	v_mul_f64 v[12:13], v[208:209], v[74:75]
	v_mul_f64 v[50:51], v[204:205], v[78:79]
	v_fma_f64 v[12:13], v[206:207], v[76:77], -v[12:13]
	buffer_load_dword v204, off, s[0:3], 0 offset:792
	buffer_load_dword v206, off, s[0:3], 0 offset:784
	;; [unrolled: 1-line block ×4, first 2 shown]
	v_fma_f64 v[8:9], v[202:203], v[90:91], -v[50:51]
	v_mul_f64 v[50:51], v[212:213], v[86:87]
	v_fma_f64 v[6:7], v[210:211], v[88:89], -v[50:51]
	buffer_load_dword v203, off, s[0:3], 0 offset:828
	buffer_load_dword v209, off, s[0:3], 0 offset:812
	buffer_load_dword v208, off, s[0:3], 0 offset:808
	buffer_load_dword v69, off, s[0:3], 0 offset:804
	buffer_load_dword v68, off, s[0:3], 0 offset:800
	buffer_load_dword v202, off, s[0:3], 0 offset:824
	buffer_load_dword v213, off, s[0:3], 0 offset:820
	buffer_load_dword v212, off, s[0:3], 0 offset:816
	buffer_load_dword v211, off, s[0:3], 0 offset:844
	buffer_load_dword v210, off, s[0:3], 0 offset:840
	buffer_load_dword v217, off, s[0:3], 0 offset:836
	buffer_load_dword v216, off, s[0:3], 0 offset:832
	v_mul_f64 v[16:17], v[220:221], v[82:83]
	ds_read_b128 v[50:53], v1 offset:1520
	v_fma_f64 v[16:17], v[218:219], v[84:85], -v[16:17]
	buffer_load_dword v218, off, s[0:3], 0 offset:856
	buffer_load_dword v220, off, s[0:3], 0 offset:848
	buffer_load_dword v219, off, s[0:3], 0 offset:860
	buffer_load_dword v221, off, s[0:3], 0 offset:852
	ds_read_b128 v[54:57], v1 offset:1536
	s_waitcnt lgkmcnt(2)
	v_mul_f64 v[58:59], v[46:47], v[144:145]
	v_fmac_f64_e32 v[58:59], v[48:49], v[148:149]
	v_add_f64 v[2:3], v[2:3], v[58:59]
	s_waitcnt vmcnt(50) lgkmcnt(1)
	v_mul_f64 v[58:59], v[50:51], v[170:171]
	s_waitcnt vmcnt(48)
	v_fmac_f64_e32 v[58:59], v[52:53], v[172:173]
	v_mul_f64 v[64:65], v[64:65], v[94:95]
	v_add_f64 v[2:3], v[2:3], v[58:59]
	v_fma_f64 v[94:95], v[62:63], v[98:99], -v[64:65]
	ds_read_b128 v[62:65], v1 offset:1568
	s_waitcnt lgkmcnt(1)
	v_mul_f64 v[58:59], v[54:55], v[152:153]
	v_fmac_f64_e32 v[58:59], v[56:57], v[156:157]
	v_fma_f64 v[18:19], v[114:115], v[60:61], -v[4:5]
	v_add_f64 v[2:3], v[2:3], v[58:59]
	ds_read_b128 v[58:61], v1 offset:1552
	v_mul_f64 v[74:75], v[228:229], v[100:101]
	v_fma_f64 v[4:5], v[226:227], v[102:103], -v[74:75]
	ds_read_b128 v[74:77], v1 offset:1616
	v_mul_f64 v[78:79], v[234:235], v[252:253]
	v_fma_f64 v[254:255], v[232:233], v[254:255], -v[78:79]
	ds_read_b128 v[78:81], v1 offset:1632
	ds_read_b128 v[82:85], v1 offset:1648
	;; [unrolled: 1-line block ×4, first 2 shown]
	v_add_f64 v[18:19], v[18:19], 0
	v_add_f64 v[18:19], v[18:19], v[214:215]
	;; [unrolled: 1-line block ×11, first 2 shown]
	s_waitcnt vmcnt(46) lgkmcnt(5)
	v_mul_f64 v[70:71], v[58:59], v[174:175]
	s_waitcnt vmcnt(44)
	v_fmac_f64_e32 v[70:71], v[60:61], v[178:179]
	v_add_f64 v[2:3], v[2:3], v[70:71]
	v_mul_f64 v[70:71], v[224:225], v[104:105]
	v_fma_f64 v[250:251], v[222:223], v[250:251], -v[70:71]
	ds_read_b128 v[222:225], v1 offset:1584
	s_waitcnt vmcnt(41)
	v_mul_f64 v[70:71], v[62:63], v[176:177]
	s_waitcnt vmcnt(40)
	v_fmac_f64_e32 v[70:71], v[64:65], v[180:181]
	v_add_f64 v[2:3], v[2:3], v[70:71]
	ds_read_b128 v[70:73], v1 offset:1600
	s_waitcnt vmcnt(38) lgkmcnt(1)
	v_mul_f64 v[20:21], v[222:223], v[184:185]
	s_waitcnt vmcnt(36)
	v_fmac_f64_e32 v[20:21], v[224:225], v[188:189]
	v_add_f64 v[2:3], v[2:3], v[20:21]
	s_waitcnt vmcnt(22)
	v_mul_f64 v[90:91], v[82:83], v[198:199]
	s_waitcnt lgkmcnt(0)
	v_mul_f64 v[20:21], v[70:71], v[186:187]
	v_fmac_f64_e32 v[20:21], v[72:73], v[190:191]
	v_add_f64 v[2:3], v[2:3], v[20:21]
	v_mul_f64 v[20:21], v[74:75], v[194:195]
	v_fmac_f64_e32 v[20:21], v[76:77], v[196:197]
	v_add_f64 v[2:3], v[2:3], v[20:21]
	;; [unrolled: 3-line block ×3, first 2 shown]
	s_waitcnt vmcnt(20)
	v_fmac_f64_e32 v[90:91], v[84:85], v[200:201]
	v_add_f64 v[98:99], v[2:3], v[90:91]
	v_mul_f64 v[2:3], v[242:243], v[230:231]
	ds_read_b128 v[90:93], v1 offset:1680
	v_fma_f64 v[2:3], v[240:241], v[66:67], -v[2:3]
	s_waitcnt vmcnt(17)
	v_mul_f64 v[66:67], v[86:87], v[204:205]
	s_waitcnt vmcnt(16)
	v_fmac_f64_e32 v[66:67], v[88:89], v[206:207]
	v_add_f64 v[66:67], v[98:99], v[66:67]
	v_mul_f64 v[98:99], v[246:247], v[106:107]
	v_fma_f64 v[252:253], v[244:245], v[108:109], -v[98:99]
	ds_read_b128 v[98:101], v1 offset:1712
	s_waitcnt vmcnt(13) lgkmcnt(1)
	v_mul_f64 v[102:103], v[90:91], v[208:209]
	s_waitcnt vmcnt(11)
	v_fmac_f64_e32 v[102:103], v[92:93], v[68:69]
	v_add_f64 v[66:67], v[66:67], v[102:103]
	s_waitcnt vmcnt(10)
	v_mul_f64 v[102:103], v[226:227], v[202:203]
	s_waitcnt vmcnt(8)
	v_fmac_f64_e32 v[102:103], v[228:229], v[212:213]
	v_add_f64 v[66:67], v[66:67], v[102:103]
	s_waitcnt vmcnt(6) lgkmcnt(0)
	v_mul_f64 v[102:103], v[98:99], v[210:211]
	s_waitcnt vmcnt(4)
	v_fmac_f64_e32 v[102:103], v[100:101], v[216:217]
	v_add_f64 v[66:67], v[66:67], v[102:103]
	ds_read_b128 v[102:105], v1 offset:1728
	buffer_load_dword v233, off, s[0:3], 0 offset:876
	buffer_load_dword v232, off, s[0:3], 0 offset:872
	;; [unrolled: 1-line block ×4, first 2 shown]
	v_mul_f64 v[20:21], v[238:239], v[110:111]
	v_fma_f64 v[20:21], v[236:237], v[112:113], -v[20:21]
	v_add_f64 v[6:7], v[6:7], v[250:251]
	s_waitcnt vmcnt(5) lgkmcnt(0)
	v_mul_f64 v[106:107], v[102:103], v[218:219]
	s_waitcnt vmcnt(4)
	v_fmac_f64_e32 v[106:107], v[104:105], v[220:221]
	v_add_f64 v[66:67], v[66:67], v[106:107]
	ds_read_b128 v[106:109], v1 offset:1744
	buffer_load_dword v236, off, s[0:3], 0 offset:888
	buffer_load_dword v237, off, s[0:3], 0 offset:892
	;; [unrolled: 1-line block ×4, first 2 shown]
	v_add_f64 v[4:5], v[6:7], v[4:5]
	v_add_f64 v[4:5], v[4:5], v[254:255]
	;; [unrolled: 1-line block ×3, first 2 shown]
	v_accvgpr_read_b32 v4, a168
	v_accvgpr_read_b32 v5, a169
	v_add_f64 v[2:3], v[254:255], v[2:3]
	v_mul_f64 v[4:5], v[136:137], v[4:5]
	v_add_f64 v[2:3], v[2:3], v[252:253]
	v_fma_f64 v[4:5], v[134:135], v[138:139], -v[4:5]
	v_add_f64 v[2:3], v[2:3], v[4:5]
	v_accvgpr_read_b32 v4, a170
	v_accvgpr_read_b32 v5, a171
	v_accvgpr_read_b32 v6, a172
	v_mul_f64 v[4:5], v[132:133], v[4:5]
	v_accvgpr_read_b32 v7, a173
	v_fma_f64 v[4:5], v[130:131], v[6:7], -v[4:5]
	v_add_f64 v[2:3], v[2:3], v[4:5]
	v_mul_f64 v[4:5], v[128:129], v[142:143]
	v_fma_f64 v[4:5], v[126:127], v[146:147], -v[4:5]
	v_add_f64 v[2:3], v[2:3], v[4:5]
	v_accvgpr_read_b32 v4, a174
	v_accvgpr_read_b32 v5, a175
	v_accvgpr_read_b32 v6, a176
	v_mul_f64 v[4:5], v[124:125], v[4:5]
	v_accvgpr_read_b32 v7, a177
	v_fma_f64 v[4:5], v[122:123], v[6:7], -v[4:5]
	v_add_f64 v[2:3], v[2:3], v[4:5]
	v_mul_f64 v[4:5], v[120:121], v[150:151]
	;; [unrolled: 10-line block ×4, first 2 shown]
	v_fma_f64 v[4:5], v[34:35], v[164:165], -v[4:5]
	v_add_f64 v[2:3], v[2:3], v[4:5]
	v_accvgpr_read_b32 v4, a186
	v_accvgpr_read_b32 v5, a187
	v_mul_f64 v[4:5], v[40:41], v[4:5]
	v_fma_f64 v[4:5], v[38:39], v[140:141], -v[4:5]
	v_add_f64 v[2:3], v[2:3], v[4:5]
	v_mul_f64 v[4:5], v[44:45], v[166:167]
	v_fma_f64 v[4:5], v[42:43], v[168:169], -v[4:5]
	v_add_f64 v[2:3], v[2:3], v[4:5]
	;; [unrolled: 3-line block ×5, first 2 shown]
	v_mul_f64 v[4:5], v[60:61], v[174:175]
	v_fma_f64 v[4:5], v[58:59], v[178:179], -v[4:5]
	s_waitcnt vmcnt(6) lgkmcnt(0)
	v_mul_f64 v[110:111], v[106:107], v[232:233]
	v_add_f64 v[2:3], v[2:3], v[4:5]
	s_waitcnt vmcnt(4)
	v_fmac_f64_e32 v[110:111], v[108:109], v[234:235]
	v_add_f64 v[66:67], v[66:67], v[110:111]
	ds_read_b128 v[110:113], v1 offset:1760
	buffer_load_dword v243, off, s[0:3], 0 offset:908
	buffer_load_dword v242, off, s[0:3], 0 offset:904
	;; [unrolled: 1-line block ×4, first 2 shown]
	v_mul_f64 v[4:5], v[64:65], v[176:177]
	v_fma_f64 v[4:5], v[62:63], v[180:181], -v[4:5]
	v_add_f64 v[2:3], v[2:3], v[4:5]
	s_waitcnt vmcnt(6) lgkmcnt(0)
	v_mul_f64 v[114:115], v[110:111], v[236:237]
	s_waitcnt vmcnt(4)
	v_fmac_f64_e32 v[114:115], v[112:113], v[238:239]
	v_add_f64 v[66:67], v[66:67], v[114:115]
	ds_read_b128 v[114:117], v1 offset:1776
	buffer_load_dword v248, off, s[0:3], 0 offset:160
	buffer_load_dword v249, off, s[0:3], 0 offset:164
	;; [unrolled: 1-line block ×4, first 2 shown]
	v_mul_f64 v[4:5], v[224:225], v[184:185]
	v_fma_f64 v[4:5], v[222:223], v[188:189], -v[4:5]
	v_add_f64 v[2:3], v[2:3], v[4:5]
	v_mul_f64 v[4:5], v[72:73], v[186:187]
	v_fma_f64 v[4:5], v[70:71], v[190:191], -v[4:5]
	v_add_f64 v[2:3], v[2:3], v[4:5]
	;; [unrolled: 3-line block ×12, first 2 shown]
	s_waitcnt vmcnt(6) lgkmcnt(0)
	v_mul_f64 v[4:5], v[116:117], v[242:243]
	v_mul_f64 v[230:231], v[114:115], v[242:243]
	s_waitcnt vmcnt(4)
	v_fma_f64 v[4:5], v[114:115], v[244:245], -v[4:5]
	v_fmac_f64_e32 v[230:231], v[116:117], v[244:245]
	v_add_f64 v[2:3], v[2:3], v[4:5]
	v_add_f64 v[240:241], v[66:67], v[230:231]
	s_waitcnt vmcnt(2)
	v_add_f64 v[2:3], v[248:249], -v[2:3]
	s_waitcnt vmcnt(0)
	v_add_f64 v[4:5], v[246:247], -v[240:241]
	buffer_store_dword v3, off, s[0:3], 0 offset:164
	buffer_store_dword v2, off, s[0:3], 0 offset:160
	;; [unrolled: 1-line block ×4, first 2 shown]
	s_and_saveexec_b64 s[4:5], vcc
	s_cbranch_execz .LBB55_333
; %bb.332:
	v_accvgpr_read_b32 v1, a159
	buffer_load_dword v2, v1, s[0:3], 0 offen
	buffer_load_dword v3, v1, s[0:3], 0 offen offset:4
	buffer_load_dword v4, v1, s[0:3], 0 offen offset:8
	buffer_load_dword v5, v1, s[0:3], 0 offen offset:12
	v_mov_b32_e32 v1, 0
	v_accvgpr_read_b32 v6, a167
	buffer_store_dword v1, off, s[0:3], 0 offset:144
	buffer_store_dword v1, off, s[0:3], 0 offset:148
	;; [unrolled: 1-line block ×4, first 2 shown]
	s_waitcnt vmcnt(4)
	ds_write_b128 v6, v[2:5]
.LBB55_333:
	s_or_b64 exec, exec, s[4:5]
	s_waitcnt lgkmcnt(0)
	; wave barrier
	s_waitcnt lgkmcnt(0)
	buffer_load_dword v48, off, s[0:3], 0 offset:160
	buffer_load_dword v49, off, s[0:3], 0 offset:164
	;; [unrolled: 1-line block ×42, first 2 shown]
	v_mov_b32_e32 v1, 0
	buffer_load_dword v99, off, s[0:3], 0 offset:308
	buffer_load_dword v98, off, s[0:3], 0 offset:304
	buffer_load_dword v93, off, s[0:3], 0 offset:364
	buffer_load_dword v92, off, s[0:3], 0 offset:360
	buffer_load_dword v95, off, s[0:3], 0 offset:356
	buffer_load_dword v94, off, s[0:3], 0 offset:352
	buffer_load_dword v97, off, s[0:3], 0 offset:348
	ds_read_b128 v[112:115], v1 offset:1040
	ds_read_b128 v[170:173], v1 offset:1056
	;; [unrolled: 1-line block ×11, first 2 shown]
	v_cmp_lt_u32_e32 vcc, 7, v0
	s_waitcnt vmcnt(45) lgkmcnt(10)
	v_mul_f64 v[2:3], v[112:113], v[52:53]
	v_fmac_f64_e32 v[2:3], v[114:115], v[48:49]
	v_add_f64 v[2:3], v[2:3], 0
	s_waitcnt vmcnt(41) lgkmcnt(9)
	v_mul_f64 v[4:5], v[170:171], v[54:55]
	v_fmac_f64_e32 v[4:5], v[172:173], v[50:51]
	v_add_f64 v[2:3], v[2:3], v[4:5]
	buffer_load_dword v96, off, s[0:3], 0 offset:344
	buffer_load_dword v117, off, s[0:3], 0 offset:340
	;; [unrolled: 1-line block ×21, first 2 shown]
	s_waitcnt vmcnt(60) lgkmcnt(8)
	v_mul_f64 v[6:7], v[178:179], v[46:47]
	s_waitcnt vmcnt(58) lgkmcnt(6)
	v_mul_f64 v[10:11], v[188:189], v[186:187]
	s_waitcnt vmcnt(56)
	v_fmac_f64_e32 v[10:11], v[190:191], v[56:57]
	v_mul_f64 v[46:47], v[180:181], v[46:47]
	s_waitcnt vmcnt(54)
	v_mul_f64 v[8:9], v[182:183], v[64:65]
	s_waitcnt vmcnt(52) lgkmcnt(4)
	v_mul_f64 v[14:15], v[198:199], v[66:67]
	s_waitcnt vmcnt(50)
	v_fmac_f64_e32 v[14:15], v[200:201], v[68:69]
	s_waitcnt vmcnt(48)
	v_mul_f64 v[12:13], v[194:195], v[70:71]
	s_waitcnt vmcnt(46) lgkmcnt(2)
	v_mul_f64 v[18:19], v[212:213], v[76:77]
	s_waitcnt vmcnt(43)
	v_mul_f64 v[16:17], v[202:203], v[78:79]
	s_waitcnt vmcnt(41) lgkmcnt(1)
	v_mul_f64 v[20:21], v[218:219], v[72:73]
	s_waitcnt vmcnt(39)
	v_fmac_f64_e32 v[6:7], v[180:181], v[90:91]
	v_add_f64 v[2:3], v[2:3], v[6:7]
	s_waitcnt vmcnt(37)
	v_fmac_f64_e32 v[8:9], v[184:185], v[88:89]
	v_add_f64 v[2:3], v[2:3], v[8:9]
	;; [unrolled: 3-line block ×3, first 2 shown]
	v_add_f64 v[2:3], v[2:3], v[12:13]
	v_add_f64 v[2:3], v[2:3], v[14:15]
	s_waitcnt vmcnt(33)
	v_fmac_f64_e32 v[16:17], v[204:205], v[80:81]
	v_add_f64 v[2:3], v[2:3], v[16:17]
	s_waitcnt vmcnt(32)
	v_fmac_f64_e32 v[18:19], v[214:215], v[74:75]
	;; [unrolled: 3-line block ×3, first 2 shown]
	v_add_f64 v[2:3], v[2:3], v[20:21]
	v_fma_f64 v[90:91], v[178:179], v[90:91], -v[46:47]
	v_mul_f64 v[46:47], v[184:185], v[64:65]
	s_waitcnt vmcnt(0)
	v_pk_mov_b32 v[14:15], v[4:5], v[4:5] op_sel:[0,1]
	buffer_load_dword v5, off, s[0:3], 0 offset:452
	buffer_load_dword v4, off, s[0:3], 0 offset:448
	v_accvgpr_write_b32 a169, v15
	v_accvgpr_write_b32 a168, v14
	s_waitcnt vmcnt(0)
	v_pk_mov_b32 v[16:17], v[4:5], v[4:5] op_sel:[0,1]
	buffer_load_dword v105, off, s[0:3], 0 offset:444
	buffer_load_dword v104, off, s[0:3], 0 offset:440
	buffer_load_dword v107, off, s[0:3], 0 offset:436
	buffer_load_dword v106, off, s[0:3], 0 offset:432
	buffer_load_dword v5, off, s[0:3], 0 offset:492
	buffer_load_dword v4, off, s[0:3], 0 offset:488
	v_accvgpr_write_b32 a171, v17
	v_accvgpr_write_b32 a170, v16
	s_waitcnt vmcnt(0)
	v_pk_mov_b32 v[22:23], v[4:5], v[4:5] op_sel:[0,1]
	buffer_load_dword v5, off, s[0:3], 0 offset:484
	buffer_load_dword v4, off, s[0:3], 0 offset:480
	v_accvgpr_write_b32 a173, v23
	v_accvgpr_write_b32 a172, v22
	s_waitcnt vmcnt(0)
	v_pk_mov_b32 v[24:25], v[4:5], v[4:5] op_sel:[0,1]
	buffer_load_dword v139, off, s[0:3], 0 offset:476
	buffer_load_dword v138, off, s[0:3], 0 offset:472
	buffer_load_dword v143, off, s[0:3], 0 offset:468
	buffer_load_dword v142, off, s[0:3], 0 offset:464
	buffer_load_dword v5, off, s[0:3], 0 offset:524
	buffer_load_dword v4, off, s[0:3], 0 offset:520
	v_accvgpr_write_b32 a175, v25
	v_accvgpr_write_b32 a174, v24
	;; [unrolled: 16-line block ×4, first 2 shown]
	s_waitcnt vmcnt(0)
	v_pk_mov_b32 v[174:175], v[4:5], v[4:5] op_sel:[0,1]
	buffer_load_dword v5, off, s[0:3], 0 offset:580
	buffer_load_dword v4, off, s[0:3], 0 offset:576
	;; [unrolled: 1-line block ×22, first 2 shown]
	ds_read_b128 v[222:225], v1 offset:1216
	ds_read_b128 v[226:229], v1 offset:1232
	;; [unrolled: 1-line block ×12, first 2 shown]
	s_waitcnt lgkmcnt(5)
	v_mul_f64 v[8:9], v[246:247], v[104:105]
	v_fmac_f64_e32 v[8:9], v[248:249], v[106:107]
	s_waitcnt lgkmcnt(4)
	v_mul_f64 v[12:13], v[134:135], v[14:15]
	v_fmac_f64_e32 v[12:13], v[136:137], v[16:17]
	;; [unrolled: 3-line block ×6, first 2 shown]
	v_accvgpr_write_b32 a185, v175
	v_accvgpr_write_b32 a184, v174
	s_waitcnt vmcnt(20)
	v_pk_mov_b32 v[176:177], v[4:5], v[4:5] op_sel:[0,1]
	v_mul_f64 v[4:5], v[58:59], v[84:85]
	v_fmac_f64_e32 v[4:5], v[60:61], v[86:87]
	v_add_f64 v[2:3], v[2:3], v[4:5]
	v_mul_f64 v[4:5], v[222:223], v[96:97]
	v_fmac_f64_e32 v[4:5], v[224:225], v[116:117]
	v_add_f64 v[2:3], v[2:3], v[4:5]
	v_mul_f64 v[4:5], v[226:227], v[92:93]
	v_fmac_f64_e32 v[4:5], v[228:229], v[94:95]
	v_add_f64 v[2:3], v[2:3], v[4:5]
	v_mul_f64 v[4:5], v[230:231], v[250:251]
	v_fmac_f64_e32 v[4:5], v[232:233], v[252:253]
	v_add_f64 v[2:3], v[2:3], v[4:5]
	v_mul_f64 v[4:5], v[234:235], v[108:109]
	v_fmac_f64_e32 v[4:5], v[236:237], v[110:111]
	v_add_f64 v[2:3], v[2:3], v[4:5]
	v_mul_f64 v[4:5], v[238:239], v[254:255]
	v_fmac_f64_e32 v[4:5], v[240:241], v[62:63]
	v_add_f64 v[2:3], v[2:3], v[4:5]
	v_mul_f64 v[4:5], v[242:243], v[100:101]
	v_fmac_f64_e32 v[4:5], v[244:245], v[102:103]
	v_add_f64 v[6:7], v[2:3], v[4:5]
	v_add_f64 v[10:11], v[6:7], v[8:9]
	v_add_f64 v[14:15], v[10:11], v[12:13]
	;; [unrolled: 1-line block ×5, first 2 shown]
	ds_read_b128 v[22:25], v1 offset:1408
	v_add_f64 v[30:31], v[26:27], v[28:29]
	ds_read_b128 v[26:29], v1 offset:1424
	v_mul_f64 v[4:5], v[114:115], v[52:53]
	v_accvgpr_write_b32 a187, v177
	s_waitcnt lgkmcnt(1)
	v_mul_f64 v[32:33], v[22:23], v[154:155]
	v_fmac_f64_e32 v[32:33], v[24:25], v[156:157]
	s_waitcnt lgkmcnt(0)
	v_mul_f64 v[36:37], v[26:27], v[38:39]
	v_add_f64 v[34:35], v[30:31], v[32:33]
	ds_read_b128 v[30:33], v1 offset:1440
	v_fmac_f64_e32 v[36:37], v[28:29], v[40:41]
	v_add_f64 v[38:39], v[34:35], v[36:37]
	ds_read_b128 v[34:37], v1 offset:1456
	v_fma_f64 v[18:19], v[112:113], v[48:49], -v[4:5]
	s_waitcnt vmcnt(18) lgkmcnt(1)
	v_mul_f64 v[40:41], v[30:31], v[158:159]
	s_waitcnt vmcnt(16)
	v_fmac_f64_e32 v[40:41], v[32:33], v[160:161]
	v_add_f64 v[42:43], v[38:39], v[40:41]
	s_waitcnt lgkmcnt(0)
	v_mul_f64 v[44:45], v[34:35], v[174:175]
	v_fmac_f64_e32 v[44:45], v[36:37], v[176:177]
	v_mul_f64 v[48:49], v[172:173], v[54:55]
	ds_read_b128 v[38:41], v1 offset:1472
	v_accvgpr_write_b32 a186, v176
	v_add_f64 v[2:3], v[42:43], v[44:45]
	ds_read_b128 v[42:45], v1 offset:1488
	v_fma_f64 v[192:193], v[170:171], v[50:51], -v[48:49]
	buffer_load_dword v171, off, s[0:3], 0 offset:668
	buffer_load_dword v170, off, s[0:3], 0 offset:664
	;; [unrolled: 1-line block ×8, first 2 shown]
	v_fma_f64 v[14:15], v[182:183], v[88:89], -v[46:47]
	buffer_load_dword v179, off, s[0:3], 0 offset:716
	buffer_load_dword v183, off, s[0:3], 0 offset:700
	;; [unrolled: 1-line block ×6, first 2 shown]
	v_mul_f64 v[8:9], v[190:191], v[186:187]
	buffer_load_dword v187, off, s[0:3], 0 offset:708
	buffer_load_dword v186, off, s[0:3], 0 offset:704
	v_fma_f64 v[10:11], v[188:189], v[56:57], -v[8:9]
	buffer_load_dword v180, off, s[0:3], 0 offset:744
	buffer_load_dword v191, off, s[0:3], 0 offset:732
	;; [unrolled: 1-line block ×8, first 2 shown]
	v_mul_f64 v[50:51], v[196:197], v[70:71]
	ds_read_b128 v[46:49], v1 offset:1504
	v_fma_f64 v[8:9], v[194:195], v[82:83], -v[50:51]
	buffer_load_dword v195, off, s[0:3], 0 offset:764
	buffer_load_dword v194, off, s[0:3], 0 offset:760
	buffer_load_dword v197, off, s[0:3], 0 offset:756
	buffer_load_dword v196, off, s[0:3], 0 offset:752
	v_mul_f64 v[12:13], v[200:201], v[66:67]
	v_fma_f64 v[12:13], v[198:199], v[68:69], -v[12:13]
	buffer_load_dword v198, off, s[0:3], 0 offset:776
	buffer_load_dword v200, off, s[0:3], 0 offset:768
	;; [unrolled: 1-line block ×4, first 2 shown]
	v_mul_f64 v[50:51], v[204:205], v[78:79]
	buffer_load_dword v205, off, s[0:3], 0 offset:796
	buffer_load_dword v204, off, s[0:3], 0 offset:792
	;; [unrolled: 1-line block ×8, first 2 shown]
	v_mul_f64 v[16:17], v[214:215], v[76:77]
	v_fma_f64 v[6:7], v[202:203], v[80:81], -v[50:51]
	v_fma_f64 v[16:17], v[212:213], v[74:75], -v[16:17]
	buffer_load_dword v202, off, s[0:3], 0 offset:840
	buffer_load_dword v215, off, s[0:3], 0 offset:828
	;; [unrolled: 1-line block ×8, first 2 shown]
	s_waitcnt vmcnt(58) lgkmcnt(2)
	v_mul_f64 v[52:53], v[38:39], v[162:163]
	s_waitcnt vmcnt(56)
	v_fmac_f64_e32 v[52:53], v[40:41], v[164:165]
	v_mul_f64 v[50:51], v[220:221], v[72:73]
	v_add_f64 v[2:3], v[2:3], v[52:53]
	v_fma_f64 v[218:219], v[218:219], v[98:99], -v[50:51]
	ds_read_b128 v[50:53], v1 offset:1520
	s_waitcnt lgkmcnt(2)
	v_mul_f64 v[54:55], v[42:43], v[140:141]
	v_fmac_f64_e32 v[54:55], v[44:45], v[144:145]
	v_add_f64 v[2:3], v[2:3], v[54:55]
	s_waitcnt vmcnt(50) lgkmcnt(1)
	v_mul_f64 v[54:55], v[46:47], v[166:167]
	s_waitcnt vmcnt(48)
	v_fmac_f64_e32 v[54:55], v[48:49], v[168:169]
	v_mul_f64 v[60:61], v[60:61], v[84:85]
	v_add_f64 v[2:3], v[2:3], v[54:55]
	v_fma_f64 v[4:5], v[58:59], v[86:87], -v[60:61]
	ds_read_b128 v[58:61], v1 offset:1552
	s_waitcnt lgkmcnt(1)
	v_mul_f64 v[54:55], v[50:51], v[148:149]
	v_fmac_f64_e32 v[54:55], v[52:53], v[152:153]
	v_add_f64 v[2:3], v[2:3], v[54:55]
	ds_read_b128 v[54:57], v1 offset:1536
	v_mul_f64 v[70:71], v[228:229], v[92:93]
	v_fma_f64 v[92:93], v[226:227], v[94:95], -v[70:71]
	ds_read_b128 v[70:73], v1 offset:1600
	v_mul_f64 v[82:83], v[236:237], v[108:109]
	v_add_f64 v[18:19], v[18:19], 0
	v_add_f64 v[18:19], v[18:19], v[192:193]
	;; [unrolled: 1-line block ×11, first 2 shown]
	v_accvgpr_read_b32 v6, a168
	v_accvgpr_read_b32 v7, a169
	;; [unrolled: 1-line block ×3, first 2 shown]
	v_mul_f64 v[6:7], v[136:137], v[6:7]
	v_accvgpr_read_b32 v9, a171
	v_fma_f64 v[6:7], v[134:135], v[8:9], -v[6:7]
	v_accvgpr_read_b32 v8, a174
	v_accvgpr_read_b32 v9, a175
	s_waitcnt vmcnt(46) lgkmcnt(1)
	v_mul_f64 v[20:21], v[54:55], v[170:171]
	s_waitcnt vmcnt(44)
	v_fmac_f64_e32 v[20:21], v[56:57], v[176:177]
	v_add_f64 v[2:3], v[2:3], v[20:21]
	v_mul_f64 v[20:21], v[224:225], v[96:97]
	v_fma_f64 v[20:21], v[222:223], v[116:117], -v[20:21]
	ds_read_b128 v[220:223], v1 offset:1568
	s_waitcnt vmcnt(41)
	v_mul_f64 v[66:67], v[58:59], v[172:173]
	s_waitcnt vmcnt(40)
	v_fmac_f64_e32 v[66:67], v[60:61], v[174:175]
	v_add_f64 v[2:3], v[2:3], v[66:67]
	ds_read_b128 v[66:69], v1 offset:1584
	s_waitcnt vmcnt(37) lgkmcnt(1)
	v_mul_f64 v[74:75], v[220:221], v[182:183]
	s_waitcnt vmcnt(35)
	v_fmac_f64_e32 v[74:75], v[222:223], v[184:185]
	v_add_f64 v[2:3], v[2:3], v[74:75]
	v_mul_f64 v[74:75], v[232:233], v[250:251]
	v_fma_f64 v[228:229], v[230:231], v[252:253], -v[74:75]
	ds_read_b128 v[74:77], v1 offset:1616
	s_waitcnt vmcnt(34) lgkmcnt(1)
	v_mul_f64 v[78:79], v[66:67], v[178:179]
	s_waitcnt vmcnt(32)
	v_fmac_f64_e32 v[78:79], v[68:69], v[186:187]
	v_add_f64 v[2:3], v[2:3], v[78:79]
	s_waitcnt vmcnt(29)
	v_mul_f64 v[78:79], v[70:71], v[190:191]
	s_waitcnt vmcnt(27)
	v_fmac_f64_e32 v[78:79], v[72:73], v[64:65]
	v_add_f64 v[2:3], v[2:3], v[78:79]
	v_fma_f64 v[252:253], v[234:235], v[110:111], -v[82:83]
	ds_read_b128 v[82:85], v1 offset:1648
	s_waitcnt vmcnt(25) lgkmcnt(1)
	v_mul_f64 v[78:79], v[74:75], v[180:181]
	s_waitcnt vmcnt(24)
	v_fmac_f64_e32 v[78:79], v[76:77], v[188:189]
	v_add_f64 v[2:3], v[2:3], v[78:79]
	ds_read_b128 v[78:81], v1 offset:1632
	ds_read_b128 v[224:227], v1 offset:1680
	s_waitcnt vmcnt(17) lgkmcnt(2)
	v_mul_f64 v[94:95], v[82:83], v[198:199]
	s_waitcnt vmcnt(16)
	v_fmac_f64_e32 v[94:95], v[84:85], v[200:201]
	v_add_f64 v[4:5], v[4:5], v[20:21]
	s_waitcnt lgkmcnt(1)
	v_mul_f64 v[86:87], v[78:79], v[194:195]
	v_fmac_f64_e32 v[86:87], v[80:81], v[196:197]
	v_add_f64 v[2:3], v[2:3], v[86:87]
	v_mul_f64 v[86:87], v[240:241], v[254:255]
	v_fma_f64 v[62:63], v[238:239], v[62:63], -v[86:87]
	ds_read_b128 v[86:89], v1 offset:1664
	v_add_f64 v[2:3], v[2:3], v[94:95]
	v_mul_f64 v[94:95], v[244:245], v[100:101]
	v_fma_f64 v[254:255], v[242:243], v[102:103], -v[94:95]
	ds_read_b128 v[94:97], v1 offset:1696
	s_waitcnt vmcnt(14) lgkmcnt(1)
	v_mul_f64 v[98:99], v[86:87], v[204:205]
	s_waitcnt vmcnt(12)
	v_fmac_f64_e32 v[98:99], v[88:89], v[208:209]
	v_add_f64 v[2:3], v[2:3], v[98:99]
	v_mul_f64 v[98:99], v[248:249], v[104:105]
	v_fma_f64 v[250:251], v[246:247], v[106:107], -v[98:99]
	ds_read_b128 v[98:101], v1 offset:1712
	s_waitcnt vmcnt(10)
	v_mul_f64 v[102:103], v[224:225], v[206:207]
	s_waitcnt vmcnt(8)
	v_fmac_f64_e32 v[102:103], v[226:227], v[210:211]
	v_add_f64 v[2:3], v[2:3], v[102:103]
	s_waitcnt vmcnt(5) lgkmcnt(1)
	v_mul_f64 v[102:103], v[94:95], v[214:215]
	s_waitcnt vmcnt(3)
	v_fmac_f64_e32 v[102:103], v[96:97], v[216:217]
	v_add_f64 v[2:3], v[2:3], v[102:103]
	s_waitcnt vmcnt(1) lgkmcnt(0)
	v_mul_f64 v[102:103], v[98:99], v[202:203]
	s_waitcnt vmcnt(0)
	v_fmac_f64_e32 v[102:103], v[100:101], v[212:213]
	v_add_f64 v[106:107], v[2:3], v[102:103]
	buffer_load_dword v3, off, s[0:3], 0 offset:860
	buffer_load_dword v2, off, s[0:3], 0 offset:856
	;; [unrolled: 1-line block ×4, first 2 shown]
	ds_read_b128 v[102:105], v1 offset:1728
	buffer_load_dword v232, off, s[0:3], 0 offset:872
	buffer_load_dword v233, off, s[0:3], 0 offset:876
	;; [unrolled: 1-line block ×4, first 2 shown]
	v_add_f64 v[4:5], v[4:5], v[92:93]
	v_add_f64 v[4:5], v[4:5], v[228:229]
	;; [unrolled: 1-line block ×7, first 2 shown]
	v_mul_f64 v[6:7], v[132:133], v[138:139]
	v_fma_f64 v[6:7], v[130:131], v[142:143], -v[6:7]
	v_add_f64 v[4:5], v[4:5], v[6:7]
	v_accvgpr_read_b32 v6, a172
	v_accvgpr_read_b32 v7, a173
	v_mul_f64 v[6:7], v[128:129], v[6:7]
	v_fma_f64 v[6:7], v[126:127], v[8:9], -v[6:7]
	v_add_f64 v[4:5], v[4:5], v[6:7]
	v_mul_f64 v[6:7], v[124:125], v[146:147]
	v_fma_f64 v[6:7], v[122:123], v[150:151], -v[6:7]
	v_add_f64 v[4:5], v[4:5], v[6:7]
	v_accvgpr_read_b32 v6, a176
	v_accvgpr_read_b32 v7, a177
	v_accvgpr_read_b32 v8, a178
	v_mul_f64 v[6:7], v[120:121], v[6:7]
	v_accvgpr_read_b32 v9, a179
	v_fma_f64 v[6:7], v[118:119], v[8:9], -v[6:7]
	v_add_f64 v[4:5], v[4:5], v[6:7]
	v_mul_f64 v[6:7], v[24:25], v[154:155]
	v_fma_f64 v[6:7], v[22:23], v[156:157], -v[6:7]
	v_add_f64 v[4:5], v[4:5], v[6:7]
	v_accvgpr_read_b32 v6, a180
	v_accvgpr_read_b32 v7, a181
	v_accvgpr_read_b32 v8, a182
	v_mul_f64 v[6:7], v[28:29], v[6:7]
	v_accvgpr_read_b32 v9, a183
	;; [unrolled: 10-line block ×3, first 2 shown]
	v_fma_f64 v[6:7], v[34:35], v[8:9], -v[6:7]
	v_add_f64 v[4:5], v[4:5], v[6:7]
	v_mul_f64 v[6:7], v[40:41], v[162:163]
	v_fma_f64 v[6:7], v[38:39], v[164:165], -v[6:7]
	v_add_f64 v[4:5], v[4:5], v[6:7]
	v_mul_f64 v[6:7], v[44:45], v[140:141]
	;; [unrolled: 3-line block ×10, first 2 shown]
	v_fma_f64 v[6:7], v[74:75], v[188:189], -v[6:7]
	v_add_f64 v[4:5], v[4:5], v[6:7]
	s_waitcnt vmcnt(6) lgkmcnt(0)
	v_mul_f64 v[108:109], v[102:103], v[2:3]
	v_mul_f64 v[6:7], v[80:81], v[194:195]
	s_waitcnt vmcnt(4)
	v_fmac_f64_e32 v[108:109], v[104:105], v[230:231]
	v_add_f64 v[110:111], v[106:107], v[108:109]
	ds_read_b128 v[106:109], v1 offset:1744
	buffer_load_dword v237, off, s[0:3], 0 offset:892
	buffer_load_dword v236, off, s[0:3], 0 offset:888
	;; [unrolled: 1-line block ×4, first 2 shown]
	v_fma_f64 v[6:7], v[78:79], v[196:197], -v[6:7]
	v_add_f64 v[4:5], v[4:5], v[6:7]
	v_mul_f64 v[6:7], v[84:85], v[198:199]
	s_waitcnt vmcnt(6) lgkmcnt(0)
	v_mul_f64 v[112:113], v[106:107], v[232:233]
	s_waitcnt vmcnt(4)
	v_fmac_f64_e32 v[112:113], v[108:109], v[234:235]
	v_add_f64 v[114:115], v[110:111], v[112:113]
	ds_read_b128 v[110:113], v1 offset:1760
	buffer_load_dword v242, off, s[0:3], 0 offset:904
	buffer_load_dword v243, off, s[0:3], 0 offset:908
	;; [unrolled: 1-line block ×4, first 2 shown]
	v_fma_f64 v[6:7], v[82:83], v[200:201], -v[6:7]
	v_add_f64 v[4:5], v[4:5], v[6:7]
	v_mul_f64 v[6:7], v[88:89], v[204:205]
	v_fma_f64 v[6:7], v[86:87], v[208:209], -v[6:7]
	v_add_f64 v[4:5], v[4:5], v[6:7]
	v_mul_f64 v[6:7], v[226:227], v[206:207]
	;; [unrolled: 3-line block ×4, first 2 shown]
	v_fma_f64 v[6:7], v[98:99], v[212:213], -v[6:7]
	v_mul_f64 v[2:3], v[104:105], v[2:3]
	v_add_f64 v[4:5], v[4:5], v[6:7]
	v_fma_f64 v[2:3], v[102:103], v[230:231], -v[2:3]
	v_add_f64 v[2:3], v[4:5], v[2:3]
	v_mul_f64 v[4:5], v[108:109], v[232:233]
	v_fma_f64 v[4:5], v[106:107], v[234:235], -v[4:5]
	v_add_f64 v[2:3], v[2:3], v[4:5]
	s_waitcnt vmcnt(6) lgkmcnt(0)
	v_mul_f64 v[116:117], v[110:111], v[236:237]
	v_mul_f64 v[4:5], v[112:113], v[236:237]
	s_waitcnt vmcnt(4)
	v_fmac_f64_e32 v[116:117], v[112:113], v[238:239]
	v_add_f64 v[240:241], v[114:115], v[116:117]
	ds_read_b128 v[114:117], v1 offset:1776
	buffer_load_dword v248, off, s[0:3], 0 offset:144
	buffer_load_dword v249, off, s[0:3], 0 offset:148
	v_fma_f64 v[4:5], v[110:111], v[238:239], -v[4:5]
	v_add_f64 v[2:3], v[2:3], v[4:5]
	s_waitcnt vmcnt(4) lgkmcnt(0)
	v_mul_f64 v[246:247], v[114:115], v[242:243]
	s_waitcnt vmcnt(2)
	v_fmac_f64_e32 v[246:247], v[116:117], v[244:245]
	v_add_f64 v[240:241], v[240:241], v[246:247]
	buffer_load_dword v246, off, s[0:3], 0 offset:152
	buffer_load_dword v247, off, s[0:3], 0 offset:156
	v_mul_f64 v[4:5], v[116:117], v[242:243]
	v_fma_f64 v[4:5], v[114:115], v[244:245], -v[4:5]
	v_add_f64 v[2:3], v[2:3], v[4:5]
	s_waitcnt vmcnt(2)
	v_add_f64 v[2:3], v[248:249], -v[2:3]
	s_waitcnt vmcnt(0)
	v_add_f64 v[4:5], v[246:247], -v[240:241]
	buffer_store_dword v3, off, s[0:3], 0 offset:148
	buffer_store_dword v2, off, s[0:3], 0 offset:144
	;; [unrolled: 1-line block ×4, first 2 shown]
	s_and_saveexec_b64 s[4:5], vcc
	s_cbranch_execz .LBB55_335
; %bb.334:
	v_accvgpr_read_b32 v5, a160
	buffer_load_dword v2, v5, s[0:3], 0 offen
	buffer_load_dword v3, v5, s[0:3], 0 offen offset:4
	buffer_load_dword v4, v5, s[0:3], 0 offen offset:8
	s_nop 0
	buffer_load_dword v5, v5, s[0:3], 0 offen offset:12
	v_accvgpr_read_b32 v6, a167
	buffer_store_dword v1, off, s[0:3], 0 offset:128
	buffer_store_dword v1, off, s[0:3], 0 offset:132
	;; [unrolled: 1-line block ×4, first 2 shown]
	s_waitcnt vmcnt(4)
	ds_write_b128 v6, v[2:5]
.LBB55_335:
	s_or_b64 exec, exec, s[4:5]
	s_waitcnt lgkmcnt(0)
	; wave barrier
	s_waitcnt lgkmcnt(0)
	buffer_load_dword v42, off, s[0:3], 0 offset:144
	buffer_load_dword v43, off, s[0:3], 0 offset:148
	buffer_load_dword v48, off, s[0:3], 0 offset:152
	buffer_load_dword v49, off, s[0:3], 0 offset:156
	buffer_load_dword v44, off, s[0:3], 0 offset:160
	buffer_load_dword v45, off, s[0:3], 0 offset:164
	buffer_load_dword v54, off, s[0:3], 0 offset:168
	buffer_load_dword v55, off, s[0:3], 0 offset:172
	buffer_load_dword v46, off, s[0:3], 0 offset:184
	buffer_load_dword v47, off, s[0:3], 0 offset:188
	buffer_load_dword v59, off, s[0:3], 0 offset:220
	buffer_load_dword v58, off, s[0:3], 0 offset:216
	buffer_load_dword v57, off, s[0:3], 0 offset:212
	buffer_load_dword v56, off, s[0:3], 0 offset:208
	buffer_load_dword v61, off, s[0:3], 0 offset:204
	buffer_load_dword v60, off, s[0:3], 0 offset:200
	buffer_load_dword v207, off, s[0:3], 0 offset:252
	buffer_load_dword v206, off, s[0:3], 0 offset:248
	buffer_load_dword v65, off, s[0:3], 0 offset:244
	buffer_load_dword v64, off, s[0:3], 0 offset:240
	buffer_load_dword v67, off, s[0:3], 0 offset:236
	buffer_load_dword v66, off, s[0:3], 0 offset:232
	buffer_load_dword v69, off, s[0:3], 0 offset:284
	buffer_load_dword v68, off, s[0:3], 0 offset:280
	buffer_load_dword v70, off, s[0:3], 0 offset:272
	buffer_load_dword v75, off, s[0:3], 0 offset:268
	buffer_load_dword v74, off, s[0:3], 0 offset:264
	buffer_load_dword v73, off, s[0:3], 0 offset:300
	buffer_load_dword v72, off, s[0:3], 0 offset:296
	buffer_load_dword v82, off, s[0:3], 0 offset:176
	buffer_load_dword v83, off, s[0:3], 0 offset:180
	buffer_load_dword v81, off, s[0:3], 0 offset:196
	buffer_load_dword v80, off, s[0:3], 0 offset:192
	buffer_load_dword v79, off, s[0:3], 0 offset:228
	buffer_load_dword v78, off, s[0:3], 0 offset:224
	buffer_load_dword v77, off, s[0:3], 0 offset:260
	buffer_load_dword v76, off, s[0:3], 0 offset:256
	buffer_load_dword v71, off, s[0:3], 0 offset:276
	buffer_load_dword v84, off, s[0:3], 0 offset:312
	buffer_load_dword v86, off, s[0:3], 0 offset:304
	buffer_load_dword v87, off, s[0:3], 0 offset:308
	buffer_load_dword v85, off, s[0:3], 0 offset:316
	ds_read_b128 v[110:113], v1 offset:1024
	ds_read_b128 v[114:117], v1 offset:1040
	;; [unrolled: 1-line block ×10, first 2 shown]
	buffer_load_dword v213, off, s[0:3], 0 offset:292
	buffer_load_dword v212, off, s[0:3], 0 offset:288
	ds_read_b128 v[50:53], v1 offset:1184
	buffer_load_dword v89, off, s[0:3], 0 offset:348
	buffer_load_dword v88, off, s[0:3], 0 offset:344
	;; [unrolled: 1-line block ×8, first 2 shown]
	v_cmp_lt_u32_e32 vcc, 6, v0
	s_waitcnt vmcnt(48) lgkmcnt(10)
	v_mul_f64 v[2:3], v[110:111], v[48:49]
	v_fmac_f64_e32 v[2:3], v[112:113], v[42:43]
	v_add_f64 v[2:3], v[2:3], 0
	s_waitcnt vmcnt(44) lgkmcnt(9)
	v_mul_f64 v[4:5], v[114:115], v[54:55]
	v_fmac_f64_e32 v[4:5], v[116:117], v[44:45]
	v_add_f64 v[2:3], v[2:3], v[4:5]
	buffer_load_dword v107, off, s[0:3], 0 offset:380
	buffer_load_dword v106, off, s[0:3], 0 offset:376
	;; [unrolled: 1-line block ×26, first 2 shown]
	s_waitcnt vmcnt(62) lgkmcnt(8)
	v_mul_f64 v[6:7], v[174:175], v[46:47]
	s_waitcnt lgkmcnt(6)
	v_mul_f64 v[10:11], v[186:187], v[58:59]
	v_fmac_f64_e32 v[10:11], v[188:189], v[56:57]
	v_mul_f64 v[46:47], v[176:177], v[46:47]
	v_mul_f64 v[8:9], v[178:179], v[60:61]
	s_waitcnt vmcnt(60) lgkmcnt(4)
	v_mul_f64 v[14:15], v[194:195], v[206:207]
	s_waitcnt vmcnt(58)
	v_fmac_f64_e32 v[14:15], v[196:197], v[64:65]
	s_waitcnt vmcnt(56)
	v_mul_f64 v[12:13], v[190:191], v[66:67]
	s_waitcnt vmcnt(54) lgkmcnt(2)
	v_mul_f64 v[18:19], v[202:203], v[68:69]
	s_waitcnt vmcnt(51)
	v_mul_f64 v[16:17], v[198:199], v[74:75]
	s_waitcnt vmcnt(49) lgkmcnt(1)
	v_mul_f64 v[20:21], v[208:209], v[72:73]
	s_waitcnt vmcnt(47)
	v_fmac_f64_e32 v[6:7], v[176:177], v[82:83]
	v_add_f64 v[2:3], v[2:3], v[6:7]
	s_waitcnt vmcnt(45)
	v_fmac_f64_e32 v[8:9], v[180:181], v[80:81]
	v_add_f64 v[2:3], v[2:3], v[8:9]
	;; [unrolled: 3-line block ×3, first 2 shown]
	v_add_f64 v[2:3], v[2:3], v[12:13]
	s_waitcnt vmcnt(41)
	v_fmac_f64_e32 v[16:17], v[200:201], v[76:77]
	v_add_f64 v[2:3], v[2:3], v[14:15]
	s_waitcnt vmcnt(40)
	v_fmac_f64_e32 v[18:19], v[204:205], v[70:71]
	v_add_f64 v[2:3], v[2:3], v[16:17]
	v_add_f64 v[2:3], v[2:3], v[18:19]
	s_waitcnt vmcnt(34)
	v_fmac_f64_e32 v[20:21], v[210:211], v[212:213]
	v_add_f64 v[2:3], v[2:3], v[20:21]
	s_waitcnt vmcnt(0)
	v_pk_mov_b32 v[18:19], v[4:5], v[4:5] op_sel:[0,1]
	buffer_load_dword v5, off, s[0:3], 0 offset:468
	buffer_load_dword v7, off, s[0:3], 0 offset:460
	;; [unrolled: 1-line block ×3, first 2 shown]
	v_accvgpr_write_b32 a173, v19
	v_accvgpr_write_b32 a172, v18
	s_waitcnt vmcnt(0)
	v_pk_mov_b32 v[14:15], v[6:7], v[6:7] op_sel:[0,1]
	buffer_load_dword v7, off, s[0:3], 0 offset:452
	buffer_load_dword v6, off, s[0:3], 0 offset:448
	;; [unrolled: 1-line block ×3, first 2 shown]
	v_accvgpr_write_b32 a169, v15
	v_accvgpr_write_b32 a168, v14
	s_waitcnt vmcnt(1)
	v_pk_mov_b32 v[16:17], v[6:7], v[6:7] op_sel:[0,1]
	s_waitcnt vmcnt(0)
	v_pk_mov_b32 v[22:23], v[4:5], v[4:5] op_sel:[0,1]
	buffer_load_dword v5, off, s[0:3], 0 offset:508
	buffer_load_dword v4, off, s[0:3], 0 offset:504
	v_accvgpr_write_b32 a171, v17
	v_accvgpr_write_b32 a170, v16
	;; [unrolled: 1-line block ×4, first 2 shown]
	s_waitcnt vmcnt(0)
	v_pk_mov_b32 v[26:27], v[4:5], v[4:5] op_sel:[0,1]
	buffer_load_dword v5, off, s[0:3], 0 offset:500
	buffer_load_dword v141, off, s[0:3], 0 offset:492
	;; [unrolled: 1-line block ×6, first 2 shown]
	v_accvgpr_write_b32 a177, v27
	v_accvgpr_write_b32 a176, v26
	s_waitcnt vmcnt(0)
	v_pk_mov_b32 v[28:29], v[4:5], v[4:5] op_sel:[0,1]
	buffer_load_dword v5, off, s[0:3], 0 offset:540
	buffer_load_dword v4, off, s[0:3], 0 offset:536
	v_accvgpr_write_b32 a179, v29
	v_accvgpr_write_b32 a178, v28
	s_waitcnt vmcnt(0)
	v_pk_mov_b32 v[34:35], v[4:5], v[4:5] op_sel:[0,1]
	buffer_load_dword v5, off, s[0:3], 0 offset:532
	buffer_load_dword v149, off, s[0:3], 0 offset:524
	;; [unrolled: 1-line block ×6, first 2 shown]
	v_accvgpr_write_b32 a181, v35
	v_accvgpr_write_b32 a180, v34
	s_waitcnt vmcnt(0)
	v_pk_mov_b32 v[36:37], v[4:5], v[4:5] op_sel:[0,1]
	buffer_load_dword v5, off, s[0:3], 0 offset:572
	buffer_load_dword v4, off, s[0:3], 0 offset:568
	v_accvgpr_write_b32 a183, v37
	v_accvgpr_write_b32 a182, v36
	s_waitcnt vmcnt(0)
	v_pk_mov_b32 v[38:39], v[4:5], v[4:5] op_sel:[0,1]
	buffer_load_dword v5, off, s[0:3], 0 offset:564
	buffer_load_dword v153, off, s[0:3], 0 offset:556
	;; [unrolled: 1-line block ×20, first 2 shown]
	ds_read_b128 v[218:221], v1 offset:1200
	ds_read_b128 v[222:225], v1 offset:1216
	;; [unrolled: 1-line block ×12, first 2 shown]
	s_waitcnt lgkmcnt(4)
	v_mul_f64 v[8:9], v[246:247], v[98:99]
	v_fmac_f64_e32 v[8:9], v[248:249], v[100:101]
	s_waitcnt lgkmcnt(3)
	v_mul_f64 v[12:13], v[134:135], v[14:15]
	v_fmac_f64_e32 v[12:13], v[136:137], v[16:17]
	;; [unrolled: 3-line block ×3, first 2 shown]
	s_waitcnt lgkmcnt(1)
	v_mul_f64 v[20:21], v[126:127], v[140:141]
	ds_read_b128 v[118:121], v1 offset:1392
	v_fmac_f64_e32 v[20:21], v[128:129], v[144:145]
	s_waitcnt lgkmcnt(1)
	v_mul_f64 v[24:25], v[122:123], v[26:27]
	v_fmac_f64_e32 v[24:25], v[124:125], v[28:29]
	v_accvgpr_write_b32 a185, v39
	v_accvgpr_write_b32 a184, v38
	v_mul_f64 v[98:99], v[248:249], v[98:99]
	s_waitcnt vmcnt(14)
	v_pk_mov_b32 v[40:41], v[4:5], v[4:5] op_sel:[0,1]
	v_mul_f64 v[4:5], v[50:51], v[84:85]
	v_fmac_f64_e32 v[4:5], v[52:53], v[86:87]
	v_add_f64 v[2:3], v[2:3], v[4:5]
	v_mul_f64 v[4:5], v[218:219], v[96:97]
	v_fmac_f64_e32 v[4:5], v[220:221], v[250:251]
	v_add_f64 v[2:3], v[2:3], v[4:5]
	;; [unrolled: 3-line block ×8, first 2 shown]
	v_add_f64 v[10:11], v[6:7], v[8:9]
	v_add_f64 v[14:15], v[10:11], v[12:13]
	;; [unrolled: 1-line block ×5, first 2 shown]
	ds_read_b128 v[22:25], v1 offset:1408
	s_waitcnt lgkmcnt(1)
	v_mul_f64 v[28:29], v[118:119], v[148:149]
	v_fmac_f64_e32 v[28:29], v[120:121], v[150:151]
	v_add_f64 v[30:31], v[26:27], v[28:29]
	ds_read_b128 v[26:29], v1 offset:1424
	s_waitcnt lgkmcnt(1)
	v_mul_f64 v[32:33], v[22:23], v[34:35]
	v_fmac_f64_e32 v[32:33], v[24:25], v[36:37]
	v_add_f64 v[34:35], v[30:31], v[32:33]
	ds_read_b128 v[30:33], v1 offset:1440
	s_waitcnt lgkmcnt(1)
	v_mul_f64 v[36:37], v[26:27], v[152:153]
	v_fmac_f64_e32 v[36:37], v[28:29], v[154:155]
	v_add_f64 v[164:165], v[34:35], v[36:37]
	ds_read_b128 v[34:37], v1 offset:1456
	s_waitcnt lgkmcnt(1)
	v_mul_f64 v[166:167], v[30:31], v[38:39]
	v_accvgpr_write_b32 a187, v41
	v_fmac_f64_e32 v[166:167], v[32:33], v[40:41]
	v_accvgpr_write_b32 a186, v40
	ds_read_b128 v[38:41], v1 offset:1472
	v_add_f64 v[164:165], v[164:165], v[166:167]
	s_waitcnt vmcnt(9) lgkmcnt(1)
	v_mul_f64 v[166:167], v[34:35], v[156:157]
	s_waitcnt vmcnt(7)
	v_fmac_f64_e32 v[166:167], v[36:37], v[160:161]
	v_add_f64 v[164:165], v[164:165], v[166:167]
	s_waitcnt lgkmcnt(0)
	v_mul_f64 v[166:167], v[38:39], v[138:139]
	s_waitcnt vmcnt(6)
	v_fmac_f64_e32 v[166:167], v[40:41], v[142:143]
	v_add_f64 v[2:3], v[164:165], v[166:167]
	buffer_load_dword v167, off, s[0:3], 0 offset:628
	buffer_load_dword v166, off, s[0:3], 0 offset:624
	;; [unrolled: 1-line block ×10, first 2 shown]
	v_mul_f64 v[4:5], v[112:113], v[48:49]
	v_fma_f64 v[18:19], v[110:111], v[42:43], -v[4:5]
	v_mul_f64 v[42:43], v[116:117], v[54:55]
	v_fma_f64 v[110:111], v[114:115], v[44:45], -v[42:43]
	ds_read_b128 v[42:45], v1 offset:1488
	v_fma_f64 v[112:113], v[174:175], v[82:83], -v[46:47]
	v_mul_f64 v[46:47], v[180:181], v[60:61]
	buffer_load_dword v175, off, s[0:3], 0 offset:684
	buffer_load_dword v174, off, s[0:3], 0 offset:680
	;; [unrolled: 1-line block ×4, first 2 shown]
	v_fma_f64 v[14:15], v[178:179], v[80:81], -v[46:47]
	buffer_load_dword v179, off, s[0:3], 0 offset:700
	buffer_load_dword v178, off, s[0:3], 0 offset:696
	;; [unrolled: 1-line block ×8, first 2 shown]
	v_mul_f64 v[8:9], v[188:189], v[58:59]
	v_fma_f64 v[10:11], v[186:187], v[56:57], -v[8:9]
	buffer_load_dword v186, off, s[0:3], 0 offset:728
	v_mul_f64 v[46:47], v[192:193], v[66:67]
	v_fma_f64 v[8:9], v[190:191], v[78:79], -v[46:47]
	buffer_load_dword v190, off, s[0:3], 0 offset:720
	buffer_load_dword v187, off, s[0:3], 0 offset:732
	;; [unrolled: 1-line block ×3, first 2 shown]
	v_mul_f64 v[12:13], v[196:197], v[206:207]
	v_fma_f64 v[12:13], v[194:195], v[64:65], -v[12:13]
	buffer_load_dword v188, off, s[0:3], 0 offset:760
	buffer_load_dword v195, off, s[0:3], 0 offset:748
	;; [unrolled: 1-line block ×8, first 2 shown]
	v_mul_f64 v[48:49], v[200:201], v[74:75]
	v_fma_f64 v[6:7], v[198:199], v[76:77], -v[48:49]
	buffer_load_dword v199, off, s[0:3], 0 offset:780
	buffer_load_dword v198, off, s[0:3], 0 offset:776
	;; [unrolled: 1-line block ×4, first 2 shown]
	v_mul_f64 v[16:17], v[204:205], v[68:69]
	buffer_load_dword v205, off, s[0:3], 0 offset:796
	buffer_load_dword v204, off, s[0:3], 0 offset:792
	buffer_load_dword v207, off, s[0:3], 0 offset:788
	buffer_load_dword v206, off, s[0:3], 0 offset:784
	v_mul_f64 v[48:49], v[210:211], v[72:73]
	v_fma_f64 v[16:17], v[202:203], v[70:71], -v[16:17]
	v_fma_f64 v[4:5], v[208:209], v[212:213], -v[48:49]
	buffer_load_dword v202, off, s[0:3], 0 offset:824
	buffer_load_dword v211, off, s[0:3], 0 offset:812
	;; [unrolled: 1-line block ×12, first 2 shown]
	s_waitcnt vmcnt(56) lgkmcnt(0)
	v_mul_f64 v[46:47], v[42:43], v[158:159]
	s_waitcnt vmcnt(54)
	v_fmac_f64_e32 v[46:47], v[44:45], v[162:163]
	v_add_f64 v[2:3], v[2:3], v[46:47]
	ds_read_b128 v[46:49], v1 offset:1504
	v_mul_f64 v[20:21], v[52:53], v[84:85]
	v_fma_f64 v[20:21], v[50:51], v[86:87], -v[20:21]
	ds_read_b128 v[50:53], v1 offset:1520
	v_mul_f64 v[54:55], v[220:221], v[96:97]
	v_fma_f64 v[250:251], v[218:219], v[250:251], -v[54:55]
	ds_read_b128 v[54:57], v1 offset:1536
	s_waitcnt lgkmcnt(2)
	v_mul_f64 v[58:59], v[46:47], v[146:147]
	v_mul_f64 v[66:67], v[224:225], v[88:89]
	v_fma_f64 v[218:219], v[222:223], v[90:91], -v[66:67]
	ds_read_b128 v[220:223], v1 offset:1568
	v_mul_f64 v[66:67], v[228:229], v[252:253]
	v_fma_f64 v[228:229], v[226:227], v[254:255], -v[66:67]
	v_mul_f64 v[74:75], v[232:233], v[106:107]
	v_fma_f64 v[254:255], v[230:231], v[108:109], -v[74:75]
	ds_read_b128 v[78:81], v1 offset:1632
	v_mul_f64 v[62:63], v[236:237], v[62:63]
	v_fma_f64 v[214:215], v[234:235], v[214:215], -v[62:63]
	ds_read_b128 v[86:89], v1 offset:1664
	v_mul_f64 v[90:91], v[244:245], v[102:103]
	v_fma_f64 v[252:253], v[246:247], v[100:101], -v[98:99]
	v_add_f64 v[18:19], v[18:19], 0
	v_add_f64 v[18:19], v[18:19], v[110:111]
	v_add_f64 v[18:19], v[18:19], v[112:113]
	ds_read_b128 v[66:69], v1 offset:1584
	v_add_f64 v[14:15], v[18:19], v[14:15]
	v_add_f64 v[10:11], v[14:15], v[10:11]
	;; [unrolled: 1-line block ×10, first 2 shown]
	ds_read_b128 v[74:77], v1 offset:1616
	v_add_f64 v[4:5], v[4:5], v[228:229]
	v_add_f64 v[4:5], v[4:5], v[254:255]
	;; [unrolled: 1-line block ×3, first 2 shown]
	v_accvgpr_read_b32 v6, a170
	v_accvgpr_read_b32 v7, a171
	ds_read_b128 v[98:101], v1 offset:1712
	s_waitcnt vmcnt(52)
	v_fmac_f64_e32 v[58:59], v[48:49], v[166:167]
	v_add_f64 v[2:3], v[2:3], v[58:59]
	s_waitcnt vmcnt(49) lgkmcnt(7)
	v_mul_f64 v[58:59], v[50:51], v[170:171]
	s_waitcnt vmcnt(47)
	v_fmac_f64_e32 v[58:59], v[52:53], v[172:173]
	v_add_f64 v[2:3], v[2:3], v[58:59]
	s_waitcnt vmcnt(45) lgkmcnt(6)
	v_mul_f64 v[58:59], v[54:55], v[164:165]
	s_waitcnt vmcnt(44)
	v_fmac_f64_e32 v[58:59], v[56:57], v[168:169]
	v_add_f64 v[2:3], v[2:3], v[58:59]
	ds_read_b128 v[58:61], v1 offset:1552
	s_waitcnt vmcnt(42) lgkmcnt(0)
	v_mul_f64 v[70:71], v[58:59], v[174:175]
	s_waitcnt vmcnt(40)
	v_fmac_f64_e32 v[70:71], v[60:61], v[176:177]
	v_add_f64 v[2:3], v[2:3], v[70:71]
	s_waitcnt vmcnt(38)
	v_mul_f64 v[70:71], v[220:221], v[178:179]
	s_waitcnt vmcnt(36)
	v_fmac_f64_e32 v[70:71], v[222:223], v[182:183]
	v_add_f64 v[2:3], v[2:3], v[70:71]
	s_waitcnt vmcnt(34)
	v_mul_f64 v[70:71], v[66:67], v[180:181]
	s_waitcnt vmcnt(32)
	v_fmac_f64_e32 v[70:71], v[68:69], v[184:185]
	v_add_f64 v[2:3], v[2:3], v[70:71]
	ds_read_b128 v[70:73], v1 offset:1600
	s_waitcnt vmcnt(25)
	v_mul_f64 v[62:63], v[74:75], v[194:195]
	s_waitcnt vmcnt(23)
	v_fmac_f64_e32 v[62:63], v[76:77], v[196:197]
	s_waitcnt lgkmcnt(0)
	v_mul_f64 v[82:83], v[70:71], v[186:187]
	v_fmac_f64_e32 v[82:83], v[72:73], v[190:191]
	v_add_f64 v[2:3], v[2:3], v[82:83]
	ds_read_b128 v[82:85], v1 offset:1648
	v_add_f64 v[2:3], v[2:3], v[62:63]
	s_waitcnt vmcnt(21)
	v_mul_f64 v[62:63], v[78:79], v[188:189]
	s_waitcnt vmcnt(20)
	v_fmac_f64_e32 v[62:63], v[80:81], v[192:193]
	v_add_f64 v[62:63], v[2:3], v[62:63]
	v_mul_f64 v[2:3], v[240:241], v[92:93]
	v_fma_f64 v[2:3], v[238:239], v[94:95], -v[2:3]
	s_waitcnt vmcnt(18) lgkmcnt(0)
	v_mul_f64 v[94:95], v[82:83], v[198:199]
	s_waitcnt vmcnt(16)
	v_fmac_f64_e32 v[94:95], v[84:85], v[200:201]
	v_fma_f64 v[240:241], v[242:243], v[104:105], -v[90:91]
	ds_read_b128 v[90:93], v1 offset:1680
	v_add_f64 v[62:63], v[62:63], v[94:95]
	s_waitcnt vmcnt(14)
	v_mul_f64 v[94:95], v[86:87], v[204:205]
	s_waitcnt vmcnt(12)
	v_fmac_f64_e32 v[94:95], v[88:89], v[206:207]
	v_add_f64 v[62:63], v[62:63], v[94:95]
	ds_read_b128 v[94:97], v1 offset:1696
	s_waitcnt vmcnt(9) lgkmcnt(1)
	v_mul_f64 v[102:103], v[90:91], v[210:211]
	s_waitcnt vmcnt(7)
	v_fmac_f64_e32 v[102:103], v[92:93], v[64:65]
	v_add_f64 v[62:63], v[62:63], v[102:103]
	v_add_f64 v[254:255], v[4:5], v[2:3]
	s_waitcnt vmcnt(5) lgkmcnt(0)
	v_mul_f64 v[102:103], v[94:95], v[202:203]
	s_waitcnt vmcnt(4)
	v_fmac_f64_e32 v[102:103], v[96:97], v[208:209]
	v_add_f64 v[62:63], v[62:63], v[102:103]
	s_waitcnt vmcnt(2)
	v_mul_f64 v[102:103], v[98:99], v[212:213]
	s_waitcnt vmcnt(0)
	v_fmac_f64_e32 v[102:103], v[100:101], v[216:217]
	v_add_f64 v[106:107], v[62:63], v[102:103]
	buffer_load_dword v62, off, s[0:3], 0 offset:856
	buffer_load_dword v63, off, s[0:3], 0 offset:860
	;; [unrolled: 1-line block ×4, first 2 shown]
	ds_read_b128 v[102:105], v1 offset:1728
	buffer_load_dword v233, off, s[0:3], 0 offset:876
	buffer_load_dword v232, off, s[0:3], 0 offset:872
	;; [unrolled: 1-line block ×4, first 2 shown]
	v_accvgpr_read_b32 v4, a168
	v_accvgpr_read_b32 v5, a169
	v_add_f64 v[2:3], v[254:255], v[240:241]
	v_mul_f64 v[4:5], v[136:137], v[4:5]
	v_add_f64 v[2:3], v[2:3], v[252:253]
	v_fma_f64 v[4:5], v[134:135], v[6:7], -v[4:5]
	v_add_f64 v[2:3], v[2:3], v[4:5]
	v_accvgpr_read_b32 v4, a172
	v_accvgpr_read_b32 v5, a173
	v_accvgpr_read_b32 v6, a174
	v_mul_f64 v[4:5], v[132:133], v[4:5]
	v_accvgpr_read_b32 v7, a175
	v_fma_f64 v[4:5], v[130:131], v[6:7], -v[4:5]
	v_add_f64 v[2:3], v[2:3], v[4:5]
	v_mul_f64 v[4:5], v[128:129], v[140:141]
	v_fma_f64 v[4:5], v[126:127], v[144:145], -v[4:5]
	v_add_f64 v[2:3], v[2:3], v[4:5]
	v_accvgpr_read_b32 v4, a176
	v_accvgpr_read_b32 v5, a177
	v_accvgpr_read_b32 v6, a178
	v_mul_f64 v[4:5], v[124:125], v[4:5]
	v_accvgpr_read_b32 v7, a179
	v_fma_f64 v[4:5], v[122:123], v[6:7], -v[4:5]
	v_add_f64 v[2:3], v[2:3], v[4:5]
	v_mul_f64 v[4:5], v[120:121], v[148:149]
	;; [unrolled: 10-line block ×4, first 2 shown]
	v_fma_f64 v[4:5], v[34:35], v[160:161], -v[4:5]
	v_add_f64 v[2:3], v[2:3], v[4:5]
	v_mul_f64 v[4:5], v[40:41], v[138:139]
	v_fma_f64 v[4:5], v[38:39], v[142:143], -v[4:5]
	v_add_f64 v[2:3], v[2:3], v[4:5]
	v_mul_f64 v[4:5], v[44:45], v[158:159]
	;; [unrolled: 3-line block ×10, first 2 shown]
	s_waitcnt vmcnt(6) lgkmcnt(0)
	v_mul_f64 v[108:109], v[102:103], v[62:63]
	v_fma_f64 v[4:5], v[74:75], v[196:197], -v[4:5]
	s_waitcnt vmcnt(4)
	v_fmac_f64_e32 v[108:109], v[104:105], v[230:231]
	v_add_f64 v[114:115], v[106:107], v[108:109]
	ds_read_b128 v[106:109], v1 offset:1744
	buffer_load_dword v236, off, s[0:3], 0 offset:888
	buffer_load_dword v237, off, s[0:3], 0 offset:892
	;; [unrolled: 1-line block ×4, first 2 shown]
	ds_read_b128 v[224:227], v1 offset:1760
	buffer_load_dword v243, off, s[0:3], 0 offset:908
	buffer_load_dword v242, off, s[0:3], 0 offset:904
	;; [unrolled: 1-line block ×4, first 2 shown]
	v_add_f64 v[2:3], v[2:3], v[4:5]
	s_waitcnt vmcnt(10) lgkmcnt(1)
	v_mul_f64 v[116:117], v[106:107], v[232:233]
	s_waitcnt vmcnt(8)
	v_fmac_f64_e32 v[116:117], v[108:109], v[234:235]
	v_add_f64 v[114:115], v[114:115], v[116:117]
	v_mul_f64 v[4:5], v[80:81], v[188:189]
	v_fma_f64 v[4:5], v[78:79], v[192:193], -v[4:5]
	v_add_f64 v[2:3], v[2:3], v[4:5]
	v_mul_f64 v[4:5], v[84:85], v[198:199]
	v_fma_f64 v[4:5], v[82:83], v[200:201], -v[4:5]
	;; [unrolled: 3-line block ×8, first 2 shown]
	v_add_f64 v[2:3], v[2:3], v[4:5]
	s_waitcnt vmcnt(6) lgkmcnt(0)
	v_mul_f64 v[116:117], v[224:225], v[236:237]
	v_mul_f64 v[4:5], v[226:227], v[236:237]
	s_waitcnt vmcnt(4)
	v_fmac_f64_e32 v[116:117], v[226:227], v[238:239]
	v_add_f64 v[246:247], v[114:115], v[116:117]
	ds_read_b128 v[114:117], v1 offset:1776
	v_fma_f64 v[4:5], v[224:225], v[238:239], -v[4:5]
	v_add_f64 v[2:3], v[2:3], v[4:5]
	s_waitcnt vmcnt(2) lgkmcnt(0)
	v_mul_f64 v[248:249], v[114:115], v[242:243]
	s_waitcnt vmcnt(0)
	v_fmac_f64_e32 v[248:249], v[116:117], v[244:245]
	v_add_f64 v[246:247], v[246:247], v[248:249]
	v_accvgpr_write_b32 a188, v246
	v_accvgpr_write_b32 a189, v247
	buffer_load_dword v248, off, s[0:3], 0 offset:128
	buffer_load_dword v249, off, s[0:3], 0 offset:132
	buffer_load_dword v246, off, s[0:3], 0 offset:136
	buffer_load_dword v247, off, s[0:3], 0 offset:140
	v_mul_f64 v[4:5], v[116:117], v[242:243]
	v_fma_f64 v[4:5], v[114:115], v[244:245], -v[4:5]
	v_add_f64 v[2:3], v[2:3], v[4:5]
	v_accvgpr_read_b32 v4, a188
	v_accvgpr_read_b32 v5, a189
	s_waitcnt vmcnt(2)
	v_add_f64 v[2:3], v[248:249], -v[2:3]
	s_waitcnt vmcnt(0)
	v_add_f64 v[4:5], v[246:247], -v[4:5]
	buffer_store_dword v3, off, s[0:3], 0 offset:132
	buffer_store_dword v2, off, s[0:3], 0 offset:128
	;; [unrolled: 1-line block ×4, first 2 shown]
	s_and_saveexec_b64 s[4:5], vcc
	s_cbranch_execz .LBB55_337
; %bb.336:
	v_accvgpr_read_b32 v1, a161
	buffer_load_dword v2, v1, s[0:3], 0 offen
	buffer_load_dword v3, v1, s[0:3], 0 offen offset:4
	buffer_load_dword v4, v1, s[0:3], 0 offen offset:8
	;; [unrolled: 1-line block ×3, first 2 shown]
	v_mov_b32_e32 v1, 0
	v_accvgpr_read_b32 v6, a167
	buffer_store_dword v1, off, s[0:3], 0 offset:112
	buffer_store_dword v1, off, s[0:3], 0 offset:116
	;; [unrolled: 1-line block ×4, first 2 shown]
	s_waitcnt vmcnt(4)
	ds_write_b128 v6, v[2:5]
.LBB55_337:
	s_or_b64 exec, exec, s[4:5]
	s_waitcnt lgkmcnt(0)
	; wave barrier
	s_waitcnt lgkmcnt(0)
	buffer_load_dword v38, off, s[0:3], 0 offset:128
	buffer_load_dword v39, off, s[0:3], 0 offset:132
	;; [unrolled: 1-line block ×42, first 2 shown]
	v_mov_b32_e32 v1, 0
	buffer_load_dword v99, off, s[0:3], 0 offset:276
	buffer_load_dword v98, off, s[0:3], 0 offset:272
	buffer_load_dword v79, off, s[0:3], 0 offset:332
	buffer_load_dword v78, off, s[0:3], 0 offset:328
	buffer_load_dword v81, off, s[0:3], 0 offset:324
	buffer_load_dword v80, off, s[0:3], 0 offset:320
	buffer_load_dword v85, off, s[0:3], 0 offset:316
	ds_read_b128 v[108:111], v1 offset:1008
	ds_read_b128 v[112:115], v1 offset:1024
	;; [unrolled: 1-line block ×11, first 2 shown]
	v_cmp_lt_u32_e32 vcc, 5, v0
	s_waitcnt vmcnt(45) lgkmcnt(10)
	v_mul_f64 v[2:3], v[108:109], v[40:41]
	v_fmac_f64_e32 v[2:3], v[110:111], v[38:39]
	v_add_f64 v[2:3], v[2:3], 0
	v_mul_f64 v[40:41], v[110:111], v[40:41]
	s_waitcnt vmcnt(41) lgkmcnt(9)
	v_mul_f64 v[4:5], v[112:113], v[46:47]
	v_fmac_f64_e32 v[4:5], v[114:115], v[44:45]
	v_add_f64 v[2:3], v[2:3], v[4:5]
	buffer_load_dword v84, off, s[0:3], 0 offset:312
	buffer_load_dword v117, off, s[0:3], 0 offset:308
	;; [unrolled: 1-line block ×29, first 2 shown]
	s_waitcnt vmcnt(62) lgkmcnt(8)
	v_mul_f64 v[6:7], v[170:171], v[42:43]
	s_waitcnt lgkmcnt(6)
	v_mul_f64 v[10:11], v[180:181], v[48:49]
	v_fmac_f64_e32 v[10:11], v[182:183], v[50:51]
	v_mul_f64 v[42:43], v[172:173], v[42:43]
	v_mul_f64 v[8:9], v[174:175], v[178:179]
	;; [unrolled: 1-line block ×3, first 2 shown]
	s_waitcnt vmcnt(60) lgkmcnt(4)
	v_mul_f64 v[14:15], v[190:191], v[56:57]
	s_waitcnt vmcnt(58)
	v_fmac_f64_e32 v[14:15], v[192:193], v[54:55]
	s_waitcnt vmcnt(56)
	v_mul_f64 v[12:13], v[184:185], v[188:189]
	s_waitcnt vmcnt(54) lgkmcnt(2)
	v_mul_f64 v[18:19], v[198:199], v[64:65]
	s_waitcnt vmcnt(51)
	v_mul_f64 v[16:17], v[194:195], v[66:67]
	s_waitcnt vmcnt(49) lgkmcnt(1)
	v_mul_f64 v[20:21], v[202:203], v[60:61]
	s_waitcnt vmcnt(47)
	v_fmac_f64_e32 v[6:7], v[172:173], v[74:75]
	v_add_f64 v[2:3], v[2:3], v[6:7]
	s_waitcnt vmcnt(45)
	v_fmac_f64_e32 v[8:9], v[176:177], v[72:73]
	v_add_f64 v[2:3], v[2:3], v[8:9]
	;; [unrolled: 3-line block ×3, first 2 shown]
	v_add_f64 v[2:3], v[2:3], v[12:13]
	v_add_f64 v[2:3], v[2:3], v[14:15]
	s_waitcnt vmcnt(41)
	v_fmac_f64_e32 v[16:17], v[196:197], v[68:69]
	v_add_f64 v[2:3], v[2:3], v[16:17]
	s_waitcnt vmcnt(40)
	v_fmac_f64_e32 v[18:19], v[200:201], v[62:63]
	;; [unrolled: 3-line block ×3, first 2 shown]
	v_add_f64 v[2:3], v[2:3], v[20:21]
	v_fma_f64 v[210:211], v[170:171], v[74:75], -v[42:43]
	v_mul_f64 v[42:43], v[176:177], v[178:179]
	v_fma_f64 v[72:73], v[174:175], v[72:73], -v[42:43]
	s_waitcnt vmcnt(0)
	v_pk_mov_b32 v[14:15], v[4:5], v[4:5] op_sel:[0,1]
	buffer_load_dword v5, off, s[0:3], 0 offset:452
	buffer_load_dword v4, off, s[0:3], 0 offset:448
	v_accvgpr_write_b32 a169, v15
	v_accvgpr_write_b32 a168, v14
	s_waitcnt vmcnt(0)
	v_pk_mov_b32 v[16:17], v[4:5], v[4:5] op_sel:[0,1]
	buffer_load_dword v95, off, s[0:3], 0 offset:444
	buffer_load_dword v94, off, s[0:3], 0 offset:440
	;; [unrolled: 1-line block ×6, first 2 shown]
	v_accvgpr_write_b32 a171, v17
	v_accvgpr_write_b32 a170, v16
	s_waitcnt vmcnt(0)
	v_pk_mov_b32 v[22:23], v[4:5], v[4:5] op_sel:[0,1]
	buffer_load_dword v5, off, s[0:3], 0 offset:484
	buffer_load_dword v4, off, s[0:3], 0 offset:480
	v_accvgpr_write_b32 a175, v23
	v_accvgpr_write_b32 a174, v22
	s_waitcnt vmcnt(0)
	v_pk_mov_b32 v[24:25], v[4:5], v[4:5] op_sel:[0,1]
	buffer_load_dword v5, off, s[0:3], 0 offset:476
	buffer_load_dword v4, off, s[0:3], 0 offset:472
	;; [unrolled: 6-line block ×3, first 2 shown]
	buffer_load_dword v5, off, s[0:3], 0 offset:524
	buffer_load_dword v4, off, s[0:3], 0 offset:520
	v_accvgpr_write_b32 a173, v19
	v_accvgpr_write_b32 a172, v18
	s_waitcnt vmcnt(0)
	v_pk_mov_b32 v[30:31], v[4:5], v[4:5] op_sel:[0,1]
	buffer_load_dword v5, off, s[0:3], 0 offset:516
	buffer_load_dword v4, off, s[0:3], 0 offset:512
	v_accvgpr_write_b32 a179, v31
	v_accvgpr_write_b32 a178, v30
	s_waitcnt vmcnt(0)
	v_pk_mov_b32 v[32:33], v[4:5], v[4:5] op_sel:[0,1]
	buffer_load_dword v147, off, s[0:3], 0 offset:508
	buffer_load_dword v146, off, s[0:3], 0 offset:504
	;; [unrolled: 1-line block ×6, first 2 shown]
	v_accvgpr_write_b32 a181, v33
	v_accvgpr_write_b32 a180, v32
	s_waitcnt vmcnt(0)
	v_pk_mov_b32 v[162:163], v[4:5], v[4:5] op_sel:[0,1]
	buffer_load_dword v5, off, s[0:3], 0 offset:548
	buffer_load_dword v4, off, s[0:3], 0 offset:544
	v_accvgpr_write_b32 a183, v163
	v_accvgpr_write_b32 a182, v162
	s_waitcnt vmcnt(0)
	v_pk_mov_b32 v[164:165], v[4:5], v[4:5] op_sel:[0,1]
	buffer_load_dword v151, off, s[0:3], 0 offset:540
	buffer_load_dword v150, off, s[0:3], 0 offset:536
	;; [unrolled: 1-line block ×6, first 2 shown]
	v_accvgpr_write_b32 a185, v165
	v_accvgpr_write_b32 a184, v164
	s_waitcnt vmcnt(0)
	v_pk_mov_b32 v[166:167], v[4:5], v[4:5] op_sel:[0,1]
	buffer_load_dword v5, off, s[0:3], 0 offset:580
	buffer_load_dword v4, off, s[0:3], 0 offset:576
	buffer_load_dword v155, off, s[0:3], 0 offset:572
	buffer_load_dword v154, off, s[0:3], 0 offset:568
	buffer_load_dword v157, off, s[0:3], 0 offset:564
	buffer_load_dword v156, off, s[0:3], 0 offset:560
	buffer_load_dword v53, off, s[0:3], 0 offset:620
	buffer_load_dword v52, off, s[0:3], 0 offset:616
	buffer_load_dword v145, off, s[0:3], 0 offset:612
	buffer_load_dword v144, off, s[0:3], 0 offset:608
	buffer_load_dword v159, off, s[0:3], 0 offset:604
	buffer_load_dword v158, off, s[0:3], 0 offset:600
	buffer_load_dword v161, off, s[0:3], 0 offset:596
	buffer_load_dword v160, off, s[0:3], 0 offset:592
	ds_read_b128 v[214:217], v1 offset:1184
	ds_read_b128 v[218:221], v1 offset:1200
	;; [unrolled: 1-line block ×14, first 2 shown]
	s_waitcnt lgkmcnt(5)
	v_mul_f64 v[8:9], v[246:247], v[94:95]
	v_fmac_f64_e32 v[8:9], v[248:249], v[96:97]
	s_waitcnt lgkmcnt(4)
	v_mul_f64 v[12:13], v[138:139], v[14:15]
	v_fmac_f64_e32 v[12:13], v[140:141], v[16:17]
	s_waitcnt lgkmcnt(3)
	v_mul_f64 v[16:17], v[134:135], v[18:19]
	ds_read_b128 v[118:121], v1 offset:1408
	v_fmac_f64_e32 v[16:17], v[136:137], v[142:143]
	s_waitcnt lgkmcnt(3)
	v_mul_f64 v[20:21], v[130:131], v[22:23]
	v_fmac_f64_e32 v[20:21], v[132:133], v[24:25]
	s_waitcnt lgkmcnt(2)
	v_mul_f64 v[24:25], v[126:127], v[146:147]
	;; [unrolled: 3-line block ×3, first 2 shown]
	v_fmac_f64_e32 v[28:29], v[124:125], v[32:33]
	v_accvgpr_write_b32 a187, v167
	v_accvgpr_write_b32 a186, v166
	v_mul_f64 v[94:95], v[248:249], v[94:95]
	s_waitcnt vmcnt(6)
	v_accvgpr_write_b32 a191, v53
	v_accvgpr_write_b32 a190, v52
	v_pk_mov_b32 v[168:169], v[4:5], v[4:5] op_sel:[0,1]
	v_mul_f64 v[4:5], v[206:207], v[76:77]
	v_fmac_f64_e32 v[4:5], v[208:209], v[82:83]
	v_add_f64 v[2:3], v[2:3], v[4:5]
	v_mul_f64 v[4:5], v[214:215], v[84:85]
	v_fmac_f64_e32 v[4:5], v[216:217], v[116:117]
	v_add_f64 v[2:3], v[2:3], v[4:5]
	;; [unrolled: 3-line block ×9, first 2 shown]
	v_add_f64 v[10:11], v[6:7], v[8:9]
	v_add_f64 v[14:15], v[10:11], v[12:13]
	;; [unrolled: 1-line block ×6, first 2 shown]
	ds_read_b128 v[26:29], v1 offset:1424
	s_waitcnt lgkmcnt(1)
	v_mul_f64 v[32:33], v[118:119], v[150:151]
	v_fmac_f64_e32 v[32:33], v[120:121], v[152:153]
	v_add_f64 v[34:35], v[30:31], v[32:33]
	ds_read_b128 v[30:33], v1 offset:1440
	s_waitcnt lgkmcnt(1)
	v_mul_f64 v[36:37], v[26:27], v[162:163]
	v_fmac_f64_e32 v[36:37], v[28:29], v[164:165]
	v_add_f64 v[162:163], v[34:35], v[36:37]
	ds_read_b128 v[34:37], v1 offset:1456
	s_waitcnt lgkmcnt(1)
	v_mul_f64 v[4:5], v[30:31], v[154:155]
	v_fmac_f64_e32 v[4:5], v[32:33], v[156:157]
	v_fma_f64 v[18:19], v[108:109], v[38:39], -v[40:41]
	ds_read_b128 v[38:41], v1 offset:1472
	v_add_f64 v[4:5], v[162:163], v[4:5]
	buffer_load_dword v163, off, s[0:3], 0 offset:636
	buffer_load_dword v162, off, s[0:3], 0 offset:632
	;; [unrolled: 1-line block ×4, first 2 shown]
	s_waitcnt lgkmcnt(1)
	v_mul_f64 v[108:109], v[34:35], v[166:167]
	v_accvgpr_write_b32 a189, v169
	v_fmac_f64_e32 v[108:109], v[36:37], v[168:169]
	v_accvgpr_write_b32 a188, v168
	buffer_load_dword v22, off, s[0:3], 0 offset:648
	buffer_load_dword v168, off, s[0:3], 0 offset:640
	;; [unrolled: 1-line block ×12, first 2 shown]
	v_fma_f64 v[166:167], v[112:113], v[44:45], -v[46:47]
	v_mul_f64 v[46:47], v[182:183], v[48:49]
	ds_read_b128 v[42:45], v1 offset:1488
	v_fma_f64 v[212:213], v[180:181], v[50:51], -v[46:47]
	buffer_load_dword v174, off, s[0:3], 0 offset:712
	buffer_load_dword v181, off, s[0:3], 0 offset:700
	;; [unrolled: 1-line block ×5, first 2 shown]
	v_mul_f64 v[46:47], v[186:187], v[188:189]
	v_fma_f64 v[14:15], v[184:185], v[70:71], -v[46:47]
	buffer_load_dword v184, off, s[0:3], 0 offset:704
	buffer_load_dword v175, off, s[0:3], 0 offset:716
	;; [unrolled: 1-line block ×7, first 2 shown]
	v_mul_f64 v[8:9], v[192:193], v[56:57]
	v_mul_f64 v[46:47], v[196:197], v[66:67]
	v_fma_f64 v[10:11], v[190:191], v[54:55], -v[8:9]
	v_fma_f64 v[8:9], v[194:195], v[68:69], -v[46:47]
	buffer_load_dword v192, off, s[0:3], 0 offset:744
	buffer_load_dword v194, off, s[0:3], 0 offset:736
	;; [unrolled: 1-line block ×4, first 2 shown]
	v_mul_f64 v[12:13], v[200:201], v[64:65]
	v_fma_f64 v[12:13], v[198:199], v[62:63], -v[12:13]
	buffer_load_dword v191, off, s[0:3], 0 offset:780
	buffer_load_dword v197, off, s[0:3], 0 offset:764
	;; [unrolled: 1-line block ×8, first 2 shown]
	s_waitcnt lgkmcnt(0)
	v_mul_f64 v[50:51], v[42:43], v[52:53]
	v_mul_f64 v[52:53], v[204:205], v[60:61]
	ds_read_b128 v[46:49], v1 offset:1504
	v_fma_f64 v[6:7], v[202:203], v[98:99], -v[52:53]
	buffer_load_dword v203, off, s[0:3], 0 offset:796
	buffer_load_dword v202, off, s[0:3], 0 offset:792
	;; [unrolled: 1-line block ×4, first 2 shown]
	v_mul_f64 v[16:17], v[208:209], v[76:77]
	v_fma_f64 v[16:17], v[206:207], v[82:83], -v[16:17]
	buffer_load_dword v206, off, s[0:3], 0 offset:808
	buffer_load_dword v208, off, s[0:3], 0 offset:800
	;; [unrolled: 1-line block ×8, first 2 shown]
	v_add_f64 v[4:5], v[4:5], v[108:109]
	s_waitcnt vmcnt(54)
	v_mul_f64 v[108:109], v[38:39], v[158:159]
	s_waitcnt vmcnt(52)
	v_fmac_f64_e32 v[108:109], v[40:41], v[160:161]
	v_mul_f64 v[52:53], v[216:217], v[84:85]
	v_add_f64 v[108:109], v[4:5], v[108:109]
	v_fma_f64 v[4:5], v[214:215], v[116:117], -v[52:53]
	buffer_load_dword v214, off, s[0:3], 0 offset:840
	buffer_load_dword v216, off, s[0:3], 0 offset:832
	buffer_load_dword v215, off, s[0:3], 0 offset:844
	buffer_load_dword v217, off, s[0:3], 0 offset:836
	v_fmac_f64_e32 v[50:51], v[44:45], v[144:145]
	v_add_f64 v[50:51], v[108:109], v[50:51]
	v_mul_f64 v[54:55], v[220:221], v[78:79]
	v_fma_f64 v[218:219], v[218:219], v[80:81], -v[54:55]
	v_mul_f64 v[64:65], v[224:225], v[250:251]
	v_fma_f64 v[252:253], v[222:223], v[252:253], -v[64:65]
	ds_read_b128 v[220:223], v1 offset:1552
	v_mul_f64 v[66:67], v[228:229], v[104:105]
	v_fma_f64 v[228:229], v[226:227], v[106:107], -v[66:67]
	ds_read_b128 v[66:69], v1 offset:1584
	v_mul_f64 v[76:77], v[232:233], v[254:255]
	v_fma_f64 v[58:59], v[230:231], v[58:59], -v[76:77]
	v_mul_f64 v[78:79], v[236:237], v[86:87]
	v_fma_f64 v[254:255], v[234:235], v[88:89], -v[78:79]
	ds_read_b128 v[54:57], v1 offset:1536
	v_mul_f64 v[82:83], v[240:241], v[100:101]
	v_fma_f64 v[2:3], v[238:239], v[102:103], -v[82:83]
	ds_read_b128 v[82:85], v1 offset:1648
	v_fma_f64 v[250:251], v[246:247], v[96:97], -v[94:95]
	v_add_f64 v[18:19], v[18:19], 0
	v_add_f64 v[18:19], v[18:19], v[166:167]
	;; [unrolled: 1-line block ×6, first 2 shown]
	ds_read_b128 v[224:227], v1 offset:1600
	v_add_f64 v[10:11], v[14:15], v[10:11]
	v_add_f64 v[8:9], v[10:11], v[8:9]
	;; [unrolled: 1-line block ×10, first 2 shown]
	ds_read_b128 v[78:81], v1 offset:1632
	v_add_f64 v[4:5], v[4:5], v[254:255]
	v_add_f64 v[2:3], v[4:5], v[2:3]
	s_waitcnt vmcnt(54) lgkmcnt(6)
	v_mul_f64 v[20:21], v[46:47], v[162:163]
	v_accvgpr_read_b32 v4, a168
	s_waitcnt vmcnt(52)
	v_fmac_f64_e32 v[20:21], v[48:49], v[164:165]
	v_add_f64 v[20:21], v[50:51], v[20:21]
	ds_read_b128 v[50:53], v1 offset:1520
	v_accvgpr_read_b32 v5, a169
	v_accvgpr_read_b32 v6, a170
	v_mul_f64 v[4:5], v[140:141], v[4:5]
	ds_read_b128 v[94:97], v1 offset:1696
	s_waitcnt vmcnt(49) lgkmcnt(1)
	v_mul_f64 v[62:63], v[50:51], v[22:23]
	s_waitcnt vmcnt(48)
	v_fmac_f64_e32 v[62:63], v[52:53], v[168:169]
	v_add_f64 v[20:21], v[20:21], v[62:63]
	s_waitcnt vmcnt(45)
	v_mul_f64 v[62:63], v[54:55], v[172:173]
	s_waitcnt vmcnt(43)
	v_fmac_f64_e32 v[62:63], v[56:57], v[178:179]
	v_add_f64 v[20:21], v[20:21], v[62:63]
	s_waitcnt vmcnt(42)
	v_mul_f64 v[62:63], v[220:221], v[170:171]
	s_waitcnt vmcnt(40)
	v_fmac_f64_e32 v[62:63], v[222:223], v[176:177]
	v_add_f64 v[20:21], v[20:21], v[62:63]
	ds_read_b128 v[62:65], v1 offset:1568
	v_accvgpr_read_b32 v7, a171
	s_waitcnt vmcnt(21)
	v_mul_f64 v[24:25], v[78:79], v[196:197]
	v_fma_f64 v[4:5], v[138:139], v[6:7], -v[4:5]
	s_waitcnt vmcnt(19)
	v_fmac_f64_e32 v[24:25], v[80:81], v[200:201]
	s_waitcnt lgkmcnt(0)
	v_mul_f64 v[74:75], v[62:63], v[180:181]
	v_fmac_f64_e32 v[74:75], v[64:65], v[182:183]
	v_add_f64 v[20:21], v[20:21], v[74:75]
	v_mul_f64 v[74:75], v[66:67], v[174:175]
	v_fmac_f64_e32 v[74:75], v[68:69], v[184:185]
	v_add_f64 v[20:21], v[20:21], v[74:75]
	;; [unrolled: 3-line block ×3, first 2 shown]
	ds_read_b128 v[74:77], v1 offset:1616
	v_accvgpr_read_b32 v6, a176
	v_accvgpr_read_b32 v7, a177
	s_waitcnt lgkmcnt(0)
	v_mul_f64 v[86:87], v[74:75], v[192:193]
	v_fmac_f64_e32 v[86:87], v[76:77], v[194:195]
	v_add_f64 v[20:21], v[20:21], v[86:87]
	v_add_f64 v[20:21], v[20:21], v[24:25]
	ds_read_b128 v[86:89], v1 offset:1664
	s_waitcnt vmcnt(18)
	v_mul_f64 v[24:25], v[82:83], v[190:191]
	s_waitcnt vmcnt(16)
	v_fmac_f64_e32 v[24:25], v[84:85], v[198:199]
	v_add_f64 v[20:21], v[20:21], v[24:25]
	v_mul_f64 v[24:25], v[244:245], v[90:91]
	v_fma_f64 v[24:25], v[242:243], v[92:93], -v[24:25]
	ds_read_b128 v[90:93], v1 offset:1680
	s_waitcnt vmcnt(14) lgkmcnt(1)
	v_mul_f64 v[98:99], v[86:87], v[202:203]
	s_waitcnt vmcnt(12)
	v_fmac_f64_e32 v[98:99], v[88:89], v[204:205]
	v_add_f64 v[20:21], v[20:21], v[98:99]
	v_add_f64 v[252:253], v[2:3], v[24:25]
	s_waitcnt vmcnt(9) lgkmcnt(0)
	v_mul_f64 v[98:99], v[90:91], v[206:207]
	s_waitcnt vmcnt(8)
	v_fmac_f64_e32 v[98:99], v[92:93], v[208:209]
	v_add_f64 v[20:21], v[20:21], v[98:99]
	s_waitcnt vmcnt(6)
	v_mul_f64 v[98:99], v[94:95], v[60:61]
	s_waitcnt vmcnt(4)
	v_fmac_f64_e32 v[98:99], v[96:97], v[70:71]
	v_add_f64 v[20:21], v[20:21], v[98:99]
	ds_read_b128 v[98:101], v1 offset:1712
	v_add_f64 v[2:3], v[252:253], v[250:251]
	v_add_f64 v[2:3], v[2:3], v[4:5]
	v_accvgpr_read_b32 v4, a172
	v_accvgpr_read_b32 v5, a173
	s_waitcnt vmcnt(1) lgkmcnt(0)
	v_mul_f64 v[102:103], v[98:99], v[214:215]
	s_waitcnt vmcnt(0)
	v_fmac_f64_e32 v[102:103], v[100:101], v[216:217]
	v_add_f64 v[106:107], v[20:21], v[102:103]
	buffer_load_dword v21, off, s[0:3], 0 offset:860
	buffer_load_dword v20, off, s[0:3], 0 offset:856
	;; [unrolled: 1-line block ×4, first 2 shown]
	ds_read_b128 v[102:105], v1 offset:1728
	buffer_load_dword v232, off, s[0:3], 0 offset:872
	buffer_load_dword v233, off, s[0:3], 0 offset:876
	;; [unrolled: 1-line block ×4, first 2 shown]
	v_mul_f64 v[4:5], v[136:137], v[4:5]
	v_fma_f64 v[4:5], v[134:135], v[142:143], -v[4:5]
	v_add_f64 v[2:3], v[2:3], v[4:5]
	v_accvgpr_read_b32 v4, a174
	v_accvgpr_read_b32 v5, a175
	v_mul_f64 v[4:5], v[132:133], v[4:5]
	v_fma_f64 v[4:5], v[130:131], v[6:7], -v[4:5]
	v_add_f64 v[2:3], v[2:3], v[4:5]
	v_mul_f64 v[4:5], v[128:129], v[146:147]
	v_fma_f64 v[4:5], v[126:127], v[148:149], -v[4:5]
	v_add_f64 v[2:3], v[2:3], v[4:5]
	v_accvgpr_read_b32 v4, a178
	v_accvgpr_read_b32 v5, a179
	v_accvgpr_read_b32 v6, a180
	v_mul_f64 v[4:5], v[124:125], v[4:5]
	v_accvgpr_read_b32 v7, a181
	v_fma_f64 v[4:5], v[122:123], v[6:7], -v[4:5]
	v_add_f64 v[2:3], v[2:3], v[4:5]
	v_mul_f64 v[4:5], v[120:121], v[150:151]
	v_fma_f64 v[4:5], v[118:119], v[152:153], -v[4:5]
	v_add_f64 v[2:3], v[2:3], v[4:5]
	v_accvgpr_read_b32 v4, a182
	v_accvgpr_read_b32 v5, a183
	v_accvgpr_read_b32 v6, a184
	v_mul_f64 v[4:5], v[28:29], v[4:5]
	v_accvgpr_read_b32 v7, a185
	v_fma_f64 v[4:5], v[26:27], v[6:7], -v[4:5]
	v_add_f64 v[2:3], v[2:3], v[4:5]
	v_mul_f64 v[4:5], v[32:33], v[154:155]
	v_fma_f64 v[4:5], v[30:31], v[156:157], -v[4:5]
	v_add_f64 v[2:3], v[2:3], v[4:5]
	v_accvgpr_read_b32 v4, a186
	v_accvgpr_read_b32 v5, a187
	v_accvgpr_read_b32 v6, a188
	v_mul_f64 v[4:5], v[36:37], v[4:5]
	v_accvgpr_read_b32 v7, a189
	v_fma_f64 v[4:5], v[34:35], v[6:7], -v[4:5]
	v_add_f64 v[2:3], v[2:3], v[4:5]
	v_mul_f64 v[4:5], v[40:41], v[158:159]
	v_fma_f64 v[4:5], v[38:39], v[160:161], -v[4:5]
	v_add_f64 v[2:3], v[2:3], v[4:5]
	v_accvgpr_read_b32 v4, a190
	v_accvgpr_read_b32 v5, a191
	v_mul_f64 v[4:5], v[44:45], v[4:5]
	v_fma_f64 v[4:5], v[42:43], v[144:145], -v[4:5]
	v_add_f64 v[2:3], v[2:3], v[4:5]
	v_mul_f64 v[4:5], v[48:49], v[162:163]
	v_fma_f64 v[4:5], v[46:47], v[164:165], -v[4:5]
	v_add_f64 v[2:3], v[2:3], v[4:5]
	v_mul_f64 v[4:5], v[52:53], v[22:23]
	v_fma_f64 v[4:5], v[50:51], v[168:169], -v[4:5]
	v_add_f64 v[2:3], v[2:3], v[4:5]
	v_mul_f64 v[4:5], v[56:57], v[172:173]
	v_fma_f64 v[4:5], v[54:55], v[178:179], -v[4:5]
	v_add_f64 v[2:3], v[2:3], v[4:5]
	v_mul_f64 v[4:5], v[222:223], v[170:171]
	v_fma_f64 v[4:5], v[220:221], v[176:177], -v[4:5]
	v_add_f64 v[2:3], v[2:3], v[4:5]
	v_mul_f64 v[4:5], v[64:65], v[180:181]
	v_fma_f64 v[4:5], v[62:63], v[182:183], -v[4:5]
	v_add_f64 v[2:3], v[2:3], v[4:5]
	v_mul_f64 v[4:5], v[68:69], v[174:175]
	v_fma_f64 v[4:5], v[66:67], v[184:185], -v[4:5]
	v_add_f64 v[2:3], v[2:3], v[4:5]
	v_mul_f64 v[4:5], v[226:227], v[186:187]
	v_fma_f64 v[4:5], v[224:225], v[188:189], -v[4:5]
	v_add_f64 v[2:3], v[2:3], v[4:5]
	v_mul_f64 v[4:5], v[76:77], v[192:193]
	v_fma_f64 v[4:5], v[74:75], v[194:195], -v[4:5]
	v_add_f64 v[2:3], v[2:3], v[4:5]
	v_mul_f64 v[4:5], v[80:81], v[196:197]
	v_fma_f64 v[4:5], v[78:79], v[200:201], -v[4:5]
	v_add_f64 v[2:3], v[2:3], v[4:5]
	v_mul_f64 v[4:5], v[84:85], v[190:191]
	v_fma_f64 v[4:5], v[82:83], v[198:199], -v[4:5]
	s_waitcnt vmcnt(6) lgkmcnt(0)
	v_mul_f64 v[108:109], v[102:103], v[20:21]
	v_add_f64 v[2:3], v[2:3], v[4:5]
	s_waitcnt vmcnt(4)
	v_fmac_f64_e32 v[108:109], v[104:105], v[230:231]
	v_add_f64 v[110:111], v[106:107], v[108:109]
	ds_read_b128 v[106:109], v1 offset:1744
	buffer_load_dword v237, off, s[0:3], 0 offset:892
	buffer_load_dword v236, off, s[0:3], 0 offset:888
	;; [unrolled: 1-line block ×4, first 2 shown]
	v_mul_f64 v[4:5], v[88:89], v[202:203]
	v_fma_f64 v[4:5], v[86:87], v[204:205], -v[4:5]
	v_add_f64 v[2:3], v[2:3], v[4:5]
	s_waitcnt vmcnt(6) lgkmcnt(0)
	v_mul_f64 v[112:113], v[106:107], v[232:233]
	s_waitcnt vmcnt(4)
	v_fmac_f64_e32 v[112:113], v[108:109], v[234:235]
	v_add_f64 v[114:115], v[110:111], v[112:113]
	ds_read_b128 v[110:113], v1 offset:1760
	buffer_load_dword v242, off, s[0:3], 0 offset:904
	buffer_load_dword v243, off, s[0:3], 0 offset:908
	;; [unrolled: 1-line block ×4, first 2 shown]
	v_mul_f64 v[4:5], v[92:93], v[206:207]
	v_fma_f64 v[4:5], v[90:91], v[208:209], -v[4:5]
	v_add_f64 v[2:3], v[2:3], v[4:5]
	v_mul_f64 v[4:5], v[96:97], v[60:61]
	v_fma_f64 v[4:5], v[94:95], v[70:71], -v[4:5]
	v_add_f64 v[2:3], v[2:3], v[4:5]
	;; [unrolled: 3-line block ×5, first 2 shown]
	s_waitcnt vmcnt(6) lgkmcnt(0)
	v_mul_f64 v[116:117], v[110:111], v[236:237]
	v_mul_f64 v[4:5], v[112:113], v[236:237]
	s_waitcnt vmcnt(4)
	v_fmac_f64_e32 v[116:117], v[112:113], v[238:239]
	v_add_f64 v[240:241], v[114:115], v[116:117]
	ds_read_b128 v[114:117], v1 offset:1776
	buffer_load_dword v248, off, s[0:3], 0 offset:112
	buffer_load_dword v249, off, s[0:3], 0 offset:116
	v_fma_f64 v[4:5], v[110:111], v[238:239], -v[4:5]
	v_add_f64 v[2:3], v[2:3], v[4:5]
	s_waitcnt vmcnt(4) lgkmcnt(0)
	v_mul_f64 v[246:247], v[114:115], v[242:243]
	s_waitcnt vmcnt(2)
	v_fmac_f64_e32 v[246:247], v[116:117], v[244:245]
	v_add_f64 v[240:241], v[240:241], v[246:247]
	buffer_load_dword v246, off, s[0:3], 0 offset:120
	buffer_load_dword v247, off, s[0:3], 0 offset:124
	v_mul_f64 v[4:5], v[116:117], v[242:243]
	v_fma_f64 v[4:5], v[114:115], v[244:245], -v[4:5]
	v_add_f64 v[2:3], v[2:3], v[4:5]
	s_waitcnt vmcnt(2)
	v_add_f64 v[2:3], v[248:249], -v[2:3]
	s_waitcnt vmcnt(0)
	v_add_f64 v[4:5], v[246:247], -v[240:241]
	buffer_store_dword v3, off, s[0:3], 0 offset:116
	buffer_store_dword v2, off, s[0:3], 0 offset:112
	;; [unrolled: 1-line block ×4, first 2 shown]
	s_and_saveexec_b64 s[4:5], vcc
	s_cbranch_execz .LBB55_339
; %bb.338:
	v_accvgpr_read_b32 v5, a162
	buffer_load_dword v2, v5, s[0:3], 0 offen
	buffer_load_dword v3, v5, s[0:3], 0 offen offset:4
	buffer_load_dword v4, v5, s[0:3], 0 offen offset:8
	s_nop 0
	buffer_load_dword v5, v5, s[0:3], 0 offen offset:12
	v_accvgpr_read_b32 v6, a167
	buffer_store_dword v1, off, s[0:3], 0 offset:96
	buffer_store_dword v1, off, s[0:3], 0 offset:100
	;; [unrolled: 1-line block ×4, first 2 shown]
	s_waitcnt vmcnt(4)
	ds_write_b128 v6, v[2:5]
.LBB55_339:
	s_or_b64 exec, exec, s[4:5]
	s_waitcnt lgkmcnt(0)
	; wave barrier
	s_waitcnt lgkmcnt(0)
	buffer_load_dword v176, off, s[0:3], 0 offset:112
	buffer_load_dword v177, off, s[0:3], 0 offset:116
	;; [unrolled: 1-line block ×42, first 2 shown]
	ds_read_b128 v[42:45], v1 offset:992
	ds_read_b128 v[108:111], v1 offset:1008
	;; [unrolled: 1-line block ×10, first 2 shown]
	buffer_load_dword v117, off, s[0:3], 0 offset:260
	buffer_load_dword v116, off, s[0:3], 0 offset:256
	ds_read_b128 v[46:49], v1 offset:1152
	buffer_load_dword v85, off, s[0:3], 0 offset:316
	buffer_load_dword v84, off, s[0:3], 0 offset:312
	;; [unrolled: 1-line block ×6, first 2 shown]
	v_cmp_lt_u32_e32 vcc, 4, v0
	s_waitcnt vmcnt(46) lgkmcnt(10)
	v_mul_f64 v[2:3], v[42:43], v[36:37]
	v_fmac_f64_e32 v[2:3], v[44:45], v[176:177]
	v_add_f64 v[2:3], v[2:3], 0
	v_mul_f64 v[36:37], v[44:45], v[36:37]
	s_waitcnt vmcnt(42) lgkmcnt(9)
	v_mul_f64 v[4:5], v[108:109], v[40:41]
	v_fmac_f64_e32 v[4:5], v[110:111], v[38:39]
	v_add_f64 v[2:3], v[2:3], v[4:5]
	buffer_load_dword v209, off, s[0:3], 0 offset:292
	buffer_load_dword v208, off, s[0:3], 0 offset:288
	;; [unrolled: 1-line block ×36, first 2 shown]
	s_waitcnt vmcnt(62) lgkmcnt(8)
	v_mul_f64 v[6:7], v[112:113], v[158:159]
	s_waitcnt lgkmcnt(6)
	v_mul_f64 v[10:11], v[170:171], v[52:53]
	v_fmac_f64_e32 v[10:11], v[172:173], v[54:55]
	v_mul_f64 v[40:41], v[110:111], v[40:41]
	v_mul_f64 v[8:9], v[166:167], v[56:57]
	v_fma_f64 v[108:109], v[108:109], v[38:39], -v[40:41]
	s_waitcnt lgkmcnt(4)
	v_mul_f64 v[14:15], v[182:183], v[198:199]
	v_mul_f64 v[110:111], v[114:115], v[158:159]
	v_fmac_f64_e32 v[14:15], v[184:185], v[60:61]
	v_mul_f64 v[52:53], v[172:173], v[52:53]
	v_mul_f64 v[12:13], v[178:179], v[62:63]
	s_waitcnt lgkmcnt(2)
	v_mul_f64 v[18:19], v[190:191], v[64:65]
	s_waitcnt vmcnt(59)
	v_mul_f64 v[16:17], v[186:187], v[70:71]
	s_waitcnt vmcnt(57) lgkmcnt(1)
	v_mul_f64 v[20:21], v[194:195], v[68:69]
	s_waitcnt vmcnt(55)
	v_fmac_f64_e32 v[6:7], v[114:115], v[78:79]
	v_add_f64 v[2:3], v[2:3], v[6:7]
	s_waitcnt vmcnt(53)
	v_fmac_f64_e32 v[8:9], v[168:169], v[76:77]
	v_add_f64 v[2:3], v[2:3], v[8:9]
	;; [unrolled: 3-line block ×3, first 2 shown]
	v_add_f64 v[2:3], v[2:3], v[12:13]
	s_waitcnt vmcnt(49)
	v_fmac_f64_e32 v[16:17], v[188:189], v[72:73]
	v_add_f64 v[2:3], v[2:3], v[14:15]
	s_waitcnt vmcnt(48)
	v_fmac_f64_e32 v[18:19], v[192:193], v[66:67]
	v_add_f64 v[2:3], v[2:3], v[16:17]
	v_add_f64 v[2:3], v[2:3], v[18:19]
	s_waitcnt vmcnt(42)
	v_fmac_f64_e32 v[20:21], v[196:197], v[116:117]
	v_add_f64 v[2:3], v[2:3], v[20:21]
	s_waitcnt vmcnt(0)
	v_pk_mov_b32 v[18:19], v[4:5], v[4:5] op_sel:[0,1]
	buffer_load_dword v5, off, s[0:3], 0 offset:468
	buffer_load_dword v4, off, s[0:3], 0 offset:464
	v_accvgpr_write_b32 a173, v19
	v_accvgpr_write_b32 a172, v18
	s_waitcnt vmcnt(0)
	v_pk_mov_b32 v[22:23], v[4:5], v[4:5] op_sel:[0,1]
	buffer_load_dword v5, off, s[0:3], 0 offset:460
	buffer_load_dword v4, off, s[0:3], 0 offset:456
	v_accvgpr_write_b32 a175, v23
	v_accvgpr_write_b32 a174, v22
	;; [unrolled: 6-line block ×12, first 2 shown]
	s_waitcnt vmcnt(0)
	v_pk_mov_b32 v[164:165], v[4:5], v[4:5] op_sel:[0,1]
	buffer_load_dword v5, off, s[0:3], 0 offset:564
	buffer_load_dword v4, off, s[0:3], 0 offset:560
	s_waitcnt vmcnt(0)
	v_pk_mov_b32 v[174:175], v[4:5], v[4:5] op_sel:[0,1]
	buffer_load_dword v151, off, s[0:3], 0 offset:556
	buffer_load_dword v150, off, s[0:3], 0 offset:552
	buffer_load_dword v153, off, s[0:3], 0 offset:548
	buffer_load_dword v152, off, s[0:3], 0 offset:544
	buffer_load_dword v5, off, s[0:3], 0 offset:604
	buffer_load_dword v4, off, s[0:3], 0 offset:600
	buffer_load_dword v35, off, s[0:3], 0 offset:596
	buffer_load_dword v34, off, s[0:3], 0 offset:592
	buffer_load_dword v155, off, s[0:3], 0 offset:588
	buffer_load_dword v154, off, s[0:3], 0 offset:584
	buffer_load_dword v157, off, s[0:3], 0 offset:580
	buffer_load_dword v156, off, s[0:3], 0 offset:576
	ds_read_b128 v[202:205], v1 offset:1168
	ds_read_b128 v[214:217], v1 offset:1184
	;; [unrolled: 1-line block ×14, first 2 shown]
	s_waitcnt lgkmcnt(4)
	v_mul_f64 v[8:9], v[246:247], v[94:95]
	ds_read_b128 v[130:133], v1 offset:1392
	ds_read_b128 v[126:129], v1 offset:1408
	v_fmac_f64_e32 v[8:9], v[248:249], v[96:97]
	s_waitcnt lgkmcnt(5)
	v_mul_f64 v[12:13], v[146:147], v[14:15]
	v_fmac_f64_e32 v[12:13], v[148:149], v[16:17]
	s_waitcnt lgkmcnt(4)
	v_mul_f64 v[16:17], v[142:143], v[18:19]
	;; [unrolled: 3-line block ×5, first 2 shown]
	ds_read_b128 v[122:125], v1 offset:1424
	v_fmac_f64_e32 v[28:29], v[132:133], v[118:119]
	ds_read_b128 v[118:121], v1 offset:1440
	s_waitcnt lgkmcnt(2)
	v_mul_f64 v[32:33], v[126:127], v[160:161]
	v_fmac_f64_e32 v[32:33], v[128:129], v[162:163]
	v_accvgpr_write_b32 a193, v175
	v_accvgpr_write_b32 a192, v174
	v_mul_f64 v[94:95], v[248:249], v[94:95]
	s_waitcnt vmcnt(6)
	v_pk_mov_b32 v[210:211], v[4:5], v[4:5] op_sel:[0,1]
	v_mul_f64 v[4:5], v[46:47], v[80:81]
	v_fmac_f64_e32 v[4:5], v[48:49], v[82:83]
	v_add_f64 v[2:3], v[2:3], v[4:5]
	v_mul_f64 v[4:5], v[202:203], v[206:207]
	v_fmac_f64_e32 v[4:5], v[204:205], v[208:209]
	v_add_f64 v[2:3], v[2:3], v[4:5]
	;; [unrolled: 3-line block ×10, first 2 shown]
	v_add_f64 v[10:11], v[6:7], v[8:9]
	v_add_f64 v[14:15], v[10:11], v[12:13]
	;; [unrolled: 1-line block ×7, first 2 shown]
	ds_read_b128 v[30:33], v1 offset:1456
	s_waitcnt lgkmcnt(2)
	v_mul_f64 v[4:5], v[122:123], v[150:151]
	v_fma_f64 v[26:27], v[42:43], v[176:177], -v[36:37]
	v_fmac_f64_e32 v[4:5], v[124:125], v[152:153]
	s_waitcnt lgkmcnt(1)
	v_mul_f64 v[42:43], v[118:119], v[164:165]
	v_add_f64 v[4:5], v[160:161], v[4:5]
	v_fmac_f64_e32 v[42:43], v[120:121], v[174:175]
	v_add_f64 v[4:5], v[4:5], v[42:43]
	s_waitcnt vmcnt(2) lgkmcnt(0)
	v_mul_f64 v[42:43], v[30:31], v[154:155]
	s_waitcnt vmcnt(0)
	v_fmac_f64_e32 v[42:43], v[32:33], v[156:157]
	v_pk_mov_b32 v[36:37], v[164:165], v[164:165] op_sel:[0,1]
	v_add_f64 v[4:5], v[4:5], v[42:43]
	ds_read_b128 v[42:45], v1 offset:1472
	ds_read_b128 v[38:41], v1 offset:1488
	buffer_load_dword v158, off, s[0:3], 0 offset:632
	buffer_load_dword v163, off, s[0:3], 0 offset:620
	;; [unrolled: 1-line block ×5, first 2 shown]
	v_mul_f64 v[8:9], v[168:169], v[56:57]
	v_fma_f64 v[18:19], v[166:167], v[76:77], -v[8:9]
	buffer_load_dword v166, off, s[0:3], 0 offset:624
	buffer_load_dword v159, off, s[0:3], 0 offset:636
	;; [unrolled: 1-line block ×12, first 2 shown]
	v_mul_f64 v[12:13], v[180:181], v[62:63]
	v_fma_f64 v[14:15], v[170:171], v[54:55], -v[52:53]
	v_fma_f64 v[12:13], v[178:179], v[74:75], -v[12:13]
	buffer_load_dword v170, off, s[0:3], 0 offset:688
	buffer_load_dword v179, off, s[0:3], 0 offset:684
	buffer_load_dword v178, off, s[0:3], 0 offset:680
	buffer_load_dword v181, off, s[0:3], 0 offset:676
	buffer_load_dword v180, off, s[0:3], 0 offset:672
	buffer_load_dword v169, off, s[0:3], 0 offset:700
	buffer_load_dword v171, off, s[0:3], 0 offset:692
	v_mul_f64 v[52:53], v[184:185], v[198:199]
	v_fma_f64 v[10:11], v[182:183], v[60:61], -v[52:53]
	buffer_load_dword v183, off, s[0:3], 0 offset:716
	buffer_load_dword v182, off, s[0:3], 0 offset:712
	;; [unrolled: 1-line block ×4, first 2 shown]
	v_mul_f64 v[52:53], v[188:189], v[70:71]
	v_mul_f64 v[20:21], v[192:193], v[64:65]
	buffer_load_dword v188, off, s[0:3], 0 offset:728
	v_fma_f64 v[20:21], v[190:191], v[66:67], -v[20:21]
	buffer_load_dword v190, off, s[0:3], 0 offset:720
	buffer_load_dword v189, off, s[0:3], 0 offset:732
	;; [unrolled: 1-line block ×3, first 2 shown]
	v_fma_f64 v[8:9], v[186:187], v[72:73], -v[52:53]
	v_mul_f64 v[52:53], v[196:197], v[68:69]
	v_fma_f64 v[6:7], v[194:195], v[116:117], -v[52:53]
	buffer_load_dword v187, off, s[0:3], 0 offset:764
	buffer_load_dword v193, off, s[0:3], 0 offset:748
	;; [unrolled: 1-line block ×12, first 2 shown]
	v_mul_f64 v[24:25], v[48:49], v[80:81]
	v_accvgpr_write_b32 a194, v210
	v_fma_f64 v[24:25], v[46:47], v[82:83], -v[24:25]
	v_mul_f64 v[46:47], v[204:205], v[206:207]
	s_waitcnt lgkmcnt(1)
	v_mul_f64 v[16:17], v[42:43], v[210:211]
	v_accvgpr_write_b32 a195, v211
	v_fma_f64 v[2:3], v[202:203], v[208:209], -v[46:47]
	buffer_load_dword v204, off, s[0:3], 0 offset:792
	buffer_load_dword v206, off, s[0:3], 0 offset:784
	;; [unrolled: 1-line block ×12, first 2 shown]
	v_fmac_f64_e32 v[16:17], v[44:45], v[34:35]
	v_add_f64 v[4:5], v[4:5], v[16:17]
	v_mul_f64 v[16:17], v[216:217], v[84:85]
	v_fma_f64 v[16:17], v[214:215], v[86:87], -v[16:17]
	buffer_load_dword v215, off, s[0:3], 0 offset:844
	buffer_load_dword v214, off, s[0:3], 0 offset:840
	;; [unrolled: 1-line block ×4, first 2 shown]
	ds_read_b128 v[46:49], v1 offset:1504
	v_mul_f64 v[62:63], v[224:225], v[250:251]
	v_mul_f64 v[58:59], v[228:229], v[58:59]
	;; [unrolled: 1-line block ×3, first 2 shown]
	v_fma_f64 v[58:59], v[226:227], v[200:201], -v[58:59]
	v_fma_f64 v[200:201], v[230:231], v[102:103], -v[70:71]
	v_mul_f64 v[82:83], v[240:241], v[88:89]
	v_fma_f64 v[228:229], v[238:239], v[92:93], -v[82:83]
	v_fma_f64 v[22:23], v[112:113], v[78:79], -v[110:111]
	v_mul_f64 v[88:89], v[244:245], v[90:91]
	ds_read_b128 v[90:93], v1 offset:1664
	v_fma_f64 v[250:251], v[242:243], v[98:99], -v[88:89]
	ds_read_b128 v[70:73], v1 offset:1600
	ds_read_b128 v[82:85], v1 offset:1648
	s_waitcnt vmcnt(57) lgkmcnt(4)
	v_mul_f64 v[28:29], v[38:39], v[162:163]
	s_waitcnt vmcnt(55)
	v_fmac_f64_e32 v[28:29], v[40:41], v[164:165]
	v_add_f64 v[4:5], v[4:5], v[28:29]
	v_mul_f64 v[28:29], v[220:221], v[254:255]
	v_fma_f64 v[28:29], v[218:219], v[50:51], -v[28:29]
	ds_read_b128 v[50:53], v1 offset:1520
	s_waitcnt vmcnt(53) lgkmcnt(4)
	v_mul_f64 v[54:55], v[46:47], v[158:159]
	s_waitcnt vmcnt(52)
	v_fmac_f64_e32 v[54:55], v[48:49], v[166:167]
	v_add_f64 v[4:5], v[4:5], v[54:55]
	ds_read_b128 v[54:57], v1 offset:1536
	v_fma_f64 v[254:255], v[222:223], v[252:253], -v[62:63]
	ds_read_b128 v[220:223], v1 offset:1552
	s_waitcnt vmcnt(48) lgkmcnt(2)
	v_mul_f64 v[62:63], v[50:51], v[174:175]
	s_waitcnt vmcnt(46)
	v_fmac_f64_e32 v[62:63], v[52:53], v[176:177]
	v_add_f64 v[4:5], v[4:5], v[62:63]
	ds_read_b128 v[62:65], v1 offset:1568
	s_waitcnt lgkmcnt(2)
	v_mul_f64 v[66:67], v[54:55], v[160:161]
	s_waitcnt vmcnt(44)
	v_fmac_f64_e32 v[66:67], v[56:57], v[172:173]
	v_add_f64 v[4:5], v[4:5], v[66:67]
	s_waitcnt vmcnt(40) lgkmcnt(1)
	v_mul_f64 v[66:67], v[220:221], v[178:179]
	s_waitcnt vmcnt(38)
	v_fmac_f64_e32 v[66:67], v[222:223], v[180:181]
	v_add_f64 v[4:5], v[4:5], v[66:67]
	s_waitcnt vmcnt(37) lgkmcnt(0)
	v_mul_f64 v[66:67], v[62:63], v[168:169]
	s_waitcnt vmcnt(36)
	v_fmac_f64_e32 v[66:67], v[64:65], v[170:171]
	v_add_f64 v[4:5], v[4:5], v[66:67]
	ds_read_b128 v[66:69], v1 offset:1584
	s_waitcnt vmcnt(29)
	v_mul_f64 v[78:79], v[70:71], v[188:189]
	s_waitcnt vmcnt(28)
	v_fmac_f64_e32 v[78:79], v[72:73], v[190:191]
	v_fma_f64 v[252:253], v[246:247], v[96:97], -v[94:95]
	ds_read_b128 v[94:97], v1 offset:1696
	s_waitcnt lgkmcnt(1)
	v_mul_f64 v[74:75], v[66:67], v[182:183]
	v_fmac_f64_e32 v[74:75], v[68:69], v[184:185]
	v_add_f64 v[4:5], v[4:5], v[74:75]
	v_mul_f64 v[74:75], v[236:237], v[104:105]
	v_fma_f64 v[106:107], v[234:235], v[106:107], -v[74:75]
	ds_read_b128 v[74:77], v1 offset:1616
	v_add_f64 v[4:5], v[4:5], v[78:79]
	ds_read_b128 v[78:81], v1 offset:1632
	s_waitcnt vmcnt(25) lgkmcnt(1)
	v_mul_f64 v[86:87], v[74:75], v[192:193]
	s_waitcnt vmcnt(23)
	v_fmac_f64_e32 v[86:87], v[76:77], v[198:199]
	v_add_f64 v[4:5], v[4:5], v[86:87]
	s_waitcnt vmcnt(22) lgkmcnt(0)
	v_mul_f64 v[86:87], v[78:79], v[186:187]
	s_waitcnt vmcnt(20)
	v_fmac_f64_e32 v[86:87], v[80:81], v[196:197]
	v_add_f64 v[4:5], v[4:5], v[86:87]
	s_waitcnt vmcnt(18)
	v_mul_f64 v[86:87], v[82:83], v[194:195]
	s_waitcnt vmcnt(16)
	v_fmac_f64_e32 v[86:87], v[84:85], v[60:61]
	v_add_f64 v[4:5], v[4:5], v[86:87]
	ds_read_b128 v[86:89], v1 offset:1680
	s_waitcnt vmcnt(13)
	v_mul_f64 v[98:99], v[90:91], v[204:205]
	s_waitcnt vmcnt(12)
	v_fmac_f64_e32 v[98:99], v[92:93], v[206:207]
	v_add_f64 v[4:5], v[4:5], v[98:99]
	s_waitcnt vmcnt(9) lgkmcnt(0)
	v_mul_f64 v[98:99], v[86:87], v[210:211]
	s_waitcnt vmcnt(7)
	v_fmac_f64_e32 v[98:99], v[88:89], v[212:213]
	v_add_f64 v[4:5], v[4:5], v[98:99]
	s_waitcnt vmcnt(5)
	v_mul_f64 v[98:99], v[94:95], v[202:203]
	s_waitcnt vmcnt(4)
	v_fmac_f64_e32 v[98:99], v[96:97], v[208:209]
	v_add_f64 v[4:5], v[4:5], v[98:99]
	ds_read_b128 v[98:101], v1 offset:1712
	buffer_load_dword v218, off, s[0:3], 0 offset:856
	buffer_load_dword v219, off, s[0:3], 0 offset:860
	;; [unrolled: 1-line block ×4, first 2 shown]
	s_waitcnt vmcnt(6) lgkmcnt(0)
	v_mul_f64 v[102:103], v[98:99], v[214:215]
	s_waitcnt vmcnt(4)
	v_fmac_f64_e32 v[102:103], v[100:101], v[216:217]
	v_add_f64 v[4:5], v[4:5], v[102:103]
	ds_read_b128 v[102:105], v1 offset:1728
	buffer_load_dword v233, off, s[0:3], 0 offset:876
	buffer_load_dword v232, off, s[0:3], 0 offset:872
	;; [unrolled: 1-line block ×4, first 2 shown]
	ds_read_b128 v[224:227], v1 offset:1744
	buffer_load_dword v236, off, s[0:3], 0 offset:888
	buffer_load_dword v237, off, s[0:3], 0 offset:892
	;; [unrolled: 1-line block ×4, first 2 shown]
	s_waitcnt vmcnt(10) lgkmcnt(1)
	v_mul_f64 v[110:111], v[102:103], v[218:219]
	s_waitcnt vmcnt(8)
	v_fmac_f64_e32 v[110:111], v[104:105], v[230:231]
	v_add_f64 v[4:5], v[4:5], v[110:111]
	s_waitcnt vmcnt(6) lgkmcnt(0)
	v_mul_f64 v[110:111], v[224:225], v[232:233]
	s_waitcnt vmcnt(4)
	v_fmac_f64_e32 v[110:111], v[226:227], v[234:235]
	v_add_f64 v[4:5], v[4:5], v[110:111]
	ds_read_b128 v[110:113], v1 offset:1760
	buffer_load_dword v243, off, s[0:3], 0 offset:908
	buffer_load_dword v242, off, s[0:3], 0 offset:904
	;; [unrolled: 1-line block ×4, first 2 shown]
	s_waitcnt vmcnt(6) lgkmcnt(0)
	v_mul_f64 v[114:115], v[110:111], v[236:237]
	s_waitcnt vmcnt(4)
	v_fmac_f64_e32 v[114:115], v[112:113], v[238:239]
	v_add_f64 v[4:5], v[4:5], v[114:115]
	ds_read_b128 v[114:117], v1 offset:1776
	buffer_load_dword v248, off, s[0:3], 0 offset:96
	buffer_load_dword v249, off, s[0:3], 0 offset:100
	;; [unrolled: 1-line block ×4, first 2 shown]
	s_waitcnt vmcnt(6) lgkmcnt(0)
	v_mul_f64 v[240:241], v[114:115], v[242:243]
	s_waitcnt vmcnt(4)
	v_fmac_f64_e32 v[240:241], v[116:117], v[244:245]
	v_add_f64 v[240:241], v[4:5], v[240:241]
	v_add_f64 v[4:5], v[26:27], 0
	;; [unrolled: 1-line block ×19, first 2 shown]
	v_accvgpr_read_b32 v4, a168
	v_add_f64 v[254:255], v[2:3], v[228:229]
	v_accvgpr_read_b32 v5, a169
	v_accvgpr_read_b32 v6, a170
	v_add_f64 v[2:3], v[254:255], v[250:251]
	v_mul_f64 v[4:5], v[148:149], v[4:5]
	v_accvgpr_read_b32 v7, a171
	v_add_f64 v[2:3], v[2:3], v[252:253]
	v_fma_f64 v[4:5], v[146:147], v[6:7], -v[4:5]
	v_add_f64 v[2:3], v[2:3], v[4:5]
	v_accvgpr_read_b32 v4, a172
	v_accvgpr_read_b32 v5, a173
	v_accvgpr_read_b32 v6, a174
	v_mul_f64 v[4:5], v[144:145], v[4:5]
	v_accvgpr_read_b32 v7, a175
	v_fma_f64 v[4:5], v[142:143], v[6:7], -v[4:5]
	v_add_f64 v[2:3], v[2:3], v[4:5]
	v_accvgpr_read_b32 v4, a176
	v_accvgpr_read_b32 v5, a177
	v_accvgpr_read_b32 v6, a178
	v_mul_f64 v[4:5], v[140:141], v[4:5]
	v_accvgpr_read_b32 v7, a179
	;; [unrolled: 7-line block ×5, first 2 shown]
	v_fma_f64 v[4:5], v[126:127], v[6:7], -v[4:5]
	v_add_f64 v[2:3], v[2:3], v[4:5]
	v_mul_f64 v[4:5], v[124:125], v[150:151]
	v_fma_f64 v[4:5], v[122:123], v[152:153], -v[4:5]
	v_accvgpr_read_b32 v6, a192
	v_add_f64 v[2:3], v[2:3], v[4:5]
	v_mul_f64 v[4:5], v[120:121], v[36:37]
	v_accvgpr_read_b32 v7, a193
	v_fma_f64 v[4:5], v[118:119], v[6:7], -v[4:5]
	v_add_f64 v[2:3], v[2:3], v[4:5]
	v_mul_f64 v[4:5], v[32:33], v[154:155]
	v_fma_f64 v[4:5], v[30:31], v[156:157], -v[4:5]
	v_add_f64 v[2:3], v[2:3], v[4:5]
	v_accvgpr_read_b32 v4, a194
	v_accvgpr_read_b32 v5, a195
	v_mul_f64 v[4:5], v[44:45], v[4:5]
	v_fma_f64 v[4:5], v[42:43], v[34:35], -v[4:5]
	v_add_f64 v[2:3], v[2:3], v[4:5]
	v_mul_f64 v[4:5], v[40:41], v[162:163]
	v_fma_f64 v[4:5], v[38:39], v[164:165], -v[4:5]
	v_add_f64 v[2:3], v[2:3], v[4:5]
	v_mul_f64 v[4:5], v[48:49], v[158:159]
	v_fma_f64 v[4:5], v[46:47], v[166:167], -v[4:5]
	v_add_f64 v[2:3], v[2:3], v[4:5]
	v_mul_f64 v[4:5], v[52:53], v[174:175]
	v_fma_f64 v[4:5], v[50:51], v[176:177], -v[4:5]
	v_add_f64 v[2:3], v[2:3], v[4:5]
	v_mul_f64 v[4:5], v[56:57], v[160:161]
	v_fma_f64 v[4:5], v[54:55], v[172:173], -v[4:5]
	v_add_f64 v[2:3], v[2:3], v[4:5]
	v_mul_f64 v[4:5], v[222:223], v[178:179]
	v_fma_f64 v[4:5], v[220:221], v[180:181], -v[4:5]
	v_add_f64 v[2:3], v[2:3], v[4:5]
	v_mul_f64 v[4:5], v[64:65], v[168:169]
	v_fma_f64 v[4:5], v[62:63], v[170:171], -v[4:5]
	v_add_f64 v[2:3], v[2:3], v[4:5]
	v_mul_f64 v[4:5], v[68:69], v[182:183]
	v_fma_f64 v[4:5], v[66:67], v[184:185], -v[4:5]
	v_add_f64 v[2:3], v[2:3], v[4:5]
	v_mul_f64 v[4:5], v[72:73], v[188:189]
	v_fma_f64 v[4:5], v[70:71], v[190:191], -v[4:5]
	v_add_f64 v[2:3], v[2:3], v[4:5]
	v_mul_f64 v[4:5], v[76:77], v[192:193]
	v_fma_f64 v[4:5], v[74:75], v[198:199], -v[4:5]
	v_add_f64 v[2:3], v[2:3], v[4:5]
	v_mul_f64 v[4:5], v[80:81], v[186:187]
	v_fma_f64 v[4:5], v[78:79], v[196:197], -v[4:5]
	v_add_f64 v[2:3], v[2:3], v[4:5]
	v_mul_f64 v[4:5], v[84:85], v[194:195]
	v_fma_f64 v[4:5], v[82:83], v[60:61], -v[4:5]
	v_add_f64 v[2:3], v[2:3], v[4:5]
	v_mul_f64 v[4:5], v[92:93], v[204:205]
	v_fma_f64 v[4:5], v[90:91], v[206:207], -v[4:5]
	v_add_f64 v[2:3], v[2:3], v[4:5]
	v_mul_f64 v[4:5], v[88:89], v[210:211]
	v_fma_f64 v[4:5], v[86:87], v[212:213], -v[4:5]
	v_add_f64 v[2:3], v[2:3], v[4:5]
	v_mul_f64 v[4:5], v[96:97], v[202:203]
	v_fma_f64 v[4:5], v[94:95], v[208:209], -v[4:5]
	v_add_f64 v[2:3], v[2:3], v[4:5]
	v_mul_f64 v[4:5], v[100:101], v[214:215]
	v_fma_f64 v[4:5], v[98:99], v[216:217], -v[4:5]
	v_add_f64 v[2:3], v[2:3], v[4:5]
	v_mul_f64 v[4:5], v[104:105], v[218:219]
	v_fma_f64 v[4:5], v[102:103], v[230:231], -v[4:5]
	v_add_f64 v[2:3], v[2:3], v[4:5]
	v_mul_f64 v[4:5], v[226:227], v[232:233]
	v_fma_f64 v[4:5], v[224:225], v[234:235], -v[4:5]
	v_add_f64 v[2:3], v[2:3], v[4:5]
	v_mul_f64 v[4:5], v[112:113], v[236:237]
	v_fma_f64 v[4:5], v[110:111], v[238:239], -v[4:5]
	v_add_f64 v[2:3], v[2:3], v[4:5]
	v_mul_f64 v[4:5], v[116:117], v[242:243]
	v_fma_f64 v[4:5], v[114:115], v[244:245], -v[4:5]
	v_add_f64 v[2:3], v[2:3], v[4:5]
	s_waitcnt vmcnt(2)
	v_add_f64 v[2:3], v[248:249], -v[2:3]
	v_accvgpr_write_b32 a168, v0
	s_waitcnt vmcnt(0)
	v_add_f64 v[4:5], v[246:247], -v[240:241]
	buffer_store_dword v3, off, s[0:3], 0 offset:100
	buffer_store_dword v2, off, s[0:3], 0 offset:96
	;; [unrolled: 1-line block ×4, first 2 shown]
	s_and_saveexec_b64 s[4:5], vcc
	s_cbranch_execz .LBB55_341
; %bb.340:
	v_accvgpr_read_b32 v1, a163
	buffer_load_dword v2, v1, s[0:3], 0 offen
	buffer_load_dword v3, v1, s[0:3], 0 offen offset:4
	buffer_load_dword v4, v1, s[0:3], 0 offen offset:8
	;; [unrolled: 1-line block ×3, first 2 shown]
	v_mov_b32_e32 v1, 0
	v_accvgpr_read_b32 v6, a167
	buffer_store_dword v1, off, s[0:3], 0 offset:80
	buffer_store_dword v1, off, s[0:3], 0 offset:84
	;; [unrolled: 1-line block ×4, first 2 shown]
	s_waitcnt vmcnt(4)
	ds_write_b128 v6, v[2:5]
.LBB55_341:
	s_or_b64 exec, exec, s[4:5]
	v_mov_b32_e32 v142, 0
	s_waitcnt lgkmcnt(0)
	; wave barrier
	s_waitcnt lgkmcnt(0)
	buffer_load_dword v30, off, s[0:3], 0 offset:96
	buffer_load_dword v31, off, s[0:3], 0 offset:100
	;; [unrolled: 1-line block ×54, first 2 shown]
	ds_read_b128 v[114:117], v142 offset:976
	ds_read_b128 v[156:159], v142 offset:992
	;; [unrolled: 1-line block ×9, first 2 shown]
	buffer_load_dword v109, off, s[0:3], 0 offset:324
	buffer_load_dword v108, off, s[0:3], 0 offset:320
	;; [unrolled: 1-line block ×32, first 2 shown]
	s_waitcnt vmcnt(62) lgkmcnt(8)
	v_mul_f64 v[2:3], v[114:115], v[32:33]
	v_fmac_f64_e32 v[2:3], v[116:117], v[30:31]
	v_add_f64 v[2:3], v[2:3], 0
	v_mul_f64 v[32:33], v[116:117], v[32:33]
	s_waitcnt lgkmcnt(7)
	v_mul_f64 v[4:5], v[156:157], v[38:39]
	v_fmac_f64_e32 v[4:5], v[158:159], v[36:37]
	s_waitcnt lgkmcnt(6)
	v_mul_f64 v[6:7], v[166:167], v[34:35]
	v_add_f64 v[2:3], v[2:3], v[4:5]
	s_waitcnt lgkmcnt(4)
	v_mul_f64 v[10:11], v[174:175], v[40:41]
	v_fma_f64 v[254:255], v[114:115], v[30:31], -v[32:33]
	v_fmac_f64_e32 v[10:11], v[176:177], v[42:43]
	v_mul_f64 v[38:39], v[158:159], v[38:39]
	v_mul_f64 v[8:9], v[170:171], v[44:45]
	s_waitcnt lgkmcnt(2)
	v_mul_f64 v[14:15], v[182:183], v[48:49]
	v_fmac_f64_e32 v[14:15], v[184:185], v[50:51]
	v_mul_f64 v[12:13], v[178:179], v[56:57]
	s_waitcnt lgkmcnt(1)
	v_mul_f64 v[16:17], v[186:187], v[52:53]
	s_waitcnt vmcnt(60)
	v_fmac_f64_e32 v[6:7], v[168:169], v[62:63]
	v_add_f64 v[2:3], v[2:3], v[6:7]
	s_waitcnt vmcnt(58)
	v_fmac_f64_e32 v[8:9], v[172:173], v[60:61]
	v_add_f64 v[2:3], v[2:3], v[8:9]
	;; [unrolled: 3-line block ×3, first 2 shown]
	v_add_f64 v[2:3], v[2:3], v[12:13]
	v_add_f64 v[2:3], v[2:3], v[14:15]
	s_waitcnt vmcnt(54)
	v_fmac_f64_e32 v[16:17], v[188:189], v[54:55]
	v_add_f64 v[2:3], v[2:3], v[16:17]
	s_waitcnt vmcnt(50) lgkmcnt(0)
	v_mul_f64 v[4:5], v[190:191], v[46:47]
	v_fmac_f64_e32 v[4:5], v[192:193], v[64:65]
	v_add_f64 v[2:3], v[2:3], v[4:5]
	s_waitcnt vmcnt(0)
	v_pk_mov_b32 v[14:15], v[0:1], v[0:1] op_sel:[0,1]
	buffer_load_dword v1, off, s[0:3], 0 offset:452
	buffer_load_dword v0, off, s[0:3], 0 offset:448
	v_accvgpr_write_b32 a171, v15
	v_accvgpr_write_b32 a170, v14
	s_waitcnt vmcnt(0)
	v_pk_mov_b32 v[18:19], v[0:1], v[0:1] op_sel:[0,1]
	buffer_load_dword v95, off, s[0:3], 0 offset:444
	buffer_load_dword v94, off, s[0:3], 0 offset:440
	;; [unrolled: 1-line block ×6, first 2 shown]
	v_accvgpr_write_b32 a173, v19
	v_accvgpr_write_b32 a172, v18
	s_waitcnt vmcnt(0)
	v_pk_mov_b32 v[22:23], v[0:1], v[0:1] op_sel:[0,1]
	buffer_load_dword v1, off, s[0:3], 0 offset:484
	buffer_load_dword v0, off, s[0:3], 0 offset:480
	v_accvgpr_write_b32 a179, v23
	v_accvgpr_write_b32 a178, v22
	s_waitcnt vmcnt(0)
	v_pk_mov_b32 v[24:25], v[0:1], v[0:1] op_sel:[0,1]
	buffer_load_dword v1, off, s[0:3], 0 offset:476
	buffer_load_dword v0, off, s[0:3], 0 offset:472
	v_accvgpr_write_b32 a181, v25
	v_accvgpr_write_b32 a180, v24
	s_waitcnt vmcnt(0)
	v_pk_mov_b32 v[20:21], v[0:1], v[0:1] op_sel:[0,1]
	buffer_load_dword v1, off, s[0:3], 0 offset:468
	buffer_load_dword v0, off, s[0:3], 0 offset:464
	v_accvgpr_write_b32 a175, v21
	v_accvgpr_write_b32 a174, v20
	s_waitcnt vmcnt(0)
	v_pk_mov_b32 v[26:27], v[0:1], v[0:1] op_sel:[0,1]
	buffer_load_dword v1, off, s[0:3], 0 offset:524
	buffer_load_dword v0, off, s[0:3], 0 offset:520
	v_accvgpr_write_b32 a177, v27
	v_accvgpr_write_b32 a176, v26
	s_waitcnt vmcnt(0)
	v_pk_mov_b32 v[118:119], v[0:1], v[0:1] op_sel:[0,1]
	buffer_load_dword v1, off, s[0:3], 0 offset:516
	buffer_load_dword v0, off, s[0:3], 0 offset:512
	v_accvgpr_write_b32 a187, v119
	v_accvgpr_write_b32 a186, v118
	s_waitcnt vmcnt(0)
	v_pk_mov_b32 v[120:121], v[0:1], v[0:1] op_sel:[0,1]
	buffer_load_dword v1, off, s[0:3], 0 offset:508
	buffer_load_dword v0, off, s[0:3], 0 offset:504
	v_accvgpr_write_b32 a189, v121
	v_accvgpr_write_b32 a188, v120
	s_waitcnt vmcnt(0)
	v_pk_mov_b32 v[138:139], v[0:1], v[0:1] op_sel:[0,1]
	buffer_load_dword v1, off, s[0:3], 0 offset:500
	buffer_load_dword v0, off, s[0:3], 0 offset:496
	v_accvgpr_write_b32 a183, v139
	v_accvgpr_write_b32 a182, v138
	s_waitcnt vmcnt(0)
	v_pk_mov_b32 v[140:141], v[0:1], v[0:1] op_sel:[0,1]
	buffer_load_dword v1, off, s[0:3], 0 offset:556
	buffer_load_dword v0, off, s[0:3], 0 offset:552
	v_accvgpr_write_b32 a185, v141
	v_accvgpr_write_b32 a184, v140
	s_waitcnt vmcnt(0)
	v_pk_mov_b32 v[160:161], v[0:1], v[0:1] op_sel:[0,1]
	buffer_load_dword v1, off, s[0:3], 0 offset:548
	buffer_load_dword v0, off, s[0:3], 0 offset:544
	v_accvgpr_write_b32 a195, v161
	v_accvgpr_write_b32 a194, v160
	s_waitcnt vmcnt(0)
	v_pk_mov_b32 v[162:163], v[0:1], v[0:1] op_sel:[0,1]
	buffer_load_dword v1, off, s[0:3], 0 offset:540
	buffer_load_dword v0, off, s[0:3], 0 offset:536
	v_accvgpr_write_b32 a197, v163
	v_accvgpr_write_b32 a196, v162
	s_waitcnt vmcnt(0)
	v_pk_mov_b32 v[154:155], v[0:1], v[0:1] op_sel:[0,1]
	buffer_load_dword v1, off, s[0:3], 0 offset:532
	buffer_load_dword v0, off, s[0:3], 0 offset:528
	ds_read_b128 v[194:197], v142 offset:1120
	ds_read_b128 v[198:201], v142 offset:1136
	;; [unrolled: 1-line block ×8, first 2 shown]
	s_waitcnt lgkmcnt(7)
	v_mul_f64 v[4:5], v[194:195], v[70:71]
	v_fmac_f64_e32 v[4:5], v[196:197], v[72:73]
	v_add_f64 v[2:3], v[2:3], v[4:5]
	s_waitcnt lgkmcnt(6)
	v_mul_f64 v[4:5], v[198:199], v[66:67]
	v_fmac_f64_e32 v[4:5], v[200:201], v[68:69]
	v_add_f64 v[2:3], v[2:3], v[4:5]
	;; [unrolled: 4-line block ×8, first 2 shown]
	v_accvgpr_write_b32 a191, v155
	v_accvgpr_write_b32 a190, v154
	s_waitcnt vmcnt(0)
	v_pk_mov_b32 v[164:165], v[0:1], v[0:1] op_sel:[0,1]
	buffer_load_dword v1, off, s[0:3], 0 offset:588
	buffer_load_dword v153, off, s[0:3], 0 offset:572
	;; [unrolled: 1-line block ×8, first 2 shown]
	ds_read_b128 v[230:233], v142 offset:1248
	ds_read_b128 v[234:237], v142 offset:1264
	;; [unrolled: 1-line block ×6, first 2 shown]
	s_waitcnt lgkmcnt(5)
	v_mul_f64 v[4:5], v[230:231], v[102:103]
	v_fmac_f64_e32 v[4:5], v[232:233], v[106:107]
	v_add_f64 v[2:3], v[2:3], v[4:5]
	s_waitcnt lgkmcnt(4)
	v_mul_f64 v[4:5], v[234:235], v[78:79]
	v_fmac_f64_e32 v[4:5], v[236:237], v[80:81]
	v_add_f64 v[2:3], v[2:3], v[4:5]
	s_waitcnt lgkmcnt(3)
	v_mul_f64 v[4:5], v[238:239], v[82:83]
	ds_read_b128 v[134:137], v142 offset:1344
	ds_read_b128 v[130:133], v142 offset:1360
	v_fmac_f64_e32 v[4:5], v[240:241], v[84:85]
	v_add_f64 v[2:3], v[2:3], v[4:5]
	s_waitcnt lgkmcnt(4)
	v_mul_f64 v[4:5], v[242:243], v[86:87]
	ds_read_b128 v[126:129], v142 offset:1376
	ds_read_b128 v[122:125], v142 offset:1392
	v_fmac_f64_e32 v[4:5], v[244:245], v[88:89]
	s_waitcnt lgkmcnt(5)
	v_mul_f64 v[8:9], v[246:247], v[94:95]
	v_add_f64 v[6:7], v[2:3], v[4:5]
	v_fmac_f64_e32 v[8:9], v[248:249], v[96:97]
	s_waitcnt lgkmcnt(4)
	v_mul_f64 v[12:13], v[144:145], v[14:15]
	v_add_f64 v[10:11], v[6:7], v[8:9]
	;; [unrolled: 4-line block ×5, first 2 shown]
	v_fmac_f64_e32 v[28:29], v[128:129], v[140:141]
	ds_read_b128 v[138:141], v142 offset:1408
	v_add_f64 v[26:27], v[26:27], v[28:29]
	s_waitcnt lgkmcnt(1)
	v_mul_f64 v[28:29], v[122:123], v[118:119]
	v_fmac_f64_e32 v[28:29], v[124:125], v[120:121]
	ds_read_b128 v[118:121], v142 offset:1424
	v_add_f64 v[26:27], v[26:27], v[28:29]
	s_waitcnt lgkmcnt(1)
	v_mul_f64 v[28:29], v[138:139], v[154:155]
	v_fmac_f64_e32 v[28:29], v[140:141], v[164:165]
	v_accvgpr_write_b32 a193, v165
	s_waitcnt lgkmcnt(0)
	v_mul_f64 v[114:115], v[118:119], v[160:161]
	v_add_f64 v[154:155], v[26:27], v[28:29]
	v_fmac_f64_e32 v[114:115], v[120:121], v[162:163]
	v_accvgpr_write_b32 a192, v164
	ds_read_b128 v[30:33], v142 offset:1440
	v_add_f64 v[114:115], v[154:155], v[114:115]
	buffer_load_dword v155, off, s[0:3], 0 offset:620
	buffer_load_dword v154, off, s[0:3], 0 offset:616
	v_fma_f64 v[26:27], v[156:157], v[36:37], -v[38:39]
	buffer_load_dword v157, off, s[0:3], 0 offset:612
	buffer_load_dword v156, off, s[0:3], 0 offset:608
	;; [unrolled: 1-line block ×6, first 2 shown]
	v_mul_f64 v[4:5], v[168:169], v[34:35]
	v_fma_f64 v[24:25], v[166:167], v[62:63], -v[4:5]
	buffer_load_dword v158, off, s[0:3], 0 offset:648
	buffer_load_dword v163, off, s[0:3], 0 offset:636
	;; [unrolled: 1-line block ×5, first 2 shown]
	v_mul_f64 v[34:35], v[172:173], v[44:45]
	v_fma_f64 v[60:61], v[170:171], v[60:61], -v[34:35]
	ds_read_b128 v[34:37], v142 offset:1456
	buffer_load_dword v168, off, s[0:3], 0 offset:640
	buffer_load_dword v159, off, s[0:3], 0 offset:652
	;; [unrolled: 1-line block ×3, first 2 shown]
	v_mul_f64 v[8:9], v[192:193], v[46:47]
	v_fma_f64 v[18:19], v[190:191], v[64:65], -v[8:9]
	v_mul_f64 v[12:13], v[200:201], v[66:67]
	v_mul_f64 v[16:17], v[208:209], v[92:93]
	v_fma_f64 v[12:13], v[198:199], v[68:69], -v[12:13]
	v_fma_f64 v[16:17], v[206:207], v[76:77], -v[16:17]
	v_mul_f64 v[46:47], v[216:217], v[250:251]
	v_fma_f64 v[252:253], v[214:215], v[252:253], -v[46:47]
	v_mul_f64 v[66:67], v[224:225], v[110:111]
	;; [unrolled: 2-line block ×3, first 2 shown]
	v_fma_f64 v[228:229], v[226:227], v[98:99], -v[66:67]
	s_waitcnt vmcnt(21) lgkmcnt(1)
	v_mul_f64 v[38:39], v[30:31], v[152:153]
	v_mul_f64 v[78:79], v[236:237], v[78:79]
	s_waitcnt vmcnt(19)
	v_fmac_f64_e32 v[38:39], v[32:33], v[150:151]
	s_waitcnt vmcnt(18) lgkmcnt(0)
	v_mul_f64 v[44:45], v[34:35], v[0:1]
	v_add_f64 v[38:39], v[114:115], v[38:39]
	s_waitcnt vmcnt(16)
	v_fmac_f64_e32 v[44:45], v[36:37], v[148:149]
	v_add_f64 v[62:63], v[38:39], v[44:45]
	v_mul_f64 v[38:39], v[176:177], v[40:41]
	v_fma_f64 v[170:171], v[174:175], v[42:43], -v[38:39]
	v_mul_f64 v[38:39], v[180:181], v[56:57]
	v_fma_f64 v[114:115], v[178:179], v[58:59], -v[38:39]
	buffer_load_dword v59, off, s[0:3], 0 offset:684
	buffer_load_dword v173, off, s[0:3], 0 offset:668
	buffer_load_dword v172, off, s[0:3], 0 offset:664
	buffer_load_dword v177, off, s[0:3], 0 offset:660
	buffer_load_dword v176, off, s[0:3], 0 offset:656
	buffer_load_dword v58, off, s[0:3], 0 offset:680
	buffer_load_dword v175, off, s[0:3], 0 offset:676
	buffer_load_dword v174, off, s[0:3], 0 offset:672
	ds_read_b128 v[38:41], v142 offset:1472
	buffer_load_dword v179, off, s[0:3], 0 offset:700
	buffer_load_dword v178, off, s[0:3], 0 offset:696
	;; [unrolled: 1-line block ×4, first 2 shown]
	v_mul_f64 v[42:43], v[184:185], v[48:49]
	v_fma_f64 v[116:117], v[182:183], v[50:51], -v[42:43]
	v_mul_f64 v[42:43], v[188:189], v[52:53]
	v_fma_f64 v[22:23], v[186:187], v[54:55], -v[42:43]
	buffer_load_dword v183, off, s[0:3], 0 offset:716
	buffer_load_dword v182, off, s[0:3], 0 offset:712
	;; [unrolled: 1-line block ×9, first 2 shown]
	v_mul_f64 v[42:43], v[196:197], v[70:71]
	buffer_load_dword v192, off, s[0:3], 0 offset:736
	buffer_load_dword v191, off, s[0:3], 0 offset:748
	;; [unrolled: 1-line block ×3, first 2 shown]
	v_fma_f64 v[14:15], v[194:195], v[72:73], -v[42:43]
	buffer_load_dword v195, off, s[0:3], 0 offset:764
	buffer_load_dword v194, off, s[0:3], 0 offset:760
	;; [unrolled: 1-line block ×4, first 2 shown]
	v_mul_f64 v[42:43], v[204:205], v[100:101]
	v_fma_f64 v[10:11], v[202:203], v[104:105], -v[42:43]
	buffer_load_dword v201, off, s[0:3], 0 offset:780
	buffer_load_dword v200, off, s[0:3], 0 offset:776
	;; [unrolled: 1-line block ×16, first 2 shown]
	ds_read_b128 v[42:45], v142 offset:1488
	ds_read_b128 v[46:49], v142 offset:1504
	v_mul_f64 v[54:55], v[220:221], v[74:75]
	v_fma_f64 v[250:251], v[218:219], v[108:109], -v[54:55]
	ds_read_b128 v[54:57], v142 offset:1536
	ds_read_b128 v[220:223], v142 offset:1552
	;; [unrolled: 1-line block ×3, first 2 shown]
	v_mul_f64 v[70:71], v[232:233], v[102:103]
	v_fma_f64 v[6:7], v[230:231], v[106:107], -v[70:71]
	v_fma_f64 v[4:5], v[234:235], v[80:81], -v[78:79]
	v_mul_f64 v[82:83], v[240:241], v[82:83]
	v_fma_f64 v[2:3], v[238:239], v[84:85], -v[82:83]
	ds_read_b128 v[82:85], v142 offset:1648
	buffer_load_dword v214, off, s[0:3], 0 offset:840
	ds_read_b128 v[70:73], v142 offset:1600
	ds_read_b128 v[78:81], v142 offset:1632
	s_waitcnt vmcnt(55) lgkmcnt(8)
	v_mul_f64 v[50:51], v[38:39], v[160:161]
	s_waitcnt lgkmcnt(7)
	v_mul_f64 v[52:53], v[42:43], v[154:155]
	s_waitcnt vmcnt(53)
	v_fmac_f64_e32 v[50:51], v[40:41], v[164:165]
	v_add_f64 v[50:51], v[62:63], v[50:51]
	v_fmac_f64_e32 v[52:53], v[44:45], v[156:157]
	v_add_f64 v[50:51], v[50:51], v[52:53]
	s_waitcnt vmcnt(50) lgkmcnt(6)
	v_mul_f64 v[52:53], v[46:47], v[162:163]
	s_waitcnt vmcnt(48)
	v_fmac_f64_e32 v[52:53], v[48:49], v[166:167]
	v_add_f64 v[62:63], v[50:51], v[52:53]
	ds_read_b128 v[50:53], v142 offset:1520
	s_waitcnt vmcnt(46) lgkmcnt(0)
	v_mul_f64 v[64:65], v[50:51], v[158:159]
	s_waitcnt vmcnt(45)
	v_fmac_f64_e32 v[64:65], v[52:53], v[168:169]
	v_add_f64 v[20:21], v[62:63], v[64:65]
	s_waitcnt vmcnt(42)
	v_mul_f64 v[62:63], v[54:55], v[172:173]
	s_waitcnt vmcnt(40)
	v_fmac_f64_e32 v[62:63], v[56:57], v[176:177]
	v_add_f64 v[20:21], v[20:21], v[62:63]
	s_waitcnt vmcnt(39)
	v_mul_f64 v[62:63], v[220:221], v[58:59]
	s_waitcnt vmcnt(37)
	v_fmac_f64_e32 v[62:63], v[222:223], v[174:175]
	v_add_f64 v[20:21], v[20:21], v[62:63]
	ds_read_b128 v[62:65], v142 offset:1568
	s_waitcnt vmcnt(35) lgkmcnt(0)
	v_mul_f64 v[74:75], v[62:63], v[178:179]
	s_waitcnt vmcnt(33)
	v_fmac_f64_e32 v[74:75], v[64:65], v[180:181]
	v_add_f64 v[20:21], v[20:21], v[74:75]
	s_waitcnt vmcnt(31)
	v_mul_f64 v[74:75], v[66:67], v[182:183]
	s_waitcnt vmcnt(29)
	v_fmac_f64_e32 v[74:75], v[68:69], v[186:187]
	v_add_f64 v[20:21], v[20:21], v[74:75]
	s_waitcnt vmcnt(27)
	v_mul_f64 v[74:75], v[70:71], v[184:185]
	s_waitcnt vmcnt(25)
	v_fmac_f64_e32 v[74:75], v[72:73], v[188:189]
	v_add_f64 v[20:21], v[20:21], v[74:75]
	ds_read_b128 v[74:77], v142 offset:1616
	s_waitcnt vmcnt(19)
	v_mul_f64 v[28:29], v[78:79], v[194:195]
	s_waitcnt vmcnt(17)
	v_fmac_f64_e32 v[28:29], v[80:81], v[196:197]
	s_waitcnt lgkmcnt(0)
	v_mul_f64 v[90:91], v[74:75], v[190:191]
	v_fmac_f64_e32 v[90:91], v[76:77], v[192:193]
	v_add_f64 v[20:21], v[20:21], v[90:91]
	v_add_f64 v[20:21], v[20:21], v[28:29]
	v_mul_f64 v[28:29], v[244:245], v[86:87]
	v_fma_f64 v[28:29], v[242:243], v[88:89], -v[28:29]
	ds_read_b128 v[86:89], v142 offset:1664
	s_waitcnt vmcnt(15)
	v_mul_f64 v[90:91], v[82:83], v[200:201]
	s_waitcnt vmcnt(13)
	v_fmac_f64_e32 v[90:91], v[84:85], v[202:203]
	v_add_f64 v[98:99], v[20:21], v[90:91]
	v_mul_f64 v[20:21], v[248:249], v[94:95]
	ds_read_b128 v[90:93], v142 offset:1680
	v_fma_f64 v[20:21], v[246:247], v[96:97], -v[20:21]
	ds_read_b128 v[94:97], v142 offset:1696
	buffer_load_dword v216, off, s[0:3], 0 offset:832
	buffer_load_dword v215, off, s[0:3], 0 offset:844
	;; [unrolled: 1-line block ×3, first 2 shown]
	s_waitcnt vmcnt(13) lgkmcnt(2)
	v_mul_f64 v[100:101], v[86:87], v[204:205]
	s_waitcnt vmcnt(11)
	v_fmac_f64_e32 v[100:101], v[88:89], v[210:211]
	v_add_f64 v[98:99], v[98:99], v[100:101]
	s_waitcnt vmcnt(10) lgkmcnt(1)
	v_mul_f64 v[100:101], v[90:91], v[198:199]
	s_waitcnt vmcnt(8)
	v_fmac_f64_e32 v[100:101], v[92:93], v[208:209]
	v_add_f64 v[98:99], v[98:99], v[100:101]
	;; [unrolled: 5-line block ×3, first 2 shown]
	ds_read_b128 v[98:101], v142 offset:1712
	buffer_load_dword v219, off, s[0:3], 0 offset:860
	buffer_load_dword v218, off, s[0:3], 0 offset:856
	buffer_load_dword v231, off, s[0:3], 0 offset:852
	buffer_load_dword v230, off, s[0:3], 0 offset:848
	s_waitcnt vmcnt(5) lgkmcnt(0)
	v_mul_f64 v[104:105], v[98:99], v[214:215]
	s_waitcnt vmcnt(4)
	v_fmac_f64_e32 v[104:105], v[100:101], v[216:217]
	v_add_f64 v[106:107], v[102:103], v[104:105]
	ds_read_b128 v[102:105], v142 offset:1728
	buffer_load_dword v232, off, s[0:3], 0 offset:872
	buffer_load_dword v233, off, s[0:3], 0 offset:876
	buffer_load_dword v234, off, s[0:3], 0 offset:864
	buffer_load_dword v235, off, s[0:3], 0 offset:868
	s_waitcnt vmcnt(6) lgkmcnt(0)
	v_mul_f64 v[108:109], v[102:103], v[218:219]
	s_waitcnt vmcnt(4)
	v_fmac_f64_e32 v[108:109], v[104:105], v[230:231]
	v_add_f64 v[110:111], v[106:107], v[108:109]
	;; [unrolled: 10-line block ×4, first 2 shown]
	ds_read_b128 v[224:227], v142 offset:1776
	buffer_load_dword v248, off, s[0:3], 0 offset:80
	buffer_load_dword v249, off, s[0:3], 0 offset:84
	s_waitcnt vmcnt(4) lgkmcnt(0)
	v_mul_f64 v[246:247], v[224:225], v[242:243]
	s_waitcnt vmcnt(2)
	v_fmac_f64_e32 v[246:247], v[226:227], v[244:245]
	v_add_f64 v[240:241], v[240:241], v[246:247]
	v_add_f64 v[246:247], v[254:255], 0
	;; [unrolled: 1-line block ×15, first 2 shown]
	buffer_load_dword v246, off, s[0:3], 0 offset:88
	buffer_load_dword v247, off, s[0:3], 0 offset:92
	v_add_f64 v[10:11], v[10:11], v[250:251]
	v_add_f64 v[8:9], v[10:11], v[8:9]
	v_add_f64 v[8:9], v[8:9], v[228:229]
	v_add_f64 v[6:7], v[8:9], v[6:7]
	v_add_f64 v[4:5], v[6:7], v[4:5]
	v_add_f64 v[2:3], v[4:5], v[2:3]
	v_accvgpr_read_b32 v4, a170
	v_accvgpr_read_b32 v5, a171
	;; [unrolled: 1-line block ×3, first 2 shown]
	v_add_f64 v[252:253], v[2:3], v[28:29]
	v_mul_f64 v[4:5], v[146:147], v[4:5]
	v_accvgpr_read_b32 v7, a173
	v_add_f64 v[2:3], v[252:253], v[20:21]
	v_fma_f64 v[4:5], v[144:145], v[6:7], -v[4:5]
	v_add_f64 v[2:3], v[2:3], v[4:5]
	v_accvgpr_read_b32 v4, a174
	v_accvgpr_read_b32 v5, a175
	v_accvgpr_read_b32 v6, a176
	v_mul_f64 v[4:5], v[136:137], v[4:5]
	v_accvgpr_read_b32 v7, a177
	v_fma_f64 v[4:5], v[134:135], v[6:7], -v[4:5]
	v_add_f64 v[2:3], v[2:3], v[4:5]
	v_accvgpr_read_b32 v4, a178
	v_accvgpr_read_b32 v5, a179
	v_accvgpr_read_b32 v6, a180
	v_mul_f64 v[4:5], v[132:133], v[4:5]
	v_accvgpr_read_b32 v7, a181
	;; [unrolled: 7-line block ×6, first 2 shown]
	v_fma_f64 v[4:5], v[118:119], v[6:7], -v[4:5]
	v_add_f64 v[2:3], v[2:3], v[4:5]
	v_mul_f64 v[4:5], v[32:33], v[152:153]
	v_fma_f64 v[4:5], v[30:31], v[150:151], -v[4:5]
	v_add_f64 v[2:3], v[2:3], v[4:5]
	v_mul_f64 v[4:5], v[36:37], v[0:1]
	;; [unrolled: 3-line block ×22, first 2 shown]
	v_fma_f64 v[4:5], v[224:225], v[244:245], -v[4:5]
	v_add_f64 v[2:3], v[2:3], v[4:5]
	v_accvgpr_read_b32 v0, a168
	s_waitcnt vmcnt(2)
	v_add_f64 v[2:3], v[248:249], -v[2:3]
	v_cmp_lt_u32_e32 vcc, 3, v0
	s_waitcnt vmcnt(0)
	v_add_f64 v[4:5], v[246:247], -v[240:241]
	buffer_store_dword v3, off, s[0:3], 0 offset:84
	buffer_store_dword v2, off, s[0:3], 0 offset:80
	;; [unrolled: 1-line block ×4, first 2 shown]
	s_and_saveexec_b64 s[4:5], vcc
	s_cbranch_execz .LBB55_343
; %bb.342:
	v_accvgpr_read_b32 v5, a164
	buffer_load_dword v2, v5, s[0:3], 0 offen
	buffer_load_dword v3, v5, s[0:3], 0 offen offset:4
	buffer_load_dword v4, v5, s[0:3], 0 offen offset:8
	s_nop 0
	buffer_load_dword v5, v5, s[0:3], 0 offen offset:12
	v_accvgpr_read_b32 v6, a167
	buffer_store_dword v142, off, s[0:3], 0 offset:64
	buffer_store_dword v142, off, s[0:3], 0 offset:68
	;; [unrolled: 1-line block ×4, first 2 shown]
	s_waitcnt vmcnt(4)
	ds_write_b128 v6, v[2:5]
.LBB55_343:
	s_or_b64 exec, exec, s[4:5]
	s_waitcnt lgkmcnt(0)
	; wave barrier
	s_waitcnt lgkmcnt(0)
	buffer_load_dword v22, off, s[0:3], 0 offset:80
	buffer_load_dword v23, off, s[0:3], 0 offset:84
	;; [unrolled: 1-line block ×36, first 2 shown]
	ds_read_b128 v[18:21], v142 offset:960
	ds_read_b128 v[26:29], v142 offset:976
	;; [unrolled: 1-line block ×9, first 2 shown]
	buffer_load_dword v91, off, s[0:3], 0 offset:252
	buffer_load_dword v90, off, s[0:3], 0 offset:248
	;; [unrolled: 1-line block ×19, first 2 shown]
	s_waitcnt vmcnt(51) lgkmcnt(8)
	v_mul_f64 v[2:3], v[18:19], v[24:25]
	v_fmac_f64_e32 v[2:3], v[20:21], v[22:23]
	v_add_f64 v[2:3], v[2:3], 0
	v_mul_f64 v[20:21], v[20:21], v[24:25]
	s_waitcnt vmcnt(47) lgkmcnt(7)
	v_mul_f64 v[4:5], v[26:27], v[160:161]
	v_fmac_f64_e32 v[4:5], v[28:29], v[158:159]
	v_add_f64 v[2:3], v[2:3], v[4:5]
	buffer_load_dword v104, off, s[0:3], 0 offset:304
	buffer_load_dword v67, off, s[0:3], 0 offset:300
	;; [unrolled: 1-line block ×39, first 2 shown]
	s_waitcnt vmcnt(62) lgkmcnt(6)
	v_mul_f64 v[6:7], v[54:55], v[156:157]
	s_waitcnt lgkmcnt(4)
	v_mul_f64 v[10:11], v[34:35], v[166:167]
	v_fmac_f64_e32 v[10:11], v[36:37], v[168:169]
	v_fma_f64 v[24:25], v[18:19], v[22:23], -v[20:21]
	v_mul_f64 v[8:9], v[30:31], v[164:165]
	v_mul_f64 v[28:29], v[28:29], v[160:161]
	s_waitcnt lgkmcnt(2)
	v_mul_f64 v[14:15], v[50:51], v[74:75]
	v_fma_f64 v[158:159], v[26:27], v[158:159], -v[28:29]
	v_fmac_f64_e32 v[14:15], v[52:53], v[76:77]
	v_mul_f64 v[36:37], v[36:37], v[166:167]
	v_mul_f64 v[12:13], v[38:39], v[80:81]
	;; [unrolled: 1-line block ×3, first 2 shown]
	s_waitcnt lgkmcnt(1)
	v_mul_f64 v[16:17], v[46:47], v[72:73]
	v_fma_f64 v[20:21], v[50:51], v[76:77], -v[52:53]
	v_fmac_f64_e32 v[6:7], v[56:57], v[86:87]
	v_add_f64 v[2:3], v[2:3], v[6:7]
	v_fmac_f64_e32 v[8:9], v[32:33], v[84:85]
	v_add_f64 v[2:3], v[2:3], v[8:9]
	;; [unrolled: 2-line block ×3, first 2 shown]
	v_add_f64 v[2:3], v[2:3], v[12:13]
	v_add_f64 v[2:3], v[2:3], v[14:15]
	v_fmac_f64_e32 v[16:17], v[48:49], v[78:79]
	v_add_f64 v[2:3], v[2:3], v[16:17]
	v_mul_f64 v[32:33], v[32:33], v[164:165]
	v_mul_f64 v[40:41], v[40:41], v[80:81]
	v_fma_f64 v[82:83], v[38:39], v[82:83], -v[40:41]
	v_add_f64 v[24:25], v[24:25], 0
	v_add_f64 v[24:25], v[24:25], v[158:159]
	s_waitcnt vmcnt(0)
	v_pk_mov_b32 v[122:123], v[4:5], v[4:5] op_sel:[0,1]
	buffer_load_dword v5, off, s[0:3], 0 offset:468
	buffer_load_dword v4, off, s[0:3], 0 offset:464
	v_accvgpr_write_b32 a177, v123
	v_accvgpr_write_b32 a176, v122
	s_waitcnt vmcnt(0)
	v_pk_mov_b32 v[124:125], v[4:5], v[4:5] op_sel:[0,1]
	buffer_load_dword v5, off, s[0:3], 0 offset:460
	buffer_load_dword v4, off, s[0:3], 0 offset:456
	v_accvgpr_write_b32 a179, v125
	v_accvgpr_write_b32 a178, v124
	s_waitcnt vmcnt(0)
	v_pk_mov_b32 v[14:15], v[4:5], v[4:5] op_sel:[0,1]
	buffer_load_dword v5, off, s[0:3], 0 offset:452
	buffer_load_dword v4, off, s[0:3], 0 offset:448
	v_pk_mov_b32 v[144:145], v[14:15], v[14:15] op_sel:[0,1]
	s_waitcnt vmcnt(0)
	v_pk_mov_b32 v[126:127], v[4:5], v[4:5] op_sel:[0,1]
	buffer_load_dword v5, off, s[0:3], 0 offset:508
	buffer_load_dword v4, off, s[0:3], 0 offset:504
	v_accvgpr_write_b32 a175, v127
	v_accvgpr_write_b32 a174, v126
	s_waitcnt vmcnt(0)
	v_pk_mov_b32 v[172:173], v[4:5], v[4:5] op_sel:[0,1]
	buffer_load_dword v5, off, s[0:3], 0 offset:500
	buffer_load_dword v4, off, s[0:3], 0 offset:496
	v_accvgpr_write_b32 a185, v173
	v_accvgpr_write_b32 a184, v172
	;; [unrolled: 6-line block ×7, first 2 shown]
	s_waitcnt vmcnt(0)
	v_pk_mov_b32 v[186:187], v[4:5], v[4:5] op_sel:[0,1]
	buffer_load_dword v5, off, s[0:3], 0 offset:516
	buffer_load_dword v4, off, s[0:3], 0 offset:512
	ds_read_b128 v[182:185], v142 offset:1104
	ds_read_b128 v[194:197], v142 offset:1120
	;; [unrolled: 1-line block ×9, first 2 shown]
	buffer_load_dword v1, off, s[0:3], 0 offset:556
	buffer_load_dword v0, off, s[0:3], 0 offset:552
	;; [unrolled: 1-line block ×4, first 2 shown]
	ds_read_b128 v[248:251], v142 offset:1248
	buffer_load_dword v149, off, s[0:3], 0 offset:572
	buffer_load_dword v148, off, s[0:3], 0 offset:568
	;; [unrolled: 1-line block ×8, first 2 shown]
	ds_read_b128 v[252:255], v142 offset:1264
	ds_read_b128 v[118:121], v142 offset:1280
	;; [unrolled: 1-line block ×4, first 2 shown]
	v_accvgpr_write_b32 a189, v187
	v_accvgpr_write_b32 a188, v186
	s_waitcnt lgkmcnt(7)
	v_mul_f64 v[50:51], v[226:227], v[236:237]
	ds_read_b128 v[134:137], v142 offset:1344
	s_waitcnt lgkmcnt(1)
	v_mul_f64 v[8:9], v[62:63], v[96:97]
	v_fmac_f64_e32 v[8:9], v[64:65], v[100:101]
	v_mul_f64 v[64:65], v[64:65], v[96:97]
	s_waitcnt lgkmcnt(0)
	v_mul_f64 v[16:17], v[134:135], v[122:123]
	v_fmac_f64_e32 v[16:17], v[136:137], v[124:125]
	s_waitcnt vmcnt(12)
	v_pk_mov_b32 v[188:189], v[4:5], v[4:5] op_sel:[0,1]
	v_mul_f64 v[4:5], v[42:43], v[70:71]
	v_fmac_f64_e32 v[4:5], v[44:45], v[88:89]
	v_add_f64 v[2:3], v[2:3], v[4:5]
	v_mul_f64 v[4:5], v[182:183], v[94:95]
	v_fmac_f64_e32 v[4:5], v[184:185], v[98:99]
	v_add_f64 v[2:3], v[2:3], v[4:5]
	;; [unrolled: 3-line block ×14, first 2 shown]
	ds_read_b128 v[2:5], v142 offset:1328
	buffer_load_dword v155, off, s[0:3], 0 offset:604
	buffer_load_dword v154, off, s[0:3], 0 offset:600
	ds_read_b128 v[130:133], v142 offset:1360
	ds_read_b128 v[138:141], v142 offset:1376
	v_add_f64 v[10:11], v[6:7], v[8:9]
	s_waitcnt lgkmcnt(2)
	v_mul_f64 v[12:13], v[2:3], v[14:15]
	v_fmac_f64_e32 v[12:13], v[4:5], v[126:127]
	s_waitcnt lgkmcnt(1)
	v_mul_f64 v[170:171], v[130:131], v[128:129]
	ds_read_b128 v[126:129], v142 offset:1392
	ds_read_b128 v[122:125], v142 offset:1408
	v_add_f64 v[14:15], v[10:11], v[12:13]
	v_accvgpr_write_b32 a173, v5
	v_add_f64 v[162:163], v[14:15], v[16:17]
	v_fmac_f64_e32 v[170:171], v[132:133], v[180:181]
	s_waitcnt lgkmcnt(2)
	v_mul_f64 v[22:23], v[138:139], v[172:173]
	v_accvgpr_write_b32 a172, v4
	v_accvgpr_write_b32 a171, v3
	v_accvgpr_write_b32 a170, v2
	v_add_f64 v[4:5], v[162:163], v[170:171]
	v_fmac_f64_e32 v[22:23], v[140:141], v[174:175]
	v_add_f64 v[4:5], v[4:5], v[22:23]
	s_waitcnt lgkmcnt(1)
	v_mul_f64 v[22:23], v[126:127], v[186:187]
	v_fmac_f64_e32 v[22:23], v[128:129], v[188:189]
	s_waitcnt lgkmcnt(0)
	v_mul_f64 v[160:161], v[122:123], v[176:177]
	v_add_f64 v[4:5], v[4:5], v[22:23]
	ds_read_b128 v[26:29], v142 offset:1424
	v_fmac_f64_e32 v[160:161], v[124:125], v[178:179]
	v_add_f64 v[170:171], v[4:5], v[160:161]
	buffer_load_dword v161, off, s[0:3], 0 offset:596
	buffer_load_dword v160, off, s[0:3], 0 offset:592
	v_mul_f64 v[4:5], v[56:57], v[156:157]
	buffer_load_dword v156, off, s[0:3], 0 offset:632
	buffer_load_dword v22, off, s[0:3], 0 offset:624
	;; [unrolled: 1-line block ×7, first 2 shown]
	v_fma_f64 v[186:187], v[30:31], v[84:85], -v[32:33]
	s_waitcnt vmcnt(21) lgkmcnt(0)
	v_mul_f64 v[30:31], v[26:27], v[0:1]
	buffer_load_dword v23, off, s[0:3], 0 offset:628
	s_waitcnt vmcnt(20)
	v_fmac_f64_e32 v[30:31], v[28:29], v[146:147]
	v_fma_f64 v[86:87], v[54:55], v[86:87], -v[4:5]
	v_add_f64 v[54:55], v[170:171], v[30:31]
	ds_read_b128 v[30:33], v142 offset:1440
	v_fma_f64 v[84:85], v[34:35], v[168:169], -v[36:37]
	ds_read_b128 v[34:37], v142 offset:1456
	ds_read_b128 v[38:41], v142 offset:1472
	buffer_load_dword v167, off, s[0:3], 0 offset:652
	buffer_load_dword v166, off, s[0:3], 0 offset:648
	;; [unrolled: 1-line block ×16, first 2 shown]
	v_mul_f64 v[44:45], v[44:45], v[70:71]
	v_accvgpr_write_b32 a191, v189
	v_fma_f64 v[14:15], v[42:43], v[88:89], -v[44:45]
	v_mul_f64 v[42:43], v[184:185], v[94:95]
	v_accvgpr_write_b32 a190, v188
	v_fma_f64 v[94:95], v[182:183], v[98:99], -v[42:43]
	buffer_load_dword v183, off, s[0:3], 0 offset:716
	buffer_load_dword v182, off, s[0:3], 0 offset:712
	;; [unrolled: 1-line block ×8, first 2 shown]
	v_mul_f64 v[42:43], v[196:197], v[90:91]
	v_mul_f64 v[16:17], v[200:201], v[190:191]
	v_fma_f64 v[10:11], v[194:195], v[92:93], -v[42:43]
	v_fma_f64 v[16:17], v[198:199], v[192:193], -v[16:17]
	buffer_load_dword v191, off, s[0:3], 0 offset:764
	buffer_load_dword v193, off, s[0:3], 0 offset:748
	;; [unrolled: 1-line block ×12, first 2 shown]
	v_mul_f64 v[8:9], v[48:49], v[72:73]
	v_mul_f64 v[42:43], v[208:209], v[202:203]
	v_fma_f64 v[18:19], v[46:47], v[78:79], -v[8:9]
	v_fma_f64 v[8:9], v[206:207], v[204:205], -v[42:43]
	v_mul_f64 v[42:43], v[212:213], v[66:67]
	s_waitcnt vmcnt(54) lgkmcnt(2)
	v_mul_f64 v[56:57], v[30:31], v[148:149]
	v_fma_f64 v[6:7], v[210:211], v[68:69], -v[42:43]
	buffer_load_dword v205, off, s[0:3], 0 offset:796
	buffer_load_dword v204, off, s[0:3], 0 offset:792
	;; [unrolled: 1-line block ×12, first 2 shown]
	ds_read_b128 v[42:45], v142 offset:1488
	s_waitcnt vmcnt(62)
	v_fmac_f64_e32 v[56:57], v[32:33], v[150:151]
	v_mul_f64 v[46:47], v[222:223], v[102:103]
	v_add_f64 v[54:55], v[54:55], v[56:57]
	s_waitcnt lgkmcnt(2)
	v_mul_f64 v[56:57], v[34:35], v[152:153]
	v_fma_f64 v[4:5], v[220:221], v[104:105], -v[46:47]
	ds_read_b128 v[46:49], v142 offset:1504
	s_waitcnt vmcnt(60)
	v_fmac_f64_e32 v[56:57], v[36:37], v[228:229]
	v_add_f64 v[54:55], v[54:55], v[56:57]
	v_fma_f64 v[236:237], v[224:225], v[238:239], -v[50:51]
	ds_read_b128 v[50:53], v142 offset:1520
	ds_read_b128 v[220:223], v142 offset:1552
	v_mul_f64 v[66:67], v[242:243], v[218:219]
	ds_read_b128 v[224:227], v142 offset:1568
	v_fma_f64 v[240:241], v[240:241], v[230:231], -v[66:67]
	v_mul_f64 v[68:69], v[246:247], v[232:233]
	s_waitcnt vmcnt(58) lgkmcnt(5)
	v_mul_f64 v[12:13], v[38:39], v[154:155]
	v_fma_f64 v[246:247], v[244:245], v[234:235], -v[68:69]
	v_mul_f64 v[70:71], v[250:251], v[114:115]
	v_fma_f64 v[248:249], v[248:249], v[116:117], -v[70:71]
	ds_read_b128 v[70:73], v142 offset:1600
	v_mul_f64 v[90:91], v[120:121], v[106:107]
	v_fma_f64 v[2:3], v[118:119], v[110:111], -v[90:91]
	ds_read_b128 v[118:121], v142 offset:1648
	v_mul_f64 v[60:61], v[60:61], v[108:109]
	v_fma_f64 v[58:59], v[58:59], v[112:113], -v[60:61]
	v_accvgpr_write_b32 a197, v59
	v_accvgpr_write_b32 a196, v58
	ds_read_b128 v[58:61], v142 offset:1680
	v_add_f64 v[24:25], v[24:25], v[86:87]
	v_add_f64 v[24:25], v[24:25], v[186:187]
	;; [unrolled: 1-line block ×14, first 2 shown]
	s_waitcnt vmcnt(56)
	v_fmac_f64_e32 v[12:13], v[40:41], v[160:161]
	v_add_f64 v[12:13], v[54:55], v[12:13]
	s_waitcnt vmcnt(52) lgkmcnt(7)
	v_mul_f64 v[54:55], v[42:43], v[162:163]
	s_waitcnt vmcnt(50)
	v_fmac_f64_e32 v[54:55], v[44:45], v[164:165]
	v_add_f64 v[12:13], v[12:13], v[54:55]
	s_waitcnt vmcnt(49) lgkmcnt(6)
	v_mul_f64 v[54:55], v[46:47], v[156:157]
	s_waitcnt vmcnt(48)
	v_fmac_f64_e32 v[54:55], v[48:49], v[22:23]
	v_add_f64 v[12:13], v[12:13], v[54:55]
	v_add_f64 v[4:5], v[4:5], v[240:241]
	v_add_f64 v[4:5], v[4:5], v[246:247]
	v_add_f64 v[4:5], v[4:5], v[248:249]
	v_accvgpr_read_b32 v6, a170
	s_waitcnt vmcnt(46) lgkmcnt(5)
	v_mul_f64 v[54:55], v[50:51], v[166:167]
	v_accvgpr_read_b32 v8, a172
	s_waitcnt vmcnt(44)
	v_fmac_f64_e32 v[54:55], v[52:53], v[168:169]
	v_add_f64 v[12:13], v[12:13], v[54:55]
	ds_read_b128 v[54:57], v142 offset:1536
	v_accvgpr_read_b32 v9, a173
	v_accvgpr_read_b32 v7, a171
	s_waitcnt vmcnt(42) lgkmcnt(0)
	v_mul_f64 v[66:67], v[54:55], v[172:173]
	s_waitcnt vmcnt(40)
	v_fmac_f64_e32 v[66:67], v[56:57], v[174:175]
	v_add_f64 v[12:13], v[12:13], v[66:67]
	s_waitcnt vmcnt(36)
	v_mul_f64 v[66:67], v[220:221], v[178:179]
	s_waitcnt vmcnt(34)
	v_fmac_f64_e32 v[66:67], v[222:223], v[180:181]
	v_add_f64 v[12:13], v[12:13], v[66:67]
	v_mul_f64 v[66:67], v[224:225], v[170:171]
	s_waitcnt vmcnt(32)
	v_fmac_f64_e32 v[66:67], v[226:227], v[176:177]
	v_add_f64 v[12:13], v[12:13], v[66:67]
	ds_read_b128 v[66:69], v142 offset:1584
	s_waitcnt vmcnt(25)
	v_mul_f64 v[78:79], v[70:71], v[184:185]
	s_waitcnt vmcnt(24)
	v_fmac_f64_e32 v[78:79], v[72:73], v[88:89]
	s_waitcnt lgkmcnt(0)
	v_mul_f64 v[74:75], v[66:67], v[182:183]
	v_fmac_f64_e32 v[74:75], v[68:69], v[188:189]
	v_add_f64 v[12:13], v[12:13], v[74:75]
	v_mul_f64 v[74:75], v[254:255], v[214:215]
	v_fma_f64 v[254:255], v[252:253], v[216:217], -v[74:75]
	ds_read_b128 v[74:77], v142 offset:1616
	v_add_f64 v[12:13], v[12:13], v[78:79]
	ds_read_b128 v[78:81], v142 offset:1632
	v_fma_f64 v[252:253], v[62:63], v[100:101], -v[64:65]
	ds_read_b128 v[62:65], v142 offset:1696
	s_waitcnt vmcnt(21) lgkmcnt(2)
	v_mul_f64 v[90:91], v[74:75], v[192:193]
	s_waitcnt vmcnt(19)
	v_fmac_f64_e32 v[90:91], v[76:77], v[198:199]
	v_add_f64 v[12:13], v[12:13], v[90:91]
	s_waitcnt vmcnt(18) lgkmcnt(1)
	v_mul_f64 v[90:91], v[78:79], v[190:191]
	s_waitcnt vmcnt(16)
	v_fmac_f64_e32 v[90:91], v[80:81], v[196:197]
	v_add_f64 v[12:13], v[12:13], v[90:91]
	ds_read_b128 v[90:93], v142 offset:1664
	s_waitcnt vmcnt(14)
	v_mul_f64 v[98:99], v[118:119], v[194:195]
	buffer_load_dword v215, off, s[0:3], 0 offset:844
	buffer_load_dword v214, off, s[0:3], 0 offset:840
	;; [unrolled: 1-line block ×4, first 2 shown]
	s_waitcnt vmcnt(16)
	v_fmac_f64_e32 v[98:99], v[120:121], v[200:201]
	v_add_f64 v[12:13], v[12:13], v[98:99]
	ds_read_b128 v[98:101], v142 offset:1712
	buffer_load_dword v218, off, s[0:3], 0 offset:856
	buffer_load_dword v219, off, s[0:3], 0 offset:860
	;; [unrolled: 1-line block ×4, first 2 shown]
	ds_read_b128 v[102:105], v142 offset:1728
	buffer_load_dword v233, off, s[0:3], 0 offset:876
	buffer_load_dword v232, off, s[0:3], 0 offset:872
	buffer_load_dword v235, off, s[0:3], 0 offset:868
	buffer_load_dword v234, off, s[0:3], 0 offset:864
	s_waitcnt vmcnt(22) lgkmcnt(2)
	v_mul_f64 v[96:97], v[90:91], v[204:205]
	s_waitcnt vmcnt(20)
	v_fmac_f64_e32 v[96:97], v[92:93], v[206:207]
	v_add_f64 v[12:13], v[12:13], v[96:97]
	s_waitcnt vmcnt(17)
	v_mul_f64 v[96:97], v[58:59], v[210:211]
	s_waitcnt vmcnt(15)
	v_fmac_f64_e32 v[96:97], v[60:61], v[212:213]
	v_add_f64 v[12:13], v[12:13], v[96:97]
	s_waitcnt vmcnt(13)
	v_mul_f64 v[96:97], v[62:63], v[202:203]
	s_waitcnt vmcnt(12)
	v_fmac_f64_e32 v[96:97], v[64:65], v[208:209]
	ds_read_b128 v[106:109], v142 offset:1744
	v_add_f64 v[12:13], v[12:13], v[96:97]
	v_add_f64 v[4:5], v[4:5], v[254:255]
	;; [unrolled: 1-line block ×3, first 2 shown]
	v_accvgpr_read_b32 v2, a196
	v_accvgpr_read_b32 v3, a197
	v_mul_f64 v[4:5], v[8:9], v[144:145]
	v_accvgpr_read_b32 v8, a174
	v_add_f64 v[2:3], v[254:255], v[2:3]
	v_accvgpr_read_b32 v9, a175
	v_add_f64 v[2:3], v[2:3], v[252:253]
	v_fma_f64 v[4:5], v[6:7], v[8:9], -v[4:5]
	v_add_f64 v[2:3], v[2:3], v[4:5]
	v_accvgpr_read_b32 v4, a176
	v_accvgpr_read_b32 v5, a177
	v_accvgpr_read_b32 v6, a178
	v_mul_f64 v[4:5], v[136:137], v[4:5]
	v_accvgpr_read_b32 v7, a179
	v_fma_f64 v[4:5], v[134:135], v[6:7], -v[4:5]
	v_add_f64 v[2:3], v[2:3], v[4:5]
	v_accvgpr_read_b32 v4, a180
	v_accvgpr_read_b32 v5, a181
	v_accvgpr_read_b32 v6, a182
	v_mul_f64 v[4:5], v[132:133], v[4:5]
	v_accvgpr_read_b32 v7, a183
	;; [unrolled: 7-line block ×5, first 2 shown]
	v_fma_f64 v[4:5], v[122:123], v[6:7], -v[4:5]
	v_add_f64 v[2:3], v[2:3], v[4:5]
	v_mul_f64 v[4:5], v[28:29], v[0:1]
	v_fma_f64 v[4:5], v[26:27], v[146:147], -v[4:5]
	v_add_f64 v[2:3], v[2:3], v[4:5]
	v_mul_f64 v[4:5], v[32:33], v[148:149]
	;; [unrolled: 3-line block ×5, first 2 shown]
	v_fma_f64 v[4:5], v[42:43], v[164:165], -v[4:5]
	v_add_f64 v[2:3], v[2:3], v[4:5]
	s_waitcnt vmcnt(10) lgkmcnt(2)
	v_mul_f64 v[96:97], v[98:99], v[214:215]
	v_mul_f64 v[4:5], v[48:49], v[156:157]
	s_waitcnt vmcnt(8)
	v_fmac_f64_e32 v[96:97], v[100:101], v[216:217]
	v_add_f64 v[12:13], v[12:13], v[96:97]
	s_waitcnt vmcnt(6) lgkmcnt(1)
	v_mul_f64 v[96:97], v[102:103], v[218:219]
	v_fma_f64 v[4:5], v[46:47], v[22:23], -v[4:5]
	s_waitcnt vmcnt(4)
	v_fmac_f64_e32 v[96:97], v[104:105], v[230:231]
	v_add_f64 v[12:13], v[12:13], v[96:97]
	s_waitcnt vmcnt(2) lgkmcnt(0)
	v_mul_f64 v[96:97], v[106:107], v[232:233]
	s_waitcnt vmcnt(0)
	v_fmac_f64_e32 v[96:97], v[108:109], v[234:235]
	v_add_f64 v[96:97], v[12:13], v[96:97]
	buffer_load_dword v12, off, s[0:3], 0 offset:888
	buffer_load_dword v13, off, s[0:3], 0 offset:892
	;; [unrolled: 1-line block ×4, first 2 shown]
	ds_read_b128 v[110:113], v142 offset:1760
	buffer_load_dword v243, off, s[0:3], 0 offset:908
	buffer_load_dword v242, off, s[0:3], 0 offset:904
	;; [unrolled: 1-line block ×4, first 2 shown]
	v_add_f64 v[2:3], v[2:3], v[4:5]
	v_mul_f64 v[4:5], v[52:53], v[166:167]
	v_fma_f64 v[4:5], v[50:51], v[168:169], -v[4:5]
	v_add_f64 v[2:3], v[2:3], v[4:5]
	v_mul_f64 v[4:5], v[56:57], v[172:173]
	v_fma_f64 v[4:5], v[54:55], v[174:175], -v[4:5]
	;; [unrolled: 3-line block ×15, first 2 shown]
	v_add_f64 v[2:3], v[2:3], v[4:5]
	v_accvgpr_read_b32 v0, a168
	v_cmp_lt_u32_e32 vcc, 2, v0
	s_waitcnt vmcnt(6) lgkmcnt(0)
	v_mul_f64 v[114:115], v[110:111], v[12:13]
	v_mul_f64 v[4:5], v[112:113], v[12:13]
	s_waitcnt vmcnt(4)
	v_fmac_f64_e32 v[114:115], v[112:113], v[238:239]
	v_add_f64 v[96:97], v[96:97], v[114:115]
	ds_read_b128 v[114:117], v142 offset:1776
	buffer_load_dword v248, off, s[0:3], 0 offset:64
	buffer_load_dword v249, off, s[0:3], 0 offset:68
	;; [unrolled: 1-line block ×4, first 2 shown]
	v_fma_f64 v[4:5], v[110:111], v[238:239], -v[4:5]
	v_add_f64 v[2:3], v[2:3], v[4:5]
	s_waitcnt vmcnt(6) lgkmcnt(0)
	v_mul_f64 v[4:5], v[116:117], v[242:243]
	v_mul_f64 v[250:251], v[114:115], v[242:243]
	s_waitcnt vmcnt(4)
	v_fma_f64 v[4:5], v[114:115], v[244:245], -v[4:5]
	v_fmac_f64_e32 v[250:251], v[116:117], v[244:245]
	v_add_f64 v[2:3], v[2:3], v[4:5]
	v_add_f64 v[96:97], v[96:97], v[250:251]
	s_waitcnt vmcnt(2)
	v_add_f64 v[2:3], v[248:249], -v[2:3]
	s_waitcnt vmcnt(0)
	v_add_f64 v[4:5], v[246:247], -v[96:97]
	buffer_store_dword v3, off, s[0:3], 0 offset:68
	buffer_store_dword v2, off, s[0:3], 0 offset:64
	;; [unrolled: 1-line block ×4, first 2 shown]
	s_and_saveexec_b64 s[4:5], vcc
	s_cbranch_execz .LBB55_345
; %bb.344:
	v_accvgpr_read_b32 v1, a165
	buffer_load_dword v2, v1, s[0:3], 0 offen
	buffer_load_dword v3, v1, s[0:3], 0 offen offset:4
	buffer_load_dword v4, v1, s[0:3], 0 offen offset:8
	;; [unrolled: 1-line block ×3, first 2 shown]
	v_mov_b32_e32 v1, 0
	v_accvgpr_read_b32 v6, a167
	buffer_store_dword v1, off, s[0:3], 0 offset:48
	buffer_store_dword v1, off, s[0:3], 0 offset:52
	;; [unrolled: 1-line block ×4, first 2 shown]
	s_waitcnt vmcnt(4)
	ds_write_b128 v6, v[2:5]
.LBB55_345:
	s_or_b64 exec, exec, s[4:5]
	s_waitcnt lgkmcnt(0)
	; wave barrier
	s_waitcnt lgkmcnt(0)
	buffer_load_dword v248, off, s[0:3], 0 offset:64
	buffer_load_dword v249, off, s[0:3], 0 offset:68
	;; [unrolled: 1-line block ×36, first 2 shown]
	v_mov_b32_e32 v1, 0
	buffer_load_dword v55, off, s[0:3], 0 offset:236
	buffer_load_dword v54, off, s[0:3], 0 offset:232
	;; [unrolled: 1-line block ×18, first 2 shown]
	ds_read_b128 v[22:25], v1 offset:944
	ds_read_b128 v[110:113], v1 offset:960
	;; [unrolled: 1-line block ×9, first 2 shown]
	v_cmp_lt_u32_e32 vcc, 1, v0
	s_waitcnt vmcnt(50) lgkmcnt(8)
	v_mul_f64 v[2:3], v[22:23], v[16:17]
	v_fmac_f64_e32 v[2:3], v[24:25], v[248:249]
	v_add_f64 v[2:3], v[2:3], 0
	v_mul_f64 v[16:17], v[24:25], v[16:17]
	s_waitcnt vmcnt(46) lgkmcnt(7)
	v_mul_f64 v[4:5], v[110:111], v[20:21]
	v_fmac_f64_e32 v[4:5], v[112:113], v[156:157]
	s_waitcnt vmcnt(44) lgkmcnt(6)
	v_mul_f64 v[6:7], v[114:115], v[26:27]
	v_add_f64 v[2:3], v[2:3], v[4:5]
	s_waitcnt vmcnt(42) lgkmcnt(4)
	v_mul_f64 v[10:11], v[164:165], v[30:31]
	v_fma_f64 v[248:249], v[22:23], v[248:249], -v[16:17]
	s_waitcnt vmcnt(40)
	v_fmac_f64_e32 v[10:11], v[166:167], v[32:33]
	v_mul_f64 v[20:21], v[112:113], v[20:21]
	s_waitcnt vmcnt(38)
	v_mul_f64 v[8:9], v[160:161], v[28:29]
	v_fma_f64 v[250:251], v[110:111], v[156:157], -v[20:21]
	s_waitcnt vmcnt(36) lgkmcnt(2)
	v_mul_f64 v[68:69], v[172:173], v[44:45]
	v_mul_f64 v[26:27], v[116:117], v[26:27]
	s_waitcnt vmcnt(34)
	v_fmac_f64_e32 v[68:69], v[174:175], v[46:47]
	v_mul_f64 v[28:29], v[162:163], v[28:29]
	s_waitcnt vmcnt(32)
	v_mul_f64 v[12:13], v[168:169], v[34:35]
	v_mul_f64 v[30:31], v[166:167], v[30:31]
	s_waitcnt vmcnt(30) lgkmcnt(1)
	v_mul_f64 v[138:139], v[176:177], v[42:43]
	v_mul_f64 v[34:35], v[170:171], v[34:35]
	s_waitcnt vmcnt(28)
	v_fmac_f64_e32 v[6:7], v[116:117], v[252:253]
	v_add_f64 v[2:3], v[2:3], v[6:7]
	s_waitcnt vmcnt(26)
	v_fmac_f64_e32 v[8:9], v[162:163], v[38:39]
	v_add_f64 v[2:3], v[2:3], v[8:9]
	;; [unrolled: 3-line block ×3, first 2 shown]
	v_add_f64 v[2:3], v[2:3], v[12:13]
	v_add_f64 v[2:3], v[2:3], v[68:69]
	buffer_load_dword v109, off, s[0:3], 0 offset:292
	buffer_load_dword v108, off, s[0:3], 0 offset:288
	;; [unrolled: 1-line block ×40, first 2 shown]
	s_waitcnt vmcnt(62)
	v_fmac_f64_e32 v[138:139], v[178:179], v[50:51]
	v_add_f64 v[2:3], v[2:3], v[138:139]
	v_fma_f64 v[252:253], v[114:115], v[252:253], -v[26:27]
	v_fma_f64 v[254:255], v[160:161], v[38:39], -v[28:29]
	;; [unrolled: 1-line block ×3, first 2 shown]
	v_mul_f64 v[42:43], v[178:179], v[42:43]
	v_fma_f64 v[114:115], v[176:177], v[50:51], -v[42:43]
	s_waitcnt vmcnt(58) lgkmcnt(0)
	v_mul_f64 v[42:43], v[182:183], v[48:49]
	v_fma_f64 v[116:117], v[180:181], v[52:53], -v[42:43]
	s_waitcnt vmcnt(0)
	v_pk_mov_b32 v[130:131], v[4:5], v[4:5] op_sel:[0,1]
	buffer_load_dword v5, off, s[0:3], 0 offset:452
	buffer_load_dword v4, off, s[0:3], 0 offset:448
	v_accvgpr_write_b32 a169, v131
	v_accvgpr_write_b32 a168, v130
	s_waitcnt vmcnt(0)
	v_pk_mov_b32 v[8:9], v[4:5], v[4:5] op_sel:[0,1]
	buffer_load_dword v91, off, s[0:3], 0 offset:444
	buffer_load_dword v90, off, s[0:3], 0 offset:440
	;; [unrolled: 1-line block ×6, first 2 shown]
	v_accvgpr_write_b32 a171, v9
	v_accvgpr_write_b32 a170, v8
	s_waitcnt vmcnt(0)
	v_pk_mov_b32 v[118:119], v[4:5], v[4:5] op_sel:[0,1]
	buffer_load_dword v5, off, s[0:3], 0 offset:484
	buffer_load_dword v4, off, s[0:3], 0 offset:480
	v_accvgpr_write_b32 a177, v119
	v_accvgpr_write_b32 a176, v118
	s_waitcnt vmcnt(0)
	v_pk_mov_b32 v[120:121], v[4:5], v[4:5] op_sel:[0,1]
	buffer_load_dword v5, off, s[0:3], 0 offset:476
	buffer_load_dword v4, off, s[0:3], 0 offset:472
	;; [unrolled: 6-line block ×7, first 2 shown]
	ds_read_b128 v[184:187], v1 offset:1088
	ds_read_b128 v[188:191], v1 offset:1104
	ds_read_b128 v[192:195], v1 offset:1120
	ds_read_b128 v[196:199], v1 offset:1136
	ds_read_b128 v[200:203], v1 offset:1152
	ds_read_b128 v[204:207], v1 offset:1168
	ds_read_b128 v[210:213], v1 offset:1184
	ds_read_b128 v[214:217], v1 offset:1200
	ds_read_b128 v[218:221], v1 offset:1216
	buffer_load_dword v19, off, s[0:3], 0 offset:540
	buffer_load_dword v18, off, s[0:3], 0 offset:536
	;; [unrolled: 1-line block ×4, first 2 shown]
	ds_read_b128 v[222:225], v1 offset:1232
	buffer_load_dword v41, off, s[0:3], 0 offset:556
	buffer_load_dword v40, off, s[0:3], 0 offset:552
	;; [unrolled: 1-line block ×12, first 2 shown]
	ds_read_b128 v[226:229], v1 offset:1248
	ds_read_b128 v[230:233], v1 offset:1264
	;; [unrolled: 1-line block ×7, first 2 shown]
	v_accvgpr_write_b32 a181, v127
	v_accvgpr_write_b32 a180, v126
	s_waitcnt lgkmcnt(2)
	v_mul_f64 v[12:13], v[242:243], v[90:91]
	v_fmac_f64_e32 v[12:13], v[244:245], v[92:93]
	v_mul_f64 v[42:43], v[186:187], v[58:59]
	v_mul_f64 v[16:17], v[212:213], v[104:105]
	v_fma_f64 v[16:17], v[210:211], v[106:107], -v[16:17]
	v_mul_f64 v[50:51], v[216:217], v[84:85]
	v_mul_f64 v[90:91], v[244:245], v[90:91]
	v_fma_f64 v[90:91], v[242:243], v[92:93], -v[90:91]
	v_accvgpr_write_b32 a197, v91
	v_accvgpr_write_b32 a196, v90
	s_waitcnt vmcnt(16)
	v_pk_mov_b32 v[128:129], v[4:5], v[4:5] op_sel:[0,1]
	v_mul_f64 v[4:5], v[180:181], v[48:49]
	v_fmac_f64_e32 v[4:5], v[182:183], v[52:53]
	v_add_f64 v[2:3], v[2:3], v[4:5]
	v_mul_f64 v[4:5], v[184:185], v[58:59]
	v_fmac_f64_e32 v[4:5], v[186:187], v[60:61]
	v_add_f64 v[2:3], v[2:3], v[4:5]
	;; [unrolled: 3-line block ×15, first 2 shown]
	v_add_f64 v[10:11], v[10:11], v[12:13]
	s_waitcnt lgkmcnt(1)
	v_mul_f64 v[12:13], v[142:143], v[130:131]
	ds_read_b128 v[130:133], v1 offset:1360
	v_fmac_f64_e32 v[12:13], v[144:145], v[8:9]
	v_add_f64 v[10:11], v[10:11], v[12:13]
	s_waitcnt lgkmcnt(1)
	v_mul_f64 v[12:13], v[146:147], v[122:123]
	v_fmac_f64_e32 v[12:13], v[148:149], v[124:125]
	s_waitcnt lgkmcnt(0)
	v_mul_f64 v[22:23], v[130:131], v[118:119]
	v_add_f64 v[154:155], v[10:11], v[12:13]
	ds_read_b128 v[122:125], v1 offset:1376
	v_fmac_f64_e32 v[22:23], v[132:133], v[120:121]
	v_add_f64 v[22:23], v[154:155], v[22:23]
	ds_read_b128 v[154:157], v1 offset:1392
	v_accvgpr_write_b32 a183, v129
	s_waitcnt lgkmcnt(1)
	v_mul_f64 v[24:25], v[122:123], v[126:127]
	v_fmac_f64_e32 v[24:25], v[124:125], v[128:129]
	v_accvgpr_write_b32 a182, v128
	ds_read_b128 v[126:129], v1 offset:1408
	s_waitcnt lgkmcnt(1)
	v_mul_f64 v[26:27], v[154:155], v[134:135]
	v_fmac_f64_e32 v[26:27], v[156:157], v[158:159]
	buffer_load_dword v159, off, s[0:3], 0 offset:604
	buffer_load_dword v158, off, s[0:3], 0 offset:600
	;; [unrolled: 1-line block ×7, first 2 shown]
	ds_read_b128 v[118:121], v1 offset:1424
	v_add_f64 v[110:111], v[22:23], v[24:25]
	buffer_load_dword v139, off, s[0:3], 0 offset:612
	v_fma_f64 v[24:25], v[164:165], v[32:33], -v[30:31]
	ds_read_b128 v[30:33], v1 offset:1440
	s_waitcnt vmcnt(22) lgkmcnt(2)
	v_mul_f64 v[28:29], v[126:127], v[18:19]
	ds_read_b128 v[34:37], v1 offset:1456
	v_add_f64 v[26:27], v[110:111], v[26:27]
	s_waitcnt vmcnt(20)
	v_fmac_f64_e32 v[28:29], v[128:129], v[14:15]
	s_waitcnt vmcnt(18) lgkmcnt(2)
	v_mul_f64 v[4:5], v[118:119], v[40:41]
	v_add_f64 v[38:39], v[26:27], v[28:29]
	s_waitcnt vmcnt(16)
	v_fmac_f64_e32 v[4:5], v[120:121], v[140:141]
	v_add_f64 v[4:5], v[38:39], v[4:5]
	s_waitcnt vmcnt(13) lgkmcnt(1)
	v_mul_f64 v[38:39], v[30:31], v[6:7]
	s_waitcnt vmcnt(11)
	v_fmac_f64_e32 v[38:39], v[32:33], v[152:153]
	v_add_f64 v[4:5], v[4:5], v[38:39]
	s_waitcnt vmcnt(10) lgkmcnt(0)
	v_mul_f64 v[38:39], v[34:35], v[136:137]
	v_accvgpr_write_b32 a193, v41
	s_waitcnt vmcnt(8)
	v_fmac_f64_e32 v[38:39], v[36:37], v[150:151]
	v_accvgpr_write_b32 a192, v40
	v_add_f64 v[110:111], v[4:5], v[38:39]
	ds_read_b128 v[38:41], v1 offset:1472
	buffer_load_dword v27, off, s[0:3], 0 offset:636
	buffer_load_dword v26, off, s[0:3], 0 offset:632
	;; [unrolled: 1-line block ×9, first 2 shown]
	v_mul_f64 v[4:5], v[174:175], v[44:45]
	v_fma_f64 v[112:113], v[172:173], v[46:47], -v[4:5]
	buffer_load_dword v175, off, s[0:3], 0 offset:668
	buffer_load_dword v174, off, s[0:3], 0 offset:664
	;; [unrolled: 1-line block ×8, first 2 shown]
	v_fma_f64 v[22:23], v[184:185], v[60:61], -v[42:43]
	buffer_load_dword v183, off, s[0:3], 0 offset:700
	buffer_load_dword v182, off, s[0:3], 0 offset:696
	;; [unrolled: 1-line block ×7, first 2 shown]
	v_mul_f64 v[42:43], v[190:191], v[54:55]
	v_fma_f64 v[20:21], v[188:189], v[56:57], -v[42:43]
	buffer_load_dword v187, off, s[0:3], 0 offset:732
	buffer_load_dword v186, off, s[0:3], 0 offset:728
	;; [unrolled: 1-line block ×4, first 2 shown]
	v_accvgpr_write_b32 a189, v19
	v_accvgpr_write_b32 a191, v15
	v_mul_f64 v[42:43], v[194:195], v[96:97]
	v_mul_f64 v[12:13], v[198:199], v[64:65]
	v_accvgpr_write_b32 a188, v18
	v_accvgpr_write_b32 a190, v14
	v_fma_f64 v[18:19], v[192:193], v[98:99], -v[42:43]
	v_fma_f64 v[14:15], v[196:197], v[66:67], -v[12:13]
	buffer_load_dword v191, off, s[0:3], 0 offset:748
	buffer_load_dword v190, off, s[0:3], 0 offset:744
	;; [unrolled: 1-line block ×8, first 2 shown]
	v_mul_f64 v[42:43], v[202:203], v[208:209]
	v_fma_f64 v[246:247], v[200:201], v[246:247], -v[42:43]
	buffer_load_dword v201, off, s[0:3], 0 offset:780
	buffer_load_dword v200, off, s[0:3], 0 offset:776
	;; [unrolled: 1-line block ×4, first 2 shown]
	v_mul_f64 v[42:43], v[206:207], v[62:63]
	v_fma_f64 v[12:13], v[204:205], v[108:109], -v[42:43]
	buffer_load_dword v198, off, s[0:3], 0 offset:808
	buffer_load_dword v207, off, s[0:3], 0 offset:796
	;; [unrolled: 1-line block ×8, first 2 shown]
	ds_read_b128 v[42:45], v1 offset:1488
	buffer_load_dword v211, off, s[0:3], 0 offset:828
	buffer_load_dword v210, off, s[0:3], 0 offset:824
	;; [unrolled: 1-line block ×4, first 2 shown]
	v_fma_f64 v[214:215], v[214:215], v[94:95], -v[50:51]
	ds_read_b128 v[50:53], v1 offset:1520
	v_mul_f64 v[62:63], v[224:225], v[68:69]
	v_fma_f64 v[8:9], v[222:223], v[70:71], -v[62:63]
	ds_read_b128 v[62:65], v1 offset:1568
	v_accvgpr_write_b32 a195, v7
	v_accvgpr_write_b32 a194, v6
	v_mul_f64 v[74:75], v[232:233], v[74:75]
	v_fma_f64 v[4:5], v[230:231], v[76:77], -v[74:75]
	v_mul_f64 v[78:79], v[236:237], v[78:79]
	v_fma_f64 v[2:3], v[234:235], v[80:81], -v[78:79]
	ds_read_b128 v[78:81], v1 offset:1632
	v_mul_f64 v[86:87], v[240:241], v[86:87]
	ds_read_b128 v[74:77], v1 offset:1616
	ds_read_b128 v[90:93], v1 offset:1680
	s_waitcnt vmcnt(58) lgkmcnt(6)
	v_mul_f64 v[46:47], v[38:39], v[158:159]
	s_waitcnt vmcnt(54)
	v_fmac_f64_e32 v[46:47], v[40:41], v[160:161]
	s_waitcnt vmcnt(53) lgkmcnt(5)
	v_mul_f64 v[48:49], v[42:43], v[134:135]
	v_add_f64 v[46:47], v[110:111], v[46:47]
	s_waitcnt vmcnt(52)
	v_fmac_f64_e32 v[48:49], v[44:45], v[138:139]
	v_add_f64 v[54:55], v[46:47], v[48:49]
	ds_read_b128 v[46:49], v1 offset:1504
	s_waitcnt vmcnt(50) lgkmcnt(0)
	v_mul_f64 v[56:57], v[46:47], v[26:27]
	s_waitcnt vmcnt(48)
	v_fmac_f64_e32 v[56:57], v[48:49], v[168:169]
	v_add_f64 v[58:59], v[54:55], v[56:57]
	v_mul_f64 v[54:55], v[220:221], v[100:101]
	v_fma_f64 v[10:11], v[218:219], v[102:103], -v[54:55]
	ds_read_b128 v[54:57], v1 offset:1536
	s_waitcnt vmcnt(46)
	v_mul_f64 v[60:61], v[50:51], v[166:167]
	s_waitcnt vmcnt(44)
	v_fmac_f64_e32 v[60:61], v[52:53], v[170:171]
	v_add_f64 v[66:67], v[58:59], v[60:61]
	ds_read_b128 v[58:61], v1 offset:1552
	s_waitcnt vmcnt(41) lgkmcnt(1)
	v_mul_f64 v[68:69], v[54:55], v[174:175]
	s_waitcnt vmcnt(39)
	v_fmac_f64_e32 v[68:69], v[56:57], v[178:179]
	v_add_f64 v[70:71], v[66:67], v[68:69]
	v_mul_f64 v[66:67], v[228:229], v[72:73]
	v_fma_f64 v[6:7], v[226:227], v[82:83], -v[66:67]
	ds_read_b128 v[66:69], v1 offset:1584
	s_waitcnt vmcnt(38) lgkmcnt(1)
	v_mul_f64 v[84:85], v[58:59], v[164:165]
	s_waitcnt vmcnt(36)
	v_fmac_f64_e32 v[84:85], v[60:61], v[176:177]
	s_waitcnt vmcnt(33)
	v_mul_f64 v[72:73], v[62:63], v[182:183]
	v_add_f64 v[70:71], v[70:71], v[84:85]
	s_waitcnt vmcnt(31)
	v_fmac_f64_e32 v[72:73], v[64:65], v[184:185]
	v_add_f64 v[70:71], v[70:71], v[72:73]
	s_waitcnt vmcnt(29) lgkmcnt(0)
	v_mul_f64 v[72:73], v[66:67], v[172:173]
	s_waitcnt vmcnt(28)
	v_fmac_f64_e32 v[72:73], v[68:69], v[180:181]
	v_add_f64 v[82:83], v[70:71], v[72:73]
	ds_read_b128 v[70:73], v1 offset:1600
	v_fma_f64 v[228:229], v[238:239], v[88:89], -v[86:87]
	ds_read_b128 v[86:89], v1 offset:1664
	s_waitcnt vmcnt(26) lgkmcnt(1)
	v_mul_f64 v[84:85], v[70:71], v[186:187]
	s_waitcnt vmcnt(24)
	v_fmac_f64_e32 v[84:85], v[72:73], v[188:189]
	v_add_f64 v[28:29], v[82:83], v[84:85]
	s_waitcnt vmcnt(22)
	v_mul_f64 v[82:83], v[74:75], v[190:191]
	s_waitcnt vmcnt(20)
	v_fmac_f64_e32 v[82:83], v[76:77], v[194:195]
	v_add_f64 v[28:29], v[28:29], v[82:83]
	s_waitcnt vmcnt(18)
	v_mul_f64 v[82:83], v[78:79], v[192:193]
	s_waitcnt vmcnt(16)
	v_fmac_f64_e32 v[82:83], v[80:81], v[196:197]
	v_add_f64 v[28:29], v[28:29], v[82:83]
	ds_read_b128 v[82:85], v1 offset:1648
	s_waitcnt vmcnt(14) lgkmcnt(0)
	v_mul_f64 v[94:95], v[82:83], v[200:201]
	s_waitcnt vmcnt(12)
	v_fmac_f64_e32 v[94:95], v[84:85], v[202:203]
	v_add_f64 v[28:29], v[28:29], v[94:95]
	s_waitcnt vmcnt(9)
	v_mul_f64 v[94:95], v[86:87], v[206:207]
	s_waitcnt vmcnt(7)
	v_fmac_f64_e32 v[94:95], v[88:89], v[208:209]
	v_add_f64 v[28:29], v[28:29], v[94:95]
	s_waitcnt vmcnt(5)
	v_mul_f64 v[94:95], v[90:91], v[198:199]
	s_waitcnt vmcnt(4)
	v_fmac_f64_e32 v[94:95], v[92:93], v[204:205]
	v_add_f64 v[28:29], v[28:29], v[94:95]
	ds_read_b128 v[94:97], v1 offset:1696
	s_waitcnt vmcnt(2) lgkmcnt(0)
	v_mul_f64 v[98:99], v[94:95], v[210:211]
	s_waitcnt vmcnt(0)
	v_fmac_f64_e32 v[98:99], v[96:97], v[212:213]
	v_add_f64 v[102:103], v[28:29], v[98:99]
	buffer_load_dword v28, off, s[0:3], 0 offset:840
	buffer_load_dword v29, off, s[0:3], 0 offset:844
	;; [unrolled: 1-line block ×4, first 2 shown]
	ds_read_b128 v[98:101], v1 offset:1712
	buffer_load_dword v231, off, s[0:3], 0 offset:860
	buffer_load_dword v230, off, s[0:3], 0 offset:856
	buffer_load_dword v233, off, s[0:3], 0 offset:852
	buffer_load_dword v232, off, s[0:3], 0 offset:848
	s_waitcnt vmcnt(6) lgkmcnt(0)
	v_mul_f64 v[104:105], v[98:99], v[28:29]
	s_waitcnt vmcnt(4)
	v_fmac_f64_e32 v[104:105], v[100:101], v[216:217]
	v_add_f64 v[106:107], v[102:103], v[104:105]
	ds_read_b128 v[102:105], v1 offset:1728
	buffer_load_dword v234, off, s[0:3], 0 offset:872
	buffer_load_dword v235, off, s[0:3], 0 offset:876
	buffer_load_dword v236, off, s[0:3], 0 offset:864
	buffer_load_dword v237, off, s[0:3], 0 offset:868
	s_waitcnt vmcnt(6) lgkmcnt(0)
	v_mul_f64 v[108:109], v[102:103], v[230:231]
	s_waitcnt vmcnt(4)
	v_fmac_f64_e32 v[108:109], v[104:105], v[232:233]
	v_add_f64 v[110:111], v[106:107], v[108:109]
	;; [unrolled: 10-line block ×3, first 2 shown]
	ds_read_b128 v[220:223], v1 offset:1760
	s_waitcnt vmcnt(2) lgkmcnt(0)
	v_mul_f64 v[224:225], v[220:221], v[238:239]
	s_waitcnt vmcnt(0)
	v_fmac_f64_e32 v[224:225], v[222:223], v[240:241]
	v_add_f64 v[242:243], v[110:111], v[224:225]
	buffer_load_dword v244, off, s[0:3], 0 offset:904
	buffer_load_dword v245, off, s[0:3], 0 offset:908
	;; [unrolled: 1-line block ×4, first 2 shown]
	ds_read_b128 v[224:227], v1 offset:1776
	s_waitcnt vmcnt(2) lgkmcnt(0)
	v_mul_f64 v[218:219], v[224:225], v[244:245]
	s_waitcnt vmcnt(0)
	v_fmac_f64_e32 v[218:219], v[226:227], v[110:111]
	v_add_f64 v[242:243], v[242:243], v[218:219]
	v_add_f64 v[218:219], v[248:249], 0
	;; [unrolled: 1-line block ×18, first 2 shown]
	buffer_load_dword v250, off, s[0:3], 0 offset:48
	buffer_load_dword v251, off, s[0:3], 0 offset:52
	v_add_f64 v[10:11], v[12:13], v[10:11]
	buffer_load_dword v248, off, s[0:3], 0 offset:56
	buffer_load_dword v249, off, s[0:3], 0 offset:60
	v_add_f64 v[8:9], v[10:11], v[8:9]
	v_add_f64 v[6:7], v[8:9], v[6:7]
	;; [unrolled: 1-line block ×4, first 2 shown]
	v_accvgpr_read_b32 v4, a168
	v_add_f64 v[252:253], v[2:3], v[228:229]
	v_accvgpr_read_b32 v2, a196
	v_accvgpr_read_b32 v5, a169
	;; [unrolled: 1-line block ×4, first 2 shown]
	v_mul_f64 v[4:5], v[144:145], v[4:5]
	v_accvgpr_read_b32 v7, a171
	v_add_f64 v[2:3], v[252:253], v[2:3]
	v_fma_f64 v[4:5], v[142:143], v[6:7], -v[4:5]
	v_add_f64 v[2:3], v[2:3], v[4:5]
	v_accvgpr_read_b32 v4, a172
	v_accvgpr_read_b32 v5, a173
	v_accvgpr_read_b32 v6, a174
	v_mul_f64 v[4:5], v[148:149], v[4:5]
	v_accvgpr_read_b32 v7, a175
	v_fma_f64 v[4:5], v[146:147], v[6:7], -v[4:5]
	v_add_f64 v[2:3], v[2:3], v[4:5]
	v_accvgpr_read_b32 v4, a176
	v_accvgpr_read_b32 v5, a177
	v_accvgpr_read_b32 v6, a178
	v_mul_f64 v[4:5], v[132:133], v[4:5]
	v_accvgpr_read_b32 v7, a179
	;; [unrolled: 7-line block ×5, first 2 shown]
	v_fma_f64 v[4:5], v[126:127], v[6:7], -v[4:5]
	v_add_f64 v[2:3], v[2:3], v[4:5]
	v_accvgpr_read_b32 v4, a192
	v_accvgpr_read_b32 v5, a193
	v_mul_f64 v[4:5], v[120:121], v[4:5]
	v_fma_f64 v[4:5], v[118:119], v[140:141], -v[4:5]
	v_add_f64 v[2:3], v[2:3], v[4:5]
	v_accvgpr_read_b32 v4, a194
	v_accvgpr_read_b32 v5, a195
	v_mul_f64 v[4:5], v[32:33], v[4:5]
	v_fma_f64 v[4:5], v[30:31], v[152:153], -v[4:5]
	v_add_f64 v[2:3], v[2:3], v[4:5]
	v_mul_f64 v[4:5], v[36:37], v[136:137]
	v_fma_f64 v[4:5], v[34:35], v[150:151], -v[4:5]
	v_add_f64 v[2:3], v[2:3], v[4:5]
	;; [unrolled: 3-line block ×22, first 2 shown]
	s_waitcnt vmcnt(2)
	v_add_f64 v[2:3], v[250:251], -v[2:3]
	s_waitcnt vmcnt(0)
	v_add_f64 v[4:5], v[248:249], -v[242:243]
	buffer_store_dword v3, off, s[0:3], 0 offset:52
	buffer_store_dword v2, off, s[0:3], 0 offset:48
	;; [unrolled: 1-line block ×4, first 2 shown]
	s_and_saveexec_b64 s[4:5], vcc
	s_cbranch_execz .LBB55_347
; %bb.346:
	v_accvgpr_read_b32 v5, a166
	buffer_load_dword v2, v5, s[0:3], 0 offen
	buffer_load_dword v3, v5, s[0:3], 0 offen offset:4
	buffer_load_dword v4, v5, s[0:3], 0 offen offset:8
	s_nop 0
	buffer_load_dword v5, v5, s[0:3], 0 offen offset:12
	v_accvgpr_read_b32 v6, a167
	buffer_store_dword v1, off, s[0:3], 0 offset:32
	buffer_store_dword v1, off, s[0:3], 0 offset:36
	;; [unrolled: 1-line block ×4, first 2 shown]
	s_waitcnt vmcnt(4)
	ds_write_b128 v6, v[2:5]
.LBB55_347:
	s_or_b64 exec, exec, s[4:5]
	s_waitcnt lgkmcnt(0)
	; wave barrier
	s_waitcnt lgkmcnt(0)
	buffer_load_dword v140, off, s[0:3], 0 offset:48
	buffer_load_dword v141, off, s[0:3], 0 offset:52
	;; [unrolled: 1-line block ×42, first 2 shown]
	ds_read_b128 v[230:233], v1 offset:928
	ds_read_b128 v[26:29], v1 offset:944
	;; [unrolled: 1-line block ×10, first 2 shown]
	buffer_load_dword v105, off, s[0:3], 0 offset:196
	buffer_load_dword v104, off, s[0:3], 0 offset:192
	ds_read_b128 v[42:45], v1 offset:1088
	buffer_load_dword v65, off, s[0:3], 0 offset:252
	buffer_load_dword v64, off, s[0:3], 0 offset:248
	;; [unrolled: 1-line block ×6, first 2 shown]
	v_cmp_ne_u32_e32 vcc, 0, v0
	s_waitcnt vmcnt(46) lgkmcnt(10)
	v_mul_f64 v[2:3], v[230:231], v[8:9]
	v_fmac_f64_e32 v[2:3], v[232:233], v[140:141]
	v_add_f64 v[2:3], v[2:3], 0
	v_mul_f64 v[8:9], v[232:233], v[8:9]
	s_waitcnt vmcnt(42) lgkmcnt(9)
	v_mul_f64 v[4:5], v[26:27], v[12:13]
	v_fmac_f64_e32 v[4:5], v[28:29], v[138:139]
	s_waitcnt vmcnt(40) lgkmcnt(8)
	v_mul_f64 v[66:67], v[106:107], v[18:19]
	v_add_f64 v[2:3], v[2:3], v[4:5]
	s_waitcnt vmcnt(38) lgkmcnt(6)
	v_mul_f64 v[72:73], v[114:115], v[30:31]
	v_mul_f64 v[12:13], v[28:29], v[12:13]
	s_waitcnt vmcnt(36)
	v_fmac_f64_e32 v[72:73], v[116:117], v[32:33]
	v_fma_f64 v[254:255], v[230:231], v[140:141], -v[8:9]
	s_waitcnt vmcnt(34)
	v_mul_f64 v[68:69], v[110:111], v[22:23]
	v_fma_f64 v[28:29], v[26:27], v[138:139], -v[12:13]
	s_waitcnt vmcnt(32) lgkmcnt(4)
	v_mul_f64 v[76:77], v[154:155], v[38:39]
	v_mul_f64 v[18:19], v[108:109], v[18:19]
	s_waitcnt vmcnt(30)
	v_fmac_f64_e32 v[76:77], v[156:157], v[40:41]
	v_mul_f64 v[22:23], v[112:113], v[22:23]
	s_waitcnt vmcnt(28)
	v_mul_f64 v[74:75], v[146:147], v[34:35]
	v_mul_f64 v[34:35], v[148:149], v[34:35]
	s_waitcnt vmcnt(26) lgkmcnt(2)
	v_mul_f64 v[80:81], v[162:163], v[52:53]
	v_mul_f64 v[30:31], v[116:117], v[30:31]
	;; [unrolled: 1-line block ×3, first 2 shown]
	s_waitcnt vmcnt(23)
	v_mul_f64 v[78:79], v[158:159], v[56:57]
	s_waitcnt vmcnt(21) lgkmcnt(1)
	v_mul_f64 v[134:135], v[46:47], v[50:51]
	v_mul_f64 v[12:13], v[48:49], v[50:51]
	s_waitcnt vmcnt(19)
	v_fmac_f64_e32 v[66:67], v[108:109], v[20:21]
	v_add_f64 v[2:3], v[2:3], v[66:67]
	s_waitcnt vmcnt(17)
	v_fmac_f64_e32 v[68:69], v[112:113], v[24:25]
	v_add_f64 v[2:3], v[2:3], v[68:69]
	;; [unrolled: 3-line block ×3, first 2 shown]
	v_add_f64 v[2:3], v[2:3], v[74:75]
	s_waitcnt vmcnt(13)
	v_fmac_f64_e32 v[78:79], v[160:161], v[58:59]
	v_add_f64 v[2:3], v[2:3], v[76:77]
	s_waitcnt vmcnt(12)
	v_fmac_f64_e32 v[80:81], v[164:165], v[54:55]
	v_add_f64 v[2:3], v[2:3], v[78:79]
	v_add_f64 v[2:3], v[2:3], v[80:81]
	buffer_load_dword v177, off, s[0:3], 0 offset:228
	buffer_load_dword v176, off, s[0:3], 0 offset:224
	;; [unrolled: 1-line block ×52, first 2 shown]
	s_waitcnt vmcnt(58)
	v_fmac_f64_e32 v[134:135], v[48:49], v[104:105]
	v_add_f64 v[2:3], v[2:3], v[134:135]
	v_fma_f64 v[108:109], v[114:115], v[32:33], -v[30:31]
	s_waitcnt vmcnt(0)
	v_pk_mov_b32 v[118:119], v[4:5], v[4:5] op_sel:[0,1]
	buffer_load_dword v5, off, s[0:3], 0 offset:468
	buffer_load_dword v4, off, s[0:3], 0 offset:464
	v_accvgpr_write_b32 a173, v119
	v_accvgpr_write_b32 a172, v118
	s_waitcnt vmcnt(0)
	v_pk_mov_b32 v[120:121], v[4:5], v[4:5] op_sel:[0,1]
	buffer_load_dword v5, off, s[0:3], 0 offset:460
	buffer_load_dword v4, off, s[0:3], 0 offset:456
	v_accvgpr_write_b32 a175, v121
	v_accvgpr_write_b32 a174, v120
	;; [unrolled: 6-line block ×10, first 2 shown]
	s_waitcnt vmcnt(0)
	v_pk_mov_b32 v[174:175], v[4:5], v[4:5] op_sel:[0,1]
	buffer_load_dword v5, off, s[0:3], 0 offset:516
	buffer_load_dword v4, off, s[0:3], 0 offset:512
	ds_read_b128 v[166:169], v1 offset:1104
	ds_read_b128 v[182:185], v1 offset:1120
	;; [unrolled: 1-line block ×7, first 2 shown]
	buffer_load_dword v135, off, s[0:3], 0 offset:556
	buffer_load_dword v134, off, s[0:3], 0 offset:552
	v_accvgpr_write_b32 a189, v175
	v_accvgpr_write_b32 a188, v174
	s_waitcnt vmcnt(2)
	v_pk_mov_b32 v[178:179], v[4:5], v[4:5] op_sel:[0,1]
	s_waitcnt lgkmcnt(7)
	v_mul_f64 v[4:5], v[42:43], v[60:61]
	v_fmac_f64_e32 v[4:5], v[44:45], v[62:63]
	v_add_f64 v[2:3], v[2:3], v[4:5]
	s_waitcnt lgkmcnt(6)
	v_mul_f64 v[4:5], v[166:167], v[170:171]
	v_fmac_f64_e32 v[4:5], v[168:169], v[176:177]
	v_add_f64 v[2:3], v[2:3], v[4:5]
	s_waitcnt lgkmcnt(5)
	v_mul_f64 v[4:5], v[182:183], v[64:65]
	s_waitcnt vmcnt(0)
	v_pk_mov_b32 v[180:181], v[134:135], v[134:135] op_sel:[0,1]
	buffer_load_dword v135, off, s[0:3], 0 offset:548
	buffer_load_dword v134, off, s[0:3], 0 offset:544
	ds_read_b128 v[210:213], v1 offset:1216
	buffer_load_dword v136, off, s[0:3], 0 offset:568
	buffer_load_dword v137, off, s[0:3], 0 offset:572
	;; [unrolled: 1-line block ×4, first 2 shown]
	ds_read_b128 v[214:217], v1 offset:1232
	ds_read_b128 v[218:221], v1 offset:1248
	;; [unrolled: 1-line block ×4, first 2 shown]
	buffer_load_dword v7, off, s[0:3], 0 offset:588
	buffer_load_dword v6, off, s[0:3], 0 offset:584
	;; [unrolled: 1-line block ×4, first 2 shown]
	v_fmac_f64_e32 v[4:5], v[184:185], v[70:71]
	v_add_f64 v[2:3], v[2:3], v[4:5]
	s_waitcnt lgkmcnt(9)
	v_mul_f64 v[4:5], v[186:187], v[246:247]
	v_fmac_f64_e32 v[4:5], v[188:189], v[248:249]
	v_add_f64 v[2:3], v[2:3], v[4:5]
	s_waitcnt lgkmcnt(8)
	v_mul_f64 v[4:5], v[190:191], v[198:199]
	;; [unrolled: 4-line block ×8, first 2 shown]
	v_fmac_f64_e32 v[4:5], v[220:221], v[68:69]
	ds_read_b128 v[238:241], v1 offset:1296
	ds_read_b128 v[242:245], v1 offset:1312
	v_add_f64 v[2:3], v[2:3], v[4:5]
	s_waitcnt lgkmcnt(3)
	v_mul_f64 v[4:5], v[222:223], v[72:73]
	v_fmac_f64_e32 v[4:5], v[224:225], v[74:75]
	v_add_f64 v[2:3], v[2:3], v[4:5]
	s_waitcnt lgkmcnt(2)
	v_mul_f64 v[4:5], v[226:227], v[78:79]
	ds_read_b128 v[142:145], v1 offset:1328
	ds_read_b128 v[230:233], v1 offset:1344
	v_fmac_f64_e32 v[4:5], v[228:229], v[80:81]
	ds_read_b128 v[138:141], v1 offset:1360
	ds_read_b128 v[234:237], v1 offset:1376
	v_add_f64 v[2:3], v[2:3], v[4:5]
	s_waitcnt lgkmcnt(5)
	v_mul_f64 v[4:5], v[238:239], v[82:83]
	v_fmac_f64_e32 v[4:5], v[240:241], v[84:85]
	v_add_f64 v[2:3], v[2:3], v[4:5]
	s_waitcnt lgkmcnt(4)
	v_mul_f64 v[4:5], v[242:243], v[90:91]
	v_fmac_f64_e32 v[4:5], v[244:245], v[92:93]
	s_waitcnt lgkmcnt(3)
	v_mul_f64 v[14:15], v[142:143], v[126:127]
	v_add_f64 v[150:151], v[2:3], v[4:5]
	v_fmac_f64_e32 v[14:15], v[144:145], v[128:129]
	s_waitcnt lgkmcnt(2)
	v_mul_f64 v[4:5], v[230:231], v[118:119]
	s_waitcnt lgkmcnt(1)
	v_mul_f64 v[26:27], v[138:139], v[130:131]
	v_add_f64 v[14:15], v[150:151], v[14:15]
	v_fmac_f64_e32 v[4:5], v[232:233], v[120:121]
	v_fmac_f64_e32 v[26:27], v[140:141], v[132:133]
	ds_read_b128 v[130:133], v1 offset:1392
	ds_read_b128 v[126:129], v1 offset:1408
	v_add_f64 v[4:5], v[14:15], v[4:5]
	v_add_f64 v[4:5], v[4:5], v[26:27]
	s_waitcnt lgkmcnt(2)
	v_mul_f64 v[26:27], v[234:235], v[122:123]
	v_fmac_f64_e32 v[26:27], v[236:237], v[124:125]
	ds_read_b128 v[122:125], v1 offset:1424
	ds_read_b128 v[118:121], v1 offset:1440
	v_add_f64 v[4:5], v[4:5], v[26:27]
	s_waitcnt lgkmcnt(3)
	v_mul_f64 v[26:27], v[130:131], v[174:175]
	v_fmac_f64_e32 v[26:27], v[132:133], v[178:179]
	v_add_f64 v[4:5], v[4:5], v[26:27]
	s_waitcnt lgkmcnt(2)
	v_mul_f64 v[26:27], v[126:127], v[152:153]
	v_fma_f64 v[150:151], v[106:107], v[20:21], -v[18:19]
	v_fma_f64 v[106:107], v[110:111], v[24:25], -v[22:23]
	v_fmac_f64_e32 v[26:27], v[128:129], v[172:173]
	s_waitcnt lgkmcnt(1)
	v_mul_f64 v[110:111], v[122:123], v[180:181]
	v_add_f64 v[4:5], v[4:5], v[26:27]
	v_fma_f64 v[18:19], v[162:163], v[54:55], -v[52:53]
	v_accvgpr_write_b32 a191, v179
	s_waitcnt vmcnt(8)
	v_fmac_f64_e32 v[110:111], v[124:125], v[134:135]
	v_add_f64 v[4:5], v[4:5], v[110:111]
	s_waitcnt vmcnt(6) lgkmcnt(0)
	v_mul_f64 v[112:113], v[118:119], v[136:137]
	v_fma_f64 v[110:111], v[146:147], v[36:37], -v[34:35]
	ds_read_b128 v[34:37], v1 offset:1456
	buffer_load_dword v147, off, s[0:3], 0 offset:604
	buffer_load_dword v146, off, s[0:3], 0 offset:600
	s_waitcnt vmcnt(6)
	v_fmac_f64_e32 v[112:113], v[120:121], v[10:11]
	v_add_f64 v[112:113], v[4:5], v[112:113]
	buffer_load_dword v153, off, s[0:3], 0 offset:596
	buffer_load_dword v152, off, s[0:3], 0 offset:592
	v_mul_f64 v[4:5], v[156:157], v[38:39]
	v_fma_f64 v[172:173], v[154:155], v[40:41], -v[4:5]
	buffer_load_dword v148, off, s[0:3], 0 offset:632
	buffer_load_dword v30, off, s[0:3], 0 offset:624
	;; [unrolled: 1-line block ×8, first 2 shown]
	v_mul_f64 v[38:39], v[160:161], v[56:57]
	v_fma_f64 v[20:21], v[158:159], v[58:59], -v[38:39]
	ds_read_b128 v[38:41], v1 offset:1472
	buffer_load_dword v159, off, s[0:3], 0 offset:652
	buffer_load_dword v158, off, s[0:3], 0 offset:648
	;; [unrolled: 1-line block ×8, first 2 shown]
	s_waitcnt vmcnt(22) lgkmcnt(1)
	v_mul_f64 v[8:9], v[34:35], v[6:7]
	v_accvgpr_write_b32 a197, v137
	s_waitcnt vmcnt(20)
	v_fmac_f64_e32 v[8:9], v[36:37], v[16:17]
	v_accvgpr_write_b32 a196, v136
	v_pk_mov_b32 v[136:137], v[16:17], v[16:17] op_sel:[0,1]
	v_add_f64 v[8:9], v[112:113], v[8:9]
	v_mul_f64 v[16:17], v[168:169], v[170:171]
	buffer_load_dword v169, off, s[0:3], 0 offset:684
	buffer_load_dword v168, off, s[0:3], 0 offset:680
	;; [unrolled: 1-line block ×8, first 2 shown]
	v_accvgpr_write_b32 a193, v181
	v_accvgpr_write_b32 a190, v178
	;; [unrolled: 1-line block ×3, first 2 shown]
	v_fma_f64 v[16:17], v[166:167], v[176:177], -v[16:17]
	buffer_load_dword v166, off, s[0:3], 0 offset:728
	buffer_load_dword v179, off, s[0:3], 0 offset:716
	;; [unrolled: 1-line block ×8, first 2 shown]
	v_mul_f64 v[44:45], v[44:45], v[60:61]
	v_accvgpr_write_b32 a199, v11
	v_fma_f64 v[14:15], v[46:47], v[104:105], -v[12:13]
	v_fma_f64 v[12:13], v[42:43], v[62:63], -v[44:45]
	v_mul_f64 v[42:43], v[184:185], v[64:65]
	v_accvgpr_write_b32 a198, v10
	v_fma_f64 v[10:11], v[182:183], v[70:71], -v[42:43]
	buffer_load_dword v183, off, s[0:3], 0 offset:748
	buffer_load_dword v182, off, s[0:3], 0 offset:744
	;; [unrolled: 1-line block ×4, first 2 shown]
	v_mul_f64 v[42:43], v[192:193], v[198:199]
	v_mul_f64 v[26:27], v[188:189], v[246:247]
	v_fma_f64 v[246:247], v[190:191], v[200:201], -v[42:43]
	buffer_load_dword v188, off, s[0:3], 0 offset:760
	buffer_load_dword v190, off, s[0:3], 0 offset:752
	;; [unrolled: 1-line block ×4, first 2 shown]
	v_mul_f64 v[42:43], v[196:197], v[250:251]
	v_accvgpr_write_b32 a195, v135
	v_fma_f64 v[26:27], v[186:187], v[248:249], -v[26:27]
	v_fma_f64 v[250:251], v[194:195], v[252:253], -v[42:43]
	buffer_load_dword v187, off, s[0:3], 0 offset:796
	buffer_load_dword v193, off, s[0:3], 0 offset:780
	;; [unrolled: 1-line block ×12, first 2 shown]
	ds_read_b128 v[42:45], v1 offset:1488
	v_mul_f64 v[46:47], v[204:205], v[96:97]
	v_accvgpr_write_b32 a194, v134
	v_pk_mov_b32 v[134:135], v[6:7], v[6:7] op_sel:[0,1]
	v_fma_f64 v[6:7], v[202:203], v[98:99], -v[46:47]
	v_mul_f64 v[46:47], v[208:209], v[100:101]
	buffer_load_dword v202, off, s[0:3], 0 offset:824
	buffer_load_dword v204, off, s[0:3], 0 offset:816
	;; [unrolled: 1-line block ×4, first 2 shown]
	v_fma_f64 v[252:253], v[206:207], v[102:103], -v[46:47]
	ds_read_b128 v[46:49], v1 offset:1504
	ds_read_b128 v[50:53], v1 offset:1520
	;; [unrolled: 1-line block ×5, first 2 shown]
	v_mul_f64 v[70:71], v[224:225], v[72:73]
	s_waitcnt vmcnt(58) lgkmcnt(6)
	v_mul_f64 v[24:25], v[38:39], v[146:147]
	s_waitcnt vmcnt(56)
	v_fmac_f64_e32 v[24:25], v[40:41], v[152:153]
	v_add_f64 v[8:9], v[8:9], v[24:25]
	s_waitcnt vmcnt(52) lgkmcnt(5)
	v_mul_f64 v[24:25], v[42:43], v[154:155]
	s_waitcnt vmcnt(50)
	v_fmac_f64_e32 v[24:25], v[44:45], v[156:157]
	v_add_f64 v[8:9], v[8:9], v[24:25]
	;; [unrolled: 5-line block ×3, first 2 shown]
	v_mul_f64 v[24:25], v[212:213], v[76:77]
	s_waitcnt vmcnt(46) lgkmcnt(3)
	v_mul_f64 v[22:23], v[50:51], v[158:159]
	v_fma_f64 v[4:5], v[210:211], v[86:87], -v[24:25]
	s_waitcnt vmcnt(44)
	v_fmac_f64_e32 v[22:23], v[52:53], v[162:163]
	s_waitcnt vmcnt(41) lgkmcnt(2)
	v_mul_f64 v[24:25], v[54:55], v[160:161]
	v_add_f64 v[8:9], v[8:9], v[22:23]
	s_waitcnt vmcnt(40)
	v_fmac_f64_e32 v[24:25], v[56:57], v[164:165]
	v_add_f64 v[8:9], v[8:9], v[24:25]
	v_mul_f64 v[24:25], v[220:221], v[66:67]
	v_mul_f64 v[22:23], v[216:217], v[88:89]
	v_fma_f64 v[216:217], v[218:219], v[68:69], -v[24:25]
	ds_read_b128 v[66:69], v1 offset:1584
	s_waitcnt vmcnt(38) lgkmcnt(2)
	v_mul_f64 v[24:25], v[58:59], v[168:169]
	s_waitcnt vmcnt(36)
	v_fmac_f64_e32 v[24:25], v[60:61], v[112:113]
	v_fma_f64 v[218:219], v[222:223], v[74:75], -v[70:71]
	ds_read_b128 v[70:73], v1 offset:1600
	ds_read_b128 v[74:77], v1 offset:1616
	v_add_f64 v[8:9], v[8:9], v[24:25]
	s_waitcnt vmcnt(34) lgkmcnt(3)
	v_mul_f64 v[24:25], v[62:63], v[170:171]
	s_waitcnt vmcnt(32)
	v_fmac_f64_e32 v[24:25], v[64:65], v[174:175]
	v_add_f64 v[8:9], v[8:9], v[24:25]
	s_waitcnt vmcnt(29) lgkmcnt(2)
	v_mul_f64 v[24:25], v[66:67], v[178:179]
	s_waitcnt vmcnt(27)
	v_fmac_f64_e32 v[24:25], v[68:69], v[180:181]
	;; [unrolled: 5-line block ×3, first 2 shown]
	v_add_f64 v[8:9], v[8:9], v[24:25]
	v_mul_f64 v[24:25], v[228:229], v[78:79]
	v_fma_f64 v[2:3], v[226:227], v[80:81], -v[24:25]
	ds_read_b128 v[78:81], v1 offset:1632
	s_waitcnt vmcnt(22) lgkmcnt(1)
	v_mul_f64 v[24:25], v[74:75], v[182:183]
	s_waitcnt vmcnt(20)
	v_fmac_f64_e32 v[24:25], v[76:77], v[184:185]
	v_add_f64 v[8:9], v[8:9], v[24:25]
	v_mul_f64 v[24:25], v[240:241], v[82:83]
	v_fma_f64 v[24:25], v[238:239], v[84:85], -v[24:25]
	ds_read_b128 v[82:85], v1 offset:1648
	s_waitcnt vmcnt(17) lgkmcnt(1)
	v_mul_f64 v[32:33], v[78:79], v[188:189]
	s_waitcnt vmcnt(16)
	v_fmac_f64_e32 v[32:33], v[80:81], v[190:191]
	v_add_f64 v[8:9], v[8:9], v[32:33]
	v_mul_f64 v[32:33], v[244:245], v[90:91]
	v_fma_f64 v[22:23], v[214:215], v[94:95], -v[22:23]
	ds_read_b128 v[86:89], v1 offset:1664
	v_fma_f64 v[220:221], v[242:243], v[92:93], -v[32:33]
	ds_read_b128 v[90:93], v1 offset:1680
	ds_read_b128 v[94:97], v1 offset:1696
	buffer_load_dword v207, off, s[0:3], 0 offset:844
	buffer_load_dword v206, off, s[0:3], 0 offset:840
	buffer_load_dword v209, off, s[0:3], 0 offset:836
	buffer_load_dword v208, off, s[0:3], 0 offset:832
	ds_read_b128 v[98:101], v1 offset:1712
	buffer_load_dword v210, off, s[0:3], 0 offset:856
	buffer_load_dword v211, off, s[0:3], 0 offset:860
	buffer_load_dword v212, off, s[0:3], 0 offset:848
	buffer_load_dword v213, off, s[0:3], 0 offset:852
	;; [unrolled: 5-line block ×4, first 2 shown]
	s_waitcnt vmcnt(29) lgkmcnt(6)
	v_mul_f64 v[32:33], v[82:83], v[192:193]
	s_waitcnt vmcnt(27)
	v_fmac_f64_e32 v[32:33], v[84:85], v[198:199]
	v_add_f64 v[8:9], v[8:9], v[32:33]
	s_waitcnt vmcnt(26) lgkmcnt(5)
	v_mul_f64 v[32:33], v[86:87], v[186:187]
	s_waitcnt vmcnt(24)
	v_fmac_f64_e32 v[32:33], v[88:89], v[196:197]
	v_add_f64 v[8:9], v[8:9], v[32:33]
	;; [unrolled: 5-line block ×4, first 2 shown]
	ds_read_b128 v[226:229], v1 offset:1760
	s_waitcnt vmcnt(14) lgkmcnt(3)
	v_mul_f64 v[32:33], v[98:99], v[206:207]
	s_waitcnt vmcnt(12)
	v_fmac_f64_e32 v[32:33], v[100:101], v[208:209]
	v_add_f64 v[8:9], v[8:9], v[32:33]
	s_waitcnt vmcnt(10) lgkmcnt(2)
	v_mul_f64 v[32:33], v[102:103], v[210:211]
	s_waitcnt vmcnt(8)
	v_fmac_f64_e32 v[32:33], v[104:105], v[212:213]
	v_add_f64 v[8:9], v[8:9], v[32:33]
	;; [unrolled: 5-line block ×4, first 2 shown]
	buffer_load_dword v9, off, s[0:3], 0 offset:908
	buffer_load_dword v8, off, s[0:3], 0 offset:904
	;; [unrolled: 1-line block ×4, first 2 shown]
	ds_read_b128 v[114:117], v1 offset:1776
	s_waitcnt vmcnt(2) lgkmcnt(0)
	v_mul_f64 v[244:245], v[114:115], v[8:9]
	s_waitcnt vmcnt(0)
	v_fmac_f64_e32 v[244:245], v[116:117], v[248:249]
	v_add_f64 v[244:245], v[32:33], v[244:245]
	v_add_f64 v[32:33], v[254:255], 0
	;; [unrolled: 1-line block ×22, first 2 shown]
	buffer_load_dword v250, off, s[0:3], 0 offset:32
	buffer_load_dword v251, off, s[0:3], 0 offset:36
	;; [unrolled: 1-line block ×4, first 2 shown]
	v_add_f64 v[4:5], v[4:5], v[218:219]
	v_add_f64 v[218:219], v[4:5], v[2:3]
	v_accvgpr_read_b32 v4, a168
	v_accvgpr_read_b32 v5, a169
	;; [unrolled: 1-line block ×3, first 2 shown]
	v_add_f64 v[2:3], v[218:219], v[24:25]
	v_mul_f64 v[4:5], v[144:145], v[4:5]
	v_accvgpr_read_b32 v7, a171
	v_add_f64 v[2:3], v[2:3], v[220:221]
	v_fma_f64 v[4:5], v[142:143], v[6:7], -v[4:5]
	v_add_f64 v[2:3], v[2:3], v[4:5]
	v_accvgpr_read_b32 v4, a172
	v_accvgpr_read_b32 v5, a173
	v_accvgpr_read_b32 v6, a174
	v_mul_f64 v[4:5], v[232:233], v[4:5]
	v_accvgpr_read_b32 v7, a175
	v_fma_f64 v[4:5], v[230:231], v[6:7], -v[4:5]
	v_add_f64 v[2:3], v[2:3], v[4:5]
	v_accvgpr_read_b32 v4, a176
	v_accvgpr_read_b32 v5, a177
	v_accvgpr_read_b32 v6, a178
	v_mul_f64 v[4:5], v[140:141], v[4:5]
	v_accvgpr_read_b32 v7, a179
	;; [unrolled: 7-line block ×7, first 2 shown]
	v_fma_f64 v[4:5], v[118:119], v[6:7], -v[4:5]
	v_add_f64 v[2:3], v[2:3], v[4:5]
	v_mul_f64 v[4:5], v[36:37], v[134:135]
	v_fma_f64 v[4:5], v[34:35], v[136:137], -v[4:5]
	v_add_f64 v[2:3], v[2:3], v[4:5]
	v_mul_f64 v[4:5], v[40:41], v[146:147]
	;; [unrolled: 3-line block ×21, first 2 shown]
	v_fma_f64 v[4:5], v[114:115], v[248:249], -v[4:5]
	v_add_f64 v[2:3], v[2:3], v[4:5]
	s_waitcnt vmcnt(2)
	v_add_f64 v[2:3], v[250:251], -v[2:3]
	s_waitcnt vmcnt(0)
	v_add_f64 v[4:5], v[216:217], -v[244:245]
	buffer_store_dword v3, off, s[0:3], 0 offset:36
	buffer_store_dword v2, off, s[0:3], 0 offset:32
	;; [unrolled: 1-line block ×4, first 2 shown]
	s_and_saveexec_b64 s[4:5], vcc
	s_cbranch_execz .LBB55_349
; %bb.348:
	buffer_load_dword v0, off, s[0:3], 0 offset:16
	buffer_load_dword v1, off, s[0:3], 0 offset:20
	;; [unrolled: 1-line block ×4, first 2 shown]
	v_mov_b32_e32 v4, 0
	v_accvgpr_read_b32 v5, a167
	buffer_store_dword v4, off, s[0:3], 0 offset:16
	buffer_store_dword v4, off, s[0:3], 0 offset:20
	;; [unrolled: 1-line block ×4, first 2 shown]
	s_waitcnt vmcnt(4)
	ds_write_b128 v5, v[0:3]
.LBB55_349:
	s_or_b64 exec, exec, s[4:5]
	s_waitcnt lgkmcnt(0)
	; wave barrier
	s_waitcnt lgkmcnt(0)
	buffer_load_dword v126, off, s[0:3], 0 offset:32
	buffer_load_dword v127, off, s[0:3], 0 offset:36
	;; [unrolled: 1-line block ×42, first 2 shown]
	v_mov_b32_e32 v0, 0
	buffer_load_dword v93, off, s[0:3], 0 offset:180
	buffer_load_dword v92, off, s[0:3], 0 offset:176
	;; [unrolled: 1-line block ×7, first 2 shown]
	ds_read_b128 v[244:247], v0 offset:912
	ds_read_b128 v[24:27], v0 offset:928
	ds_read_b128 v[238:241], v0 offset:944
	ds_read_b128 v[104:107], v0 offset:960
	ds_read_b128 v[108:111], v0 offset:976
	ds_read_b128 v[112:115], v0 offset:992
	ds_read_b128 v[128:131], v0 offset:1008
	ds_read_b128 v[134:137], v0 offset:1024
	ds_read_b128 v[138:141], v0 offset:1040
	ds_read_b128 v[142:145], v0 offset:1056
	ds_read_b128 v[40:43], v0 offset:1072
	s_and_b64 vcc, exec, s[20:21]
	s_waitcnt vmcnt(45) lgkmcnt(10)
	v_mul_f64 v[58:59], v[244:245], v[2:3]
	v_fmac_f64_e32 v[58:59], v[246:247], v[126:127]
	v_add_f64 v[58:59], v[58:59], 0
	v_mul_f64 v[2:3], v[246:247], v[2:3]
	s_waitcnt vmcnt(41) lgkmcnt(9)
	v_mul_f64 v[60:61], v[24:25], v[12:13]
	v_fmac_f64_e32 v[60:61], v[26:27], v[224:225]
	s_waitcnt vmcnt(39) lgkmcnt(8)
	v_mul_f64 v[62:63], v[238:239], v[8:9]
	v_add_f64 v[58:59], v[58:59], v[60:61]
	s_waitcnt vmcnt(37) lgkmcnt(6)
	v_mul_f64 v[66:67], v[108:109], v[20:21]
	v_fma_f64 v[222:223], v[244:245], v[126:127], -v[2:3]
	s_waitcnt vmcnt(35)
	v_fmac_f64_e32 v[66:67], v[110:111], v[22:23]
	v_mul_f64 v[12:13], v[26:27], v[12:13]
	s_waitcnt vmcnt(33)
	v_mul_f64 v[64:65], v[104:105], v[16:17]
	v_fma_f64 v[224:225], v[24:25], v[224:225], -v[12:13]
	s_waitcnt vmcnt(31) lgkmcnt(4)
	v_mul_f64 v[70:71], v[128:129], v[32:33]
	v_mul_f64 v[8:9], v[240:241], v[8:9]
	s_waitcnt vmcnt(29)
	v_fmac_f64_e32 v[70:71], v[130:131], v[34:35]
	v_mul_f64 v[16:17], v[106:107], v[16:17]
	s_waitcnt vmcnt(27)
	v_mul_f64 v[68:69], v[112:113], v[28:29]
	v_mul_f64 v[32:33], v[130:131], v[32:33]
	s_waitcnt vmcnt(25) lgkmcnt(2)
	v_mul_f64 v[74:75], v[138:139], v[36:37]
	v_mul_f64 v[28:29], v[114:115], v[28:29]
	;; [unrolled: 1-line block ×3, first 2 shown]
	s_waitcnt vmcnt(22)
	v_mul_f64 v[72:73], v[134:135], v[46:47]
	v_mul_f64 v[20:21], v[110:111], v[20:21]
	s_waitcnt vmcnt(20) lgkmcnt(1)
	v_mul_f64 v[118:119], v[142:143], v[44:45]
	v_mul_f64 v[44:45], v[144:145], v[44:45]
	s_waitcnt vmcnt(18)
	v_fmac_f64_e32 v[62:63], v[240:241], v[14:15]
	v_add_f64 v[58:59], v[58:59], v[62:63]
	s_waitcnt vmcnt(16)
	v_fmac_f64_e32 v[64:65], v[106:107], v[18:19]
	v_add_f64 v[58:59], v[58:59], v[64:65]
	;; [unrolled: 3-line block ×3, first 2 shown]
	v_add_f64 v[58:59], v[58:59], v[68:69]
	s_waitcnt vmcnt(12)
	v_fmac_f64_e32 v[72:73], v[136:137], v[48:49]
	v_add_f64 v[58:59], v[58:59], v[70:71]
	s_waitcnt vmcnt(11)
	v_fmac_f64_e32 v[74:75], v[140:141], v[38:39]
	v_add_f64 v[58:59], v[58:59], v[72:73]
	v_add_f64 v[120:121], v[58:59], v[74:75]
	buffer_load_dword v86, off, s[0:3], 0 offset:216
	buffer_load_dword v155, off, s[0:3], 0 offset:212
	;; [unrolled: 1-line block ×53, first 2 shown]
	s_waitcnt vmcnt(58)
	v_fmac_f64_e32 v[118:119], v[144:145], v[92:93]
	v_add_f64 v[118:119], v[120:121], v[118:119]
	s_waitcnt lgkmcnt(0)
	v_mul_f64 v[120:121], v[40:41], v[50:51]
	v_fmac_f64_e32 v[120:121], v[42:43], v[52:53]
	v_add_f64 v[118:119], v[118:119], v[120:121]
	v_mul_f64 v[42:43], v[42:43], v[50:51]
	s_waitcnt vmcnt(0)
	v_pk_mov_b32 v[242:243], v[88:89], v[88:89] op_sel:[0,1]
	buffer_load_dword v89, off, s[0:3], 0 offset:452
	buffer_load_dword v88, off, s[0:3], 0 offset:448
	v_accvgpr_write_b32 a168, v242
	v_accvgpr_write_b32 a169, v243
	s_waitcnt vmcnt(0)
	v_pk_mov_b32 v[226:227], v[88:89], v[88:89] op_sel:[0,1]
	buffer_load_dword v89, off, s[0:3], 0 offset:444
	buffer_load_dword v88, off, s[0:3], 0 offset:440
	;; [unrolled: 1-line block ×6, first 2 shown]
	v_accvgpr_write_b32 a174, v226
	v_accvgpr_write_b32 a175, v227
	s_waitcnt vmcnt(0)
	v_pk_mov_b32 v[228:229], v[122:123], v[122:123] op_sel:[0,1]
	buffer_load_dword v123, off, s[0:3], 0 offset:484
	buffer_load_dword v122, off, s[0:3], 0 offset:480
	buffer_load_dword v11, off, s[0:3], 0 offset:476
	buffer_load_dword v10, off, s[0:3], 0 offset:472
	v_accvgpr_write_b32 a176, v228
	v_accvgpr_write_b32 a177, v229
	s_waitcnt vmcnt(2)
	v_pk_mov_b32 v[230:231], v[122:123], v[122:123] op_sel:[0,1]
	s_waitcnt vmcnt(0)
	v_pk_mov_b32 v[234:235], v[10:11], v[10:11] op_sel:[0,1]
	buffer_load_dword v11, off, s[0:3], 0 offset:468
	buffer_load_dword v10, off, s[0:3], 0 offset:464
	;; [unrolled: 1-line block ×4, first 2 shown]
	v_accvgpr_write_b32 a180, v234
	v_accvgpr_write_b32 a181, v235
	v_accvgpr_write_b32 a178, v230
	v_accvgpr_write_b32 a179, v231
	s_waitcnt vmcnt(2)
	v_pk_mov_b32 v[236:237], v[10:11], v[10:11] op_sel:[0,1]
	s_waitcnt vmcnt(0)
	v_pk_mov_b32 v[232:233], v[122:123], v[122:123] op_sel:[0,1]
	buffer_load_dword v11, off, s[0:3], 0 offset:516
	buffer_load_dword v10, off, s[0:3], 0 offset:512
	;; [unrolled: 1-line block ×4, first 2 shown]
	v_accvgpr_write_b32 a182, v236
	v_accvgpr_write_b32 a183, v237
	;; [unrolled: 1-line block ×4, first 2 shown]
	s_waitcnt vmcnt(2)
	v_accvgpr_write_b32 a191, v11
	v_accvgpr_write_b32 a190, v10
	s_waitcnt vmcnt(0)
	v_pk_mov_b32 v[248:249], v[122:123], v[122:123] op_sel:[0,1]
	buffer_load_dword v123, off, s[0:3], 0 offset:500
	buffer_load_dword v122, off, s[0:3], 0 offset:496
	ds_read_b128 v[146:149], v0 offset:1088
	ds_read_b128 v[150:153], v0 offset:1104
	;; [unrolled: 1-line block ×6, first 2 shown]
	s_waitcnt lgkmcnt(5)
	v_mul_f64 v[120:121], v[146:147], v[86:87]
	v_fmac_f64_e32 v[120:121], v[148:149], v[154:155]
	v_add_f64 v[118:119], v[118:119], v[120:121]
	s_waitcnt lgkmcnt(4)
	v_mul_f64 v[120:121], v[150:151], v[54:55]
	v_fmac_f64_e32 v[120:121], v[152:153], v[56:57]
	v_add_f64 v[118:119], v[118:119], v[120:121]
	;; [unrolled: 4-line block ×3, first 2 shown]
	s_waitcnt lgkmcnt(2)
	v_mul_f64 v[120:121], v[160:161], v[164:165]
	v_fmac_f64_e32 v[120:121], v[162:163], v[166:167]
	ds_read_b128 v[182:185], v0 offset:1184
	ds_read_b128 v[186:189], v0 offset:1200
	v_add_f64 v[118:119], v[118:119], v[120:121]
	s_waitcnt lgkmcnt(3)
	v_mul_f64 v[120:121], v[170:171], v[218:219]
	v_fmac_f64_e32 v[120:121], v[172:173], v[220:221]
	v_add_f64 v[118:119], v[118:119], v[120:121]
	s_waitcnt lgkmcnt(2)
	v_mul_f64 v[120:121], v[174:175], v[98:99]
	v_fmac_f64_e32 v[120:121], v[176:177], v[180:181]
	buffer_load_dword v117, off, s[0:3], 0 offset:540
	buffer_load_dword v116, off, s[0:3], 0 offset:536
	;; [unrolled: 1-line block ×4, first 2 shown]
	ds_read_b128 v[190:193], v0 offset:1216
	v_add_f64 v[118:119], v[118:119], v[120:121]
	s_waitcnt lgkmcnt(2)
	v_mul_f64 v[120:121], v[182:183], v[94:95]
	v_fmac_f64_e32 v[120:121], v[184:185], v[96:97]
	buffer_load_dword v102, off, s[0:3], 0 offset:552
	buffer_load_dword v132, off, s[0:3], 0 offset:544
	;; [unrolled: 1-line block ×4, first 2 shown]
	ds_read_b128 v[194:197], v0 offset:1232
	ds_read_b128 v[198:201], v0 offset:1248
	v_add_f64 v[118:119], v[118:119], v[120:121]
	s_waitcnt lgkmcnt(3)
	v_mul_f64 v[120:121], v[186:187], v[62:63]
	v_fmac_f64_e32 v[120:121], v[188:189], v[74:75]
	v_add_f64 v[118:119], v[118:119], v[120:121]
	s_waitcnt lgkmcnt(2)
	v_mul_f64 v[120:121], v[190:191], v[72:73]
	v_fmac_f64_e32 v[120:121], v[192:193], v[84:85]
	;; [unrolled: 4-line block ×3, first 2 shown]
	ds_read_b128 v[202:205], v0 offset:1264
	s_waitcnt lgkmcnt(1)
	v_mul_f64 v[124:125], v[198:199], v[64:65]
	v_fmac_f64_e32 v[124:125], v[200:201], v[66:67]
	v_accvgpr_write_b32 a184, v248
	v_accvgpr_write_b32 a185, v249
	v_mul_f64 v[64:65], v[200:201], v[64:65]
	s_waitcnt vmcnt(8)
	v_pk_mov_b32 v[250:251], v[122:123], v[122:123] op_sel:[0,1]
	v_add_f64 v[122:123], v[118:119], v[120:121]
	buffer_load_dword v7, off, s[0:3], 0 offset:572
	buffer_load_dword v6, off, s[0:3], 0 offset:568
	;; [unrolled: 1-line block ×4, first 2 shown]
	ds_read_b128 v[206:209], v0 offset:1280
	ds_read_b128 v[210:213], v0 offset:1296
	v_add_f64 v[122:123], v[122:123], v[124:125]
	s_waitcnt lgkmcnt(2)
	v_mul_f64 v[124:125], v[202:203], v[68:69]
	ds_read_b128 v[214:217], v0 offset:1312
	ds_read_b128 v[244:247], v0 offset:1328
	v_fmac_f64_e32 v[124:125], v[204:205], v[70:71]
	v_add_f64 v[122:123], v[122:123], v[124:125]
	s_waitcnt lgkmcnt(3)
	v_mul_f64 v[124:125], v[206:207], v[76:77]
	v_fmac_f64_e32 v[124:125], v[208:209], v[78:79]
	v_add_f64 v[122:123], v[122:123], v[124:125]
	s_waitcnt lgkmcnt(2)
	v_mul_f64 v[124:125], v[210:211], v[80:81]
	v_fmac_f64_e32 v[124:125], v[212:213], v[82:83]
	s_waitcnt lgkmcnt(1)
	v_mul_f64 v[4:5], v[214:215], v[88:89]
	v_add_f64 v[122:123], v[122:123], v[124:125]
	v_fmac_f64_e32 v[4:5], v[216:217], v[90:91]
	v_add_f64 v[126:127], v[122:123], v[4:5]
	s_waitcnt lgkmcnt(0)
	v_pk_mov_b32 v[2:3], v[244:245], v[244:245] op_sel:[0,1]
	ds_read_b128 v[252:255], v0 offset:1344
	v_pk_mov_b32 v[4:5], v[246:247], v[246:247] op_sel:[0,1]
	buffer_load_dword v247, off, s[0:3], 0 offset:588
	buffer_load_dword v246, off, s[0:3], 0 offset:584
	;; [unrolled: 1-line block ×4, first 2 shown]
	v_mul_f64 v[12:13], v[2:3], v[242:243]
	v_fmac_f64_e32 v[12:13], v[4:5], v[226:227]
	v_fma_f64 v[226:227], v[238:239], v[14:15], -v[8:9]
	ds_read_b128 v[242:245], v0 offset:1360
	ds_read_b128 v[238:241], v0 offset:1376
	v_accvgpr_write_b32 a186, v250
	s_waitcnt lgkmcnt(2)
	v_mul_f64 v[14:15], v[252:253], v[234:235]
	v_accvgpr_write_b32 a187, v251
	v_add_f64 v[12:13], v[126:127], v[12:13]
	s_waitcnt lgkmcnt(0)
	v_mul_f64 v[26:27], v[238:239], v[248:249]
	v_fmac_f64_e32 v[26:27], v[240:241], v[250:251]
	ds_read_b128 v[248:251], v0 offset:1392
	v_fmac_f64_e32 v[14:15], v[254:255], v[236:237]
	ds_read_b128 v[234:237], v0 offset:1408
	v_add_f64 v[12:13], v[12:13], v[14:15]
	v_mul_f64 v[14:15], v[242:243], v[228:229]
	v_fmac_f64_e32 v[14:15], v[244:245], v[230:231]
	v_accvgpr_write_b32 a173, v5
	v_add_f64 v[24:25], v[12:13], v[14:15]
	v_accvgpr_write_b32 a172, v4
	v_accvgpr_write_b32 a171, v3
	;; [unrolled: 1-line block ×3, first 2 shown]
	v_add_f64 v[2:3], v[24:25], v[26:27]
	s_waitcnt lgkmcnt(1)
	v_mul_f64 v[24:25], v[248:249], v[232:233]
	ds_read_b128 v[230:233], v0 offset:1424
	ds_read_b128 v[120:123], v0 offset:1440
	v_fmac_f64_e32 v[24:25], v[250:251], v[10:11]
	v_add_f64 v[2:3], v[2:3], v[24:25]
	s_waitcnt vmcnt(14) lgkmcnt(2)
	v_mul_f64 v[24:25], v[234:235], v[116:117]
	s_waitcnt vmcnt(12)
	v_accvgpr_write_b32 a195, v101
	v_fmac_f64_e32 v[24:25], v[236:237], v[100:101]
	v_accvgpr_write_b32 a194, v100
	s_waitcnt vmcnt(9) lgkmcnt(1)
	v_mul_f64 v[100:101], v[230:231], v[102:103]
	v_accvgpr_write_b32 a197, v103
	s_waitcnt vmcnt(8)
	v_accvgpr_write_b32 a199, v133
	buffer_load_dword v106, off, s[0:3], 0 offset:616
	v_add_f64 v[2:3], v[2:3], v[24:25]
	v_accvgpr_write_b32 a196, v102
	v_fmac_f64_e32 v[100:101], v[232:233], v[132:133]
	v_accvgpr_write_b32 a198, v132
	v_fma_f64 v[102:103], v[128:129], v[34:35], -v[32:33]
	buffer_load_dword v128, off, s[0:3], 0 offset:608
	buffer_load_dword v131, off, s[0:3], 0 offset:604
	;; [unrolled: 1-line block ×7, first 2 shown]
	v_mul_f64 v[32:33], v[136:137], v[46:47]
	v_accvgpr_write_b32 a193, v117
	v_add_f64 v[100:101], v[2:3], v[100:101]
	v_accvgpr_write_b32 a192, v116
	v_fma_f64 v[126:127], v[112:113], v[30:31], -v[28:29]
	v_fma_f64 v[28:29], v[138:139], v[38:39], -v[36:37]
	ds_read_b128 v[36:39], v0 offset:1472
	v_fma_f64 v[24:25], v[40:41], v[52:53], -v[42:43]
	v_mul_f64 v[40:41], v[148:149], v[86:87]
	v_fma_f64 v[228:229], v[104:105], v[18:19], -v[16:17]
	v_fma_f64 v[104:105], v[108:109], v[22:23], -v[20:21]
	;; [unrolled: 1-line block ×4, first 2 shown]
	v_mul_f64 v[42:43], v[152:153], v[54:55]
	s_waitcnt vmcnt(14) lgkmcnt(1)
	v_mul_f64 v[46:47], v[120:121], v[6:7]
	v_fma_f64 v[16:17], v[150:151], v[56:57], -v[42:43]
	s_waitcnt vmcnt(12)
	v_fmac_f64_e32 v[46:47], v[122:123], v[118:119]
	v_accvgpr_write_b32 a201, v119
	v_accvgpr_write_b32 a200, v118
	ds_read_b128 v[116:119], v0 offset:1456
	v_add_f64 v[46:47], v[100:101], v[46:47]
	buffer_load_dword v101, off, s[0:3], 0 offset:636
	buffer_load_dword v100, off, s[0:3], 0 offset:632
	;; [unrolled: 1-line block ×21, first 2 shown]
	v_mul_f64 v[14:15], v[158:159], v[168:169]
	buffer_load_dword v158, off, s[0:3], 0 offset:704
	buffer_load_dword v153, off, s[0:3], 0 offset:716
	;; [unrolled: 1-line block ×3, first 2 shown]
	v_mul_f64 v[42:43], v[162:163], v[164:165]
	v_fma_f64 v[14:15], v[156:157], v[178:179], -v[14:15]
	v_fma_f64 v[12:13], v[160:161], v[166:167], -v[42:43]
	buffer_load_dword v156, off, s[0:3], 0 offset:744
	buffer_load_dword v163, off, s[0:3], 0 offset:732
	;; [unrolled: 1-line block ×12, first 2 shown]
	v_mul_f64 v[18:19], v[172:173], v[218:219]
	v_mul_f64 v[42:43], v[176:177], v[98:99]
	v_fma_f64 v[134:135], v[134:135], v[48:49], -v[32:33]
	v_fma_f64 v[32:33], v[170:171], v[220:221], -v[18:19]
	;; [unrolled: 1-line block ×3, first 2 shown]
	buffer_load_dword v173, off, s[0:3], 0 offset:780
	buffer_load_dword v172, off, s[0:3], 0 offset:776
	;; [unrolled: 1-line block ×12, first 2 shown]
	s_waitcnt vmcnt(58) lgkmcnt(0)
	v_mul_f64 v[40:41], v[116:117], v[246:247]
	s_waitcnt vmcnt(56)
	v_fmac_f64_e32 v[40:41], v[118:119], v[124:125]
	v_add_f64 v[22:23], v[46:47], v[40:41]
	v_mul_f64 v[40:41], v[184:185], v[94:95]
	v_fma_f64 v[8:9], v[182:183], v[96:97], -v[40:41]
	buffer_load_dword v183, off, s[0:3], 0 offset:828
	buffer_load_dword v182, off, s[0:3], 0 offset:824
	;; [unrolled: 1-line block ×4, first 2 shown]
	ds_read_b128 v[40:43], v0 offset:1488
	v_mul_f64 v[44:45], v[188:189], v[62:63]
	v_fma_f64 v[186:187], v[186:187], v[74:75], -v[44:45]
	ds_read_b128 v[44:47], v0 offset:1504
	v_mul_f64 v[52:53], v[192:193], v[72:73]
	v_pk_mov_b32 v[34:35], v[6:7], v[6:7] op_sel:[0,1]
	v_fma_f64 v[6:7], v[190:191], v[84:85], -v[52:53]
	v_mul_f64 v[56:57], v[196:197], v[58:59]
	v_fma_f64 v[4:5], v[194:195], v[60:61], -v[56:57]
	ds_read_b128 v[56:59], v0 offset:1552
	v_fma_f64 v[2:3], v[198:199], v[66:67], -v[64:65]
	ds_read_b128 v[64:67], v0 offset:1584
	v_mul_f64 v[68:69], v[204:205], v[68:69]
	v_fma_f64 v[18:19], v[202:203], v[70:71], -v[68:69]
	v_mul_f64 v[80:81], v[212:213], v[80:81]
	v_fma_f64 v[80:81], v[210:211], v[82:83], -v[80:81]
	v_accvgpr_write_b32 a205, v81
	v_accvgpr_write_b32 a204, v80
	v_mul_f64 v[88:89], v[216:217], v[88:89]
	v_fma_f64 v[202:203], v[214:215], v[90:91], -v[88:89]
	ds_read_b128 v[88:91], v0 offset:1680
	ds_read_b128 v[52:55], v0 offset:1536
	ds_read_b128 v[68:71], v0 offset:1600
	ds_read_b128 v[80:83], v0 offset:1664
	s_waitcnt vmcnt(56)
	v_mul_f64 v[48:49], v[36:37], v[130:131]
	s_waitcnt vmcnt(54)
	v_fmac_f64_e32 v[48:49], v[38:39], v[132:133]
	v_add_f64 v[22:23], v[22:23], v[48:49]
	s_waitcnt vmcnt(53) lgkmcnt(7)
	v_mul_f64 v[48:49], v[40:41], v[106:107]
	s_waitcnt vmcnt(52)
	v_fmac_f64_e32 v[48:49], v[42:43], v[128:129]
	v_add_f64 v[22:23], v[22:23], v[48:49]
	s_waitcnt vmcnt(41) lgkmcnt(2)
	v_mul_f64 v[60:61], v[52:53], v[144:145]
	v_mul_f64 v[48:49], v[44:45], v[100:101]
	s_waitcnt vmcnt(39)
	v_fmac_f64_e32 v[60:61], v[54:55], v[148:149]
	v_fmac_f64_e32 v[48:49], v[46:47], v[136:137]
	v_add_f64 v[22:23], v[22:23], v[48:49]
	ds_read_b128 v[48:51], v0 offset:1520
	s_waitcnt vmcnt(25) lgkmcnt(2)
	v_mul_f64 v[84:85], v[68:69], v[162:163]
	v_mul_f64 v[30:31], v[64:65], v[152:153]
	v_fmac_f64_e32 v[30:31], v[66:67], v[158:159]
	s_waitcnt vmcnt(23)
	v_fmac_f64_e32 v[84:85], v[70:71], v[166:167]
	s_waitcnt lgkmcnt(0)
	v_mul_f64 v[62:63], v[48:49], v[138:139]
	v_fmac_f64_e32 v[62:63], v[50:51], v[140:141]
	v_add_f64 v[22:23], v[22:23], v[62:63]
	v_add_f64 v[22:23], v[22:23], v[60:61]
	v_mul_f64 v[60:61], v[56:57], v[142:143]
	v_fmac_f64_e32 v[60:61], v[58:59], v[146:147]
	v_add_f64 v[22:23], v[22:23], v[60:61]
	ds_read_b128 v[60:63], v0 offset:1568
	s_waitcnt lgkmcnt(0)
	v_mul_f64 v[72:73], v[60:61], v[150:151]
	v_fmac_f64_e32 v[72:73], v[62:63], v[154:155]
	v_add_f64 v[22:23], v[22:23], v[72:73]
	ds_read_b128 v[72:75], v0 offset:1616
	v_add_f64 v[22:23], v[22:23], v[30:31]
	v_mul_f64 v[30:31], v[208:209], v[76:77]
	v_fma_f64 v[30:31], v[206:207], v[78:79], -v[30:31]
	ds_read_b128 v[76:79], v0 offset:1632
	v_add_f64 v[22:23], v[22:23], v[84:85]
	s_waitcnt vmcnt(21) lgkmcnt(1)
	v_mul_f64 v[84:85], v[72:73], v[156:157]
	s_waitcnt vmcnt(20)
	v_fmac_f64_e32 v[84:85], v[74:75], v[160:161]
	v_add_f64 v[22:23], v[22:23], v[84:85]
	ds_read_b128 v[84:87], v0 offset:1648
	s_waitcnt vmcnt(18) lgkmcnt(1)
	v_mul_f64 v[92:93], v[76:77], v[164:165]
	s_waitcnt vmcnt(16)
	v_fmac_f64_e32 v[92:93], v[78:79], v[168:169]
	v_add_f64 v[22:23], v[22:23], v[92:93]
	s_waitcnt vmcnt(14) lgkmcnt(0)
	v_mul_f64 v[92:93], v[84:85], v[172:173]
	s_waitcnt vmcnt(12)
	v_fmac_f64_e32 v[92:93], v[86:87], v[174:175]
	v_add_f64 v[22:23], v[22:23], v[92:93]
	s_waitcnt vmcnt(9)
	v_mul_f64 v[92:93], v[80:81], v[178:179]
	s_waitcnt vmcnt(7)
	v_fmac_f64_e32 v[92:93], v[82:83], v[180:181]
	v_add_f64 v[22:23], v[22:23], v[92:93]
	s_waitcnt vmcnt(5)
	v_mul_f64 v[92:93], v[88:89], v[170:171]
	s_waitcnt vmcnt(4)
	v_fmac_f64_e32 v[92:93], v[90:91], v[176:177]
	v_add_f64 v[22:23], v[22:23], v[92:93]
	ds_read_b128 v[92:95], v0 offset:1696
	s_waitcnt vmcnt(2) lgkmcnt(0)
	v_mul_f64 v[96:97], v[92:93], v[182:183]
	s_waitcnt vmcnt(0)
	v_fmac_f64_e32 v[96:97], v[94:95], v[184:185]
	v_add_f64 v[108:109], v[22:23], v[96:97]
	buffer_load_dword v22, off, s[0:3], 0 offset:840
	buffer_load_dword v23, off, s[0:3], 0 offset:844
	buffer_load_dword v188, off, s[0:3], 0 offset:832
	buffer_load_dword v189, off, s[0:3], 0 offset:836
	ds_read_b128 v[96:99], v0 offset:1712
	buffer_load_dword v191, off, s[0:3], 0 offset:860
	buffer_load_dword v190, off, s[0:3], 0 offset:856
	buffer_load_dword v193, off, s[0:3], 0 offset:852
	buffer_load_dword v192, off, s[0:3], 0 offset:848
	ds_read_b128 v[218:221], v0 offset:1728
	;; [unrolled: 5-line block ×3, first 2 shown]
	buffer_load_dword v199, off, s[0:3], 0 offset:892
	buffer_load_dword v198, off, s[0:3], 0 offset:888
	;; [unrolled: 1-line block ×4, first 2 shown]
	s_waitcnt vmcnt(14) lgkmcnt(2)
	v_mul_f64 v[110:111], v[96:97], v[22:23]
	s_waitcnt vmcnt(12)
	v_fmac_f64_e32 v[110:111], v[98:99], v[188:189]
	v_add_f64 v[108:109], v[108:109], v[110:111]
	s_waitcnt vmcnt(10) lgkmcnt(1)
	v_mul_f64 v[110:111], v[218:219], v[190:191]
	s_waitcnt vmcnt(8)
	v_fmac_f64_e32 v[110:111], v[220:221], v[192:193]
	v_add_f64 v[108:109], v[108:109], v[110:111]
	;; [unrolled: 5-line block ×3, first 2 shown]
	ds_read_b128 v[108:111], v0 offset:1760
	buffer_load_dword v204, off, s[0:3], 0 offset:904
	buffer_load_dword v205, off, s[0:3], 0 offset:908
	;; [unrolled: 1-line block ×4, first 2 shown]
	s_waitcnt vmcnt(6) lgkmcnt(0)
	v_mul_f64 v[114:115], v[108:109], v[198:199]
	s_waitcnt vmcnt(4)
	v_fmac_f64_e32 v[114:115], v[110:111], v[200:201]
	v_add_f64 v[208:209], v[112:113], v[114:115]
	ds_read_b128 v[112:115], v0 offset:1776
	s_waitcnt vmcnt(2) lgkmcnt(0)
	v_mul_f64 v[210:211], v[112:113], v[204:205]
	s_waitcnt vmcnt(0)
	v_fmac_f64_e32 v[210:211], v[114:115], v[206:207]
	v_add_f64 v[0:1], v[208:209], v[210:211]
	v_add_f64 v[208:209], v[222:223], 0
	;; [unrolled: 1-line block ×18, first 2 shown]
	buffer_load_dword v210, off, s[0:3], 0 offset:16
	buffer_load_dword v211, off, s[0:3], 0 offset:20
	v_add_f64 v[8:9], v[10:11], v[8:9]
	buffer_load_dword v208, off, s[0:3], 0 offset:24
	buffer_load_dword v209, off, s[0:3], 0 offset:28
	v_add_f64 v[8:9], v[8:9], v[186:187]
	v_add_f64 v[6:7], v[8:9], v[6:7]
	;; [unrolled: 1-line block ×3, first 2 shown]
	v_accvgpr_write_b32 a203, v1
	v_add_f64 v[2:3], v[4:5], v[2:3]
	v_accvgpr_write_b32 a202, v0
	v_add_f64 v[0:1], v[2:3], v[18:19]
	v_accvgpr_read_b32 v2, a168
	v_accvgpr_read_b32 v4, a170
	v_add_f64 v[216:217], v[0:1], v[30:31]
	v_accvgpr_read_b32 v0, a204
	v_accvgpr_read_b32 v3, a169
	v_accvgpr_read_b32 v6, a172
	v_accvgpr_read_b32 v7, a173
	v_accvgpr_read_b32 v1, a205
	v_mul_f64 v[2:3], v[6:7], v[2:3]
	v_accvgpr_read_b32 v6, a174
	v_add_f64 v[0:1], v[216:217], v[0:1]
	v_accvgpr_read_b32 v5, a171
	v_accvgpr_read_b32 v7, a175
	v_add_f64 v[0:1], v[0:1], v[202:203]
	v_fma_f64 v[2:3], v[4:5], v[6:7], -v[2:3]
	v_add_f64 v[0:1], v[0:1], v[2:3]
	v_accvgpr_read_b32 v2, a180
	v_accvgpr_read_b32 v3, a181
	v_accvgpr_read_b32 v4, a182
	v_mul_f64 v[2:3], v[254:255], v[2:3]
	v_accvgpr_read_b32 v5, a183
	v_fma_f64 v[2:3], v[252:253], v[4:5], -v[2:3]
	v_add_f64 v[0:1], v[0:1], v[2:3]
	v_accvgpr_read_b32 v2, a176
	v_accvgpr_read_b32 v3, a177
	v_accvgpr_read_b32 v4, a178
	v_mul_f64 v[2:3], v[244:245], v[2:3]
	v_accvgpr_read_b32 v5, a179
	;; [unrolled: 7-line block ×6, first 2 shown]
	v_fma_f64 v[2:3], v[230:231], v[4:5], -v[2:3]
	v_accvgpr_read_b32 v4, a200
	v_add_f64 v[0:1], v[0:1], v[2:3]
	v_mul_f64 v[2:3], v[122:123], v[34:35]
	v_accvgpr_read_b32 v5, a201
	v_fma_f64 v[2:3], v[120:121], v[4:5], -v[2:3]
	v_add_f64 v[0:1], v[0:1], v[2:3]
	v_mul_f64 v[2:3], v[118:119], v[246:247]
	v_fma_f64 v[2:3], v[116:117], v[124:125], -v[2:3]
	v_add_f64 v[0:1], v[0:1], v[2:3]
	v_mul_f64 v[2:3], v[38:39], v[130:131]
	;; [unrolled: 3-line block ×21, first 2 shown]
	v_fma_f64 v[2:3], v[112:113], v[206:207], -v[2:3]
	v_add_f64 v[0:1], v[0:1], v[2:3]
	v_accvgpr_read_b32 v2, a202
	s_waitcnt vmcnt(2)
	v_add_f64 v[0:1], v[210:211], -v[0:1]
	v_accvgpr_read_b32 v3, a203
	s_waitcnt vmcnt(0)
	v_add_f64 v[2:3], v[208:209], -v[2:3]
	buffer_store_dword v1, off, s[0:3], 0 offset:20
	buffer_store_dword v0, off, s[0:3], 0 offset:16
	;; [unrolled: 1-line block ×4, first 2 shown]
	s_cbranch_vccz .LBB55_461
; %bb.350:
	v_pk_mov_b32 v[0:1], s[10:11], s[10:11] op_sel:[0,1]
	flat_load_dword v0, v[0:1] offset:216
	s_waitcnt vmcnt(0) lgkmcnt(0)
	v_add_u32_e32 v0, -1, v0
	v_cmp_ne_u32_e32 vcc, 54, v0
	s_and_saveexec_b64 s[4:5], vcc
	s_cbranch_execz .LBB55_352
; %bb.351:
	v_mov_b32_e32 v1, 16
	v_accvgpr_read_b32 v9, a113
	v_lshl_add_u32 v0, v0, 4, v1
	buffer_load_dword v1, v9, s[0:3], 0 offen offset:4
	buffer_load_dword v2, v9, s[0:3], 0 offen offset:8
	buffer_load_dword v3, v9, s[0:3], 0 offen offset:12
	buffer_load_dword v4, v0, s[0:3], 0 offen
	buffer_load_dword v5, v0, s[0:3], 0 offen offset:4
	buffer_load_dword v6, v0, s[0:3], 0 offen offset:8
	buffer_load_dword v7, v0, s[0:3], 0 offen offset:12
	buffer_load_dword v8, v9, s[0:3], 0 offen
	s_waitcnt vmcnt(4)
	buffer_store_dword v4, v9, s[0:3], 0 offen
	s_waitcnt vmcnt(4)
	buffer_store_dword v5, v9, s[0:3], 0 offen offset:4
	s_waitcnt vmcnt(4)
	buffer_store_dword v6, v9, s[0:3], 0 offen offset:8
	s_waitcnt vmcnt(4)
	buffer_store_dword v7, v9, s[0:3], 0 offen offset:12
	buffer_store_dword v3, v0, s[0:3], 0 offen offset:12
	buffer_store_dword v2, v0, s[0:3], 0 offen offset:8
	buffer_store_dword v1, v0, s[0:3], 0 offen offset:4
	s_waitcnt vmcnt(7)
	buffer_store_dword v8, v0, s[0:3], 0 offen
.LBB55_352:
	s_or_b64 exec, exec, s[4:5]
	v_pk_mov_b32 v[0:1], s[10:11], s[10:11] op_sel:[0,1]
	flat_load_dword v0, v[0:1] offset:212
	s_waitcnt vmcnt(0) lgkmcnt(0)
	v_add_u32_e32 v0, -1, v0
	v_cmp_ne_u32_e32 vcc, 53, v0
	s_and_saveexec_b64 s[4:5], vcc
	s_cbranch_execz .LBB55_354
; %bb.353:
	v_mov_b32_e32 v1, 16
	v_accvgpr_read_b32 v9, a114
	v_lshl_add_u32 v0, v0, 4, v1
	buffer_load_dword v1, v9, s[0:3], 0 offen offset:4
	buffer_load_dword v2, v9, s[0:3], 0 offen offset:8
	buffer_load_dword v3, v9, s[0:3], 0 offen offset:12
	buffer_load_dword v4, v0, s[0:3], 0 offen
	buffer_load_dword v5, v0, s[0:3], 0 offen offset:4
	buffer_load_dword v6, v0, s[0:3], 0 offen offset:8
	buffer_load_dword v7, v0, s[0:3], 0 offen offset:12
	buffer_load_dword v8, v9, s[0:3], 0 offen
	s_waitcnt vmcnt(4)
	buffer_store_dword v4, v9, s[0:3], 0 offen
	s_waitcnt vmcnt(4)
	buffer_store_dword v5, v9, s[0:3], 0 offen offset:4
	s_waitcnt vmcnt(4)
	buffer_store_dword v6, v9, s[0:3], 0 offen offset:8
	s_waitcnt vmcnt(4)
	buffer_store_dword v7, v9, s[0:3], 0 offen offset:12
	buffer_store_dword v3, v0, s[0:3], 0 offen offset:12
	buffer_store_dword v2, v0, s[0:3], 0 offen offset:8
	buffer_store_dword v1, v0, s[0:3], 0 offen offset:4
	s_waitcnt vmcnt(7)
	buffer_store_dword v8, v0, s[0:3], 0 offen
.LBB55_354:
	s_or_b64 exec, exec, s[4:5]
	;; [unrolled: 34-line block ×54, first 2 shown]
	v_pk_mov_b32 v[0:1], s[10:11], s[10:11] op_sel:[0,1]
	flat_load_dword v0, v[0:1]
	s_waitcnt vmcnt(0) lgkmcnt(0)
	v_add_u32_e32 v0, -1, v0
	v_cmp_ne_u32_e32 vcc, 0, v0
	s_and_saveexec_b64 s[4:5], vcc
	s_cbranch_execz .LBB55_460
; %bb.459:
	v_mov_b32_e32 v1, 16
	v_lshl_add_u32 v0, v0, 4, v1
	buffer_load_dword v1, v0, s[0:3], 0 offen
	buffer_load_dword v2, v0, s[0:3], 0 offen offset:4
	buffer_load_dword v3, v0, s[0:3], 0 offen offset:8
	;; [unrolled: 1-line block ×3, first 2 shown]
	buffer_load_dword v5, off, s[0:3], 0 offset:28
	buffer_load_dword v6, off, s[0:3], 0 offset:24
	;; [unrolled: 1-line block ×4, first 2 shown]
	s_waitcnt vmcnt(7)
	buffer_store_dword v1, off, s[0:3], 0 offset:16
	s_waitcnt vmcnt(7)
	buffer_store_dword v2, off, s[0:3], 0 offset:20
	;; [unrolled: 2-line block ×4, first 2 shown]
	s_waitcnt vmcnt(7)
	buffer_store_dword v5, v0, s[0:3], 0 offen offset:12
	s_waitcnt vmcnt(7)
	buffer_store_dword v6, v0, s[0:3], 0 offen offset:8
	;; [unrolled: 2-line block ×3, first 2 shown]
	s_waitcnt vmcnt(7)
	buffer_store_dword v8, v0, s[0:3], 0 offen
.LBB55_460:
	s_or_b64 exec, exec, s[4:5]
.LBB55_461:
	buffer_load_dword v0, off, s[0:3], 0 offset:16
	buffer_load_dword v1, off, s[0:3], 0 offset:20
	;; [unrolled: 1-line block ×4, first 2 shown]
	v_accvgpr_read_b32 v4, a108
	v_accvgpr_read_b32 v5, a109
	s_waitcnt vmcnt(0)
	global_store_dwordx4 v[4:5], v[0:3], off
	s_nop 0
	v_accvgpr_read_b32 v3, a166
	buffer_load_dword v0, v3, s[0:3], 0 offen
	buffer_load_dword v1, v3, s[0:3], 0 offen offset:4
	buffer_load_dword v2, v3, s[0:3], 0 offen offset:8
	s_nop 0
	buffer_load_dword v3, v3, s[0:3], 0 offen offset:12
	v_accvgpr_read_b32 v4, a102
	v_accvgpr_read_b32 v5, a103
	s_waitcnt vmcnt(0)
	global_store_dwordx4 v[4:5], v[0:3], off
	s_nop 0
	v_accvgpr_read_b32 v3, a165
	buffer_load_dword v0, v3, s[0:3], 0 offen
	buffer_load_dword v1, v3, s[0:3], 0 offen offset:4
	buffer_load_dword v2, v3, s[0:3], 0 offen offset:8
	s_nop 0
	buffer_load_dword v3, v3, s[0:3], 0 offen offset:12
	;; [unrolled: 11-line block ×14, first 2 shown]
	v_accvgpr_read_b32 v4, a34
	v_accvgpr_read_b32 v5, a35
	s_waitcnt vmcnt(0)
	global_store_dwordx4 v[4:5], v[0:3], off
	v_accvgpr_read_b32 v4, a152
	buffer_load_dword v0, v4, s[0:3], 0 offen
	buffer_load_dword v1, v4, s[0:3], 0 offen offset:4
	buffer_load_dword v2, v4, s[0:3], 0 offen offset:8
	buffer_load_dword v3, v4, s[0:3], 0 offen offset:12
	v_accvgpr_read_b32 v4, a110
	v_accvgpr_read_b32 v5, a111
	s_waitcnt vmcnt(0)
	global_store_dwordx4 v[4:5], v[0:3], off
	v_accvgpr_read_b32 v4, a151
	buffer_load_dword v0, v4, s[0:3], 0 offen
	buffer_load_dword v1, v4, s[0:3], 0 offen offset:4
	buffer_load_dword v2, v4, s[0:3], 0 offen offset:8
	buffer_load_dword v3, v4, s[0:3], 0 offen offset:12
	;; [unrolled: 9-line block ×41, first 2 shown]
	v_accvgpr_read_b32 v5, a1
	v_accvgpr_read_b32 v4, a0
	s_waitcnt vmcnt(0)
	global_store_dwordx4 v[4:5], v[0:3], off
	s_endpgm
	.section	.rodata,"a",@progbits
	.p2align	6, 0x0
	.amdhsa_kernel _ZN9rocsolver6v33100L18getri_kernel_smallILi56E19rocblas_complex_numIdEPS3_EEvT1_iilPiilS6_bb
		.amdhsa_group_segment_fixed_size 1800
		.amdhsa_private_segment_fixed_size 928
		.amdhsa_kernarg_size 60
		.amdhsa_user_sgpr_count 8
		.amdhsa_user_sgpr_private_segment_buffer 1
		.amdhsa_user_sgpr_dispatch_ptr 0
		.amdhsa_user_sgpr_queue_ptr 0
		.amdhsa_user_sgpr_kernarg_segment_ptr 1
		.amdhsa_user_sgpr_dispatch_id 0
		.amdhsa_user_sgpr_flat_scratch_init 1
		.amdhsa_user_sgpr_kernarg_preload_length 0
		.amdhsa_user_sgpr_kernarg_preload_offset 0
		.amdhsa_user_sgpr_private_segment_size 0
		.amdhsa_uses_dynamic_stack 0
		.amdhsa_system_sgpr_private_segment_wavefront_offset 1
		.amdhsa_system_sgpr_workgroup_id_x 1
		.amdhsa_system_sgpr_workgroup_id_y 0
		.amdhsa_system_sgpr_workgroup_id_z 0
		.amdhsa_system_sgpr_workgroup_info 0
		.amdhsa_system_vgpr_workitem_id 0
		.amdhsa_next_free_vgpr 462
		.amdhsa_next_free_sgpr 23
		.amdhsa_accum_offset 256
		.amdhsa_reserve_vcc 1
		.amdhsa_reserve_flat_scratch 1
		.amdhsa_float_round_mode_32 0
		.amdhsa_float_round_mode_16_64 0
		.amdhsa_float_denorm_mode_32 3
		.amdhsa_float_denorm_mode_16_64 3
		.amdhsa_dx10_clamp 1
		.amdhsa_ieee_mode 1
		.amdhsa_fp16_overflow 0
		.amdhsa_tg_split 0
		.amdhsa_exception_fp_ieee_invalid_op 0
		.amdhsa_exception_fp_denorm_src 0
		.amdhsa_exception_fp_ieee_div_zero 0
		.amdhsa_exception_fp_ieee_overflow 0
		.amdhsa_exception_fp_ieee_underflow 0
		.amdhsa_exception_fp_ieee_inexact 0
		.amdhsa_exception_int_div_zero 0
	.end_amdhsa_kernel
	.section	.text._ZN9rocsolver6v33100L18getri_kernel_smallILi56E19rocblas_complex_numIdEPS3_EEvT1_iilPiilS6_bb,"axG",@progbits,_ZN9rocsolver6v33100L18getri_kernel_smallILi56E19rocblas_complex_numIdEPS3_EEvT1_iilPiilS6_bb,comdat
.Lfunc_end55:
	.size	_ZN9rocsolver6v33100L18getri_kernel_smallILi56E19rocblas_complex_numIdEPS3_EEvT1_iilPiilS6_bb, .Lfunc_end55-_ZN9rocsolver6v33100L18getri_kernel_smallILi56E19rocblas_complex_numIdEPS3_EEvT1_iilPiilS6_bb
                                        ; -- End function
	.section	.AMDGPU.csdata,"",@progbits
; Kernel info:
; codeLenInByte = 196204
; NumSgprs: 29
; NumVgprs: 256
; NumAgprs: 206
; TotalNumVgprs: 462
; ScratchSize: 928
; MemoryBound: 0
; FloatMode: 240
; IeeeMode: 1
; LDSByteSize: 1800 bytes/workgroup (compile time only)
; SGPRBlocks: 3
; VGPRBlocks: 57
; NumSGPRsForWavesPerEU: 29
; NumVGPRsForWavesPerEU: 462
; AccumOffset: 256
; Occupancy: 1
; WaveLimiterHint : 1
; COMPUTE_PGM_RSRC2:SCRATCH_EN: 1
; COMPUTE_PGM_RSRC2:USER_SGPR: 8
; COMPUTE_PGM_RSRC2:TRAP_HANDLER: 0
; COMPUTE_PGM_RSRC2:TGID_X_EN: 1
; COMPUTE_PGM_RSRC2:TGID_Y_EN: 0
; COMPUTE_PGM_RSRC2:TGID_Z_EN: 0
; COMPUTE_PGM_RSRC2:TIDIG_COMP_CNT: 0
; COMPUTE_PGM_RSRC3_GFX90A:ACCUM_OFFSET: 63
; COMPUTE_PGM_RSRC3_GFX90A:TG_SPLIT: 0
	.section	.text._ZN9rocsolver6v33100L18getri_kernel_smallILi57E19rocblas_complex_numIdEPS3_EEvT1_iilPiilS6_bb,"axG",@progbits,_ZN9rocsolver6v33100L18getri_kernel_smallILi57E19rocblas_complex_numIdEPS3_EEvT1_iilPiilS6_bb,comdat
	.globl	_ZN9rocsolver6v33100L18getri_kernel_smallILi57E19rocblas_complex_numIdEPS3_EEvT1_iilPiilS6_bb ; -- Begin function _ZN9rocsolver6v33100L18getri_kernel_smallILi57E19rocblas_complex_numIdEPS3_EEvT1_iilPiilS6_bb
	.p2align	8
	.type	_ZN9rocsolver6v33100L18getri_kernel_smallILi57E19rocblas_complex_numIdEPS3_EEvT1_iilPiilS6_bb,@function
_ZN9rocsolver6v33100L18getri_kernel_smallILi57E19rocblas_complex_numIdEPS3_EEvT1_iilPiilS6_bb: ; @_ZN9rocsolver6v33100L18getri_kernel_smallILi57E19rocblas_complex_numIdEPS3_EEvT1_iilPiilS6_bb
; %bb.0:
	s_add_u32 flat_scratch_lo, s6, s9
	s_addc_u32 flat_scratch_hi, s7, 0
	s_add_u32 s0, s0, s9
	v_mov_b32_e32 v254, v0
	s_addc_u32 s1, s1, 0
	v_cmp_gt_u32_e32 vcc, 57, v254
	s_and_saveexec_b64 s[6:7], vcc
	s_cbranch_execz .LBB56_242
; %bb.1:
	s_load_dword s22, s[4:5], 0x38
	s_load_dwordx4 s[16:19], s[4:5], 0x10
	s_load_dwordx4 s[12:15], s[4:5], 0x28
                                        ; implicit-def: $sgpr10_sgpr11
	s_waitcnt lgkmcnt(0)
	s_bitcmp1_b32 s22, 8
	s_cselect_b64 s[20:21], -1, 0
	s_ashr_i32 s9, s8, 31
	s_bfe_u32 s6, s22, 0x10008
	s_cmp_eq_u32 s6, 0
	s_cbranch_scc1 .LBB56_3
; %bb.2:
	s_load_dword s6, s[4:5], 0x20
	s_mul_i32 s7, s8, s13
	s_mul_hi_u32 s10, s8, s12
	s_mul_i32 s11, s9, s12
	s_add_i32 s10, s10, s7
	s_add_i32 s11, s10, s11
	s_mul_i32 s10, s8, s12
	s_waitcnt lgkmcnt(0)
	s_ashr_i32 s7, s6, 31
	s_lshl_b64 s[10:11], s[10:11], 2
	s_add_u32 s10, s18, s10
	s_addc_u32 s11, s19, s11
	s_lshl_b64 s[6:7], s[6:7], 2
	s_add_u32 s10, s10, s6
	s_addc_u32 s11, s11, s7
.LBB56_3:
	s_load_dwordx4 s[4:7], s[4:5], 0x0
	s_mul_i32 s12, s8, s17
	s_mul_hi_u32 s13, s8, s16
	s_add_i32 s17, s13, s12
	v_lshlrev_b32_e32 v1, 4, v254
	s_waitcnt lgkmcnt(0)
	s_ashr_i32 s13, s6, 31
	s_mov_b32 s12, s6
	s_mul_i32 s6, s9, s16
	s_add_i32 s17, s17, s6
	s_mul_i32 s16, s8, s16
	s_lshl_b64 s[16:17], s[16:17], 4
	s_add_u32 s6, s4, s16
	s_addc_u32 s16, s5, s17
	s_lshl_b64 s[4:5], s[12:13], 4
	s_add_u32 s4, s6, s4
	s_addc_u32 s5, s16, s5
	v_mov_b32_e32 v0, s5
	v_add_co_u32_e32 v6, vcc, s4, v1
	s_ashr_i32 s13, s7, 31
	s_mov_b32 s12, s7
	v_addc_co_u32_e32 v7, vcc, 0, v0, vcc
	s_lshl_b64 s[12:13], s[12:13], 4
	v_accvgpr_write_b32 a0, v6
	s_add_i32 s6, s7, s7
	v_mov_b32_e32 v0, s13
	v_add_co_u32_e32 v10, vcc, s12, v6
	v_accvgpr_write_b32 a1, v7
	v_add_u32_e32 v6, s6, v254
	v_addc_co_u32_e32 v11, vcc, v7, v0, vcc
	v_ashrrev_i32_e32 v7, 31, v6
	v_lshlrev_b64 v[8:9], 4, v[6:7]
	v_mov_b32_e32 v0, s5
	v_add_co_u32_e32 v8, vcc, s4, v8
	v_add_u32_e32 v6, s7, v6
	v_addc_co_u32_e32 v9, vcc, v0, v9, vcc
	v_accvgpr_write_b32 a2, v10
	v_accvgpr_write_b32 a4, v8
	v_ashrrev_i32_e32 v7, 31, v6
	v_accvgpr_write_b32 a3, v11
	global_load_dwordx4 v[10:13], v[10:11], off
	v_accvgpr_write_b32 a5, v9
	global_load_dwordx4 v[14:17], v[8:9], off
	v_lshlrev_b64 v[8:9], 4, v[6:7]
	v_add_u32_e32 v6, s7, v6
	v_add_co_u32_e32 v18, vcc, s4, v8
	v_ashrrev_i32_e32 v7, 31, v6
	v_addc_co_u32_e32 v19, vcc, v0, v9, vcc
	v_add_u32_e32 v8, s7, v6
	v_lshlrev_b64 v[6:7], 4, v[6:7]
	v_ashrrev_i32_e32 v9, 31, v8
	v_add_co_u32_e32 v22, vcc, s4, v6
	v_add_u32_e32 v26, s7, v8
	v_addc_co_u32_e32 v23, vcc, v0, v7, vcc
	v_lshlrev_b64 v[6:7], 4, v[8:9]
	v_mov_b32_e32 v28, s5
	v_ashrrev_i32_e32 v27, 31, v26
	v_add_co_u32_e32 v32, vcc, s4, v6
	v_add_u32_e32 v8, s7, v26
	v_addc_co_u32_e32 v33, vcc, v28, v7, vcc
	v_lshlrev_b64 v[6:7], 4, v[26:27]
	v_mov_b32_e32 v29, s5
	v_ashrrev_i32_e32 v9, 31, v8
	v_add_co_u32_e32 v30, vcc, s4, v6
	v_addc_co_u32_e32 v31, vcc, v29, v7, vcc
	v_lshlrev_b64 v[6:7], 4, v[8:9]
	v_add_co_u32_e32 v34, vcc, s4, v6
	v_add_u32_e32 v6, s7, v8
	v_addc_co_u32_e32 v35, vcc, v0, v7, vcc
	v_ashrrev_i32_e32 v7, 31, v6
	v_lshlrev_b64 v[8:9], 4, v[6:7]
	v_add_co_u32_e32 v8, vcc, s4, v8
	v_addc_co_u32_e32 v9, vcc, v0, v9, vcc
	v_add_u32_e32 v6, s7, v6
	v_accvgpr_write_b32 a6, v18
	v_accvgpr_write_b32 a17, v9
	v_ashrrev_i32_e32 v7, 31, v6
	v_accvgpr_write_b32 a7, v19
	global_load_dwordx4 v[18:21], v[18:19], off
	v_accvgpr_write_b32 a16, v8
	global_load_dwordx4 v[38:41], v[8:9], off
	v_lshlrev_b64 v[8:9], 4, v[6:7]
	v_add_u32_e32 v6, s7, v6
	v_add_co_u32_e32 v42, vcc, s4, v8
	v_ashrrev_i32_e32 v7, 31, v6
	v_addc_co_u32_e32 v43, vcc, v0, v9, vcc
	v_lshlrev_b64 v[8:9], 4, v[6:7]
	v_add_co_u32_e32 v8, vcc, s4, v8
	v_addc_co_u32_e32 v9, vcc, v0, v9, vcc
	v_add_u32_e32 v6, s7, v6
	v_accvgpr_write_b32 a10, v22
	v_accvgpr_write_b32 a21, v9
	v_ashrrev_i32_e32 v7, 31, v6
	v_accvgpr_write_b32 a11, v23
	global_load_dwordx4 v[22:25], v[22:23], off
	v_accvgpr_write_b32 a20, v8
	global_load_dwordx4 v[46:49], v[8:9], off
	v_lshlrev_b64 v[8:9], 4, v[6:7]
	v_add_u32_e32 v6, s7, v6
	v_add_co_u32_e32 v50, vcc, s4, v8
	v_ashrrev_i32_e32 v7, 31, v6
	v_addc_co_u32_e32 v51, vcc, v0, v9, vcc
	v_lshlrev_b64 v[8:9], 4, v[6:7]
	v_add_co_u32_e32 v8, vcc, s4, v8
	global_load_dwordx4 v[2:5], v1, s[4:5]
	v_addc_co_u32_e32 v9, vcc, v0, v9, vcc
	v_add_u32_e32 v6, s7, v6
	v_accvgpr_write_b32 a12, v32
	v_accvgpr_write_b32 a8, v30
	v_accvgpr_write_b32 a22, v50
	v_accvgpr_write_b32 a25, v9
	v_ashrrev_i32_e32 v7, 31, v6
	v_accvgpr_write_b32 a13, v33
	global_load_dwordx4 v[26:29], v[32:33], off
	v_accvgpr_write_b32 a9, v31
	v_accvgpr_write_b32 a23, v51
	global_load_dwordx4 v[50:53], v[50:51], off
	v_accvgpr_write_b32 a24, v8
	global_load_dwordx4 v[30:33], v[30:31], off
	;; [unrolled: 2-line block ×3, first 2 shown]
	v_lshlrev_b64 v[8:9], 4, v[6:7]
	v_add_co_u32_e32 v58, vcc, s4, v8
	v_addc_co_u32_e32 v59, vcc, v0, v9, vcc
	v_add_u32_e32 v6, s7, v6
	v_accvgpr_write_b32 a26, v58
	v_ashrrev_i32_e32 v7, 31, v6
	v_accvgpr_write_b32 a27, v59
	global_load_dwordx4 v[58:61], v[58:59], off
	v_lshlrev_b64 v[8:9], 4, v[6:7]
	v_add_co_u32_e32 v8, vcc, s4, v8
	v_addc_co_u32_e32 v9, vcc, v0, v9, vcc
	v_add_u32_e32 v6, s7, v6
	v_accvgpr_write_b32 a15, v35
	global_load_dwordx4 v[34:37], v[34:35], off
	v_accvgpr_write_b32 a29, v9
	global_load_dwordx4 v[62:65], v[8:9], off
	v_ashrrev_i32_e32 v7, 31, v6
	v_accvgpr_write_b32 a28, v8
	v_lshlrev_b64 v[8:9], 4, v[6:7]
	v_add_co_u32_e32 v8, vcc, s4, v8
	v_add_u32_e32 v70, s7, v6
	v_accvgpr_write_b32 a18, v42
	v_addc_co_u32_e32 v9, vcc, v0, v9, vcc
	v_ashrrev_i32_e32 v71, 31, v70
	v_accvgpr_write_b32 a19, v43
	global_load_dwordx4 v[42:45], v[42:43], off
	v_lshlrev_b64 v[6:7], 4, v[70:71]
	global_load_dwordx4 v[66:69], v[8:9], off
	v_add_co_u32_e32 v6, vcc, s4, v6
	v_addc_co_u32_e32 v7, vcc, v0, v7, vcc
	v_accvgpr_write_b32 a31, v9
	v_accvgpr_write_b32 a33, v7
	;; [unrolled: 1-line block ×4, first 2 shown]
	global_load_dwordx4 v[6:9], v[6:7], off
	s_waitcnt vmcnt(10)
	buffer_store_dword v5, off, s[0:3], 0 offset:28
	buffer_store_dword v4, off, s[0:3], 0 offset:24
	;; [unrolled: 1-line block ×20, first 2 shown]
	s_waitcnt vmcnt(29)
	buffer_store_dword v29, off, s[0:3], 0 offset:108
	buffer_store_dword v28, off, s[0:3], 0 offset:104
	buffer_store_dword v27, off, s[0:3], 0 offset:100
	buffer_store_dword v26, off, s[0:3], 0 offset:96
	s_waitcnt vmcnt(31)
	buffer_store_dword v33, off, s[0:3], 0 offset:124
	buffer_store_dword v32, off, s[0:3], 0 offset:120
	buffer_store_dword v31, off, s[0:3], 0 offset:116
	buffer_store_dword v30, off, s[0:3], 0 offset:112
	;; [unrolled: 5-line block ×3, first 2 shown]
	buffer_store_dword v41, off, s[0:3], 0 offset:156
	buffer_store_dword v40, off, s[0:3], 0 offset:152
	;; [unrolled: 1-line block ×4, first 2 shown]
	s_waitcnt vmcnt(38)
	buffer_store_dword v42, off, s[0:3], 0 offset:160
	buffer_store_dword v43, off, s[0:3], 0 offset:164
	;; [unrolled: 1-line block ×16, first 2 shown]
	v_add_u32_e32 v2, s7, v70
	v_ashrrev_i32_e32 v3, 31, v2
	v_lshlrev_b64 v[4:5], 4, v[2:3]
	v_add_co_u32_e32 v10, vcc, s4, v4
	v_addc_co_u32_e32 v11, vcc, v0, v5, vcc
	v_add_u32_e32 v2, s7, v2
	buffer_store_dword v61, off, s[0:3], 0 offset:236
	buffer_store_dword v60, off, s[0:3], 0 offset:232
	buffer_store_dword v59, off, s[0:3], 0 offset:228
	buffer_store_dword v58, off, s[0:3], 0 offset:224
	buffer_store_dword v65, off, s[0:3], 0 offset:252
	buffer_store_dword v64, off, s[0:3], 0 offset:248
	buffer_store_dword v63, off, s[0:3], 0 offset:244
	buffer_store_dword v62, off, s[0:3], 0 offset:240
	s_waitcnt vmcnt(61)
	buffer_store_dword v69, off, s[0:3], 0 offset:268
	buffer_store_dword v68, off, s[0:3], 0 offset:264
	;; [unrolled: 1-line block ×4, first 2 shown]
	s_waitcnt vmcnt(62)
	buffer_store_dword v9, off, s[0:3], 0 offset:284
	v_ashrrev_i32_e32 v3, 31, v2
	v_accvgpr_write_b32 a35, v11
	v_lshlrev_b64 v[4:5], 4, v[2:3]
	v_accvgpr_write_b32 a34, v10
	global_load_dwordx4 v[10:13], v[10:11], off
	v_add_co_u32_e32 v4, vcc, s4, v4
	v_addc_co_u32_e32 v5, vcc, v0, v5, vcc
	v_add_u32_e32 v2, s7, v2
	v_accvgpr_write_b32 a37, v5
	v_ashrrev_i32_e32 v3, 31, v2
	v_accvgpr_write_b32 a36, v4
	global_load_dwordx4 v[14:17], v[4:5], off
	v_lshlrev_b64 v[4:5], 4, v[2:3]
	v_add_co_u32_e32 v18, vcc, s4, v4
	v_addc_co_u32_e32 v19, vcc, v0, v5, vcc
	v_add_u32_e32 v2, s7, v2
	v_ashrrev_i32_e32 v3, 31, v2
	v_accvgpr_write_b32 a39, v19
	v_lshlrev_b64 v[4:5], 4, v[2:3]
	v_accvgpr_write_b32 a38, v18
	global_load_dwordx4 v[18:21], v[18:19], off
	v_add_co_u32_e32 v4, vcc, s4, v4
	v_addc_co_u32_e32 v5, vcc, v0, v5, vcc
	global_load_dwordx4 v[22:25], v[4:5], off
	v_add_u32_e32 v2, s7, v2
	v_accvgpr_write_b32 a41, v5
	v_ashrrev_i32_e32 v3, 31, v2
	v_accvgpr_write_b32 a40, v4
	v_lshlrev_b64 v[4:5], 4, v[2:3]
	v_add_co_u32_e32 v26, vcc, s4, v4
	v_addc_co_u32_e32 v27, vcc, v0, v5, vcc
	v_add_u32_e32 v2, s7, v2
	v_ashrrev_i32_e32 v3, 31, v2
	v_accvgpr_write_b32 a43, v27
	v_lshlrev_b64 v[4:5], 4, v[2:3]
	v_accvgpr_write_b32 a42, v26
	global_load_dwordx4 v[26:29], v[26:27], off
	v_add_co_u32_e32 v4, vcc, s4, v4
	v_addc_co_u32_e32 v5, vcc, v0, v5, vcc
	global_load_dwordx4 v[30:33], v[4:5], off
	v_add_u32_e32 v2, s7, v2
	v_accvgpr_write_b32 a45, v5
	v_ashrrev_i32_e32 v3, 31, v2
	v_accvgpr_write_b32 a44, v4
	;; [unrolled: 16-line block ×4, first 2 shown]
	v_lshlrev_b64 v[4:5], 4, v[2:3]
	v_add_co_u32_e32 v50, vcc, s4, v4
	v_addc_co_u32_e32 v51, vcc, v0, v5, vcc
	v_add_u32_e32 v2, s7, v2
	v_accvgpr_write_b32 a55, v51
	v_ashrrev_i32_e32 v3, 31, v2
	v_accvgpr_write_b32 a54, v50
	global_load_dwordx4 v[50:53], v[50:51], off
	v_lshlrev_b64 v[4:5], 4, v[2:3]
	v_add_co_u32_e32 v4, vcc, s4, v4
	v_addc_co_u32_e32 v5, vcc, v0, v5, vcc
	global_load_dwordx4 v[54:57], v[4:5], off
	v_add_u32_e32 v2, s7, v2
	v_accvgpr_write_b32 a57, v5
	v_ashrrev_i32_e32 v3, 31, v2
	v_accvgpr_write_b32 a56, v4
	v_lshlrev_b64 v[4:5], 4, v[2:3]
	v_add_co_u32_e32 v58, vcc, s4, v4
	v_addc_co_u32_e32 v59, vcc, v0, v5, vcc
	v_add_u32_e32 v2, s7, v2
	v_accvgpr_write_b32 a58, v58
	v_ashrrev_i32_e32 v3, 31, v2
	v_accvgpr_write_b32 a59, v59
	global_load_dwordx4 v[58:61], v[58:59], off
	v_lshlrev_b64 v[4:5], 4, v[2:3]
	v_add_co_u32_e32 v4, vcc, s4, v4
	v_addc_co_u32_e32 v5, vcc, v0, v5, vcc
	global_load_dwordx4 v[62:65], v[4:5], off
	v_add_u32_e32 v2, s7, v2
	v_accvgpr_write_b32 a61, v5
	v_ashrrev_i32_e32 v3, 31, v2
	v_accvgpr_write_b32 a60, v4
	;; [unrolled: 16-line block ×4, first 2 shown]
	v_lshlrev_b64 v[4:5], 4, v[2:3]
	v_add_co_u32_e32 v4, vcc, s4, v4
	v_add_u32_e32 v86, s7, v2
	v_addc_co_u32_e32 v5, vcc, v0, v5, vcc
	v_ashrrev_i32_e32 v87, 31, v86
	v_lshlrev_b64 v[2:3], 4, v[86:87]
	global_load_dwordx4 v[82:85], v[4:5], off
	v_add_co_u32_e32 v2, vcc, s4, v2
	v_addc_co_u32_e32 v3, vcc, v0, v3, vcc
	v_accvgpr_write_b32 a71, v5
	v_accvgpr_write_b32 a73, v3
	;; [unrolled: 1-line block ×4, first 2 shown]
	global_load_dwordx4 v[2:5], v[2:3], off
	s_nop 0
	buffer_store_dword v8, off, s[0:3], 0 offset:280
	buffer_store_dword v7, off, s[0:3], 0 offset:276
	buffer_store_dword v6, off, s[0:3], 0 offset:272
	s_waitcnt vmcnt(22)
	buffer_store_dword v13, off, s[0:3], 0 offset:300
	buffer_store_dword v12, off, s[0:3], 0 offset:296
	buffer_store_dword v11, off, s[0:3], 0 offset:292
	buffer_store_dword v10, off, s[0:3], 0 offset:288
	s_waitcnt vmcnt(25)
	buffer_store_dword v17, off, s[0:3], 0 offset:316
	;; [unrolled: 5-line block ×15, first 2 shown]
	buffer_store_dword v68, off, s[0:3], 0 offset:520
	buffer_store_dword v67, off, s[0:3], 0 offset:516
	;; [unrolled: 1-line block ×11, first 2 shown]
	s_waitcnt vmcnt(62)
	buffer_store_dword v81, off, s[0:3], 0 offset:572
	buffer_store_dword v80, off, s[0:3], 0 offset:568
	buffer_store_dword v79, off, s[0:3], 0 offset:564
	buffer_store_dword v78, off, s[0:3], 0 offset:560
	buffer_store_dword v85, off, s[0:3], 0 offset:588
	buffer_store_dword v84, off, s[0:3], 0 offset:584
	buffer_store_dword v83, off, s[0:3], 0 offset:580
	buffer_store_dword v82, off, s[0:3], 0 offset:576
	buffer_store_dword v5, off, s[0:3], 0 offset:604
	v_add_u32_e32 v6, s7, v86
	v_ashrrev_i32_e32 v7, 31, v6
	v_lshlrev_b64 v[8:9], 4, v[6:7]
	v_add_u32_e32 v14, s7, v6
	v_add_co_u32_e32 v8, vcc, s4, v8
	v_ashrrev_i32_e32 v15, 31, v14
	v_addc_co_u32_e32 v9, vcc, v0, v9, vcc
	v_lshlrev_b64 v[6:7], 4, v[14:15]
	v_add_co_u32_e32 v10, vcc, s4, v6
	v_accvgpr_write_b32 a77, v9
	v_addc_co_u32_e32 v11, vcc, v0, v7, vcc
	v_accvgpr_write_b32 a76, v8
	global_load_dwordx4 v[6:9], v[8:9], off
	v_add_u32_e32 v14, s7, v14
	v_accvgpr_write_b32 a79, v11
	v_ashrrev_i32_e32 v15, 31, v14
	v_accvgpr_write_b32 a78, v10
	global_load_dwordx4 v[10:13], v[10:11], off
	v_lshlrev_b64 v[16:17], 4, v[14:15]
	v_add_u32_e32 v22, s7, v14
	v_add_co_u32_e32 v16, vcc, s4, v16
	v_ashrrev_i32_e32 v23, 31, v22
	v_addc_co_u32_e32 v17, vcc, v0, v17, vcc
	v_lshlrev_b64 v[14:15], 4, v[22:23]
	v_add_co_u32_e32 v18, vcc, s4, v14
	v_accvgpr_write_b32 a81, v17
	v_addc_co_u32_e32 v19, vcc, v0, v15, vcc
	v_accvgpr_write_b32 a80, v16
	global_load_dwordx4 v[14:17], v[16:17], off
	v_add_u32_e32 v22, s7, v22
	v_accvgpr_write_b32 a83, v19
	v_ashrrev_i32_e32 v23, 31, v22
	v_accvgpr_write_b32 a82, v18
	global_load_dwordx4 v[18:21], v[18:19], off
	;; [unrolled: 16-line block ×9, first 2 shown]
	v_lshlrev_b64 v[80:81], 4, v[78:79]
	v_add_co_u32_e32 v80, vcc, s4, v80
	v_addc_co_u32_e32 v81, vcc, v0, v81, vcc
	v_add_u32_e32 v78, s7, v78
	v_ashrrev_i32_e32 v79, 31, v78
	v_accvgpr_write_b32 a113, v81
	v_lshlrev_b64 v[82:83], 4, v[78:79]
	v_accvgpr_write_b32 a112, v80
	global_load_dwordx4 v[78:81], v[80:81], off
	v_add_co_u32_e32 v82, vcc, s4, v82
	v_addc_co_u32_e32 v83, vcc, v0, v83, vcc
	v_accvgpr_write_b32 a74, v82
	v_accvgpr_write_b32 a75, v83
	global_load_dwordx4 v[82:85], v[82:83], off
	v_mov_b32_e32 v0, 16
	buffer_store_dword v4, off, s[0:3], 0 offset:600
	buffer_store_dword v3, off, s[0:3], 0 offset:596
	buffer_store_dword v2, off, s[0:3], 0 offset:592
	s_waitcnt vmcnt(22)
	buffer_store_dword v9, off, s[0:3], 0 offset:620
	buffer_store_dword v8, off, s[0:3], 0 offset:616
	buffer_store_dword v7, off, s[0:3], 0 offset:612
	buffer_store_dword v6, off, s[0:3], 0 offset:608
	s_waitcnt vmcnt(25)
	buffer_store_dword v13, off, s[0:3], 0 offset:636
	;; [unrolled: 5-line block ×15, first 2 shown]
	buffer_store_dword v64, off, s[0:3], 0 offset:840
	buffer_store_dword v63, off, s[0:3], 0 offset:836
	;; [unrolled: 1-line block ×11, first 2 shown]
	s_waitcnt vmcnt(62)
	buffer_store_dword v77, off, s[0:3], 0 offset:892
	buffer_store_dword v76, off, s[0:3], 0 offset:888
	;; [unrolled: 1-line block ×12, first 2 shown]
	v_add_u32_e32 v2, 16, v0
	v_accvgpr_write_b32 a169, v2
	v_add_u32_e32 v2, 32, v0
	v_accvgpr_write_b32 a168, v2
	;; [unrolled: 2-line block ×54, first 2 shown]
	v_add_u32_e32 v2, 0x370, v0
	v_add_u32_e32 v0, 0x380, v0
	s_bitcmp0_b32 s22, 0
	v_accvgpr_write_b32 a115, v2
	v_accvgpr_write_b32 a114, v0
	s_mov_b64 s[6:7], -1
	s_cbranch_scc1 .LBB56_240
; %bb.4:
	v_cmp_eq_u32_e64 s[4:5], 0, v254
	s_and_saveexec_b64 s[6:7], s[4:5]
	s_cbranch_execz .LBB56_6
; %bb.5:
	v_mov_b32_e32 v0, 0
	ds_write_b32 v0, v0 offset:1824
.LBB56_6:
	s_or_b64 exec, exec, s[6:7]
	v_mov_b32_e32 v0, 16
	v_lshl_add_u32 v12, v254, 4, v0
	s_waitcnt lgkmcnt(0)
	; wave barrier
	s_waitcnt lgkmcnt(0)
	buffer_load_dword v2, v12, s[0:3], 0 offen
	buffer_load_dword v3, v12, s[0:3], 0 offen offset:4
	buffer_load_dword v4, v12, s[0:3], 0 offen offset:8
	;; [unrolled: 1-line block ×3, first 2 shown]
	s_waitcnt vmcnt(2)
	v_cmp_eq_f64_e32 vcc, 0, v[2:3]
	s_waitcnt vmcnt(0)
	v_cmp_eq_f64_e64 s[6:7], 0, v[4:5]
	s_and_b64 s[6:7], vcc, s[6:7]
	s_and_saveexec_b64 s[12:13], s[6:7]
	s_cbranch_execz .LBB56_10
; %bb.7:
	v_mov_b32_e32 v2, 0
	ds_read_b32 v0, v2 offset:1824
	v_add_u32_e32 v3, 1, v254
	s_waitcnt lgkmcnt(0)
	v_readfirstlane_b32 s6, v0
	s_cmp_eq_u32 s6, 0
	s_cselect_b64 s[16:17], -1, 0
	v_cmp_gt_i32_e32 vcc, s6, v3
	s_or_b64 s[16:17], s[16:17], vcc
	s_and_b64 exec, exec, s[16:17]
	s_cbranch_execz .LBB56_10
; %bb.8:
	s_mov_b64 s[16:17], 0
	v_mov_b32_e32 v4, s6
.LBB56_9:                               ; =>This Inner Loop Header: Depth=1
	ds_cmpst_rtn_b32 v4, v2, v4, v3 offset:1824
	s_waitcnt lgkmcnt(0)
	v_cmp_ne_u32_e32 vcc, 0, v4
	v_cmp_le_i32_e64 s[6:7], v4, v3
	s_and_b64 s[6:7], vcc, s[6:7]
	s_and_b64 s[6:7], exec, s[6:7]
	s_or_b64 s[16:17], s[6:7], s[16:17]
	s_andn2_b64 exec, exec, s[16:17]
	s_cbranch_execnz .LBB56_9
.LBB56_10:
	s_or_b64 exec, exec, s[12:13]
	v_mov_b32_e32 v3, 0
	s_waitcnt lgkmcnt(0)
	; wave barrier
	ds_read_b32 v2, v3 offset:1824
	s_and_saveexec_b64 s[6:7], s[4:5]
	s_cbranch_execz .LBB56_12
; %bb.11:
	s_lshl_b64 s[12:13], s[8:9], 2
	s_add_u32 s12, s14, s12
	s_addc_u32 s13, s15, s13
	s_waitcnt lgkmcnt(0)
	global_store_dword v3, v2, s[12:13]
.LBB56_12:
	s_or_b64 exec, exec, s[6:7]
	s_waitcnt lgkmcnt(0)
	v_cmp_ne_u32_e32 vcc, 0, v2
	s_mov_b64 s[6:7], 0
	s_cbranch_vccnz .LBB56_240
; %bb.13:
	buffer_load_dword v7, v12, s[0:3], 0 offen offset:4
	buffer_load_dword v6, v12, s[0:3], 0 offen
	buffer_load_dword v9, v12, s[0:3], 0 offen offset:12
	buffer_load_dword v8, v12, s[0:3], 0 offen offset:8
                                        ; implicit-def: $vgpr10_vgpr11
	s_waitcnt vmcnt(3)
	v_xor_b32_e32 v0, 0x80000000, v7
	s_waitcnt vmcnt(2)
	v_cmp_gt_f64_e32 vcc, 0, v[6:7]
	s_waitcnt vmcnt(1)
	v_xor_b32_e32 v4, 0x80000000, v9
	v_cndmask_b32_e32 v3, v7, v0, vcc
	s_waitcnt vmcnt(0)
	v_cmp_gt_f64_e32 vcc, 0, v[8:9]
	v_mov_b32_e32 v2, v6
	v_cndmask_b32_e32 v5, v9, v4, vcc
	v_mov_b32_e32 v4, v8
	v_cmp_ngt_f64_e32 vcc, v[2:3], v[4:5]
                                        ; implicit-def: $vgpr4_vgpr5
	s_and_saveexec_b64 s[6:7], vcc
	s_xor_b64 s[6:7], exec, s[6:7]
	s_cbranch_execz .LBB56_15
; %bb.14:
	v_div_scale_f64 v[2:3], s[12:13], v[8:9], v[8:9], v[6:7]
	v_rcp_f64_e32 v[4:5], v[2:3]
	v_div_scale_f64 v[10:11], vcc, v[6:7], v[8:9], v[6:7]
	v_fma_f64 v[14:15], -v[2:3], v[4:5], 1.0
	v_fmac_f64_e32 v[4:5], v[4:5], v[14:15]
	v_fma_f64 v[14:15], -v[2:3], v[4:5], 1.0
	v_fmac_f64_e32 v[4:5], v[4:5], v[14:15]
	v_mul_f64 v[14:15], v[10:11], v[4:5]
	v_fma_f64 v[2:3], -v[2:3], v[14:15], v[10:11]
	v_div_fmas_f64 v[2:3], v[2:3], v[4:5], v[14:15]
	v_div_fixup_f64 v[2:3], v[2:3], v[8:9], v[6:7]
	v_fmac_f64_e32 v[8:9], v[6:7], v[2:3]
	v_div_scale_f64 v[4:5], s[12:13], v[8:9], v[8:9], 1.0
	v_rcp_f64_e32 v[6:7], v[4:5]
	v_fma_f64 v[10:11], -v[4:5], v[6:7], 1.0
	v_fmac_f64_e32 v[6:7], v[6:7], v[10:11]
	v_fma_f64 v[10:11], -v[4:5], v[6:7], 1.0
	v_fmac_f64_e32 v[6:7], v[6:7], v[10:11]
	v_div_scale_f64 v[10:11], vcc, 1.0, v[8:9], 1.0
	v_mul_f64 v[14:15], v[10:11], v[6:7]
	v_fma_f64 v[4:5], -v[4:5], v[14:15], v[10:11]
	s_nop 1
	v_div_fmas_f64 v[4:5], v[4:5], v[6:7], v[14:15]
	v_div_fixup_f64 v[4:5], v[4:5], v[8:9], 1.0
	v_mul_f64 v[10:11], v[2:3], v[4:5]
	v_xor_b32_e32 v5, 0x80000000, v5
	v_xor_b32_e32 v3, 0x80000000, v11
	v_mov_b32_e32 v2, v10
                                        ; implicit-def: $vgpr6_vgpr7
                                        ; implicit-def: $vgpr8_vgpr9
.LBB56_15:
	s_andn2_saveexec_b64 s[6:7], s[6:7]
	s_cbranch_execz .LBB56_17
; %bb.16:
	v_div_scale_f64 v[2:3], s[12:13], v[6:7], v[6:7], v[8:9]
	v_rcp_f64_e32 v[4:5], v[2:3]
	v_div_scale_f64 v[10:11], vcc, v[8:9], v[6:7], v[8:9]
	v_fma_f64 v[14:15], -v[2:3], v[4:5], 1.0
	v_fmac_f64_e32 v[4:5], v[4:5], v[14:15]
	v_fma_f64 v[14:15], -v[2:3], v[4:5], 1.0
	v_fmac_f64_e32 v[4:5], v[4:5], v[14:15]
	v_mul_f64 v[14:15], v[10:11], v[4:5]
	v_fma_f64 v[2:3], -v[2:3], v[14:15], v[10:11]
	v_div_fmas_f64 v[2:3], v[2:3], v[4:5], v[14:15]
	v_div_fixup_f64 v[4:5], v[2:3], v[6:7], v[8:9]
	v_fmac_f64_e32 v[6:7], v[8:9], v[4:5]
	v_div_scale_f64 v[2:3], s[12:13], v[6:7], v[6:7], 1.0
	v_rcp_f64_e32 v[8:9], v[2:3]
	v_fma_f64 v[10:11], -v[2:3], v[8:9], 1.0
	v_fmac_f64_e32 v[8:9], v[8:9], v[10:11]
	v_fma_f64 v[10:11], -v[2:3], v[8:9], 1.0
	v_fmac_f64_e32 v[8:9], v[8:9], v[10:11]
	v_div_scale_f64 v[10:11], vcc, 1.0, v[6:7], 1.0
	v_mul_f64 v[14:15], v[10:11], v[8:9]
	v_fma_f64 v[2:3], -v[2:3], v[14:15], v[10:11]
	s_nop 1
	v_div_fmas_f64 v[2:3], v[2:3], v[8:9], v[14:15]
	v_div_fixup_f64 v[10:11], v[2:3], v[6:7], 1.0
	v_xor_b32_e32 v3, 0x80000000, v11
	v_mov_b32_e32 v2, v10
	v_mul_f64 v[4:5], v[4:5], -v[10:11]
.LBB56_17:
	s_or_b64 exec, exec, s[6:7]
	buffer_store_dword v11, v12, s[0:3], 0 offen offset:4
	buffer_store_dword v10, v12, s[0:3], 0 offen
	buffer_store_dword v5, v12, s[0:3], 0 offen offset:12
	buffer_store_dword v4, v12, s[0:3], 0 offen offset:8
	v_accvgpr_read_b32 v0, a169
	buffer_load_dword v11, v0, s[0:3], 0 offen offset:12
	buffer_load_dword v10, v0, s[0:3], 0 offen offset:8
	;; [unrolled: 1-line block ×3, first 2 shown]
	buffer_load_dword v8, v0, s[0:3], 0 offen
	v_xor_b32_e32 v5, 0x80000000, v5
	v_add_u32_e32 v6, 0x390, v1
	ds_write_b128 v1, v[2:5]
	s_waitcnt vmcnt(0)
	ds_write_b128 v1, v[8:11] offset:912
	s_waitcnt lgkmcnt(0)
	; wave barrier
	s_waitcnt lgkmcnt(0)
	s_and_saveexec_b64 s[6:7], s[4:5]
	s_cbranch_execz .LBB56_19
; %bb.18:
	buffer_load_dword v14, v12, s[0:3], 0 offen offset:8
	buffer_load_dword v15, v12, s[0:3], 0 offen offset:12
	buffer_load_dword v16, v12, s[0:3], 0 offen
	buffer_load_dword v17, v12, s[0:3], 0 offen offset:4
	ds_read_b128 v[2:5], v6
	v_mov_b32_e32 v0, 0
	ds_read_b128 v[8:11], v0 offset:16
	s_waitcnt vmcnt(2) lgkmcnt(1)
	v_mul_f64 v[18:19], v[4:5], v[14:15]
	v_mul_f64 v[14:15], v[2:3], v[14:15]
	s_waitcnt vmcnt(0)
	v_fmac_f64_e32 v[14:15], v[4:5], v[16:17]
	v_fma_f64 v[2:3], v[2:3], v[16:17], -v[18:19]
	v_add_f64 v[4:5], v[14:15], 0
	v_add_f64 v[2:3], v[2:3], 0
	s_waitcnt lgkmcnt(0)
	v_mul_f64 v[14:15], v[4:5], v[10:11]
	v_mul_f64 v[10:11], v[2:3], v[10:11]
	v_fma_f64 v[2:3], v[2:3], v[8:9], -v[14:15]
	v_fmac_f64_e32 v[10:11], v[4:5], v[8:9]
	buffer_store_dword v2, off, s[0:3], 0 offset:32
	buffer_store_dword v3, off, s[0:3], 0 offset:36
	;; [unrolled: 1-line block ×4, first 2 shown]
.LBB56_19:
	s_or_b64 exec, exec, s[6:7]
	v_accvgpr_read_b32 v0, a168
	s_waitcnt lgkmcnt(0)
	; wave barrier
	buffer_load_dword v2, v0, s[0:3], 0 offen
	buffer_load_dword v3, v0, s[0:3], 0 offen offset:4
	buffer_load_dword v4, v0, s[0:3], 0 offen offset:8
	;; [unrolled: 1-line block ×3, first 2 shown]
	v_cmp_gt_u32_e32 vcc, 2, v254
	s_waitcnt vmcnt(0)
	ds_write_b128 v6, v[2:5]
	s_waitcnt lgkmcnt(0)
	; wave barrier
	s_waitcnt lgkmcnt(0)
	s_and_saveexec_b64 s[6:7], vcc
	s_cbranch_execz .LBB56_23
; %bb.20:
	buffer_load_dword v8, v12, s[0:3], 0 offen offset:8
	buffer_load_dword v9, v12, s[0:3], 0 offen offset:12
	buffer_load_dword v10, v12, s[0:3], 0 offen
	buffer_load_dword v11, v12, s[0:3], 0 offen offset:4
	ds_read_b128 v[2:5], v6
	s_waitcnt vmcnt(2) lgkmcnt(0)
	v_mul_f64 v[12:13], v[4:5], v[8:9]
	v_mul_f64 v[8:9], v[2:3], v[8:9]
	s_waitcnt vmcnt(0)
	v_fma_f64 v[2:3], v[2:3], v[10:11], -v[12:13]
	v_fmac_f64_e32 v[8:9], v[4:5], v[10:11]
	v_add_f64 v[4:5], v[2:3], 0
	v_add_f64 v[2:3], v[8:9], 0
	s_and_saveexec_b64 s[12:13], s[4:5]
	s_cbranch_execz .LBB56_22
; %bb.21:
	buffer_load_dword v12, off, s[0:3], 0 offset:40
	buffer_load_dword v13, off, s[0:3], 0 offset:44
	buffer_load_dword v14, off, s[0:3], 0 offset:32
	buffer_load_dword v15, off, s[0:3], 0 offset:36
	v_mov_b32_e32 v0, 0
	ds_read_b128 v[8:11], v0 offset:928
	s_waitcnt vmcnt(2) lgkmcnt(0)
	v_mul_f64 v[16:17], v[8:9], v[12:13]
	v_mul_f64 v[12:13], v[10:11], v[12:13]
	s_waitcnt vmcnt(0)
	v_fmac_f64_e32 v[16:17], v[10:11], v[14:15]
	v_fma_f64 v[8:9], v[8:9], v[14:15], -v[12:13]
	v_add_f64 v[2:3], v[2:3], v[16:17]
	v_add_f64 v[4:5], v[4:5], v[8:9]
.LBB56_22:
	s_or_b64 exec, exec, s[12:13]
	v_mov_b32_e32 v0, 0
	ds_read_b128 v[8:11], v0 offset:32
	s_waitcnt lgkmcnt(0)
	v_mul_f64 v[12:13], v[2:3], v[10:11]
	v_mul_f64 v[10:11], v[4:5], v[10:11]
	v_fma_f64 v[4:5], v[4:5], v[8:9], -v[12:13]
	v_fmac_f64_e32 v[10:11], v[2:3], v[8:9]
	buffer_store_dword v5, off, s[0:3], 0 offset:52
	buffer_store_dword v4, off, s[0:3], 0 offset:48
	;; [unrolled: 1-line block ×4, first 2 shown]
.LBB56_23:
	s_or_b64 exec, exec, s[6:7]
	v_accvgpr_read_b32 v0, a167
	s_waitcnt lgkmcnt(0)
	; wave barrier
	buffer_load_dword v2, v0, s[0:3], 0 offen
	buffer_load_dword v3, v0, s[0:3], 0 offen offset:4
	buffer_load_dword v4, v0, s[0:3], 0 offen offset:8
	;; [unrolled: 1-line block ×3, first 2 shown]
	v_cmp_gt_u32_e32 vcc, 3, v254
	v_add_u32_e32 v7, -1, v254
	s_waitcnt vmcnt(0)
	ds_write_b128 v6, v[2:5]
	s_waitcnt lgkmcnt(0)
	; wave barrier
	s_waitcnt lgkmcnt(0)
	s_and_saveexec_b64 s[4:5], vcc
	s_cbranch_execz .LBB56_27
; %bb.24:
	v_pk_mov_b32 v[2:3], 0, 0
	v_add_u32_e32 v8, -1, v254
	v_add_u32_e32 v9, 0x390, v1
	v_add_u32_e32 v10, 16, v1
	s_mov_b64 s[6:7], 0
	v_pk_mov_b32 v[4:5], v[2:3], v[2:3] op_sel:[0,1]
.LBB56_25:                              ; =>This Inner Loop Header: Depth=1
	buffer_load_dword v16, v10, s[0:3], 0 offen offset:8
	buffer_load_dword v17, v10, s[0:3], 0 offen offset:12
	buffer_load_dword v18, v10, s[0:3], 0 offen
	buffer_load_dword v19, v10, s[0:3], 0 offen offset:4
	ds_read_b128 v[12:15], v9
	v_add_u32_e32 v8, 1, v8
	v_cmp_lt_u32_e32 vcc, 1, v8
	v_add_u32_e32 v9, 16, v9
	v_add_u32_e32 v10, 16, v10
	s_or_b64 s[6:7], vcc, s[6:7]
	s_waitcnt vmcnt(2) lgkmcnt(0)
	v_mul_f64 v[20:21], v[14:15], v[16:17]
	v_mul_f64 v[16:17], v[12:13], v[16:17]
	s_waitcnt vmcnt(0)
	v_fma_f64 v[12:13], v[12:13], v[18:19], -v[20:21]
	v_fmac_f64_e32 v[16:17], v[14:15], v[18:19]
	v_add_f64 v[4:5], v[4:5], v[12:13]
	v_add_f64 v[2:3], v[2:3], v[16:17]
	s_andn2_b64 exec, exec, s[6:7]
	s_cbranch_execnz .LBB56_25
; %bb.26:
	s_or_b64 exec, exec, s[6:7]
	v_mov_b32_e32 v0, 0
	ds_read_b128 v[8:11], v0 offset:48
	s_waitcnt lgkmcnt(0)
	v_mul_f64 v[12:13], v[2:3], v[10:11]
	v_mul_f64 v[10:11], v[4:5], v[10:11]
	v_fma_f64 v[4:5], v[4:5], v[8:9], -v[12:13]
	v_fmac_f64_e32 v[10:11], v[2:3], v[8:9]
	buffer_store_dword v5, off, s[0:3], 0 offset:68
	buffer_store_dword v4, off, s[0:3], 0 offset:64
	buffer_store_dword v11, off, s[0:3], 0 offset:76
	buffer_store_dword v10, off, s[0:3], 0 offset:72
.LBB56_27:
	s_or_b64 exec, exec, s[4:5]
	v_accvgpr_read_b32 v0, a166
	s_waitcnt lgkmcnt(0)
	; wave barrier
	buffer_load_dword v2, v0, s[0:3], 0 offen
	buffer_load_dword v3, v0, s[0:3], 0 offen offset:4
	buffer_load_dword v4, v0, s[0:3], 0 offen offset:8
	buffer_load_dword v5, v0, s[0:3], 0 offen offset:12
	v_cmp_gt_u32_e32 vcc, 4, v254
	s_waitcnt vmcnt(0)
	ds_write_b128 v6, v[2:5]
	s_waitcnt lgkmcnt(0)
	; wave barrier
	s_waitcnt lgkmcnt(0)
	s_and_saveexec_b64 s[4:5], vcc
	s_cbranch_execz .LBB56_31
; %bb.28:
	v_pk_mov_b32 v[2:3], 0, 0
	v_add_u32_e32 v8, -1, v254
	v_add_u32_e32 v9, 0x390, v1
	v_add_u32_e32 v10, 16, v1
	s_mov_b64 s[6:7], 0
	v_pk_mov_b32 v[4:5], v[2:3], v[2:3] op_sel:[0,1]
.LBB56_29:                              ; =>This Inner Loop Header: Depth=1
	buffer_load_dword v16, v10, s[0:3], 0 offen offset:8
	buffer_load_dword v17, v10, s[0:3], 0 offen offset:12
	buffer_load_dword v18, v10, s[0:3], 0 offen
	buffer_load_dword v19, v10, s[0:3], 0 offen offset:4
	ds_read_b128 v[12:15], v9
	v_add_u32_e32 v8, 1, v8
	v_cmp_lt_u32_e32 vcc, 2, v8
	v_add_u32_e32 v9, 16, v9
	v_add_u32_e32 v10, 16, v10
	s_or_b64 s[6:7], vcc, s[6:7]
	s_waitcnt vmcnt(2) lgkmcnt(0)
	v_mul_f64 v[20:21], v[14:15], v[16:17]
	v_mul_f64 v[16:17], v[12:13], v[16:17]
	s_waitcnt vmcnt(0)
	v_fma_f64 v[12:13], v[12:13], v[18:19], -v[20:21]
	v_fmac_f64_e32 v[16:17], v[14:15], v[18:19]
	v_add_f64 v[4:5], v[4:5], v[12:13]
	v_add_f64 v[2:3], v[2:3], v[16:17]
	s_andn2_b64 exec, exec, s[6:7]
	s_cbranch_execnz .LBB56_29
; %bb.30:
	s_or_b64 exec, exec, s[6:7]
	v_mov_b32_e32 v0, 0
	ds_read_b128 v[8:11], v0 offset:64
	s_waitcnt lgkmcnt(0)
	v_mul_f64 v[12:13], v[2:3], v[10:11]
	v_mul_f64 v[10:11], v[4:5], v[10:11]
	v_fma_f64 v[4:5], v[4:5], v[8:9], -v[12:13]
	v_fmac_f64_e32 v[10:11], v[2:3], v[8:9]
	buffer_store_dword v5, off, s[0:3], 0 offset:84
	buffer_store_dword v4, off, s[0:3], 0 offset:80
	buffer_store_dword v11, off, s[0:3], 0 offset:92
	buffer_store_dword v10, off, s[0:3], 0 offset:88
.LBB56_31:
	s_or_b64 exec, exec, s[4:5]
	v_accvgpr_read_b32 v0, a165
	s_waitcnt lgkmcnt(0)
	; wave barrier
	buffer_load_dword v2, v0, s[0:3], 0 offen
	buffer_load_dword v3, v0, s[0:3], 0 offen offset:4
	buffer_load_dword v4, v0, s[0:3], 0 offen offset:8
	buffer_load_dword v5, v0, s[0:3], 0 offen offset:12
	v_cmp_gt_u32_e32 vcc, 5, v254
	;; [unrolled: 58-line block ×19, first 2 shown]
	s_waitcnt vmcnt(0)
	ds_write_b128 v6, v[2:5]
	s_waitcnt lgkmcnt(0)
	; wave barrier
	s_waitcnt lgkmcnt(0)
	s_and_saveexec_b64 s[4:5], vcc
	s_cbranch_execz .LBB56_103
; %bb.100:
	v_pk_mov_b32 v[2:3], 0, 0
	v_add_u32_e32 v8, -1, v254
	v_add_u32_e32 v9, 0x390, v1
	v_add_u32_e32 v10, 16, v1
	s_mov_b64 s[6:7], 0
	v_pk_mov_b32 v[4:5], v[2:3], v[2:3] op_sel:[0,1]
.LBB56_101:                             ; =>This Inner Loop Header: Depth=1
	buffer_load_dword v16, v10, s[0:3], 0 offen offset:8
	buffer_load_dword v17, v10, s[0:3], 0 offen offset:12
	buffer_load_dword v18, v10, s[0:3], 0 offen
	buffer_load_dword v19, v10, s[0:3], 0 offen offset:4
	ds_read_b128 v[12:15], v9
	v_add_u32_e32 v8, 1, v8
	v_cmp_lt_u32_e32 vcc, 20, v8
	v_add_u32_e32 v9, 16, v9
	v_add_u32_e32 v10, 16, v10
	s_or_b64 s[6:7], vcc, s[6:7]
	s_waitcnt vmcnt(2) lgkmcnt(0)
	v_mul_f64 v[20:21], v[14:15], v[16:17]
	v_mul_f64 v[16:17], v[12:13], v[16:17]
	s_waitcnt vmcnt(0)
	v_fma_f64 v[12:13], v[12:13], v[18:19], -v[20:21]
	v_fmac_f64_e32 v[16:17], v[14:15], v[18:19]
	v_add_f64 v[4:5], v[4:5], v[12:13]
	v_add_f64 v[2:3], v[2:3], v[16:17]
	s_andn2_b64 exec, exec, s[6:7]
	s_cbranch_execnz .LBB56_101
; %bb.102:
	s_or_b64 exec, exec, s[6:7]
	v_mov_b32_e32 v0, 0
	ds_read_b128 v[8:11], v0 offset:352
	s_waitcnt lgkmcnt(0)
	v_mul_f64 v[12:13], v[2:3], v[10:11]
	v_mul_f64 v[10:11], v[4:5], v[10:11]
	v_fma_f64 v[4:5], v[4:5], v[8:9], -v[12:13]
	v_fmac_f64_e32 v[10:11], v[2:3], v[8:9]
	buffer_store_dword v5, off, s[0:3], 0 offset:372
	buffer_store_dword v4, off, s[0:3], 0 offset:368
	buffer_store_dword v11, off, s[0:3], 0 offset:380
	buffer_store_dword v10, off, s[0:3], 0 offset:376
.LBB56_103:
	s_or_b64 exec, exec, s[4:5]
	v_accvgpr_read_b32 v0, a147
	s_waitcnt lgkmcnt(0)
	; wave barrier
	buffer_load_dword v2, v0, s[0:3], 0 offen
	buffer_load_dword v3, v0, s[0:3], 0 offen offset:4
	buffer_load_dword v4, v0, s[0:3], 0 offen offset:8
	buffer_load_dword v5, v0, s[0:3], 0 offen offset:12
	v_cmp_gt_u32_e32 vcc, 23, v254
	s_waitcnt vmcnt(0)
	ds_write_b128 v6, v[2:5]
	s_waitcnt lgkmcnt(0)
	; wave barrier
	s_waitcnt lgkmcnt(0)
	s_and_saveexec_b64 s[4:5], vcc
	s_cbranch_execz .LBB56_107
; %bb.104:
	v_pk_mov_b32 v[2:3], 0, 0
	v_add_u32_e32 v8, -1, v254
	v_add_u32_e32 v9, 0x390, v1
	v_add_u32_e32 v10, 16, v1
	s_mov_b64 s[6:7], 0
	v_pk_mov_b32 v[4:5], v[2:3], v[2:3] op_sel:[0,1]
.LBB56_105:                             ; =>This Inner Loop Header: Depth=1
	buffer_load_dword v16, v10, s[0:3], 0 offen offset:8
	buffer_load_dword v17, v10, s[0:3], 0 offen offset:12
	buffer_load_dword v18, v10, s[0:3], 0 offen
	buffer_load_dword v19, v10, s[0:3], 0 offen offset:4
	ds_read_b128 v[12:15], v9
	v_add_u32_e32 v8, 1, v8
	v_cmp_lt_u32_e32 vcc, 21, v8
	v_add_u32_e32 v9, 16, v9
	v_add_u32_e32 v10, 16, v10
	s_or_b64 s[6:7], vcc, s[6:7]
	s_waitcnt vmcnt(2) lgkmcnt(0)
	v_mul_f64 v[20:21], v[14:15], v[16:17]
	v_mul_f64 v[16:17], v[12:13], v[16:17]
	s_waitcnt vmcnt(0)
	v_fma_f64 v[12:13], v[12:13], v[18:19], -v[20:21]
	v_fmac_f64_e32 v[16:17], v[14:15], v[18:19]
	v_add_f64 v[4:5], v[4:5], v[12:13]
	v_add_f64 v[2:3], v[2:3], v[16:17]
	s_andn2_b64 exec, exec, s[6:7]
	s_cbranch_execnz .LBB56_105
; %bb.106:
	s_or_b64 exec, exec, s[6:7]
	v_mov_b32_e32 v0, 0
	ds_read_b128 v[8:11], v0 offset:368
	s_waitcnt lgkmcnt(0)
	v_mul_f64 v[12:13], v[2:3], v[10:11]
	v_mul_f64 v[10:11], v[4:5], v[10:11]
	v_fma_f64 v[4:5], v[4:5], v[8:9], -v[12:13]
	v_fmac_f64_e32 v[10:11], v[2:3], v[8:9]
	buffer_store_dword v5, off, s[0:3], 0 offset:388
	buffer_store_dword v4, off, s[0:3], 0 offset:384
	buffer_store_dword v11, off, s[0:3], 0 offset:396
	buffer_store_dword v10, off, s[0:3], 0 offset:392
.LBB56_107:
	s_or_b64 exec, exec, s[4:5]
	v_accvgpr_read_b32 v0, a146
	s_waitcnt lgkmcnt(0)
	; wave barrier
	buffer_load_dword v2, v0, s[0:3], 0 offen
	buffer_load_dword v3, v0, s[0:3], 0 offen offset:4
	buffer_load_dword v4, v0, s[0:3], 0 offen offset:8
	buffer_load_dword v5, v0, s[0:3], 0 offen offset:12
	v_cmp_gt_u32_e32 vcc, 24, v254
	s_waitcnt vmcnt(0)
	ds_write_b128 v6, v[2:5]
	s_waitcnt lgkmcnt(0)
	; wave barrier
	s_waitcnt lgkmcnt(0)
	s_and_saveexec_b64 s[4:5], vcc
	s_cbranch_execz .LBB56_111
; %bb.108:
	v_pk_mov_b32 v[2:3], 0, 0
	v_add_u32_e32 v8, -1, v254
	v_add_u32_e32 v9, 0x390, v1
	v_add_u32_e32 v10, 16, v1
	s_mov_b64 s[6:7], 0
	v_pk_mov_b32 v[4:5], v[2:3], v[2:3] op_sel:[0,1]
.LBB56_109:                             ; =>This Inner Loop Header: Depth=1
	buffer_load_dword v16, v10, s[0:3], 0 offen offset:8
	buffer_load_dword v17, v10, s[0:3], 0 offen offset:12
	buffer_load_dword v18, v10, s[0:3], 0 offen
	buffer_load_dword v19, v10, s[0:3], 0 offen offset:4
	ds_read_b128 v[12:15], v9
	v_add_u32_e32 v8, 1, v8
	v_cmp_lt_u32_e32 vcc, 22, v8
	v_add_u32_e32 v9, 16, v9
	v_add_u32_e32 v10, 16, v10
	s_or_b64 s[6:7], vcc, s[6:7]
	s_waitcnt vmcnt(2) lgkmcnt(0)
	v_mul_f64 v[20:21], v[14:15], v[16:17]
	v_mul_f64 v[16:17], v[12:13], v[16:17]
	s_waitcnt vmcnt(0)
	v_fma_f64 v[12:13], v[12:13], v[18:19], -v[20:21]
	v_fmac_f64_e32 v[16:17], v[14:15], v[18:19]
	v_add_f64 v[4:5], v[4:5], v[12:13]
	v_add_f64 v[2:3], v[2:3], v[16:17]
	s_andn2_b64 exec, exec, s[6:7]
	s_cbranch_execnz .LBB56_109
; %bb.110:
	s_or_b64 exec, exec, s[6:7]
	v_mov_b32_e32 v0, 0
	ds_read_b128 v[8:11], v0 offset:384
	s_waitcnt lgkmcnt(0)
	v_mul_f64 v[12:13], v[2:3], v[10:11]
	v_mul_f64 v[10:11], v[4:5], v[10:11]
	v_fma_f64 v[4:5], v[4:5], v[8:9], -v[12:13]
	v_fmac_f64_e32 v[10:11], v[2:3], v[8:9]
	buffer_store_dword v5, off, s[0:3], 0 offset:404
	buffer_store_dword v4, off, s[0:3], 0 offset:400
	buffer_store_dword v11, off, s[0:3], 0 offset:412
	buffer_store_dword v10, off, s[0:3], 0 offset:408
.LBB56_111:
	s_or_b64 exec, exec, s[4:5]
	v_accvgpr_read_b32 v0, a145
	s_waitcnt lgkmcnt(0)
	; wave barrier
	buffer_load_dword v2, v0, s[0:3], 0 offen
	buffer_load_dword v3, v0, s[0:3], 0 offen offset:4
	buffer_load_dword v4, v0, s[0:3], 0 offen offset:8
	buffer_load_dword v5, v0, s[0:3], 0 offen offset:12
	v_cmp_gt_u32_e32 vcc, 25, v254
	s_waitcnt vmcnt(0)
	ds_write_b128 v6, v[2:5]
	s_waitcnt lgkmcnt(0)
	; wave barrier
	s_waitcnt lgkmcnt(0)
	s_and_saveexec_b64 s[4:5], vcc
	s_cbranch_execz .LBB56_115
; %bb.112:
	v_pk_mov_b32 v[2:3], 0, 0
	v_add_u32_e32 v8, -1, v254
	v_add_u32_e32 v9, 0x390, v1
	v_add_u32_e32 v10, 16, v1
	s_mov_b64 s[6:7], 0
	v_pk_mov_b32 v[4:5], v[2:3], v[2:3] op_sel:[0,1]
.LBB56_113:                             ; =>This Inner Loop Header: Depth=1
	buffer_load_dword v16, v10, s[0:3], 0 offen offset:8
	buffer_load_dword v17, v10, s[0:3], 0 offen offset:12
	buffer_load_dword v18, v10, s[0:3], 0 offen
	buffer_load_dword v19, v10, s[0:3], 0 offen offset:4
	ds_read_b128 v[12:15], v9
	v_add_u32_e32 v8, 1, v8
	v_cmp_lt_u32_e32 vcc, 23, v8
	v_add_u32_e32 v9, 16, v9
	v_add_u32_e32 v10, 16, v10
	s_or_b64 s[6:7], vcc, s[6:7]
	s_waitcnt vmcnt(2) lgkmcnt(0)
	v_mul_f64 v[20:21], v[14:15], v[16:17]
	v_mul_f64 v[16:17], v[12:13], v[16:17]
	s_waitcnt vmcnt(0)
	v_fma_f64 v[12:13], v[12:13], v[18:19], -v[20:21]
	v_fmac_f64_e32 v[16:17], v[14:15], v[18:19]
	v_add_f64 v[4:5], v[4:5], v[12:13]
	v_add_f64 v[2:3], v[2:3], v[16:17]
	s_andn2_b64 exec, exec, s[6:7]
	s_cbranch_execnz .LBB56_113
; %bb.114:
	s_or_b64 exec, exec, s[6:7]
	v_mov_b32_e32 v0, 0
	ds_read_b128 v[8:11], v0 offset:400
	s_waitcnt lgkmcnt(0)
	v_mul_f64 v[12:13], v[2:3], v[10:11]
	v_mul_f64 v[10:11], v[4:5], v[10:11]
	v_fma_f64 v[4:5], v[4:5], v[8:9], -v[12:13]
	v_fmac_f64_e32 v[10:11], v[2:3], v[8:9]
	buffer_store_dword v5, off, s[0:3], 0 offset:420
	buffer_store_dword v4, off, s[0:3], 0 offset:416
	buffer_store_dword v11, off, s[0:3], 0 offset:428
	buffer_store_dword v10, off, s[0:3], 0 offset:424
.LBB56_115:
	s_or_b64 exec, exec, s[4:5]
	v_accvgpr_read_b32 v0, a144
	s_waitcnt lgkmcnt(0)
	; wave barrier
	buffer_load_dword v2, v0, s[0:3], 0 offen
	buffer_load_dword v3, v0, s[0:3], 0 offen offset:4
	buffer_load_dword v4, v0, s[0:3], 0 offen offset:8
	buffer_load_dword v5, v0, s[0:3], 0 offen offset:12
	v_cmp_gt_u32_e32 vcc, 26, v254
	s_waitcnt vmcnt(0)
	ds_write_b128 v6, v[2:5]
	s_waitcnt lgkmcnt(0)
	; wave barrier
	s_waitcnt lgkmcnt(0)
	s_and_saveexec_b64 s[4:5], vcc
	s_cbranch_execz .LBB56_119
; %bb.116:
	v_pk_mov_b32 v[2:3], 0, 0
	v_add_u32_e32 v8, -1, v254
	v_add_u32_e32 v9, 0x390, v1
	v_add_u32_e32 v10, 16, v1
	s_mov_b64 s[6:7], 0
	v_pk_mov_b32 v[4:5], v[2:3], v[2:3] op_sel:[0,1]
.LBB56_117:                             ; =>This Inner Loop Header: Depth=1
	buffer_load_dword v16, v10, s[0:3], 0 offen offset:8
	buffer_load_dword v17, v10, s[0:3], 0 offen offset:12
	buffer_load_dword v18, v10, s[0:3], 0 offen
	buffer_load_dword v19, v10, s[0:3], 0 offen offset:4
	ds_read_b128 v[12:15], v9
	v_add_u32_e32 v8, 1, v8
	v_cmp_lt_u32_e32 vcc, 24, v8
	v_add_u32_e32 v9, 16, v9
	v_add_u32_e32 v10, 16, v10
	s_or_b64 s[6:7], vcc, s[6:7]
	s_waitcnt vmcnt(2) lgkmcnt(0)
	v_mul_f64 v[20:21], v[14:15], v[16:17]
	v_mul_f64 v[16:17], v[12:13], v[16:17]
	s_waitcnt vmcnt(0)
	v_fma_f64 v[12:13], v[12:13], v[18:19], -v[20:21]
	v_fmac_f64_e32 v[16:17], v[14:15], v[18:19]
	v_add_f64 v[4:5], v[4:5], v[12:13]
	v_add_f64 v[2:3], v[2:3], v[16:17]
	s_andn2_b64 exec, exec, s[6:7]
	s_cbranch_execnz .LBB56_117
; %bb.118:
	s_or_b64 exec, exec, s[6:7]
	v_mov_b32_e32 v0, 0
	ds_read_b128 v[8:11], v0 offset:416
	s_waitcnt lgkmcnt(0)
	v_mul_f64 v[12:13], v[2:3], v[10:11]
	v_mul_f64 v[10:11], v[4:5], v[10:11]
	v_fma_f64 v[4:5], v[4:5], v[8:9], -v[12:13]
	v_fmac_f64_e32 v[10:11], v[2:3], v[8:9]
	buffer_store_dword v5, off, s[0:3], 0 offset:436
	buffer_store_dword v4, off, s[0:3], 0 offset:432
	buffer_store_dword v11, off, s[0:3], 0 offset:444
	buffer_store_dword v10, off, s[0:3], 0 offset:440
.LBB56_119:
	s_or_b64 exec, exec, s[4:5]
	v_accvgpr_read_b32 v0, a143
	s_waitcnt lgkmcnt(0)
	; wave barrier
	buffer_load_dword v2, v0, s[0:3], 0 offen
	buffer_load_dword v3, v0, s[0:3], 0 offen offset:4
	buffer_load_dword v4, v0, s[0:3], 0 offen offset:8
	buffer_load_dword v5, v0, s[0:3], 0 offen offset:12
	v_cmp_gt_u32_e32 vcc, 27, v254
	s_waitcnt vmcnt(0)
	ds_write_b128 v6, v[2:5]
	s_waitcnt lgkmcnt(0)
	; wave barrier
	s_waitcnt lgkmcnt(0)
	s_and_saveexec_b64 s[4:5], vcc
	s_cbranch_execz .LBB56_123
; %bb.120:
	v_pk_mov_b32 v[2:3], 0, 0
	v_add_u32_e32 v8, -1, v254
	v_add_u32_e32 v9, 0x390, v1
	v_add_u32_e32 v10, 16, v1
	s_mov_b64 s[6:7], 0
	v_pk_mov_b32 v[4:5], v[2:3], v[2:3] op_sel:[0,1]
.LBB56_121:                             ; =>This Inner Loop Header: Depth=1
	buffer_load_dword v16, v10, s[0:3], 0 offen offset:8
	buffer_load_dword v17, v10, s[0:3], 0 offen offset:12
	buffer_load_dword v18, v10, s[0:3], 0 offen
	buffer_load_dword v19, v10, s[0:3], 0 offen offset:4
	ds_read_b128 v[12:15], v9
	v_add_u32_e32 v8, 1, v8
	v_cmp_lt_u32_e32 vcc, 25, v8
	v_add_u32_e32 v9, 16, v9
	v_add_u32_e32 v10, 16, v10
	s_or_b64 s[6:7], vcc, s[6:7]
	s_waitcnt vmcnt(2) lgkmcnt(0)
	v_mul_f64 v[20:21], v[14:15], v[16:17]
	v_mul_f64 v[16:17], v[12:13], v[16:17]
	s_waitcnt vmcnt(0)
	v_fma_f64 v[12:13], v[12:13], v[18:19], -v[20:21]
	v_fmac_f64_e32 v[16:17], v[14:15], v[18:19]
	v_add_f64 v[4:5], v[4:5], v[12:13]
	v_add_f64 v[2:3], v[2:3], v[16:17]
	s_andn2_b64 exec, exec, s[6:7]
	s_cbranch_execnz .LBB56_121
; %bb.122:
	s_or_b64 exec, exec, s[6:7]
	v_mov_b32_e32 v0, 0
	ds_read_b128 v[8:11], v0 offset:432
	s_waitcnt lgkmcnt(0)
	v_mul_f64 v[12:13], v[2:3], v[10:11]
	v_mul_f64 v[10:11], v[4:5], v[10:11]
	v_fma_f64 v[4:5], v[4:5], v[8:9], -v[12:13]
	v_fmac_f64_e32 v[10:11], v[2:3], v[8:9]
	buffer_store_dword v5, off, s[0:3], 0 offset:452
	buffer_store_dword v4, off, s[0:3], 0 offset:448
	buffer_store_dword v11, off, s[0:3], 0 offset:460
	buffer_store_dword v10, off, s[0:3], 0 offset:456
.LBB56_123:
	s_or_b64 exec, exec, s[4:5]
	v_accvgpr_read_b32 v0, a142
	s_waitcnt lgkmcnt(0)
	; wave barrier
	buffer_load_dword v2, v0, s[0:3], 0 offen
	buffer_load_dword v3, v0, s[0:3], 0 offen offset:4
	buffer_load_dword v4, v0, s[0:3], 0 offen offset:8
	buffer_load_dword v5, v0, s[0:3], 0 offen offset:12
	v_cmp_gt_u32_e32 vcc, 28, v254
	s_waitcnt vmcnt(0)
	ds_write_b128 v6, v[2:5]
	s_waitcnt lgkmcnt(0)
	; wave barrier
	s_waitcnt lgkmcnt(0)
	s_and_saveexec_b64 s[4:5], vcc
	s_cbranch_execz .LBB56_127
; %bb.124:
	v_pk_mov_b32 v[2:3], 0, 0
	v_add_u32_e32 v8, -1, v254
	v_add_u32_e32 v9, 0x390, v1
	v_add_u32_e32 v10, 16, v1
	s_mov_b64 s[6:7], 0
	v_pk_mov_b32 v[4:5], v[2:3], v[2:3] op_sel:[0,1]
.LBB56_125:                             ; =>This Inner Loop Header: Depth=1
	buffer_load_dword v16, v10, s[0:3], 0 offen offset:8
	buffer_load_dword v17, v10, s[0:3], 0 offen offset:12
	buffer_load_dword v18, v10, s[0:3], 0 offen
	buffer_load_dword v19, v10, s[0:3], 0 offen offset:4
	ds_read_b128 v[12:15], v9
	v_add_u32_e32 v8, 1, v8
	v_cmp_lt_u32_e32 vcc, 26, v8
	v_add_u32_e32 v9, 16, v9
	v_add_u32_e32 v10, 16, v10
	s_or_b64 s[6:7], vcc, s[6:7]
	s_waitcnt vmcnt(2) lgkmcnt(0)
	v_mul_f64 v[20:21], v[14:15], v[16:17]
	v_mul_f64 v[16:17], v[12:13], v[16:17]
	s_waitcnt vmcnt(0)
	v_fma_f64 v[12:13], v[12:13], v[18:19], -v[20:21]
	v_fmac_f64_e32 v[16:17], v[14:15], v[18:19]
	v_add_f64 v[4:5], v[4:5], v[12:13]
	v_add_f64 v[2:3], v[2:3], v[16:17]
	s_andn2_b64 exec, exec, s[6:7]
	s_cbranch_execnz .LBB56_125
; %bb.126:
	s_or_b64 exec, exec, s[6:7]
	v_mov_b32_e32 v0, 0
	ds_read_b128 v[8:11], v0 offset:448
	s_waitcnt lgkmcnt(0)
	v_mul_f64 v[12:13], v[2:3], v[10:11]
	v_mul_f64 v[10:11], v[4:5], v[10:11]
	v_fma_f64 v[4:5], v[4:5], v[8:9], -v[12:13]
	v_fmac_f64_e32 v[10:11], v[2:3], v[8:9]
	buffer_store_dword v5, off, s[0:3], 0 offset:468
	buffer_store_dword v4, off, s[0:3], 0 offset:464
	buffer_store_dword v11, off, s[0:3], 0 offset:476
	buffer_store_dword v10, off, s[0:3], 0 offset:472
.LBB56_127:
	s_or_b64 exec, exec, s[4:5]
	v_accvgpr_read_b32 v0, a141
	s_waitcnt lgkmcnt(0)
	; wave barrier
	buffer_load_dword v2, v0, s[0:3], 0 offen
	buffer_load_dword v3, v0, s[0:3], 0 offen offset:4
	buffer_load_dword v4, v0, s[0:3], 0 offen offset:8
	buffer_load_dword v5, v0, s[0:3], 0 offen offset:12
	v_cmp_gt_u32_e32 vcc, 29, v254
	s_waitcnt vmcnt(0)
	ds_write_b128 v6, v[2:5]
	s_waitcnt lgkmcnt(0)
	; wave barrier
	s_waitcnt lgkmcnt(0)
	s_and_saveexec_b64 s[4:5], vcc
	s_cbranch_execz .LBB56_131
; %bb.128:
	v_pk_mov_b32 v[2:3], 0, 0
	v_add_u32_e32 v8, -1, v254
	v_add_u32_e32 v9, 0x390, v1
	v_add_u32_e32 v10, 16, v1
	s_mov_b64 s[6:7], 0
	v_pk_mov_b32 v[4:5], v[2:3], v[2:3] op_sel:[0,1]
.LBB56_129:                             ; =>This Inner Loop Header: Depth=1
	buffer_load_dword v16, v10, s[0:3], 0 offen offset:8
	buffer_load_dword v17, v10, s[0:3], 0 offen offset:12
	buffer_load_dword v18, v10, s[0:3], 0 offen
	buffer_load_dword v19, v10, s[0:3], 0 offen offset:4
	ds_read_b128 v[12:15], v9
	v_add_u32_e32 v8, 1, v8
	v_cmp_lt_u32_e32 vcc, 27, v8
	v_add_u32_e32 v9, 16, v9
	v_add_u32_e32 v10, 16, v10
	s_or_b64 s[6:7], vcc, s[6:7]
	s_waitcnt vmcnt(2) lgkmcnt(0)
	v_mul_f64 v[20:21], v[14:15], v[16:17]
	v_mul_f64 v[16:17], v[12:13], v[16:17]
	s_waitcnt vmcnt(0)
	v_fma_f64 v[12:13], v[12:13], v[18:19], -v[20:21]
	v_fmac_f64_e32 v[16:17], v[14:15], v[18:19]
	v_add_f64 v[4:5], v[4:5], v[12:13]
	v_add_f64 v[2:3], v[2:3], v[16:17]
	s_andn2_b64 exec, exec, s[6:7]
	s_cbranch_execnz .LBB56_129
; %bb.130:
	s_or_b64 exec, exec, s[6:7]
	v_mov_b32_e32 v0, 0
	ds_read_b128 v[8:11], v0 offset:464
	s_waitcnt lgkmcnt(0)
	v_mul_f64 v[12:13], v[2:3], v[10:11]
	v_mul_f64 v[10:11], v[4:5], v[10:11]
	v_fma_f64 v[4:5], v[4:5], v[8:9], -v[12:13]
	v_fmac_f64_e32 v[10:11], v[2:3], v[8:9]
	buffer_store_dword v5, off, s[0:3], 0 offset:484
	buffer_store_dword v4, off, s[0:3], 0 offset:480
	buffer_store_dword v11, off, s[0:3], 0 offset:492
	buffer_store_dword v10, off, s[0:3], 0 offset:488
.LBB56_131:
	s_or_b64 exec, exec, s[4:5]
	v_accvgpr_read_b32 v0, a140
	s_waitcnt lgkmcnt(0)
	; wave barrier
	buffer_load_dword v2, v0, s[0:3], 0 offen
	buffer_load_dword v3, v0, s[0:3], 0 offen offset:4
	buffer_load_dword v4, v0, s[0:3], 0 offen offset:8
	buffer_load_dword v5, v0, s[0:3], 0 offen offset:12
	v_cmp_gt_u32_e32 vcc, 30, v254
	s_waitcnt vmcnt(0)
	ds_write_b128 v6, v[2:5]
	s_waitcnt lgkmcnt(0)
	; wave barrier
	s_waitcnt lgkmcnt(0)
	s_and_saveexec_b64 s[4:5], vcc
	s_cbranch_execz .LBB56_135
; %bb.132:
	v_pk_mov_b32 v[2:3], 0, 0
	v_add_u32_e32 v8, -1, v254
	v_add_u32_e32 v9, 0x390, v1
	v_add_u32_e32 v10, 16, v1
	s_mov_b64 s[6:7], 0
	v_pk_mov_b32 v[4:5], v[2:3], v[2:3] op_sel:[0,1]
.LBB56_133:                             ; =>This Inner Loop Header: Depth=1
	buffer_load_dword v16, v10, s[0:3], 0 offen offset:8
	buffer_load_dword v17, v10, s[0:3], 0 offen offset:12
	buffer_load_dword v18, v10, s[0:3], 0 offen
	buffer_load_dword v19, v10, s[0:3], 0 offen offset:4
	ds_read_b128 v[12:15], v9
	v_add_u32_e32 v8, 1, v8
	v_cmp_lt_u32_e32 vcc, 28, v8
	v_add_u32_e32 v9, 16, v9
	v_add_u32_e32 v10, 16, v10
	s_or_b64 s[6:7], vcc, s[6:7]
	s_waitcnt vmcnt(2) lgkmcnt(0)
	v_mul_f64 v[20:21], v[14:15], v[16:17]
	v_mul_f64 v[16:17], v[12:13], v[16:17]
	s_waitcnt vmcnt(0)
	v_fma_f64 v[12:13], v[12:13], v[18:19], -v[20:21]
	v_fmac_f64_e32 v[16:17], v[14:15], v[18:19]
	v_add_f64 v[4:5], v[4:5], v[12:13]
	v_add_f64 v[2:3], v[2:3], v[16:17]
	s_andn2_b64 exec, exec, s[6:7]
	s_cbranch_execnz .LBB56_133
; %bb.134:
	s_or_b64 exec, exec, s[6:7]
	v_mov_b32_e32 v0, 0
	ds_read_b128 v[8:11], v0 offset:480
	s_waitcnt lgkmcnt(0)
	v_mul_f64 v[12:13], v[2:3], v[10:11]
	v_mul_f64 v[10:11], v[4:5], v[10:11]
	v_fma_f64 v[4:5], v[4:5], v[8:9], -v[12:13]
	v_fmac_f64_e32 v[10:11], v[2:3], v[8:9]
	buffer_store_dword v5, off, s[0:3], 0 offset:500
	buffer_store_dword v4, off, s[0:3], 0 offset:496
	buffer_store_dword v11, off, s[0:3], 0 offset:508
	buffer_store_dword v10, off, s[0:3], 0 offset:504
.LBB56_135:
	s_or_b64 exec, exec, s[4:5]
	v_accvgpr_read_b32 v0, a139
	s_waitcnt lgkmcnt(0)
	; wave barrier
	buffer_load_dword v2, v0, s[0:3], 0 offen
	buffer_load_dword v3, v0, s[0:3], 0 offen offset:4
	buffer_load_dword v4, v0, s[0:3], 0 offen offset:8
	buffer_load_dword v5, v0, s[0:3], 0 offen offset:12
	v_cmp_gt_u32_e32 vcc, 31, v254
	s_waitcnt vmcnt(0)
	ds_write_b128 v6, v[2:5]
	s_waitcnt lgkmcnt(0)
	; wave barrier
	s_waitcnt lgkmcnt(0)
	s_and_saveexec_b64 s[4:5], vcc
	s_cbranch_execz .LBB56_139
; %bb.136:
	v_pk_mov_b32 v[2:3], 0, 0
	v_add_u32_e32 v8, -1, v254
	v_add_u32_e32 v9, 0x390, v1
	v_add_u32_e32 v10, 16, v1
	s_mov_b64 s[6:7], 0
	v_pk_mov_b32 v[4:5], v[2:3], v[2:3] op_sel:[0,1]
.LBB56_137:                             ; =>This Inner Loop Header: Depth=1
	buffer_load_dword v16, v10, s[0:3], 0 offen offset:8
	buffer_load_dword v17, v10, s[0:3], 0 offen offset:12
	buffer_load_dword v18, v10, s[0:3], 0 offen
	buffer_load_dword v19, v10, s[0:3], 0 offen offset:4
	ds_read_b128 v[12:15], v9
	v_add_u32_e32 v8, 1, v8
	v_cmp_lt_u32_e32 vcc, 29, v8
	v_add_u32_e32 v9, 16, v9
	v_add_u32_e32 v10, 16, v10
	s_or_b64 s[6:7], vcc, s[6:7]
	s_waitcnt vmcnt(2) lgkmcnt(0)
	v_mul_f64 v[20:21], v[14:15], v[16:17]
	v_mul_f64 v[16:17], v[12:13], v[16:17]
	s_waitcnt vmcnt(0)
	v_fma_f64 v[12:13], v[12:13], v[18:19], -v[20:21]
	v_fmac_f64_e32 v[16:17], v[14:15], v[18:19]
	v_add_f64 v[4:5], v[4:5], v[12:13]
	v_add_f64 v[2:3], v[2:3], v[16:17]
	s_andn2_b64 exec, exec, s[6:7]
	s_cbranch_execnz .LBB56_137
; %bb.138:
	s_or_b64 exec, exec, s[6:7]
	v_mov_b32_e32 v0, 0
	ds_read_b128 v[8:11], v0 offset:496
	s_waitcnt lgkmcnt(0)
	v_mul_f64 v[12:13], v[2:3], v[10:11]
	v_mul_f64 v[10:11], v[4:5], v[10:11]
	v_fma_f64 v[4:5], v[4:5], v[8:9], -v[12:13]
	v_fmac_f64_e32 v[10:11], v[2:3], v[8:9]
	buffer_store_dword v5, off, s[0:3], 0 offset:516
	buffer_store_dword v4, off, s[0:3], 0 offset:512
	buffer_store_dword v11, off, s[0:3], 0 offset:524
	buffer_store_dword v10, off, s[0:3], 0 offset:520
.LBB56_139:
	s_or_b64 exec, exec, s[4:5]
	v_accvgpr_read_b32 v0, a138
	s_waitcnt lgkmcnt(0)
	; wave barrier
	buffer_load_dword v2, v0, s[0:3], 0 offen
	buffer_load_dword v3, v0, s[0:3], 0 offen offset:4
	buffer_load_dword v4, v0, s[0:3], 0 offen offset:8
	buffer_load_dword v5, v0, s[0:3], 0 offen offset:12
	v_cmp_gt_u32_e32 vcc, 32, v254
	s_waitcnt vmcnt(0)
	ds_write_b128 v6, v[2:5]
	s_waitcnt lgkmcnt(0)
	; wave barrier
	s_waitcnt lgkmcnt(0)
	s_and_saveexec_b64 s[4:5], vcc
	s_cbranch_execz .LBB56_143
; %bb.140:
	v_pk_mov_b32 v[2:3], 0, 0
	v_add_u32_e32 v8, -1, v254
	v_add_u32_e32 v9, 0x390, v1
	v_add_u32_e32 v10, 16, v1
	s_mov_b64 s[6:7], 0
	v_pk_mov_b32 v[4:5], v[2:3], v[2:3] op_sel:[0,1]
.LBB56_141:                             ; =>This Inner Loop Header: Depth=1
	buffer_load_dword v16, v10, s[0:3], 0 offen offset:8
	buffer_load_dword v17, v10, s[0:3], 0 offen offset:12
	buffer_load_dword v18, v10, s[0:3], 0 offen
	buffer_load_dword v19, v10, s[0:3], 0 offen offset:4
	ds_read_b128 v[12:15], v9
	v_add_u32_e32 v8, 1, v8
	v_cmp_lt_u32_e32 vcc, 30, v8
	v_add_u32_e32 v9, 16, v9
	v_add_u32_e32 v10, 16, v10
	s_or_b64 s[6:7], vcc, s[6:7]
	s_waitcnt vmcnt(2) lgkmcnt(0)
	v_mul_f64 v[20:21], v[14:15], v[16:17]
	v_mul_f64 v[16:17], v[12:13], v[16:17]
	s_waitcnt vmcnt(0)
	v_fma_f64 v[12:13], v[12:13], v[18:19], -v[20:21]
	v_fmac_f64_e32 v[16:17], v[14:15], v[18:19]
	v_add_f64 v[4:5], v[4:5], v[12:13]
	v_add_f64 v[2:3], v[2:3], v[16:17]
	s_andn2_b64 exec, exec, s[6:7]
	s_cbranch_execnz .LBB56_141
; %bb.142:
	s_or_b64 exec, exec, s[6:7]
	v_mov_b32_e32 v0, 0
	ds_read_b128 v[8:11], v0 offset:512
	s_waitcnt lgkmcnt(0)
	v_mul_f64 v[12:13], v[2:3], v[10:11]
	v_mul_f64 v[10:11], v[4:5], v[10:11]
	v_fma_f64 v[4:5], v[4:5], v[8:9], -v[12:13]
	v_fmac_f64_e32 v[10:11], v[2:3], v[8:9]
	buffer_store_dword v5, off, s[0:3], 0 offset:532
	buffer_store_dword v4, off, s[0:3], 0 offset:528
	buffer_store_dword v11, off, s[0:3], 0 offset:540
	buffer_store_dword v10, off, s[0:3], 0 offset:536
.LBB56_143:
	s_or_b64 exec, exec, s[4:5]
	v_accvgpr_read_b32 v0, a137
	s_waitcnt lgkmcnt(0)
	; wave barrier
	buffer_load_dword v2, v0, s[0:3], 0 offen
	buffer_load_dword v3, v0, s[0:3], 0 offen offset:4
	buffer_load_dword v4, v0, s[0:3], 0 offen offset:8
	buffer_load_dword v5, v0, s[0:3], 0 offen offset:12
	v_cmp_gt_u32_e32 vcc, 33, v254
	s_waitcnt vmcnt(0)
	ds_write_b128 v6, v[2:5]
	s_waitcnt lgkmcnt(0)
	; wave barrier
	s_waitcnt lgkmcnt(0)
	s_and_saveexec_b64 s[4:5], vcc
	s_cbranch_execz .LBB56_147
; %bb.144:
	v_pk_mov_b32 v[2:3], 0, 0
	v_add_u32_e32 v8, -1, v254
	v_add_u32_e32 v9, 0x390, v1
	v_add_u32_e32 v10, 16, v1
	s_mov_b64 s[6:7], 0
	v_pk_mov_b32 v[4:5], v[2:3], v[2:3] op_sel:[0,1]
.LBB56_145:                             ; =>This Inner Loop Header: Depth=1
	buffer_load_dword v16, v10, s[0:3], 0 offen offset:8
	buffer_load_dword v17, v10, s[0:3], 0 offen offset:12
	buffer_load_dword v18, v10, s[0:3], 0 offen
	buffer_load_dword v19, v10, s[0:3], 0 offen offset:4
	ds_read_b128 v[12:15], v9
	v_add_u32_e32 v8, 1, v8
	v_cmp_lt_u32_e32 vcc, 31, v8
	v_add_u32_e32 v9, 16, v9
	v_add_u32_e32 v10, 16, v10
	s_or_b64 s[6:7], vcc, s[6:7]
	s_waitcnt vmcnt(2) lgkmcnt(0)
	v_mul_f64 v[20:21], v[14:15], v[16:17]
	v_mul_f64 v[16:17], v[12:13], v[16:17]
	s_waitcnt vmcnt(0)
	v_fma_f64 v[12:13], v[12:13], v[18:19], -v[20:21]
	v_fmac_f64_e32 v[16:17], v[14:15], v[18:19]
	v_add_f64 v[4:5], v[4:5], v[12:13]
	v_add_f64 v[2:3], v[2:3], v[16:17]
	s_andn2_b64 exec, exec, s[6:7]
	s_cbranch_execnz .LBB56_145
; %bb.146:
	s_or_b64 exec, exec, s[6:7]
	v_mov_b32_e32 v0, 0
	ds_read_b128 v[8:11], v0 offset:528
	s_waitcnt lgkmcnt(0)
	v_mul_f64 v[12:13], v[2:3], v[10:11]
	v_mul_f64 v[10:11], v[4:5], v[10:11]
	v_fma_f64 v[4:5], v[4:5], v[8:9], -v[12:13]
	v_fmac_f64_e32 v[10:11], v[2:3], v[8:9]
	buffer_store_dword v5, off, s[0:3], 0 offset:548
	buffer_store_dword v4, off, s[0:3], 0 offset:544
	buffer_store_dword v11, off, s[0:3], 0 offset:556
	buffer_store_dword v10, off, s[0:3], 0 offset:552
.LBB56_147:
	s_or_b64 exec, exec, s[4:5]
	v_accvgpr_read_b32 v0, a136
	s_waitcnt lgkmcnt(0)
	; wave barrier
	buffer_load_dword v2, v0, s[0:3], 0 offen
	buffer_load_dword v3, v0, s[0:3], 0 offen offset:4
	buffer_load_dword v4, v0, s[0:3], 0 offen offset:8
	buffer_load_dword v5, v0, s[0:3], 0 offen offset:12
	v_cmp_gt_u32_e32 vcc, 34, v254
	s_waitcnt vmcnt(0)
	ds_write_b128 v6, v[2:5]
	s_waitcnt lgkmcnt(0)
	; wave barrier
	s_waitcnt lgkmcnt(0)
	s_and_saveexec_b64 s[4:5], vcc
	s_cbranch_execz .LBB56_151
; %bb.148:
	v_pk_mov_b32 v[2:3], 0, 0
	v_add_u32_e32 v8, -1, v254
	v_add_u32_e32 v9, 0x390, v1
	v_add_u32_e32 v10, 16, v1
	s_mov_b64 s[6:7], 0
	v_pk_mov_b32 v[4:5], v[2:3], v[2:3] op_sel:[0,1]
.LBB56_149:                             ; =>This Inner Loop Header: Depth=1
	buffer_load_dword v16, v10, s[0:3], 0 offen offset:8
	buffer_load_dword v17, v10, s[0:3], 0 offen offset:12
	buffer_load_dword v18, v10, s[0:3], 0 offen
	buffer_load_dword v19, v10, s[0:3], 0 offen offset:4
	ds_read_b128 v[12:15], v9
	v_add_u32_e32 v8, 1, v8
	v_cmp_lt_u32_e32 vcc, 32, v8
	v_add_u32_e32 v9, 16, v9
	v_add_u32_e32 v10, 16, v10
	s_or_b64 s[6:7], vcc, s[6:7]
	s_waitcnt vmcnt(2) lgkmcnt(0)
	v_mul_f64 v[20:21], v[14:15], v[16:17]
	v_mul_f64 v[16:17], v[12:13], v[16:17]
	s_waitcnt vmcnt(0)
	v_fma_f64 v[12:13], v[12:13], v[18:19], -v[20:21]
	v_fmac_f64_e32 v[16:17], v[14:15], v[18:19]
	v_add_f64 v[4:5], v[4:5], v[12:13]
	v_add_f64 v[2:3], v[2:3], v[16:17]
	s_andn2_b64 exec, exec, s[6:7]
	s_cbranch_execnz .LBB56_149
; %bb.150:
	s_or_b64 exec, exec, s[6:7]
	v_mov_b32_e32 v0, 0
	ds_read_b128 v[8:11], v0 offset:544
	s_waitcnt lgkmcnt(0)
	v_mul_f64 v[12:13], v[2:3], v[10:11]
	v_mul_f64 v[10:11], v[4:5], v[10:11]
	v_fma_f64 v[4:5], v[4:5], v[8:9], -v[12:13]
	v_fmac_f64_e32 v[10:11], v[2:3], v[8:9]
	buffer_store_dword v5, off, s[0:3], 0 offset:564
	buffer_store_dword v4, off, s[0:3], 0 offset:560
	buffer_store_dword v11, off, s[0:3], 0 offset:572
	buffer_store_dword v10, off, s[0:3], 0 offset:568
.LBB56_151:
	s_or_b64 exec, exec, s[4:5]
	v_accvgpr_read_b32 v0, a135
	s_waitcnt lgkmcnt(0)
	; wave barrier
	buffer_load_dword v2, v0, s[0:3], 0 offen
	buffer_load_dword v3, v0, s[0:3], 0 offen offset:4
	buffer_load_dword v4, v0, s[0:3], 0 offen offset:8
	buffer_load_dword v5, v0, s[0:3], 0 offen offset:12
	v_cmp_gt_u32_e32 vcc, 35, v254
	s_waitcnt vmcnt(0)
	ds_write_b128 v6, v[2:5]
	s_waitcnt lgkmcnt(0)
	; wave barrier
	s_waitcnt lgkmcnt(0)
	s_and_saveexec_b64 s[4:5], vcc
	s_cbranch_execz .LBB56_155
; %bb.152:
	v_pk_mov_b32 v[2:3], 0, 0
	v_add_u32_e32 v8, -1, v254
	v_add_u32_e32 v9, 0x390, v1
	v_add_u32_e32 v10, 16, v1
	s_mov_b64 s[6:7], 0
	v_pk_mov_b32 v[4:5], v[2:3], v[2:3] op_sel:[0,1]
.LBB56_153:                             ; =>This Inner Loop Header: Depth=1
	buffer_load_dword v16, v10, s[0:3], 0 offen offset:8
	buffer_load_dword v17, v10, s[0:3], 0 offen offset:12
	buffer_load_dword v18, v10, s[0:3], 0 offen
	buffer_load_dword v19, v10, s[0:3], 0 offen offset:4
	ds_read_b128 v[12:15], v9
	v_add_u32_e32 v8, 1, v8
	v_cmp_lt_u32_e32 vcc, 33, v8
	v_add_u32_e32 v9, 16, v9
	v_add_u32_e32 v10, 16, v10
	s_or_b64 s[6:7], vcc, s[6:7]
	s_waitcnt vmcnt(2) lgkmcnt(0)
	v_mul_f64 v[20:21], v[14:15], v[16:17]
	v_mul_f64 v[16:17], v[12:13], v[16:17]
	s_waitcnt vmcnt(0)
	v_fma_f64 v[12:13], v[12:13], v[18:19], -v[20:21]
	v_fmac_f64_e32 v[16:17], v[14:15], v[18:19]
	v_add_f64 v[4:5], v[4:5], v[12:13]
	v_add_f64 v[2:3], v[2:3], v[16:17]
	s_andn2_b64 exec, exec, s[6:7]
	s_cbranch_execnz .LBB56_153
; %bb.154:
	s_or_b64 exec, exec, s[6:7]
	v_mov_b32_e32 v0, 0
	ds_read_b128 v[8:11], v0 offset:560
	s_waitcnt lgkmcnt(0)
	v_mul_f64 v[12:13], v[2:3], v[10:11]
	v_mul_f64 v[10:11], v[4:5], v[10:11]
	v_fma_f64 v[4:5], v[4:5], v[8:9], -v[12:13]
	v_fmac_f64_e32 v[10:11], v[2:3], v[8:9]
	buffer_store_dword v5, off, s[0:3], 0 offset:580
	buffer_store_dword v4, off, s[0:3], 0 offset:576
	buffer_store_dword v11, off, s[0:3], 0 offset:588
	buffer_store_dword v10, off, s[0:3], 0 offset:584
.LBB56_155:
	s_or_b64 exec, exec, s[4:5]
	v_accvgpr_read_b32 v0, a134
	s_waitcnt lgkmcnt(0)
	; wave barrier
	buffer_load_dword v2, v0, s[0:3], 0 offen
	buffer_load_dword v3, v0, s[0:3], 0 offen offset:4
	buffer_load_dword v4, v0, s[0:3], 0 offen offset:8
	buffer_load_dword v5, v0, s[0:3], 0 offen offset:12
	v_cmp_gt_u32_e32 vcc, 36, v254
	s_waitcnt vmcnt(0)
	ds_write_b128 v6, v[2:5]
	s_waitcnt lgkmcnt(0)
	; wave barrier
	s_waitcnt lgkmcnt(0)
	s_and_saveexec_b64 s[4:5], vcc
	s_cbranch_execz .LBB56_159
; %bb.156:
	v_pk_mov_b32 v[2:3], 0, 0
	v_add_u32_e32 v8, -1, v254
	v_add_u32_e32 v9, 0x390, v1
	v_add_u32_e32 v10, 16, v1
	s_mov_b64 s[6:7], 0
	v_pk_mov_b32 v[4:5], v[2:3], v[2:3] op_sel:[0,1]
.LBB56_157:                             ; =>This Inner Loop Header: Depth=1
	buffer_load_dword v16, v10, s[0:3], 0 offen offset:8
	buffer_load_dword v17, v10, s[0:3], 0 offen offset:12
	buffer_load_dword v18, v10, s[0:3], 0 offen
	buffer_load_dword v19, v10, s[0:3], 0 offen offset:4
	ds_read_b128 v[12:15], v9
	v_add_u32_e32 v8, 1, v8
	v_cmp_lt_u32_e32 vcc, 34, v8
	v_add_u32_e32 v9, 16, v9
	v_add_u32_e32 v10, 16, v10
	s_or_b64 s[6:7], vcc, s[6:7]
	s_waitcnt vmcnt(2) lgkmcnt(0)
	v_mul_f64 v[20:21], v[14:15], v[16:17]
	v_mul_f64 v[16:17], v[12:13], v[16:17]
	s_waitcnt vmcnt(0)
	v_fma_f64 v[12:13], v[12:13], v[18:19], -v[20:21]
	v_fmac_f64_e32 v[16:17], v[14:15], v[18:19]
	v_add_f64 v[4:5], v[4:5], v[12:13]
	v_add_f64 v[2:3], v[2:3], v[16:17]
	s_andn2_b64 exec, exec, s[6:7]
	s_cbranch_execnz .LBB56_157
; %bb.158:
	s_or_b64 exec, exec, s[6:7]
	v_mov_b32_e32 v0, 0
	ds_read_b128 v[8:11], v0 offset:576
	s_waitcnt lgkmcnt(0)
	v_mul_f64 v[12:13], v[2:3], v[10:11]
	v_mul_f64 v[10:11], v[4:5], v[10:11]
	v_fma_f64 v[4:5], v[4:5], v[8:9], -v[12:13]
	v_fmac_f64_e32 v[10:11], v[2:3], v[8:9]
	buffer_store_dword v5, off, s[0:3], 0 offset:596
	buffer_store_dword v4, off, s[0:3], 0 offset:592
	buffer_store_dword v11, off, s[0:3], 0 offset:604
	buffer_store_dword v10, off, s[0:3], 0 offset:600
.LBB56_159:
	s_or_b64 exec, exec, s[4:5]
	v_accvgpr_read_b32 v0, a133
	s_waitcnt lgkmcnt(0)
	; wave barrier
	buffer_load_dword v2, v0, s[0:3], 0 offen
	buffer_load_dword v3, v0, s[0:3], 0 offen offset:4
	buffer_load_dword v4, v0, s[0:3], 0 offen offset:8
	buffer_load_dword v5, v0, s[0:3], 0 offen offset:12
	v_cmp_gt_u32_e32 vcc, 37, v254
	s_waitcnt vmcnt(0)
	ds_write_b128 v6, v[2:5]
	s_waitcnt lgkmcnt(0)
	; wave barrier
	s_waitcnt lgkmcnt(0)
	s_and_saveexec_b64 s[4:5], vcc
	s_cbranch_execz .LBB56_163
; %bb.160:
	v_pk_mov_b32 v[2:3], 0, 0
	v_add_u32_e32 v8, -1, v254
	v_add_u32_e32 v9, 0x390, v1
	v_add_u32_e32 v10, 16, v1
	s_mov_b64 s[6:7], 0
	v_pk_mov_b32 v[4:5], v[2:3], v[2:3] op_sel:[0,1]
.LBB56_161:                             ; =>This Inner Loop Header: Depth=1
	buffer_load_dword v16, v10, s[0:3], 0 offen offset:8
	buffer_load_dword v17, v10, s[0:3], 0 offen offset:12
	buffer_load_dword v18, v10, s[0:3], 0 offen
	buffer_load_dword v19, v10, s[0:3], 0 offen offset:4
	ds_read_b128 v[12:15], v9
	v_add_u32_e32 v8, 1, v8
	v_cmp_lt_u32_e32 vcc, 35, v8
	v_add_u32_e32 v9, 16, v9
	v_add_u32_e32 v10, 16, v10
	s_or_b64 s[6:7], vcc, s[6:7]
	s_waitcnt vmcnt(2) lgkmcnt(0)
	v_mul_f64 v[20:21], v[14:15], v[16:17]
	v_mul_f64 v[16:17], v[12:13], v[16:17]
	s_waitcnt vmcnt(0)
	v_fma_f64 v[12:13], v[12:13], v[18:19], -v[20:21]
	v_fmac_f64_e32 v[16:17], v[14:15], v[18:19]
	v_add_f64 v[4:5], v[4:5], v[12:13]
	v_add_f64 v[2:3], v[2:3], v[16:17]
	s_andn2_b64 exec, exec, s[6:7]
	s_cbranch_execnz .LBB56_161
; %bb.162:
	s_or_b64 exec, exec, s[6:7]
	v_mov_b32_e32 v0, 0
	ds_read_b128 v[8:11], v0 offset:592
	s_waitcnt lgkmcnt(0)
	v_mul_f64 v[12:13], v[2:3], v[10:11]
	v_mul_f64 v[10:11], v[4:5], v[10:11]
	v_fma_f64 v[4:5], v[4:5], v[8:9], -v[12:13]
	v_fmac_f64_e32 v[10:11], v[2:3], v[8:9]
	buffer_store_dword v5, off, s[0:3], 0 offset:612
	buffer_store_dword v4, off, s[0:3], 0 offset:608
	buffer_store_dword v11, off, s[0:3], 0 offset:620
	buffer_store_dword v10, off, s[0:3], 0 offset:616
.LBB56_163:
	s_or_b64 exec, exec, s[4:5]
	v_accvgpr_read_b32 v0, a132
	s_waitcnt lgkmcnt(0)
	; wave barrier
	buffer_load_dword v2, v0, s[0:3], 0 offen
	buffer_load_dword v3, v0, s[0:3], 0 offen offset:4
	buffer_load_dword v4, v0, s[0:3], 0 offen offset:8
	buffer_load_dword v5, v0, s[0:3], 0 offen offset:12
	v_cmp_gt_u32_e32 vcc, 38, v254
	s_waitcnt vmcnt(0)
	ds_write_b128 v6, v[2:5]
	s_waitcnt lgkmcnt(0)
	; wave barrier
	s_waitcnt lgkmcnt(0)
	s_and_saveexec_b64 s[4:5], vcc
	s_cbranch_execz .LBB56_167
; %bb.164:
	v_pk_mov_b32 v[2:3], 0, 0
	v_add_u32_e32 v8, -1, v254
	v_add_u32_e32 v9, 0x390, v1
	v_add_u32_e32 v10, 16, v1
	s_mov_b64 s[6:7], 0
	v_pk_mov_b32 v[4:5], v[2:3], v[2:3] op_sel:[0,1]
.LBB56_165:                             ; =>This Inner Loop Header: Depth=1
	buffer_load_dword v16, v10, s[0:3], 0 offen offset:8
	buffer_load_dword v17, v10, s[0:3], 0 offen offset:12
	buffer_load_dword v18, v10, s[0:3], 0 offen
	buffer_load_dword v19, v10, s[0:3], 0 offen offset:4
	ds_read_b128 v[12:15], v9
	v_add_u32_e32 v8, 1, v8
	v_cmp_lt_u32_e32 vcc, 36, v8
	v_add_u32_e32 v9, 16, v9
	v_add_u32_e32 v10, 16, v10
	s_or_b64 s[6:7], vcc, s[6:7]
	s_waitcnt vmcnt(2) lgkmcnt(0)
	v_mul_f64 v[20:21], v[14:15], v[16:17]
	v_mul_f64 v[16:17], v[12:13], v[16:17]
	s_waitcnt vmcnt(0)
	v_fma_f64 v[12:13], v[12:13], v[18:19], -v[20:21]
	v_fmac_f64_e32 v[16:17], v[14:15], v[18:19]
	v_add_f64 v[4:5], v[4:5], v[12:13]
	v_add_f64 v[2:3], v[2:3], v[16:17]
	s_andn2_b64 exec, exec, s[6:7]
	s_cbranch_execnz .LBB56_165
; %bb.166:
	s_or_b64 exec, exec, s[6:7]
	v_mov_b32_e32 v0, 0
	ds_read_b128 v[8:11], v0 offset:608
	s_waitcnt lgkmcnt(0)
	v_mul_f64 v[12:13], v[2:3], v[10:11]
	v_mul_f64 v[10:11], v[4:5], v[10:11]
	v_fma_f64 v[4:5], v[4:5], v[8:9], -v[12:13]
	v_fmac_f64_e32 v[10:11], v[2:3], v[8:9]
	buffer_store_dword v5, off, s[0:3], 0 offset:628
	buffer_store_dword v4, off, s[0:3], 0 offset:624
	buffer_store_dword v11, off, s[0:3], 0 offset:636
	buffer_store_dword v10, off, s[0:3], 0 offset:632
.LBB56_167:
	s_or_b64 exec, exec, s[4:5]
	v_accvgpr_read_b32 v0, a131
	s_waitcnt lgkmcnt(0)
	; wave barrier
	buffer_load_dword v2, v0, s[0:3], 0 offen
	buffer_load_dword v3, v0, s[0:3], 0 offen offset:4
	buffer_load_dword v4, v0, s[0:3], 0 offen offset:8
	buffer_load_dword v5, v0, s[0:3], 0 offen offset:12
	v_cmp_gt_u32_e32 vcc, 39, v254
	s_waitcnt vmcnt(0)
	ds_write_b128 v6, v[2:5]
	s_waitcnt lgkmcnt(0)
	; wave barrier
	s_waitcnt lgkmcnt(0)
	s_and_saveexec_b64 s[4:5], vcc
	s_cbranch_execz .LBB56_171
; %bb.168:
	v_pk_mov_b32 v[2:3], 0, 0
	v_add_u32_e32 v8, -1, v254
	v_add_u32_e32 v9, 0x390, v1
	v_add_u32_e32 v10, 16, v1
	s_mov_b64 s[6:7], 0
	v_pk_mov_b32 v[4:5], v[2:3], v[2:3] op_sel:[0,1]
.LBB56_169:                             ; =>This Inner Loop Header: Depth=1
	buffer_load_dword v16, v10, s[0:3], 0 offen offset:8
	buffer_load_dword v17, v10, s[0:3], 0 offen offset:12
	buffer_load_dword v18, v10, s[0:3], 0 offen
	buffer_load_dword v19, v10, s[0:3], 0 offen offset:4
	ds_read_b128 v[12:15], v9
	v_add_u32_e32 v8, 1, v8
	v_cmp_lt_u32_e32 vcc, 37, v8
	v_add_u32_e32 v9, 16, v9
	v_add_u32_e32 v10, 16, v10
	s_or_b64 s[6:7], vcc, s[6:7]
	s_waitcnt vmcnt(2) lgkmcnt(0)
	v_mul_f64 v[20:21], v[14:15], v[16:17]
	v_mul_f64 v[16:17], v[12:13], v[16:17]
	s_waitcnt vmcnt(0)
	v_fma_f64 v[12:13], v[12:13], v[18:19], -v[20:21]
	v_fmac_f64_e32 v[16:17], v[14:15], v[18:19]
	v_add_f64 v[4:5], v[4:5], v[12:13]
	v_add_f64 v[2:3], v[2:3], v[16:17]
	s_andn2_b64 exec, exec, s[6:7]
	s_cbranch_execnz .LBB56_169
; %bb.170:
	s_or_b64 exec, exec, s[6:7]
	v_mov_b32_e32 v0, 0
	ds_read_b128 v[8:11], v0 offset:624
	s_waitcnt lgkmcnt(0)
	v_mul_f64 v[12:13], v[2:3], v[10:11]
	v_mul_f64 v[10:11], v[4:5], v[10:11]
	v_fma_f64 v[4:5], v[4:5], v[8:9], -v[12:13]
	v_fmac_f64_e32 v[10:11], v[2:3], v[8:9]
	buffer_store_dword v5, off, s[0:3], 0 offset:644
	buffer_store_dword v4, off, s[0:3], 0 offset:640
	buffer_store_dword v11, off, s[0:3], 0 offset:652
	buffer_store_dword v10, off, s[0:3], 0 offset:648
.LBB56_171:
	s_or_b64 exec, exec, s[4:5]
	v_accvgpr_read_b32 v0, a130
	s_waitcnt lgkmcnt(0)
	; wave barrier
	buffer_load_dword v2, v0, s[0:3], 0 offen
	buffer_load_dword v3, v0, s[0:3], 0 offen offset:4
	buffer_load_dword v4, v0, s[0:3], 0 offen offset:8
	buffer_load_dword v5, v0, s[0:3], 0 offen offset:12
	v_cmp_gt_u32_e32 vcc, 40, v254
	s_waitcnt vmcnt(0)
	ds_write_b128 v6, v[2:5]
	s_waitcnt lgkmcnt(0)
	; wave barrier
	s_waitcnt lgkmcnt(0)
	s_and_saveexec_b64 s[4:5], vcc
	s_cbranch_execz .LBB56_175
; %bb.172:
	v_pk_mov_b32 v[2:3], 0, 0
	v_add_u32_e32 v8, -1, v254
	v_add_u32_e32 v9, 0x390, v1
	v_add_u32_e32 v10, 16, v1
	s_mov_b64 s[6:7], 0
	v_pk_mov_b32 v[4:5], v[2:3], v[2:3] op_sel:[0,1]
.LBB56_173:                             ; =>This Inner Loop Header: Depth=1
	buffer_load_dword v16, v10, s[0:3], 0 offen offset:8
	buffer_load_dword v17, v10, s[0:3], 0 offen offset:12
	buffer_load_dword v18, v10, s[0:3], 0 offen
	buffer_load_dword v19, v10, s[0:3], 0 offen offset:4
	ds_read_b128 v[12:15], v9
	v_add_u32_e32 v8, 1, v8
	v_cmp_lt_u32_e32 vcc, 38, v8
	v_add_u32_e32 v9, 16, v9
	v_add_u32_e32 v10, 16, v10
	s_or_b64 s[6:7], vcc, s[6:7]
	s_waitcnt vmcnt(2) lgkmcnt(0)
	v_mul_f64 v[20:21], v[14:15], v[16:17]
	v_mul_f64 v[16:17], v[12:13], v[16:17]
	s_waitcnt vmcnt(0)
	v_fma_f64 v[12:13], v[12:13], v[18:19], -v[20:21]
	v_fmac_f64_e32 v[16:17], v[14:15], v[18:19]
	v_add_f64 v[4:5], v[4:5], v[12:13]
	v_add_f64 v[2:3], v[2:3], v[16:17]
	s_andn2_b64 exec, exec, s[6:7]
	s_cbranch_execnz .LBB56_173
; %bb.174:
	s_or_b64 exec, exec, s[6:7]
	v_mov_b32_e32 v0, 0
	ds_read_b128 v[8:11], v0 offset:640
	s_waitcnt lgkmcnt(0)
	v_mul_f64 v[12:13], v[2:3], v[10:11]
	v_mul_f64 v[10:11], v[4:5], v[10:11]
	v_fma_f64 v[4:5], v[4:5], v[8:9], -v[12:13]
	v_fmac_f64_e32 v[10:11], v[2:3], v[8:9]
	buffer_store_dword v5, off, s[0:3], 0 offset:660
	buffer_store_dword v4, off, s[0:3], 0 offset:656
	buffer_store_dword v11, off, s[0:3], 0 offset:668
	buffer_store_dword v10, off, s[0:3], 0 offset:664
.LBB56_175:
	s_or_b64 exec, exec, s[4:5]
	v_accvgpr_read_b32 v0, a129
	s_waitcnt lgkmcnt(0)
	; wave barrier
	buffer_load_dword v2, v0, s[0:3], 0 offen
	buffer_load_dword v3, v0, s[0:3], 0 offen offset:4
	buffer_load_dword v4, v0, s[0:3], 0 offen offset:8
	buffer_load_dword v5, v0, s[0:3], 0 offen offset:12
	v_cmp_gt_u32_e32 vcc, 41, v254
	s_waitcnt vmcnt(0)
	ds_write_b128 v6, v[2:5]
	s_waitcnt lgkmcnt(0)
	; wave barrier
	s_waitcnt lgkmcnt(0)
	s_and_saveexec_b64 s[4:5], vcc
	s_cbranch_execz .LBB56_179
; %bb.176:
	v_pk_mov_b32 v[2:3], 0, 0
	v_add_u32_e32 v8, -1, v254
	v_add_u32_e32 v9, 0x390, v1
	v_add_u32_e32 v10, 16, v1
	s_mov_b64 s[6:7], 0
	v_pk_mov_b32 v[4:5], v[2:3], v[2:3] op_sel:[0,1]
.LBB56_177:                             ; =>This Inner Loop Header: Depth=1
	buffer_load_dword v16, v10, s[0:3], 0 offen offset:8
	buffer_load_dword v17, v10, s[0:3], 0 offen offset:12
	buffer_load_dword v18, v10, s[0:3], 0 offen
	buffer_load_dword v19, v10, s[0:3], 0 offen offset:4
	ds_read_b128 v[12:15], v9
	v_add_u32_e32 v8, 1, v8
	v_cmp_lt_u32_e32 vcc, 39, v8
	v_add_u32_e32 v9, 16, v9
	v_add_u32_e32 v10, 16, v10
	s_or_b64 s[6:7], vcc, s[6:7]
	s_waitcnt vmcnt(2) lgkmcnt(0)
	v_mul_f64 v[20:21], v[14:15], v[16:17]
	v_mul_f64 v[16:17], v[12:13], v[16:17]
	s_waitcnt vmcnt(0)
	v_fma_f64 v[12:13], v[12:13], v[18:19], -v[20:21]
	v_fmac_f64_e32 v[16:17], v[14:15], v[18:19]
	v_add_f64 v[4:5], v[4:5], v[12:13]
	v_add_f64 v[2:3], v[2:3], v[16:17]
	s_andn2_b64 exec, exec, s[6:7]
	s_cbranch_execnz .LBB56_177
; %bb.178:
	s_or_b64 exec, exec, s[6:7]
	v_mov_b32_e32 v0, 0
	ds_read_b128 v[8:11], v0 offset:656
	s_waitcnt lgkmcnt(0)
	v_mul_f64 v[12:13], v[2:3], v[10:11]
	v_mul_f64 v[10:11], v[4:5], v[10:11]
	v_fma_f64 v[4:5], v[4:5], v[8:9], -v[12:13]
	v_fmac_f64_e32 v[10:11], v[2:3], v[8:9]
	buffer_store_dword v5, off, s[0:3], 0 offset:676
	buffer_store_dword v4, off, s[0:3], 0 offset:672
	buffer_store_dword v11, off, s[0:3], 0 offset:684
	buffer_store_dword v10, off, s[0:3], 0 offset:680
.LBB56_179:
	s_or_b64 exec, exec, s[4:5]
	v_accvgpr_read_b32 v0, a128
	s_waitcnt lgkmcnt(0)
	; wave barrier
	buffer_load_dword v2, v0, s[0:3], 0 offen
	buffer_load_dword v3, v0, s[0:3], 0 offen offset:4
	buffer_load_dword v4, v0, s[0:3], 0 offen offset:8
	buffer_load_dword v5, v0, s[0:3], 0 offen offset:12
	v_cmp_gt_u32_e32 vcc, 42, v254
	s_waitcnt vmcnt(0)
	ds_write_b128 v6, v[2:5]
	s_waitcnt lgkmcnt(0)
	; wave barrier
	s_waitcnt lgkmcnt(0)
	s_and_saveexec_b64 s[4:5], vcc
	s_cbranch_execz .LBB56_183
; %bb.180:
	v_pk_mov_b32 v[2:3], 0, 0
	v_add_u32_e32 v8, -1, v254
	v_add_u32_e32 v9, 0x390, v1
	v_add_u32_e32 v10, 16, v1
	s_mov_b64 s[6:7], 0
	v_pk_mov_b32 v[4:5], v[2:3], v[2:3] op_sel:[0,1]
.LBB56_181:                             ; =>This Inner Loop Header: Depth=1
	buffer_load_dword v16, v10, s[0:3], 0 offen offset:8
	buffer_load_dword v17, v10, s[0:3], 0 offen offset:12
	buffer_load_dword v18, v10, s[0:3], 0 offen
	buffer_load_dword v19, v10, s[0:3], 0 offen offset:4
	ds_read_b128 v[12:15], v9
	v_add_u32_e32 v8, 1, v8
	v_cmp_lt_u32_e32 vcc, 40, v8
	v_add_u32_e32 v9, 16, v9
	v_add_u32_e32 v10, 16, v10
	s_or_b64 s[6:7], vcc, s[6:7]
	s_waitcnt vmcnt(2) lgkmcnt(0)
	v_mul_f64 v[20:21], v[14:15], v[16:17]
	v_mul_f64 v[16:17], v[12:13], v[16:17]
	s_waitcnt vmcnt(0)
	v_fma_f64 v[12:13], v[12:13], v[18:19], -v[20:21]
	v_fmac_f64_e32 v[16:17], v[14:15], v[18:19]
	v_add_f64 v[4:5], v[4:5], v[12:13]
	v_add_f64 v[2:3], v[2:3], v[16:17]
	s_andn2_b64 exec, exec, s[6:7]
	s_cbranch_execnz .LBB56_181
; %bb.182:
	s_or_b64 exec, exec, s[6:7]
	v_mov_b32_e32 v0, 0
	ds_read_b128 v[8:11], v0 offset:672
	s_waitcnt lgkmcnt(0)
	v_mul_f64 v[12:13], v[2:3], v[10:11]
	v_mul_f64 v[10:11], v[4:5], v[10:11]
	v_fma_f64 v[4:5], v[4:5], v[8:9], -v[12:13]
	v_fmac_f64_e32 v[10:11], v[2:3], v[8:9]
	buffer_store_dword v5, off, s[0:3], 0 offset:692
	buffer_store_dword v4, off, s[0:3], 0 offset:688
	buffer_store_dword v11, off, s[0:3], 0 offset:700
	buffer_store_dword v10, off, s[0:3], 0 offset:696
.LBB56_183:
	s_or_b64 exec, exec, s[4:5]
	v_accvgpr_read_b32 v0, a127
	s_waitcnt lgkmcnt(0)
	; wave barrier
	buffer_load_dword v2, v0, s[0:3], 0 offen
	buffer_load_dword v3, v0, s[0:3], 0 offen offset:4
	buffer_load_dword v4, v0, s[0:3], 0 offen offset:8
	buffer_load_dword v5, v0, s[0:3], 0 offen offset:12
	v_cmp_gt_u32_e32 vcc, 43, v254
	s_waitcnt vmcnt(0)
	ds_write_b128 v6, v[2:5]
	s_waitcnt lgkmcnt(0)
	; wave barrier
	s_waitcnt lgkmcnt(0)
	s_and_saveexec_b64 s[4:5], vcc
	s_cbranch_execz .LBB56_187
; %bb.184:
	v_pk_mov_b32 v[2:3], 0, 0
	v_add_u32_e32 v8, -1, v254
	v_add_u32_e32 v9, 0x390, v1
	v_add_u32_e32 v10, 16, v1
	s_mov_b64 s[6:7], 0
	v_pk_mov_b32 v[4:5], v[2:3], v[2:3] op_sel:[0,1]
.LBB56_185:                             ; =>This Inner Loop Header: Depth=1
	buffer_load_dword v16, v10, s[0:3], 0 offen offset:8
	buffer_load_dword v17, v10, s[0:3], 0 offen offset:12
	buffer_load_dword v18, v10, s[0:3], 0 offen
	buffer_load_dword v19, v10, s[0:3], 0 offen offset:4
	ds_read_b128 v[12:15], v9
	v_add_u32_e32 v8, 1, v8
	v_cmp_lt_u32_e32 vcc, 41, v8
	v_add_u32_e32 v9, 16, v9
	v_add_u32_e32 v10, 16, v10
	s_or_b64 s[6:7], vcc, s[6:7]
	s_waitcnt vmcnt(2) lgkmcnt(0)
	v_mul_f64 v[20:21], v[14:15], v[16:17]
	v_mul_f64 v[16:17], v[12:13], v[16:17]
	s_waitcnt vmcnt(0)
	v_fma_f64 v[12:13], v[12:13], v[18:19], -v[20:21]
	v_fmac_f64_e32 v[16:17], v[14:15], v[18:19]
	v_add_f64 v[4:5], v[4:5], v[12:13]
	v_add_f64 v[2:3], v[2:3], v[16:17]
	s_andn2_b64 exec, exec, s[6:7]
	s_cbranch_execnz .LBB56_185
; %bb.186:
	s_or_b64 exec, exec, s[6:7]
	v_mov_b32_e32 v0, 0
	ds_read_b128 v[8:11], v0 offset:688
	s_waitcnt lgkmcnt(0)
	v_mul_f64 v[12:13], v[2:3], v[10:11]
	v_mul_f64 v[10:11], v[4:5], v[10:11]
	v_fma_f64 v[4:5], v[4:5], v[8:9], -v[12:13]
	v_fmac_f64_e32 v[10:11], v[2:3], v[8:9]
	buffer_store_dword v5, off, s[0:3], 0 offset:708
	buffer_store_dword v4, off, s[0:3], 0 offset:704
	buffer_store_dword v11, off, s[0:3], 0 offset:716
	buffer_store_dword v10, off, s[0:3], 0 offset:712
.LBB56_187:
	s_or_b64 exec, exec, s[4:5]
	v_accvgpr_read_b32 v0, a126
	s_waitcnt lgkmcnt(0)
	; wave barrier
	buffer_load_dword v2, v0, s[0:3], 0 offen
	buffer_load_dword v3, v0, s[0:3], 0 offen offset:4
	buffer_load_dword v4, v0, s[0:3], 0 offen offset:8
	buffer_load_dword v5, v0, s[0:3], 0 offen offset:12
	v_cmp_gt_u32_e32 vcc, 44, v254
	s_waitcnt vmcnt(0)
	ds_write_b128 v6, v[2:5]
	s_waitcnt lgkmcnt(0)
	; wave barrier
	s_waitcnt lgkmcnt(0)
	s_and_saveexec_b64 s[4:5], vcc
	s_cbranch_execz .LBB56_191
; %bb.188:
	v_pk_mov_b32 v[2:3], 0, 0
	v_add_u32_e32 v8, -1, v254
	v_add_u32_e32 v9, 0x390, v1
	v_add_u32_e32 v10, 16, v1
	s_mov_b64 s[6:7], 0
	v_pk_mov_b32 v[4:5], v[2:3], v[2:3] op_sel:[0,1]
.LBB56_189:                             ; =>This Inner Loop Header: Depth=1
	buffer_load_dword v16, v10, s[0:3], 0 offen offset:8
	buffer_load_dword v17, v10, s[0:3], 0 offen offset:12
	buffer_load_dword v18, v10, s[0:3], 0 offen
	buffer_load_dword v19, v10, s[0:3], 0 offen offset:4
	ds_read_b128 v[12:15], v9
	v_add_u32_e32 v8, 1, v8
	v_cmp_lt_u32_e32 vcc, 42, v8
	v_add_u32_e32 v9, 16, v9
	v_add_u32_e32 v10, 16, v10
	s_or_b64 s[6:7], vcc, s[6:7]
	s_waitcnt vmcnt(2) lgkmcnt(0)
	v_mul_f64 v[20:21], v[14:15], v[16:17]
	v_mul_f64 v[16:17], v[12:13], v[16:17]
	s_waitcnt vmcnt(0)
	v_fma_f64 v[12:13], v[12:13], v[18:19], -v[20:21]
	v_fmac_f64_e32 v[16:17], v[14:15], v[18:19]
	v_add_f64 v[4:5], v[4:5], v[12:13]
	v_add_f64 v[2:3], v[2:3], v[16:17]
	s_andn2_b64 exec, exec, s[6:7]
	s_cbranch_execnz .LBB56_189
; %bb.190:
	s_or_b64 exec, exec, s[6:7]
	v_mov_b32_e32 v0, 0
	ds_read_b128 v[8:11], v0 offset:704
	s_waitcnt lgkmcnt(0)
	v_mul_f64 v[12:13], v[2:3], v[10:11]
	v_mul_f64 v[10:11], v[4:5], v[10:11]
	v_fma_f64 v[4:5], v[4:5], v[8:9], -v[12:13]
	v_fmac_f64_e32 v[10:11], v[2:3], v[8:9]
	buffer_store_dword v5, off, s[0:3], 0 offset:724
	buffer_store_dword v4, off, s[0:3], 0 offset:720
	buffer_store_dword v11, off, s[0:3], 0 offset:732
	buffer_store_dword v10, off, s[0:3], 0 offset:728
.LBB56_191:
	s_or_b64 exec, exec, s[4:5]
	v_accvgpr_read_b32 v0, a125
	s_waitcnt lgkmcnt(0)
	; wave barrier
	buffer_load_dword v2, v0, s[0:3], 0 offen
	buffer_load_dword v3, v0, s[0:3], 0 offen offset:4
	buffer_load_dword v4, v0, s[0:3], 0 offen offset:8
	buffer_load_dword v5, v0, s[0:3], 0 offen offset:12
	v_cmp_gt_u32_e32 vcc, 45, v254
	s_waitcnt vmcnt(0)
	ds_write_b128 v6, v[2:5]
	s_waitcnt lgkmcnt(0)
	; wave barrier
	s_waitcnt lgkmcnt(0)
	s_and_saveexec_b64 s[4:5], vcc
	s_cbranch_execz .LBB56_195
; %bb.192:
	v_pk_mov_b32 v[2:3], 0, 0
	v_add_u32_e32 v8, -1, v254
	v_add_u32_e32 v9, 0x390, v1
	v_add_u32_e32 v10, 16, v1
	s_mov_b64 s[6:7], 0
	v_pk_mov_b32 v[4:5], v[2:3], v[2:3] op_sel:[0,1]
.LBB56_193:                             ; =>This Inner Loop Header: Depth=1
	buffer_load_dword v16, v10, s[0:3], 0 offen offset:8
	buffer_load_dword v17, v10, s[0:3], 0 offen offset:12
	buffer_load_dword v18, v10, s[0:3], 0 offen
	buffer_load_dword v19, v10, s[0:3], 0 offen offset:4
	ds_read_b128 v[12:15], v9
	v_add_u32_e32 v8, 1, v8
	v_cmp_lt_u32_e32 vcc, 43, v8
	v_add_u32_e32 v9, 16, v9
	v_add_u32_e32 v10, 16, v10
	s_or_b64 s[6:7], vcc, s[6:7]
	s_waitcnt vmcnt(2) lgkmcnt(0)
	v_mul_f64 v[20:21], v[14:15], v[16:17]
	v_mul_f64 v[16:17], v[12:13], v[16:17]
	s_waitcnt vmcnt(0)
	v_fma_f64 v[12:13], v[12:13], v[18:19], -v[20:21]
	v_fmac_f64_e32 v[16:17], v[14:15], v[18:19]
	v_add_f64 v[4:5], v[4:5], v[12:13]
	v_add_f64 v[2:3], v[2:3], v[16:17]
	s_andn2_b64 exec, exec, s[6:7]
	s_cbranch_execnz .LBB56_193
; %bb.194:
	s_or_b64 exec, exec, s[6:7]
	v_mov_b32_e32 v0, 0
	ds_read_b128 v[8:11], v0 offset:720
	s_waitcnt lgkmcnt(0)
	v_mul_f64 v[12:13], v[2:3], v[10:11]
	v_mul_f64 v[10:11], v[4:5], v[10:11]
	v_fma_f64 v[4:5], v[4:5], v[8:9], -v[12:13]
	v_fmac_f64_e32 v[10:11], v[2:3], v[8:9]
	buffer_store_dword v5, off, s[0:3], 0 offset:740
	buffer_store_dword v4, off, s[0:3], 0 offset:736
	buffer_store_dword v11, off, s[0:3], 0 offset:748
	buffer_store_dword v10, off, s[0:3], 0 offset:744
.LBB56_195:
	s_or_b64 exec, exec, s[4:5]
	v_accvgpr_read_b32 v0, a124
	s_waitcnt lgkmcnt(0)
	; wave barrier
	buffer_load_dword v2, v0, s[0:3], 0 offen
	buffer_load_dword v3, v0, s[0:3], 0 offen offset:4
	buffer_load_dword v4, v0, s[0:3], 0 offen offset:8
	buffer_load_dword v5, v0, s[0:3], 0 offen offset:12
	v_cmp_gt_u32_e32 vcc, 46, v254
	s_waitcnt vmcnt(0)
	ds_write_b128 v6, v[2:5]
	s_waitcnt lgkmcnt(0)
	; wave barrier
	s_waitcnt lgkmcnt(0)
	s_and_saveexec_b64 s[4:5], vcc
	s_cbranch_execz .LBB56_199
; %bb.196:
	v_pk_mov_b32 v[2:3], 0, 0
	v_add_u32_e32 v8, -1, v254
	v_add_u32_e32 v9, 0x390, v1
	v_add_u32_e32 v10, 16, v1
	s_mov_b64 s[6:7], 0
	v_pk_mov_b32 v[4:5], v[2:3], v[2:3] op_sel:[0,1]
.LBB56_197:                             ; =>This Inner Loop Header: Depth=1
	buffer_load_dword v16, v10, s[0:3], 0 offen offset:8
	buffer_load_dword v17, v10, s[0:3], 0 offen offset:12
	buffer_load_dword v18, v10, s[0:3], 0 offen
	buffer_load_dword v19, v10, s[0:3], 0 offen offset:4
	ds_read_b128 v[12:15], v9
	v_add_u32_e32 v8, 1, v8
	v_cmp_lt_u32_e32 vcc, 44, v8
	v_add_u32_e32 v9, 16, v9
	v_add_u32_e32 v10, 16, v10
	s_or_b64 s[6:7], vcc, s[6:7]
	s_waitcnt vmcnt(2) lgkmcnt(0)
	v_mul_f64 v[20:21], v[14:15], v[16:17]
	v_mul_f64 v[16:17], v[12:13], v[16:17]
	s_waitcnt vmcnt(0)
	v_fma_f64 v[12:13], v[12:13], v[18:19], -v[20:21]
	v_fmac_f64_e32 v[16:17], v[14:15], v[18:19]
	v_add_f64 v[4:5], v[4:5], v[12:13]
	v_add_f64 v[2:3], v[2:3], v[16:17]
	s_andn2_b64 exec, exec, s[6:7]
	s_cbranch_execnz .LBB56_197
; %bb.198:
	s_or_b64 exec, exec, s[6:7]
	v_mov_b32_e32 v0, 0
	ds_read_b128 v[8:11], v0 offset:736
	s_waitcnt lgkmcnt(0)
	v_mul_f64 v[12:13], v[2:3], v[10:11]
	v_mul_f64 v[10:11], v[4:5], v[10:11]
	v_fma_f64 v[4:5], v[4:5], v[8:9], -v[12:13]
	v_fmac_f64_e32 v[10:11], v[2:3], v[8:9]
	buffer_store_dword v5, off, s[0:3], 0 offset:756
	buffer_store_dword v4, off, s[0:3], 0 offset:752
	buffer_store_dword v11, off, s[0:3], 0 offset:764
	buffer_store_dword v10, off, s[0:3], 0 offset:760
.LBB56_199:
	s_or_b64 exec, exec, s[4:5]
	v_accvgpr_read_b32 v0, a123
	s_waitcnt lgkmcnt(0)
	; wave barrier
	buffer_load_dword v2, v0, s[0:3], 0 offen
	buffer_load_dword v3, v0, s[0:3], 0 offen offset:4
	buffer_load_dword v4, v0, s[0:3], 0 offen offset:8
	buffer_load_dword v5, v0, s[0:3], 0 offen offset:12
	v_cmp_gt_u32_e32 vcc, 47, v254
	s_waitcnt vmcnt(0)
	ds_write_b128 v6, v[2:5]
	s_waitcnt lgkmcnt(0)
	; wave barrier
	s_waitcnt lgkmcnt(0)
	s_and_saveexec_b64 s[4:5], vcc
	s_cbranch_execz .LBB56_203
; %bb.200:
	v_pk_mov_b32 v[2:3], 0, 0
	v_add_u32_e32 v8, -1, v254
	v_add_u32_e32 v9, 0x390, v1
	v_add_u32_e32 v10, 16, v1
	s_mov_b64 s[6:7], 0
	v_pk_mov_b32 v[4:5], v[2:3], v[2:3] op_sel:[0,1]
.LBB56_201:                             ; =>This Inner Loop Header: Depth=1
	buffer_load_dword v16, v10, s[0:3], 0 offen offset:8
	buffer_load_dword v17, v10, s[0:3], 0 offen offset:12
	buffer_load_dword v18, v10, s[0:3], 0 offen
	buffer_load_dword v19, v10, s[0:3], 0 offen offset:4
	ds_read_b128 v[12:15], v9
	v_add_u32_e32 v8, 1, v8
	v_cmp_lt_u32_e32 vcc, 45, v8
	v_add_u32_e32 v9, 16, v9
	v_add_u32_e32 v10, 16, v10
	s_or_b64 s[6:7], vcc, s[6:7]
	s_waitcnt vmcnt(2) lgkmcnt(0)
	v_mul_f64 v[20:21], v[14:15], v[16:17]
	v_mul_f64 v[16:17], v[12:13], v[16:17]
	s_waitcnt vmcnt(0)
	v_fma_f64 v[12:13], v[12:13], v[18:19], -v[20:21]
	v_fmac_f64_e32 v[16:17], v[14:15], v[18:19]
	v_add_f64 v[4:5], v[4:5], v[12:13]
	v_add_f64 v[2:3], v[2:3], v[16:17]
	s_andn2_b64 exec, exec, s[6:7]
	s_cbranch_execnz .LBB56_201
; %bb.202:
	s_or_b64 exec, exec, s[6:7]
	v_mov_b32_e32 v0, 0
	ds_read_b128 v[8:11], v0 offset:752
	s_waitcnt lgkmcnt(0)
	v_mul_f64 v[12:13], v[2:3], v[10:11]
	v_mul_f64 v[10:11], v[4:5], v[10:11]
	v_fma_f64 v[4:5], v[4:5], v[8:9], -v[12:13]
	v_fmac_f64_e32 v[10:11], v[2:3], v[8:9]
	buffer_store_dword v5, off, s[0:3], 0 offset:772
	buffer_store_dword v4, off, s[0:3], 0 offset:768
	buffer_store_dword v11, off, s[0:3], 0 offset:780
	buffer_store_dword v10, off, s[0:3], 0 offset:776
.LBB56_203:
	s_or_b64 exec, exec, s[4:5]
	v_accvgpr_read_b32 v0, a122
	s_waitcnt lgkmcnt(0)
	; wave barrier
	buffer_load_dword v2, v0, s[0:3], 0 offen
	buffer_load_dword v3, v0, s[0:3], 0 offen offset:4
	buffer_load_dword v4, v0, s[0:3], 0 offen offset:8
	buffer_load_dword v5, v0, s[0:3], 0 offen offset:12
	v_cmp_gt_u32_e32 vcc, 48, v254
	s_waitcnt vmcnt(0)
	ds_write_b128 v6, v[2:5]
	s_waitcnt lgkmcnt(0)
	; wave barrier
	s_waitcnt lgkmcnt(0)
	s_and_saveexec_b64 s[4:5], vcc
	s_cbranch_execz .LBB56_207
; %bb.204:
	v_pk_mov_b32 v[2:3], 0, 0
	v_add_u32_e32 v8, -1, v254
	v_add_u32_e32 v9, 0x390, v1
	v_add_u32_e32 v10, 16, v1
	s_mov_b64 s[6:7], 0
	v_pk_mov_b32 v[4:5], v[2:3], v[2:3] op_sel:[0,1]
.LBB56_205:                             ; =>This Inner Loop Header: Depth=1
	buffer_load_dword v16, v10, s[0:3], 0 offen offset:8
	buffer_load_dword v17, v10, s[0:3], 0 offen offset:12
	buffer_load_dword v18, v10, s[0:3], 0 offen
	buffer_load_dword v19, v10, s[0:3], 0 offen offset:4
	ds_read_b128 v[12:15], v9
	v_add_u32_e32 v8, 1, v8
	v_cmp_lt_u32_e32 vcc, 46, v8
	v_add_u32_e32 v9, 16, v9
	v_add_u32_e32 v10, 16, v10
	s_or_b64 s[6:7], vcc, s[6:7]
	s_waitcnt vmcnt(2) lgkmcnt(0)
	v_mul_f64 v[20:21], v[14:15], v[16:17]
	v_mul_f64 v[16:17], v[12:13], v[16:17]
	s_waitcnt vmcnt(0)
	v_fma_f64 v[12:13], v[12:13], v[18:19], -v[20:21]
	v_fmac_f64_e32 v[16:17], v[14:15], v[18:19]
	v_add_f64 v[4:5], v[4:5], v[12:13]
	v_add_f64 v[2:3], v[2:3], v[16:17]
	s_andn2_b64 exec, exec, s[6:7]
	s_cbranch_execnz .LBB56_205
; %bb.206:
	s_or_b64 exec, exec, s[6:7]
	v_mov_b32_e32 v0, 0
	ds_read_b128 v[8:11], v0 offset:768
	s_waitcnt lgkmcnt(0)
	v_mul_f64 v[12:13], v[2:3], v[10:11]
	v_mul_f64 v[10:11], v[4:5], v[10:11]
	v_fma_f64 v[4:5], v[4:5], v[8:9], -v[12:13]
	v_fmac_f64_e32 v[10:11], v[2:3], v[8:9]
	buffer_store_dword v5, off, s[0:3], 0 offset:788
	buffer_store_dword v4, off, s[0:3], 0 offset:784
	buffer_store_dword v11, off, s[0:3], 0 offset:796
	buffer_store_dword v10, off, s[0:3], 0 offset:792
.LBB56_207:
	s_or_b64 exec, exec, s[4:5]
	v_accvgpr_read_b32 v0, a121
	s_waitcnt lgkmcnt(0)
	; wave barrier
	buffer_load_dword v2, v0, s[0:3], 0 offen
	buffer_load_dword v3, v0, s[0:3], 0 offen offset:4
	buffer_load_dword v4, v0, s[0:3], 0 offen offset:8
	buffer_load_dword v5, v0, s[0:3], 0 offen offset:12
	v_cmp_gt_u32_e32 vcc, 49, v254
	s_waitcnt vmcnt(0)
	ds_write_b128 v6, v[2:5]
	s_waitcnt lgkmcnt(0)
	; wave barrier
	s_waitcnt lgkmcnt(0)
	s_and_saveexec_b64 s[4:5], vcc
	s_cbranch_execz .LBB56_211
; %bb.208:
	v_pk_mov_b32 v[2:3], 0, 0
	v_add_u32_e32 v8, -1, v254
	v_add_u32_e32 v9, 0x390, v1
	v_add_u32_e32 v10, 16, v1
	s_mov_b64 s[6:7], 0
	v_pk_mov_b32 v[4:5], v[2:3], v[2:3] op_sel:[0,1]
.LBB56_209:                             ; =>This Inner Loop Header: Depth=1
	buffer_load_dword v16, v10, s[0:3], 0 offen offset:8
	buffer_load_dword v17, v10, s[0:3], 0 offen offset:12
	buffer_load_dword v18, v10, s[0:3], 0 offen
	buffer_load_dword v19, v10, s[0:3], 0 offen offset:4
	ds_read_b128 v[12:15], v9
	v_add_u32_e32 v8, 1, v8
	v_cmp_lt_u32_e32 vcc, 47, v8
	v_add_u32_e32 v9, 16, v9
	v_add_u32_e32 v10, 16, v10
	s_or_b64 s[6:7], vcc, s[6:7]
	s_waitcnt vmcnt(2) lgkmcnt(0)
	v_mul_f64 v[20:21], v[14:15], v[16:17]
	v_mul_f64 v[16:17], v[12:13], v[16:17]
	s_waitcnt vmcnt(0)
	v_fma_f64 v[12:13], v[12:13], v[18:19], -v[20:21]
	v_fmac_f64_e32 v[16:17], v[14:15], v[18:19]
	v_add_f64 v[4:5], v[4:5], v[12:13]
	v_add_f64 v[2:3], v[2:3], v[16:17]
	s_andn2_b64 exec, exec, s[6:7]
	s_cbranch_execnz .LBB56_209
; %bb.210:
	s_or_b64 exec, exec, s[6:7]
	v_mov_b32_e32 v0, 0
	ds_read_b128 v[8:11], v0 offset:784
	s_waitcnt lgkmcnt(0)
	v_mul_f64 v[12:13], v[2:3], v[10:11]
	v_mul_f64 v[10:11], v[4:5], v[10:11]
	v_fma_f64 v[4:5], v[4:5], v[8:9], -v[12:13]
	v_fmac_f64_e32 v[10:11], v[2:3], v[8:9]
	buffer_store_dword v5, off, s[0:3], 0 offset:804
	buffer_store_dword v4, off, s[0:3], 0 offset:800
	buffer_store_dword v11, off, s[0:3], 0 offset:812
	buffer_store_dword v10, off, s[0:3], 0 offset:808
.LBB56_211:
	s_or_b64 exec, exec, s[4:5]
	v_accvgpr_read_b32 v0, a120
	s_waitcnt lgkmcnt(0)
	; wave barrier
	buffer_load_dword v2, v0, s[0:3], 0 offen
	buffer_load_dword v3, v0, s[0:3], 0 offen offset:4
	buffer_load_dword v4, v0, s[0:3], 0 offen offset:8
	buffer_load_dword v5, v0, s[0:3], 0 offen offset:12
	v_cmp_gt_u32_e32 vcc, 50, v254
	s_waitcnt vmcnt(0)
	ds_write_b128 v6, v[2:5]
	s_waitcnt lgkmcnt(0)
	; wave barrier
	s_waitcnt lgkmcnt(0)
	s_and_saveexec_b64 s[4:5], vcc
	s_cbranch_execz .LBB56_215
; %bb.212:
	v_pk_mov_b32 v[2:3], 0, 0
	v_add_u32_e32 v8, -1, v254
	v_add_u32_e32 v9, 0x390, v1
	v_add_u32_e32 v10, 16, v1
	s_mov_b64 s[6:7], 0
	v_pk_mov_b32 v[4:5], v[2:3], v[2:3] op_sel:[0,1]
.LBB56_213:                             ; =>This Inner Loop Header: Depth=1
	buffer_load_dword v16, v10, s[0:3], 0 offen offset:8
	buffer_load_dword v17, v10, s[0:3], 0 offen offset:12
	buffer_load_dword v18, v10, s[0:3], 0 offen
	buffer_load_dword v19, v10, s[0:3], 0 offen offset:4
	ds_read_b128 v[12:15], v9
	v_add_u32_e32 v8, 1, v8
	v_cmp_lt_u32_e32 vcc, 48, v8
	v_add_u32_e32 v9, 16, v9
	v_add_u32_e32 v10, 16, v10
	s_or_b64 s[6:7], vcc, s[6:7]
	s_waitcnt vmcnt(2) lgkmcnt(0)
	v_mul_f64 v[20:21], v[14:15], v[16:17]
	v_mul_f64 v[16:17], v[12:13], v[16:17]
	s_waitcnt vmcnt(0)
	v_fma_f64 v[12:13], v[12:13], v[18:19], -v[20:21]
	v_fmac_f64_e32 v[16:17], v[14:15], v[18:19]
	v_add_f64 v[4:5], v[4:5], v[12:13]
	v_add_f64 v[2:3], v[2:3], v[16:17]
	s_andn2_b64 exec, exec, s[6:7]
	s_cbranch_execnz .LBB56_213
; %bb.214:
	s_or_b64 exec, exec, s[6:7]
	v_mov_b32_e32 v0, 0
	ds_read_b128 v[8:11], v0 offset:800
	s_waitcnt lgkmcnt(0)
	v_mul_f64 v[12:13], v[2:3], v[10:11]
	v_mul_f64 v[10:11], v[4:5], v[10:11]
	v_fma_f64 v[4:5], v[4:5], v[8:9], -v[12:13]
	v_fmac_f64_e32 v[10:11], v[2:3], v[8:9]
	buffer_store_dword v5, off, s[0:3], 0 offset:820
	buffer_store_dword v4, off, s[0:3], 0 offset:816
	buffer_store_dword v11, off, s[0:3], 0 offset:828
	buffer_store_dword v10, off, s[0:3], 0 offset:824
.LBB56_215:
	s_or_b64 exec, exec, s[4:5]
	v_accvgpr_read_b32 v0, a119
	s_waitcnt lgkmcnt(0)
	; wave barrier
	buffer_load_dword v2, v0, s[0:3], 0 offen
	buffer_load_dword v3, v0, s[0:3], 0 offen offset:4
	buffer_load_dword v4, v0, s[0:3], 0 offen offset:8
	buffer_load_dword v5, v0, s[0:3], 0 offen offset:12
	v_cmp_gt_u32_e32 vcc, 51, v254
	s_waitcnt vmcnt(0)
	ds_write_b128 v6, v[2:5]
	s_waitcnt lgkmcnt(0)
	; wave barrier
	s_waitcnt lgkmcnt(0)
	s_and_saveexec_b64 s[4:5], vcc
	s_cbranch_execz .LBB56_219
; %bb.216:
	v_pk_mov_b32 v[2:3], 0, 0
	v_add_u32_e32 v8, -1, v254
	v_add_u32_e32 v9, 0x390, v1
	v_add_u32_e32 v10, 16, v1
	s_mov_b64 s[6:7], 0
	v_pk_mov_b32 v[4:5], v[2:3], v[2:3] op_sel:[0,1]
.LBB56_217:                             ; =>This Inner Loop Header: Depth=1
	buffer_load_dword v16, v10, s[0:3], 0 offen offset:8
	buffer_load_dword v17, v10, s[0:3], 0 offen offset:12
	buffer_load_dword v18, v10, s[0:3], 0 offen
	buffer_load_dword v19, v10, s[0:3], 0 offen offset:4
	ds_read_b128 v[12:15], v9
	v_add_u32_e32 v8, 1, v8
	v_cmp_lt_u32_e32 vcc, 49, v8
	v_add_u32_e32 v9, 16, v9
	v_add_u32_e32 v10, 16, v10
	s_or_b64 s[6:7], vcc, s[6:7]
	s_waitcnt vmcnt(2) lgkmcnt(0)
	v_mul_f64 v[20:21], v[14:15], v[16:17]
	v_mul_f64 v[16:17], v[12:13], v[16:17]
	s_waitcnt vmcnt(0)
	v_fma_f64 v[12:13], v[12:13], v[18:19], -v[20:21]
	v_fmac_f64_e32 v[16:17], v[14:15], v[18:19]
	v_add_f64 v[4:5], v[4:5], v[12:13]
	v_add_f64 v[2:3], v[2:3], v[16:17]
	s_andn2_b64 exec, exec, s[6:7]
	s_cbranch_execnz .LBB56_217
; %bb.218:
	s_or_b64 exec, exec, s[6:7]
	v_mov_b32_e32 v0, 0
	ds_read_b128 v[8:11], v0 offset:816
	s_waitcnt lgkmcnt(0)
	v_mul_f64 v[12:13], v[2:3], v[10:11]
	v_mul_f64 v[10:11], v[4:5], v[10:11]
	v_fma_f64 v[4:5], v[4:5], v[8:9], -v[12:13]
	v_fmac_f64_e32 v[10:11], v[2:3], v[8:9]
	buffer_store_dword v5, off, s[0:3], 0 offset:836
	buffer_store_dword v4, off, s[0:3], 0 offset:832
	buffer_store_dword v11, off, s[0:3], 0 offset:844
	buffer_store_dword v10, off, s[0:3], 0 offset:840
.LBB56_219:
	s_or_b64 exec, exec, s[4:5]
	v_accvgpr_read_b32 v0, a118
	s_waitcnt lgkmcnt(0)
	; wave barrier
	buffer_load_dword v2, v0, s[0:3], 0 offen
	buffer_load_dword v3, v0, s[0:3], 0 offen offset:4
	buffer_load_dword v4, v0, s[0:3], 0 offen offset:8
	buffer_load_dword v5, v0, s[0:3], 0 offen offset:12
	v_cmp_gt_u32_e32 vcc, 52, v254
	s_waitcnt vmcnt(0)
	ds_write_b128 v6, v[2:5]
	s_waitcnt lgkmcnt(0)
	; wave barrier
	s_waitcnt lgkmcnt(0)
	s_and_saveexec_b64 s[4:5], vcc
	s_cbranch_execz .LBB56_223
; %bb.220:
	v_pk_mov_b32 v[2:3], 0, 0
	v_add_u32_e32 v8, -1, v254
	v_add_u32_e32 v9, 0x390, v1
	v_add_u32_e32 v10, 16, v1
	s_mov_b64 s[6:7], 0
	v_pk_mov_b32 v[4:5], v[2:3], v[2:3] op_sel:[0,1]
.LBB56_221:                             ; =>This Inner Loop Header: Depth=1
	buffer_load_dword v16, v10, s[0:3], 0 offen offset:8
	buffer_load_dword v17, v10, s[0:3], 0 offen offset:12
	buffer_load_dword v18, v10, s[0:3], 0 offen
	buffer_load_dword v19, v10, s[0:3], 0 offen offset:4
	ds_read_b128 v[12:15], v9
	v_add_u32_e32 v8, 1, v8
	v_cmp_lt_u32_e32 vcc, 50, v8
	v_add_u32_e32 v9, 16, v9
	v_add_u32_e32 v10, 16, v10
	s_or_b64 s[6:7], vcc, s[6:7]
	s_waitcnt vmcnt(2) lgkmcnt(0)
	v_mul_f64 v[20:21], v[14:15], v[16:17]
	v_mul_f64 v[16:17], v[12:13], v[16:17]
	s_waitcnt vmcnt(0)
	v_fma_f64 v[12:13], v[12:13], v[18:19], -v[20:21]
	v_fmac_f64_e32 v[16:17], v[14:15], v[18:19]
	v_add_f64 v[4:5], v[4:5], v[12:13]
	v_add_f64 v[2:3], v[2:3], v[16:17]
	s_andn2_b64 exec, exec, s[6:7]
	s_cbranch_execnz .LBB56_221
; %bb.222:
	s_or_b64 exec, exec, s[6:7]
	v_mov_b32_e32 v0, 0
	ds_read_b128 v[8:11], v0 offset:832
	s_waitcnt lgkmcnt(0)
	v_mul_f64 v[12:13], v[2:3], v[10:11]
	v_mul_f64 v[10:11], v[4:5], v[10:11]
	v_fma_f64 v[4:5], v[4:5], v[8:9], -v[12:13]
	v_fmac_f64_e32 v[10:11], v[2:3], v[8:9]
	buffer_store_dword v5, off, s[0:3], 0 offset:852
	buffer_store_dword v4, off, s[0:3], 0 offset:848
	buffer_store_dword v11, off, s[0:3], 0 offset:860
	buffer_store_dword v10, off, s[0:3], 0 offset:856
.LBB56_223:
	s_or_b64 exec, exec, s[4:5]
	v_accvgpr_read_b32 v0, a117
	s_waitcnt lgkmcnt(0)
	; wave barrier
	buffer_load_dword v2, v0, s[0:3], 0 offen
	buffer_load_dword v3, v0, s[0:3], 0 offen offset:4
	buffer_load_dword v4, v0, s[0:3], 0 offen offset:8
	buffer_load_dword v5, v0, s[0:3], 0 offen offset:12
	v_cmp_gt_u32_e32 vcc, 53, v254
	s_waitcnt vmcnt(0)
	ds_write_b128 v6, v[2:5]
	s_waitcnt lgkmcnt(0)
	; wave barrier
	s_waitcnt lgkmcnt(0)
	s_and_saveexec_b64 s[4:5], vcc
	s_cbranch_execz .LBB56_227
; %bb.224:
	v_pk_mov_b32 v[2:3], 0, 0
	v_add_u32_e32 v8, -1, v254
	v_add_u32_e32 v9, 0x390, v1
	v_add_u32_e32 v10, 16, v1
	s_mov_b64 s[6:7], 0
	v_pk_mov_b32 v[4:5], v[2:3], v[2:3] op_sel:[0,1]
.LBB56_225:                             ; =>This Inner Loop Header: Depth=1
	buffer_load_dword v16, v10, s[0:3], 0 offen offset:8
	buffer_load_dword v17, v10, s[0:3], 0 offen offset:12
	buffer_load_dword v18, v10, s[0:3], 0 offen
	buffer_load_dword v19, v10, s[0:3], 0 offen offset:4
	ds_read_b128 v[12:15], v9
	v_add_u32_e32 v8, 1, v8
	v_cmp_lt_u32_e32 vcc, 51, v8
	v_add_u32_e32 v9, 16, v9
	v_add_u32_e32 v10, 16, v10
	s_or_b64 s[6:7], vcc, s[6:7]
	s_waitcnt vmcnt(2) lgkmcnt(0)
	v_mul_f64 v[20:21], v[14:15], v[16:17]
	v_mul_f64 v[16:17], v[12:13], v[16:17]
	s_waitcnt vmcnt(0)
	v_fma_f64 v[12:13], v[12:13], v[18:19], -v[20:21]
	v_fmac_f64_e32 v[16:17], v[14:15], v[18:19]
	v_add_f64 v[4:5], v[4:5], v[12:13]
	v_add_f64 v[2:3], v[2:3], v[16:17]
	s_andn2_b64 exec, exec, s[6:7]
	s_cbranch_execnz .LBB56_225
; %bb.226:
	s_or_b64 exec, exec, s[6:7]
	v_mov_b32_e32 v0, 0
	ds_read_b128 v[8:11], v0 offset:848
	s_waitcnt lgkmcnt(0)
	v_mul_f64 v[12:13], v[2:3], v[10:11]
	v_mul_f64 v[10:11], v[4:5], v[10:11]
	v_fma_f64 v[4:5], v[4:5], v[8:9], -v[12:13]
	v_fmac_f64_e32 v[10:11], v[2:3], v[8:9]
	buffer_store_dword v5, off, s[0:3], 0 offset:868
	buffer_store_dword v4, off, s[0:3], 0 offset:864
	buffer_store_dword v11, off, s[0:3], 0 offset:876
	buffer_store_dword v10, off, s[0:3], 0 offset:872
.LBB56_227:
	s_or_b64 exec, exec, s[4:5]
	v_accvgpr_read_b32 v0, a116
	s_waitcnt lgkmcnt(0)
	; wave barrier
	buffer_load_dword v2, v0, s[0:3], 0 offen
	buffer_load_dword v3, v0, s[0:3], 0 offen offset:4
	buffer_load_dword v4, v0, s[0:3], 0 offen offset:8
	buffer_load_dword v5, v0, s[0:3], 0 offen offset:12
	v_cmp_gt_u32_e32 vcc, 54, v254
	s_waitcnt vmcnt(0)
	ds_write_b128 v6, v[2:5]
	s_waitcnt lgkmcnt(0)
	; wave barrier
	s_waitcnt lgkmcnt(0)
	s_and_saveexec_b64 s[4:5], vcc
	s_cbranch_execz .LBB56_231
; %bb.228:
	v_pk_mov_b32 v[2:3], 0, 0
	v_add_u32_e32 v8, -1, v254
	v_add_u32_e32 v9, 0x390, v1
	v_add_u32_e32 v10, 16, v1
	s_mov_b64 s[6:7], 0
	v_pk_mov_b32 v[4:5], v[2:3], v[2:3] op_sel:[0,1]
.LBB56_229:                             ; =>This Inner Loop Header: Depth=1
	buffer_load_dword v16, v10, s[0:3], 0 offen offset:8
	buffer_load_dword v17, v10, s[0:3], 0 offen offset:12
	buffer_load_dword v18, v10, s[0:3], 0 offen
	buffer_load_dword v19, v10, s[0:3], 0 offen offset:4
	ds_read_b128 v[12:15], v9
	v_add_u32_e32 v8, 1, v8
	v_cmp_lt_u32_e32 vcc, 52, v8
	v_add_u32_e32 v9, 16, v9
	v_add_u32_e32 v10, 16, v10
	s_or_b64 s[6:7], vcc, s[6:7]
	s_waitcnt vmcnt(2) lgkmcnt(0)
	v_mul_f64 v[20:21], v[14:15], v[16:17]
	v_mul_f64 v[16:17], v[12:13], v[16:17]
	s_waitcnt vmcnt(0)
	v_fma_f64 v[12:13], v[12:13], v[18:19], -v[20:21]
	v_fmac_f64_e32 v[16:17], v[14:15], v[18:19]
	v_add_f64 v[4:5], v[4:5], v[12:13]
	v_add_f64 v[2:3], v[2:3], v[16:17]
	s_andn2_b64 exec, exec, s[6:7]
	s_cbranch_execnz .LBB56_229
; %bb.230:
	s_or_b64 exec, exec, s[6:7]
	v_mov_b32_e32 v0, 0
	ds_read_b128 v[8:11], v0 offset:864
	s_waitcnt lgkmcnt(0)
	v_mul_f64 v[12:13], v[2:3], v[10:11]
	v_mul_f64 v[10:11], v[4:5], v[10:11]
	v_fma_f64 v[4:5], v[4:5], v[8:9], -v[12:13]
	v_fmac_f64_e32 v[10:11], v[2:3], v[8:9]
	buffer_store_dword v5, off, s[0:3], 0 offset:884
	buffer_store_dword v4, off, s[0:3], 0 offset:880
	buffer_store_dword v11, off, s[0:3], 0 offset:892
	buffer_store_dword v10, off, s[0:3], 0 offset:888
.LBB56_231:
	s_or_b64 exec, exec, s[4:5]
	v_accvgpr_read_b32 v0, a115
	s_waitcnt lgkmcnt(0)
	; wave barrier
	buffer_load_dword v2, v0, s[0:3], 0 offen
	buffer_load_dword v3, v0, s[0:3], 0 offen offset:4
	buffer_load_dword v4, v0, s[0:3], 0 offen offset:8
	buffer_load_dword v5, v0, s[0:3], 0 offen offset:12
	v_cmp_gt_u32_e32 vcc, 55, v254
	s_waitcnt vmcnt(0)
	ds_write_b128 v6, v[2:5]
	s_waitcnt lgkmcnt(0)
	; wave barrier
	s_waitcnt lgkmcnt(0)
	s_and_saveexec_b64 s[4:5], vcc
	s_cbranch_execz .LBB56_235
; %bb.232:
	v_pk_mov_b32 v[2:3], 0, 0
	v_add_u32_e32 v8, -1, v254
	v_add_u32_e32 v9, 0x390, v1
	v_add_u32_e32 v10, 16, v1
	s_mov_b64 s[6:7], 0
	v_pk_mov_b32 v[4:5], v[2:3], v[2:3] op_sel:[0,1]
.LBB56_233:                             ; =>This Inner Loop Header: Depth=1
	buffer_load_dword v16, v10, s[0:3], 0 offen offset:8
	buffer_load_dword v17, v10, s[0:3], 0 offen offset:12
	buffer_load_dword v18, v10, s[0:3], 0 offen
	buffer_load_dword v19, v10, s[0:3], 0 offen offset:4
	ds_read_b128 v[12:15], v9
	v_add_u32_e32 v8, 1, v8
	v_cmp_lt_u32_e32 vcc, 53, v8
	v_add_u32_e32 v9, 16, v9
	v_add_u32_e32 v10, 16, v10
	s_or_b64 s[6:7], vcc, s[6:7]
	s_waitcnt vmcnt(2) lgkmcnt(0)
	v_mul_f64 v[20:21], v[14:15], v[16:17]
	v_mul_f64 v[16:17], v[12:13], v[16:17]
	s_waitcnt vmcnt(0)
	v_fma_f64 v[12:13], v[12:13], v[18:19], -v[20:21]
	v_fmac_f64_e32 v[16:17], v[14:15], v[18:19]
	v_add_f64 v[4:5], v[4:5], v[12:13]
	v_add_f64 v[2:3], v[2:3], v[16:17]
	s_andn2_b64 exec, exec, s[6:7]
	s_cbranch_execnz .LBB56_233
; %bb.234:
	s_or_b64 exec, exec, s[6:7]
	v_mov_b32_e32 v0, 0
	ds_read_b128 v[8:11], v0 offset:880
	s_waitcnt lgkmcnt(0)
	v_mul_f64 v[12:13], v[2:3], v[10:11]
	v_mul_f64 v[10:11], v[4:5], v[10:11]
	v_fma_f64 v[4:5], v[4:5], v[8:9], -v[12:13]
	v_fmac_f64_e32 v[10:11], v[2:3], v[8:9]
	buffer_store_dword v5, off, s[0:3], 0 offset:900
	buffer_store_dword v4, off, s[0:3], 0 offset:896
	;; [unrolled: 1-line block ×4, first 2 shown]
.LBB56_235:
	s_or_b64 exec, exec, s[4:5]
	v_accvgpr_read_b32 v0, a114
	s_waitcnt lgkmcnt(0)
	; wave barrier
	buffer_load_dword v2, v0, s[0:3], 0 offen
	buffer_load_dword v3, v0, s[0:3], 0 offen offset:4
	buffer_load_dword v4, v0, s[0:3], 0 offen offset:8
	;; [unrolled: 1-line block ×3, first 2 shown]
	v_cmp_ne_u32_e32 vcc, 56, v254
	s_waitcnt vmcnt(0)
	ds_write_b128 v6, v[2:5]
	s_waitcnt lgkmcnt(0)
	; wave barrier
	s_waitcnt lgkmcnt(0)
	s_and_saveexec_b64 s[4:5], vcc
	s_cbranch_execz .LBB56_239
; %bb.236:
	v_pk_mov_b32 v[2:3], 0, 0
	v_add_u32_e32 v6, 0x390, v1
	v_add_u32_e32 v1, 16, v1
	s_mov_b64 s[6:7], 0
	v_pk_mov_b32 v[4:5], v[2:3], v[2:3] op_sel:[0,1]
.LBB56_237:                             ; =>This Inner Loop Header: Depth=1
	buffer_load_dword v12, v1, s[0:3], 0 offen offset:8
	buffer_load_dword v13, v1, s[0:3], 0 offen offset:12
	buffer_load_dword v14, v1, s[0:3], 0 offen
	buffer_load_dword v15, v1, s[0:3], 0 offen offset:4
	ds_read_b128 v[8:11], v6
	v_add_u32_e32 v7, 1, v7
	v_cmp_lt_u32_e32 vcc, 54, v7
	v_add_u32_e32 v6, 16, v6
	v_add_u32_e32 v1, 16, v1
	s_or_b64 s[6:7], vcc, s[6:7]
	s_waitcnt vmcnt(2) lgkmcnt(0)
	v_mul_f64 v[16:17], v[10:11], v[12:13]
	v_mul_f64 v[12:13], v[8:9], v[12:13]
	s_waitcnt vmcnt(0)
	v_fma_f64 v[8:9], v[8:9], v[14:15], -v[16:17]
	v_fmac_f64_e32 v[12:13], v[10:11], v[14:15]
	v_add_f64 v[4:5], v[4:5], v[8:9]
	v_add_f64 v[2:3], v[2:3], v[12:13]
	s_andn2_b64 exec, exec, s[6:7]
	s_cbranch_execnz .LBB56_237
; %bb.238:
	s_or_b64 exec, exec, s[6:7]
	v_mov_b32_e32 v0, 0
	ds_read_b128 v[6:9], v0 offset:896
	s_waitcnt lgkmcnt(0)
	v_mul_f64 v[10:11], v[2:3], v[8:9]
	v_mul_f64 v[8:9], v[4:5], v[8:9]
	v_fma_f64 v[4:5], v[4:5], v[6:7], -v[10:11]
	v_fmac_f64_e32 v[8:9], v[2:3], v[6:7]
	buffer_store_dword v5, off, s[0:3], 0 offset:916
	buffer_store_dword v4, off, s[0:3], 0 offset:912
	;; [unrolled: 1-line block ×4, first 2 shown]
.LBB56_239:
	s_or_b64 exec, exec, s[4:5]
	s_mov_b64 s[6:7], -1
	s_waitcnt lgkmcnt(0)
	; wave barrier
.LBB56_240:
	s_and_b64 vcc, exec, s[6:7]
	s_cbranch_vccz .LBB56_242
; %bb.241:
	s_lshl_b64 s[4:5], s[8:9], 2
	s_add_u32 s4, s14, s4
	s_addc_u32 s5, s15, s5
	v_mov_b32_e32 v0, 0
	global_load_dword v0, v0, s[4:5]
	s_waitcnt vmcnt(0)
	v_cmp_ne_u32_e32 vcc, 0, v0
	s_cbranch_vccz .LBB56_243
.LBB56_242:
	s_endpgm
.LBB56_243:
	v_mov_b32_e32 v0, 0x390
	v_lshl_add_u32 v0, v254, 4, v0
	v_accvgpr_write_b32 a171, v0
	v_cmp_eq_u32_e32 vcc, 56, v254
	s_and_saveexec_b64 s[4:5], vcc
	s_cbranch_execz .LBB56_245
; %bb.244:
	v_accvgpr_read_b32 v0, a115
	buffer_load_dword v2, v0, s[0:3], 0 offen
	buffer_load_dword v3, v0, s[0:3], 0 offen offset:4
	buffer_load_dword v4, v0, s[0:3], 0 offen offset:8
	;; [unrolled: 1-line block ×3, first 2 shown]
	v_mov_b32_e32 v0, 0
	v_accvgpr_read_b32 v1, a171
	buffer_store_dword v0, off, s[0:3], 0 offset:896
	buffer_store_dword v0, off, s[0:3], 0 offset:900
	;; [unrolled: 1-line block ×4, first 2 shown]
	s_waitcnt vmcnt(4)
	ds_write_b128 v1, v[2:5]
.LBB56_245:
	s_or_b64 exec, exec, s[4:5]
	s_waitcnt lgkmcnt(0)
	; wave barrier
	s_waitcnt lgkmcnt(0)
	buffer_load_dword v6, off, s[0:3], 0 offset:920
	buffer_load_dword v7, off, s[0:3], 0 offset:924
	;; [unrolled: 1-line block ×8, first 2 shown]
	v_mov_b32_e32 v1, 0
	ds_read_b128 v[2:5], v1 offset:1808
	v_cmp_lt_u32_e32 vcc, 54, v254
	s_waitcnt vmcnt(6) lgkmcnt(0)
	v_mul_f64 v[14:15], v[2:3], v[6:7]
	v_mul_f64 v[6:7], v[4:5], v[6:7]
	s_waitcnt vmcnt(4)
	v_fma_f64 v[2:3], v[2:3], v[8:9], -v[6:7]
	v_fmac_f64_e32 v[14:15], v[4:5], v[8:9]
	v_add_f64 v[2:3], v[2:3], 0
	v_add_f64 v[4:5], v[14:15], 0
	s_waitcnt vmcnt(2)
	v_add_f64 v[2:3], v[10:11], -v[2:3]
	s_waitcnt vmcnt(0)
	v_add_f64 v[4:5], v[12:13], -v[4:5]
	buffer_store_dword v2, off, s[0:3], 0 offset:896
	buffer_store_dword v3, off, s[0:3], 0 offset:900
	;; [unrolled: 1-line block ×4, first 2 shown]
	s_and_saveexec_b64 s[4:5], vcc
	s_cbranch_execz .LBB56_247
; %bb.246:
	v_accvgpr_read_b32 v0, a116
	buffer_load_dword v2, v0, s[0:3], 0 offen
	buffer_load_dword v3, v0, s[0:3], 0 offen offset:4
	buffer_load_dword v4, v0, s[0:3], 0 offen offset:8
	;; [unrolled: 1-line block ×3, first 2 shown]
	v_accvgpr_read_b32 v0, a171
	buffer_store_dword v1, off, s[0:3], 0 offset:880
	buffer_store_dword v1, off, s[0:3], 0 offset:884
	;; [unrolled: 1-line block ×4, first 2 shown]
	s_waitcnt vmcnt(4)
	ds_write_b128 v0, v[2:5]
.LBB56_247:
	s_or_b64 exec, exec, s[4:5]
	s_waitcnt lgkmcnt(0)
	; wave barrier
	s_waitcnt lgkmcnt(0)
	buffer_load_dword v10, off, s[0:3], 0 offset:904
	buffer_load_dword v11, off, s[0:3], 0 offset:908
	;; [unrolled: 1-line block ×12, first 2 shown]
	ds_read_b128 v[2:5], v1 offset:1792
	ds_read_b128 v[6:9], v1 offset:1808
	v_cmp_lt_u32_e32 vcc, 53, v254
	s_waitcnt vmcnt(10) lgkmcnt(1)
	v_mul_f64 v[22:23], v[2:3], v[10:11]
	v_mul_f64 v[10:11], v[4:5], v[10:11]
	s_waitcnt vmcnt(8) lgkmcnt(0)
	v_mul_f64 v[24:25], v[6:7], v[12:13]
	v_mul_f64 v[12:13], v[8:9], v[12:13]
	s_waitcnt vmcnt(6)
	v_fma_f64 v[2:3], v[2:3], v[14:15], -v[10:11]
	v_fmac_f64_e32 v[22:23], v[4:5], v[14:15]
	s_waitcnt vmcnt(4)
	v_fma_f64 v[4:5], v[6:7], v[16:17], -v[12:13]
	v_add_f64 v[2:3], v[2:3], 0
	v_fmac_f64_e32 v[24:25], v[8:9], v[16:17]
	v_add_f64 v[6:7], v[22:23], 0
	v_add_f64 v[2:3], v[2:3], v[4:5]
	v_add_f64 v[6:7], v[6:7], v[24:25]
	s_waitcnt vmcnt(2)
	v_add_f64 v[2:3], v[18:19], -v[2:3]
	s_waitcnt vmcnt(0)
	v_add_f64 v[4:5], v[20:21], -v[6:7]
	buffer_store_dword v2, off, s[0:3], 0 offset:880
	buffer_store_dword v3, off, s[0:3], 0 offset:884
	buffer_store_dword v4, off, s[0:3], 0 offset:888
	buffer_store_dword v5, off, s[0:3], 0 offset:892
	s_and_saveexec_b64 s[4:5], vcc
	s_cbranch_execz .LBB56_249
; %bb.248:
	v_accvgpr_read_b32 v0, a117
	buffer_load_dword v2, v0, s[0:3], 0 offen
	buffer_load_dword v3, v0, s[0:3], 0 offen offset:4
	buffer_load_dword v4, v0, s[0:3], 0 offen offset:8
	;; [unrolled: 1-line block ×3, first 2 shown]
	v_mov_b32_e32 v0, 0
	v_accvgpr_read_b32 v1, a171
	buffer_store_dword v0, off, s[0:3], 0 offset:864
	buffer_store_dword v0, off, s[0:3], 0 offset:868
	;; [unrolled: 1-line block ×4, first 2 shown]
	s_waitcnt vmcnt(4)
	ds_write_b128 v1, v[2:5]
.LBB56_249:
	s_or_b64 exec, exec, s[4:5]
	s_waitcnt lgkmcnt(0)
	; wave barrier
	s_waitcnt lgkmcnt(0)
	buffer_load_dword v14, off, s[0:3], 0 offset:888
	buffer_load_dword v15, off, s[0:3], 0 offset:892
	;; [unrolled: 1-line block ×16, first 2 shown]
	v_mov_b32_e32 v1, 0
	ds_read_b128 v[2:5], v1 offset:1776
	ds_read_b128 v[6:9], v1 offset:1792
	;; [unrolled: 1-line block ×3, first 2 shown]
	v_cmp_lt_u32_e32 vcc, 52, v254
	s_waitcnt vmcnt(14) lgkmcnt(2)
	v_mul_f64 v[30:31], v[2:3], v[14:15]
	v_mul_f64 v[14:15], v[4:5], v[14:15]
	s_waitcnt vmcnt(12) lgkmcnt(1)
	v_mul_f64 v[32:33], v[6:7], v[16:17]
	v_mul_f64 v[16:17], v[8:9], v[16:17]
	;; [unrolled: 3-line block ×3, first 2 shown]
	s_waitcnt vmcnt(8)
	v_fma_f64 v[2:3], v[2:3], v[20:21], -v[14:15]
	v_fmac_f64_e32 v[30:31], v[4:5], v[20:21]
	s_waitcnt vmcnt(6)
	v_fma_f64 v[4:5], v[6:7], v[22:23], -v[16:17]
	v_add_f64 v[2:3], v[2:3], 0
	v_fmac_f64_e32 v[32:33], v[8:9], v[22:23]
	s_waitcnt vmcnt(4)
	v_fma_f64 v[6:7], v[10:11], v[24:25], -v[18:19]
	v_add_f64 v[8:9], v[30:31], 0
	v_add_f64 v[2:3], v[2:3], v[4:5]
	v_fmac_f64_e32 v[34:35], v[12:13], v[24:25]
	v_add_f64 v[8:9], v[8:9], v[32:33]
	v_add_f64 v[2:3], v[2:3], v[6:7]
	;; [unrolled: 1-line block ×3, first 2 shown]
	s_waitcnt vmcnt(2)
	v_add_f64 v[2:3], v[26:27], -v[2:3]
	s_waitcnt vmcnt(0)
	v_add_f64 v[4:5], v[28:29], -v[4:5]
	buffer_store_dword v2, off, s[0:3], 0 offset:864
	buffer_store_dword v3, off, s[0:3], 0 offset:868
	;; [unrolled: 1-line block ×4, first 2 shown]
	s_and_saveexec_b64 s[4:5], vcc
	s_cbranch_execz .LBB56_251
; %bb.250:
	v_accvgpr_read_b32 v0, a118
	buffer_load_dword v2, v0, s[0:3], 0 offen
	buffer_load_dword v3, v0, s[0:3], 0 offen offset:4
	buffer_load_dword v4, v0, s[0:3], 0 offen offset:8
	;; [unrolled: 1-line block ×3, first 2 shown]
	v_accvgpr_read_b32 v0, a171
	buffer_store_dword v1, off, s[0:3], 0 offset:848
	buffer_store_dword v1, off, s[0:3], 0 offset:852
	;; [unrolled: 1-line block ×4, first 2 shown]
	s_waitcnt vmcnt(4)
	ds_write_b128 v0, v[2:5]
.LBB56_251:
	s_or_b64 exec, exec, s[4:5]
	s_waitcnt lgkmcnt(0)
	; wave barrier
	s_waitcnt lgkmcnt(0)
	buffer_load_dword v18, off, s[0:3], 0 offset:872
	buffer_load_dword v19, off, s[0:3], 0 offset:876
	;; [unrolled: 1-line block ×20, first 2 shown]
	ds_read_b128 v[2:5], v1 offset:1760
	ds_read_b128 v[6:9], v1 offset:1776
	;; [unrolled: 1-line block ×4, first 2 shown]
	v_cmp_lt_u32_e32 vcc, 51, v254
	s_waitcnt vmcnt(18) lgkmcnt(3)
	v_mul_f64 v[38:39], v[2:3], v[18:19]
	v_mul_f64 v[18:19], v[4:5], v[18:19]
	s_waitcnt vmcnt(16) lgkmcnt(2)
	v_mul_f64 v[40:41], v[6:7], v[20:21]
	v_mul_f64 v[20:21], v[8:9], v[20:21]
	;; [unrolled: 3-line block ×4, first 2 shown]
	s_waitcnt vmcnt(10)
	v_fma_f64 v[2:3], v[2:3], v[26:27], -v[18:19]
	v_fmac_f64_e32 v[38:39], v[4:5], v[26:27]
	s_waitcnt vmcnt(8)
	v_fma_f64 v[4:5], v[6:7], v[28:29], -v[20:21]
	v_add_f64 v[2:3], v[2:3], 0
	v_fmac_f64_e32 v[40:41], v[8:9], v[28:29]
	s_waitcnt vmcnt(6)
	v_fma_f64 v[6:7], v[10:11], v[30:31], -v[22:23]
	v_add_f64 v[10:11], v[38:39], 0
	v_add_f64 v[2:3], v[2:3], v[4:5]
	v_fmac_f64_e32 v[42:43], v[12:13], v[30:31]
	s_waitcnt vmcnt(4)
	v_fma_f64 v[8:9], v[14:15], v[32:33], -v[24:25]
	v_add_f64 v[10:11], v[10:11], v[40:41]
	v_add_f64 v[2:3], v[2:3], v[6:7]
	v_fmac_f64_e32 v[44:45], v[16:17], v[32:33]
	v_add_f64 v[4:5], v[10:11], v[42:43]
	v_add_f64 v[2:3], v[2:3], v[8:9]
	;; [unrolled: 1-line block ×3, first 2 shown]
	s_waitcnt vmcnt(2)
	v_add_f64 v[2:3], v[34:35], -v[2:3]
	s_waitcnt vmcnt(0)
	v_add_f64 v[4:5], v[36:37], -v[4:5]
	buffer_store_dword v2, off, s[0:3], 0 offset:848
	buffer_store_dword v3, off, s[0:3], 0 offset:852
	;; [unrolled: 1-line block ×4, first 2 shown]
	s_and_saveexec_b64 s[4:5], vcc
	s_cbranch_execz .LBB56_253
; %bb.252:
	v_accvgpr_read_b32 v0, a119
	buffer_load_dword v2, v0, s[0:3], 0 offen
	buffer_load_dword v3, v0, s[0:3], 0 offen offset:4
	buffer_load_dword v4, v0, s[0:3], 0 offen offset:8
	;; [unrolled: 1-line block ×3, first 2 shown]
	v_mov_b32_e32 v0, 0
	v_accvgpr_read_b32 v1, a171
	buffer_store_dword v0, off, s[0:3], 0 offset:832
	buffer_store_dword v0, off, s[0:3], 0 offset:836
	;; [unrolled: 1-line block ×4, first 2 shown]
	s_waitcnt vmcnt(4)
	ds_write_b128 v1, v[2:5]
.LBB56_253:
	s_or_b64 exec, exec, s[4:5]
	s_waitcnt lgkmcnt(0)
	; wave barrier
	s_waitcnt lgkmcnt(0)
	buffer_load_dword v22, off, s[0:3], 0 offset:856
	buffer_load_dword v23, off, s[0:3], 0 offset:860
	;; [unrolled: 1-line block ×24, first 2 shown]
	v_mov_b32_e32 v1, 0
	ds_read_b128 v[2:5], v1 offset:1744
	ds_read_b128 v[6:9], v1 offset:1760
	;; [unrolled: 1-line block ×5, first 2 shown]
	v_cmp_lt_u32_e32 vcc, 50, v254
	s_waitcnt vmcnt(22) lgkmcnt(4)
	v_mul_f64 v[46:47], v[2:3], v[22:23]
	v_mul_f64 v[22:23], v[4:5], v[22:23]
	s_waitcnt vmcnt(20) lgkmcnt(3)
	v_mul_f64 v[48:49], v[6:7], v[24:25]
	v_mul_f64 v[24:25], v[8:9], v[24:25]
	;; [unrolled: 3-line block ×4, first 2 shown]
	s_waitcnt vmcnt(13) lgkmcnt(0)
	v_mul_f64 v[54:55], v[18:19], v[28:29]
	s_waitcnt vmcnt(11)
	v_fma_f64 v[2:3], v[2:3], v[34:35], -v[22:23]
	v_fmac_f64_e32 v[46:47], v[4:5], v[34:35]
	s_waitcnt vmcnt(9)
	v_fma_f64 v[4:5], v[6:7], v[36:37], -v[24:25]
	v_add_f64 v[2:3], v[2:3], 0
	v_fmac_f64_e32 v[48:49], v[8:9], v[36:37]
	s_waitcnt vmcnt(7)
	v_fmac_f64_e32 v[50:51], v[12:13], v[38:39]
	v_fma_f64 v[6:7], v[10:11], v[38:39], -v[26:27]
	v_add_f64 v[12:13], v[46:47], 0
	v_add_f64 v[2:3], v[2:3], v[4:5]
	v_mul_f64 v[28:29], v[20:21], v[28:29]
	s_waitcnt vmcnt(5)
	v_fma_f64 v[8:9], v[14:15], v[40:41], -v[32:33]
	v_add_f64 v[12:13], v[12:13], v[48:49]
	v_add_f64 v[2:3], v[2:3], v[6:7]
	v_fmac_f64_e32 v[52:53], v[16:17], v[40:41]
	s_waitcnt vmcnt(4)
	v_fma_f64 v[10:11], v[18:19], v[30:31], -v[28:29]
	v_add_f64 v[4:5], v[12:13], v[50:51]
	v_add_f64 v[2:3], v[2:3], v[8:9]
	v_fmac_f64_e32 v[54:55], v[20:21], v[30:31]
	v_add_f64 v[4:5], v[4:5], v[52:53]
	v_add_f64 v[2:3], v[2:3], v[10:11]
	;; [unrolled: 1-line block ×3, first 2 shown]
	s_waitcnt vmcnt(2)
	v_add_f64 v[2:3], v[42:43], -v[2:3]
	s_waitcnt vmcnt(0)
	v_add_f64 v[4:5], v[44:45], -v[4:5]
	buffer_store_dword v3, off, s[0:3], 0 offset:836
	buffer_store_dword v2, off, s[0:3], 0 offset:832
	buffer_store_dword v5, off, s[0:3], 0 offset:844
	buffer_store_dword v4, off, s[0:3], 0 offset:840
	s_and_saveexec_b64 s[4:5], vcc
	s_cbranch_execz .LBB56_255
; %bb.254:
	v_accvgpr_read_b32 v0, a120
	buffer_load_dword v2, v0, s[0:3], 0 offen
	buffer_load_dword v3, v0, s[0:3], 0 offen offset:4
	buffer_load_dword v4, v0, s[0:3], 0 offen offset:8
	;; [unrolled: 1-line block ×3, first 2 shown]
	v_accvgpr_read_b32 v0, a171
	buffer_store_dword v1, off, s[0:3], 0 offset:816
	buffer_store_dword v1, off, s[0:3], 0 offset:820
	;; [unrolled: 1-line block ×4, first 2 shown]
	s_waitcnt vmcnt(4)
	ds_write_b128 v0, v[2:5]
.LBB56_255:
	s_or_b64 exec, exec, s[4:5]
	s_waitcnt lgkmcnt(0)
	; wave barrier
	s_waitcnt lgkmcnt(0)
	buffer_load_dword v26, off, s[0:3], 0 offset:840
	buffer_load_dword v27, off, s[0:3], 0 offset:844
	;; [unrolled: 1-line block ×28, first 2 shown]
	ds_read_b128 v[2:5], v1 offset:1728
	ds_read_b128 v[6:9], v1 offset:1744
	ds_read_b128 v[10:13], v1 offset:1760
	ds_read_b128 v[14:17], v1 offset:1776
	ds_read_b128 v[18:21], v1 offset:1792
	ds_read_b128 v[22:25], v1 offset:1808
	v_cmp_lt_u32_e32 vcc, 49, v254
	s_waitcnt vmcnt(26) lgkmcnt(5)
	v_mul_f64 v[54:55], v[2:3], v[26:27]
	v_mul_f64 v[26:27], v[4:5], v[26:27]
	s_waitcnt vmcnt(24) lgkmcnt(4)
	v_mul_f64 v[56:57], v[6:7], v[28:29]
	v_mul_f64 v[28:29], v[8:9], v[28:29]
	;; [unrolled: 3-line block ×4, first 2 shown]
	s_waitcnt vmcnt(17)
	v_mul_f64 v[60:61], v[14:15], v[36:37]
	v_mul_f64 v[36:37], v[16:17], v[36:37]
	s_waitcnt vmcnt(15) lgkmcnt(0)
	v_mul_f64 v[64:65], v[22:23], v[38:39]
	v_mul_f64 v[38:39], v[24:25], v[38:39]
	s_waitcnt vmcnt(14)
	v_fmac_f64_e32 v[62:63], v[20:21], v[34:35]
	s_waitcnt vmcnt(12)
	v_fma_f64 v[2:3], v[2:3], v[40:41], -v[26:27]
	v_fmac_f64_e32 v[54:55], v[4:5], v[40:41]
	s_waitcnt vmcnt(10)
	v_fma_f64 v[4:5], v[6:7], v[42:43], -v[28:29]
	v_add_f64 v[2:3], v[2:3], 0
	v_fmac_f64_e32 v[56:57], v[8:9], v[42:43]
	s_waitcnt vmcnt(8)
	v_fma_f64 v[6:7], v[10:11], v[44:45], -v[30:31]
	s_waitcnt vmcnt(6)
	v_fma_f64 v[8:9], v[14:15], v[46:47], -v[36:37]
	v_add_f64 v[14:15], v[54:55], 0
	v_add_f64 v[2:3], v[2:3], v[4:5]
	v_fmac_f64_e32 v[58:59], v[12:13], v[44:45]
	v_add_f64 v[14:15], v[14:15], v[56:57]
	v_add_f64 v[2:3], v[2:3], v[6:7]
	v_fmac_f64_e32 v[60:61], v[16:17], v[46:47]
	v_fma_f64 v[10:11], v[18:19], v[34:35], -v[32:33]
	v_add_f64 v[4:5], v[14:15], v[58:59]
	v_add_f64 v[2:3], v[2:3], v[8:9]
	s_waitcnt vmcnt(4)
	v_fma_f64 v[12:13], v[22:23], v[48:49], -v[38:39]
	v_add_f64 v[4:5], v[4:5], v[60:61]
	v_add_f64 v[2:3], v[2:3], v[10:11]
	v_fmac_f64_e32 v[64:65], v[24:25], v[48:49]
	v_add_f64 v[4:5], v[4:5], v[62:63]
	v_add_f64 v[2:3], v[2:3], v[12:13]
	;; [unrolled: 1-line block ×3, first 2 shown]
	s_waitcnt vmcnt(2)
	v_add_f64 v[2:3], v[50:51], -v[2:3]
	s_waitcnt vmcnt(0)
	v_add_f64 v[4:5], v[52:53], -v[4:5]
	buffer_store_dword v3, off, s[0:3], 0 offset:820
	buffer_store_dword v2, off, s[0:3], 0 offset:816
	;; [unrolled: 1-line block ×4, first 2 shown]
	s_and_saveexec_b64 s[4:5], vcc
	s_cbranch_execz .LBB56_257
; %bb.256:
	v_accvgpr_read_b32 v0, a121
	buffer_load_dword v2, v0, s[0:3], 0 offen
	buffer_load_dword v3, v0, s[0:3], 0 offen offset:4
	buffer_load_dword v4, v0, s[0:3], 0 offen offset:8
	;; [unrolled: 1-line block ×3, first 2 shown]
	v_mov_b32_e32 v0, 0
	v_accvgpr_read_b32 v1, a171
	buffer_store_dword v0, off, s[0:3], 0 offset:800
	buffer_store_dword v0, off, s[0:3], 0 offset:804
	;; [unrolled: 1-line block ×4, first 2 shown]
	s_waitcnt vmcnt(4)
	ds_write_b128 v1, v[2:5]
.LBB56_257:
	s_or_b64 exec, exec, s[4:5]
	s_waitcnt lgkmcnt(0)
	; wave barrier
	s_waitcnt lgkmcnt(0)
	buffer_load_dword v30, off, s[0:3], 0 offset:824
	buffer_load_dword v31, off, s[0:3], 0 offset:828
	;; [unrolled: 1-line block ×32, first 2 shown]
	v_mov_b32_e32 v1, 0
	ds_read_b128 v[2:5], v1 offset:1712
	ds_read_b128 v[6:9], v1 offset:1728
	ds_read_b128 v[10:13], v1 offset:1744
	ds_read_b128 v[14:17], v1 offset:1760
	ds_read_b128 v[18:21], v1 offset:1776
	ds_read_b128 v[22:25], v1 offset:1792
	ds_read_b128 v[26:29], v1 offset:1808
	v_cmp_lt_u32_e32 vcc, 48, v254
	s_waitcnt vmcnt(30) lgkmcnt(6)
	v_mul_f64 v[62:63], v[2:3], v[30:31]
	v_mul_f64 v[30:31], v[4:5], v[30:31]
	s_waitcnt vmcnt(28) lgkmcnt(5)
	v_mul_f64 v[64:65], v[6:7], v[32:33]
	v_mul_f64 v[32:33], v[8:9], v[32:33]
	;; [unrolled: 3-line block ×4, first 2 shown]
	s_waitcnt vmcnt(21)
	v_mul_f64 v[68:69], v[14:15], v[40:41]
	v_mul_f64 v[40:41], v[16:17], v[40:41]
	s_waitcnt vmcnt(17) lgkmcnt(1)
	v_mul_f64 v[72:73], v[22:23], v[46:47]
	v_mul_f64 v[46:47], v[24:25], v[46:47]
	s_waitcnt vmcnt(16) lgkmcnt(0)
	v_mul_f64 v[74:75], v[26:27], v[42:43]
	v_mul_f64 v[42:43], v[28:29], v[42:43]
	s_waitcnt vmcnt(13)
	v_fma_f64 v[2:3], v[2:3], v[48:49], -v[30:31]
	v_fmac_f64_e32 v[62:63], v[4:5], v[48:49]
	s_waitcnt vmcnt(11)
	v_fma_f64 v[4:5], v[6:7], v[50:51], -v[32:33]
	v_add_f64 v[2:3], v[2:3], 0
	v_fmac_f64_e32 v[64:65], v[8:9], v[50:51]
	s_waitcnt vmcnt(9)
	v_fma_f64 v[6:7], v[10:11], v[52:53], -v[34:35]
	s_waitcnt vmcnt(7)
	v_fmac_f64_e32 v[68:69], v[16:17], v[54:55]
	v_add_f64 v[16:17], v[62:63], 0
	v_add_f64 v[2:3], v[2:3], v[4:5]
	v_fmac_f64_e32 v[66:67], v[12:13], v[52:53]
	v_fma_f64 v[8:9], v[14:15], v[54:55], -v[40:41]
	v_add_f64 v[16:17], v[16:17], v[64:65]
	v_add_f64 v[2:3], v[2:3], v[6:7]
	v_fma_f64 v[10:11], v[18:19], v[38:39], -v[36:37]
	v_add_f64 v[4:5], v[16:17], v[66:67]
	v_add_f64 v[2:3], v[2:3], v[8:9]
	v_fmac_f64_e32 v[70:71], v[20:21], v[38:39]
	s_waitcnt vmcnt(5)
	v_fma_f64 v[12:13], v[22:23], v[56:57], -v[46:47]
	v_add_f64 v[4:5], v[4:5], v[68:69]
	v_add_f64 v[2:3], v[2:3], v[10:11]
	v_fmac_f64_e32 v[72:73], v[24:25], v[56:57]
	s_waitcnt vmcnt(4)
	v_fma_f64 v[14:15], v[26:27], v[44:45], -v[42:43]
	v_add_f64 v[4:5], v[4:5], v[70:71]
	v_add_f64 v[2:3], v[2:3], v[12:13]
	v_fmac_f64_e32 v[74:75], v[28:29], v[44:45]
	v_add_f64 v[4:5], v[4:5], v[72:73]
	v_add_f64 v[2:3], v[2:3], v[14:15]
	;; [unrolled: 1-line block ×3, first 2 shown]
	s_waitcnt vmcnt(2)
	v_add_f64 v[2:3], v[58:59], -v[2:3]
	s_waitcnt vmcnt(0)
	v_add_f64 v[4:5], v[60:61], -v[4:5]
	buffer_store_dword v3, off, s[0:3], 0 offset:804
	buffer_store_dword v2, off, s[0:3], 0 offset:800
	;; [unrolled: 1-line block ×4, first 2 shown]
	s_and_saveexec_b64 s[4:5], vcc
	s_cbranch_execz .LBB56_259
; %bb.258:
	v_accvgpr_read_b32 v0, a122
	buffer_load_dword v2, v0, s[0:3], 0 offen
	buffer_load_dword v3, v0, s[0:3], 0 offen offset:4
	buffer_load_dword v4, v0, s[0:3], 0 offen offset:8
	buffer_load_dword v5, v0, s[0:3], 0 offen offset:12
	v_accvgpr_read_b32 v0, a171
	buffer_store_dword v1, off, s[0:3], 0 offset:784
	buffer_store_dword v1, off, s[0:3], 0 offset:788
	;; [unrolled: 1-line block ×4, first 2 shown]
	s_waitcnt vmcnt(4)
	ds_write_b128 v0, v[2:5]
.LBB56_259:
	s_or_b64 exec, exec, s[4:5]
	s_waitcnt lgkmcnt(0)
	; wave barrier
	s_waitcnt lgkmcnt(0)
	ds_read_b128 v[14:17], v1 offset:1696
	ds_read_b128 v[10:13], v1 offset:1712
	;; [unrolled: 1-line block ×4, first 2 shown]
	buffer_load_dword v36, off, s[0:3], 0 offset:784
	buffer_load_dword v37, off, s[0:3], 0 offset:788
	;; [unrolled: 1-line block ×20, first 2 shown]
	v_cmp_lt_u32_e32 vcc, 47, v254
	s_waitcnt vmcnt(12) lgkmcnt(3)
	v_mul_f64 v[18:19], v[14:15], v[44:45]
	v_fmac_f64_e32 v[18:19], v[16:17], v[38:39]
	v_add_f64 v[18:19], v[18:19], 0
	v_mul_f64 v[16:17], v[16:17], v[44:45]
	s_waitcnt vmcnt(8) lgkmcnt(2)
	v_mul_f64 v[20:21], v[10:11], v[46:47]
	v_fmac_f64_e32 v[20:21], v[12:13], v[40:41]
	v_add_f64 v[18:19], v[18:19], v[20:21]
	v_fma_f64 v[14:15], v[14:15], v[38:39], -v[16:17]
	s_waitcnt vmcnt(4) lgkmcnt(1)
	v_mul_f64 v[20:21], v[6:7], v[50:51]
	v_fmac_f64_e32 v[20:21], v[8:9], v[42:43]
	v_add_f64 v[18:19], v[18:19], v[20:21]
	s_waitcnt vmcnt(0) lgkmcnt(0)
	v_mul_f64 v[20:21], v[2:3], v[54:55]
	v_fmac_f64_e32 v[20:21], v[4:5], v[52:53]
	v_add_f64 v[22:23], v[18:19], v[20:21]
	ds_read_b128 v[18:21], v1 offset:1760
	buffer_load_dword v49, off, s[0:3], 0 offset:868
	buffer_load_dword v48, off, s[0:3], 0 offset:864
	;; [unrolled: 1-line block ×4, first 2 shown]
	ds_read_b128 v[30:33], v1 offset:1776
	buffer_load_dword v61, off, s[0:3], 0 offset:884
	buffer_load_dword v60, off, s[0:3], 0 offset:880
	;; [unrolled: 1-line block ×4, first 2 shown]
	v_mul_f64 v[12:13], v[12:13], v[46:47]
	v_add_f64 v[14:15], v[14:15], 0
	v_fma_f64 v[10:11], v[10:11], v[40:41], -v[12:13]
	v_mul_f64 v[8:9], v[8:9], v[50:51]
	v_add_f64 v[10:11], v[14:15], v[10:11]
	v_fma_f64 v[6:7], v[6:7], v[42:43], -v[8:9]
	;; [unrolled: 3-line block ×3, first 2 shown]
	v_add_f64 v[2:3], v[6:7], v[2:3]
	s_waitcnt vmcnt(4) lgkmcnt(1)
	v_mul_f64 v[24:25], v[18:19], v[64:65]
	v_fmac_f64_e32 v[24:25], v[20:21], v[48:49]
	v_add_f64 v[22:23], v[22:23], v[24:25]
	s_waitcnt vmcnt(0) lgkmcnt(0)
	v_mul_f64 v[24:25], v[30:31], v[62:63]
	v_fmac_f64_e32 v[24:25], v[32:33], v[60:61]
	v_add_f64 v[26:27], v[22:23], v[24:25]
	ds_read_b128 v[22:25], v1 offset:1792
	buffer_load_dword v57, off, s[0:3], 0 offset:900
	buffer_load_dword v56, off, s[0:3], 0 offset:896
	;; [unrolled: 1-line block ×4, first 2 shown]
	v_mul_f64 v[4:5], v[20:21], v[64:65]
	v_fma_f64 v[4:5], v[18:19], v[48:49], -v[4:5]
	v_add_f64 v[2:3], v[2:3], v[4:5]
	v_mul_f64 v[4:5], v[32:33], v[62:63]
	v_fma_f64 v[4:5], v[30:31], v[60:61], -v[4:5]
	v_add_f64 v[2:3], v[2:3], v[4:5]
	s_waitcnt vmcnt(0) lgkmcnt(0)
	v_mul_f64 v[28:29], v[22:23], v[66:67]
	v_fmac_f64_e32 v[28:29], v[24:25], v[56:57]
	v_add_f64 v[68:69], v[26:27], v[28:29]
	ds_read_b128 v[26:29], v1 offset:1808
	buffer_load_dword v59, off, s[0:3], 0 offset:916
	buffer_load_dword v58, off, s[0:3], 0 offset:912
	;; [unrolled: 1-line block ×4, first 2 shown]
	v_mul_f64 v[4:5], v[24:25], v[66:67]
	v_fma_f64 v[4:5], v[22:23], v[56:57], -v[4:5]
	v_add_f64 v[2:3], v[2:3], v[4:5]
	s_waitcnt vmcnt(0) lgkmcnt(0)
	v_mul_f64 v[4:5], v[28:29], v[70:71]
	v_mul_f64 v[72:73], v[26:27], v[70:71]
	v_fma_f64 v[4:5], v[26:27], v[58:59], -v[4:5]
	v_fmac_f64_e32 v[72:73], v[28:29], v[58:59]
	v_add_f64 v[2:3], v[2:3], v[4:5]
	v_add_f64 v[68:69], v[68:69], v[72:73]
	v_add_f64 v[2:3], v[36:37], -v[2:3]
	v_add_f64 v[4:5], v[34:35], -v[68:69]
	buffer_store_dword v3, off, s[0:3], 0 offset:788
	buffer_store_dword v2, off, s[0:3], 0 offset:784
	;; [unrolled: 1-line block ×4, first 2 shown]
	s_and_saveexec_b64 s[4:5], vcc
	s_cbranch_execz .LBB56_261
; %bb.260:
	v_accvgpr_read_b32 v0, a123
	buffer_load_dword v2, v0, s[0:3], 0 offen
	buffer_load_dword v3, v0, s[0:3], 0 offen offset:4
	buffer_load_dword v4, v0, s[0:3], 0 offen offset:8
	;; [unrolled: 1-line block ×3, first 2 shown]
	v_mov_b32_e32 v0, 0
	v_accvgpr_read_b32 v1, a171
	buffer_store_dword v0, off, s[0:3], 0 offset:768
	buffer_store_dword v0, off, s[0:3], 0 offset:772
	;; [unrolled: 1-line block ×4, first 2 shown]
	s_waitcnt vmcnt(4)
	ds_write_b128 v1, v[2:5]
.LBB56_261:
	s_or_b64 exec, exec, s[4:5]
	v_mov_b32_e32 v1, 0
	s_waitcnt lgkmcnt(0)
	; wave barrier
	s_waitcnt lgkmcnt(0)
	ds_read_b128 v[18:21], v1 offset:1680
	ds_read_b128 v[14:17], v1 offset:1696
	;; [unrolled: 1-line block ×4, first 2 shown]
	buffer_load_dword v40, off, s[0:3], 0 offset:768
	buffer_load_dword v41, off, s[0:3], 0 offset:772
	;; [unrolled: 1-line block ×20, first 2 shown]
	v_cmp_lt_u32_e32 vcc, 46, v254
	s_waitcnt vmcnt(12) lgkmcnt(3)
	v_mul_f64 v[6:7], v[18:19], v[56:57]
	v_fmac_f64_e32 v[6:7], v[20:21], v[44:45]
	v_add_f64 v[6:7], v[6:7], 0
	v_mul_f64 v[20:21], v[20:21], v[56:57]
	s_waitcnt vmcnt(8) lgkmcnt(2)
	v_mul_f64 v[8:9], v[14:15], v[54:55]
	v_fmac_f64_e32 v[8:9], v[16:17], v[50:51]
	v_add_f64 v[6:7], v[6:7], v[8:9]
	v_fma_f64 v[18:19], v[18:19], v[44:45], -v[20:21]
	s_waitcnt vmcnt(4) lgkmcnt(1)
	v_mul_f64 v[8:9], v[10:11], v[52:53]
	v_fmac_f64_e32 v[8:9], v[12:13], v[48:49]
	v_add_f64 v[6:7], v[6:7], v[8:9]
	s_waitcnt vmcnt(0) lgkmcnt(0)
	v_mul_f64 v[8:9], v[2:3], v[58:59]
	v_fmac_f64_e32 v[8:9], v[4:5], v[46:47]
	v_add_f64 v[22:23], v[6:7], v[8:9]
	ds_read_b128 v[6:9], v1 offset:1744
	buffer_load_dword v43, off, s[0:3], 0 offset:852
	buffer_load_dword v42, off, s[0:3], 0 offset:848
	;; [unrolled: 1-line block ×4, first 2 shown]
	v_mul_f64 v[16:17], v[16:17], v[54:55]
	v_add_f64 v[18:19], v[18:19], 0
	v_fma_f64 v[14:15], v[14:15], v[50:51], -v[16:17]
	v_mul_f64 v[12:13], v[12:13], v[52:53]
	v_add_f64 v[14:15], v[18:19], v[14:15]
	v_fma_f64 v[10:11], v[10:11], v[48:49], -v[12:13]
	;; [unrolled: 3-line block ×3, first 2 shown]
	v_add_f64 v[2:3], v[10:11], v[2:3]
	s_waitcnt vmcnt(0) lgkmcnt(0)
	v_mul_f64 v[24:25], v[6:7], v[60:61]
	v_fmac_f64_e32 v[24:25], v[8:9], v[42:43]
	v_add_f64 v[26:27], v[22:23], v[24:25]
	ds_read_b128 v[22:25], v1 offset:1760
	buffer_load_dword v63, off, s[0:3], 0 offset:868
	buffer_load_dword v62, off, s[0:3], 0 offset:864
	buffer_load_dword v65, off, s[0:3], 0 offset:876
	buffer_load_dword v64, off, s[0:3], 0 offset:872
	v_mul_f64 v[4:5], v[8:9], v[60:61]
	v_fma_f64 v[4:5], v[6:7], v[42:43], -v[4:5]
	v_add_f64 v[2:3], v[2:3], v[4:5]
	s_waitcnt vmcnt(0) lgkmcnt(0)
	v_mul_f64 v[28:29], v[22:23], v[64:65]
	v_fmac_f64_e32 v[28:29], v[24:25], v[62:63]
	v_add_f64 v[30:31], v[26:27], v[28:29]
	ds_read_b128 v[26:29], v1 offset:1776
	buffer_load_dword v67, off, s[0:3], 0 offset:884
	buffer_load_dword v66, off, s[0:3], 0 offset:880
	buffer_load_dword v69, off, s[0:3], 0 offset:892
	buffer_load_dword v68, off, s[0:3], 0 offset:888
	v_mul_f64 v[4:5], v[24:25], v[64:65]
	v_fma_f64 v[4:5], v[22:23], v[62:63], -v[4:5]
	;; [unrolled: 12-line block ×4, first 2 shown]
	v_add_f64 v[2:3], v[2:3], v[4:5]
	s_waitcnt vmcnt(0) lgkmcnt(0)
	v_mul_f64 v[4:5], v[36:37], v[76:77]
	v_mul_f64 v[80:81], v[34:35], v[76:77]
	v_fma_f64 v[4:5], v[34:35], v[74:75], -v[4:5]
	v_fmac_f64_e32 v[80:81], v[36:37], v[74:75]
	v_add_f64 v[2:3], v[2:3], v[4:5]
	v_add_f64 v[78:79], v[78:79], v[80:81]
	v_add_f64 v[2:3], v[40:41], -v[2:3]
	v_add_f64 v[4:5], v[38:39], -v[78:79]
	buffer_store_dword v3, off, s[0:3], 0 offset:772
	buffer_store_dword v2, off, s[0:3], 0 offset:768
	;; [unrolled: 1-line block ×4, first 2 shown]
	s_and_saveexec_b64 s[4:5], vcc
	s_cbranch_execz .LBB56_263
; %bb.262:
	v_accvgpr_read_b32 v0, a124
	buffer_load_dword v2, v0, s[0:3], 0 offen
	buffer_load_dword v3, v0, s[0:3], 0 offen offset:4
	buffer_load_dword v4, v0, s[0:3], 0 offen offset:8
	;; [unrolled: 1-line block ×3, first 2 shown]
	v_accvgpr_read_b32 v0, a171
	buffer_store_dword v1, off, s[0:3], 0 offset:752
	buffer_store_dword v1, off, s[0:3], 0 offset:756
	;; [unrolled: 1-line block ×4, first 2 shown]
	s_waitcnt vmcnt(4)
	ds_write_b128 v0, v[2:5]
.LBB56_263:
	s_or_b64 exec, exec, s[4:5]
	s_waitcnt lgkmcnt(0)
	; wave barrier
	s_waitcnt lgkmcnt(0)
	ds_read_b128 v[18:21], v1 offset:1664
	ds_read_b128 v[10:13], v1 offset:1680
	;; [unrolled: 1-line block ×4, first 2 shown]
	buffer_load_dword v44, off, s[0:3], 0 offset:752
	buffer_load_dword v45, off, s[0:3], 0 offset:756
	;; [unrolled: 1-line block ×20, first 2 shown]
	v_cmp_lt_u32_e32 vcc, 45, v254
	s_waitcnt vmcnt(12) lgkmcnt(3)
	v_mul_f64 v[14:15], v[18:19], v[62:63]
	v_fmac_f64_e32 v[14:15], v[20:21], v[58:59]
	v_add_f64 v[14:15], v[14:15], 0
	v_mul_f64 v[20:21], v[20:21], v[62:63]
	s_waitcnt vmcnt(8) lgkmcnt(2)
	v_mul_f64 v[16:17], v[10:11], v[60:61]
	v_fmac_f64_e32 v[16:17], v[12:13], v[56:57]
	v_add_f64 v[14:15], v[14:15], v[16:17]
	v_fma_f64 v[18:19], v[18:19], v[58:59], -v[20:21]
	s_waitcnt vmcnt(4) lgkmcnt(1)
	v_mul_f64 v[16:17], v[6:7], v[48:49]
	v_fmac_f64_e32 v[16:17], v[8:9], v[46:47]
	v_add_f64 v[14:15], v[14:15], v[16:17]
	s_waitcnt vmcnt(0) lgkmcnt(0)
	v_mul_f64 v[16:17], v[2:3], v[52:53]
	v_fmac_f64_e32 v[16:17], v[4:5], v[50:51]
	v_add_f64 v[22:23], v[14:15], v[16:17]
	ds_read_b128 v[14:17], v1 offset:1728
	buffer_load_dword v55, off, s[0:3], 0 offset:836
	buffer_load_dword v54, off, s[0:3], 0 offset:832
	;; [unrolled: 1-line block ×4, first 2 shown]
	v_mul_f64 v[12:13], v[12:13], v[60:61]
	v_add_f64 v[18:19], v[18:19], 0
	v_fma_f64 v[10:11], v[10:11], v[56:57], -v[12:13]
	v_mul_f64 v[8:9], v[8:9], v[48:49]
	v_add_f64 v[10:11], v[18:19], v[10:11]
	v_fma_f64 v[6:7], v[6:7], v[46:47], -v[8:9]
	;; [unrolled: 3-line block ×3, first 2 shown]
	v_add_f64 v[2:3], v[6:7], v[2:3]
	s_waitcnt vmcnt(0) lgkmcnt(0)
	v_mul_f64 v[24:25], v[14:15], v[64:65]
	v_fmac_f64_e32 v[24:25], v[16:17], v[54:55]
	v_add_f64 v[26:27], v[22:23], v[24:25]
	ds_read_b128 v[22:25], v1 offset:1744
	buffer_load_dword v67, off, s[0:3], 0 offset:852
	buffer_load_dword v66, off, s[0:3], 0 offset:848
	buffer_load_dword v69, off, s[0:3], 0 offset:860
	buffer_load_dword v68, off, s[0:3], 0 offset:856
	v_mul_f64 v[4:5], v[16:17], v[64:65]
	v_fma_f64 v[4:5], v[14:15], v[54:55], -v[4:5]
	v_add_f64 v[2:3], v[2:3], v[4:5]
	s_waitcnt vmcnt(0) lgkmcnt(0)
	v_mul_f64 v[28:29], v[22:23], v[68:69]
	v_fmac_f64_e32 v[28:29], v[24:25], v[66:67]
	v_add_f64 v[30:31], v[26:27], v[28:29]
	ds_read_b128 v[26:29], v1 offset:1760
	buffer_load_dword v71, off, s[0:3], 0 offset:868
	buffer_load_dword v70, off, s[0:3], 0 offset:864
	buffer_load_dword v73, off, s[0:3], 0 offset:876
	buffer_load_dword v72, off, s[0:3], 0 offset:872
	v_mul_f64 v[4:5], v[24:25], v[68:69]
	v_fma_f64 v[4:5], v[22:23], v[66:67], -v[4:5]
	;; [unrolled: 12-line block ×5, first 2 shown]
	v_add_f64 v[2:3], v[2:3], v[4:5]
	s_waitcnt vmcnt(0) lgkmcnt(0)
	v_mul_f64 v[4:5], v[40:41], v[86:87]
	v_mul_f64 v[88:89], v[38:39], v[86:87]
	v_fma_f64 v[4:5], v[38:39], v[82:83], -v[4:5]
	v_fmac_f64_e32 v[88:89], v[40:41], v[82:83]
	v_add_f64 v[2:3], v[2:3], v[4:5]
	v_add_f64 v[84:85], v[84:85], v[88:89]
	v_add_f64 v[2:3], v[44:45], -v[2:3]
	v_add_f64 v[4:5], v[42:43], -v[84:85]
	buffer_store_dword v3, off, s[0:3], 0 offset:756
	buffer_store_dword v2, off, s[0:3], 0 offset:752
	;; [unrolled: 1-line block ×4, first 2 shown]
	s_and_saveexec_b64 s[4:5], vcc
	s_cbranch_execz .LBB56_265
; %bb.264:
	v_accvgpr_read_b32 v0, a125
	buffer_load_dword v2, v0, s[0:3], 0 offen
	buffer_load_dword v3, v0, s[0:3], 0 offen offset:4
	buffer_load_dword v4, v0, s[0:3], 0 offen offset:8
	;; [unrolled: 1-line block ×3, first 2 shown]
	v_mov_b32_e32 v0, 0
	v_accvgpr_read_b32 v1, a171
	buffer_store_dword v0, off, s[0:3], 0 offset:736
	buffer_store_dword v0, off, s[0:3], 0 offset:740
	;; [unrolled: 1-line block ×4, first 2 shown]
	s_waitcnt vmcnt(4)
	ds_write_b128 v1, v[2:5]
.LBB56_265:
	s_or_b64 exec, exec, s[4:5]
	v_mov_b32_e32 v1, 0
	s_waitcnt lgkmcnt(0)
	; wave barrier
	s_waitcnt lgkmcnt(0)
	ds_read_b128 v[14:17], v1 offset:1648
	ds_read_b128 v[10:13], v1 offset:1664
	;; [unrolled: 1-line block ×4, first 2 shown]
	buffer_load_dword v48, off, s[0:3], 0 offset:736
	buffer_load_dword v49, off, s[0:3], 0 offset:740
	;; [unrolled: 1-line block ×20, first 2 shown]
	v_cmp_lt_u32_e32 vcc, 44, v254
	s_waitcnt vmcnt(12) lgkmcnt(3)
	v_mul_f64 v[18:19], v[14:15], v[56:57]
	v_fmac_f64_e32 v[18:19], v[16:17], v[50:51]
	v_add_f64 v[18:19], v[18:19], 0
	v_mul_f64 v[16:17], v[16:17], v[56:57]
	s_waitcnt vmcnt(8) lgkmcnt(2)
	v_mul_f64 v[20:21], v[10:11], v[58:59]
	v_fmac_f64_e32 v[20:21], v[12:13], v[52:53]
	v_add_f64 v[18:19], v[18:19], v[20:21]
	v_fma_f64 v[14:15], v[14:15], v[50:51], -v[16:17]
	s_waitcnt vmcnt(4) lgkmcnt(1)
	v_mul_f64 v[20:21], v[6:7], v[60:61]
	v_fmac_f64_e32 v[20:21], v[8:9], v[54:55]
	v_add_f64 v[18:19], v[18:19], v[20:21]
	s_waitcnt vmcnt(0) lgkmcnt(0)
	v_mul_f64 v[20:21], v[2:3], v[64:65]
	v_fmac_f64_e32 v[20:21], v[4:5], v[62:63]
	v_add_f64 v[22:23], v[18:19], v[20:21]
	ds_read_b128 v[18:21], v1 offset:1712
	buffer_load_dword v67, off, s[0:3], 0 offset:820
	buffer_load_dword v66, off, s[0:3], 0 offset:816
	;; [unrolled: 1-line block ×4, first 2 shown]
	v_mul_f64 v[12:13], v[12:13], v[58:59]
	v_add_f64 v[14:15], v[14:15], 0
	v_fma_f64 v[10:11], v[10:11], v[52:53], -v[12:13]
	v_mul_f64 v[8:9], v[8:9], v[60:61]
	v_add_f64 v[10:11], v[14:15], v[10:11]
	v_fma_f64 v[6:7], v[6:7], v[54:55], -v[8:9]
	;; [unrolled: 3-line block ×3, first 2 shown]
	v_add_f64 v[2:3], v[6:7], v[2:3]
	s_waitcnt vmcnt(0) lgkmcnt(0)
	v_mul_f64 v[24:25], v[18:19], v[68:69]
	v_fmac_f64_e32 v[24:25], v[20:21], v[66:67]
	v_add_f64 v[26:27], v[22:23], v[24:25]
	ds_read_b128 v[22:25], v1 offset:1728
	buffer_load_dword v71, off, s[0:3], 0 offset:836
	buffer_load_dword v70, off, s[0:3], 0 offset:832
	buffer_load_dword v73, off, s[0:3], 0 offset:844
	buffer_load_dword v72, off, s[0:3], 0 offset:840
	v_mul_f64 v[4:5], v[20:21], v[68:69]
	v_fma_f64 v[4:5], v[18:19], v[66:67], -v[4:5]
	v_add_f64 v[2:3], v[2:3], v[4:5]
	s_waitcnt vmcnt(0) lgkmcnt(0)
	v_mul_f64 v[28:29], v[22:23], v[72:73]
	v_fmac_f64_e32 v[28:29], v[24:25], v[70:71]
	v_add_f64 v[30:31], v[26:27], v[28:29]
	ds_read_b128 v[26:29], v1 offset:1744
	buffer_load_dword v75, off, s[0:3], 0 offset:852
	buffer_load_dword v74, off, s[0:3], 0 offset:848
	buffer_load_dword v77, off, s[0:3], 0 offset:860
	buffer_load_dword v76, off, s[0:3], 0 offset:856
	v_mul_f64 v[4:5], v[24:25], v[72:73]
	v_fma_f64 v[4:5], v[22:23], v[70:71], -v[4:5]
	;; [unrolled: 12-line block ×6, first 2 shown]
	v_add_f64 v[2:3], v[2:3], v[4:5]
	s_waitcnt vmcnt(0) lgkmcnt(0)
	v_mul_f64 v[4:5], v[44:45], v[92:93]
	v_mul_f64 v[96:97], v[42:43], v[92:93]
	v_fma_f64 v[4:5], v[42:43], v[90:91], -v[4:5]
	v_fmac_f64_e32 v[96:97], v[44:45], v[90:91]
	v_add_f64 v[2:3], v[2:3], v[4:5]
	v_add_f64 v[94:95], v[94:95], v[96:97]
	v_add_f64 v[2:3], v[48:49], -v[2:3]
	v_add_f64 v[4:5], v[46:47], -v[94:95]
	buffer_store_dword v3, off, s[0:3], 0 offset:740
	buffer_store_dword v2, off, s[0:3], 0 offset:736
	;; [unrolled: 1-line block ×4, first 2 shown]
	s_and_saveexec_b64 s[4:5], vcc
	s_cbranch_execz .LBB56_267
; %bb.266:
	v_accvgpr_read_b32 v0, a126
	buffer_load_dword v2, v0, s[0:3], 0 offen
	buffer_load_dword v3, v0, s[0:3], 0 offen offset:4
	buffer_load_dword v4, v0, s[0:3], 0 offen offset:8
	buffer_load_dword v5, v0, s[0:3], 0 offen offset:12
	v_accvgpr_read_b32 v0, a171
	buffer_store_dword v1, off, s[0:3], 0 offset:720
	buffer_store_dword v1, off, s[0:3], 0 offset:724
	;; [unrolled: 1-line block ×4, first 2 shown]
	s_waitcnt vmcnt(4)
	ds_write_b128 v0, v[2:5]
.LBB56_267:
	s_or_b64 exec, exec, s[4:5]
	s_waitcnt lgkmcnt(0)
	; wave barrier
	s_waitcnt lgkmcnt(0)
	ds_read_b128 v[14:17], v1 offset:1632
	ds_read_b128 v[10:13], v1 offset:1648
	;; [unrolled: 1-line block ×4, first 2 shown]
	buffer_load_dword v48, off, s[0:3], 0 offset:720
	buffer_load_dword v49, off, s[0:3], 0 offset:724
	;; [unrolled: 1-line block ×20, first 2 shown]
	v_cmp_lt_u32_e32 vcc, 43, v254
	s_waitcnt vmcnt(12) lgkmcnt(3)
	v_mul_f64 v[18:19], v[14:15], v[56:57]
	v_fmac_f64_e32 v[18:19], v[16:17], v[50:51]
	v_add_f64 v[18:19], v[18:19], 0
	v_mul_f64 v[16:17], v[16:17], v[56:57]
	s_waitcnt vmcnt(8) lgkmcnt(2)
	v_mul_f64 v[20:21], v[10:11], v[58:59]
	v_fmac_f64_e32 v[20:21], v[12:13], v[52:53]
	v_add_f64 v[18:19], v[18:19], v[20:21]
	v_fma_f64 v[14:15], v[14:15], v[50:51], -v[16:17]
	s_waitcnt vmcnt(4) lgkmcnt(1)
	v_mul_f64 v[20:21], v[6:7], v[60:61]
	v_fmac_f64_e32 v[20:21], v[8:9], v[54:55]
	v_add_f64 v[18:19], v[18:19], v[20:21]
	s_waitcnt vmcnt(0) lgkmcnt(0)
	v_mul_f64 v[20:21], v[2:3], v[64:65]
	v_fmac_f64_e32 v[20:21], v[4:5], v[62:63]
	v_add_f64 v[22:23], v[18:19], v[20:21]
	ds_read_b128 v[18:21], v1 offset:1696
	buffer_load_dword v67, off, s[0:3], 0 offset:804
	buffer_load_dword v66, off, s[0:3], 0 offset:800
	;; [unrolled: 1-line block ×4, first 2 shown]
	v_mul_f64 v[12:13], v[12:13], v[58:59]
	v_add_f64 v[14:15], v[14:15], 0
	v_fma_f64 v[10:11], v[10:11], v[52:53], -v[12:13]
	v_mul_f64 v[8:9], v[8:9], v[60:61]
	v_add_f64 v[10:11], v[14:15], v[10:11]
	v_fma_f64 v[6:7], v[6:7], v[54:55], -v[8:9]
	;; [unrolled: 3-line block ×3, first 2 shown]
	v_add_f64 v[2:3], v[6:7], v[2:3]
	s_waitcnt vmcnt(0) lgkmcnt(0)
	v_mul_f64 v[24:25], v[18:19], v[68:69]
	v_fmac_f64_e32 v[24:25], v[20:21], v[66:67]
	v_add_f64 v[26:27], v[22:23], v[24:25]
	ds_read_b128 v[22:25], v1 offset:1712
	buffer_load_dword v71, off, s[0:3], 0 offset:820
	buffer_load_dword v70, off, s[0:3], 0 offset:816
	buffer_load_dword v73, off, s[0:3], 0 offset:828
	buffer_load_dword v72, off, s[0:3], 0 offset:824
	v_mul_f64 v[4:5], v[20:21], v[68:69]
	v_fma_f64 v[4:5], v[18:19], v[66:67], -v[4:5]
	v_add_f64 v[2:3], v[2:3], v[4:5]
	s_waitcnt vmcnt(0) lgkmcnt(0)
	v_mul_f64 v[28:29], v[22:23], v[72:73]
	v_fmac_f64_e32 v[28:29], v[24:25], v[70:71]
	v_add_f64 v[30:31], v[26:27], v[28:29]
	ds_read_b128 v[26:29], v1 offset:1728
	buffer_load_dword v75, off, s[0:3], 0 offset:836
	buffer_load_dword v74, off, s[0:3], 0 offset:832
	buffer_load_dword v77, off, s[0:3], 0 offset:844
	buffer_load_dword v76, off, s[0:3], 0 offset:840
	v_mul_f64 v[4:5], v[24:25], v[72:73]
	v_fma_f64 v[4:5], v[22:23], v[70:71], -v[4:5]
	;; [unrolled: 12-line block ×7, first 2 shown]
	v_add_f64 v[2:3], v[2:3], v[4:5]
	s_waitcnt vmcnt(0) lgkmcnt(0)
	v_mul_f64 v[4:5], v[96:97], v[102:103]
	v_mul_f64 v[104:105], v[94:95], v[102:103]
	v_fma_f64 v[4:5], v[94:95], v[100:101], -v[4:5]
	v_fmac_f64_e32 v[104:105], v[96:97], v[100:101]
	v_add_f64 v[2:3], v[2:3], v[4:5]
	v_add_f64 v[98:99], v[98:99], v[104:105]
	v_add_f64 v[2:3], v[48:49], -v[2:3]
	v_add_f64 v[4:5], v[46:47], -v[98:99]
	buffer_store_dword v3, off, s[0:3], 0 offset:724
	buffer_store_dword v2, off, s[0:3], 0 offset:720
	;; [unrolled: 1-line block ×4, first 2 shown]
	s_and_saveexec_b64 s[4:5], vcc
	s_cbranch_execz .LBB56_269
; %bb.268:
	v_accvgpr_read_b32 v0, a127
	buffer_load_dword v2, v0, s[0:3], 0 offen
	buffer_load_dword v3, v0, s[0:3], 0 offen offset:4
	buffer_load_dword v4, v0, s[0:3], 0 offen offset:8
	;; [unrolled: 1-line block ×3, first 2 shown]
	v_mov_b32_e32 v0, 0
	v_accvgpr_read_b32 v1, a171
	buffer_store_dword v0, off, s[0:3], 0 offset:704
	buffer_store_dword v0, off, s[0:3], 0 offset:708
	;; [unrolled: 1-line block ×4, first 2 shown]
	s_waitcnt vmcnt(4)
	ds_write_b128 v1, v[2:5]
.LBB56_269:
	s_or_b64 exec, exec, s[4:5]
	s_waitcnt lgkmcnt(0)
	; wave barrier
	s_waitcnt lgkmcnt(0)
	buffer_load_dword v2, off, s[0:3], 0 offset:720
	buffer_load_dword v3, off, s[0:3], 0 offset:724
	;; [unrolled: 1-line block ×56, first 2 shown]
	v_mov_b32_e32 v1, 0
	ds_read_b128 v[30:33], v1 offset:1616
	ds_read_b128 v[34:37], v1 offset:1632
	;; [unrolled: 1-line block ×9, first 2 shown]
	v_cmp_lt_u32_e32 vcc, 42, v254
	s_waitcnt vmcnt(52) lgkmcnt(8)
	v_mul_f64 v[62:63], v[30:31], v[6:7]
	v_fmac_f64_e32 v[62:63], v[32:33], v[2:3]
	v_mul_f64 v[6:7], v[32:33], v[6:7]
	v_add_f64 v[62:63], v[62:63], 0
	s_waitcnt vmcnt(48) lgkmcnt(7)
	v_mul_f64 v[64:65], v[34:35], v[8:9]
	v_fmac_f64_e32 v[64:65], v[36:37], v[4:5]
	s_waitcnt vmcnt(46) lgkmcnt(6)
	v_mul_f64 v[66:67], v[38:39], v[10:11]
	v_fma_f64 v[2:3], v[30:31], v[2:3], -v[6:7]
	v_mul_f64 v[6:7], v[36:37], v[8:9]
	s_waitcnt vmcnt(44) lgkmcnt(5)
	v_mul_f64 v[68:69], v[42:43], v[12:13]
	v_add_f64 v[62:63], v[62:63], v[64:65]
	v_add_f64 v[2:3], v[2:3], 0
	v_fma_f64 v[4:5], v[34:35], v[4:5], -v[6:7]
	v_add_f64 v[2:3], v[2:3], v[4:5]
	v_mul_f64 v[4:5], v[40:41], v[10:11]
	s_waitcnt vmcnt(37) lgkmcnt(4)
	v_mul_f64 v[70:71], v[46:47], v[20:21]
	s_waitcnt lgkmcnt(3)
	v_mul_f64 v[72:73], v[50:51], v[18:19]
	s_waitcnt vmcnt(35)
	v_fmac_f64_e32 v[70:71], v[48:49], v[22:23]
	s_waitcnt lgkmcnt(2)
	v_mul_f64 v[74:75], v[54:55], v[14:15]
	s_waitcnt vmcnt(33)
	v_fmac_f64_e32 v[66:67], v[40:41], v[28:29]
	v_add_f64 v[62:63], v[62:63], v[66:67]
	s_waitcnt vmcnt(31)
	v_fmac_f64_e32 v[68:69], v[44:45], v[26:27]
	v_add_f64 v[62:63], v[62:63], v[68:69]
	v_fma_f64 v[4:5], v[38:39], v[28:29], -v[4:5]
	s_waitcnt vmcnt(29)
	v_fmac_f64_e32 v[72:73], v[52:53], v[24:25]
	v_add_f64 v[62:63], v[62:63], v[70:71]
	v_add_f64 v[2:3], v[2:3], v[4:5]
	v_mul_f64 v[4:5], v[44:45], v[12:13]
	s_waitcnt vmcnt(28)
	v_fmac_f64_e32 v[74:75], v[56:57], v[16:17]
	v_add_f64 v[62:63], v[62:63], v[72:73]
	v_fma_f64 v[4:5], v[42:43], v[26:27], -v[4:5]
	v_add_f64 v[66:67], v[62:63], v[74:75]
	ds_read_b128 v[62:65], v1 offset:1744
	s_waitcnt vmcnt(24) lgkmcnt(2)
	v_mul_f64 v[68:69], v[58:59], v[86:87]
	v_add_f64 v[2:3], v[2:3], v[4:5]
	v_mul_f64 v[4:5], v[48:49], v[20:21]
	s_waitcnt vmcnt(22)
	v_fmac_f64_e32 v[68:69], v[60:61], v[88:89]
	v_fma_f64 v[4:5], v[46:47], v[22:23], -v[4:5]
	v_add_f64 v[70:71], v[66:67], v[68:69]
	ds_read_b128 v[66:69], v1 offset:1760
	v_add_f64 v[2:3], v[2:3], v[4:5]
	v_mul_f64 v[4:5], v[52:53], v[18:19]
	v_fma_f64 v[4:5], v[50:51], v[24:25], -v[4:5]
	v_add_f64 v[2:3], v[2:3], v[4:5]
	v_mul_f64 v[4:5], v[56:57], v[14:15]
	s_waitcnt vmcnt(21) lgkmcnt(1)
	v_mul_f64 v[72:73], v[62:63], v[82:83]
	v_fma_f64 v[4:5], v[54:55], v[16:17], -v[4:5]
	s_waitcnt vmcnt(20)
	v_fmac_f64_e32 v[72:73], v[64:65], v[84:85]
	v_add_f64 v[2:3], v[2:3], v[4:5]
	v_mul_f64 v[4:5], v[60:61], v[86:87]
	v_add_f64 v[74:75], v[70:71], v[72:73]
	ds_read_b128 v[70:73], v1 offset:1776
	s_waitcnt vmcnt(16) lgkmcnt(1)
	v_mul_f64 v[76:77], v[66:67], v[94:95]
	v_fma_f64 v[4:5], v[58:59], v[88:89], -v[4:5]
	s_waitcnt vmcnt(14)
	v_fmac_f64_e32 v[76:77], v[68:69], v[96:97]
	v_add_f64 v[2:3], v[2:3], v[4:5]
	v_mul_f64 v[4:5], v[64:65], v[82:83]
	v_add_f64 v[110:111], v[74:75], v[76:77]
	ds_read_b128 v[74:77], v1 offset:1792
	v_fma_f64 v[4:5], v[62:63], v[84:85], -v[4:5]
	v_add_f64 v[2:3], v[2:3], v[4:5]
	v_mul_f64 v[4:5], v[68:69], v[94:95]
	v_fma_f64 v[4:5], v[66:67], v[96:97], -v[4:5]
	v_add_f64 v[2:3], v[2:3], v[4:5]
	s_waitcnt vmcnt(13) lgkmcnt(1)
	v_mul_f64 v[4:5], v[72:73], v[90:91]
	v_mul_f64 v[112:113], v[70:71], v[90:91]
	s_waitcnt vmcnt(12)
	v_fma_f64 v[4:5], v[70:71], v[92:93], -v[4:5]
	v_fmac_f64_e32 v[112:113], v[72:73], v[92:93]
	v_add_f64 v[2:3], v[2:3], v[4:5]
	s_waitcnt vmcnt(8) lgkmcnt(0)
	v_mul_f64 v[4:5], v[76:77], v[102:103]
	v_add_f64 v[110:111], v[110:111], v[112:113]
	v_mul_f64 v[112:113], v[74:75], v[102:103]
	s_waitcnt vmcnt(6)
	v_fma_f64 v[4:5], v[74:75], v[104:105], -v[4:5]
	v_fmac_f64_e32 v[112:113], v[76:77], v[104:105]
	v_add_f64 v[2:3], v[2:3], v[4:5]
	s_waitcnt vmcnt(5)
	v_mul_f64 v[4:5], v[80:81], v[98:99]
	v_add_f64 v[110:111], v[110:111], v[112:113]
	v_mul_f64 v[112:113], v[78:79], v[98:99]
	s_waitcnt vmcnt(4)
	v_fma_f64 v[4:5], v[78:79], v[100:101], -v[4:5]
	v_fmac_f64_e32 v[112:113], v[80:81], v[100:101]
	v_add_f64 v[2:3], v[2:3], v[4:5]
	v_add_f64 v[110:111], v[110:111], v[112:113]
	s_waitcnt vmcnt(2)
	v_add_f64 v[2:3], v[106:107], -v[2:3]
	s_waitcnt vmcnt(0)
	v_add_f64 v[4:5], v[108:109], -v[110:111]
	buffer_store_dword v3, off, s[0:3], 0 offset:708
	buffer_store_dword v2, off, s[0:3], 0 offset:704
	;; [unrolled: 1-line block ×4, first 2 shown]
	s_and_saveexec_b64 s[4:5], vcc
	s_cbranch_execz .LBB56_271
; %bb.270:
	v_accvgpr_read_b32 v0, a128
	buffer_load_dword v2, v0, s[0:3], 0 offen
	buffer_load_dword v3, v0, s[0:3], 0 offen offset:4
	buffer_load_dword v4, v0, s[0:3], 0 offen offset:8
	;; [unrolled: 1-line block ×3, first 2 shown]
	v_accvgpr_read_b32 v0, a171
	buffer_store_dword v1, off, s[0:3], 0 offset:688
	buffer_store_dword v1, off, s[0:3], 0 offset:692
	;; [unrolled: 1-line block ×4, first 2 shown]
	s_waitcnt vmcnt(4)
	ds_write_b128 v0, v[2:5]
.LBB56_271:
	s_or_b64 exec, exec, s[4:5]
	s_waitcnt lgkmcnt(0)
	; wave barrier
	s_waitcnt lgkmcnt(0)
	buffer_load_dword v2, off, s[0:3], 0 offset:704
	buffer_load_dword v3, off, s[0:3], 0 offset:708
	;; [unrolled: 1-line block ×60, first 2 shown]
	ds_read_b128 v[30:33], v1 offset:1600
	ds_read_b128 v[34:37], v1 offset:1616
	;; [unrolled: 1-line block ×8, first 2 shown]
	v_cmp_lt_u32_e32 vcc, 41, v254
	ds_read_b128 v[82:85], v1 offset:1808
	s_waitcnt vmcnt(56) lgkmcnt(8)
	v_mul_f64 v[62:63], v[30:31], v[6:7]
	v_fmac_f64_e32 v[62:63], v[32:33], v[2:3]
	v_add_f64 v[62:63], v[62:63], 0
	v_mul_f64 v[6:7], v[32:33], v[6:7]
	s_waitcnt vmcnt(52) lgkmcnt(7)
	v_mul_f64 v[64:65], v[34:35], v[8:9]
	v_fmac_f64_e32 v[64:65], v[36:37], v[4:5]
	s_waitcnt vmcnt(50) lgkmcnt(6)
	v_mul_f64 v[66:67], v[38:39], v[10:11]
	v_add_f64 v[62:63], v[62:63], v[64:65]
	s_waitcnt vmcnt(48) lgkmcnt(4)
	v_mul_f64 v[70:71], v[46:47], v[12:13]
	v_fma_f64 v[2:3], v[30:31], v[2:3], -v[6:7]
	s_waitcnt vmcnt(46)
	v_fmac_f64_e32 v[70:71], v[48:49], v[14:15]
	v_mul_f64 v[6:7], v[36:37], v[8:9]
	s_waitcnt vmcnt(44)
	v_mul_f64 v[68:69], v[42:43], v[16:17]
	v_add_f64 v[2:3], v[2:3], 0
	v_fma_f64 v[4:5], v[34:35], v[4:5], -v[6:7]
	v_add_f64 v[2:3], v[2:3], v[4:5]
	s_waitcnt vmcnt(40) lgkmcnt(3)
	v_mul_f64 v[72:73], v[50:51], v[22:23]
	v_mul_f64 v[4:5], v[40:41], v[10:11]
	s_waitcnt vmcnt(38)
	v_fmac_f64_e32 v[66:67], v[40:41], v[28:29]
	v_add_f64 v[62:63], v[62:63], v[66:67]
	s_waitcnt vmcnt(36)
	v_fmac_f64_e32 v[68:69], v[44:45], v[26:27]
	v_add_f64 v[62:63], v[62:63], v[68:69]
	;; [unrolled: 3-line block ×3, first 2 shown]
	s_waitcnt vmcnt(33) lgkmcnt(2)
	v_mul_f64 v[64:65], v[54:55], v[18:19]
	v_add_f64 v[62:63], v[62:63], v[72:73]
	s_waitcnt vmcnt(32)
	v_fmac_f64_e32 v[64:65], v[56:57], v[20:21]
	v_add_f64 v[66:67], v[62:63], v[64:65]
	ds_read_b128 v[62:65], v1 offset:1728
	v_fma_f64 v[4:5], v[38:39], v[28:29], -v[4:5]
	v_add_f64 v[2:3], v[2:3], v[4:5]
	v_mul_f64 v[4:5], v[44:45], v[16:17]
	v_fma_f64 v[4:5], v[42:43], v[26:27], -v[4:5]
	s_waitcnt vmcnt(28) lgkmcnt(2)
	v_mul_f64 v[68:69], v[58:59], v[90:91]
	v_add_f64 v[2:3], v[2:3], v[4:5]
	v_mul_f64 v[4:5], v[48:49], v[12:13]
	s_waitcnt vmcnt(26)
	v_fmac_f64_e32 v[68:69], v[60:61], v[92:93]
	v_fma_f64 v[4:5], v[46:47], v[14:15], -v[4:5]
	v_add_f64 v[70:71], v[66:67], v[68:69]
	ds_read_b128 v[66:69], v1 offset:1744
	s_waitcnt vmcnt(25) lgkmcnt(1)
	v_mul_f64 v[72:73], v[62:63], v[86:87]
	v_add_f64 v[2:3], v[2:3], v[4:5]
	v_mul_f64 v[4:5], v[52:53], v[22:23]
	s_waitcnt vmcnt(24)
	v_fmac_f64_e32 v[72:73], v[64:65], v[88:89]
	v_fma_f64 v[4:5], v[50:51], v[24:25], -v[4:5]
	v_add_f64 v[74:75], v[70:71], v[72:73]
	ds_read_b128 v[70:73], v1 offset:1760
	v_add_f64 v[2:3], v[2:3], v[4:5]
	v_mul_f64 v[4:5], v[56:57], v[18:19]
	v_fma_f64 v[4:5], v[54:55], v[20:21], -v[4:5]
	v_add_f64 v[2:3], v[2:3], v[4:5]
	v_mul_f64 v[4:5], v[60:61], v[90:91]
	s_waitcnt vmcnt(20) lgkmcnt(1)
	v_mul_f64 v[76:77], v[66:67], v[98:99]
	v_fma_f64 v[4:5], v[58:59], v[92:93], -v[4:5]
	s_waitcnt vmcnt(18)
	v_fmac_f64_e32 v[76:77], v[68:69], v[100:101]
	v_add_f64 v[2:3], v[2:3], v[4:5]
	v_mul_f64 v[4:5], v[64:65], v[86:87]
	v_add_f64 v[78:79], v[74:75], v[76:77]
	ds_read_b128 v[74:77], v1 offset:1776
	s_waitcnt vmcnt(17) lgkmcnt(1)
	v_mul_f64 v[80:81], v[70:71], v[94:95]
	v_fma_f64 v[4:5], v[62:63], v[88:89], -v[4:5]
	s_waitcnt vmcnt(16)
	v_fmac_f64_e32 v[80:81], v[72:73], v[96:97]
	v_add_f64 v[2:3], v[2:3], v[4:5]
	v_mul_f64 v[4:5], v[68:69], v[98:99]
	v_add_f64 v[118:119], v[78:79], v[80:81]
	ds_read_b128 v[78:81], v1 offset:1792
	v_fma_f64 v[4:5], v[66:67], v[100:101], -v[4:5]
	v_add_f64 v[2:3], v[2:3], v[4:5]
	v_mul_f64 v[4:5], v[72:73], v[94:95]
	v_fma_f64 v[4:5], v[70:71], v[96:97], -v[4:5]
	v_add_f64 v[2:3], v[2:3], v[4:5]
	s_waitcnt vmcnt(12) lgkmcnt(1)
	v_mul_f64 v[4:5], v[76:77], v[106:107]
	v_mul_f64 v[120:121], v[74:75], v[106:107]
	s_waitcnt vmcnt(10)
	v_fma_f64 v[4:5], v[74:75], v[108:109], -v[4:5]
	v_fmac_f64_e32 v[120:121], v[76:77], v[108:109]
	v_add_f64 v[2:3], v[2:3], v[4:5]
	s_waitcnt vmcnt(9) lgkmcnt(0)
	v_mul_f64 v[4:5], v[80:81], v[102:103]
	v_add_f64 v[118:119], v[118:119], v[120:121]
	v_mul_f64 v[120:121], v[78:79], v[102:103]
	s_waitcnt vmcnt(8)
	v_fma_f64 v[4:5], v[78:79], v[104:105], -v[4:5]
	v_fmac_f64_e32 v[120:121], v[80:81], v[104:105]
	v_add_f64 v[2:3], v[2:3], v[4:5]
	s_waitcnt vmcnt(6)
	v_mul_f64 v[4:5], v[84:85], v[110:111]
	v_add_f64 v[118:119], v[118:119], v[120:121]
	v_mul_f64 v[120:121], v[82:83], v[110:111]
	s_waitcnt vmcnt(4)
	v_fma_f64 v[4:5], v[82:83], v[112:113], -v[4:5]
	v_fmac_f64_e32 v[120:121], v[84:85], v[112:113]
	v_add_f64 v[2:3], v[2:3], v[4:5]
	v_add_f64 v[118:119], v[118:119], v[120:121]
	s_waitcnt vmcnt(2)
	v_add_f64 v[2:3], v[114:115], -v[2:3]
	s_waitcnt vmcnt(0)
	v_add_f64 v[4:5], v[116:117], -v[118:119]
	buffer_store_dword v3, off, s[0:3], 0 offset:692
	buffer_store_dword v2, off, s[0:3], 0 offset:688
	;; [unrolled: 1-line block ×4, first 2 shown]
	s_and_saveexec_b64 s[4:5], vcc
	s_cbranch_execz .LBB56_273
; %bb.272:
	v_accvgpr_read_b32 v0, a129
	buffer_load_dword v2, v0, s[0:3], 0 offen
	buffer_load_dword v3, v0, s[0:3], 0 offen offset:4
	buffer_load_dword v4, v0, s[0:3], 0 offen offset:8
	;; [unrolled: 1-line block ×3, first 2 shown]
	v_mov_b32_e32 v0, 0
	v_accvgpr_read_b32 v1, a171
	buffer_store_dword v0, off, s[0:3], 0 offset:672
	buffer_store_dword v0, off, s[0:3], 0 offset:676
	;; [unrolled: 1-line block ×4, first 2 shown]
	s_waitcnt vmcnt(4)
	ds_write_b128 v1, v[2:5]
.LBB56_273:
	s_or_b64 exec, exec, s[4:5]
	s_waitcnt lgkmcnt(0)
	; wave barrier
	s_waitcnt lgkmcnt(0)
	buffer_load_dword v2, off, s[0:3], 0 offset:688
	buffer_load_dword v3, off, s[0:3], 0 offset:692
	;; [unrolled: 1-line block ×64, first 2 shown]
	v_mov_b32_e32 v1, 0
	ds_read_b128 v[38:41], v1 offset:1584
	ds_read_b128 v[42:45], v1 offset:1600
	;; [unrolled: 1-line block ×7, first 2 shown]
	v_cmp_lt_u32_e32 vcc, 40, v254
	s_waitcnt vmcnt(60) lgkmcnt(6)
	v_mul_f64 v[62:63], v[38:39], v[4:5]
	v_fmac_f64_e32 v[62:63], v[40:41], v[2:3]
	s_waitcnt vmcnt(58) lgkmcnt(5)
	v_mul_f64 v[64:65], v[42:43], v[6:7]
	v_add_f64 v[62:63], v[62:63], 0
	s_waitcnt vmcnt(56) lgkmcnt(4)
	v_mul_f64 v[66:67], v[46:47], v[8:9]
	v_mul_f64 v[4:5], v[40:41], v[4:5]
	s_waitcnt vmcnt(54) lgkmcnt(2)
	v_mul_f64 v[70:71], v[54:55], v[10:11]
	v_fma_f64 v[2:3], v[38:39], v[2:3], -v[4:5]
	v_mul_f64 v[4:5], v[44:45], v[6:7]
	s_waitcnt vmcnt(51)
	v_mul_f64 v[68:69], v[50:51], v[14:15]
	v_add_f64 v[2:3], v[2:3], 0
	s_waitcnt vmcnt(49)
	v_fmac_f64_e32 v[64:65], v[44:45], v[20:21]
	v_add_f64 v[62:63], v[62:63], v[64:65]
	s_waitcnt vmcnt(47)
	v_fmac_f64_e32 v[66:67], v[48:49], v[18:19]
	;; [unrolled: 3-line block ×4, first 2 shown]
	v_add_f64 v[66:67], v[62:63], v[70:71]
	ds_read_b128 v[62:65], v1 offset:1680
	s_waitcnt vmcnt(40) lgkmcnt(2)
	v_mul_f64 v[68:69], v[58:59], v[26:27]
	v_fma_f64 v[4:5], v[42:43], v[20:21], -v[4:5]
	s_waitcnt vmcnt(38)
	v_fmac_f64_e32 v[68:69], v[60:61], v[28:29]
	v_add_f64 v[70:71], v[66:67], v[68:69]
	ds_read_b128 v[66:69], v1 offset:1696
	s_waitcnt vmcnt(37) lgkmcnt(1)
	v_mul_f64 v[72:73], v[62:63], v[22:23]
	s_waitcnt vmcnt(36)
	v_fmac_f64_e32 v[72:73], v[64:65], v[24:25]
	v_add_f64 v[2:3], v[2:3], v[4:5]
	v_mul_f64 v[4:5], v[48:49], v[8:9]
	v_add_f64 v[74:75], v[70:71], v[72:73]
	ds_read_b128 v[70:73], v1 offset:1712
	s_waitcnt vmcnt(32) lgkmcnt(1)
	v_mul_f64 v[76:77], v[66:67], v[34:35]
	v_fma_f64 v[4:5], v[46:47], v[18:19], -v[4:5]
	s_waitcnt vmcnt(30)
	v_fmac_f64_e32 v[76:77], v[68:69], v[36:37]
	v_add_f64 v[2:3], v[2:3], v[4:5]
	v_mul_f64 v[4:5], v[52:53], v[14:15]
	v_add_f64 v[78:79], v[74:75], v[76:77]
	ds_read_b128 v[74:77], v1 offset:1728
	v_fma_f64 v[4:5], v[50:51], v[16:17], -v[4:5]
	v_add_f64 v[2:3], v[2:3], v[4:5]
	v_mul_f64 v[4:5], v[56:57], v[10:11]
	v_fma_f64 v[4:5], v[54:55], v[12:13], -v[4:5]
	s_waitcnt vmcnt(29) lgkmcnt(1)
	v_mul_f64 v[80:81], v[70:71], v[30:31]
	v_add_f64 v[2:3], v[2:3], v[4:5]
	v_mul_f64 v[4:5], v[60:61], v[26:27]
	s_waitcnt vmcnt(28)
	v_fmac_f64_e32 v[80:81], v[72:73], v[32:33]
	v_fma_f64 v[4:5], v[58:59], v[28:29], -v[4:5]
	v_add_f64 v[82:83], v[78:79], v[80:81]
	ds_read_b128 v[78:81], v1 offset:1744
	s_waitcnt vmcnt(24) lgkmcnt(1)
	v_mul_f64 v[84:85], v[74:75], v[102:103]
	v_add_f64 v[2:3], v[2:3], v[4:5]
	v_mul_f64 v[4:5], v[64:65], v[22:23]
	s_waitcnt vmcnt(22)
	v_fmac_f64_e32 v[84:85], v[76:77], v[104:105]
	v_fma_f64 v[4:5], v[62:63], v[24:25], -v[4:5]
	v_add_f64 v[86:87], v[82:83], v[84:85]
	ds_read_b128 v[82:85], v1 offset:1760
	v_add_f64 v[2:3], v[2:3], v[4:5]
	v_mul_f64 v[4:5], v[68:69], v[34:35]
	v_fma_f64 v[4:5], v[66:67], v[36:37], -v[4:5]
	v_add_f64 v[2:3], v[2:3], v[4:5]
	v_mul_f64 v[4:5], v[72:73], v[30:31]
	s_waitcnt vmcnt(21) lgkmcnt(1)
	v_mul_f64 v[88:89], v[78:79], v[98:99]
	v_fma_f64 v[4:5], v[70:71], v[32:33], -v[4:5]
	s_waitcnt vmcnt(20)
	v_fmac_f64_e32 v[88:89], v[80:81], v[100:101]
	v_add_f64 v[2:3], v[2:3], v[4:5]
	v_mul_f64 v[4:5], v[76:77], v[102:103]
	v_add_f64 v[90:91], v[86:87], v[88:89]
	ds_read_b128 v[86:89], v1 offset:1776
	s_waitcnt vmcnt(16) lgkmcnt(1)
	v_mul_f64 v[92:93], v[82:83], v[110:111]
	v_fma_f64 v[4:5], v[74:75], v[104:105], -v[4:5]
	s_waitcnt vmcnt(14)
	v_fmac_f64_e32 v[92:93], v[84:85], v[112:113]
	v_add_f64 v[2:3], v[2:3], v[4:5]
	v_mul_f64 v[4:5], v[80:81], v[98:99]
	v_add_f64 v[126:127], v[90:91], v[92:93]
	ds_read_b128 v[90:93], v1 offset:1792
	v_fma_f64 v[4:5], v[78:79], v[100:101], -v[4:5]
	v_add_f64 v[2:3], v[2:3], v[4:5]
	v_mul_f64 v[4:5], v[84:85], v[110:111]
	v_fma_f64 v[4:5], v[82:83], v[112:113], -v[4:5]
	v_add_f64 v[2:3], v[2:3], v[4:5]
	s_waitcnt vmcnt(13) lgkmcnt(1)
	v_mul_f64 v[4:5], v[88:89], v[106:107]
	v_mul_f64 v[128:129], v[86:87], v[106:107]
	s_waitcnt vmcnt(12)
	v_fma_f64 v[4:5], v[86:87], v[108:109], -v[4:5]
	v_fmac_f64_e32 v[128:129], v[88:89], v[108:109]
	v_add_f64 v[2:3], v[2:3], v[4:5]
	s_waitcnt vmcnt(8) lgkmcnt(0)
	v_mul_f64 v[4:5], v[92:93], v[118:119]
	v_add_f64 v[126:127], v[126:127], v[128:129]
	v_mul_f64 v[128:129], v[90:91], v[118:119]
	s_waitcnt vmcnt(6)
	v_fma_f64 v[4:5], v[90:91], v[120:121], -v[4:5]
	v_fmac_f64_e32 v[128:129], v[92:93], v[120:121]
	v_add_f64 v[2:3], v[2:3], v[4:5]
	s_waitcnt vmcnt(5)
	v_mul_f64 v[4:5], v[96:97], v[114:115]
	v_add_f64 v[126:127], v[126:127], v[128:129]
	v_mul_f64 v[128:129], v[94:95], v[114:115]
	s_waitcnt vmcnt(4)
	v_fma_f64 v[4:5], v[94:95], v[116:117], -v[4:5]
	v_fmac_f64_e32 v[128:129], v[96:97], v[116:117]
	v_add_f64 v[2:3], v[2:3], v[4:5]
	v_add_f64 v[126:127], v[126:127], v[128:129]
	s_waitcnt vmcnt(2)
	v_add_f64 v[2:3], v[122:123], -v[2:3]
	s_waitcnt vmcnt(0)
	v_add_f64 v[4:5], v[124:125], -v[126:127]
	buffer_store_dword v3, off, s[0:3], 0 offset:676
	buffer_store_dword v2, off, s[0:3], 0 offset:672
	;; [unrolled: 1-line block ×4, first 2 shown]
	s_and_saveexec_b64 s[4:5], vcc
	s_cbranch_execz .LBB56_275
; %bb.274:
	v_accvgpr_read_b32 v0, a130
	buffer_load_dword v2, v0, s[0:3], 0 offen
	buffer_load_dword v3, v0, s[0:3], 0 offen offset:4
	buffer_load_dword v4, v0, s[0:3], 0 offen offset:8
	;; [unrolled: 1-line block ×3, first 2 shown]
	v_accvgpr_read_b32 v0, a171
	buffer_store_dword v1, off, s[0:3], 0 offset:656
	buffer_store_dword v1, off, s[0:3], 0 offset:660
	;; [unrolled: 1-line block ×4, first 2 shown]
	s_waitcnt vmcnt(4)
	ds_write_b128 v0, v[2:5]
.LBB56_275:
	s_or_b64 exec, exec, s[4:5]
	s_waitcnt lgkmcnt(0)
	; wave barrier
	s_waitcnt lgkmcnt(0)
	buffer_load_dword v2, off, s[0:3], 0 offset:672
	buffer_load_dword v3, off, s[0:3], 0 offset:676
	buffer_load_dword v4, off, s[0:3], 0 offset:680
	buffer_load_dword v5, off, s[0:3], 0 offset:684
	buffer_load_dword v6, off, s[0:3], 0 offset:712
	buffer_load_dword v7, off, s[0:3], 0 offset:716
	buffer_load_dword v9, off, s[0:3], 0 offset:748
	buffer_load_dword v11, off, s[0:3], 0 offset:740
	buffer_load_dword v13, off, s[0:3], 0 offset:732
	buffer_load_dword v12, off, s[0:3], 0 offset:728
	buffer_load_dword v18, off, s[0:3], 0 offset:696
	buffer_load_dword v19, off, s[0:3], 0 offset:700
	buffer_load_dword v20, off, s[0:3], 0 offset:688
	buffer_load_dword v16, off, s[0:3], 0 offset:704
	buffer_load_dword v17, off, s[0:3], 0 offset:708
	buffer_load_dword v21, off, s[0:3], 0 offset:692
	buffer_load_dword v15, off, s[0:3], 0 offset:724
	buffer_load_dword v14, off, s[0:3], 0 offset:720
	buffer_load_dword v8, off, s[0:3], 0 offset:744
	buffer_load_dword v10, off, s[0:3], 0 offset:736
	buffer_load_dword v23, off, s[0:3], 0 offset:780
	buffer_load_dword v25, off, s[0:3], 0 offset:772
	buffer_load_dword v27, off, s[0:3], 0 offset:764
	buffer_load_dword v26, off, s[0:3], 0 offset:760
	buffer_load_dword v29, off, s[0:3], 0 offset:756
	buffer_load_dword v28, off, s[0:3], 0 offset:752
	buffer_load_dword v22, off, s[0:3], 0 offset:776
	buffer_load_dword v24, off, s[0:3], 0 offset:768
	buffer_load_dword v31, off, s[0:3], 0 offset:812
	buffer_load_dword v33, off, s[0:3], 0 offset:804
	buffer_load_dword v35, off, s[0:3], 0 offset:796
	buffer_load_dword v34, off, s[0:3], 0 offset:792
	buffer_load_dword v37, off, s[0:3], 0 offset:788
	buffer_load_dword v36, off, s[0:3], 0 offset:784
	buffer_load_dword v30, off, s[0:3], 0 offset:808
	buffer_load_dword v32, off, s[0:3], 0 offset:800
	buffer_load_dword v39, off, s[0:3], 0 offset:844
	buffer_load_dword v41, off, s[0:3], 0 offset:836
	buffer_load_dword v43, off, s[0:3], 0 offset:828
	buffer_load_dword v42, off, s[0:3], 0 offset:824
	buffer_load_dword v45, off, s[0:3], 0 offset:820
	buffer_load_dword v44, off, s[0:3], 0 offset:816
	buffer_load_dword v38, off, s[0:3], 0 offset:840
	buffer_load_dword v40, off, s[0:3], 0 offset:832
	buffer_load_dword v111, off, s[0:3], 0 offset:876
	buffer_load_dword v113, off, s[0:3], 0 offset:868
	buffer_load_dword v115, off, s[0:3], 0 offset:860
	buffer_load_dword v114, off, s[0:3], 0 offset:856
	buffer_load_dword v117, off, s[0:3], 0 offset:852
	buffer_load_dword v116, off, s[0:3], 0 offset:848
	buffer_load_dword v110, off, s[0:3], 0 offset:872
	buffer_load_dword v112, off, s[0:3], 0 offset:864
	buffer_load_dword v119, off, s[0:3], 0 offset:908
	buffer_load_dword v121, off, s[0:3], 0 offset:900
	buffer_load_dword v123, off, s[0:3], 0 offset:892
	buffer_load_dword v122, off, s[0:3], 0 offset:888
	buffer_load_dword v125, off, s[0:3], 0 offset:884
	buffer_load_dword v124, off, s[0:3], 0 offset:880
	buffer_load_dword v118, off, s[0:3], 0 offset:904
	buffer_load_dword v120, off, s[0:3], 0 offset:896
	buffer_load_dword v127, off, s[0:3], 0 offset:924
	buffer_load_dword v126, off, s[0:3], 0 offset:920
	buffer_load_dword v129, off, s[0:3], 0 offset:916
	buffer_load_dword v128, off, s[0:3], 0 offset:912
	ds_read_b128 v[46:49], v1 offset:1568
	ds_read_b128 v[50:53], v1 offset:1584
	;; [unrolled: 1-line block ×4, first 2 shown]
	buffer_load_dword v130, off, s[0:3], 0 offset:656
	buffer_load_dword v131, off, s[0:3], 0 offset:660
	;; [unrolled: 1-line block ×4, first 2 shown]
	v_cmp_lt_u32_e32 vcc, 39, v254
	ds_read_b128 v[106:109], v1 offset:1808
	s_waitcnt vmcnt(62) lgkmcnt(4)
	v_mul_f64 v[62:63], v[46:47], v[4:5]
	v_fmac_f64_e32 v[62:63], v[48:49], v[2:3]
	v_add_f64 v[62:63], v[62:63], 0
	s_waitcnt lgkmcnt(2)
	v_mul_f64 v[66:67], v[54:55], v[6:7]
	v_mul_f64 v[4:5], v[48:49], v[4:5]
	v_fma_f64 v[2:3], v[46:47], v[2:3], -v[4:5]
	s_waitcnt vmcnt(58) lgkmcnt(1)
	v_mul_f64 v[68:69], v[58:59], v[12:13]
	v_add_f64 v[2:3], v[2:3], 0
	s_waitcnt vmcnt(56)
	v_mul_f64 v[64:65], v[50:51], v[18:19]
	v_mul_f64 v[4:5], v[52:53], v[18:19]
	s_waitcnt vmcnt(53)
	v_fmac_f64_e32 v[66:67], v[56:57], v[16:17]
	s_waitcnt vmcnt(52)
	v_fmac_f64_e32 v[64:65], v[52:53], v[20:21]
	v_add_f64 v[70:71], v[62:63], v[64:65]
	ds_read_b128 v[62:65], v1 offset:1632
	v_add_f64 v[66:67], v[70:71], v[66:67]
	s_waitcnt vmcnt(50)
	v_fmac_f64_e32 v[68:69], v[60:61], v[14:15]
	v_add_f64 v[70:71], v[66:67], v[68:69]
	ds_read_b128 v[66:69], v1 offset:1648
	s_waitcnt vmcnt(49) lgkmcnt(1)
	v_mul_f64 v[72:73], v[62:63], v[8:9]
	s_waitcnt vmcnt(48)
	v_fmac_f64_e32 v[72:73], v[64:65], v[10:11]
	v_add_f64 v[74:75], v[70:71], v[72:73]
	ds_read_b128 v[70:73], v1 offset:1664
	s_waitcnt vmcnt(44) lgkmcnt(1)
	v_mul_f64 v[76:77], v[66:67], v[26:27]
	;; [unrolled: 6-line block ×3, first 2 shown]
	s_waitcnt vmcnt(40)
	v_fmac_f64_e32 v[80:81], v[72:73], v[24:25]
	v_add_f64 v[82:83], v[78:79], v[80:81]
	ds_read_b128 v[78:81], v1 offset:1696
	v_fma_f64 v[4:5], v[50:51], v[20:21], -v[4:5]
	v_add_f64 v[2:3], v[2:3], v[4:5]
	v_mul_f64 v[4:5], v[56:57], v[6:7]
	s_waitcnt vmcnt(36) lgkmcnt(1)
	v_mul_f64 v[84:85], v[74:75], v[34:35]
	v_fma_f64 v[4:5], v[54:55], v[16:17], -v[4:5]
	s_waitcnt vmcnt(34)
	v_fmac_f64_e32 v[84:85], v[76:77], v[36:37]
	v_add_f64 v[2:3], v[2:3], v[4:5]
	v_mul_f64 v[4:5], v[60:61], v[12:13]
	v_add_f64 v[86:87], v[82:83], v[84:85]
	ds_read_b128 v[82:85], v1 offset:1712
	s_waitcnt vmcnt(33) lgkmcnt(1)
	v_mul_f64 v[88:89], v[78:79], v[30:31]
	v_fma_f64 v[4:5], v[58:59], v[14:15], -v[4:5]
	s_waitcnt vmcnt(32)
	v_fmac_f64_e32 v[88:89], v[80:81], v[32:33]
	v_add_f64 v[2:3], v[2:3], v[4:5]
	v_mul_f64 v[4:5], v[64:65], v[8:9]
	v_add_f64 v[90:91], v[86:87], v[88:89]
	ds_read_b128 v[86:89], v1 offset:1728
	v_fma_f64 v[4:5], v[62:63], v[10:11], -v[4:5]
	v_add_f64 v[2:3], v[2:3], v[4:5]
	v_mul_f64 v[4:5], v[68:69], v[26:27]
	v_fma_f64 v[4:5], v[66:67], v[28:29], -v[4:5]
	s_waitcnt vmcnt(28) lgkmcnt(1)
	v_mul_f64 v[92:93], v[82:83], v[42:43]
	v_add_f64 v[2:3], v[2:3], v[4:5]
	v_mul_f64 v[4:5], v[72:73], v[22:23]
	s_waitcnt vmcnt(26)
	v_fmac_f64_e32 v[92:93], v[84:85], v[44:45]
	v_fma_f64 v[4:5], v[70:71], v[24:25], -v[4:5]
	v_add_f64 v[94:95], v[90:91], v[92:93]
	ds_read_b128 v[90:93], v1 offset:1744
	s_waitcnt vmcnt(25) lgkmcnt(1)
	v_mul_f64 v[96:97], v[86:87], v[38:39]
	v_add_f64 v[2:3], v[2:3], v[4:5]
	v_mul_f64 v[4:5], v[76:77], v[34:35]
	s_waitcnt vmcnt(24)
	v_fmac_f64_e32 v[96:97], v[88:89], v[40:41]
	v_fma_f64 v[4:5], v[74:75], v[36:37], -v[4:5]
	v_add_f64 v[98:99], v[94:95], v[96:97]
	ds_read_b128 v[94:97], v1 offset:1760
	v_add_f64 v[2:3], v[2:3], v[4:5]
	v_mul_f64 v[4:5], v[80:81], v[30:31]
	v_fma_f64 v[4:5], v[78:79], v[32:33], -v[4:5]
	v_add_f64 v[2:3], v[2:3], v[4:5]
	v_mul_f64 v[4:5], v[84:85], v[42:43]
	s_waitcnt vmcnt(20) lgkmcnt(1)
	v_mul_f64 v[100:101], v[90:91], v[114:115]
	v_fma_f64 v[4:5], v[82:83], v[44:45], -v[4:5]
	s_waitcnt vmcnt(18)
	v_fmac_f64_e32 v[100:101], v[92:93], v[116:117]
	v_add_f64 v[2:3], v[2:3], v[4:5]
	v_mul_f64 v[4:5], v[88:89], v[38:39]
	v_add_f64 v[102:103], v[98:99], v[100:101]
	ds_read_b128 v[98:101], v1 offset:1776
	s_waitcnt vmcnt(17) lgkmcnt(1)
	v_mul_f64 v[104:105], v[94:95], v[110:111]
	v_fma_f64 v[4:5], v[86:87], v[40:41], -v[4:5]
	s_waitcnt vmcnt(16)
	v_fmac_f64_e32 v[104:105], v[96:97], v[112:113]
	v_add_f64 v[2:3], v[2:3], v[4:5]
	v_mul_f64 v[4:5], v[92:93], v[114:115]
	v_add_f64 v[134:135], v[102:103], v[104:105]
	ds_read_b128 v[102:105], v1 offset:1792
	v_fma_f64 v[4:5], v[90:91], v[116:117], -v[4:5]
	v_add_f64 v[2:3], v[2:3], v[4:5]
	v_mul_f64 v[4:5], v[96:97], v[110:111]
	v_fma_f64 v[4:5], v[94:95], v[112:113], -v[4:5]
	v_add_f64 v[2:3], v[2:3], v[4:5]
	s_waitcnt vmcnt(12) lgkmcnt(1)
	v_mul_f64 v[4:5], v[100:101], v[122:123]
	v_mul_f64 v[136:137], v[98:99], v[122:123]
	s_waitcnt vmcnt(10)
	v_fma_f64 v[4:5], v[98:99], v[124:125], -v[4:5]
	v_fmac_f64_e32 v[136:137], v[100:101], v[124:125]
	v_add_f64 v[2:3], v[2:3], v[4:5]
	s_waitcnt vmcnt(9) lgkmcnt(0)
	v_mul_f64 v[4:5], v[104:105], v[118:119]
	v_add_f64 v[134:135], v[134:135], v[136:137]
	v_mul_f64 v[136:137], v[102:103], v[118:119]
	s_waitcnt vmcnt(8)
	v_fma_f64 v[4:5], v[102:103], v[120:121], -v[4:5]
	v_fmac_f64_e32 v[136:137], v[104:105], v[120:121]
	v_add_f64 v[2:3], v[2:3], v[4:5]
	s_waitcnt vmcnt(6)
	v_mul_f64 v[4:5], v[108:109], v[126:127]
	v_add_f64 v[134:135], v[134:135], v[136:137]
	v_mul_f64 v[136:137], v[106:107], v[126:127]
	s_waitcnt vmcnt(4)
	v_fma_f64 v[4:5], v[106:107], v[128:129], -v[4:5]
	v_fmac_f64_e32 v[136:137], v[108:109], v[128:129]
	v_add_f64 v[2:3], v[2:3], v[4:5]
	v_add_f64 v[134:135], v[134:135], v[136:137]
	s_waitcnt vmcnt(2)
	v_add_f64 v[2:3], v[130:131], -v[2:3]
	s_waitcnt vmcnt(0)
	v_add_f64 v[4:5], v[132:133], -v[134:135]
	buffer_store_dword v3, off, s[0:3], 0 offset:660
	buffer_store_dword v2, off, s[0:3], 0 offset:656
	;; [unrolled: 1-line block ×4, first 2 shown]
	s_and_saveexec_b64 s[4:5], vcc
	s_cbranch_execz .LBB56_277
; %bb.276:
	v_accvgpr_read_b32 v0, a131
	buffer_load_dword v2, v0, s[0:3], 0 offen
	buffer_load_dword v3, v0, s[0:3], 0 offen offset:4
	buffer_load_dword v4, v0, s[0:3], 0 offen offset:8
	;; [unrolled: 1-line block ×3, first 2 shown]
	v_mov_b32_e32 v0, 0
	v_accvgpr_read_b32 v1, a171
	buffer_store_dword v0, off, s[0:3], 0 offset:640
	buffer_store_dword v0, off, s[0:3], 0 offset:644
	;; [unrolled: 1-line block ×4, first 2 shown]
	s_waitcnt vmcnt(4)
	ds_write_b128 v1, v[2:5]
.LBB56_277:
	s_or_b64 exec, exec, s[4:5]
	s_waitcnt lgkmcnt(0)
	; wave barrier
	s_waitcnt lgkmcnt(0)
	buffer_load_dword v2, off, s[0:3], 0 offset:656
	buffer_load_dword v3, off, s[0:3], 0 offset:660
	;; [unrolled: 1-line block ×68, first 2 shown]
	v_mov_b32_e32 v1, 0
	buffer_load_dword v138, off, s[0:3], 0 offset:640
	buffer_load_dword v139, off, s[0:3], 0 offset:644
	;; [unrolled: 1-line block ×3, first 2 shown]
	ds_read_b128 v[46:49], v1 offset:1552
	ds_read_b128 v[50:53], v1 offset:1568
	buffer_load_dword v141, off, s[0:3], 0 offset:652
	ds_read_b128 v[54:57], v1 offset:1584
	ds_read_b128 v[58:61], v1 offset:1600
	;; [unrolled: 1-line block ×3, first 2 shown]
	v_cmp_lt_u32_e32 vcc, 38, v254
	s_waitcnt vmcnt(62) lgkmcnt(4)
	v_mul_f64 v[62:63], v[46:47], v[6:7]
	v_fmac_f64_e32 v[62:63], v[48:49], v[2:3]
	v_add_f64 v[62:63], v[62:63], 0
	v_mul_f64 v[6:7], v[48:49], v[6:7]
	s_waitcnt lgkmcnt(3)
	v_mul_f64 v[64:65], v[50:51], v[10:11]
	v_fmac_f64_e32 v[64:65], v[52:53], v[4:5]
	v_add_f64 v[62:63], v[62:63], v[64:65]
	v_fma_f64 v[2:3], v[46:47], v[2:3], -v[6:7]
	s_waitcnt vmcnt(60) lgkmcnt(2)
	v_mul_f64 v[64:65], v[54:55], v[12:13]
	v_fmac_f64_e32 v[64:65], v[56:57], v[8:9]
	v_add_f64 v[66:67], v[62:63], v[64:65]
	ds_read_b128 v[62:65], v1 offset:1616
	s_waitcnt vmcnt(56) lgkmcnt(2)
	v_mul_f64 v[68:69], v[58:59], v[18:19]
	v_mul_f64 v[6:7], v[52:53], v[10:11]
	s_waitcnt vmcnt(54)
	v_fmac_f64_e32 v[68:69], v[60:61], v[20:21]
	v_add_f64 v[70:71], v[66:67], v[68:69]
	ds_read_b128 v[66:69], v1 offset:1632
	s_waitcnt vmcnt(53) lgkmcnt(1)
	v_mul_f64 v[72:73], v[62:63], v[14:15]
	s_waitcnt vmcnt(52)
	v_fmac_f64_e32 v[72:73], v[64:65], v[16:17]
	v_add_f64 v[74:75], v[70:71], v[72:73]
	ds_read_b128 v[70:73], v1 offset:1648
	s_waitcnt vmcnt(48) lgkmcnt(1)
	;; [unrolled: 6-line block ×4, first 2 shown]
	v_mul_f64 v[84:85], v[74:75], v[34:35]
	s_waitcnt vmcnt(38)
	v_fmac_f64_e32 v[84:85], v[76:77], v[36:37]
	v_add_f64 v[2:3], v[2:3], 0
	v_fma_f64 v[4:5], v[50:51], v[4:5], -v[6:7]
	v_add_f64 v[86:87], v[82:83], v[84:85]
	ds_read_b128 v[82:85], v1 offset:1696
	v_add_f64 v[2:3], v[2:3], v[4:5]
	v_mul_f64 v[4:5], v[56:57], v[12:13]
	v_fma_f64 v[4:5], v[54:55], v[8:9], -v[4:5]
	v_add_f64 v[2:3], v[2:3], v[4:5]
	v_mul_f64 v[4:5], v[60:61], v[18:19]
	s_waitcnt vmcnt(37) lgkmcnt(1)
	v_mul_f64 v[88:89], v[78:79], v[30:31]
	v_fma_f64 v[4:5], v[58:59], v[20:21], -v[4:5]
	s_waitcnt vmcnt(36)
	v_fmac_f64_e32 v[88:89], v[80:81], v[32:33]
	v_add_f64 v[2:3], v[2:3], v[4:5]
	v_mul_f64 v[4:5], v[64:65], v[14:15]
	v_add_f64 v[90:91], v[86:87], v[88:89]
	ds_read_b128 v[86:89], v1 offset:1712
	s_waitcnt vmcnt(32) lgkmcnt(1)
	v_mul_f64 v[92:93], v[82:83], v[42:43]
	v_fma_f64 v[4:5], v[62:63], v[16:17], -v[4:5]
	s_waitcnt vmcnt(30)
	v_fmac_f64_e32 v[92:93], v[84:85], v[44:45]
	v_add_f64 v[2:3], v[2:3], v[4:5]
	v_mul_f64 v[4:5], v[68:69], v[26:27]
	v_add_f64 v[94:95], v[90:91], v[92:93]
	ds_read_b128 v[90:93], v1 offset:1728
	v_fma_f64 v[4:5], v[66:67], v[28:29], -v[4:5]
	v_add_f64 v[2:3], v[2:3], v[4:5]
	v_mul_f64 v[4:5], v[72:73], v[22:23]
	v_fma_f64 v[4:5], v[70:71], v[24:25], -v[4:5]
	s_waitcnt vmcnt(29) lgkmcnt(1)
	v_mul_f64 v[96:97], v[86:87], v[38:39]
	v_add_f64 v[2:3], v[2:3], v[4:5]
	v_mul_f64 v[4:5], v[76:77], v[34:35]
	s_waitcnt vmcnt(28)
	v_fmac_f64_e32 v[96:97], v[88:89], v[40:41]
	v_fma_f64 v[4:5], v[74:75], v[36:37], -v[4:5]
	v_add_f64 v[98:99], v[94:95], v[96:97]
	ds_read_b128 v[94:97], v1 offset:1744
	s_waitcnt vmcnt(24) lgkmcnt(1)
	v_mul_f64 v[100:101], v[90:91], v[118:119]
	v_add_f64 v[2:3], v[2:3], v[4:5]
	v_mul_f64 v[4:5], v[80:81], v[30:31]
	s_waitcnt vmcnt(22)
	v_fmac_f64_e32 v[100:101], v[92:93], v[120:121]
	v_fma_f64 v[4:5], v[78:79], v[32:33], -v[4:5]
	v_add_f64 v[102:103], v[98:99], v[100:101]
	ds_read_b128 v[98:101], v1 offset:1760
	v_add_f64 v[2:3], v[2:3], v[4:5]
	v_mul_f64 v[4:5], v[84:85], v[42:43]
	v_fma_f64 v[4:5], v[82:83], v[44:45], -v[4:5]
	v_add_f64 v[2:3], v[2:3], v[4:5]
	v_mul_f64 v[4:5], v[88:89], v[38:39]
	s_waitcnt vmcnt(21) lgkmcnt(1)
	v_mul_f64 v[104:105], v[94:95], v[114:115]
	v_fma_f64 v[4:5], v[86:87], v[40:41], -v[4:5]
	s_waitcnt vmcnt(20)
	v_fmac_f64_e32 v[104:105], v[96:97], v[116:117]
	v_add_f64 v[2:3], v[2:3], v[4:5]
	v_mul_f64 v[4:5], v[92:93], v[118:119]
	v_add_f64 v[106:107], v[102:103], v[104:105]
	ds_read_b128 v[102:105], v1 offset:1776
	s_waitcnt vmcnt(16) lgkmcnt(1)
	v_mul_f64 v[108:109], v[98:99], v[126:127]
	v_fma_f64 v[4:5], v[90:91], v[120:121], -v[4:5]
	s_waitcnt vmcnt(14)
	v_fmac_f64_e32 v[108:109], v[100:101], v[128:129]
	v_add_f64 v[2:3], v[2:3], v[4:5]
	v_mul_f64 v[4:5], v[96:97], v[114:115]
	v_add_f64 v[142:143], v[106:107], v[108:109]
	ds_read_b128 v[106:109], v1 offset:1792
	v_fma_f64 v[4:5], v[94:95], v[116:117], -v[4:5]
	v_add_f64 v[2:3], v[2:3], v[4:5]
	v_mul_f64 v[4:5], v[100:101], v[126:127]
	v_fma_f64 v[4:5], v[98:99], v[128:129], -v[4:5]
	v_add_f64 v[2:3], v[2:3], v[4:5]
	s_waitcnt vmcnt(13) lgkmcnt(1)
	v_mul_f64 v[4:5], v[104:105], v[122:123]
	v_mul_f64 v[144:145], v[102:103], v[122:123]
	s_waitcnt vmcnt(12)
	v_fma_f64 v[4:5], v[102:103], v[124:125], -v[4:5]
	v_fmac_f64_e32 v[144:145], v[104:105], v[124:125]
	v_add_f64 v[2:3], v[2:3], v[4:5]
	s_waitcnt vmcnt(8) lgkmcnt(0)
	v_mul_f64 v[4:5], v[108:109], v[134:135]
	v_add_f64 v[142:143], v[142:143], v[144:145]
	v_mul_f64 v[144:145], v[106:107], v[134:135]
	s_waitcnt vmcnt(6)
	v_fma_f64 v[4:5], v[106:107], v[136:137], -v[4:5]
	v_fmac_f64_e32 v[144:145], v[108:109], v[136:137]
	v_add_f64 v[2:3], v[2:3], v[4:5]
	s_waitcnt vmcnt(5)
	v_mul_f64 v[4:5], v[112:113], v[130:131]
	v_add_f64 v[142:143], v[142:143], v[144:145]
	v_mul_f64 v[144:145], v[110:111], v[130:131]
	s_waitcnt vmcnt(4)
	v_fma_f64 v[4:5], v[110:111], v[132:133], -v[4:5]
	v_fmac_f64_e32 v[144:145], v[112:113], v[132:133]
	v_add_f64 v[2:3], v[2:3], v[4:5]
	v_add_f64 v[142:143], v[142:143], v[144:145]
	s_waitcnt vmcnt(2)
	v_add_f64 v[2:3], v[138:139], -v[2:3]
	s_waitcnt vmcnt(0)
	v_add_f64 v[4:5], v[140:141], -v[142:143]
	buffer_store_dword v3, off, s[0:3], 0 offset:644
	buffer_store_dword v2, off, s[0:3], 0 offset:640
	;; [unrolled: 1-line block ×4, first 2 shown]
	s_and_saveexec_b64 s[4:5], vcc
	s_cbranch_execz .LBB56_279
; %bb.278:
	v_accvgpr_read_b32 v0, a132
	buffer_load_dword v2, v0, s[0:3], 0 offen
	buffer_load_dword v3, v0, s[0:3], 0 offen offset:4
	buffer_load_dword v4, v0, s[0:3], 0 offen offset:8
	buffer_load_dword v5, v0, s[0:3], 0 offen offset:12
	v_accvgpr_read_b32 v0, a171
	buffer_store_dword v1, off, s[0:3], 0 offset:624
	buffer_store_dword v1, off, s[0:3], 0 offset:628
	;; [unrolled: 1-line block ×4, first 2 shown]
	s_waitcnt vmcnt(4)
	ds_write_b128 v0, v[2:5]
.LBB56_279:
	s_or_b64 exec, exec, s[4:5]
	s_waitcnt lgkmcnt(0)
	; wave barrier
	s_waitcnt lgkmcnt(0)
	buffer_load_dword v2, off, s[0:3], 0 offset:640
	buffer_load_dword v3, off, s[0:3], 0 offset:644
	;; [unrolled: 1-line block ×72, first 2 shown]
	ds_read_b128 v[52:55], v1 offset:1536
	buffer_load_dword v146, off, s[0:3], 0 offset:624
	buffer_load_dword v147, off, s[0:3], 0 offset:628
	;; [unrolled: 1-line block ×4, first 2 shown]
	ds_read_b128 v[56:59], v1 offset:1552
	ds_read_b128 v[60:63], v1 offset:1568
	;; [unrolled: 1-line block ×3, first 2 shown]
	v_cmp_lt_u32_e32 vcc, 37, v254
	ds_read_b128 v[124:127], v1 offset:1808
	s_waitcnt vmcnt(62) lgkmcnt(4)
	v_mul_f64 v[68:69], v[52:53], v[8:9]
	v_fmac_f64_e32 v[68:69], v[54:55], v[2:3]
	v_add_f64 v[68:69], v[68:69], 0
	v_mul_f64 v[8:9], v[54:55], v[8:9]
	s_waitcnt lgkmcnt(3)
	v_mul_f64 v[70:71], v[56:57], v[10:11]
	v_fmac_f64_e32 v[70:71], v[58:59], v[4:5]
	v_add_f64 v[68:69], v[68:69], v[70:71]
	v_fma_f64 v[2:3], v[52:53], v[2:3], -v[8:9]
	s_waitcnt lgkmcnt(2)
	v_mul_f64 v[70:71], v[60:61], v[12:13]
	v_fmac_f64_e32 v[70:71], v[62:63], v[6:7]
	v_add_f64 v[72:73], v[68:69], v[70:71]
	ds_read_b128 v[68:71], v1 offset:1600
	s_waitcnt vmcnt(60) lgkmcnt(2)
	v_mul_f64 v[74:75], v[64:65], v[18:19]
	v_mul_f64 v[8:9], v[58:59], v[10:11]
	s_waitcnt vmcnt(58)
	v_fmac_f64_e32 v[74:75], v[66:67], v[20:21]
	v_add_f64 v[76:77], v[72:73], v[74:75]
	ds_read_b128 v[72:75], v1 offset:1616
	s_waitcnt vmcnt(57) lgkmcnt(1)
	v_mul_f64 v[78:79], v[68:69], v[14:15]
	s_waitcnt vmcnt(56)
	v_fmac_f64_e32 v[78:79], v[70:71], v[16:17]
	v_add_f64 v[80:81], v[76:77], v[78:79]
	ds_read_b128 v[76:79], v1 offset:1632
	s_waitcnt vmcnt(52) lgkmcnt(1)
	;; [unrolled: 6-line block ×4, first 2 shown]
	v_mul_f64 v[90:91], v[80:81], v[34:35]
	s_waitcnt vmcnt(42)
	v_fmac_f64_e32 v[90:91], v[82:83], v[36:37]
	v_add_f64 v[2:3], v[2:3], 0
	v_fma_f64 v[4:5], v[56:57], v[4:5], -v[8:9]
	v_add_f64 v[92:93], v[88:89], v[90:91]
	ds_read_b128 v[88:91], v1 offset:1680
	s_waitcnt vmcnt(41) lgkmcnt(1)
	v_mul_f64 v[94:95], v[84:85], v[30:31]
	v_add_f64 v[2:3], v[2:3], v[4:5]
	v_mul_f64 v[4:5], v[62:63], v[12:13]
	s_waitcnt vmcnt(40)
	v_fmac_f64_e32 v[94:95], v[86:87], v[32:33]
	v_fma_f64 v[4:5], v[60:61], v[6:7], -v[4:5]
	v_add_f64 v[96:97], v[92:93], v[94:95]
	ds_read_b128 v[92:95], v1 offset:1696
	v_add_f64 v[2:3], v[2:3], v[4:5]
	v_mul_f64 v[4:5], v[66:67], v[18:19]
	v_fma_f64 v[4:5], v[64:65], v[20:21], -v[4:5]
	v_add_f64 v[2:3], v[2:3], v[4:5]
	v_mul_f64 v[4:5], v[70:71], v[14:15]
	s_waitcnt vmcnt(36) lgkmcnt(1)
	v_mul_f64 v[98:99], v[88:89], v[42:43]
	v_fma_f64 v[4:5], v[68:69], v[16:17], -v[4:5]
	s_waitcnt vmcnt(34)
	v_fmac_f64_e32 v[98:99], v[90:91], v[44:45]
	v_add_f64 v[2:3], v[2:3], v[4:5]
	v_mul_f64 v[4:5], v[74:75], v[26:27]
	v_add_f64 v[100:101], v[96:97], v[98:99]
	ds_read_b128 v[96:99], v1 offset:1712
	s_waitcnt vmcnt(33) lgkmcnt(1)
	v_mul_f64 v[102:103], v[92:93], v[38:39]
	v_fma_f64 v[4:5], v[72:73], v[28:29], -v[4:5]
	s_waitcnt vmcnt(32)
	v_fmac_f64_e32 v[102:103], v[94:95], v[40:41]
	v_add_f64 v[2:3], v[2:3], v[4:5]
	v_mul_f64 v[4:5], v[78:79], v[22:23]
	v_add_f64 v[104:105], v[100:101], v[102:103]
	ds_read_b128 v[100:103], v1 offset:1728
	v_fma_f64 v[4:5], v[76:77], v[24:25], -v[4:5]
	v_add_f64 v[2:3], v[2:3], v[4:5]
	v_mul_f64 v[4:5], v[82:83], v[34:35]
	v_fma_f64 v[4:5], v[80:81], v[36:37], -v[4:5]
	s_waitcnt vmcnt(28) lgkmcnt(1)
	v_mul_f64 v[106:107], v[96:97], v[50:51]
	v_add_f64 v[2:3], v[2:3], v[4:5]
	v_mul_f64 v[4:5], v[86:87], v[30:31]
	s_waitcnt vmcnt(26)
	v_fmac_f64_e32 v[106:107], v[98:99], v[116:117]
	v_fma_f64 v[4:5], v[84:85], v[32:33], -v[4:5]
	v_add_f64 v[108:109], v[104:105], v[106:107]
	ds_read_b128 v[104:107], v1 offset:1744
	s_waitcnt vmcnt(25) lgkmcnt(1)
	v_mul_f64 v[110:111], v[100:101], v[46:47]
	v_add_f64 v[2:3], v[2:3], v[4:5]
	v_mul_f64 v[4:5], v[90:91], v[42:43]
	s_waitcnt vmcnt(24)
	v_fmac_f64_e32 v[110:111], v[102:103], v[48:49]
	v_fma_f64 v[4:5], v[88:89], v[44:45], -v[4:5]
	v_add_f64 v[112:113], v[108:109], v[110:111]
	ds_read_b128 v[108:111], v1 offset:1760
	v_add_f64 v[2:3], v[2:3], v[4:5]
	v_mul_f64 v[4:5], v[94:95], v[38:39]
	v_fma_f64 v[4:5], v[92:93], v[40:41], -v[4:5]
	v_add_f64 v[2:3], v[2:3], v[4:5]
	v_mul_f64 v[4:5], v[98:99], v[50:51]
	s_waitcnt vmcnt(20) lgkmcnt(1)
	v_mul_f64 v[114:115], v[104:105], v[130:131]
	v_fma_f64 v[4:5], v[96:97], v[116:117], -v[4:5]
	s_waitcnt vmcnt(18)
	v_fmac_f64_e32 v[114:115], v[106:107], v[132:133]
	v_add_f64 v[2:3], v[2:3], v[4:5]
	v_mul_f64 v[4:5], v[102:103], v[46:47]
	v_add_f64 v[120:121], v[112:113], v[114:115]
	ds_read_b128 v[112:115], v1 offset:1776
	s_waitcnt vmcnt(17) lgkmcnt(1)
	v_mul_f64 v[122:123], v[108:109], v[118:119]
	v_fma_f64 v[4:5], v[100:101], v[48:49], -v[4:5]
	s_waitcnt vmcnt(16)
	v_fmac_f64_e32 v[122:123], v[110:111], v[128:129]
	v_add_f64 v[2:3], v[2:3], v[4:5]
	v_mul_f64 v[4:5], v[106:107], v[130:131]
	v_add_f64 v[150:151], v[120:121], v[122:123]
	ds_read_b128 v[120:123], v1 offset:1792
	v_fma_f64 v[4:5], v[104:105], v[132:133], -v[4:5]
	v_add_f64 v[2:3], v[2:3], v[4:5]
	v_mul_f64 v[4:5], v[110:111], v[118:119]
	v_fma_f64 v[4:5], v[108:109], v[128:129], -v[4:5]
	v_add_f64 v[2:3], v[2:3], v[4:5]
	s_waitcnt vmcnt(12) lgkmcnt(1)
	v_mul_f64 v[4:5], v[114:115], v[138:139]
	v_mul_f64 v[152:153], v[112:113], v[138:139]
	s_waitcnt vmcnt(10)
	v_fma_f64 v[4:5], v[112:113], v[140:141], -v[4:5]
	v_fmac_f64_e32 v[152:153], v[114:115], v[140:141]
	v_add_f64 v[2:3], v[2:3], v[4:5]
	s_waitcnt vmcnt(9) lgkmcnt(0)
	v_mul_f64 v[4:5], v[122:123], v[134:135]
	v_add_f64 v[150:151], v[150:151], v[152:153]
	v_mul_f64 v[152:153], v[120:121], v[134:135]
	s_waitcnt vmcnt(8)
	v_fma_f64 v[4:5], v[120:121], v[136:137], -v[4:5]
	v_fmac_f64_e32 v[152:153], v[122:123], v[136:137]
	v_add_f64 v[2:3], v[2:3], v[4:5]
	s_waitcnt vmcnt(6)
	v_mul_f64 v[4:5], v[126:127], v[142:143]
	v_add_f64 v[150:151], v[150:151], v[152:153]
	v_mul_f64 v[152:153], v[124:125], v[142:143]
	s_waitcnt vmcnt(4)
	v_fma_f64 v[4:5], v[124:125], v[144:145], -v[4:5]
	v_fmac_f64_e32 v[152:153], v[126:127], v[144:145]
	v_add_f64 v[2:3], v[2:3], v[4:5]
	v_add_f64 v[150:151], v[150:151], v[152:153]
	s_waitcnt vmcnt(2)
	v_add_f64 v[2:3], v[146:147], -v[2:3]
	s_waitcnt vmcnt(0)
	v_add_f64 v[4:5], v[148:149], -v[150:151]
	buffer_store_dword v3, off, s[0:3], 0 offset:628
	buffer_store_dword v2, off, s[0:3], 0 offset:624
	;; [unrolled: 1-line block ×4, first 2 shown]
	s_and_saveexec_b64 s[4:5], vcc
	s_cbranch_execz .LBB56_281
; %bb.280:
	v_accvgpr_read_b32 v0, a133
	buffer_load_dword v2, v0, s[0:3], 0 offen
	buffer_load_dword v3, v0, s[0:3], 0 offen offset:4
	buffer_load_dword v4, v0, s[0:3], 0 offen offset:8
	;; [unrolled: 1-line block ×3, first 2 shown]
	v_mov_b32_e32 v0, 0
	v_accvgpr_read_b32 v1, a171
	buffer_store_dword v0, off, s[0:3], 0 offset:608
	buffer_store_dword v0, off, s[0:3], 0 offset:612
	;; [unrolled: 1-line block ×4, first 2 shown]
	s_waitcnt vmcnt(4)
	ds_write_b128 v1, v[2:5]
.LBB56_281:
	s_or_b64 exec, exec, s[4:5]
	s_waitcnt lgkmcnt(0)
	; wave barrier
	s_waitcnt lgkmcnt(0)
	buffer_load_dword v2, off, s[0:3], 0 offset:624
	buffer_load_dword v3, off, s[0:3], 0 offset:628
	;; [unrolled: 1-line block ×76, first 2 shown]
	v_mov_b32_e32 v1, 0
	ds_read_b128 v[54:57], v1 offset:1520
	buffer_load_dword v154, off, s[0:3], 0 offset:608
	buffer_load_dword v155, off, s[0:3], 0 offset:612
	;; [unrolled: 1-line block ×4, first 2 shown]
	ds_read_b128 v[58:61], v1 offset:1536
	ds_read_b128 v[62:65], v1 offset:1552
	;; [unrolled: 1-line block ×4, first 2 shown]
	v_cmp_lt_u32_e32 vcc, 36, v254
	s_waitcnt vmcnt(62) lgkmcnt(4)
	v_mul_f64 v[70:71], v[54:55], v[8:9]
	v_fmac_f64_e32 v[70:71], v[56:57], v[2:3]
	v_add_f64 v[70:71], v[70:71], 0
	v_mul_f64 v[8:9], v[56:57], v[8:9]
	s_waitcnt lgkmcnt(3)
	v_mul_f64 v[72:73], v[58:59], v[10:11]
	v_fmac_f64_e32 v[72:73], v[60:61], v[4:5]
	v_add_f64 v[70:71], v[70:71], v[72:73]
	v_fma_f64 v[2:3], v[54:55], v[2:3], -v[8:9]
	s_waitcnt lgkmcnt(2)
	v_mul_f64 v[72:73], v[62:63], v[12:13]
	v_fmac_f64_e32 v[72:73], v[64:65], v[6:7]
	v_add_f64 v[74:75], v[70:71], v[72:73]
	ds_read_b128 v[70:73], v1 offset:1584
	s_waitcnt lgkmcnt(2)
	v_mul_f64 v[76:77], v[66:67], v[18:19]
	v_mul_f64 v[8:9], v[60:61], v[10:11]
	v_fmac_f64_e32 v[76:77], v[68:69], v[20:21]
	v_add_f64 v[78:79], v[74:75], v[76:77]
	ds_read_b128 v[74:77], v1 offset:1600
	s_waitcnt vmcnt(61) lgkmcnt(1)
	v_mul_f64 v[80:81], v[70:71], v[14:15]
	s_waitcnt vmcnt(60)
	v_fmac_f64_e32 v[80:81], v[72:73], v[16:17]
	v_add_f64 v[82:83], v[78:79], v[80:81]
	ds_read_b128 v[78:81], v1 offset:1616
	s_waitcnt vmcnt(56) lgkmcnt(1)
	v_mul_f64 v[84:85], v[74:75], v[26:27]
	s_waitcnt vmcnt(54)
	;; [unrolled: 6-line block ×4, first 2 shown]
	v_fmac_f64_e32 v[92:93], v[84:85], v[36:37]
	v_add_f64 v[94:95], v[90:91], v[92:93]
	ds_read_b128 v[90:93], v1 offset:1664
	v_add_f64 v[2:3], v[2:3], 0
	v_fma_f64 v[4:5], v[58:59], v[4:5], -v[8:9]
	s_waitcnt vmcnt(45) lgkmcnt(1)
	v_mul_f64 v[96:97], v[86:87], v[30:31]
	v_add_f64 v[2:3], v[2:3], v[4:5]
	v_mul_f64 v[4:5], v[64:65], v[12:13]
	s_waitcnt vmcnt(44)
	v_fmac_f64_e32 v[96:97], v[88:89], v[32:33]
	v_fma_f64 v[4:5], v[62:63], v[6:7], -v[4:5]
	v_add_f64 v[98:99], v[94:95], v[96:97]
	ds_read_b128 v[94:97], v1 offset:1680
	s_waitcnt vmcnt(40) lgkmcnt(1)
	v_mul_f64 v[100:101], v[90:91], v[42:43]
	v_add_f64 v[2:3], v[2:3], v[4:5]
	v_mul_f64 v[4:5], v[68:69], v[18:19]
	s_waitcnt vmcnt(38)
	v_fmac_f64_e32 v[100:101], v[92:93], v[44:45]
	v_fma_f64 v[4:5], v[66:67], v[20:21], -v[4:5]
	v_add_f64 v[102:103], v[98:99], v[100:101]
	ds_read_b128 v[98:101], v1 offset:1696
	v_add_f64 v[2:3], v[2:3], v[4:5]
	v_mul_f64 v[4:5], v[72:73], v[14:15]
	v_fma_f64 v[4:5], v[70:71], v[16:17], -v[4:5]
	v_add_f64 v[2:3], v[2:3], v[4:5]
	v_mul_f64 v[4:5], v[76:77], v[26:27]
	s_waitcnt vmcnt(37) lgkmcnt(1)
	v_mul_f64 v[104:105], v[94:95], v[38:39]
	v_fma_f64 v[4:5], v[74:75], v[28:29], -v[4:5]
	s_waitcnt vmcnt(36)
	v_fmac_f64_e32 v[104:105], v[96:97], v[40:41]
	v_add_f64 v[2:3], v[2:3], v[4:5]
	v_mul_f64 v[4:5], v[80:81], v[22:23]
	v_add_f64 v[106:107], v[102:103], v[104:105]
	ds_read_b128 v[102:105], v1 offset:1712
	s_waitcnt vmcnt(32) lgkmcnt(1)
	v_mul_f64 v[108:109], v[98:99], v[50:51]
	v_fma_f64 v[4:5], v[78:79], v[24:25], -v[4:5]
	s_waitcnt vmcnt(30)
	v_fmac_f64_e32 v[108:109], v[100:101], v[52:53]
	v_add_f64 v[2:3], v[2:3], v[4:5]
	v_mul_f64 v[4:5], v[84:85], v[34:35]
	v_add_f64 v[110:111], v[106:107], v[108:109]
	ds_read_b128 v[106:109], v1 offset:1728
	v_fma_f64 v[4:5], v[82:83], v[36:37], -v[4:5]
	v_add_f64 v[2:3], v[2:3], v[4:5]
	v_mul_f64 v[4:5], v[88:89], v[30:31]
	v_fma_f64 v[4:5], v[86:87], v[32:33], -v[4:5]
	s_waitcnt vmcnt(29) lgkmcnt(1)
	v_mul_f64 v[112:113], v[102:103], v[46:47]
	v_add_f64 v[2:3], v[2:3], v[4:5]
	v_mul_f64 v[4:5], v[92:93], v[42:43]
	s_waitcnt vmcnt(28)
	v_fmac_f64_e32 v[112:113], v[104:105], v[48:49]
	v_fma_f64 v[4:5], v[90:91], v[44:45], -v[4:5]
	v_add_f64 v[114:115], v[110:111], v[112:113]
	ds_read_b128 v[110:113], v1 offset:1744
	s_waitcnt vmcnt(24) lgkmcnt(1)
	v_mul_f64 v[116:117], v[106:107], v[134:135]
	v_add_f64 v[2:3], v[2:3], v[4:5]
	v_mul_f64 v[4:5], v[96:97], v[38:39]
	s_waitcnt vmcnt(22)
	v_fmac_f64_e32 v[116:117], v[108:109], v[136:137]
	v_fma_f64 v[4:5], v[94:95], v[40:41], -v[4:5]
	v_add_f64 v[120:121], v[114:115], v[116:117]
	ds_read_b128 v[114:117], v1 offset:1760
	v_add_f64 v[2:3], v[2:3], v[4:5]
	v_mul_f64 v[4:5], v[100:101], v[50:51]
	v_fma_f64 v[4:5], v[98:99], v[52:53], -v[4:5]
	v_add_f64 v[2:3], v[2:3], v[4:5]
	v_mul_f64 v[4:5], v[104:105], v[46:47]
	s_waitcnt vmcnt(21) lgkmcnt(1)
	v_mul_f64 v[122:123], v[110:111], v[118:119]
	v_fma_f64 v[4:5], v[102:103], v[48:49], -v[4:5]
	s_waitcnt vmcnt(20)
	v_fmac_f64_e32 v[122:123], v[112:113], v[132:133]
	v_add_f64 v[2:3], v[2:3], v[4:5]
	v_mul_f64 v[4:5], v[108:109], v[134:135]
	v_add_f64 v[124:125], v[120:121], v[122:123]
	ds_read_b128 v[120:123], v1 offset:1776
	s_waitcnt vmcnt(16) lgkmcnt(1)
	v_mul_f64 v[126:127], v[114:115], v[142:143]
	v_fma_f64 v[4:5], v[106:107], v[136:137], -v[4:5]
	s_waitcnt vmcnt(14)
	v_fmac_f64_e32 v[126:127], v[116:117], v[144:145]
	v_add_f64 v[2:3], v[2:3], v[4:5]
	v_mul_f64 v[4:5], v[112:113], v[118:119]
	v_add_f64 v[158:159], v[124:125], v[126:127]
	ds_read_b128 v[124:127], v1 offset:1792
	v_fma_f64 v[4:5], v[110:111], v[132:133], -v[4:5]
	v_add_f64 v[2:3], v[2:3], v[4:5]
	v_mul_f64 v[4:5], v[116:117], v[142:143]
	v_fma_f64 v[4:5], v[114:115], v[144:145], -v[4:5]
	v_add_f64 v[2:3], v[2:3], v[4:5]
	s_waitcnt vmcnt(13) lgkmcnt(1)
	v_mul_f64 v[4:5], v[122:123], v[138:139]
	v_mul_f64 v[160:161], v[120:121], v[138:139]
	s_waitcnt vmcnt(12)
	v_fma_f64 v[4:5], v[120:121], v[140:141], -v[4:5]
	v_fmac_f64_e32 v[160:161], v[122:123], v[140:141]
	v_add_f64 v[2:3], v[2:3], v[4:5]
	s_waitcnt vmcnt(8) lgkmcnt(0)
	v_mul_f64 v[4:5], v[126:127], v[150:151]
	v_add_f64 v[158:159], v[158:159], v[160:161]
	v_mul_f64 v[160:161], v[124:125], v[150:151]
	s_waitcnt vmcnt(6)
	v_fma_f64 v[4:5], v[124:125], v[152:153], -v[4:5]
	v_fmac_f64_e32 v[160:161], v[126:127], v[152:153]
	v_add_f64 v[2:3], v[2:3], v[4:5]
	s_waitcnt vmcnt(5)
	v_mul_f64 v[4:5], v[130:131], v[146:147]
	v_add_f64 v[158:159], v[158:159], v[160:161]
	v_mul_f64 v[160:161], v[128:129], v[146:147]
	s_waitcnt vmcnt(4)
	v_fma_f64 v[4:5], v[128:129], v[148:149], -v[4:5]
	v_fmac_f64_e32 v[160:161], v[130:131], v[148:149]
	v_add_f64 v[2:3], v[2:3], v[4:5]
	v_add_f64 v[158:159], v[158:159], v[160:161]
	s_waitcnt vmcnt(2)
	v_add_f64 v[2:3], v[154:155], -v[2:3]
	s_waitcnt vmcnt(0)
	v_add_f64 v[4:5], v[156:157], -v[158:159]
	buffer_store_dword v3, off, s[0:3], 0 offset:612
	buffer_store_dword v2, off, s[0:3], 0 offset:608
	;; [unrolled: 1-line block ×4, first 2 shown]
	s_and_saveexec_b64 s[4:5], vcc
	s_cbranch_execz .LBB56_283
; %bb.282:
	v_accvgpr_read_b32 v0, a134
	buffer_load_dword v2, v0, s[0:3], 0 offen
	buffer_load_dword v3, v0, s[0:3], 0 offen offset:4
	buffer_load_dword v4, v0, s[0:3], 0 offen offset:8
	;; [unrolled: 1-line block ×3, first 2 shown]
	v_accvgpr_read_b32 v0, a171
	buffer_store_dword v1, off, s[0:3], 0 offset:592
	buffer_store_dword v1, off, s[0:3], 0 offset:596
	;; [unrolled: 1-line block ×4, first 2 shown]
	s_waitcnt vmcnt(4)
	ds_write_b128 v0, v[2:5]
.LBB56_283:
	s_or_b64 exec, exec, s[4:5]
	s_waitcnt lgkmcnt(0)
	; wave barrier
	s_waitcnt lgkmcnt(0)
	buffer_load_dword v2, off, s[0:3], 0 offset:608
	buffer_load_dword v3, off, s[0:3], 0 offset:612
	;; [unrolled: 1-line block ×76, first 2 shown]
	ds_read_b128 v[54:57], v1 offset:1504
	buffer_load_dword v159, off, s[0:3], 0 offset:924
	buffer_load_dword v158, off, s[0:3], 0 offset:920
	;; [unrolled: 1-line block ×8, first 2 shown]
	ds_read_b128 v[58:61], v1 offset:1520
	ds_read_b128 v[62:65], v1 offset:1536
	;; [unrolled: 1-line block ×3, first 2 shown]
	v_cmp_lt_u32_e32 vcc, 35, v254
	ds_read_b128 v[132:135], v1 offset:1808
	s_waitcnt vmcnt(62) lgkmcnt(4)
	v_mul_f64 v[70:71], v[54:55], v[8:9]
	v_fmac_f64_e32 v[70:71], v[56:57], v[2:3]
	v_add_f64 v[70:71], v[70:71], 0
	v_mul_f64 v[8:9], v[56:57], v[8:9]
	s_waitcnt lgkmcnt(3)
	v_mul_f64 v[72:73], v[58:59], v[10:11]
	v_fmac_f64_e32 v[72:73], v[60:61], v[4:5]
	v_add_f64 v[70:71], v[70:71], v[72:73]
	v_fma_f64 v[2:3], v[54:55], v[2:3], -v[8:9]
	s_waitcnt lgkmcnt(2)
	v_mul_f64 v[72:73], v[62:63], v[12:13]
	v_fmac_f64_e32 v[72:73], v[64:65], v[6:7]
	v_add_f64 v[74:75], v[70:71], v[72:73]
	ds_read_b128 v[70:73], v1 offset:1568
	v_mul_f64 v[8:9], v[60:61], v[10:11]
	v_add_f64 v[2:3], v[2:3], 0
	s_waitcnt lgkmcnt(2)
	v_mul_f64 v[76:77], v[66:67], v[18:19]
	v_fma_f64 v[4:5], v[58:59], v[4:5], -v[8:9]
	v_fmac_f64_e32 v[76:77], v[68:69], v[20:21]
	v_add_f64 v[78:79], v[74:75], v[76:77]
	ds_read_b128 v[74:77], v1 offset:1584
	s_waitcnt lgkmcnt(1)
	v_mul_f64 v[80:81], v[70:71], v[14:15]
	v_fmac_f64_e32 v[80:81], v[72:73], v[16:17]
	v_add_f64 v[82:83], v[78:79], v[80:81]
	ds_read_b128 v[78:81], v1 offset:1600
	s_waitcnt vmcnt(58) lgkmcnt(1)
	v_mul_f64 v[84:85], v[74:75], v[26:27]
	s_waitcnt vmcnt(56)
	v_fmac_f64_e32 v[84:85], v[76:77], v[28:29]
	v_add_f64 v[86:87], v[82:83], v[84:85]
	ds_read_b128 v[82:85], v1 offset:1616
	s_waitcnt lgkmcnt(1)
	v_mul_f64 v[88:89], v[78:79], v[22:23]
	v_fmac_f64_e32 v[88:89], v[80:81], v[24:25]
	v_add_f64 v[90:91], v[86:87], v[88:89]
	ds_read_b128 v[86:89], v1 offset:1632
	s_waitcnt vmcnt(50) lgkmcnt(1)
	v_mul_f64 v[92:93], v[82:83], v[34:35]
	s_waitcnt vmcnt(48)
	v_fmac_f64_e32 v[92:93], v[84:85], v[36:37]
	v_add_f64 v[94:95], v[90:91], v[92:93]
	ds_read_b128 v[90:93], v1 offset:1648
	s_waitcnt lgkmcnt(1)
	v_mul_f64 v[96:97], v[86:87], v[30:31]
	v_fmac_f64_e32 v[96:97], v[88:89], v[32:33]
	v_add_f64 v[98:99], v[94:95], v[96:97]
	ds_read_b128 v[94:97], v1 offset:1664
	v_add_f64 v[2:3], v[2:3], v[4:5]
	v_mul_f64 v[4:5], v[64:65], v[12:13]
	v_fma_f64 v[4:5], v[62:63], v[6:7], -v[4:5]
	s_waitcnt vmcnt(42) lgkmcnt(1)
	v_mul_f64 v[100:101], v[90:91], v[42:43]
	v_add_f64 v[2:3], v[2:3], v[4:5]
	v_mul_f64 v[4:5], v[68:69], v[18:19]
	s_waitcnt vmcnt(40)
	v_fmac_f64_e32 v[100:101], v[92:93], v[44:45]
	v_fma_f64 v[4:5], v[66:67], v[20:21], -v[4:5]
	v_add_f64 v[102:103], v[98:99], v[100:101]
	ds_read_b128 v[98:101], v1 offset:1680
	s_waitcnt lgkmcnt(1)
	v_mul_f64 v[104:105], v[94:95], v[38:39]
	v_add_f64 v[2:3], v[2:3], v[4:5]
	v_mul_f64 v[4:5], v[72:73], v[14:15]
	v_fmac_f64_e32 v[104:105], v[96:97], v[40:41]
	v_fma_f64 v[4:5], v[70:71], v[16:17], -v[4:5]
	v_add_f64 v[106:107], v[102:103], v[104:105]
	ds_read_b128 v[102:105], v1 offset:1696
	v_add_f64 v[2:3], v[2:3], v[4:5]
	v_mul_f64 v[4:5], v[76:77], v[26:27]
	v_fma_f64 v[4:5], v[74:75], v[28:29], -v[4:5]
	v_add_f64 v[2:3], v[2:3], v[4:5]
	v_mul_f64 v[4:5], v[80:81], v[22:23]
	s_waitcnt vmcnt(34) lgkmcnt(1)
	v_mul_f64 v[108:109], v[98:99], v[50:51]
	v_fma_f64 v[4:5], v[78:79], v[24:25], -v[4:5]
	s_waitcnt vmcnt(32)
	v_fmac_f64_e32 v[108:109], v[100:101], v[52:53]
	v_add_f64 v[2:3], v[2:3], v[4:5]
	v_mul_f64 v[4:5], v[84:85], v[34:35]
	v_add_f64 v[110:111], v[106:107], v[108:109]
	ds_read_b128 v[106:109], v1 offset:1712
	s_waitcnt lgkmcnt(1)
	v_mul_f64 v[112:113], v[102:103], v[46:47]
	v_fma_f64 v[4:5], v[82:83], v[36:37], -v[4:5]
	v_fmac_f64_e32 v[112:113], v[104:105], v[48:49]
	v_add_f64 v[2:3], v[2:3], v[4:5]
	v_mul_f64 v[4:5], v[88:89], v[30:31]
	v_add_f64 v[114:115], v[110:111], v[112:113]
	ds_read_b128 v[110:113], v1 offset:1728
	v_fma_f64 v[4:5], v[86:87], v[32:33], -v[4:5]
	v_add_f64 v[2:3], v[2:3], v[4:5]
	v_mul_f64 v[4:5], v[92:93], v[42:43]
	v_fma_f64 v[4:5], v[90:91], v[44:45], -v[4:5]
	s_waitcnt vmcnt(26) lgkmcnt(1)
	v_mul_f64 v[116:117], v[106:107], v[138:139]
	v_add_f64 v[2:3], v[2:3], v[4:5]
	v_mul_f64 v[4:5], v[96:97], v[38:39]
	s_waitcnt vmcnt(24)
	v_fmac_f64_e32 v[116:117], v[108:109], v[140:141]
	v_fma_f64 v[4:5], v[94:95], v[40:41], -v[4:5]
	v_add_f64 v[120:121], v[114:115], v[116:117]
	ds_read_b128 v[114:117], v1 offset:1744
	s_waitcnt lgkmcnt(1)
	v_mul_f64 v[122:123], v[110:111], v[118:119]
	v_add_f64 v[2:3], v[2:3], v[4:5]
	v_mul_f64 v[4:5], v[100:101], v[50:51]
	v_fmac_f64_e32 v[122:123], v[112:113], v[136:137]
	v_fma_f64 v[4:5], v[98:99], v[52:53], -v[4:5]
	v_add_f64 v[124:125], v[120:121], v[122:123]
	ds_read_b128 v[120:123], v1 offset:1760
	v_add_f64 v[2:3], v[2:3], v[4:5]
	v_mul_f64 v[4:5], v[104:105], v[46:47]
	v_fma_f64 v[4:5], v[102:103], v[48:49], -v[4:5]
	v_add_f64 v[2:3], v[2:3], v[4:5]
	v_mul_f64 v[4:5], v[108:109], v[138:139]
	s_waitcnt vmcnt(18) lgkmcnt(1)
	v_mul_f64 v[126:127], v[114:115], v[146:147]
	v_fma_f64 v[4:5], v[106:107], v[140:141], -v[4:5]
	s_waitcnt vmcnt(16)
	v_fmac_f64_e32 v[126:127], v[116:117], v[148:149]
	v_add_f64 v[2:3], v[2:3], v[4:5]
	v_mul_f64 v[4:5], v[112:113], v[118:119]
	v_add_f64 v[128:129], v[124:125], v[126:127]
	ds_read_b128 v[124:127], v1 offset:1776
	s_waitcnt lgkmcnt(1)
	v_mul_f64 v[130:131], v[120:121], v[142:143]
	v_fma_f64 v[4:5], v[110:111], v[136:137], -v[4:5]
	v_fmac_f64_e32 v[130:131], v[122:123], v[144:145]
	v_add_f64 v[2:3], v[2:3], v[4:5]
	v_mul_f64 v[4:5], v[116:117], v[146:147]
	v_add_f64 v[166:167], v[128:129], v[130:131]
	ds_read_b128 v[128:131], v1 offset:1792
	v_fma_f64 v[4:5], v[114:115], v[148:149], -v[4:5]
	v_add_f64 v[2:3], v[2:3], v[4:5]
	v_mul_f64 v[4:5], v[122:123], v[142:143]
	v_fma_f64 v[4:5], v[120:121], v[144:145], -v[4:5]
	v_add_f64 v[2:3], v[2:3], v[4:5]
	s_waitcnt vmcnt(10) lgkmcnt(1)
	v_mul_f64 v[4:5], v[126:127], v[154:155]
	v_mul_f64 v[168:169], v[124:125], v[154:155]
	s_waitcnt vmcnt(8)
	v_fma_f64 v[4:5], v[124:125], v[156:157], -v[4:5]
	v_fmac_f64_e32 v[168:169], v[126:127], v[156:157]
	v_add_f64 v[2:3], v[2:3], v[4:5]
	s_waitcnt lgkmcnt(0)
	v_mul_f64 v[4:5], v[130:131], v[150:151]
	v_add_f64 v[166:167], v[166:167], v[168:169]
	v_mul_f64 v[168:169], v[128:129], v[150:151]
	v_fma_f64 v[4:5], v[128:129], v[152:153], -v[4:5]
	v_fmac_f64_e32 v[168:169], v[130:131], v[152:153]
	v_add_f64 v[2:3], v[2:3], v[4:5]
	s_waitcnt vmcnt(6)
	v_mul_f64 v[4:5], v[134:135], v[158:159]
	v_add_f64 v[166:167], v[166:167], v[168:169]
	v_mul_f64 v[168:169], v[132:133], v[158:159]
	s_waitcnt vmcnt(4)
	v_fma_f64 v[4:5], v[132:133], v[160:161], -v[4:5]
	v_fmac_f64_e32 v[168:169], v[134:135], v[160:161]
	v_add_f64 v[2:3], v[2:3], v[4:5]
	v_add_f64 v[166:167], v[166:167], v[168:169]
	s_waitcnt vmcnt(2)
	v_add_f64 v[2:3], v[162:163], -v[2:3]
	s_waitcnt vmcnt(0)
	v_add_f64 v[4:5], v[164:165], -v[166:167]
	buffer_store_dword v3, off, s[0:3], 0 offset:596
	buffer_store_dword v2, off, s[0:3], 0 offset:592
	;; [unrolled: 1-line block ×4, first 2 shown]
	s_and_saveexec_b64 s[4:5], vcc
	s_cbranch_execz .LBB56_285
; %bb.284:
	v_accvgpr_read_b32 v0, a135
	buffer_load_dword v2, v0, s[0:3], 0 offen
	buffer_load_dword v3, v0, s[0:3], 0 offen offset:4
	buffer_load_dword v4, v0, s[0:3], 0 offen offset:8
	;; [unrolled: 1-line block ×3, first 2 shown]
	v_mov_b32_e32 v0, 0
	v_accvgpr_read_b32 v1, a171
	buffer_store_dword v0, off, s[0:3], 0 offset:576
	buffer_store_dword v0, off, s[0:3], 0 offset:580
	;; [unrolled: 1-line block ×4, first 2 shown]
	s_waitcnt vmcnt(4)
	ds_write_b128 v1, v[2:5]
.LBB56_285:
	s_or_b64 exec, exec, s[4:5]
	s_waitcnt lgkmcnt(0)
	; wave barrier
	s_waitcnt lgkmcnt(0)
	buffer_load_dword v4, off, s[0:3], 0 offset:576
	buffer_load_dword v5, off, s[0:3], 0 offset:580
	;; [unrolled: 1-line block ×84, first 2 shown]
	v_mov_b32_e32 v1, 0
	ds_read_b128 v[66:69], v1 offset:1488
	buffer_load_dword v171, off, s[0:3], 0 offset:924
	buffer_load_dword v170, off, s[0:3], 0 offset:920
	;; [unrolled: 1-line block ×4, first 2 shown]
	ds_read_b128 v[70:73], v1 offset:1504
	ds_read_b128 v[74:77], v1 offset:1520
	;; [unrolled: 1-line block ×4, first 2 shown]
	v_cmp_lt_u32_e32 vcc, 34, v254
	s_waitcnt vmcnt(62) lgkmcnt(4)
	v_mul_f64 v[82:83], v[66:67], v[12:13]
	v_fmac_f64_e32 v[82:83], v[68:69], v[6:7]
	s_waitcnt lgkmcnt(3)
	v_mul_f64 v[84:85], v[70:71], v[14:15]
	v_add_f64 v[82:83], v[82:83], 0
	v_fmac_f64_e32 v[84:85], v[72:73], v[8:9]
	v_add_f64 v[82:83], v[82:83], v[84:85]
	s_waitcnt lgkmcnt(2)
	v_mul_f64 v[84:85], v[74:75], v[16:17]
	v_fmac_f64_e32 v[84:85], v[76:77], v[10:11]
	v_add_f64 v[86:87], v[82:83], v[84:85]
	ds_read_b128 v[82:85], v1 offset:1552
	v_mul_f64 v[12:13], v[68:69], v[12:13]
	s_waitcnt lgkmcnt(2)
	v_mul_f64 v[88:89], v[78:79], v[22:23]
	v_fma_f64 v[6:7], v[66:67], v[6:7], -v[12:13]
	v_fmac_f64_e32 v[88:89], v[80:81], v[24:25]
	v_add_f64 v[90:91], v[86:87], v[88:89]
	ds_read_b128 v[86:89], v1 offset:1568
	s_waitcnt lgkmcnt(1)
	v_mul_f64 v[92:93], v[82:83], v[18:19]
	v_fmac_f64_e32 v[92:93], v[84:85], v[20:21]
	v_add_f64 v[94:95], v[90:91], v[92:93]
	ds_read_b128 v[90:93], v1 offset:1584
	s_waitcnt vmcnt(58) lgkmcnt(1)
	v_mul_f64 v[96:97], v[86:87], v[30:31]
	s_waitcnt vmcnt(56)
	v_fmac_f64_e32 v[96:97], v[88:89], v[32:33]
	v_add_f64 v[98:99], v[94:95], v[96:97]
	ds_read_b128 v[94:97], v1 offset:1600
	s_waitcnt lgkmcnt(1)
	v_mul_f64 v[100:101], v[90:91], v[26:27]
	v_fmac_f64_e32 v[100:101], v[92:93], v[28:29]
	v_add_f64 v[102:103], v[98:99], v[100:101]
	ds_read_b128 v[98:101], v1 offset:1616
	s_waitcnt vmcnt(50) lgkmcnt(1)
	v_mul_f64 v[104:105], v[94:95], v[38:39]
	s_waitcnt vmcnt(48)
	v_fmac_f64_e32 v[104:105], v[96:97], v[40:41]
	v_add_f64 v[106:107], v[102:103], v[104:105]
	ds_read_b128 v[102:105], v1 offset:1632
	s_waitcnt lgkmcnt(1)
	v_mul_f64 v[108:109], v[98:99], v[34:35]
	v_fmac_f64_e32 v[108:109], v[100:101], v[36:37]
	v_mul_f64 v[12:13], v[72:73], v[14:15]
	v_add_f64 v[110:111], v[106:107], v[108:109]
	ds_read_b128 v[106:109], v1 offset:1648
	s_waitcnt vmcnt(42) lgkmcnt(1)
	v_mul_f64 v[112:113], v[102:103], v[46:47]
	v_add_f64 v[6:7], v[6:7], 0
	v_fma_f64 v[8:9], v[70:71], v[8:9], -v[12:13]
	s_waitcnt vmcnt(40)
	v_fmac_f64_e32 v[112:113], v[104:105], v[48:49]
	v_add_f64 v[6:7], v[6:7], v[8:9]
	v_mul_f64 v[8:9], v[76:77], v[16:17]
	v_add_f64 v[114:115], v[110:111], v[112:113]
	ds_read_b128 v[110:113], v1 offset:1664
	v_fma_f64 v[8:9], v[74:75], v[10:11], -v[8:9]
	v_add_f64 v[6:7], v[6:7], v[8:9]
	v_mul_f64 v[8:9], v[80:81], v[22:23]
	v_fma_f64 v[8:9], v[78:79], v[24:25], -v[8:9]
	s_waitcnt lgkmcnt(1)
	v_mul_f64 v[116:117], v[106:107], v[42:43]
	v_add_f64 v[6:7], v[6:7], v[8:9]
	v_mul_f64 v[8:9], v[84:85], v[18:19]
	v_fmac_f64_e32 v[116:117], v[108:109], v[44:45]
	v_fma_f64 v[8:9], v[82:83], v[20:21], -v[8:9]
	v_add_f64 v[120:121], v[114:115], v[116:117]
	ds_read_b128 v[114:117], v1 offset:1680
	s_waitcnt vmcnt(34) lgkmcnt(1)
	v_mul_f64 v[122:123], v[110:111], v[54:55]
	v_add_f64 v[6:7], v[6:7], v[8:9]
	v_mul_f64 v[8:9], v[88:89], v[30:31]
	s_waitcnt vmcnt(32)
	v_fmac_f64_e32 v[122:123], v[112:113], v[56:57]
	v_fma_f64 v[8:9], v[86:87], v[32:33], -v[8:9]
	v_add_f64 v[124:125], v[120:121], v[122:123]
	ds_read_b128 v[120:123], v1 offset:1696
	v_add_f64 v[6:7], v[6:7], v[8:9]
	v_mul_f64 v[8:9], v[92:93], v[26:27]
	v_fma_f64 v[8:9], v[90:91], v[28:29], -v[8:9]
	v_add_f64 v[6:7], v[6:7], v[8:9]
	v_mul_f64 v[8:9], v[96:97], v[38:39]
	s_waitcnt lgkmcnt(1)
	v_mul_f64 v[126:127], v[114:115], v[50:51]
	v_fma_f64 v[8:9], v[94:95], v[40:41], -v[8:9]
	v_fmac_f64_e32 v[126:127], v[116:117], v[52:53]
	v_add_f64 v[6:7], v[6:7], v[8:9]
	v_mul_f64 v[8:9], v[100:101], v[34:35]
	v_add_f64 v[128:129], v[124:125], v[126:127]
	ds_read_b128 v[124:127], v1 offset:1712
	s_waitcnt vmcnt(26) lgkmcnt(1)
	v_mul_f64 v[130:131], v[120:121], v[62:63]
	v_fma_f64 v[8:9], v[98:99], v[36:37], -v[8:9]
	s_waitcnt vmcnt(24)
	v_fmac_f64_e32 v[130:131], v[122:123], v[64:65]
	v_add_f64 v[6:7], v[6:7], v[8:9]
	v_mul_f64 v[8:9], v[104:105], v[46:47]
	v_add_f64 v[132:133], v[128:129], v[130:131]
	ds_read_b128 v[128:131], v1 offset:1728
	v_fma_f64 v[8:9], v[102:103], v[48:49], -v[8:9]
	v_add_f64 v[6:7], v[6:7], v[8:9]
	v_mul_f64 v[8:9], v[108:109], v[42:43]
	v_fma_f64 v[8:9], v[106:107], v[44:45], -v[8:9]
	s_waitcnt lgkmcnt(1)
	v_mul_f64 v[134:135], v[124:125], v[58:59]
	v_add_f64 v[6:7], v[6:7], v[8:9]
	v_mul_f64 v[8:9], v[112:113], v[54:55]
	v_fmac_f64_e32 v[134:135], v[126:127], v[60:61]
	v_fma_f64 v[8:9], v[110:111], v[56:57], -v[8:9]
	v_add_f64 v[136:137], v[132:133], v[134:135]
	ds_read_b128 v[132:135], v1 offset:1744
	s_waitcnt vmcnt(18) lgkmcnt(1)
	v_mul_f64 v[138:139], v[128:129], v[154:155]
	v_add_f64 v[6:7], v[6:7], v[8:9]
	v_mul_f64 v[8:9], v[116:117], v[50:51]
	s_waitcnt vmcnt(16)
	v_fmac_f64_e32 v[138:139], v[130:131], v[156:157]
	v_fma_f64 v[8:9], v[114:115], v[52:53], -v[8:9]
	v_add_f64 v[140:141], v[136:137], v[138:139]
	ds_read_b128 v[136:139], v1 offset:1760
	v_add_f64 v[6:7], v[6:7], v[8:9]
	v_mul_f64 v[8:9], v[122:123], v[62:63]
	v_fma_f64 v[8:9], v[120:121], v[64:65], -v[8:9]
	v_add_f64 v[6:7], v[6:7], v[8:9]
	v_mul_f64 v[8:9], v[126:127], v[58:59]
	s_waitcnt lgkmcnt(1)
	v_mul_f64 v[142:143], v[132:133], v[118:119]
	v_fma_f64 v[8:9], v[124:125], v[60:61], -v[8:9]
	v_fmac_f64_e32 v[142:143], v[134:135], v[152:153]
	v_add_f64 v[6:7], v[6:7], v[8:9]
	v_mul_f64 v[8:9], v[130:131], v[154:155]
	v_add_f64 v[144:145], v[140:141], v[142:143]
	ds_read_b128 v[140:143], v1 offset:1776
	s_waitcnt vmcnt(10) lgkmcnt(1)
	v_mul_f64 v[146:147], v[136:137], v[162:163]
	v_fma_f64 v[8:9], v[128:129], v[156:157], -v[8:9]
	s_waitcnt vmcnt(8)
	v_fmac_f64_e32 v[146:147], v[138:139], v[164:165]
	v_add_f64 v[6:7], v[6:7], v[8:9]
	v_mul_f64 v[8:9], v[134:135], v[118:119]
	v_add_f64 v[174:175], v[144:145], v[146:147]
	ds_read_b128 v[144:147], v1 offset:1792
	v_fma_f64 v[8:9], v[132:133], v[152:153], -v[8:9]
	v_add_f64 v[6:7], v[6:7], v[8:9]
	v_mul_f64 v[8:9], v[138:139], v[162:163]
	v_fma_f64 v[8:9], v[136:137], v[164:165], -v[8:9]
	v_add_f64 v[6:7], v[6:7], v[8:9]
	s_waitcnt lgkmcnt(1)
	v_mul_f64 v[8:9], v[142:143], v[158:159]
	v_mul_f64 v[176:177], v[140:141], v[158:159]
	v_fma_f64 v[8:9], v[140:141], v[160:161], -v[8:9]
	v_fmac_f64_e32 v[176:177], v[142:143], v[160:161]
	v_add_f64 v[6:7], v[6:7], v[8:9]
	s_waitcnt vmcnt(6) lgkmcnt(0)
	v_mul_f64 v[8:9], v[146:147], v[166:167]
	v_add_f64 v[174:175], v[174:175], v[176:177]
	v_mul_f64 v[176:177], v[144:145], v[166:167]
	s_waitcnt vmcnt(4)
	v_fma_f64 v[8:9], v[144:145], v[168:169], -v[8:9]
	v_fmac_f64_e32 v[176:177], v[146:147], v[168:169]
	v_add_f64 v[6:7], v[6:7], v[8:9]
	s_waitcnt vmcnt(2)
	v_mul_f64 v[8:9], v[150:151], v[170:171]
	v_add_f64 v[174:175], v[174:175], v[176:177]
	v_mul_f64 v[176:177], v[148:149], v[170:171]
	s_waitcnt vmcnt(0)
	v_fma_f64 v[8:9], v[148:149], v[172:173], -v[8:9]
	v_fmac_f64_e32 v[176:177], v[150:151], v[172:173]
	v_add_f64 v[6:7], v[6:7], v[8:9]
	v_add_f64 v[174:175], v[174:175], v[176:177]
	v_add_f64 v[4:5], v[4:5], -v[6:7]
	v_add_f64 v[2:3], v[2:3], -v[174:175]
	buffer_store_dword v5, off, s[0:3], 0 offset:580
	buffer_store_dword v4, off, s[0:3], 0 offset:576
	;; [unrolled: 1-line block ×4, first 2 shown]
	s_and_saveexec_b64 s[4:5], vcc
	s_cbranch_execz .LBB56_287
; %bb.286:
	v_accvgpr_read_b32 v0, a136
	buffer_load_dword v2, v0, s[0:3], 0 offen
	buffer_load_dword v3, v0, s[0:3], 0 offen offset:4
	buffer_load_dword v4, v0, s[0:3], 0 offen offset:8
	;; [unrolled: 1-line block ×3, first 2 shown]
	v_accvgpr_read_b32 v0, a171
	buffer_store_dword v1, off, s[0:3], 0 offset:560
	buffer_store_dword v1, off, s[0:3], 0 offset:564
	;; [unrolled: 1-line block ×4, first 2 shown]
	s_waitcnt vmcnt(4)
	ds_write_b128 v0, v[2:5]
.LBB56_287:
	s_or_b64 exec, exec, s[4:5]
	s_waitcnt lgkmcnt(0)
	; wave barrier
	s_waitcnt lgkmcnt(0)
	ds_read_b128 v[14:17], v1 offset:1472
	ds_read_b128 v[10:13], v1 offset:1488
	;; [unrolled: 1-line block ×4, first 2 shown]
	buffer_load_dword v20, off, s[0:3], 0 offset:560
	buffer_load_dword v21, off, s[0:3], 0 offset:564
	;; [unrolled: 1-line block ×92, first 2 shown]
	s_waitcnt vmcnt(62) lgkmcnt(3)
	v_mul_f64 v[86:87], v[14:15], v[28:29]
	v_fmac_f64_e32 v[86:87], v[16:17], v[22:23]
	s_waitcnt lgkmcnt(2)
	v_mul_f64 v[88:89], v[10:11], v[30:31]
	v_add_f64 v[86:87], v[86:87], 0
	v_fmac_f64_e32 v[88:89], v[12:13], v[24:25]
	v_add_f64 v[86:87], v[86:87], v[88:89]
	s_waitcnt lgkmcnt(1)
	v_mul_f64 v[88:89], v[6:7], v[32:33]
	v_fmac_f64_e32 v[88:89], v[8:9], v[26:27]
	v_add_f64 v[90:91], v[86:87], v[88:89]
	ds_read_b128 v[86:89], v1 offset:1536
	v_mul_f64 v[16:17], v[16:17], v[28:29]
	v_fma_f64 v[14:15], v[14:15], v[22:23], -v[16:17]
	s_waitcnt lgkmcnt(1)
	v_mul_f64 v[92:93], v[2:3], v[38:39]
	v_mul_f64 v[12:13], v[12:13], v[30:31]
	v_fmac_f64_e32 v[92:93], v[4:5], v[40:41]
	v_add_f64 v[94:95], v[90:91], v[92:93]
	ds_read_b128 v[90:93], v1 offset:1552
	s_waitcnt lgkmcnt(1)
	v_mul_f64 v[96:97], v[86:87], v[34:35]
	v_fmac_f64_e32 v[96:97], v[88:89], v[36:37]
	v_add_f64 v[98:99], v[94:95], v[96:97]
	ds_read_b128 v[94:97], v1 offset:1568
	s_waitcnt lgkmcnt(1)
	v_mul_f64 v[100:101], v[90:91], v[46:47]
	s_waitcnt vmcnt(60)
	v_fmac_f64_e32 v[100:101], v[92:93], v[48:49]
	v_add_f64 v[102:103], v[98:99], v[100:101]
	ds_read_b128 v[98:101], v1 offset:1584
	s_waitcnt lgkmcnt(1)
	v_mul_f64 v[104:105], v[94:95], v[42:43]
	v_fmac_f64_e32 v[104:105], v[96:97], v[44:45]
	v_add_f64 v[106:107], v[102:103], v[104:105]
	ds_read_b128 v[102:105], v1 offset:1600
	s_waitcnt vmcnt(54) lgkmcnt(1)
	v_mul_f64 v[108:109], v[98:99], v[54:55]
	s_waitcnt vmcnt(52)
	v_fmac_f64_e32 v[108:109], v[100:101], v[56:57]
	v_add_f64 v[110:111], v[106:107], v[108:109]
	ds_read_b128 v[106:109], v1 offset:1616
	s_waitcnt lgkmcnt(1)
	v_mul_f64 v[112:113], v[102:103], v[50:51]
	v_fmac_f64_e32 v[112:113], v[104:105], v[52:53]
	v_add_f64 v[114:115], v[110:111], v[112:113]
	ds_read_b128 v[110:113], v1 offset:1632
	s_waitcnt vmcnt(46) lgkmcnt(1)
	v_mul_f64 v[116:117], v[106:107], v[62:63]
	s_waitcnt vmcnt(44)
	v_fmac_f64_e32 v[116:117], v[108:109], v[64:65]
	v_add_f64 v[120:121], v[114:115], v[116:117]
	ds_read_b128 v[114:117], v1 offset:1648
	s_waitcnt lgkmcnt(1)
	v_mul_f64 v[122:123], v[110:111], v[58:59]
	v_fmac_f64_e32 v[122:123], v[112:113], v[60:61]
	v_add_f64 v[14:15], v[14:15], 0
	v_fma_f64 v[10:11], v[10:11], v[24:25], -v[12:13]
	v_mul_f64 v[8:9], v[8:9], v[32:33]
	v_add_f64 v[124:125], v[120:121], v[122:123]
	ds_read_b128 v[120:123], v1 offset:1664
	v_add_f64 v[10:11], v[14:15], v[10:11]
	v_fma_f64 v[6:7], v[6:7], v[26:27], -v[8:9]
	v_mul_f64 v[4:5], v[4:5], v[38:39]
	v_add_f64 v[6:7], v[10:11], v[6:7]
	v_fma_f64 v[2:3], v[2:3], v[40:41], -v[4:5]
	v_mul_f64 v[4:5], v[88:89], v[34:35]
	v_add_f64 v[2:3], v[6:7], v[2:3]
	v_fma_f64 v[4:5], v[86:87], v[36:37], -v[4:5]
	s_waitcnt vmcnt(38) lgkmcnt(1)
	v_mul_f64 v[126:127], v[114:115], v[70:71]
	v_add_f64 v[2:3], v[2:3], v[4:5]
	v_mul_f64 v[4:5], v[92:93], v[46:47]
	s_waitcnt vmcnt(36)
	v_fmac_f64_e32 v[126:127], v[116:117], v[72:73]
	v_fma_f64 v[4:5], v[90:91], v[48:49], -v[4:5]
	v_add_f64 v[128:129], v[124:125], v[126:127]
	ds_read_b128 v[124:127], v1 offset:1680
	s_waitcnt lgkmcnt(1)
	v_mul_f64 v[130:131], v[120:121], v[66:67]
	v_add_f64 v[2:3], v[2:3], v[4:5]
	v_mul_f64 v[4:5], v[96:97], v[42:43]
	v_fmac_f64_e32 v[130:131], v[122:123], v[68:69]
	v_fma_f64 v[4:5], v[94:95], v[44:45], -v[4:5]
	v_add_f64 v[132:133], v[128:129], v[130:131]
	ds_read_b128 v[128:131], v1 offset:1696
	v_add_f64 v[2:3], v[2:3], v[4:5]
	v_mul_f64 v[4:5], v[100:101], v[54:55]
	v_fma_f64 v[4:5], v[98:99], v[56:57], -v[4:5]
	v_add_f64 v[2:3], v[2:3], v[4:5]
	v_mul_f64 v[4:5], v[104:105], v[50:51]
	s_waitcnt vmcnt(30) lgkmcnt(1)
	v_mul_f64 v[134:135], v[124:125], v[78:79]
	v_fma_f64 v[4:5], v[102:103], v[52:53], -v[4:5]
	s_waitcnt vmcnt(28)
	v_fmac_f64_e32 v[134:135], v[126:127], v[80:81]
	v_add_f64 v[2:3], v[2:3], v[4:5]
	v_mul_f64 v[4:5], v[108:109], v[62:63]
	v_add_f64 v[136:137], v[132:133], v[134:135]
	ds_read_b128 v[132:135], v1 offset:1712
	s_waitcnt lgkmcnt(1)
	v_mul_f64 v[138:139], v[128:129], v[74:75]
	v_fma_f64 v[4:5], v[106:107], v[64:65], -v[4:5]
	v_fmac_f64_e32 v[138:139], v[130:131], v[76:77]
	v_add_f64 v[2:3], v[2:3], v[4:5]
	v_mul_f64 v[4:5], v[112:113], v[58:59]
	v_add_f64 v[140:141], v[136:137], v[138:139]
	ds_read_b128 v[136:139], v1 offset:1728
	v_fma_f64 v[4:5], v[110:111], v[60:61], -v[4:5]
	v_add_f64 v[2:3], v[2:3], v[4:5]
	v_mul_f64 v[4:5], v[116:117], v[70:71]
	v_fma_f64 v[4:5], v[114:115], v[72:73], -v[4:5]
	s_waitcnt vmcnt(22) lgkmcnt(1)
	v_mul_f64 v[142:143], v[132:133], v[118:119]
	v_add_f64 v[2:3], v[2:3], v[4:5]
	v_mul_f64 v[4:5], v[122:123], v[66:67]
	s_waitcnt vmcnt(20)
	v_fmac_f64_e32 v[142:143], v[134:135], v[160:161]
	v_fma_f64 v[4:5], v[120:121], v[68:69], -v[4:5]
	v_add_f64 v[144:145], v[140:141], v[142:143]
	ds_read_b128 v[140:143], v1 offset:1744
	s_waitcnt lgkmcnt(1)
	v_mul_f64 v[146:147], v[136:137], v[82:83]
	v_add_f64 v[2:3], v[2:3], v[4:5]
	v_mul_f64 v[4:5], v[126:127], v[78:79]
	v_fmac_f64_e32 v[146:147], v[138:139], v[84:85]
	v_fma_f64 v[4:5], v[124:125], v[80:81], -v[4:5]
	v_add_f64 v[148:149], v[144:145], v[146:147]
	ds_read_b128 v[144:147], v1 offset:1760
	v_add_f64 v[2:3], v[2:3], v[4:5]
	v_mul_f64 v[4:5], v[130:131], v[74:75]
	v_fma_f64 v[4:5], v[128:129], v[76:77], -v[4:5]
	v_add_f64 v[2:3], v[2:3], v[4:5]
	v_mul_f64 v[4:5], v[134:135], v[118:119]
	s_waitcnt vmcnt(14) lgkmcnt(1)
	v_mul_f64 v[150:151], v[140:141], v[166:167]
	v_fma_f64 v[4:5], v[132:133], v[160:161], -v[4:5]
	s_waitcnt vmcnt(12)
	v_fmac_f64_e32 v[150:151], v[142:143], v[168:169]
	v_add_f64 v[2:3], v[2:3], v[4:5]
	v_mul_f64 v[4:5], v[138:139], v[82:83]
	v_add_f64 v[152:153], v[148:149], v[150:151]
	ds_read_b128 v[148:151], v1 offset:1776
	s_waitcnt lgkmcnt(1)
	v_mul_f64 v[154:155], v[144:145], v[162:163]
	v_fma_f64 v[4:5], v[136:137], v[84:85], -v[4:5]
	v_fmac_f64_e32 v[154:155], v[146:147], v[164:165]
	v_add_f64 v[2:3], v[2:3], v[4:5]
	v_mul_f64 v[4:5], v[142:143], v[166:167]
	v_add_f64 v[182:183], v[152:153], v[154:155]
	ds_read_b128 v[152:155], v1 offset:1792
	ds_read_b128 v[156:159], v1 offset:1808
	v_fma_f64 v[4:5], v[140:141], v[168:169], -v[4:5]
	v_add_f64 v[2:3], v[2:3], v[4:5]
	v_mul_f64 v[4:5], v[146:147], v[162:163]
	v_fma_f64 v[4:5], v[144:145], v[164:165], -v[4:5]
	v_add_f64 v[2:3], v[2:3], v[4:5]
	s_waitcnt vmcnt(6) lgkmcnt(2)
	v_mul_f64 v[4:5], v[150:151], v[174:175]
	v_mul_f64 v[184:185], v[148:149], v[174:175]
	s_waitcnt vmcnt(4)
	v_fma_f64 v[4:5], v[148:149], v[176:177], -v[4:5]
	v_fmac_f64_e32 v[184:185], v[150:151], v[176:177]
	v_add_f64 v[2:3], v[2:3], v[4:5]
	s_waitcnt lgkmcnt(1)
	v_mul_f64 v[4:5], v[154:155], v[170:171]
	v_add_f64 v[182:183], v[182:183], v[184:185]
	v_mul_f64 v[184:185], v[152:153], v[170:171]
	v_fma_f64 v[4:5], v[152:153], v[172:173], -v[4:5]
	v_fmac_f64_e32 v[184:185], v[154:155], v[172:173]
	v_add_f64 v[2:3], v[2:3], v[4:5]
	s_waitcnt vmcnt(2) lgkmcnt(0)
	v_mul_f64 v[4:5], v[158:159], v[178:179]
	v_add_f64 v[182:183], v[182:183], v[184:185]
	v_mul_f64 v[184:185], v[156:157], v[178:179]
	s_waitcnt vmcnt(0)
	v_fma_f64 v[4:5], v[156:157], v[180:181], -v[4:5]
	v_fmac_f64_e32 v[184:185], v[158:159], v[180:181]
	v_add_f64 v[2:3], v[2:3], v[4:5]
	v_add_f64 v[182:183], v[182:183], v[184:185]
	v_add_f64 v[2:3], v[20:21], -v[2:3]
	v_cmp_lt_u32_e32 vcc, 33, v254
	v_add_f64 v[4:5], v[18:19], -v[182:183]
	buffer_store_dword v3, off, s[0:3], 0 offset:564
	buffer_store_dword v2, off, s[0:3], 0 offset:560
	;; [unrolled: 1-line block ×4, first 2 shown]
	s_and_saveexec_b64 s[4:5], vcc
	s_cbranch_execz .LBB56_289
; %bb.288:
	v_accvgpr_read_b32 v0, a137
	buffer_load_dword v2, v0, s[0:3], 0 offen
	buffer_load_dword v3, v0, s[0:3], 0 offen offset:4
	buffer_load_dword v4, v0, s[0:3], 0 offen offset:8
	;; [unrolled: 1-line block ×3, first 2 shown]
	v_mov_b32_e32 v0, 0
	v_accvgpr_read_b32 v1, a171
	buffer_store_dword v0, off, s[0:3], 0 offset:544
	buffer_store_dword v0, off, s[0:3], 0 offset:548
	;; [unrolled: 1-line block ×4, first 2 shown]
	s_waitcnt vmcnt(4)
	ds_write_b128 v1, v[2:5]
.LBB56_289:
	s_or_b64 exec, exec, s[4:5]
	s_waitcnt lgkmcnt(0)
	; wave barrier
	s_waitcnt lgkmcnt(0)
	buffer_load_dword v9, off, s[0:3], 0 offset:572
	buffer_load_dword v6, off, s[0:3], 0 offset:584
	;; [unrolled: 1-line block ×64, first 2 shown]
	v_mov_b32_e32 v1, 0
	ds_read_b128 v[74:77], v1 offset:1456
	ds_read_b128 v[78:81], v1 offset:1472
	buffer_load_dword v67, off, s[0:3], 0 offset:828
	buffer_load_dword v66, off, s[0:3], 0 offset:824
	;; [unrolled: 1-line block ×8, first 2 shown]
	ds_read_b128 v[82:85], v1 offset:1488
	ds_read_b128 v[86:89], v1 offset:1504
	buffer_load_dword v119, off, s[0:3], 0 offset:860
	buffer_load_dword v118, off, s[0:3], 0 offset:856
	;; [unrolled: 1-line block ×24, first 2 shown]
	ds_read_b128 v[164:167], v1 offset:1808
	v_cmp_lt_u32_e32 vcc, 32, v254
	s_waitcnt vmcnt(62) lgkmcnt(1)
	v_mul_f64 v[96:97], v[86:87], v[22:23]
	v_fmac_f64_e32 v[96:97], v[88:89], v[24:25]
	v_mul_f64 v[92:93], v[78:79], v[6:7]
	v_mul_f64 v[90:91], v[74:75], v[8:9]
	;; [unrolled: 1-line block ×3, first 2 shown]
	v_fmac_f64_e32 v[90:91], v[76:77], v[10:11]
	v_add_f64 v[90:91], v[90:91], 0
	v_fma_f64 v[8:9], v[74:75], v[10:11], -v[8:9]
	v_mul_f64 v[6:7], v[80:81], v[6:7]
	v_add_f64 v[8:9], v[8:9], 0
	v_fmac_f64_e32 v[92:93], v[80:81], v[14:15]
	v_add_f64 v[90:91], v[90:91], v[92:93]
	v_mul_f64 v[92:93], v[82:83], v[16:17]
	v_fmac_f64_e32 v[92:93], v[84:85], v[12:13]
	v_add_f64 v[94:95], v[90:91], v[92:93]
	ds_read_b128 v[90:93], v1 offset:1520
	v_add_f64 v[98:99], v[94:95], v[96:97]
	ds_read_b128 v[94:97], v1 offset:1536
	v_fma_f64 v[6:7], v[78:79], v[14:15], -v[6:7]
	v_add_f64 v[6:7], v[8:9], v[6:7]
	s_waitcnt lgkmcnt(1)
	v_mul_f64 v[100:101], v[90:91], v[18:19]
	v_fmac_f64_e32 v[100:101], v[92:93], v[20:21]
	v_add_f64 v[102:103], v[98:99], v[100:101]
	ds_read_b128 v[98:101], v1 offset:1552
	s_waitcnt lgkmcnt(1)
	v_mul_f64 v[104:105], v[94:95], v[30:31]
	v_fmac_f64_e32 v[104:105], v[96:97], v[32:33]
	v_add_f64 v[106:107], v[102:103], v[104:105]
	ds_read_b128 v[102:105], v1 offset:1568
	;; [unrolled: 5-line block ×3, first 2 shown]
	s_waitcnt vmcnt(58) lgkmcnt(1)
	v_mul_f64 v[112:113], v[102:103], v[38:39]
	s_waitcnt vmcnt(56)
	v_fmac_f64_e32 v[112:113], v[104:105], v[40:41]
	v_add_f64 v[114:115], v[110:111], v[112:113]
	ds_read_b128 v[110:113], v1 offset:1600
	s_waitcnt lgkmcnt(1)
	v_mul_f64 v[116:117], v[106:107], v[34:35]
	v_fmac_f64_e32 v[116:117], v[108:109], v[36:37]
	v_add_f64 v[120:121], v[114:115], v[116:117]
	ds_read_b128 v[114:117], v1 offset:1616
	s_waitcnt vmcnt(50) lgkmcnt(1)
	v_mul_f64 v[122:123], v[110:111], v[46:47]
	s_waitcnt vmcnt(48)
	v_fmac_f64_e32 v[122:123], v[112:113], v[48:49]
	v_add_f64 v[124:125], v[120:121], v[122:123]
	ds_read_b128 v[120:123], v1 offset:1632
	v_mul_f64 v[8:9], v[84:85], v[16:17]
	s_waitcnt lgkmcnt(1)
	v_mul_f64 v[126:127], v[114:115], v[42:43]
	v_fma_f64 v[8:9], v[82:83], v[12:13], -v[8:9]
	v_fmac_f64_e32 v[126:127], v[116:117], v[44:45]
	v_add_f64 v[6:7], v[6:7], v[8:9]
	v_mul_f64 v[8:9], v[88:89], v[22:23]
	v_add_f64 v[128:129], v[124:125], v[126:127]
	ds_read_b128 v[124:127], v1 offset:1648
	s_waitcnt vmcnt(42) lgkmcnt(1)
	v_mul_f64 v[130:131], v[120:121], v[54:55]
	v_fma_f64 v[8:9], v[86:87], v[24:25], -v[8:9]
	s_waitcnt vmcnt(40)
	v_fmac_f64_e32 v[130:131], v[122:123], v[56:57]
	v_add_f64 v[6:7], v[6:7], v[8:9]
	v_mul_f64 v[8:9], v[92:93], v[18:19]
	v_add_f64 v[132:133], v[128:129], v[130:131]
	ds_read_b128 v[128:131], v1 offset:1664
	v_fma_f64 v[8:9], v[90:91], v[20:21], -v[8:9]
	v_add_f64 v[6:7], v[6:7], v[8:9]
	v_mul_f64 v[8:9], v[96:97], v[30:31]
	v_fma_f64 v[8:9], v[94:95], v[32:33], -v[8:9]
	s_waitcnt lgkmcnt(1)
	v_mul_f64 v[134:135], v[124:125], v[50:51]
	v_add_f64 v[6:7], v[6:7], v[8:9]
	v_mul_f64 v[8:9], v[100:101], v[26:27]
	v_fmac_f64_e32 v[134:135], v[126:127], v[52:53]
	v_fma_f64 v[8:9], v[98:99], v[28:29], -v[8:9]
	v_add_f64 v[136:137], v[132:133], v[134:135]
	ds_read_b128 v[132:135], v1 offset:1680
	s_waitcnt vmcnt(34) lgkmcnt(1)
	v_mul_f64 v[138:139], v[128:129], v[62:63]
	v_add_f64 v[6:7], v[6:7], v[8:9]
	v_mul_f64 v[8:9], v[104:105], v[38:39]
	s_waitcnt vmcnt(32)
	v_fmac_f64_e32 v[138:139], v[130:131], v[64:65]
	v_fma_f64 v[8:9], v[102:103], v[40:41], -v[8:9]
	v_add_f64 v[140:141], v[136:137], v[138:139]
	ds_read_b128 v[136:139], v1 offset:1696
	v_add_f64 v[6:7], v[6:7], v[8:9]
	v_mul_f64 v[8:9], v[108:109], v[34:35]
	v_fma_f64 v[8:9], v[106:107], v[36:37], -v[8:9]
	v_add_f64 v[6:7], v[6:7], v[8:9]
	v_mul_f64 v[8:9], v[112:113], v[46:47]
	s_waitcnt lgkmcnt(1)
	v_mul_f64 v[142:143], v[132:133], v[58:59]
	v_fma_f64 v[8:9], v[110:111], v[48:49], -v[8:9]
	v_fmac_f64_e32 v[142:143], v[134:135], v[60:61]
	v_add_f64 v[6:7], v[6:7], v[8:9]
	v_mul_f64 v[8:9], v[116:117], v[42:43]
	v_add_f64 v[144:145], v[140:141], v[142:143]
	ds_read_b128 v[140:143], v1 offset:1712
	s_waitcnt vmcnt(26) lgkmcnt(1)
	v_mul_f64 v[146:147], v[136:137], v[70:71]
	v_fma_f64 v[8:9], v[114:115], v[44:45], -v[8:9]
	s_waitcnt vmcnt(24)
	v_fmac_f64_e32 v[146:147], v[138:139], v[72:73]
	v_add_f64 v[6:7], v[6:7], v[8:9]
	v_mul_f64 v[8:9], v[122:123], v[54:55]
	v_add_f64 v[148:149], v[144:145], v[146:147]
	ds_read_b128 v[144:147], v1 offset:1728
	v_fma_f64 v[8:9], v[120:121], v[56:57], -v[8:9]
	v_add_f64 v[6:7], v[6:7], v[8:9]
	v_mul_f64 v[8:9], v[126:127], v[50:51]
	v_fma_f64 v[8:9], v[124:125], v[52:53], -v[8:9]
	s_waitcnt lgkmcnt(1)
	v_mul_f64 v[150:151], v[140:141], v[66:67]
	v_add_f64 v[6:7], v[6:7], v[8:9]
	v_mul_f64 v[8:9], v[130:131], v[62:63]
	v_fmac_f64_e32 v[150:151], v[142:143], v[68:69]
	v_fma_f64 v[8:9], v[128:129], v[64:65], -v[8:9]
	v_add_f64 v[152:153], v[148:149], v[150:151]
	ds_read_b128 v[148:151], v1 offset:1744
	s_waitcnt vmcnt(18) lgkmcnt(1)
	v_mul_f64 v[154:155], v[144:145], v[170:171]
	v_add_f64 v[6:7], v[6:7], v[8:9]
	v_mul_f64 v[8:9], v[134:135], v[58:59]
	s_waitcnt vmcnt(16)
	v_fmac_f64_e32 v[154:155], v[146:147], v[172:173]
	v_fma_f64 v[8:9], v[132:133], v[60:61], -v[8:9]
	v_add_f64 v[156:157], v[152:153], v[154:155]
	ds_read_b128 v[152:155], v1 offset:1760
	v_add_f64 v[6:7], v[6:7], v[8:9]
	v_mul_f64 v[8:9], v[138:139], v[70:71]
	v_fma_f64 v[8:9], v[136:137], v[72:73], -v[8:9]
	v_add_f64 v[6:7], v[6:7], v[8:9]
	v_mul_f64 v[8:9], v[142:143], v[66:67]
	s_waitcnt lgkmcnt(1)
	v_mul_f64 v[158:159], v[148:149], v[118:119]
	v_fma_f64 v[8:9], v[140:141], v[68:69], -v[8:9]
	v_fmac_f64_e32 v[158:159], v[150:151], v[168:169]
	v_add_f64 v[6:7], v[6:7], v[8:9]
	v_mul_f64 v[8:9], v[146:147], v[170:171]
	v_add_f64 v[160:161], v[156:157], v[158:159]
	ds_read_b128 v[156:159], v1 offset:1776
	s_waitcnt vmcnt(10) lgkmcnt(1)
	v_mul_f64 v[162:163], v[152:153], v[178:179]
	v_fma_f64 v[8:9], v[144:145], v[172:173], -v[8:9]
	s_waitcnt vmcnt(8)
	v_fmac_f64_e32 v[162:163], v[154:155], v[180:181]
	v_add_f64 v[6:7], v[6:7], v[8:9]
	v_mul_f64 v[8:9], v[150:151], v[118:119]
	v_add_f64 v[190:191], v[160:161], v[162:163]
	ds_read_b128 v[160:163], v1 offset:1792
	v_fma_f64 v[8:9], v[148:149], v[168:169], -v[8:9]
	v_add_f64 v[6:7], v[6:7], v[8:9]
	v_mul_f64 v[8:9], v[154:155], v[178:179]
	v_fma_f64 v[8:9], v[152:153], v[180:181], -v[8:9]
	v_add_f64 v[6:7], v[6:7], v[8:9]
	s_waitcnt lgkmcnt(1)
	v_mul_f64 v[8:9], v[158:159], v[174:175]
	v_mul_f64 v[192:193], v[156:157], v[174:175]
	v_fma_f64 v[8:9], v[156:157], v[176:177], -v[8:9]
	v_fmac_f64_e32 v[192:193], v[158:159], v[176:177]
	v_add_f64 v[6:7], v[6:7], v[8:9]
	s_waitcnt vmcnt(2) lgkmcnt(0)
	v_mul_f64 v[8:9], v[162:163], v[186:187]
	v_add_f64 v[190:191], v[190:191], v[192:193]
	v_mul_f64 v[192:193], v[160:161], v[186:187]
	s_waitcnt vmcnt(0)
	v_fma_f64 v[8:9], v[160:161], v[188:189], -v[8:9]
	v_fmac_f64_e32 v[192:193], v[162:163], v[188:189]
	v_add_f64 v[6:7], v[6:7], v[8:9]
	v_mul_f64 v[8:9], v[166:167], v[182:183]
	v_add_f64 v[190:191], v[190:191], v[192:193]
	v_mul_f64 v[192:193], v[164:165], v[182:183]
	v_fma_f64 v[8:9], v[164:165], v[184:185], -v[8:9]
	v_fmac_f64_e32 v[192:193], v[166:167], v[184:185]
	v_add_f64 v[6:7], v[6:7], v[8:9]
	v_add_f64 v[190:191], v[190:191], v[192:193]
	v_add_f64 v[4:5], v[4:5], -v[6:7]
	v_add_f64 v[2:3], v[2:3], -v[190:191]
	buffer_store_dword v5, off, s[0:3], 0 offset:548
	buffer_store_dword v4, off, s[0:3], 0 offset:544
	;; [unrolled: 1-line block ×4, first 2 shown]
	s_and_saveexec_b64 s[4:5], vcc
	s_cbranch_execz .LBB56_291
; %bb.290:
	v_accvgpr_read_b32 v0, a138
	buffer_load_dword v2, v0, s[0:3], 0 offen
	buffer_load_dword v3, v0, s[0:3], 0 offen offset:4
	buffer_load_dword v4, v0, s[0:3], 0 offen offset:8
	buffer_load_dword v5, v0, s[0:3], 0 offen offset:12
	v_accvgpr_read_b32 v0, a171
	buffer_store_dword v1, off, s[0:3], 0 offset:528
	buffer_store_dword v1, off, s[0:3], 0 offset:532
	;; [unrolled: 1-line block ×4, first 2 shown]
	s_waitcnt vmcnt(4)
	ds_write_b128 v0, v[2:5]
.LBB56_291:
	s_or_b64 exec, exec, s[4:5]
	s_waitcnt lgkmcnt(0)
	; wave barrier
	s_waitcnt lgkmcnt(0)
	buffer_load_dword v22, off, s[0:3], 0 offset:544
	buffer_load_dword v23, off, s[0:3], 0 offset:548
	;; [unrolled: 1-line block ×16, first 2 shown]
	ds_read_b128 v[2:5], v1 offset:1440
	ds_read_b128 v[6:9], v1 offset:1456
	;; [unrolled: 1-line block ×4, first 2 shown]
	buffer_load_dword v35, off, s[0:3], 0 offset:620
	buffer_load_dword v34, off, s[0:3], 0 offset:616
	;; [unrolled: 1-line block ×48, first 2 shown]
	v_cmp_lt_u32_e32 vcc, 31, v254
	s_waitcnt vmcnt(42) lgkmcnt(0)
	v_mul_f64 v[104:105], v[14:15], v[38:39]
	s_waitcnt vmcnt(40)
	v_fmac_f64_e32 v[104:105], v[16:17], v[40:41]
	v_mul_f64 v[82:83], v[2:3], v[24:25]
	v_fmac_f64_e32 v[82:83], v[4:5], v[22:23]
	v_add_f64 v[82:83], v[82:83], 0
	v_mul_f64 v[4:5], v[4:5], v[24:25]
	v_mul_f64 v[84:85], v[6:7], v[32:33]
	v_fma_f64 v[2:3], v[2:3], v[22:23], -v[4:5]
	v_mul_f64 v[98:99], v[10:11], v[26:27]
	v_fmac_f64_e32 v[98:99], v[12:13], v[30:31]
	v_fmac_f64_e32 v[84:85], v[8:9], v[28:29]
	v_add_f64 v[100:101], v[82:83], v[84:85]
	buffer_load_dword v83, off, s[0:3], 0 offset:812
	buffer_load_dword v82, off, s[0:3], 0 offset:808
	;; [unrolled: 1-line block ×32, first 2 shown]
	v_add_f64 v[102:103], v[100:101], v[98:99]
	ds_read_b128 v[98:101], v1 offset:1504
	buffer_load_dword v195, off, s[0:3], 0 offset:924
	buffer_load_dword v194, off, s[0:3], 0 offset:920
	;; [unrolled: 1-line block ×4, first 2 shown]
	v_add_f64 v[106:107], v[102:103], v[104:105]
	ds_read_b128 v[102:105], v1 offset:1520
	v_mul_f64 v[4:5], v[8:9], v[32:33]
	s_waitcnt lgkmcnt(1)
	v_mul_f64 v[108:109], v[98:99], v[34:35]
	v_fmac_f64_e32 v[108:109], v[100:101], v[36:37]
	v_add_f64 v[110:111], v[106:107], v[108:109]
	ds_read_b128 v[106:109], v1 offset:1536
	s_waitcnt vmcnt(62) lgkmcnt(1)
	v_mul_f64 v[112:113], v[102:103], v[46:47]
	v_fmac_f64_e32 v[112:113], v[104:105], v[48:49]
	v_add_f64 v[114:115], v[110:111], v[112:113]
	ds_read_b128 v[110:113], v1 offset:1552
	s_waitcnt lgkmcnt(1)
	v_mul_f64 v[116:117], v[106:107], v[42:43]
	v_fmac_f64_e32 v[116:117], v[108:109], v[44:45]
	v_add_f64 v[120:121], v[114:115], v[116:117]
	ds_read_b128 v[114:117], v1 offset:1568
	s_waitcnt lgkmcnt(1)
	v_mul_f64 v[122:123], v[110:111], v[54:55]
	s_waitcnt vmcnt(60)
	v_fmac_f64_e32 v[122:123], v[112:113], v[56:57]
	v_add_f64 v[124:125], v[120:121], v[122:123]
	ds_read_b128 v[120:123], v1 offset:1584
	s_waitcnt lgkmcnt(1)
	v_mul_f64 v[126:127], v[114:115], v[50:51]
	v_fmac_f64_e32 v[126:127], v[116:117], v[52:53]
	v_add_f64 v[128:129], v[124:125], v[126:127]
	ds_read_b128 v[124:127], v1 offset:1600
	s_waitcnt vmcnt(54) lgkmcnt(1)
	v_mul_f64 v[130:131], v[120:121], v[62:63]
	s_waitcnt vmcnt(52)
	v_fmac_f64_e32 v[130:131], v[122:123], v[64:65]
	v_add_f64 v[132:133], v[128:129], v[130:131]
	ds_read_b128 v[128:131], v1 offset:1616
	s_waitcnt lgkmcnt(1)
	v_mul_f64 v[134:135], v[124:125], v[58:59]
	v_fmac_f64_e32 v[134:135], v[126:127], v[60:61]
	v_add_f64 v[2:3], v[2:3], 0
	v_fma_f64 v[4:5], v[6:7], v[28:29], -v[4:5]
	v_add_f64 v[136:137], v[132:133], v[134:135]
	ds_read_b128 v[132:135], v1 offset:1632
	v_add_f64 v[2:3], v[2:3], v[4:5]
	v_mul_f64 v[4:5], v[12:13], v[26:27]
	v_fma_f64 v[4:5], v[10:11], v[30:31], -v[4:5]
	v_add_f64 v[2:3], v[2:3], v[4:5]
	v_mul_f64 v[4:5], v[16:17], v[38:39]
	s_waitcnt vmcnt(46) lgkmcnt(1)
	v_mul_f64 v[138:139], v[128:129], v[70:71]
	v_fma_f64 v[4:5], v[14:15], v[40:41], -v[4:5]
	s_waitcnt vmcnt(44)
	v_fmac_f64_e32 v[138:139], v[130:131], v[72:73]
	v_add_f64 v[2:3], v[2:3], v[4:5]
	v_mul_f64 v[4:5], v[100:101], v[34:35]
	v_add_f64 v[140:141], v[136:137], v[138:139]
	ds_read_b128 v[136:139], v1 offset:1648
	s_waitcnt lgkmcnt(1)
	v_mul_f64 v[142:143], v[132:133], v[66:67]
	v_fma_f64 v[4:5], v[98:99], v[36:37], -v[4:5]
	v_fmac_f64_e32 v[142:143], v[134:135], v[68:69]
	v_add_f64 v[2:3], v[2:3], v[4:5]
	v_mul_f64 v[4:5], v[104:105], v[46:47]
	v_add_f64 v[144:145], v[140:141], v[142:143]
	ds_read_b128 v[140:143], v1 offset:1664
	v_fma_f64 v[4:5], v[102:103], v[48:49], -v[4:5]
	v_add_f64 v[2:3], v[2:3], v[4:5]
	v_mul_f64 v[4:5], v[108:109], v[42:43]
	v_fma_f64 v[4:5], v[106:107], v[44:45], -v[4:5]
	s_waitcnt vmcnt(38) lgkmcnt(1)
	v_mul_f64 v[146:147], v[136:137], v[78:79]
	v_add_f64 v[2:3], v[2:3], v[4:5]
	v_mul_f64 v[4:5], v[112:113], v[54:55]
	s_waitcnt vmcnt(36)
	v_fmac_f64_e32 v[146:147], v[138:139], v[80:81]
	v_fma_f64 v[4:5], v[110:111], v[56:57], -v[4:5]
	v_add_f64 v[148:149], v[144:145], v[146:147]
	ds_read_b128 v[144:147], v1 offset:1680
	s_waitcnt lgkmcnt(1)
	v_mul_f64 v[150:151], v[140:141], v[74:75]
	v_add_f64 v[2:3], v[2:3], v[4:5]
	v_mul_f64 v[4:5], v[116:117], v[50:51]
	v_fmac_f64_e32 v[150:151], v[142:143], v[76:77]
	v_fma_f64 v[4:5], v[114:115], v[52:53], -v[4:5]
	v_add_f64 v[152:153], v[148:149], v[150:151]
	ds_read_b128 v[148:151], v1 offset:1696
	v_add_f64 v[2:3], v[2:3], v[4:5]
	v_mul_f64 v[4:5], v[122:123], v[62:63]
	v_fma_f64 v[4:5], v[120:121], v[64:65], -v[4:5]
	v_add_f64 v[2:3], v[2:3], v[4:5]
	v_mul_f64 v[4:5], v[126:127], v[58:59]
	s_waitcnt vmcnt(30) lgkmcnt(1)
	v_mul_f64 v[154:155], v[144:145], v[86:87]
	v_fma_f64 v[4:5], v[124:125], v[60:61], -v[4:5]
	s_waitcnt vmcnt(28)
	v_fmac_f64_e32 v[154:155], v[146:147], v[88:89]
	v_add_f64 v[2:3], v[2:3], v[4:5]
	v_mul_f64 v[4:5], v[130:131], v[70:71]
	v_add_f64 v[156:157], v[152:153], v[154:155]
	ds_read_b128 v[152:155], v1 offset:1712
	s_waitcnt lgkmcnt(1)
	v_mul_f64 v[158:159], v[148:149], v[82:83]
	v_fma_f64 v[4:5], v[128:129], v[72:73], -v[4:5]
	v_fmac_f64_e32 v[158:159], v[150:151], v[84:85]
	v_add_f64 v[2:3], v[2:3], v[4:5]
	v_mul_f64 v[4:5], v[134:135], v[66:67]
	v_add_f64 v[160:161], v[156:157], v[158:159]
	ds_read_b128 v[156:159], v1 offset:1728
	v_fma_f64 v[4:5], v[132:133], v[68:69], -v[4:5]
	v_add_f64 v[2:3], v[2:3], v[4:5]
	v_mul_f64 v[4:5], v[138:139], v[78:79]
	v_fma_f64 v[4:5], v[136:137], v[80:81], -v[4:5]
	s_waitcnt vmcnt(22) lgkmcnt(1)
	v_mul_f64 v[162:163], v[152:153], v[94:95]
	v_add_f64 v[2:3], v[2:3], v[4:5]
	v_mul_f64 v[4:5], v[142:143], v[74:75]
	s_waitcnt vmcnt(20)
	v_fmac_f64_e32 v[162:163], v[154:155], v[96:97]
	v_fma_f64 v[4:5], v[140:141], v[76:77], -v[4:5]
	v_add_f64 v[164:165], v[160:161], v[162:163]
	ds_read_b128 v[160:163], v1 offset:1744
	s_waitcnt lgkmcnt(1)
	v_mul_f64 v[166:167], v[156:157], v[90:91]
	v_add_f64 v[2:3], v[2:3], v[4:5]
	v_mul_f64 v[4:5], v[146:147], v[86:87]
	v_fmac_f64_e32 v[166:167], v[158:159], v[92:93]
	v_fma_f64 v[4:5], v[144:145], v[88:89], -v[4:5]
	v_add_f64 v[168:169], v[164:165], v[166:167]
	ds_read_b128 v[164:167], v1 offset:1760
	v_add_f64 v[2:3], v[2:3], v[4:5]
	v_mul_f64 v[4:5], v[150:151], v[82:83]
	v_fma_f64 v[4:5], v[148:149], v[84:85], -v[4:5]
	v_add_f64 v[2:3], v[2:3], v[4:5]
	v_mul_f64 v[4:5], v[154:155], v[94:95]
	s_waitcnt vmcnt(14) lgkmcnt(1)
	v_mul_f64 v[170:171], v[160:161], v[182:183]
	v_fma_f64 v[4:5], v[152:153], v[96:97], -v[4:5]
	s_waitcnt vmcnt(12)
	v_fmac_f64_e32 v[170:171], v[162:163], v[184:185]
	v_add_f64 v[2:3], v[2:3], v[4:5]
	v_mul_f64 v[4:5], v[158:159], v[90:91]
	v_add_f64 v[172:173], v[168:169], v[170:171]
	ds_read_b128 v[168:171], v1 offset:1776
	s_waitcnt lgkmcnt(1)
	v_mul_f64 v[174:175], v[164:165], v[118:119]
	v_fma_f64 v[4:5], v[156:157], v[92:93], -v[4:5]
	v_fmac_f64_e32 v[174:175], v[166:167], v[180:181]
	v_add_f64 v[2:3], v[2:3], v[4:5]
	v_mul_f64 v[4:5], v[162:163], v[182:183]
	v_add_f64 v[198:199], v[172:173], v[174:175]
	ds_read_b128 v[172:175], v1 offset:1792
	v_fma_f64 v[4:5], v[160:161], v[184:185], -v[4:5]
	v_add_f64 v[2:3], v[2:3], v[4:5]
	v_mul_f64 v[4:5], v[166:167], v[118:119]
	ds_read_b128 v[176:179], v1 offset:1808
	v_fma_f64 v[4:5], v[164:165], v[180:181], -v[4:5]
	v_add_f64 v[2:3], v[2:3], v[4:5]
	s_waitcnt vmcnt(6) lgkmcnt(2)
	v_mul_f64 v[4:5], v[170:171], v[190:191]
	v_mul_f64 v[200:201], v[168:169], v[190:191]
	s_waitcnt vmcnt(4)
	v_fma_f64 v[4:5], v[168:169], v[192:193], -v[4:5]
	v_fmac_f64_e32 v[200:201], v[170:171], v[192:193]
	v_add_f64 v[2:3], v[2:3], v[4:5]
	s_waitcnt lgkmcnt(1)
	v_mul_f64 v[4:5], v[174:175], v[186:187]
	v_add_f64 v[198:199], v[198:199], v[200:201]
	v_mul_f64 v[200:201], v[172:173], v[186:187]
	v_fma_f64 v[4:5], v[172:173], v[188:189], -v[4:5]
	v_fmac_f64_e32 v[200:201], v[174:175], v[188:189]
	v_add_f64 v[2:3], v[2:3], v[4:5]
	s_waitcnt vmcnt(2) lgkmcnt(0)
	v_mul_f64 v[4:5], v[178:179], v[194:195]
	v_add_f64 v[198:199], v[198:199], v[200:201]
	v_mul_f64 v[200:201], v[176:177], v[194:195]
	s_waitcnt vmcnt(0)
	v_fma_f64 v[4:5], v[176:177], v[196:197], -v[4:5]
	v_fmac_f64_e32 v[200:201], v[178:179], v[196:197]
	v_add_f64 v[2:3], v[2:3], v[4:5]
	v_add_f64 v[198:199], v[198:199], v[200:201]
	v_add_f64 v[2:3], v[20:21], -v[2:3]
	v_add_f64 v[4:5], v[18:19], -v[198:199]
	buffer_store_dword v3, off, s[0:3], 0 offset:532
	buffer_store_dword v2, off, s[0:3], 0 offset:528
	;; [unrolled: 1-line block ×4, first 2 shown]
	s_and_saveexec_b64 s[4:5], vcc
	s_cbranch_execz .LBB56_293
; %bb.292:
	v_accvgpr_read_b32 v0, a139
	buffer_load_dword v2, v0, s[0:3], 0 offen
	buffer_load_dword v3, v0, s[0:3], 0 offen offset:4
	buffer_load_dword v4, v0, s[0:3], 0 offen offset:8
	;; [unrolled: 1-line block ×3, first 2 shown]
	v_mov_b32_e32 v0, 0
	v_accvgpr_read_b32 v1, a171
	buffer_store_dword v0, off, s[0:3], 0 offset:512
	buffer_store_dword v0, off, s[0:3], 0 offset:516
	;; [unrolled: 1-line block ×4, first 2 shown]
	s_waitcnt vmcnt(4)
	ds_write_b128 v1, v[2:5]
.LBB56_293:
	s_or_b64 exec, exec, s[4:5]
	s_waitcnt lgkmcnt(0)
	; wave barrier
	s_waitcnt lgkmcnt(0)
	buffer_load_dword v22, off, s[0:3], 0 offset:528
	buffer_load_dword v23, off, s[0:3], 0 offset:532
	;; [unrolled: 1-line block ×64, first 2 shown]
	v_mov_b32_e32 v1, 0
	ds_read_b128 v[18:21], v1 offset:1424
	ds_read_b128 v[14:17], v1 offset:1440
	;; [unrolled: 1-line block ×5, first 2 shown]
	v_cmp_lt_u32_e32 vcc, 30, v254
	s_waitcnt vmcnt(60) lgkmcnt(4)
	v_mul_f64 v[86:87], v[18:19], v[26:27]
	v_fmac_f64_e32 v[86:87], v[20:21], v[22:23]
	v_add_f64 v[86:87], v[86:87], 0
	v_mul_f64 v[20:21], v[20:21], v[26:27]
	s_waitcnt vmcnt(56) lgkmcnt(3)
	v_mul_f64 v[88:89], v[14:15], v[28:29]
	v_fmac_f64_e32 v[88:89], v[16:17], v[24:25]
	s_waitcnt vmcnt(54) lgkmcnt(2)
	v_mul_f64 v[90:91], v[10:11], v[30:31]
	v_add_f64 v[86:87], v[86:87], v[88:89]
	v_fma_f64 v[18:19], v[18:19], v[22:23], -v[20:21]
	v_mul_f64 v[16:17], v[16:17], v[28:29]
	s_waitcnt vmcnt(50) lgkmcnt(1)
	v_mul_f64 v[102:103], v[6:7], v[40:41]
	v_add_f64 v[18:19], v[18:19], 0
	s_waitcnt vmcnt(48)
	v_fmac_f64_e32 v[90:91], v[12:13], v[44:45]
	v_add_f64 v[104:105], v[86:87], v[90:91]
	buffer_load_dword v87, off, s[0:3], 0 offset:796
	buffer_load_dword v86, off, s[0:3], 0 offset:792
	;; [unrolled: 1-line block ×40, first 2 shown]
	s_waitcnt vmcnt(62)
	v_fmac_f64_e32 v[102:103], v[8:9], v[42:43]
	v_add_f64 v[106:107], v[104:105], v[102:103]
	ds_read_b128 v[102:105], v1 offset:1504
	s_waitcnt lgkmcnt(1)
	v_mul_f64 v[108:109], v[2:3], v[36:37]
	v_fmac_f64_e32 v[108:109], v[4:5], v[38:39]
	v_add_f64 v[110:111], v[106:107], v[108:109]
	ds_read_b128 v[106:109], v1 offset:1520
	s_waitcnt lgkmcnt(1)
	v_mul_f64 v[112:113], v[102:103], v[50:51]
	v_fmac_f64_e32 v[112:113], v[104:105], v[52:53]
	v_add_f64 v[114:115], v[110:111], v[112:113]
	ds_read_b128 v[110:113], v1 offset:1536
	s_waitcnt lgkmcnt(1)
	v_mul_f64 v[116:117], v[106:107], v[46:47]
	v_fmac_f64_e32 v[116:117], v[108:109], v[48:49]
	v_add_f64 v[120:121], v[114:115], v[116:117]
	ds_read_b128 v[114:117], v1 offset:1552
	s_waitcnt lgkmcnt(1)
	v_mul_f64 v[122:123], v[110:111], v[58:59]
	v_fmac_f64_e32 v[122:123], v[112:113], v[60:61]
	v_add_f64 v[124:125], v[120:121], v[122:123]
	ds_read_b128 v[120:123], v1 offset:1568
	s_waitcnt lgkmcnt(1)
	v_mul_f64 v[126:127], v[114:115], v[54:55]
	v_fmac_f64_e32 v[126:127], v[116:117], v[56:57]
	v_add_f64 v[128:129], v[124:125], v[126:127]
	ds_read_b128 v[124:127], v1 offset:1584
	s_waitcnt vmcnt(58) lgkmcnt(1)
	v_mul_f64 v[130:131], v[120:121], v[66:67]
	s_waitcnt vmcnt(56)
	v_fmac_f64_e32 v[130:131], v[122:123], v[68:69]
	v_add_f64 v[132:133], v[128:129], v[130:131]
	ds_read_b128 v[128:131], v1 offset:1600
	s_waitcnt lgkmcnt(1)
	v_mul_f64 v[134:135], v[124:125], v[62:63]
	v_fmac_f64_e32 v[134:135], v[126:127], v[64:65]
	v_add_f64 v[136:137], v[132:133], v[134:135]
	ds_read_b128 v[132:135], v1 offset:1616
	s_waitcnt vmcnt(50) lgkmcnt(1)
	v_mul_f64 v[138:139], v[128:129], v[74:75]
	s_waitcnt vmcnt(48)
	v_fmac_f64_e32 v[138:139], v[130:131], v[76:77]
	v_add_f64 v[140:141], v[136:137], v[138:139]
	ds_read_b128 v[136:139], v1 offset:1632
	v_fma_f64 v[14:15], v[14:15], v[24:25], -v[16:17]
	v_mul_f64 v[12:13], v[12:13], v[30:31]
	v_add_f64 v[14:15], v[18:19], v[14:15]
	v_fma_f64 v[10:11], v[10:11], v[44:45], -v[12:13]
	v_mul_f64 v[8:9], v[8:9], v[40:41]
	s_waitcnt lgkmcnt(1)
	v_mul_f64 v[142:143], v[132:133], v[70:71]
	v_add_f64 v[10:11], v[14:15], v[10:11]
	v_fma_f64 v[6:7], v[6:7], v[42:43], -v[8:9]
	v_mul_f64 v[4:5], v[4:5], v[36:37]
	v_fmac_f64_e32 v[142:143], v[134:135], v[72:73]
	v_add_f64 v[6:7], v[10:11], v[6:7]
	v_fma_f64 v[2:3], v[2:3], v[38:39], -v[4:5]
	v_mul_f64 v[4:5], v[104:105], v[50:51]
	v_add_f64 v[144:145], v[140:141], v[142:143]
	ds_read_b128 v[140:143], v1 offset:1648
	s_waitcnt vmcnt(42) lgkmcnt(1)
	v_mul_f64 v[146:147], v[136:137], v[82:83]
	v_add_f64 v[2:3], v[6:7], v[2:3]
	v_fma_f64 v[4:5], v[102:103], v[52:53], -v[4:5]
	s_waitcnt vmcnt(40)
	v_fmac_f64_e32 v[146:147], v[138:139], v[84:85]
	v_add_f64 v[2:3], v[2:3], v[4:5]
	v_mul_f64 v[4:5], v[108:109], v[46:47]
	v_add_f64 v[148:149], v[144:145], v[146:147]
	ds_read_b128 v[144:147], v1 offset:1664
	v_fma_f64 v[4:5], v[106:107], v[48:49], -v[4:5]
	v_add_f64 v[2:3], v[2:3], v[4:5]
	v_mul_f64 v[4:5], v[112:113], v[58:59]
	v_fma_f64 v[4:5], v[110:111], v[60:61], -v[4:5]
	s_waitcnt lgkmcnt(1)
	v_mul_f64 v[150:151], v[140:141], v[78:79]
	v_add_f64 v[2:3], v[2:3], v[4:5]
	v_mul_f64 v[4:5], v[116:117], v[54:55]
	v_fmac_f64_e32 v[150:151], v[142:143], v[80:81]
	v_fma_f64 v[4:5], v[114:115], v[56:57], -v[4:5]
	v_add_f64 v[152:153], v[148:149], v[150:151]
	ds_read_b128 v[148:151], v1 offset:1680
	s_waitcnt vmcnt(34) lgkmcnt(1)
	v_mul_f64 v[154:155], v[144:145], v[90:91]
	v_add_f64 v[2:3], v[2:3], v[4:5]
	v_mul_f64 v[4:5], v[122:123], v[66:67]
	s_waitcnt vmcnt(32)
	v_fmac_f64_e32 v[154:155], v[146:147], v[92:93]
	v_fma_f64 v[4:5], v[120:121], v[68:69], -v[4:5]
	v_add_f64 v[156:157], v[152:153], v[154:155]
	ds_read_b128 v[152:155], v1 offset:1696
	v_add_f64 v[2:3], v[2:3], v[4:5]
	v_mul_f64 v[4:5], v[126:127], v[62:63]
	v_fma_f64 v[4:5], v[124:125], v[64:65], -v[4:5]
	v_add_f64 v[2:3], v[2:3], v[4:5]
	v_mul_f64 v[4:5], v[130:131], v[74:75]
	s_waitcnt lgkmcnt(1)
	v_mul_f64 v[158:159], v[148:149], v[86:87]
	v_fma_f64 v[4:5], v[128:129], v[76:77], -v[4:5]
	v_fmac_f64_e32 v[158:159], v[150:151], v[88:89]
	v_add_f64 v[2:3], v[2:3], v[4:5]
	v_mul_f64 v[4:5], v[134:135], v[70:71]
	v_add_f64 v[160:161], v[156:157], v[158:159]
	ds_read_b128 v[156:159], v1 offset:1712
	s_waitcnt vmcnt(26) lgkmcnt(1)
	v_mul_f64 v[162:163], v[152:153], v[98:99]
	v_fma_f64 v[4:5], v[132:133], v[72:73], -v[4:5]
	s_waitcnt vmcnt(24)
	v_fmac_f64_e32 v[162:163], v[154:155], v[100:101]
	v_add_f64 v[2:3], v[2:3], v[4:5]
	v_mul_f64 v[4:5], v[138:139], v[82:83]
	v_add_f64 v[164:165], v[160:161], v[162:163]
	ds_read_b128 v[160:163], v1 offset:1728
	v_fma_f64 v[4:5], v[136:137], v[84:85], -v[4:5]
	v_add_f64 v[2:3], v[2:3], v[4:5]
	v_mul_f64 v[4:5], v[142:143], v[78:79]
	v_fma_f64 v[4:5], v[140:141], v[80:81], -v[4:5]
	s_waitcnt lgkmcnt(1)
	v_mul_f64 v[166:167], v[156:157], v[94:95]
	v_add_f64 v[2:3], v[2:3], v[4:5]
	v_mul_f64 v[4:5], v[146:147], v[90:91]
	v_fmac_f64_e32 v[166:167], v[158:159], v[96:97]
	v_fma_f64 v[4:5], v[144:145], v[92:93], -v[4:5]
	v_add_f64 v[168:169], v[164:165], v[166:167]
	ds_read_b128 v[164:167], v1 offset:1744
	s_waitcnt vmcnt(18) lgkmcnt(1)
	v_mul_f64 v[170:171], v[160:161], v[186:187]
	v_add_f64 v[2:3], v[2:3], v[4:5]
	v_mul_f64 v[4:5], v[150:151], v[86:87]
	s_waitcnt vmcnt(16)
	v_fmac_f64_e32 v[170:171], v[162:163], v[188:189]
	v_fma_f64 v[4:5], v[148:149], v[88:89], -v[4:5]
	v_add_f64 v[172:173], v[168:169], v[170:171]
	ds_read_b128 v[168:171], v1 offset:1760
	v_add_f64 v[2:3], v[2:3], v[4:5]
	v_mul_f64 v[4:5], v[154:155], v[98:99]
	v_fma_f64 v[4:5], v[152:153], v[100:101], -v[4:5]
	v_add_f64 v[2:3], v[2:3], v[4:5]
	v_mul_f64 v[4:5], v[158:159], v[94:95]
	s_waitcnt lgkmcnt(1)
	v_mul_f64 v[174:175], v[164:165], v[118:119]
	v_fma_f64 v[4:5], v[156:157], v[96:97], -v[4:5]
	v_fmac_f64_e32 v[174:175], v[166:167], v[184:185]
	v_add_f64 v[2:3], v[2:3], v[4:5]
	v_mul_f64 v[4:5], v[162:163], v[186:187]
	v_add_f64 v[176:177], v[172:173], v[174:175]
	ds_read_b128 v[172:175], v1 offset:1776
	s_waitcnt vmcnt(10) lgkmcnt(1)
	v_mul_f64 v[178:179], v[168:169], v[194:195]
	v_fma_f64 v[4:5], v[160:161], v[188:189], -v[4:5]
	s_waitcnt vmcnt(8)
	v_fmac_f64_e32 v[178:179], v[170:171], v[196:197]
	v_add_f64 v[2:3], v[2:3], v[4:5]
	v_mul_f64 v[4:5], v[166:167], v[118:119]
	v_add_f64 v[206:207], v[176:177], v[178:179]
	ds_read_b128 v[176:179], v1 offset:1792
	ds_read_b128 v[180:183], v1 offset:1808
	v_fma_f64 v[4:5], v[164:165], v[184:185], -v[4:5]
	v_add_f64 v[2:3], v[2:3], v[4:5]
	v_mul_f64 v[4:5], v[170:171], v[194:195]
	v_fma_f64 v[4:5], v[168:169], v[196:197], -v[4:5]
	v_add_f64 v[2:3], v[2:3], v[4:5]
	s_waitcnt lgkmcnt(2)
	v_mul_f64 v[4:5], v[174:175], v[190:191]
	v_mul_f64 v[208:209], v[172:173], v[190:191]
	v_fma_f64 v[4:5], v[172:173], v[192:193], -v[4:5]
	v_fmac_f64_e32 v[208:209], v[174:175], v[192:193]
	v_add_f64 v[2:3], v[2:3], v[4:5]
	s_waitcnt vmcnt(2) lgkmcnt(1)
	v_mul_f64 v[4:5], v[178:179], v[202:203]
	v_add_f64 v[206:207], v[206:207], v[208:209]
	v_mul_f64 v[208:209], v[176:177], v[202:203]
	s_waitcnt vmcnt(0)
	v_fma_f64 v[4:5], v[176:177], v[204:205], -v[4:5]
	v_fmac_f64_e32 v[208:209], v[178:179], v[204:205]
	v_add_f64 v[2:3], v[2:3], v[4:5]
	s_waitcnt lgkmcnt(0)
	v_mul_f64 v[4:5], v[182:183], v[198:199]
	v_add_f64 v[206:207], v[206:207], v[208:209]
	v_mul_f64 v[208:209], v[180:181], v[198:199]
	v_fma_f64 v[4:5], v[180:181], v[200:201], -v[4:5]
	v_fmac_f64_e32 v[208:209], v[182:183], v[200:201]
	v_add_f64 v[2:3], v[2:3], v[4:5]
	v_add_f64 v[206:207], v[206:207], v[208:209]
	v_add_f64 v[2:3], v[34:35], -v[2:3]
	v_add_f64 v[4:5], v[32:33], -v[206:207]
	buffer_store_dword v3, off, s[0:3], 0 offset:516
	buffer_store_dword v2, off, s[0:3], 0 offset:512
	;; [unrolled: 1-line block ×4, first 2 shown]
	s_and_saveexec_b64 s[4:5], vcc
	s_cbranch_execz .LBB56_295
; %bb.294:
	v_accvgpr_read_b32 v0, a140
	buffer_load_dword v2, v0, s[0:3], 0 offen
	buffer_load_dword v3, v0, s[0:3], 0 offen offset:4
	buffer_load_dword v4, v0, s[0:3], 0 offen offset:8
	;; [unrolled: 1-line block ×3, first 2 shown]
	v_accvgpr_read_b32 v0, a171
	buffer_store_dword v1, off, s[0:3], 0 offset:496
	buffer_store_dword v1, off, s[0:3], 0 offset:500
	;; [unrolled: 1-line block ×4, first 2 shown]
	s_waitcnt vmcnt(4)
	ds_write_b128 v0, v[2:5]
.LBB56_295:
	s_or_b64 exec, exec, s[4:5]
	s_waitcnt lgkmcnt(0)
	; wave barrier
	s_waitcnt lgkmcnt(0)
	buffer_load_dword v26, off, s[0:3], 0 offset:512
	buffer_load_dword v27, off, s[0:3], 0 offset:516
	;; [unrolled: 1-line block ×24, first 2 shown]
	ds_read_b128 v[22:25], v1 offset:1408
	ds_read_b128 v[18:21], v1 offset:1424
	;; [unrolled: 1-line block ×6, first 2 shown]
	buffer_load_dword v51, off, s[0:3], 0 offset:620
	buffer_load_dword v50, off, s[0:3], 0 offset:616
	;; [unrolled: 1-line block ×40, first 2 shown]
	v_cmp_lt_u32_e32 vcc, 29, v254
	s_waitcnt vmcnt(34) lgkmcnt(0)
	v_mul_f64 v[122:123], v[14:15], v[54:55]
	s_waitcnt vmcnt(32)
	v_fmac_f64_e32 v[122:123], v[16:17], v[56:57]
	v_mul_f64 v[90:91], v[22:23], v[28:29]
	v_fmac_f64_e32 v[90:91], v[24:25], v[26:27]
	v_mul_f64 v[92:93], v[18:19], v[30:31]
	v_add_f64 v[90:91], v[90:91], 0
	v_mul_f64 v[94:95], v[10:11], v[32:33]
	v_mul_f64 v[24:25], v[24:25], v[28:29]
	;; [unrolled: 1-line block ×3, first 2 shown]
	v_fma_f64 v[22:23], v[22:23], v[26:27], -v[24:25]
	v_add_f64 v[22:23], v[22:23], 0
	v_mul_f64 v[96:97], v[6:7], v[42:43]
	v_fmac_f64_e32 v[92:93], v[20:21], v[48:49]
	v_add_f64 v[90:91], v[90:91], v[92:93]
	v_fmac_f64_e32 v[94:95], v[12:13], v[46:47]
	v_add_f64 v[90:91], v[90:91], v[94:95]
	;; [unrolled: 2-line block ×3, first 2 shown]
	buffer_load_dword v91, off, s[0:3], 0 offset:780
	buffer_load_dword v90, off, s[0:3], 0 offset:776
	;; [unrolled: 1-line block ×40, first 2 shown]
	v_fmac_f64_e32 v[114:115], v[4:5], v[40:41]
	v_add_f64 v[120:121], v[116:117], v[114:115]
	ds_read_b128 v[114:117], v1 offset:1504
	buffer_load_dword v211, off, s[0:3], 0 offset:924
	buffer_load_dword v210, off, s[0:3], 0 offset:920
	buffer_load_dword v213, off, s[0:3], 0 offset:916
	buffer_load_dword v212, off, s[0:3], 0 offset:912
	v_add_f64 v[124:125], v[120:121], v[122:123]
	ds_read_b128 v[120:123], v1 offset:1520
	v_mul_f64 v[20:21], v[20:21], v[30:31]
	s_waitcnt lgkmcnt(1)
	v_mul_f64 v[126:127], v[114:115], v[50:51]
	v_fmac_f64_e32 v[126:127], v[116:117], v[52:53]
	v_add_f64 v[128:129], v[124:125], v[126:127]
	ds_read_b128 v[124:127], v1 offset:1536
	s_waitcnt vmcnt(62) lgkmcnt(1)
	v_mul_f64 v[130:131], v[120:121], v[62:63]
	v_fmac_f64_e32 v[130:131], v[122:123], v[64:65]
	v_add_f64 v[132:133], v[128:129], v[130:131]
	ds_read_b128 v[128:131], v1 offset:1552
	s_waitcnt lgkmcnt(1)
	v_mul_f64 v[134:135], v[124:125], v[58:59]
	v_fmac_f64_e32 v[134:135], v[126:127], v[60:61]
	v_add_f64 v[136:137], v[132:133], v[134:135]
	ds_read_b128 v[132:135], v1 offset:1568
	s_waitcnt lgkmcnt(1)
	v_mul_f64 v[138:139], v[128:129], v[70:71]
	s_waitcnt vmcnt(60)
	v_fmac_f64_e32 v[138:139], v[130:131], v[72:73]
	v_add_f64 v[140:141], v[136:137], v[138:139]
	ds_read_b128 v[136:139], v1 offset:1584
	s_waitcnt lgkmcnt(1)
	v_mul_f64 v[142:143], v[132:133], v[66:67]
	v_fmac_f64_e32 v[142:143], v[134:135], v[68:69]
	v_add_f64 v[144:145], v[140:141], v[142:143]
	ds_read_b128 v[140:143], v1 offset:1600
	s_waitcnt vmcnt(54) lgkmcnt(1)
	v_mul_f64 v[146:147], v[136:137], v[78:79]
	s_waitcnt vmcnt(52)
	v_fmac_f64_e32 v[146:147], v[138:139], v[80:81]
	v_add_f64 v[148:149], v[144:145], v[146:147]
	ds_read_b128 v[144:147], v1 offset:1616
	s_waitcnt lgkmcnt(1)
	v_mul_f64 v[150:151], v[140:141], v[74:75]
	v_fmac_f64_e32 v[150:151], v[142:143], v[76:77]
	v_fma_f64 v[18:19], v[18:19], v[48:49], -v[20:21]
	v_mul_f64 v[12:13], v[12:13], v[32:33]
	v_add_f64 v[152:153], v[148:149], v[150:151]
	ds_read_b128 v[148:151], v1 offset:1632
	v_add_f64 v[18:19], v[22:23], v[18:19]
	v_fma_f64 v[10:11], v[10:11], v[46:47], -v[12:13]
	v_mul_f64 v[8:9], v[8:9], v[42:43]
	v_add_f64 v[10:11], v[18:19], v[10:11]
	v_fma_f64 v[6:7], v[6:7], v[44:45], -v[8:9]
	v_mul_f64 v[4:5], v[4:5], v[38:39]
	;; [unrolled: 3-line block ×3, first 2 shown]
	s_waitcnt vmcnt(46) lgkmcnt(1)
	v_mul_f64 v[154:155], v[144:145], v[86:87]
	v_add_f64 v[2:3], v[6:7], v[2:3]
	v_fma_f64 v[4:5], v[14:15], v[56:57], -v[4:5]
	s_waitcnt vmcnt(44)
	v_fmac_f64_e32 v[154:155], v[146:147], v[88:89]
	v_add_f64 v[2:3], v[2:3], v[4:5]
	v_mul_f64 v[4:5], v[116:117], v[50:51]
	v_add_f64 v[156:157], v[152:153], v[154:155]
	ds_read_b128 v[152:155], v1 offset:1648
	s_waitcnt lgkmcnt(1)
	v_mul_f64 v[158:159], v[148:149], v[82:83]
	v_fma_f64 v[4:5], v[114:115], v[52:53], -v[4:5]
	v_fmac_f64_e32 v[158:159], v[150:151], v[84:85]
	v_add_f64 v[2:3], v[2:3], v[4:5]
	v_mul_f64 v[4:5], v[122:123], v[62:63]
	v_add_f64 v[160:161], v[156:157], v[158:159]
	ds_read_b128 v[156:159], v1 offset:1664
	v_fma_f64 v[4:5], v[120:121], v[64:65], -v[4:5]
	v_add_f64 v[2:3], v[2:3], v[4:5]
	v_mul_f64 v[4:5], v[126:127], v[58:59]
	v_fma_f64 v[4:5], v[124:125], v[60:61], -v[4:5]
	s_waitcnt vmcnt(38) lgkmcnt(1)
	v_mul_f64 v[162:163], v[152:153], v[94:95]
	v_add_f64 v[2:3], v[2:3], v[4:5]
	v_mul_f64 v[4:5], v[130:131], v[70:71]
	s_waitcnt vmcnt(36)
	v_fmac_f64_e32 v[162:163], v[154:155], v[96:97]
	v_fma_f64 v[4:5], v[128:129], v[72:73], -v[4:5]
	v_add_f64 v[164:165], v[160:161], v[162:163]
	ds_read_b128 v[160:163], v1 offset:1680
	s_waitcnt lgkmcnt(1)
	v_mul_f64 v[166:167], v[156:157], v[90:91]
	v_add_f64 v[2:3], v[2:3], v[4:5]
	v_mul_f64 v[4:5], v[134:135], v[66:67]
	v_fmac_f64_e32 v[166:167], v[158:159], v[92:93]
	v_fma_f64 v[4:5], v[132:133], v[68:69], -v[4:5]
	v_add_f64 v[168:169], v[164:165], v[166:167]
	ds_read_b128 v[164:167], v1 offset:1696
	v_add_f64 v[2:3], v[2:3], v[4:5]
	v_mul_f64 v[4:5], v[138:139], v[78:79]
	v_fma_f64 v[4:5], v[136:137], v[80:81], -v[4:5]
	v_add_f64 v[2:3], v[2:3], v[4:5]
	v_mul_f64 v[4:5], v[142:143], v[74:75]
	s_waitcnt vmcnt(30) lgkmcnt(1)
	v_mul_f64 v[170:171], v[160:161], v[102:103]
	v_fma_f64 v[4:5], v[140:141], v[76:77], -v[4:5]
	s_waitcnt vmcnt(28)
	v_fmac_f64_e32 v[170:171], v[162:163], v[104:105]
	v_add_f64 v[2:3], v[2:3], v[4:5]
	v_mul_f64 v[4:5], v[146:147], v[86:87]
	v_add_f64 v[172:173], v[168:169], v[170:171]
	ds_read_b128 v[168:171], v1 offset:1712
	s_waitcnt lgkmcnt(1)
	v_mul_f64 v[174:175], v[164:165], v[98:99]
	v_fma_f64 v[4:5], v[144:145], v[88:89], -v[4:5]
	v_fmac_f64_e32 v[174:175], v[166:167], v[100:101]
	v_add_f64 v[2:3], v[2:3], v[4:5]
	v_mul_f64 v[4:5], v[150:151], v[82:83]
	v_add_f64 v[176:177], v[172:173], v[174:175]
	ds_read_b128 v[172:175], v1 offset:1728
	v_fma_f64 v[4:5], v[148:149], v[84:85], -v[4:5]
	v_add_f64 v[2:3], v[2:3], v[4:5]
	v_mul_f64 v[4:5], v[154:155], v[94:95]
	v_fma_f64 v[4:5], v[152:153], v[96:97], -v[4:5]
	s_waitcnt vmcnt(22) lgkmcnt(1)
	v_mul_f64 v[178:179], v[168:169], v[110:111]
	v_add_f64 v[2:3], v[2:3], v[4:5]
	v_mul_f64 v[4:5], v[158:159], v[90:91]
	s_waitcnt vmcnt(20)
	v_fmac_f64_e32 v[178:179], v[170:171], v[112:113]
	v_fma_f64 v[4:5], v[156:157], v[92:93], -v[4:5]
	v_add_f64 v[180:181], v[176:177], v[178:179]
	ds_read_b128 v[176:179], v1 offset:1744
	s_waitcnt lgkmcnt(1)
	v_mul_f64 v[182:183], v[172:173], v[106:107]
	v_add_f64 v[2:3], v[2:3], v[4:5]
	v_mul_f64 v[4:5], v[162:163], v[102:103]
	v_fmac_f64_e32 v[182:183], v[174:175], v[108:109]
	v_fma_f64 v[4:5], v[160:161], v[104:105], -v[4:5]
	v_add_f64 v[184:185], v[180:181], v[182:183]
	ds_read_b128 v[180:183], v1 offset:1760
	v_add_f64 v[2:3], v[2:3], v[4:5]
	v_mul_f64 v[4:5], v[166:167], v[98:99]
	v_fma_f64 v[4:5], v[164:165], v[100:101], -v[4:5]
	v_add_f64 v[2:3], v[2:3], v[4:5]
	v_mul_f64 v[4:5], v[170:171], v[110:111]
	s_waitcnt vmcnt(14) lgkmcnt(1)
	v_mul_f64 v[186:187], v[176:177], v[198:199]
	v_fma_f64 v[4:5], v[168:169], v[112:113], -v[4:5]
	s_waitcnt vmcnt(12)
	v_fmac_f64_e32 v[186:187], v[178:179], v[200:201]
	v_add_f64 v[2:3], v[2:3], v[4:5]
	v_mul_f64 v[4:5], v[174:175], v[106:107]
	v_add_f64 v[188:189], v[184:185], v[186:187]
	ds_read_b128 v[184:187], v1 offset:1776
	s_waitcnt lgkmcnt(1)
	v_mul_f64 v[190:191], v[180:181], v[118:119]
	v_fma_f64 v[4:5], v[172:173], v[108:109], -v[4:5]
	v_fmac_f64_e32 v[190:191], v[182:183], v[196:197]
	v_add_f64 v[2:3], v[2:3], v[4:5]
	v_mul_f64 v[4:5], v[178:179], v[198:199]
	v_add_f64 v[214:215], v[188:189], v[190:191]
	ds_read_b128 v[188:191], v1 offset:1792
	v_fma_f64 v[4:5], v[176:177], v[200:201], -v[4:5]
	v_add_f64 v[2:3], v[2:3], v[4:5]
	v_mul_f64 v[4:5], v[182:183], v[118:119]
	ds_read_b128 v[192:195], v1 offset:1808
	v_fma_f64 v[4:5], v[180:181], v[196:197], -v[4:5]
	v_add_f64 v[2:3], v[2:3], v[4:5]
	s_waitcnt vmcnt(6) lgkmcnt(2)
	v_mul_f64 v[4:5], v[186:187], v[206:207]
	v_mul_f64 v[216:217], v[184:185], v[206:207]
	s_waitcnt vmcnt(4)
	v_fma_f64 v[4:5], v[184:185], v[208:209], -v[4:5]
	v_fmac_f64_e32 v[216:217], v[186:187], v[208:209]
	v_add_f64 v[2:3], v[2:3], v[4:5]
	s_waitcnt lgkmcnt(1)
	v_mul_f64 v[4:5], v[190:191], v[202:203]
	v_add_f64 v[214:215], v[214:215], v[216:217]
	v_mul_f64 v[216:217], v[188:189], v[202:203]
	v_fma_f64 v[4:5], v[188:189], v[204:205], -v[4:5]
	v_fmac_f64_e32 v[216:217], v[190:191], v[204:205]
	v_add_f64 v[2:3], v[2:3], v[4:5]
	s_waitcnt vmcnt(2) lgkmcnt(0)
	v_mul_f64 v[4:5], v[194:195], v[210:211]
	v_add_f64 v[214:215], v[214:215], v[216:217]
	v_mul_f64 v[216:217], v[192:193], v[210:211]
	s_waitcnt vmcnt(0)
	v_fma_f64 v[4:5], v[192:193], v[212:213], -v[4:5]
	v_fmac_f64_e32 v[216:217], v[194:195], v[212:213]
	v_add_f64 v[2:3], v[2:3], v[4:5]
	v_add_f64 v[214:215], v[214:215], v[216:217]
	v_add_f64 v[2:3], v[36:37], -v[2:3]
	v_add_f64 v[4:5], v[34:35], -v[214:215]
	buffer_store_dword v3, off, s[0:3], 0 offset:500
	buffer_store_dword v2, off, s[0:3], 0 offset:496
	;; [unrolled: 1-line block ×4, first 2 shown]
	s_and_saveexec_b64 s[4:5], vcc
	s_cbranch_execz .LBB56_297
; %bb.296:
	v_accvgpr_read_b32 v0, a141
	buffer_load_dword v2, v0, s[0:3], 0 offen
	buffer_load_dword v3, v0, s[0:3], 0 offen offset:4
	buffer_load_dword v4, v0, s[0:3], 0 offen offset:8
	;; [unrolled: 1-line block ×3, first 2 shown]
	v_mov_b32_e32 v0, 0
	v_accvgpr_read_b32 v1, a171
	buffer_store_dword v0, off, s[0:3], 0 offset:480
	buffer_store_dword v0, off, s[0:3], 0 offset:484
	;; [unrolled: 1-line block ×4, first 2 shown]
	s_waitcnt vmcnt(4)
	ds_write_b128 v1, v[2:5]
.LBB56_297:
	s_or_b64 exec, exec, s[4:5]
	s_waitcnt lgkmcnt(0)
	; wave barrier
	s_waitcnt lgkmcnt(0)
	buffer_load_dword v30, off, s[0:3], 0 offset:496
	buffer_load_dword v31, off, s[0:3], 0 offset:500
	;; [unrolled: 1-line block ×56, first 2 shown]
	v_mov_b32_e32 v1, 0
	ds_read_b128 v[26:29], v1 offset:1392
	ds_read_b128 v[22:25], v1 offset:1408
	;; [unrolled: 1-line block ×7, first 2 shown]
	v_cmp_lt_u32_e32 vcc, 28, v254
	s_waitcnt vmcnt(52) lgkmcnt(6)
	v_mul_f64 v[86:87], v[26:27], v[34:35]
	v_fmac_f64_e32 v[86:87], v[28:29], v[30:31]
	v_add_f64 v[86:87], v[86:87], 0
	v_mul_f64 v[28:29], v[28:29], v[34:35]
	s_waitcnt vmcnt(48) lgkmcnt(5)
	v_mul_f64 v[88:89], v[22:23], v[36:37]
	v_fmac_f64_e32 v[88:89], v[24:25], v[32:33]
	s_waitcnt vmcnt(46) lgkmcnt(4)
	v_mul_f64 v[90:91], v[18:19], v[38:39]
	v_add_f64 v[86:87], v[86:87], v[88:89]
	s_waitcnt vmcnt(44) lgkmcnt(2)
	v_mul_f64 v[94:95], v[10:11], v[40:41]
	v_fma_f64 v[26:27], v[26:27], v[30:31], -v[28:29]
	s_waitcnt vmcnt(42)
	v_fmac_f64_e32 v[94:95], v[12:13], v[42:43]
	v_mul_f64 v[24:25], v[24:25], v[36:37]
	s_waitcnt vmcnt(40)
	v_mul_f64 v[92:93], v[14:15], v[48:49]
	v_add_f64 v[26:27], v[26:27], 0
	v_fma_f64 v[22:23], v[22:23], v[32:33], -v[24:25]
	v_add_f64 v[22:23], v[26:27], v[22:23]
	s_waitcnt vmcnt(36) lgkmcnt(1)
	v_mul_f64 v[110:111], v[6:7], v[54:55]
	v_mul_f64 v[12:13], v[12:13], v[40:41]
	s_waitcnt vmcnt(34)
	v_fmac_f64_e32 v[90:91], v[20:21], v[60:61]
	v_add_f64 v[86:87], v[86:87], v[90:91]
	s_waitcnt vmcnt(32)
	v_fmac_f64_e32 v[92:93], v[16:17], v[58:59]
	v_add_f64 v[86:87], v[86:87], v[92:93]
	v_add_f64 v[116:117], v[86:87], v[94:95]
	buffer_load_dword v87, off, s[0:3], 0 offset:732
	buffer_load_dword v86, off, s[0:3], 0 offset:728
	;; [unrolled: 1-line block ×56, first 2 shown]
	ds_read_b128 v[126:129], v1 offset:1504
	ds_read_b128 v[130:133], v1 offset:1520
	v_mul_f64 v[20:21], v[20:21], v[38:39]
	v_fma_f64 v[18:19], v[18:19], v[60:61], -v[20:21]
	v_mul_f64 v[16:17], v[16:17], v[48:49]
	s_waitcnt vmcnt(62)
	v_fmac_f64_e32 v[110:111], v[8:9], v[56:57]
	v_add_f64 v[18:19], v[22:23], v[18:19]
	v_fma_f64 v[14:15], v[14:15], v[58:59], -v[16:17]
	v_add_f64 v[110:111], v[116:117], v[110:111]
	s_waitcnt lgkmcnt(2)
	v_mul_f64 v[116:117], v[2:3], v[50:51]
	v_add_f64 v[14:15], v[18:19], v[14:15]
	v_fma_f64 v[10:11], v[10:11], v[42:43], -v[12:13]
	v_mul_f64 v[8:9], v[8:9], v[54:55]
	v_fmac_f64_e32 v[116:117], v[4:5], v[52:53]
	ds_read_b128 v[134:137], v1 offset:1536
	ds_read_b128 v[138:141], v1 offset:1552
	v_add_f64 v[10:11], v[14:15], v[10:11]
	v_fma_f64 v[6:7], v[6:7], v[56:57], -v[8:9]
	v_mul_f64 v[4:5], v[4:5], v[50:51]
	v_add_f64 v[6:7], v[10:11], v[6:7]
	v_fma_f64 v[2:3], v[2:3], v[52:53], -v[4:5]
	s_waitcnt lgkmcnt(3)
	v_mul_f64 v[4:5], v[128:129], v[66:67]
	v_add_f64 v[110:111], v[110:111], v[116:117]
	v_mul_f64 v[116:117], v[126:127], v[66:67]
	v_add_f64 v[2:3], v[6:7], v[2:3]
	v_fma_f64 v[4:5], v[126:127], v[68:69], -v[4:5]
	v_fmac_f64_e32 v[116:117], v[128:129], v[68:69]
	v_add_f64 v[2:3], v[2:3], v[4:5]
	s_waitcnt lgkmcnt(2)
	v_mul_f64 v[4:5], v[132:133], v[62:63]
	v_add_f64 v[110:111], v[110:111], v[116:117]
	v_mul_f64 v[116:117], v[130:131], v[62:63]
	ds_read_b128 v[142:145], v1 offset:1568
	ds_read_b128 v[146:149], v1 offset:1584
	v_fma_f64 v[4:5], v[130:131], v[64:65], -v[4:5]
	v_fmac_f64_e32 v[116:117], v[132:133], v[64:65]
	v_add_f64 v[2:3], v[2:3], v[4:5]
	s_waitcnt lgkmcnt(3)
	v_mul_f64 v[4:5], v[136:137], v[74:75]
	v_add_f64 v[110:111], v[110:111], v[116:117]
	v_mul_f64 v[116:117], v[134:135], v[74:75]
	v_fma_f64 v[4:5], v[134:135], v[76:77], -v[4:5]
	v_fmac_f64_e32 v[116:117], v[136:137], v[76:77]
	v_add_f64 v[2:3], v[2:3], v[4:5]
	s_waitcnt lgkmcnt(2)
	v_mul_f64 v[4:5], v[140:141], v[70:71]
	v_add_f64 v[110:111], v[110:111], v[116:117]
	v_mul_f64 v[116:117], v[138:139], v[70:71]
	ds_read_b128 v[150:153], v1 offset:1600
	ds_read_b128 v[154:157], v1 offset:1616
	v_fma_f64 v[4:5], v[138:139], v[72:73], -v[4:5]
	v_fmac_f64_e32 v[116:117], v[140:141], v[72:73]
	v_add_f64 v[2:3], v[2:3], v[4:5]
	s_waitcnt vmcnt(58) lgkmcnt(3)
	v_mul_f64 v[4:5], v[144:145], v[82:83]
	v_add_f64 v[110:111], v[110:111], v[116:117]
	v_mul_f64 v[116:117], v[142:143], v[82:83]
	s_waitcnt vmcnt(56)
	v_fma_f64 v[4:5], v[142:143], v[84:85], -v[4:5]
	v_fmac_f64_e32 v[116:117], v[144:145], v[84:85]
	v_add_f64 v[2:3], v[2:3], v[4:5]
	s_waitcnt lgkmcnt(2)
	v_mul_f64 v[4:5], v[148:149], v[78:79]
	v_add_f64 v[110:111], v[110:111], v[116:117]
	v_mul_f64 v[116:117], v[146:147], v[78:79]
	ds_read_b128 v[158:161], v1 offset:1632
	ds_read_b128 v[162:165], v1 offset:1648
	v_fma_f64 v[4:5], v[146:147], v[80:81], -v[4:5]
	v_fmac_f64_e32 v[116:117], v[148:149], v[80:81]
	v_add_f64 v[2:3], v[2:3], v[4:5]
	s_waitcnt vmcnt(50) lgkmcnt(3)
	v_mul_f64 v[4:5], v[152:153], v[90:91]
	v_add_f64 v[110:111], v[110:111], v[116:117]
	v_mul_f64 v[116:117], v[150:151], v[90:91]
	s_waitcnt vmcnt(48)
	;; [unrolled: 17-line block ×7, first 2 shown]
	v_fma_f64 v[4:5], v[190:191], v[216:217], -v[4:5]
	v_fmac_f64_e32 v[116:117], v[192:193], v[216:217]
	v_add_f64 v[2:3], v[2:3], v[4:5]
	s_waitcnt lgkmcnt(2)
	v_mul_f64 v[4:5], v[196:197], v[210:211]
	v_add_f64 v[110:111], v[110:111], v[116:117]
	v_mul_f64 v[116:117], v[194:195], v[210:211]
	v_fma_f64 v[4:5], v[194:195], v[212:213], -v[4:5]
	v_fmac_f64_e32 v[116:117], v[196:197], v[212:213]
	v_add_f64 v[2:3], v[2:3], v[4:5]
	s_waitcnt vmcnt(2) lgkmcnt(1)
	v_mul_f64 v[4:5], v[200:201], v[222:223]
	v_add_f64 v[110:111], v[110:111], v[116:117]
	v_mul_f64 v[116:117], v[198:199], v[222:223]
	s_waitcnt vmcnt(0)
	v_fma_f64 v[4:5], v[198:199], v[224:225], -v[4:5]
	v_fmac_f64_e32 v[116:117], v[200:201], v[224:225]
	v_add_f64 v[2:3], v[2:3], v[4:5]
	s_waitcnt lgkmcnt(0)
	v_mul_f64 v[4:5], v[204:205], v[218:219]
	v_add_f64 v[110:111], v[110:111], v[116:117]
	v_mul_f64 v[116:117], v[202:203], v[218:219]
	v_fma_f64 v[4:5], v[202:203], v[220:221], -v[4:5]
	v_fmac_f64_e32 v[116:117], v[204:205], v[220:221]
	v_add_f64 v[2:3], v[2:3], v[4:5]
	v_add_f64 v[110:111], v[110:111], v[116:117]
	v_add_f64 v[2:3], v[46:47], -v[2:3]
	v_add_f64 v[4:5], v[44:45], -v[110:111]
	buffer_store_dword v3, off, s[0:3], 0 offset:484
	buffer_store_dword v2, off, s[0:3], 0 offset:480
	;; [unrolled: 1-line block ×4, first 2 shown]
	s_and_saveexec_b64 s[4:5], vcc
	s_cbranch_execz .LBB56_299
; %bb.298:
	v_accvgpr_read_b32 v0, a142
	buffer_load_dword v2, v0, s[0:3], 0 offen
	buffer_load_dword v3, v0, s[0:3], 0 offen offset:4
	buffer_load_dword v4, v0, s[0:3], 0 offen offset:8
	;; [unrolled: 1-line block ×3, first 2 shown]
	v_accvgpr_read_b32 v0, a171
	buffer_store_dword v1, off, s[0:3], 0 offset:464
	buffer_store_dword v1, off, s[0:3], 0 offset:468
	;; [unrolled: 1-line block ×4, first 2 shown]
	s_waitcnt vmcnt(4)
	ds_write_b128 v0, v[2:5]
.LBB56_299:
	s_or_b64 exec, exec, s[4:5]
	s_waitcnt lgkmcnt(0)
	; wave barrier
	s_waitcnt lgkmcnt(0)
	buffer_load_dword v34, off, s[0:3], 0 offset:480
	buffer_load_dword v35, off, s[0:3], 0 offset:484
	;; [unrolled: 1-line block ×32, first 2 shown]
	ds_read_b128 v[30:33], v1 offset:1376
	ds_read_b128 v[26:29], v1 offset:1392
	;; [unrolled: 1-line block ×8, first 2 shown]
	buffer_load_dword v67, off, s[0:3], 0 offset:620
	buffer_load_dword v66, off, s[0:3], 0 offset:616
	buffer_load_dword v69, off, s[0:3], 0 offset:612
	buffer_load_dword v68, off, s[0:3], 0 offset:608
	buffer_load_dword v71, off, s[0:3], 0 offset:604
	buffer_load_dword v70, off, s[0:3], 0 offset:600
	buffer_load_dword v73, off, s[0:3], 0 offset:596
	buffer_load_dword v72, off, s[0:3], 0 offset:592
	buffer_load_dword v75, off, s[0:3], 0 offset:652
	buffer_load_dword v74, off, s[0:3], 0 offset:648
	buffer_load_dword v77, off, s[0:3], 0 offset:644
	buffer_load_dword v76, off, s[0:3], 0 offset:640
	buffer_load_dword v79, off, s[0:3], 0 offset:636
	buffer_load_dword v78, off, s[0:3], 0 offset:632
	buffer_load_dword v81, off, s[0:3], 0 offset:628
	buffer_load_dword v80, off, s[0:3], 0 offset:624
	buffer_load_dword v83, off, s[0:3], 0 offset:684
	buffer_load_dword v82, off, s[0:3], 0 offset:680
	buffer_load_dword v85, off, s[0:3], 0 offset:676
	buffer_load_dword v84, off, s[0:3], 0 offset:672
	buffer_load_dword v87, off, s[0:3], 0 offset:668
	buffer_load_dword v86, off, s[0:3], 0 offset:664
	buffer_load_dword v89, off, s[0:3], 0 offset:660
	buffer_load_dword v88, off, s[0:3], 0 offset:656
	v_cmp_lt_u32_e32 vcc, 27, v254
	s_waitcnt vmcnt(52) lgkmcnt(7)
	v_mul_f64 v[90:91], v[30:31], v[38:39]
	v_fmac_f64_e32 v[90:91], v[32:33], v[34:35]
	v_add_f64 v[90:91], v[90:91], 0
	v_mul_f64 v[32:33], v[32:33], v[38:39]
	s_waitcnt vmcnt(48) lgkmcnt(6)
	v_mul_f64 v[92:93], v[26:27], v[40:41]
	v_fmac_f64_e32 v[92:93], v[28:29], v[36:37]
	s_waitcnt vmcnt(46) lgkmcnt(5)
	v_mul_f64 v[94:95], v[22:23], v[42:43]
	v_add_f64 v[90:91], v[90:91], v[92:93]
	s_waitcnt vmcnt(44) lgkmcnt(4)
	v_mul_f64 v[96:97], v[18:19], v[48:49]
	v_fma_f64 v[30:31], v[30:31], v[34:35], -v[32:33]
	s_waitcnt vmcnt(42) lgkmcnt(1)
	v_mul_f64 v[124:125], v[2:3], v[50:51]
	v_mul_f64 v[28:29], v[28:29], v[40:41]
	s_waitcnt vmcnt(18) lgkmcnt(0)
	v_mul_f64 v[138:139], v[14:15], v[70:71]
	v_mul_f64 v[100:101], v[6:7], v[54:55]
	s_waitcnt vmcnt(16)
	v_fmac_f64_e32 v[138:139], v[16:17], v[72:73]
	v_mul_f64 v[98:99], v[10:11], v[56:57]
	v_add_f64 v[30:31], v[30:31], 0
	v_fmac_f64_e32 v[98:99], v[12:13], v[58:59]
	v_fma_f64 v[26:27], v[26:27], v[36:37], -v[28:29]
	v_fmac_f64_e32 v[94:95], v[24:25], v[64:65]
	v_add_f64 v[90:91], v[90:91], v[94:95]
	v_fmac_f64_e32 v[96:97], v[20:21], v[62:63]
	v_add_f64 v[90:91], v[90:91], v[96:97]
	;; [unrolled: 2-line block ×3, first 2 shown]
	v_add_f64 v[126:127], v[90:91], v[100:101]
	buffer_load_dword v91, off, s[0:3], 0 offset:716
	buffer_load_dword v90, off, s[0:3], 0 offset:712
	;; [unrolled: 1-line block ×56, first 2 shown]
	v_fmac_f64_e32 v[124:125], v[4:5], v[52:53]
	v_add_f64 v[136:137], v[126:127], v[124:125]
	ds_read_b128 v[124:127], v1 offset:1504
	buffer_load_dword v227, off, s[0:3], 0 offset:924
	buffer_load_dword v226, off, s[0:3], 0 offset:920
	;; [unrolled: 1-line block ×4, first 2 shown]
	v_add_f64 v[140:141], v[136:137], v[138:139]
	ds_read_b128 v[136:139], v1 offset:1520
	v_mul_f64 v[24:25], v[24:25], v[42:43]
	s_waitcnt lgkmcnt(1)
	v_mul_f64 v[142:143], v[124:125], v[66:67]
	v_fmac_f64_e32 v[142:143], v[126:127], v[68:69]
	v_add_f64 v[144:145], v[140:141], v[142:143]
	ds_read_b128 v[140:143], v1 offset:1536
	s_waitcnt vmcnt(62) lgkmcnt(1)
	v_mul_f64 v[146:147], v[136:137], v[78:79]
	v_fmac_f64_e32 v[146:147], v[138:139], v[80:81]
	v_add_f64 v[148:149], v[144:145], v[146:147]
	ds_read_b128 v[144:147], v1 offset:1552
	s_waitcnt lgkmcnt(1)
	v_mul_f64 v[150:151], v[140:141], v[74:75]
	v_fmac_f64_e32 v[150:151], v[142:143], v[76:77]
	v_add_f64 v[152:153], v[148:149], v[150:151]
	ds_read_b128 v[148:151], v1 offset:1568
	s_waitcnt lgkmcnt(1)
	v_mul_f64 v[154:155], v[144:145], v[86:87]
	s_waitcnt vmcnt(60)
	v_fmac_f64_e32 v[154:155], v[146:147], v[88:89]
	v_add_f64 v[156:157], v[152:153], v[154:155]
	ds_read_b128 v[152:155], v1 offset:1584
	s_waitcnt lgkmcnt(1)
	v_mul_f64 v[158:159], v[148:149], v[82:83]
	v_fmac_f64_e32 v[158:159], v[150:151], v[84:85]
	v_add_f64 v[160:161], v[156:157], v[158:159]
	ds_read_b128 v[156:159], v1 offset:1600
	v_add_f64 v[26:27], v[30:31], v[26:27]
	v_fma_f64 v[22:23], v[22:23], v[64:65], -v[24:25]
	s_waitcnt vmcnt(54) lgkmcnt(1)
	v_mul_f64 v[162:163], v[152:153], v[94:95]
	v_mul_f64 v[20:21], v[20:21], v[48:49]
	s_waitcnt vmcnt(52)
	v_fmac_f64_e32 v[162:163], v[154:155], v[96:97]
	v_add_f64 v[164:165], v[160:161], v[162:163]
	ds_read_b128 v[160:163], v1 offset:1616
	s_waitcnt lgkmcnt(1)
	v_mul_f64 v[166:167], v[156:157], v[90:91]
	v_fmac_f64_e32 v[166:167], v[158:159], v[92:93]
	v_add_f64 v[22:23], v[26:27], v[22:23]
	v_fma_f64 v[18:19], v[18:19], v[62:63], -v[20:21]
	v_mul_f64 v[12:13], v[12:13], v[56:57]
	v_add_f64 v[168:169], v[164:165], v[166:167]
	ds_read_b128 v[164:167], v1 offset:1632
	v_add_f64 v[18:19], v[22:23], v[18:19]
	v_fma_f64 v[10:11], v[10:11], v[58:59], -v[12:13]
	v_mul_f64 v[8:9], v[8:9], v[54:55]
	v_add_f64 v[10:11], v[18:19], v[10:11]
	v_fma_f64 v[6:7], v[6:7], v[60:61], -v[8:9]
	v_mul_f64 v[4:5], v[4:5], v[50:51]
	;; [unrolled: 3-line block ×3, first 2 shown]
	s_waitcnt vmcnt(46) lgkmcnt(1)
	v_mul_f64 v[170:171], v[160:161], v[102:103]
	v_add_f64 v[2:3], v[6:7], v[2:3]
	v_fma_f64 v[4:5], v[14:15], v[72:73], -v[4:5]
	s_waitcnt vmcnt(44)
	v_fmac_f64_e32 v[170:171], v[162:163], v[104:105]
	v_add_f64 v[2:3], v[2:3], v[4:5]
	v_mul_f64 v[4:5], v[126:127], v[66:67]
	v_add_f64 v[172:173], v[168:169], v[170:171]
	ds_read_b128 v[168:171], v1 offset:1648
	s_waitcnt lgkmcnt(1)
	v_mul_f64 v[174:175], v[164:165], v[98:99]
	v_fma_f64 v[4:5], v[124:125], v[68:69], -v[4:5]
	v_fmac_f64_e32 v[174:175], v[166:167], v[100:101]
	v_add_f64 v[2:3], v[2:3], v[4:5]
	v_mul_f64 v[4:5], v[138:139], v[78:79]
	v_add_f64 v[176:177], v[172:173], v[174:175]
	ds_read_b128 v[172:175], v1 offset:1664
	v_fma_f64 v[4:5], v[136:137], v[80:81], -v[4:5]
	v_add_f64 v[2:3], v[2:3], v[4:5]
	v_mul_f64 v[4:5], v[142:143], v[74:75]
	v_fma_f64 v[4:5], v[140:141], v[76:77], -v[4:5]
	s_waitcnt vmcnt(38) lgkmcnt(1)
	v_mul_f64 v[178:179], v[168:169], v[110:111]
	v_add_f64 v[2:3], v[2:3], v[4:5]
	v_mul_f64 v[4:5], v[146:147], v[86:87]
	s_waitcnt vmcnt(36)
	v_fmac_f64_e32 v[178:179], v[170:171], v[112:113]
	v_fma_f64 v[4:5], v[144:145], v[88:89], -v[4:5]
	v_add_f64 v[180:181], v[176:177], v[178:179]
	ds_read_b128 v[176:179], v1 offset:1680
	s_waitcnt lgkmcnt(1)
	v_mul_f64 v[182:183], v[172:173], v[106:107]
	v_add_f64 v[2:3], v[2:3], v[4:5]
	v_mul_f64 v[4:5], v[150:151], v[82:83]
	v_fmac_f64_e32 v[182:183], v[174:175], v[108:109]
	v_fma_f64 v[4:5], v[148:149], v[84:85], -v[4:5]
	v_add_f64 v[184:185], v[180:181], v[182:183]
	ds_read_b128 v[180:183], v1 offset:1696
	v_add_f64 v[2:3], v[2:3], v[4:5]
	v_mul_f64 v[4:5], v[154:155], v[94:95]
	v_fma_f64 v[4:5], v[152:153], v[96:97], -v[4:5]
	v_add_f64 v[2:3], v[2:3], v[4:5]
	v_mul_f64 v[4:5], v[158:159], v[90:91]
	s_waitcnt vmcnt(30) lgkmcnt(1)
	v_mul_f64 v[186:187], v[176:177], v[120:121]
	v_fma_f64 v[4:5], v[156:157], v[92:93], -v[4:5]
	s_waitcnt vmcnt(28)
	v_fmac_f64_e32 v[186:187], v[178:179], v[122:123]
	v_add_f64 v[2:3], v[2:3], v[4:5]
	v_mul_f64 v[4:5], v[162:163], v[102:103]
	v_add_f64 v[188:189], v[184:185], v[186:187]
	ds_read_b128 v[184:187], v1 offset:1712
	s_waitcnt lgkmcnt(1)
	v_mul_f64 v[190:191], v[180:181], v[114:115]
	v_fma_f64 v[4:5], v[160:161], v[104:105], -v[4:5]
	v_fmac_f64_e32 v[190:191], v[182:183], v[116:117]
	v_add_f64 v[2:3], v[2:3], v[4:5]
	v_mul_f64 v[4:5], v[166:167], v[98:99]
	v_add_f64 v[192:193], v[188:189], v[190:191]
	ds_read_b128 v[188:191], v1 offset:1728
	v_fma_f64 v[4:5], v[164:165], v[100:101], -v[4:5]
	v_add_f64 v[2:3], v[2:3], v[4:5]
	v_mul_f64 v[4:5], v[170:171], v[110:111]
	v_fma_f64 v[4:5], v[168:169], v[112:113], -v[4:5]
	s_waitcnt vmcnt(22) lgkmcnt(1)
	v_mul_f64 v[194:195], v[184:185], v[132:133]
	v_add_f64 v[2:3], v[2:3], v[4:5]
	v_mul_f64 v[4:5], v[174:175], v[106:107]
	s_waitcnt vmcnt(20)
	v_fmac_f64_e32 v[194:195], v[186:187], v[134:135]
	v_fma_f64 v[4:5], v[172:173], v[108:109], -v[4:5]
	v_add_f64 v[196:197], v[192:193], v[194:195]
	ds_read_b128 v[192:195], v1 offset:1744
	s_waitcnt lgkmcnt(1)
	v_mul_f64 v[198:199], v[188:189], v[128:129]
	v_add_f64 v[2:3], v[2:3], v[4:5]
	v_mul_f64 v[4:5], v[178:179], v[120:121]
	v_fmac_f64_e32 v[198:199], v[190:191], v[130:131]
	v_fma_f64 v[4:5], v[176:177], v[122:123], -v[4:5]
	v_add_f64 v[200:201], v[196:197], v[198:199]
	ds_read_b128 v[196:199], v1 offset:1760
	v_add_f64 v[2:3], v[2:3], v[4:5]
	v_mul_f64 v[4:5], v[182:183], v[114:115]
	v_fma_f64 v[4:5], v[180:181], v[116:117], -v[4:5]
	v_add_f64 v[2:3], v[2:3], v[4:5]
	v_mul_f64 v[4:5], v[186:187], v[132:133]
	s_waitcnt vmcnt(14) lgkmcnt(1)
	v_mul_f64 v[202:203], v[192:193], v[214:215]
	v_fma_f64 v[4:5], v[184:185], v[134:135], -v[4:5]
	s_waitcnt vmcnt(12)
	v_fmac_f64_e32 v[202:203], v[194:195], v[216:217]
	v_add_f64 v[2:3], v[2:3], v[4:5]
	v_mul_f64 v[4:5], v[190:191], v[128:129]
	v_add_f64 v[204:205], v[200:201], v[202:203]
	ds_read_b128 v[200:203], v1 offset:1776
	s_waitcnt lgkmcnt(1)
	v_mul_f64 v[206:207], v[196:197], v[118:119]
	v_fma_f64 v[4:5], v[188:189], v[130:131], -v[4:5]
	v_fmac_f64_e32 v[206:207], v[198:199], v[212:213]
	v_add_f64 v[2:3], v[2:3], v[4:5]
	v_mul_f64 v[4:5], v[194:195], v[214:215]
	v_add_f64 v[230:231], v[204:205], v[206:207]
	ds_read_b128 v[204:207], v1 offset:1792
	v_fma_f64 v[4:5], v[192:193], v[216:217], -v[4:5]
	v_add_f64 v[2:3], v[2:3], v[4:5]
	v_mul_f64 v[4:5], v[198:199], v[118:119]
	ds_read_b128 v[208:211], v1 offset:1808
	v_fma_f64 v[4:5], v[196:197], v[212:213], -v[4:5]
	v_add_f64 v[2:3], v[2:3], v[4:5]
	s_waitcnt vmcnt(6) lgkmcnt(2)
	v_mul_f64 v[4:5], v[202:203], v[222:223]
	v_mul_f64 v[232:233], v[200:201], v[222:223]
	s_waitcnt vmcnt(4)
	v_fma_f64 v[4:5], v[200:201], v[224:225], -v[4:5]
	v_fmac_f64_e32 v[232:233], v[202:203], v[224:225]
	v_add_f64 v[2:3], v[2:3], v[4:5]
	s_waitcnt lgkmcnt(1)
	v_mul_f64 v[4:5], v[206:207], v[218:219]
	v_add_f64 v[230:231], v[230:231], v[232:233]
	v_mul_f64 v[232:233], v[204:205], v[218:219]
	v_fma_f64 v[4:5], v[204:205], v[220:221], -v[4:5]
	v_fmac_f64_e32 v[232:233], v[206:207], v[220:221]
	v_add_f64 v[2:3], v[2:3], v[4:5]
	s_waitcnt vmcnt(2) lgkmcnt(0)
	v_mul_f64 v[4:5], v[210:211], v[226:227]
	v_add_f64 v[230:231], v[230:231], v[232:233]
	v_mul_f64 v[232:233], v[208:209], v[226:227]
	s_waitcnt vmcnt(0)
	v_fma_f64 v[4:5], v[208:209], v[228:229], -v[4:5]
	v_fmac_f64_e32 v[232:233], v[210:211], v[228:229]
	v_add_f64 v[2:3], v[2:3], v[4:5]
	v_add_f64 v[230:231], v[230:231], v[232:233]
	v_add_f64 v[2:3], v[46:47], -v[2:3]
	v_add_f64 v[4:5], v[44:45], -v[230:231]
	buffer_store_dword v3, off, s[0:3], 0 offset:468
	buffer_store_dword v2, off, s[0:3], 0 offset:464
	;; [unrolled: 1-line block ×4, first 2 shown]
	s_and_saveexec_b64 s[4:5], vcc
	s_cbranch_execz .LBB56_301
; %bb.300:
	v_accvgpr_read_b32 v0, a143
	buffer_load_dword v2, v0, s[0:3], 0 offen
	buffer_load_dword v3, v0, s[0:3], 0 offen offset:4
	buffer_load_dword v4, v0, s[0:3], 0 offen offset:8
	;; [unrolled: 1-line block ×3, first 2 shown]
	v_mov_b32_e32 v0, 0
	v_accvgpr_read_b32 v1, a171
	buffer_store_dword v0, off, s[0:3], 0 offset:448
	buffer_store_dword v0, off, s[0:3], 0 offset:452
	;; [unrolled: 1-line block ×4, first 2 shown]
	s_waitcnt vmcnt(4)
	ds_write_b128 v1, v[2:5]
.LBB56_301:
	s_or_b64 exec, exec, s[4:5]
	s_waitcnt lgkmcnt(0)
	; wave barrier
	s_waitcnt lgkmcnt(0)
	buffer_load_dword v38, off, s[0:3], 0 offset:464
	buffer_load_dword v39, off, s[0:3], 0 offset:468
	buffer_load_dword v42, off, s[0:3], 0 offset:472
	buffer_load_dword v43, off, s[0:3], 0 offset:476
	buffer_load_dword v40, off, s[0:3], 0 offset:480
	buffer_load_dword v41, off, s[0:3], 0 offset:484
	buffer_load_dword v44, off, s[0:3], 0 offset:488
	buffer_load_dword v45, off, s[0:3], 0 offset:492
	buffer_load_dword v46, off, s[0:3], 0 offset:504
	buffer_load_dword v47, off, s[0:3], 0 offset:508
	buffer_load_dword v49, off, s[0:3], 0 offset:540
	buffer_load_dword v48, off, s[0:3], 0 offset:536
	buffer_load_dword v51, off, s[0:3], 0 offset:532
	buffer_load_dword v50, off, s[0:3], 0 offset:528
	buffer_load_dword v53, off, s[0:3], 0 offset:524
	buffer_load_dword v52, off, s[0:3], 0 offset:520
	buffer_load_dword v55, off, s[0:3], 0 offset:572
	buffer_load_dword v54, off, s[0:3], 0 offset:568
	buffer_load_dword v57, off, s[0:3], 0 offset:564
	buffer_load_dword v56, off, s[0:3], 0 offset:560
	buffer_load_dword v59, off, s[0:3], 0 offset:556
	buffer_load_dword v58, off, s[0:3], 0 offset:552
	buffer_load_dword v65, off, s[0:3], 0 offset:604
	buffer_load_dword v67, off, s[0:3], 0 offset:596
	buffer_load_dword v69, off, s[0:3], 0 offset:588
	buffer_load_dword v68, off, s[0:3], 0 offset:584
	buffer_load_dword v76, off, s[0:3], 0 offset:496
	buffer_load_dword v77, off, s[0:3], 0 offset:500
	buffer_load_dword v75, off, s[0:3], 0 offset:516
	buffer_load_dword v74, off, s[0:3], 0 offset:512
	buffer_load_dword v73, off, s[0:3], 0 offset:548
	buffer_load_dword v72, off, s[0:3], 0 offset:544
	buffer_load_dword v71, off, s[0:3], 0 offset:580
	buffer_load_dword v70, off, s[0:3], 0 offset:576
	buffer_load_dword v64, off, s[0:3], 0 offset:600
	buffer_load_dword v66, off, s[0:3], 0 offset:592
	buffer_load_dword v62, off, s[0:3], 0 offset:448
	buffer_load_dword v63, off, s[0:3], 0 offset:452
	buffer_load_dword v60, off, s[0:3], 0 offset:456
	buffer_load_dword v61, off, s[0:3], 0 offset:460
	buffer_load_dword v79, off, s[0:3], 0 offset:636
	buffer_load_dword v78, off, s[0:3], 0 offset:632
	buffer_load_dword v81, off, s[0:3], 0 offset:628
	buffer_load_dword v80, off, s[0:3], 0 offset:624
	buffer_load_dword v83, off, s[0:3], 0 offset:620
	buffer_load_dword v82, off, s[0:3], 0 offset:616
	buffer_load_dword v85, off, s[0:3], 0 offset:612
	buffer_load_dword v84, off, s[0:3], 0 offset:608
	v_mov_b32_e32 v1, 0
	ds_read_b128 v[34:37], v1 offset:1360
	ds_read_b128 v[30:33], v1 offset:1376
	;; [unrolled: 1-line block ×9, first 2 shown]
	v_cmp_lt_u32_e32 vcc, 26, v254
	s_waitcnt vmcnt(44) lgkmcnt(8)
	v_mul_f64 v[86:87], v[34:35], v[42:43]
	v_fmac_f64_e32 v[86:87], v[36:37], v[38:39]
	v_add_f64 v[86:87], v[86:87], 0
	v_mul_f64 v[36:37], v[36:37], v[42:43]
	s_waitcnt vmcnt(40) lgkmcnt(7)
	v_mul_f64 v[88:89], v[30:31], v[44:45]
	v_fmac_f64_e32 v[88:89], v[32:33], v[40:41]
	s_waitcnt vmcnt(38) lgkmcnt(6)
	v_mul_f64 v[90:91], v[26:27], v[46:47]
	v_add_f64 v[86:87], v[86:87], v[88:89]
	s_waitcnt vmcnt(36) lgkmcnt(4)
	v_mul_f64 v[94:95], v[18:19], v[48:49]
	v_fma_f64 v[34:35], v[34:35], v[38:39], -v[36:37]
	s_waitcnt vmcnt(34)
	v_fmac_f64_e32 v[94:95], v[20:21], v[50:51]
	v_mul_f64 v[32:33], v[32:33], v[44:45]
	s_waitcnt vmcnt(32)
	v_mul_f64 v[92:93], v[22:23], v[52:53]
	v_add_f64 v[34:35], v[34:35], 0
	s_waitcnt vmcnt(30) lgkmcnt(2)
	v_mul_f64 v[98:99], v[10:11], v[54:55]
	v_fma_f64 v[30:31], v[30:31], v[40:41], -v[32:33]
	s_waitcnt vmcnt(28)
	v_fmac_f64_e32 v[98:99], v[12:13], v[56:57]
	v_add_f64 v[30:31], v[34:35], v[30:31]
	s_waitcnt vmcnt(26)
	v_mul_f64 v[96:97], v[14:15], v[58:59]
	v_mul_f64 v[20:21], v[20:21], v[48:49]
	v_fma_f64 v[18:19], v[18:19], v[50:51], -v[20:21]
	v_mul_f64 v[12:13], v[12:13], v[54:55]
	s_waitcnt vmcnt(22) lgkmcnt(1)
	v_mul_f64 v[110:111], v[6:7], v[68:69]
	v_fma_f64 v[10:11], v[10:11], v[56:57], -v[12:13]
	s_waitcnt vmcnt(20)
	v_fmac_f64_e32 v[90:91], v[28:29], v[76:77]
	v_add_f64 v[86:87], v[86:87], v[90:91]
	s_waitcnt vmcnt(18)
	v_fmac_f64_e32 v[92:93], v[24:25], v[74:75]
	v_add_f64 v[86:87], v[86:87], v[92:93]
	s_waitcnt vmcnt(16)
	v_fmac_f64_e32 v[96:97], v[16:17], v[72:73]
	v_add_f64 v[86:87], v[86:87], v[94:95]
	v_add_f64 v[86:87], v[86:87], v[96:97]
	v_add_f64 v[112:113], v[86:87], v[98:99]
	buffer_load_dword v87, off, s[0:3], 0 offset:668
	buffer_load_dword v86, off, s[0:3], 0 offset:664
	;; [unrolled: 1-line block ×72, first 2 shown]
	s_waitcnt vmcnt(62)
	v_fmac_f64_e32 v[110:111], v[8:9], v[70:71]
	v_add_f64 v[144:145], v[112:113], v[110:111]
	ds_read_b128 v[110:113], v1 offset:1504
	s_waitcnt lgkmcnt(1)
	v_mul_f64 v[146:147], v[2:3], v[64:65]
	v_fmac_f64_e32 v[146:147], v[4:5], v[66:67]
	v_add_f64 v[148:149], v[144:145], v[146:147]
	ds_read_b128 v[144:147], v1 offset:1520
	s_waitcnt lgkmcnt(1)
	v_mul_f64 v[150:151], v[110:111], v[82:83]
	v_fmac_f64_e32 v[150:151], v[112:113], v[84:85]
	v_add_f64 v[152:153], v[148:149], v[150:151]
	ds_read_b128 v[148:151], v1 offset:1536
	s_waitcnt lgkmcnt(1)
	v_mul_f64 v[154:155], v[144:145], v[78:79]
	v_fmac_f64_e32 v[154:155], v[146:147], v[80:81]
	v_add_f64 v[156:157], v[152:153], v[154:155]
	ds_read_b128 v[152:155], v1 offset:1552
	s_waitcnt lgkmcnt(1)
	v_mul_f64 v[158:159], v[148:149], v[90:91]
	v_fmac_f64_e32 v[158:159], v[150:151], v[92:93]
	v_add_f64 v[160:161], v[156:157], v[158:159]
	ds_read_b128 v[156:159], v1 offset:1568
	s_waitcnt lgkmcnt(1)
	v_mul_f64 v[162:163], v[152:153], v[86:87]
	v_fmac_f64_e32 v[162:163], v[154:155], v[88:89]
	v_add_f64 v[164:165], v[160:161], v[162:163]
	ds_read_b128 v[160:163], v1 offset:1584
	s_waitcnt vmcnt(58) lgkmcnt(1)
	v_mul_f64 v[166:167], v[156:157], v[98:99]
	s_waitcnt vmcnt(56)
	v_fmac_f64_e32 v[166:167], v[158:159], v[100:101]
	v_add_f64 v[168:169], v[164:165], v[166:167]
	ds_read_b128 v[164:167], v1 offset:1600
	s_waitcnt lgkmcnt(1)
	v_mul_f64 v[170:171], v[160:161], v[94:95]
	v_fmac_f64_e32 v[170:171], v[162:163], v[96:97]
	v_mul_f64 v[28:29], v[28:29], v[46:47]
	v_add_f64 v[172:173], v[168:169], v[170:171]
	ds_read_b128 v[168:171], v1 offset:1616
	s_waitcnt vmcnt(50) lgkmcnt(1)
	v_mul_f64 v[174:175], v[164:165], v[106:107]
	v_fma_f64 v[26:27], v[26:27], v[76:77], -v[28:29]
	v_mul_f64 v[24:25], v[24:25], v[52:53]
	s_waitcnt vmcnt(48)
	v_fmac_f64_e32 v[174:175], v[166:167], v[108:109]
	v_add_f64 v[26:27], v[30:31], v[26:27]
	v_fma_f64 v[22:23], v[22:23], v[74:75], -v[24:25]
	v_add_f64 v[176:177], v[172:173], v[174:175]
	ds_read_b128 v[172:175], v1 offset:1632
	v_add_f64 v[22:23], v[26:27], v[22:23]
	v_mul_f64 v[16:17], v[16:17], v[58:59]
	v_add_f64 v[18:19], v[22:23], v[18:19]
	v_fma_f64 v[14:15], v[14:15], v[72:73], -v[16:17]
	v_add_f64 v[14:15], v[18:19], v[14:15]
	v_mul_f64 v[8:9], v[8:9], v[68:69]
	s_waitcnt lgkmcnt(1)
	v_mul_f64 v[178:179], v[168:169], v[102:103]
	v_add_f64 v[10:11], v[14:15], v[10:11]
	v_fma_f64 v[6:7], v[6:7], v[70:71], -v[8:9]
	v_mul_f64 v[4:5], v[4:5], v[64:65]
	v_fmac_f64_e32 v[178:179], v[170:171], v[104:105]
	v_add_f64 v[6:7], v[10:11], v[6:7]
	v_fma_f64 v[2:3], v[2:3], v[66:67], -v[4:5]
	v_mul_f64 v[4:5], v[112:113], v[82:83]
	v_add_f64 v[180:181], v[176:177], v[178:179]
	ds_read_b128 v[176:179], v1 offset:1648
	s_waitcnt vmcnt(42) lgkmcnt(1)
	v_mul_f64 v[182:183], v[172:173], v[120:121]
	v_add_f64 v[2:3], v[6:7], v[2:3]
	v_fma_f64 v[4:5], v[110:111], v[84:85], -v[4:5]
	s_waitcnt vmcnt(40)
	v_fmac_f64_e32 v[182:183], v[174:175], v[122:123]
	v_add_f64 v[2:3], v[2:3], v[4:5]
	v_mul_f64 v[4:5], v[146:147], v[78:79]
	v_add_f64 v[184:185], v[180:181], v[182:183]
	ds_read_b128 v[180:183], v1 offset:1664
	v_fma_f64 v[4:5], v[144:145], v[80:81], -v[4:5]
	v_add_f64 v[2:3], v[2:3], v[4:5]
	v_mul_f64 v[4:5], v[150:151], v[90:91]
	v_fma_f64 v[4:5], v[148:149], v[92:93], -v[4:5]
	s_waitcnt lgkmcnt(1)
	v_mul_f64 v[186:187], v[176:177], v[114:115]
	v_add_f64 v[2:3], v[2:3], v[4:5]
	v_mul_f64 v[4:5], v[154:155], v[86:87]
	v_fmac_f64_e32 v[186:187], v[178:179], v[116:117]
	v_fma_f64 v[4:5], v[152:153], v[88:89], -v[4:5]
	v_add_f64 v[188:189], v[184:185], v[186:187]
	ds_read_b128 v[184:187], v1 offset:1680
	s_waitcnt vmcnt(34) lgkmcnt(1)
	v_mul_f64 v[190:191], v[180:181], v[128:129]
	v_add_f64 v[2:3], v[2:3], v[4:5]
	v_mul_f64 v[4:5], v[158:159], v[98:99]
	s_waitcnt vmcnt(32)
	v_fmac_f64_e32 v[190:191], v[182:183], v[130:131]
	v_fma_f64 v[4:5], v[156:157], v[100:101], -v[4:5]
	v_add_f64 v[192:193], v[188:189], v[190:191]
	ds_read_b128 v[188:191], v1 offset:1696
	v_add_f64 v[2:3], v[2:3], v[4:5]
	v_mul_f64 v[4:5], v[162:163], v[94:95]
	v_fma_f64 v[4:5], v[160:161], v[96:97], -v[4:5]
	v_add_f64 v[2:3], v[2:3], v[4:5]
	v_mul_f64 v[4:5], v[166:167], v[106:107]
	s_waitcnt lgkmcnt(1)
	v_mul_f64 v[194:195], v[184:185], v[124:125]
	v_fma_f64 v[4:5], v[164:165], v[108:109], -v[4:5]
	v_fmac_f64_e32 v[194:195], v[186:187], v[126:127]
	v_add_f64 v[2:3], v[2:3], v[4:5]
	v_mul_f64 v[4:5], v[170:171], v[102:103]
	v_add_f64 v[196:197], v[192:193], v[194:195]
	ds_read_b128 v[192:195], v1 offset:1712
	s_waitcnt vmcnt(26) lgkmcnt(1)
	v_mul_f64 v[198:199], v[188:189], v[136:137]
	v_fma_f64 v[4:5], v[168:169], v[104:105], -v[4:5]
	s_waitcnt vmcnt(24)
	v_fmac_f64_e32 v[198:199], v[190:191], v[138:139]
	v_add_f64 v[2:3], v[2:3], v[4:5]
	v_mul_f64 v[4:5], v[174:175], v[120:121]
	v_add_f64 v[200:201], v[196:197], v[198:199]
	ds_read_b128 v[196:199], v1 offset:1728
	v_fma_f64 v[4:5], v[172:173], v[122:123], -v[4:5]
	v_add_f64 v[2:3], v[2:3], v[4:5]
	v_mul_f64 v[4:5], v[178:179], v[114:115]
	v_fma_f64 v[4:5], v[176:177], v[116:117], -v[4:5]
	s_waitcnt lgkmcnt(1)
	v_mul_f64 v[202:203], v[192:193], v[132:133]
	v_add_f64 v[2:3], v[2:3], v[4:5]
	v_mul_f64 v[4:5], v[182:183], v[128:129]
	v_fmac_f64_e32 v[202:203], v[194:195], v[134:135]
	v_fma_f64 v[4:5], v[180:181], v[130:131], -v[4:5]
	v_add_f64 v[204:205], v[200:201], v[202:203]
	ds_read_b128 v[200:203], v1 offset:1744
	s_waitcnt vmcnt(18) lgkmcnt(1)
	v_mul_f64 v[206:207], v[196:197], v[118:119]
	v_add_f64 v[2:3], v[2:3], v[4:5]
	v_mul_f64 v[4:5], v[186:187], v[124:125]
	s_waitcnt vmcnt(16)
	v_fmac_f64_e32 v[206:207], v[198:199], v[220:221]
	v_fma_f64 v[4:5], v[184:185], v[126:127], -v[4:5]
	v_add_f64 v[208:209], v[204:205], v[206:207]
	ds_read_b128 v[204:207], v1 offset:1760
	v_add_f64 v[2:3], v[2:3], v[4:5]
	v_mul_f64 v[4:5], v[190:191], v[136:137]
	v_fma_f64 v[4:5], v[188:189], v[138:139], -v[4:5]
	v_add_f64 v[2:3], v[2:3], v[4:5]
	v_mul_f64 v[4:5], v[194:195], v[132:133]
	s_waitcnt lgkmcnt(1)
	v_mul_f64 v[210:211], v[200:201], v[140:141]
	v_fma_f64 v[4:5], v[192:193], v[134:135], -v[4:5]
	v_fmac_f64_e32 v[210:211], v[202:203], v[142:143]
	v_add_f64 v[2:3], v[2:3], v[4:5]
	v_mul_f64 v[4:5], v[198:199], v[118:119]
	v_add_f64 v[212:213], v[208:209], v[210:211]
	ds_read_b128 v[208:211], v1 offset:1776
	s_waitcnt vmcnt(10) lgkmcnt(1)
	v_mul_f64 v[214:215], v[204:205], v[226:227]
	v_fma_f64 v[4:5], v[196:197], v[220:221], -v[4:5]
	s_waitcnt vmcnt(8)
	v_fmac_f64_e32 v[214:215], v[206:207], v[228:229]
	v_add_f64 v[2:3], v[2:3], v[4:5]
	v_mul_f64 v[4:5], v[202:203], v[140:141]
	v_add_f64 v[238:239], v[212:213], v[214:215]
	ds_read_b128 v[212:215], v1 offset:1792
	ds_read_b128 v[216:219], v1 offset:1808
	v_fma_f64 v[4:5], v[200:201], v[142:143], -v[4:5]
	v_add_f64 v[2:3], v[2:3], v[4:5]
	v_mul_f64 v[4:5], v[206:207], v[226:227]
	v_fma_f64 v[4:5], v[204:205], v[228:229], -v[4:5]
	v_add_f64 v[2:3], v[2:3], v[4:5]
	s_waitcnt lgkmcnt(2)
	v_mul_f64 v[4:5], v[210:211], v[222:223]
	v_mul_f64 v[240:241], v[208:209], v[222:223]
	v_fma_f64 v[4:5], v[208:209], v[224:225], -v[4:5]
	v_fmac_f64_e32 v[240:241], v[210:211], v[224:225]
	v_add_f64 v[2:3], v[2:3], v[4:5]
	s_waitcnt vmcnt(2) lgkmcnt(1)
	v_mul_f64 v[4:5], v[214:215], v[234:235]
	v_add_f64 v[238:239], v[238:239], v[240:241]
	v_mul_f64 v[240:241], v[212:213], v[234:235]
	s_waitcnt vmcnt(0)
	v_fma_f64 v[4:5], v[212:213], v[236:237], -v[4:5]
	v_fmac_f64_e32 v[240:241], v[214:215], v[236:237]
	v_add_f64 v[2:3], v[2:3], v[4:5]
	s_waitcnt lgkmcnt(0)
	v_mul_f64 v[4:5], v[218:219], v[230:231]
	v_add_f64 v[238:239], v[238:239], v[240:241]
	v_mul_f64 v[240:241], v[216:217], v[230:231]
	v_fma_f64 v[4:5], v[216:217], v[232:233], -v[4:5]
	v_fmac_f64_e32 v[240:241], v[218:219], v[232:233]
	v_add_f64 v[2:3], v[2:3], v[4:5]
	v_add_f64 v[238:239], v[238:239], v[240:241]
	v_add_f64 v[2:3], v[62:63], -v[2:3]
	v_add_f64 v[4:5], v[60:61], -v[238:239]
	buffer_store_dword v3, off, s[0:3], 0 offset:452
	buffer_store_dword v2, off, s[0:3], 0 offset:448
	;; [unrolled: 1-line block ×4, first 2 shown]
	s_and_saveexec_b64 s[4:5], vcc
	s_cbranch_execz .LBB56_303
; %bb.302:
	v_accvgpr_read_b32 v0, a144
	buffer_load_dword v2, v0, s[0:3], 0 offen
	buffer_load_dword v3, v0, s[0:3], 0 offen offset:4
	buffer_load_dword v4, v0, s[0:3], 0 offen offset:8
	;; [unrolled: 1-line block ×3, first 2 shown]
	v_accvgpr_read_b32 v0, a171
	buffer_store_dword v1, off, s[0:3], 0 offset:432
	buffer_store_dword v1, off, s[0:3], 0 offset:436
	;; [unrolled: 1-line block ×4, first 2 shown]
	s_waitcnt vmcnt(4)
	ds_write_b128 v0, v[2:5]
.LBB56_303:
	s_or_b64 exec, exec, s[4:5]
	s_waitcnt lgkmcnt(0)
	; wave barrier
	s_waitcnt lgkmcnt(0)
	buffer_load_dword v48, off, s[0:3], 0 offset:448
	buffer_load_dword v49, off, s[0:3], 0 offset:452
	;; [unrolled: 1-line block ×40, first 2 shown]
	ds_read_b128 v[38:41], v1 offset:1344
	ds_read_b128 v[34:37], v1 offset:1360
	;; [unrolled: 1-line block ×10, first 2 shown]
	buffer_load_dword v83, off, s[0:3], 0 offset:620
	buffer_load_dword v82, off, s[0:3], 0 offset:616
	;; [unrolled: 1-line block ×8, first 2 shown]
	v_cmp_lt_u32_e32 vcc, 25, v254
	s_waitcnt vmcnt(44) lgkmcnt(9)
	v_mul_f64 v[90:91], v[38:39], v[50:51]
	v_fmac_f64_e32 v[90:91], v[40:41], v[48:49]
	v_add_f64 v[90:91], v[90:91], 0
	v_mul_f64 v[40:41], v[40:41], v[50:51]
	s_waitcnt vmcnt(40) lgkmcnt(8)
	v_mul_f64 v[92:93], v[34:35], v[44:45]
	v_fmac_f64_e32 v[92:93], v[36:37], v[42:43]
	s_waitcnt vmcnt(38) lgkmcnt(7)
	v_mul_f64 v[94:95], v[30:31], v[46:47]
	v_add_f64 v[90:91], v[90:91], v[92:93]
	s_waitcnt vmcnt(36) lgkmcnt(5)
	v_mul_f64 v[98:99], v[22:23], v[52:53]
	v_mul_f64 v[36:37], v[36:37], v[44:45]
	s_waitcnt vmcnt(34)
	v_fmac_f64_e32 v[98:99], v[24:25], v[54:55]
	v_fma_f64 v[34:35], v[34:35], v[42:43], -v[36:37]
	s_waitcnt vmcnt(32)
	v_mul_f64 v[96:97], v[26:27], v[56:57]
	v_mul_f64 v[24:25], v[24:25], v[52:53]
	s_waitcnt vmcnt(30) lgkmcnt(4)
	v_mul_f64 v[100:101], v[18:19], v[62:63]
	v_fma_f64 v[22:23], v[22:23], v[54:55], -v[24:25]
	s_waitcnt vmcnt(28) lgkmcnt(1)
	v_mul_f64 v[124:125], v[2:3], v[64:65]
	s_waitcnt vmcnt(25)
	v_mul_f64 v[104:105], v[6:7], v[68:69]
	s_waitcnt vmcnt(23)
	;; [unrolled: 2-line block ×3, first 2 shown]
	v_fmac_f64_e32 v[102:103], v[12:13], v[72:73]
	v_mul_f64 v[12:13], v[12:13], v[70:71]
	s_waitcnt vmcnt(19)
	v_fmac_f64_e32 v[94:95], v[32:33], v[80:81]
	v_add_f64 v[90:91], v[90:91], v[94:95]
	s_waitcnt vmcnt(17)
	v_fmac_f64_e32 v[96:97], v[28:29], v[78:79]
	v_add_f64 v[90:91], v[90:91], v[96:97]
	;; [unrolled: 3-line block ×3, first 2 shown]
	v_add_f64 v[90:91], v[90:91], v[100:101]
	s_waitcnt vmcnt(13)
	v_fmac_f64_e32 v[104:105], v[8:9], v[74:75]
	v_add_f64 v[90:91], v[90:91], v[102:103]
	v_add_f64 v[126:127], v[90:91], v[104:105]
	buffer_load_dword v91, off, s[0:3], 0 offset:652
	buffer_load_dword v90, off, s[0:3], 0 offset:648
	;; [unrolled: 1-line block ×72, first 2 shown]
	s_waitcnt vmcnt(62)
	v_fmac_f64_e32 v[124:125], v[4:5], v[66:67]
	v_add_f64 v[152:153], v[126:127], v[124:125]
	ds_read_b128 v[124:127], v1 offset:1504
	s_waitcnt lgkmcnt(1)
	v_mul_f64 v[154:155], v[14:15], v[86:87]
	v_fmac_f64_e32 v[154:155], v[16:17], v[88:89]
	buffer_load_dword v235, off, s[0:3], 0 offset:924
	buffer_load_dword v234, off, s[0:3], 0 offset:920
	;; [unrolled: 1-line block ×4, first 2 shown]
	v_add_f64 v[156:157], v[152:153], v[154:155]
	s_waitcnt lgkmcnt(0)
	v_mul_f64 v[158:159], v[124:125], v[82:83]
	ds_read_b128 v[152:155], v1 offset:1520
	v_fmac_f64_e32 v[158:159], v[126:127], v[84:85]
	v_add_f64 v[160:161], v[156:157], v[158:159]
	ds_read_b128 v[156:159], v1 offset:1536
	v_mul_f64 v[32:33], v[32:33], v[46:47]
	s_waitcnt lgkmcnt(1)
	v_mul_f64 v[162:163], v[152:153], v[94:95]
	v_fma_f64 v[30:31], v[30:31], v[80:81], -v[32:33]
	v_fmac_f64_e32 v[162:163], v[154:155], v[96:97]
	s_waitcnt lgkmcnt(0)
	v_mul_f64 v[166:167], v[156:157], v[90:91]
	v_add_f64 v[164:165], v[160:161], v[162:163]
	ds_read_b128 v[160:163], v1 offset:1552
	v_fmac_f64_e32 v[166:167], v[158:159], v[92:93]
	v_add_f64 v[168:169], v[164:165], v[166:167]
	ds_read_b128 v[164:167], v1 offset:1568
	v_mul_f64 v[28:29], v[28:29], v[56:57]
	s_waitcnt vmcnt(62) lgkmcnt(1)
	v_mul_f64 v[170:171], v[160:161], v[102:103]
	s_waitcnt vmcnt(60)
	v_fmac_f64_e32 v[170:171], v[162:163], v[104:105]
	v_add_f64 v[172:173], v[168:169], v[170:171]
	s_waitcnt lgkmcnt(0)
	v_mul_f64 v[174:175], v[164:165], v[98:99]
	ds_read_b128 v[168:171], v1 offset:1584
	v_fmac_f64_e32 v[174:175], v[166:167], v[100:101]
	v_add_f64 v[176:177], v[172:173], v[174:175]
	ds_read_b128 v[172:175], v1 offset:1600
	v_fma_f64 v[26:27], v[26:27], v[78:79], -v[28:29]
	s_waitcnt vmcnt(54) lgkmcnt(1)
	v_mul_f64 v[178:179], v[168:169], v[110:111]
	s_waitcnt vmcnt(52)
	v_fmac_f64_e32 v[178:179], v[170:171], v[112:113]
	v_add_f64 v[180:181], v[176:177], v[178:179]
	s_waitcnt lgkmcnt(0)
	v_mul_f64 v[182:183], v[172:173], v[106:107]
	ds_read_b128 v[176:179], v1 offset:1616
	v_fmac_f64_e32 v[182:183], v[174:175], v[108:109]
	v_add_f64 v[184:185], v[180:181], v[182:183]
	ds_read_b128 v[180:183], v1 offset:1632
	v_mul_f64 v[20:21], v[20:21], v[62:63]
	s_waitcnt vmcnt(46) lgkmcnt(1)
	v_mul_f64 v[186:187], v[176:177], v[120:121]
	s_waitcnt vmcnt(44)
	v_fmac_f64_e32 v[186:187], v[178:179], v[122:123]
	v_add_f64 v[188:189], v[184:185], v[186:187]
	s_waitcnt lgkmcnt(0)
	v_mul_f64 v[190:191], v[180:181], v[114:115]
	ds_read_b128 v[184:187], v1 offset:1648
	v_fmac_f64_e32 v[190:191], v[182:183], v[116:117]
	v_add_f64 v[192:193], v[188:189], v[190:191]
	ds_read_b128 v[188:191], v1 offset:1664
	v_fma_f64 v[18:19], v[18:19], v[76:77], -v[20:21]
	s_waitcnt vmcnt(38) lgkmcnt(1)
	v_mul_f64 v[194:195], v[184:185], v[132:133]
	s_waitcnt vmcnt(36)
	v_fmac_f64_e32 v[194:195], v[186:187], v[134:135]
	v_add_f64 v[196:197], v[192:193], v[194:195]
	s_waitcnt lgkmcnt(0)
	v_mul_f64 v[198:199], v[188:189], v[128:129]
	ds_read_b128 v[192:195], v1 offset:1680
	v_fmac_f64_e32 v[198:199], v[190:191], v[130:131]
	v_add_f64 v[200:201], v[196:197], v[198:199]
	ds_read_b128 v[196:199], v1 offset:1696
	v_fma_f64 v[10:11], v[10:11], v[72:73], -v[12:13]
	s_waitcnt vmcnt(30) lgkmcnt(1)
	v_mul_f64 v[202:203], v[192:193], v[140:141]
	s_waitcnt vmcnt(28)
	v_fmac_f64_e32 v[202:203], v[194:195], v[142:143]
	v_add_f64 v[204:205], v[200:201], v[202:203]
	s_waitcnt lgkmcnt(0)
	v_mul_f64 v[206:207], v[196:197], v[136:137]
	ds_read_b128 v[200:203], v1 offset:1712
	v_fmac_f64_e32 v[206:207], v[198:199], v[138:139]
	v_add_f64 v[208:209], v[204:205], v[206:207]
	ds_read_b128 v[204:207], v1 offset:1728
	v_mul_f64 v[8:9], v[8:9], v[68:69]
	s_waitcnt vmcnt(22) lgkmcnt(1)
	v_mul_f64 v[210:211], v[200:201], v[148:149]
	s_waitcnt vmcnt(20)
	v_fmac_f64_e32 v[210:211], v[202:203], v[150:151]
	v_add_f64 v[212:213], v[208:209], v[210:211]
	s_waitcnt lgkmcnt(0)
	v_mul_f64 v[214:215], v[204:205], v[144:145]
	ds_read_b128 v[208:211], v1 offset:1744
	v_fmac_f64_e32 v[214:215], v[206:207], v[146:147]
	v_add_f64 v[216:217], v[212:213], v[214:215]
	ds_read_b128 v[212:215], v1 offset:1760
	v_fma_f64 v[6:7], v[6:7], v[74:75], -v[8:9]
	s_waitcnt vmcnt(14) lgkmcnt(1)
	v_mul_f64 v[218:219], v[208:209], v[222:223]
	s_waitcnt vmcnt(12)
	v_fmac_f64_e32 v[218:219], v[210:211], v[224:225]
	v_add_f64 v[238:239], v[216:217], v[218:219]
	s_waitcnt lgkmcnt(0)
	v_mul_f64 v[240:241], v[212:213], v[118:119]
	v_fmac_f64_e32 v[240:241], v[214:215], v[220:221]
	v_add_f64 v[238:239], v[238:239], v[240:241]
	v_fma_f64 v[240:241], v[38:39], v[48:49], -v[40:41]
	v_add_f64 v[240:241], v[240:241], 0
	v_add_f64 v[34:35], v[240:241], v[34:35]
	;; [unrolled: 1-line block ×7, first 2 shown]
	v_mul_f64 v[4:5], v[4:5], v[64:65]
	v_add_f64 v[6:7], v[10:11], v[6:7]
	v_fma_f64 v[2:3], v[2:3], v[66:67], -v[4:5]
	v_mul_f64 v[4:5], v[16:17], v[86:87]
	v_add_f64 v[2:3], v[6:7], v[2:3]
	v_fma_f64 v[4:5], v[14:15], v[88:89], -v[4:5]
	v_add_f64 v[2:3], v[2:3], v[4:5]
	v_mul_f64 v[4:5], v[126:127], v[82:83]
	v_fma_f64 v[4:5], v[124:125], v[84:85], -v[4:5]
	v_add_f64 v[2:3], v[2:3], v[4:5]
	v_mul_f64 v[4:5], v[154:155], v[94:95]
	;; [unrolled: 3-line block ×15, first 2 shown]
	ds_read_b128 v[216:219], v1 offset:1776
	ds_read_b128 v[38:41], v1 offset:1792
	v_fma_f64 v[4:5], v[204:205], v[146:147], -v[4:5]
	v_add_f64 v[2:3], v[2:3], v[4:5]
	v_mul_f64 v[4:5], v[210:211], v[222:223]
	v_fma_f64 v[4:5], v[208:209], v[224:225], -v[4:5]
	v_add_f64 v[2:3], v[2:3], v[4:5]
	v_mul_f64 v[4:5], v[214:215], v[118:119]
	ds_read_b128 v[48:51], v1 offset:1808
	v_fma_f64 v[4:5], v[212:213], v[220:221], -v[4:5]
	v_add_f64 v[2:3], v[2:3], v[4:5]
	s_waitcnt vmcnt(6) lgkmcnt(2)
	v_mul_f64 v[4:5], v[218:219], v[230:231]
	v_mul_f64 v[242:243], v[216:217], v[230:231]
	s_waitcnt vmcnt(4)
	v_fma_f64 v[4:5], v[216:217], v[232:233], -v[4:5]
	v_fmac_f64_e32 v[242:243], v[218:219], v[232:233]
	v_add_f64 v[2:3], v[2:3], v[4:5]
	s_waitcnt lgkmcnt(1)
	v_mul_f64 v[4:5], v[40:41], v[226:227]
	v_add_f64 v[238:239], v[238:239], v[242:243]
	v_mul_f64 v[242:243], v[38:39], v[226:227]
	v_fma_f64 v[4:5], v[38:39], v[228:229], -v[4:5]
	v_fmac_f64_e32 v[242:243], v[40:41], v[228:229]
	v_add_f64 v[2:3], v[2:3], v[4:5]
	s_waitcnt vmcnt(2) lgkmcnt(0)
	v_mul_f64 v[4:5], v[50:51], v[234:235]
	v_add_f64 v[238:239], v[238:239], v[242:243]
	v_mul_f64 v[242:243], v[48:49], v[234:235]
	s_waitcnt vmcnt(0)
	v_fma_f64 v[4:5], v[48:49], v[236:237], -v[4:5]
	v_fmac_f64_e32 v[242:243], v[50:51], v[236:237]
	v_add_f64 v[2:3], v[2:3], v[4:5]
	v_add_f64 v[238:239], v[238:239], v[242:243]
	v_add_f64 v[2:3], v[60:61], -v[2:3]
	v_add_f64 v[4:5], v[58:59], -v[238:239]
	buffer_store_dword v3, off, s[0:3], 0 offset:436
	buffer_store_dword v2, off, s[0:3], 0 offset:432
	;; [unrolled: 1-line block ×4, first 2 shown]
	s_and_saveexec_b64 s[4:5], vcc
	s_cbranch_execz .LBB56_305
; %bb.304:
	v_accvgpr_read_b32 v0, a145
	buffer_load_dword v2, v0, s[0:3], 0 offen
	buffer_load_dword v3, v0, s[0:3], 0 offen offset:4
	buffer_load_dword v4, v0, s[0:3], 0 offen offset:8
	;; [unrolled: 1-line block ×3, first 2 shown]
	v_mov_b32_e32 v0, 0
	v_accvgpr_read_b32 v1, a171
	buffer_store_dword v0, off, s[0:3], 0 offset:416
	buffer_store_dword v0, off, s[0:3], 0 offset:420
	;; [unrolled: 1-line block ×4, first 2 shown]
	s_waitcnt vmcnt(4)
	ds_write_b128 v1, v[2:5]
.LBB56_305:
	s_or_b64 exec, exec, s[4:5]
	s_waitcnt lgkmcnt(0)
	; wave barrier
	s_waitcnt lgkmcnt(0)
	buffer_load_dword v106, off, s[0:3], 0 offset:432
	buffer_load_dword v107, off, s[0:3], 0 offset:436
	buffer_load_dword v108, off, s[0:3], 0 offset:440
	buffer_load_dword v109, off, s[0:3], 0 offset:444
	buffer_load_dword v114, off, s[0:3], 0 offset:448
	buffer_load_dword v115, off, s[0:3], 0 offset:452
	buffer_load_dword v116, off, s[0:3], 0 offset:456
	buffer_load_dword v117, off, s[0:3], 0 offset:460
	buffer_load_dword v120, off, s[0:3], 0 offset:472
	buffer_load_dword v121, off, s[0:3], 0 offset:476
	buffer_load_dword v123, off, s[0:3], 0 offset:508
	buffer_load_dword v122, off, s[0:3], 0 offset:504
	buffer_load_dword v125, off, s[0:3], 0 offset:500
	buffer_load_dword v124, off, s[0:3], 0 offset:496
	buffer_load_dword v127, off, s[0:3], 0 offset:492
	buffer_load_dword v126, off, s[0:3], 0 offset:488
	buffer_load_dword v129, off, s[0:3], 0 offset:540
	buffer_load_dword v128, off, s[0:3], 0 offset:536
	buffer_load_dword v131, off, s[0:3], 0 offset:532
	buffer_load_dword v130, off, s[0:3], 0 offset:528
	buffer_load_dword v133, off, s[0:3], 0 offset:524
	buffer_load_dword v132, off, s[0:3], 0 offset:520
	buffer_load_dword v135, off, s[0:3], 0 offset:572
	buffer_load_dword v134, off, s[0:3], 0 offset:568
	buffer_load_dword v137, off, s[0:3], 0 offset:564
	buffer_load_dword v136, off, s[0:3], 0 offset:560
	buffer_load_dword v143, off, s[0:3], 0 offset:556
	buffer_load_dword v142, off, s[0:3], 0 offset:552
	buffer_load_dword v139, off, s[0:3], 0 offset:588
	buffer_load_dword v138, off, s[0:3], 0 offset:584
	buffer_load_dword v154, off, s[0:3], 0 offset:464
	buffer_load_dword v155, off, s[0:3], 0 offset:468
	buffer_load_dword v153, off, s[0:3], 0 offset:484
	buffer_load_dword v152, off, s[0:3], 0 offset:480
	buffer_load_dword v151, off, s[0:3], 0 offset:516
	buffer_load_dword v150, off, s[0:3], 0 offset:512
	buffer_load_dword v149, off, s[0:3], 0 offset:548
	buffer_load_dword v148, off, s[0:3], 0 offset:544
	buffer_load_dword v147, off, s[0:3], 0 offset:580
	buffer_load_dword v146, off, s[0:3], 0 offset:576
	buffer_load_dword v144, off, s[0:3], 0 offset:600
	buffer_load_dword v156, off, s[0:3], 0 offset:592
	buffer_load_dword v157, off, s[0:3], 0 offset:596
	buffer_load_dword v140, off, s[0:3], 0 offset:416
	buffer_load_dword v141, off, s[0:3], 0 offset:420
	buffer_load_dword v145, off, s[0:3], 0 offset:604
	buffer_load_dword v159, off, s[0:3], 0 offset:636
	buffer_load_dword v158, off, s[0:3], 0 offset:632
	buffer_load_dword v161, off, s[0:3], 0 offset:628
	v_mov_b32_e32 v1, 0
	ds_read_b128 v[110:113], v1 offset:1328
	ds_read_b128 v[250:253], v1 offset:1344
	;; [unrolled: 1-line block ×10, first 2 shown]
	buffer_load_dword v160, off, s[0:3], 0 offset:624
	buffer_load_dword v175, off, s[0:3], 0 offset:620
	;; [unrolled: 1-line block ×69, first 2 shown]
	v_accvgpr_write_b32 a170, v254
	v_cmp_lt_u32_e32 vcc, 24, v254
	s_waitcnt vmcnt(62) lgkmcnt(9)
	v_mul_f64 v[34:35], v[110:111], v[108:109]
	v_fmac_f64_e32 v[34:35], v[112:113], v[106:107]
	v_add_f64 v[34:35], v[34:35], 0
	v_mul_f64 v[108:109], v[112:113], v[108:109]
	s_waitcnt lgkmcnt(8)
	v_mul_f64 v[36:37], v[250:251], v[116:117]
	v_fmac_f64_e32 v[36:37], v[252:253], v[114:115]
	s_waitcnt lgkmcnt(7)
	v_mul_f64 v[38:39], v[30:31], v[120:121]
	v_add_f64 v[34:35], v[34:35], v[36:37]
	s_waitcnt lgkmcnt(5)
	v_mul_f64 v[42:43], v[22:23], v[122:123]
	v_mul_f64 v[116:117], v[252:253], v[116:117]
	v_fmac_f64_e32 v[42:43], v[24:25], v[124:125]
	v_fma_f64 v[248:249], v[110:111], v[106:107], -v[108:109]
	v_mul_f64 v[40:41], v[26:27], v[126:127]
	v_fma_f64 v[250:251], v[250:251], v[114:115], -v[116:117]
	s_waitcnt lgkmcnt(3)
	v_mul_f64 v[46:47], v[14:15], v[128:129]
	v_mul_f64 v[24:25], v[24:25], v[122:123]
	v_fmac_f64_e32 v[46:47], v[16:17], v[130:131]
	v_fma_f64 v[22:23], v[22:23], v[124:125], -v[24:25]
	v_mul_f64 v[44:45], v[18:19], v[132:133]
	v_mul_f64 v[16:17], v[16:17], v[128:129]
	s_waitcnt lgkmcnt(1)
	v_mul_f64 v[50:51], v[6:7], v[134:135]
	v_fma_f64 v[14:15], v[14:15], v[130:131], -v[16:17]
	v_fmac_f64_e32 v[50:51], v[8:9], v[136:137]
	v_mul_f64 v[8:9], v[8:9], v[134:135]
	v_mul_f64 v[48:49], v[10:11], v[142:143]
	v_fma_f64 v[6:7], v[6:7], v[136:137], -v[8:9]
	s_waitcnt lgkmcnt(0)
	v_mul_f64 v[52:53], v[2:3], v[138:139]
	v_fmac_f64_e32 v[38:39], v[32:33], v[154:155]
	v_add_f64 v[34:35], v[34:35], v[38:39]
	v_fmac_f64_e32 v[40:41], v[28:29], v[152:153]
	v_add_f64 v[34:35], v[34:35], v[40:41]
	;; [unrolled: 2-line block ×3, first 2 shown]
	v_add_f64 v[34:35], v[34:35], v[44:45]
	v_fmac_f64_e32 v[48:49], v[12:13], v[148:149]
	v_add_f64 v[34:35], v[34:35], v[46:47]
	v_add_f64 v[34:35], v[34:35], v[48:49]
	v_fmac_f64_e32 v[52:53], v[4:5], v[146:147]
	v_add_f64 v[34:35], v[34:35], v[50:51]
	v_add_f64 v[42:43], v[34:35], v[52:53]
	ds_read_b128 v[38:41], v1 offset:1488
	ds_read_b128 v[34:37], v1 offset:1504
	buffer_load_dword v223, off, s[0:3], 0 offset:924
	buffer_load_dword v222, off, s[0:3], 0 offset:920
	;; [unrolled: 1-line block ×8, first 2 shown]
	ds_read_b128 v[110:113], v1 offset:1776
	ds_read_b128 v[106:109], v1 offset:1792
	s_waitcnt lgkmcnt(3)
	v_mul_f64 v[44:45], v[38:39], v[144:145]
	v_fmac_f64_e32 v[44:45], v[40:41], v[156:157]
	v_add_f64 v[46:47], v[42:43], v[44:45]
	ds_read_b128 v[42:45], v1 offset:1520
	s_waitcnt lgkmcnt(3)
	v_mul_f64 v[48:49], v[34:35], v[174:175]
	v_fmac_f64_e32 v[48:49], v[36:37], v[178:179]
	v_add_f64 v[50:51], v[46:47], v[48:49]
	;; [unrolled: 5-line block ×3, first 2 shown]
	ds_read_b128 v[50:53], v1 offset:1552
	s_waitcnt vmcnt(62) lgkmcnt(1)
	v_mul_f64 v[56:57], v[46:47], v[182:183]
	v_fmac_f64_e32 v[56:57], v[48:49], v[186:187]
	v_add_f64 v[58:59], v[54:55], v[56:57]
	ds_read_b128 v[54:57], v1 offset:1568
	s_waitcnt lgkmcnt(1)
	v_mul_f64 v[60:61], v[50:51], v[162:163]
	v_fmac_f64_e32 v[60:61], v[52:53], v[164:165]
	v_add_f64 v[62:63], v[58:59], v[60:61]
	ds_read_b128 v[58:61], v1 offset:1584
	s_waitcnt vmcnt(58) lgkmcnt(1)
	v_mul_f64 v[64:65], v[54:55], v[190:191]
	s_waitcnt vmcnt(56)
	v_fmac_f64_e32 v[64:65], v[56:57], v[194:195]
	v_add_f64 v[66:67], v[62:63], v[64:65]
	ds_read_b128 v[62:65], v1 offset:1600
	s_waitcnt lgkmcnt(1)
	v_mul_f64 v[68:69], v[58:59], v[166:167]
	v_fmac_f64_e32 v[68:69], v[60:61], v[168:169]
	v_add_f64 v[70:71], v[66:67], v[68:69]
	ds_read_b128 v[66:69], v1 offset:1616
	s_waitcnt vmcnt(50) lgkmcnt(1)
	v_mul_f64 v[72:73], v[62:63], v[198:199]
	s_waitcnt vmcnt(48)
	;; [unrolled: 11-line block ×5, first 2 shown]
	v_fmac_f64_e32 v[96:97], v[88:89], v[220:221]
	v_add_f64 v[98:99], v[94:95], v[96:97]
	ds_read_b128 v[94:97], v1 offset:1728
	s_waitcnt lgkmcnt(1)
	v_mul_f64 v[100:101], v[90:91], v[192:193]
	v_fmac_f64_e32 v[100:101], v[92:93], v[196:197]
	v_add_f64 v[118:119], v[98:99], v[100:101]
	ds_read_b128 v[98:101], v1 offset:1744
	ds_read_b128 v[102:105], v1 offset:1760
	;; [unrolled: 1-line block ×3, first 2 shown]
	buffer_load_dword v252, off, s[0:3], 0 offset:424
	buffer_load_dword v253, off, s[0:3], 0 offset:428
	s_waitcnt vmcnt(20) lgkmcnt(3)
	v_mul_f64 v[224:225], v[94:95], v[232:233]
	s_waitcnt vmcnt(18)
	v_fmac_f64_e32 v[224:225], v[96:97], v[236:237]
	v_add_f64 v[118:119], v[118:119], v[224:225]
	s_waitcnt lgkmcnt(2)
	v_mul_f64 v[224:225], v[98:99], v[200:201]
	v_fmac_f64_e32 v[224:225], v[100:101], v[204:205]
	v_add_f64 v[118:119], v[118:119], v[224:225]
	s_waitcnt vmcnt(12) lgkmcnt(1)
	v_mul_f64 v[224:225], v[102:103], v[238:239]
	s_waitcnt vmcnt(10)
	v_fmac_f64_e32 v[224:225], v[104:105], v[240:241]
	v_add_f64 v[118:119], v[118:119], v[224:225]
	v_mul_f64 v[224:225], v[110:111], v[208:209]
	v_fmac_f64_e32 v[224:225], v[112:113], v[212:213]
	v_add_f64 v[118:119], v[118:119], v[224:225]
	s_waitcnt vmcnt(4)
	v_mul_f64 v[224:225], v[106:107], v[242:243]
	v_mul_f64 v[32:33], v[32:33], v[120:121]
	s_waitcnt vmcnt(2)
	v_fmac_f64_e32 v[224:225], v[108:109], v[244:245]
	v_add_f64 v[118:119], v[118:119], v[224:225]
	s_waitcnt lgkmcnt(0)
	v_mul_f64 v[224:225], v[114:115], v[222:223]
	v_fmac_f64_e32 v[224:225], v[116:117], v[234:235]
	v_add_f64 v[246:247], v[118:119], v[224:225]
	v_add_f64 v[118:119], v[248:249], 0
	;; [unrolled: 1-line block ×3, first 2 shown]
	v_fma_f64 v[30:31], v[30:31], v[154:155], -v[32:33]
	v_mul_f64 v[28:29], v[28:29], v[126:127]
	v_add_f64 v[30:31], v[118:119], v[30:31]
	v_fma_f64 v[26:27], v[26:27], v[152:153], -v[28:29]
	v_add_f64 v[26:27], v[30:31], v[26:27]
	v_mul_f64 v[20:21], v[20:21], v[132:133]
	v_add_f64 v[22:23], v[26:27], v[22:23]
	v_fma_f64 v[18:19], v[18:19], v[150:151], -v[20:21]
	v_add_f64 v[18:19], v[22:23], v[18:19]
	;; [unrolled: 4-line block ×3, first 2 shown]
	v_mul_f64 v[4:5], v[4:5], v[138:139]
	v_add_f64 v[6:7], v[10:11], v[6:7]
	v_fma_f64 v[2:3], v[2:3], v[146:147], -v[4:5]
	v_mul_f64 v[4:5], v[40:41], v[144:145]
	v_add_f64 v[2:3], v[6:7], v[2:3]
	v_fma_f64 v[4:5], v[38:39], v[156:157], -v[4:5]
	v_add_f64 v[2:3], v[2:3], v[4:5]
	v_mul_f64 v[4:5], v[36:37], v[174:175]
	v_fma_f64 v[4:5], v[34:35], v[178:179], -v[4:5]
	v_add_f64 v[2:3], v[2:3], v[4:5]
	v_mul_f64 v[4:5], v[44:45], v[158:159]
	;; [unrolled: 3-line block ×20, first 2 shown]
	v_fma_f64 v[4:5], v[114:115], v[234:235], -v[4:5]
	v_add_f64 v[2:3], v[2:3], v[4:5]
	v_add_f64 v[2:3], v[140:141], -v[2:3]
	s_waitcnt vmcnt(0)
	v_add_f64 v[4:5], v[252:253], -v[246:247]
	buffer_store_dword v3, off, s[0:3], 0 offset:420
	buffer_store_dword v2, off, s[0:3], 0 offset:416
	;; [unrolled: 1-line block ×4, first 2 shown]
	s_and_saveexec_b64 s[4:5], vcc
	s_cbranch_execz .LBB56_307
; %bb.306:
	v_accvgpr_read_b32 v0, a146
	buffer_load_dword v2, v0, s[0:3], 0 offen
	buffer_load_dword v3, v0, s[0:3], 0 offen offset:4
	buffer_load_dword v4, v0, s[0:3], 0 offen offset:8
	;; [unrolled: 1-line block ×3, first 2 shown]
	v_accvgpr_read_b32 v0, a171
	buffer_store_dword v1, off, s[0:3], 0 offset:400
	buffer_store_dword v1, off, s[0:3], 0 offset:404
	;; [unrolled: 1-line block ×4, first 2 shown]
	s_waitcnt vmcnt(4)
	ds_write_b128 v0, v[2:5]
.LBB56_307:
	s_or_b64 exec, exec, s[4:5]
	s_waitcnt lgkmcnt(0)
	; wave barrier
	s_waitcnt lgkmcnt(0)
	buffer_load_dword v112, off, s[0:3], 0 offset:416
	buffer_load_dword v113, off, s[0:3], 0 offset:420
	;; [unrolled: 1-line block ×36, first 2 shown]
	ds_read_b128 v[102:105], v1 offset:1312
	ds_read_b128 v[106:109], v1 offset:1328
	;; [unrolled: 1-line block ×9, first 2 shown]
	buffer_load_dword v145, off, s[0:3], 0 offset:588
	buffer_load_dword v144, off, s[0:3], 0 offset:584
	buffer_load_dword v147, off, s[0:3], 0 offset:580
	buffer_load_dword v146, off, s[0:3], 0 offset:576
	buffer_load_dword v149, off, s[0:3], 0 offset:572
	buffer_load_dword v148, off, s[0:3], 0 offset:568
	buffer_load_dword v151, off, s[0:3], 0 offset:564
	buffer_load_dword v150, off, s[0:3], 0 offset:560
	buffer_load_dword v153, off, s[0:3], 0 offset:620
	buffer_load_dword v152, off, s[0:3], 0 offset:616
	buffer_load_dword v155, off, s[0:3], 0 offset:612
	buffer_load_dword v154, off, s[0:3], 0 offset:608
	buffer_load_dword v161, off, s[0:3], 0 offset:604
	buffer_load_dword v160, off, s[0:3], 0 offset:600
	buffer_load_dword v163, off, s[0:3], 0 offset:596
	buffer_load_dword v162, off, s[0:3], 0 offset:592
	buffer_load_dword v157, off, s[0:3], 0 offset:652
	buffer_load_dword v156, off, s[0:3], 0 offset:648
	buffer_load_dword v159, off, s[0:3], 0 offset:644
	buffer_load_dword v158, off, s[0:3], 0 offset:640
	buffer_load_dword v177, off, s[0:3], 0 offset:636
	buffer_load_dword v176, off, s[0:3], 0 offset:632
	buffer_load_dword v181, off, s[0:3], 0 offset:628
	buffer_load_dword v180, off, s[0:3], 0 offset:624
	buffer_load_dword v165, off, s[0:3], 0 offset:684
	buffer_load_dword v164, off, s[0:3], 0 offset:680
	buffer_load_dword v167, off, s[0:3], 0 offset:676
	buffer_load_dword v166, off, s[0:3], 0 offset:672
	buffer_load_dword v185, off, s[0:3], 0 offset:668
	buffer_load_dword v184, off, s[0:3], 0 offset:664
	buffer_load_dword v189, off, s[0:3], 0 offset:660
	buffer_load_dword v188, off, s[0:3], 0 offset:656
	buffer_load_dword v169, off, s[0:3], 0 offset:716
	buffer_load_dword v168, off, s[0:3], 0 offset:712
	buffer_load_dword v171, off, s[0:3], 0 offset:708
	buffer_load_dword v170, off, s[0:3], 0 offset:704
	buffer_load_dword v193, off, s[0:3], 0 offset:700
	buffer_load_dword v192, off, s[0:3], 0 offset:696
	buffer_load_dword v197, off, s[0:3], 0 offset:692
	buffer_load_dword v196, off, s[0:3], 0 offset:688
	buffer_load_dword v173, off, s[0:3], 0 offset:748
	buffer_load_dword v172, off, s[0:3], 0 offset:744
	buffer_load_dword v175, off, s[0:3], 0 offset:740
	buffer_load_dword v174, off, s[0:3], 0 offset:736
	buffer_load_dword v201, off, s[0:3], 0 offset:732
	buffer_load_dword v200, off, s[0:3], 0 offset:728
	buffer_load_dword v205, off, s[0:3], 0 offset:724
	buffer_load_dword v204, off, s[0:3], 0 offset:720
	buffer_load_dword v179, off, s[0:3], 0 offset:780
	buffer_load_dword v178, off, s[0:3], 0 offset:776
	buffer_load_dword v183, off, s[0:3], 0 offset:772
	buffer_load_dword v182, off, s[0:3], 0 offset:768
	buffer_load_dword v209, off, s[0:3], 0 offset:764
	buffer_load_dword v208, off, s[0:3], 0 offset:760
	buffer_load_dword v211, off, s[0:3], 0 offset:756
	buffer_load_dword v210, off, s[0:3], 0 offset:752
	buffer_load_dword v187, off, s[0:3], 0 offset:812
	buffer_load_dword v186, off, s[0:3], 0 offset:808
	buffer_load_dword v191, off, s[0:3], 0 offset:804
	buffer_load_dword v190, off, s[0:3], 0 offset:800
	buffer_load_dword v213, off, s[0:3], 0 offset:796
	buffer_load_dword v212, off, s[0:3], 0 offset:792
	buffer_load_dword v215, off, s[0:3], 0 offset:788
	buffer_load_dword v214, off, s[0:3], 0 offset:784
	buffer_load_dword v195, off, s[0:3], 0 offset:844
	buffer_load_dword v194, off, s[0:3], 0 offset:840
	buffer_load_dword v199, off, s[0:3], 0 offset:836
	buffer_load_dword v198, off, s[0:3], 0 offset:832
	buffer_load_dword v217, off, s[0:3], 0 offset:828
	buffer_load_dword v216, off, s[0:3], 0 offset:824
	buffer_load_dword v219, off, s[0:3], 0 offset:820
	buffer_load_dword v218, off, s[0:3], 0 offset:816
	buffer_load_dword v203, off, s[0:3], 0 offset:876
	buffer_load_dword v202, off, s[0:3], 0 offset:872
	buffer_load_dword v207, off, s[0:3], 0 offset:868
	buffer_load_dword v206, off, s[0:3], 0 offset:864
	buffer_load_dword v221, off, s[0:3], 0 offset:860
	buffer_load_dword v220, off, s[0:3], 0 offset:856
	v_accvgpr_read_b32 v230, a170
	v_cmp_lt_u32_e32 vcc, 23, v230
	s_waitcnt vmcnt(62) lgkmcnt(8)
	v_mul_f64 v[26:27], v[102:103], v[246:247]
	v_fmac_f64_e32 v[26:27], v[104:105], v[112:113]
	v_add_f64 v[26:27], v[26:27], 0
	v_mul_f64 v[104:105], v[104:105], v[246:247]
	s_waitcnt lgkmcnt(7)
	v_mul_f64 v[28:29], v[106:107], v[248:249]
	v_fmac_f64_e32 v[28:29], v[108:109], v[110:111]
	s_waitcnt lgkmcnt(6)
	v_mul_f64 v[30:31], v[114:115], v[244:245]
	v_add_f64 v[26:27], v[26:27], v[28:29]
	s_waitcnt lgkmcnt(4)
	v_mul_f64 v[34:35], v[18:19], v[120:121]
	v_fma_f64 v[246:247], v[102:103], v[112:113], -v[104:105]
	v_fmac_f64_e32 v[34:35], v[20:21], v[122:123]
	v_mul_f64 v[108:109], v[108:109], v[248:249]
	v_mul_f64 v[32:33], v[22:23], v[124:125]
	v_fma_f64 v[248:249], v[106:107], v[110:111], -v[108:109]
	s_waitcnt lgkmcnt(2)
	v_mul_f64 v[38:39], v[10:11], v[126:127]
	v_mul_f64 v[20:21], v[20:21], v[120:121]
	v_fmac_f64_e32 v[38:39], v[12:13], v[128:129]
	v_fma_f64 v[18:19], v[18:19], v[122:123], -v[20:21]
	v_mul_f64 v[36:37], v[14:15], v[132:133]
	v_mul_f64 v[12:13], v[12:13], v[126:127]
	s_waitcnt lgkmcnt(1)
	v_mul_f64 v[40:41], v[6:7], v[130:131]
	v_fma_f64 v[10:11], v[10:11], v[128:129], -v[12:13]
	v_fmac_f64_e32 v[30:31], v[116:117], v[250:251]
	v_add_f64 v[26:27], v[26:27], v[30:31]
	v_fmac_f64_e32 v[32:33], v[24:25], v[140:141]
	v_add_f64 v[26:27], v[26:27], v[32:33]
	v_fmac_f64_e32 v[36:37], v[16:17], v[138:139]
	v_add_f64 v[26:27], v[26:27], v[34:35]
	v_add_f64 v[26:27], v[26:27], v[36:37]
	v_fmac_f64_e32 v[40:41], v[8:9], v[136:137]
	v_add_f64 v[30:31], v[26:27], v[38:39]
	v_add_f64 v[30:31], v[30:31], v[40:41]
	s_waitcnt lgkmcnt(0)
	v_mul_f64 v[32:33], v[2:3], v[134:135]
	v_fmac_f64_e32 v[32:33], v[4:5], v[142:143]
	ds_read_b128 v[26:29], v1 offset:1456
	v_add_f64 v[34:35], v[30:31], v[32:33]
	ds_read_b128 v[30:33], v1 offset:1472
	buffer_load_dword v223, off, s[0:3], 0 offset:852
	buffer_load_dword v222, off, s[0:3], 0 offset:848
	v_mul_f64 v[116:117], v[116:117], v[244:245]
	s_waitcnt lgkmcnt(1)
	v_mul_f64 v[36:37], v[26:27], v[148:149]
	v_fmac_f64_e32 v[36:37], v[28:29], v[150:151]
	v_add_f64 v[38:39], v[34:35], v[36:37]
	ds_read_b128 v[34:37], v1 offset:1488
	s_waitcnt lgkmcnt(1)
	v_mul_f64 v[40:41], v[30:31], v[144:145]
	v_fmac_f64_e32 v[40:41], v[32:33], v[146:147]
	v_add_f64 v[42:43], v[38:39], v[40:41]
	ds_read_b128 v[38:41], v1 offset:1504
	;; [unrolled: 5-line block ×4, first 2 shown]
	buffer_load_dword v233, off, s[0:3], 0 offset:908
	buffer_load_dword v235, off, s[0:3], 0 offset:892
	;; [unrolled: 1-line block ×12, first 2 shown]
	s_waitcnt vmcnt(62) lgkmcnt(1)
	v_mul_f64 v[52:53], v[42:43], v[176:177]
	v_fmac_f64_e32 v[52:53], v[44:45], v[180:181]
	v_add_f64 v[54:55], v[50:51], v[52:53]
	ds_read_b128 v[50:53], v1 offset:1552
	s_waitcnt lgkmcnt(1)
	v_mul_f64 v[56:57], v[46:47], v[156:157]
	v_fmac_f64_e32 v[56:57], v[48:49], v[158:159]
	v_add_f64 v[58:59], v[54:55], v[56:57]
	ds_read_b128 v[54:57], v1 offset:1568
	s_waitcnt lgkmcnt(1)
	v_mul_f64 v[60:61], v[50:51], v[184:185]
	s_waitcnt vmcnt(60)
	v_fmac_f64_e32 v[60:61], v[52:53], v[188:189]
	v_add_f64 v[62:63], v[58:59], v[60:61]
	ds_read_b128 v[58:61], v1 offset:1584
	s_waitcnt lgkmcnt(1)
	v_mul_f64 v[64:65], v[54:55], v[164:165]
	v_fmac_f64_e32 v[64:65], v[56:57], v[166:167]
	v_add_f64 v[66:67], v[62:63], v[64:65]
	ds_read_b128 v[62:65], v1 offset:1600
	s_waitcnt vmcnt(54) lgkmcnt(1)
	v_mul_f64 v[68:69], v[58:59], v[192:193]
	s_waitcnt vmcnt(52)
	v_fmac_f64_e32 v[68:69], v[60:61], v[196:197]
	v_add_f64 v[70:71], v[66:67], v[68:69]
	ds_read_b128 v[66:69], v1 offset:1616
	s_waitcnt lgkmcnt(1)
	v_mul_f64 v[72:73], v[62:63], v[168:169]
	v_fmac_f64_e32 v[72:73], v[64:65], v[170:171]
	v_add_f64 v[74:75], v[70:71], v[72:73]
	ds_read_b128 v[70:73], v1 offset:1632
	s_waitcnt vmcnt(46) lgkmcnt(1)
	;; [unrolled: 11-line block ×4, first 2 shown]
	v_mul_f64 v[92:93], v[82:83], v[212:213]
	s_waitcnt vmcnt(28)
	v_fmac_f64_e32 v[92:93], v[84:85], v[214:215]
	v_add_f64 v[98:99], v[90:91], v[92:93]
	ds_read_b128 v[90:93], v1 offset:1712
	ds_read_b128 v[94:97], v1 offset:1728
	s_waitcnt lgkmcnt(2)
	v_mul_f64 v[100:101], v[86:87], v[186:187]
	v_fmac_f64_e32 v[100:101], v[88:89], v[190:191]
	v_add_f64 v[98:99], v[98:99], v[100:101]
	s_waitcnt vmcnt(22) lgkmcnt(1)
	v_mul_f64 v[100:101], v[90:91], v[216:217]
	s_waitcnt vmcnt(20)
	v_fmac_f64_e32 v[100:101], v[92:93], v[218:219]
	v_add_f64 v[98:99], v[98:99], v[100:101]
	s_waitcnt lgkmcnt(0)
	v_mul_f64 v[100:101], v[94:95], v[194:195]
	v_fmac_f64_e32 v[100:101], v[96:97], v[198:199]
	v_add_f64 v[118:119], v[98:99], v[100:101]
	ds_read_b128 v[98:101], v1 offset:1744
	ds_read_b128 v[102:105], v1 offset:1760
	ds_read_b128 v[106:109], v1 offset:1776
	v_fma_f64 v[250:251], v[114:115], v[250:251], -v[116:117]
	ds_read_b128 v[114:117], v1 offset:1808
	s_waitcnt vmcnt(14) lgkmcnt(3)
	v_mul_f64 v[112:113], v[98:99], v[220:221]
	s_waitcnt lgkmcnt(2)
	v_mul_f64 v[110:111], v[102:103], v[202:203]
	s_waitcnt vmcnt(12)
	v_fmac_f64_e32 v[112:113], v[100:101], v[222:223]
	v_add_f64 v[112:113], v[118:119], v[112:113]
	v_fmac_f64_e32 v[110:111], v[104:105], v[206:207]
	v_add_f64 v[118:119], v[112:113], v[110:111]
	ds_read_b128 v[110:113], v1 offset:1792
	buffer_load_dword v254, off, s[0:3], 0 offset:400
	buffer_load_dword v255, off, s[0:3], 0 offset:404
	;; [unrolled: 1-line block ×4, first 2 shown]
	v_mul_f64 v[24:25], v[24:25], v[124:125]
	v_fma_f64 v[22:23], v[22:23], v[140:141], -v[24:25]
	v_mul_f64 v[16:17], v[16:17], v[132:133]
	s_waitcnt vmcnt(13) lgkmcnt(2)
	v_mul_f64 v[224:225], v[106:107], v[234:235]
	v_fma_f64 v[14:15], v[14:15], v[138:139], -v[16:17]
	s_waitcnt vmcnt(11)
	v_fmac_f64_e32 v[224:225], v[108:109], v[240:241]
	v_add_f64 v[118:119], v[118:119], v[224:225]
	s_waitcnt vmcnt(10) lgkmcnt(0)
	v_mul_f64 v[224:225], v[110:111], v[232:233]
	s_waitcnt vmcnt(8)
	v_fmac_f64_e32 v[224:225], v[112:113], v[238:239]
	v_add_f64 v[118:119], v[118:119], v[224:225]
	s_waitcnt vmcnt(6)
	v_mul_f64 v[224:225], v[114:115], v[236:237]
	v_mul_f64 v[8:9], v[8:9], v[130:131]
	s_waitcnt vmcnt(4)
	v_fmac_f64_e32 v[224:225], v[116:117], v[242:243]
	v_add_f64 v[244:245], v[118:119], v[224:225]
	v_add_f64 v[118:119], v[246:247], 0
	;; [unrolled: 1-line block ×8, first 2 shown]
	v_fma_f64 v[6:7], v[6:7], v[136:137], -v[8:9]
	v_mul_f64 v[4:5], v[4:5], v[134:135]
	v_add_f64 v[6:7], v[10:11], v[6:7]
	v_fma_f64 v[2:3], v[2:3], v[142:143], -v[4:5]
	v_mul_f64 v[4:5], v[28:29], v[148:149]
	v_add_f64 v[2:3], v[6:7], v[2:3]
	v_fma_f64 v[4:5], v[26:27], v[150:151], -v[4:5]
	v_add_f64 v[2:3], v[2:3], v[4:5]
	v_mul_f64 v[4:5], v[32:33], v[144:145]
	v_fma_f64 v[4:5], v[30:31], v[146:147], -v[4:5]
	v_add_f64 v[2:3], v[2:3], v[4:5]
	v_mul_f64 v[4:5], v[36:37], v[160:161]
	;; [unrolled: 3-line block ×22, first 2 shown]
	v_fma_f64 v[4:5], v[114:115], v[242:243], -v[4:5]
	v_add_f64 v[2:3], v[2:3], v[4:5]
	s_waitcnt vmcnt(2)
	v_add_f64 v[2:3], v[254:255], -v[2:3]
	s_waitcnt vmcnt(0)
	v_add_f64 v[4:5], v[252:253], -v[244:245]
	buffer_store_dword v3, off, s[0:3], 0 offset:404
	buffer_store_dword v2, off, s[0:3], 0 offset:400
	;; [unrolled: 1-line block ×4, first 2 shown]
	s_and_saveexec_b64 s[4:5], vcc
	s_cbranch_execz .LBB56_309
; %bb.308:
	v_accvgpr_read_b32 v0, a147
	buffer_load_dword v2, v0, s[0:3], 0 offen
	buffer_load_dword v3, v0, s[0:3], 0 offen offset:4
	buffer_load_dword v4, v0, s[0:3], 0 offen offset:8
	;; [unrolled: 1-line block ×3, first 2 shown]
	v_mov_b32_e32 v0, 0
	v_accvgpr_read_b32 v1, a171
	buffer_store_dword v0, off, s[0:3], 0 offset:384
	buffer_store_dword v0, off, s[0:3], 0 offset:388
	;; [unrolled: 1-line block ×4, first 2 shown]
	s_waitcnt vmcnt(4)
	ds_write_b128 v1, v[2:5]
.LBB56_309:
	s_or_b64 exec, exec, s[4:5]
	s_waitcnt lgkmcnt(0)
	; wave barrier
	s_waitcnt lgkmcnt(0)
	buffer_load_dword v94, off, s[0:3], 0 offset:400
	buffer_load_dword v95, off, s[0:3], 0 offset:404
	;; [unrolled: 1-line block ×52, first 2 shown]
	v_mov_b32_e32 v1, 0
	ds_read_b128 v[102:105], v1 offset:1296
	ds_read_b128 v[114:117], v1 offset:1312
	;; [unrolled: 1-line block ×10, first 2 shown]
	v_cmp_lt_u32_e32 vcc, 22, v230
	s_waitcnt vmcnt(48) lgkmcnt(9)
	v_mul_f64 v[26:27], v[102:103], v[96:97]
	v_fmac_f64_e32 v[26:27], v[104:105], v[94:95]
	v_add_f64 v[26:27], v[26:27], 0
	v_mul_f64 v[96:97], v[104:105], v[96:97]
	s_waitcnt vmcnt(44) lgkmcnt(8)
	v_mul_f64 v[28:29], v[114:115], v[100:101]
	v_fmac_f64_e32 v[28:29], v[116:117], v[98:99]
	s_waitcnt vmcnt(42) lgkmcnt(7)
	v_mul_f64 v[30:31], v[244:245], v[106:107]
	v_add_f64 v[26:27], v[26:27], v[28:29]
	s_waitcnt vmcnt(40) lgkmcnt(5)
	v_mul_f64 v[34:35], v[22:23], v[122:123]
	v_fma_f64 v[224:225], v[102:103], v[94:95], -v[96:97]
	s_waitcnt vmcnt(38)
	v_fmac_f64_e32 v[34:35], v[24:25], v[126:127]
	v_mul_f64 v[100:101], v[116:117], v[100:101]
	s_waitcnt vmcnt(36)
	v_mul_f64 v[32:33], v[250:251], v[110:111]
	v_fma_f64 v[226:227], v[114:115], v[98:99], -v[100:101]
	s_waitcnt vmcnt(34) lgkmcnt(3)
	v_mul_f64 v[38:39], v[14:15], v[120:121]
	v_mul_f64 v[106:107], v[246:247], v[106:107]
	s_waitcnt vmcnt(32)
	v_fmac_f64_e32 v[38:39], v[16:17], v[124:125]
	v_mul_f64 v[110:111], v[252:253], v[110:111]
	s_waitcnt vmcnt(30)
	v_mul_f64 v[36:37], v[18:19], v[132:133]
	v_mul_f64 v[24:25], v[24:25], v[122:123]
	v_fma_f64 v[22:23], v[22:23], v[126:127], -v[24:25]
	s_waitcnt vmcnt(27) lgkmcnt(2)
	v_mul_f64 v[40:41], v[10:11], v[130:131]
	s_waitcnt vmcnt(26) lgkmcnt(1)
	v_mul_f64 v[42:43], v[6:7], v[128:129]
	v_mul_f64 v[16:17], v[16:17], v[120:121]
	s_waitcnt vmcnt(24)
	v_fmac_f64_e32 v[30:31], v[246:247], v[108:109]
	v_add_f64 v[26:27], v[26:27], v[30:31]
	s_waitcnt vmcnt(22)
	v_fmac_f64_e32 v[32:33], v[252:253], v[112:113]
	v_add_f64 v[26:27], v[26:27], v[32:33]
	;; [unrolled: 3-line block ×3, first 2 shown]
	v_add_f64 v[26:27], v[26:27], v[36:37]
	s_waitcnt vmcnt(18)
	v_fmac_f64_e32 v[40:41], v[12:13], v[134:135]
	v_add_f64 v[26:27], v[26:27], v[38:39]
	v_add_f64 v[26:27], v[26:27], v[40:41]
	s_waitcnt vmcnt(16)
	v_fmac_f64_e32 v[42:43], v[8:9], v[140:141]
	v_add_f64 v[34:35], v[26:27], v[42:43]
	ds_read_b128 v[26:29], v1 offset:1456
	ds_read_b128 v[30:33], v1 offset:1472
	buffer_load_dword v157, off, s[0:3], 0 offset:636
	buffer_load_dword v156, off, s[0:3], 0 offset:632
	;; [unrolled: 1-line block ×56, first 2 shown]
	s_waitcnt vmcnt(62) lgkmcnt(2)
	v_mul_f64 v[36:37], v[2:3], v[144:145]
	v_fmac_f64_e32 v[36:37], v[4:5], v[146:147]
	v_add_f64 v[34:35], v[34:35], v[36:37]
	s_waitcnt lgkmcnt(1)
	v_mul_f64 v[36:37], v[26:27], v[138:139]
	v_fmac_f64_e32 v[36:37], v[28:29], v[142:143]
	v_add_f64 v[34:35], v[34:35], v[36:37]
	s_waitcnt lgkmcnt(0)
	v_mul_f64 v[36:37], v[30:31], v[148:149]
	s_waitcnt vmcnt(60)
	v_fmac_f64_e32 v[36:37], v[32:33], v[152:153]
	v_add_f64 v[42:43], v[34:35], v[36:37]
	ds_read_b128 v[34:37], v1 offset:1488
	buffer_load_dword v201, off, s[0:3], 0 offset:860
	buffer_load_dword v200, off, s[0:3], 0 offset:856
	;; [unrolled: 1-line block ×16, first 2 shown]
	ds_read_b128 v[38:41], v1 offset:1504
	buffer_load_dword v223, off, s[0:3], 0 offset:924
	buffer_load_dword v222, off, s[0:3], 0 offset:920
	;; [unrolled: 1-line block ×8, first 2 shown]
	ds_read_b128 v[98:101], v1 offset:1744
	s_waitcnt vmcnt(62) lgkmcnt(2)
	v_mul_f64 v[44:45], v[34:35], v[150:151]
	v_fmac_f64_e32 v[44:45], v[36:37], v[154:155]
	v_add_f64 v[46:47], v[42:43], v[44:45]
	ds_read_b128 v[42:45], v1 offset:1520
	v_fma_f64 v[248:249], v[244:245], v[108:109], -v[106:107]
	ds_read_b128 v[106:109], v1 offset:1776
	v_fma_f64 v[246:247], v[250:251], v[112:113], -v[110:111]
	v_mul_f64 v[20:21], v[20:21], v[132:133]
	v_fma_f64 v[18:19], v[18:19], v[136:137], -v[20:21]
	v_fma_f64 v[14:15], v[14:15], v[124:125], -v[16:17]
	v_mul_f64 v[12:13], v[12:13], v[130:131]
	v_fma_f64 v[10:11], v[10:11], v[134:135], -v[12:13]
	v_mul_f64 v[8:9], v[8:9], v[128:129]
	;; [unrolled: 2-line block ×3, first 2 shown]
	s_waitcnt lgkmcnt(3)
	v_mul_f64 v[48:49], v[38:39], v[172:173]
	v_fma_f64 v[2:3], v[2:3], v[146:147], -v[4:5]
	v_fmac_f64_e32 v[48:49], v[40:41], v[176:177]
	v_add_f64 v[50:51], v[46:47], v[48:49]
	ds_read_b128 v[46:49], v1 offset:1536
	s_waitcnt lgkmcnt(2)
	v_mul_f64 v[52:53], v[42:43], v[156:157]
	v_fmac_f64_e32 v[52:53], v[44:45], v[158:159]
	v_add_f64 v[54:55], v[50:51], v[52:53]
	ds_read_b128 v[50:53], v1 offset:1552
	s_waitcnt lgkmcnt(1)
	v_mul_f64 v[56:57], v[46:47], v[180:181]
	;; [unrolled: 5-line block ×3, first 2 shown]
	v_fmac_f64_e32 v[60:61], v[52:53], v[162:163]
	v_add_f64 v[62:63], v[58:59], v[60:61]
	ds_read_b128 v[58:61], v1 offset:1584
	s_waitcnt vmcnt(58) lgkmcnt(1)
	v_mul_f64 v[64:65], v[54:55], v[188:189]
	s_waitcnt vmcnt(56)
	v_fmac_f64_e32 v[64:65], v[56:57], v[192:193]
	v_add_f64 v[66:67], v[62:63], v[64:65]
	ds_read_b128 v[62:65], v1 offset:1600
	s_waitcnt lgkmcnt(1)
	v_mul_f64 v[68:69], v[58:59], v[164:165]
	v_fmac_f64_e32 v[68:69], v[60:61], v[166:167]
	v_add_f64 v[70:71], v[66:67], v[68:69]
	ds_read_b128 v[66:69], v1 offset:1616
	s_waitcnt vmcnt(50) lgkmcnt(1)
	v_mul_f64 v[72:73], v[62:63], v[196:197]
	s_waitcnt vmcnt(48)
	v_fmac_f64_e32 v[72:73], v[64:65], v[198:199]
	v_add_f64 v[74:75], v[70:71], v[72:73]
	ds_read_b128 v[70:73], v1 offset:1632
	s_waitcnt lgkmcnt(1)
	v_mul_f64 v[76:77], v[66:67], v[168:169]
	;; [unrolled: 11-line block ×3, first 2 shown]
	v_fmac_f64_e32 v[84:85], v[76:77], v[178:179]
	v_add_f64 v[90:91], v[82:83], v[84:85]
	ds_read_b128 v[82:85], v1 offset:1680
	ds_read_b128 v[86:89], v1 offset:1696
	s_waitcnt vmcnt(34) lgkmcnt(2)
	v_mul_f64 v[92:93], v[78:79], v[210:211]
	s_waitcnt vmcnt(32)
	v_fmac_f64_e32 v[92:93], v[80:81], v[216:217]
	v_add_f64 v[90:91], v[90:91], v[92:93]
	s_waitcnt lgkmcnt(1)
	v_mul_f64 v[92:93], v[82:83], v[182:183]
	v_fmac_f64_e32 v[92:93], v[84:85], v[186:187]
	v_add_f64 v[90:91], v[90:91], v[92:93]
	s_waitcnt vmcnt(27) lgkmcnt(0)
	v_mul_f64 v[92:93], v[86:87], v[214:215]
	s_waitcnt vmcnt(25)
	v_fmac_f64_e32 v[92:93], v[88:89], v[218:219]
	v_add_f64 v[118:119], v[90:91], v[92:93]
	ds_read_b128 v[90:93], v1 offset:1712
	ds_read_b128 v[94:97], v1 offset:1728
	;; [unrolled: 1-line block ×3, first 2 shown]
	v_mul_f64 v[4:5], v[28:29], v[138:139]
	v_fma_f64 v[4:5], v[26:27], v[142:143], -v[4:5]
	s_waitcnt lgkmcnt(2)
	v_mul_f64 v[102:103], v[90:91], v[190:191]
	s_waitcnt vmcnt(24)
	v_fmac_f64_e32 v[102:103], v[92:93], v[194:195]
	s_waitcnt vmcnt(18) lgkmcnt(1)
	v_mul_f64 v[104:105], v[94:95], v[220:221]
	v_add_f64 v[102:103], v[118:119], v[102:103]
	s_waitcnt vmcnt(16)
	v_fmac_f64_e32 v[104:105], v[96:97], v[232:233]
	v_add_f64 v[102:103], v[102:103], v[104:105]
	v_mul_f64 v[104:105], v[98:99], v[200:201]
	v_fmac_f64_e32 v[104:105], v[100:101], v[204:205]
	v_add_f64 v[114:115], v[102:103], v[104:105]
	ds_read_b128 v[102:105], v1 offset:1760
	s_waitcnt vmcnt(10) lgkmcnt(0)
	v_mul_f64 v[116:117], v[102:103], v[236:237]
	s_waitcnt vmcnt(8)
	v_fmac_f64_e32 v[116:117], v[104:105], v[238:239]
	v_add_f64 v[114:115], v[114:115], v[116:117]
	v_mul_f64 v[116:117], v[106:107], v[208:209]
	v_fmac_f64_e32 v[116:117], v[108:109], v[212:213]
	v_add_f64 v[114:115], v[114:115], v[116:117]
	s_waitcnt vmcnt(2)
	v_mul_f64 v[116:117], v[110:111], v[240:241]
	s_waitcnt vmcnt(0)
	v_fmac_f64_e32 v[116:117], v[112:113], v[242:243]
	v_add_f64 v[118:119], v[114:115], v[116:117]
	ds_read_b128 v[114:117], v1 offset:1808
	buffer_load_dword v252, off, s[0:3], 0 offset:384
	buffer_load_dword v253, off, s[0:3], 0 offset:388
	s_waitcnt lgkmcnt(0)
	v_mul_f64 v[228:229], v[114:115], v[222:223]
	v_fmac_f64_e32 v[228:229], v[116:117], v[234:235]
	v_add_f64 v[244:245], v[118:119], v[228:229]
	v_add_f64 v[118:119], v[224:225], 0
	;; [unrolled: 1-line block ×4, first 2 shown]
	buffer_load_dword v248, off, s[0:3], 0 offset:392
	buffer_load_dword v249, off, s[0:3], 0 offset:396
	v_add_f64 v[118:119], v[118:119], v[246:247]
	v_add_f64 v[22:23], v[118:119], v[22:23]
	;; [unrolled: 1-line block ×8, first 2 shown]
	v_mul_f64 v[4:5], v[32:33], v[148:149]
	v_fma_f64 v[4:5], v[30:31], v[152:153], -v[4:5]
	v_add_f64 v[2:3], v[2:3], v[4:5]
	v_mul_f64 v[4:5], v[36:37], v[150:151]
	v_fma_f64 v[4:5], v[34:35], v[154:155], -v[4:5]
	v_add_f64 v[2:3], v[2:3], v[4:5]
	;; [unrolled: 3-line block ×22, first 2 shown]
	s_waitcnt vmcnt(2)
	v_add_f64 v[2:3], v[252:253], -v[2:3]
	s_waitcnt vmcnt(0)
	v_add_f64 v[4:5], v[248:249], -v[244:245]
	buffer_store_dword v3, off, s[0:3], 0 offset:388
	buffer_store_dword v2, off, s[0:3], 0 offset:384
	;; [unrolled: 1-line block ×4, first 2 shown]
	s_and_saveexec_b64 s[4:5], vcc
	s_cbranch_execz .LBB56_311
; %bb.310:
	v_accvgpr_read_b32 v0, a148
	buffer_load_dword v2, v0, s[0:3], 0 offen
	buffer_load_dword v3, v0, s[0:3], 0 offen offset:4
	buffer_load_dword v4, v0, s[0:3], 0 offen offset:8
	;; [unrolled: 1-line block ×3, first 2 shown]
	v_accvgpr_read_b32 v0, a171
	buffer_store_dword v1, off, s[0:3], 0 offset:368
	buffer_store_dword v1, off, s[0:3], 0 offset:372
	;; [unrolled: 1-line block ×4, first 2 shown]
	s_waitcnt vmcnt(4)
	ds_write_b128 v0, v[2:5]
.LBB56_311:
	s_or_b64 exec, exec, s[4:5]
	s_waitcnt lgkmcnt(0)
	; wave barrier
	s_waitcnt lgkmcnt(0)
	buffer_load_dword v86, off, s[0:3], 0 offset:384
	buffer_load_dword v87, off, s[0:3], 0 offset:388
	;; [unrolled: 1-line block ×42, first 2 shown]
	ds_read_b128 v[94:97], v1 offset:1280
	ds_read_b128 v[106:109], v1 offset:1296
	;; [unrolled: 1-line block ×10, first 2 shown]
	buffer_load_dword v147, off, s[0:3], 0 offset:532
	buffer_load_dword v146, off, s[0:3], 0 offset:528
	ds_read_b128 v[6:9], v1 offset:1440
	buffer_load_dword v143, off, s[0:3], 0 offset:588
	buffer_load_dword v142, off, s[0:3], 0 offset:584
	;; [unrolled: 1-line block ×80, first 2 shown]
	s_waitcnt vmcnt(62) lgkmcnt(10)
	v_mul_f64 v[26:27], v[94:95], v[88:89]
	v_fmac_f64_e32 v[26:27], v[96:97], v[86:87]
	v_add_f64 v[26:27], v[26:27], 0
	v_mul_f64 v[88:89], v[96:97], v[88:89]
	s_waitcnt lgkmcnt(9)
	v_mul_f64 v[28:29], v[106:107], v[92:93]
	v_fmac_f64_e32 v[28:29], v[108:109], v[90:91]
	s_waitcnt lgkmcnt(8)
	v_mul_f64 v[30:31], v[114:115], v[98:99]
	v_add_f64 v[26:27], v[26:27], v[28:29]
	s_waitcnt lgkmcnt(6)
	v_mul_f64 v[34:35], v[248:249], v[110:111]
	v_fma_f64 v[224:225], v[94:95], v[86:87], -v[88:89]
	v_fmac_f64_e32 v[34:35], v[250:251], v[112:113]
	v_mul_f64 v[92:93], v[108:109], v[92:93]
	v_mul_f64 v[32:33], v[244:245], v[102:103]
	;; [unrolled: 1-line block ×3, first 2 shown]
	s_waitcnt lgkmcnt(4)
	v_mul_f64 v[38:39], v[18:19], v[120:121]
	v_mul_f64 v[102:103], v[246:247], v[102:103]
	v_fmac_f64_e32 v[38:39], v[20:21], v[122:123]
	v_mul_f64 v[110:111], v[250:251], v[110:111]
	v_mul_f64 v[36:37], v[22:23], v[124:125]
	v_fma_f64 v[248:249], v[248:249], v[112:113], -v[110:111]
	s_waitcnt lgkmcnt(2)
	v_mul_f64 v[42:43], v[10:11], v[126:127]
	v_add_f64 v[224:225], v[224:225], 0
	v_mul_f64 v[20:21], v[20:21], v[120:121]
	v_mul_f64 v[40:41], v[14:15], v[132:133]
	v_fma_f64 v[18:19], v[18:19], v[122:123], -v[20:21]
	s_waitcnt lgkmcnt(1)
	v_mul_f64 v[44:45], v[2:3], v[130:131]
	v_fmac_f64_e32 v[30:31], v[116:117], v[100:101]
	v_add_f64 v[26:27], v[26:27], v[30:31]
	v_fmac_f64_e32 v[32:33], v[246:247], v[104:105]
	v_add_f64 v[26:27], v[26:27], v[32:33]
	;; [unrolled: 2-line block ×3, first 2 shown]
	v_add_f64 v[26:27], v[26:27], v[36:37]
	v_fmac_f64_e32 v[40:41], v[16:17], v[134:135]
	v_add_f64 v[26:27], v[26:27], v[38:39]
	v_fmac_f64_e32 v[42:43], v[12:13], v[128:129]
	v_add_f64 v[26:27], v[26:27], v[40:41]
	v_add_f64 v[26:27], v[26:27], v[42:43]
	s_waitcnt lgkmcnt(0)
	v_mul_f64 v[32:33], v[6:7], v[138:139]
	v_fmac_f64_e32 v[44:45], v[4:5], v[146:147]
	v_add_f64 v[30:31], v[26:27], v[44:45]
	ds_read_b128 v[26:29], v1 offset:1456
	v_fmac_f64_e32 v[32:33], v[8:9], v[140:141]
	v_add_f64 v[34:35], v[30:31], v[32:33]
	ds_read_b128 v[30:33], v1 offset:1472
	v_fma_f64 v[226:227], v[114:115], v[100:101], -v[98:99]
	s_waitcnt lgkmcnt(1)
	v_mul_f64 v[36:37], v[26:27], v[148:149]
	v_fmac_f64_e32 v[36:37], v[28:29], v[164:165]
	v_add_f64 v[38:39], v[34:35], v[36:37]
	ds_read_b128 v[34:37], v1 offset:1488
	s_waitcnt lgkmcnt(1)
	v_mul_f64 v[40:41], v[30:31], v[142:143]
	v_fmac_f64_e32 v[40:41], v[32:33], v[144:145]
	v_add_f64 v[42:43], v[38:39], v[40:41]
	ds_read_b128 v[38:41], v1 offset:1504
	;; [unrolled: 5-line block ×4, first 2 shown]
	s_waitcnt vmcnt(58) lgkmcnt(1)
	v_mul_f64 v[52:53], v[42:43], v[176:177]
	s_waitcnt vmcnt(56)
	v_fmac_f64_e32 v[52:53], v[44:45], v[180:181]
	v_add_f64 v[54:55], v[50:51], v[52:53]
	ds_read_b128 v[50:53], v1 offset:1552
	buffer_load_dword v232, off, s[0:3], 0 offset:904
	buffer_load_dword v237, off, s[0:3], 0 offset:892
	;; [unrolled: 1-line block ×8, first 2 shown]
	s_waitcnt lgkmcnt(1)
	v_mul_f64 v[56:57], v[46:47], v[154:155]
	v_fmac_f64_e32 v[56:57], v[48:49], v[156:157]
	v_add_f64 v[58:59], v[54:55], v[56:57]
	ds_read_b128 v[54:57], v1 offset:1568
	s_waitcnt vmcnt(58) lgkmcnt(1)
	v_mul_f64 v[60:61], v[50:51], v[184:185]
	s_waitcnt vmcnt(56)
	v_fmac_f64_e32 v[60:61], v[52:53], v[188:189]
	buffer_load_dword v241, off, s[0:3], 0 offset:924
	buffer_load_dword v240, off, s[0:3], 0 offset:920
	;; [unrolled: 1-line block ×4, first 2 shown]
	v_add_f64 v[62:63], v[58:59], v[60:61]
	ds_read_b128 v[58:61], v1 offset:1584
	s_waitcnt lgkmcnt(1)
	v_mul_f64 v[64:65], v[54:55], v[158:159]
	v_fmac_f64_e32 v[64:65], v[56:57], v[160:161]
	v_add_f64 v[66:67], v[62:63], v[64:65]
	ds_read_b128 v[62:65], v1 offset:1600
	s_waitcnt vmcnt(54) lgkmcnt(1)
	v_mul_f64 v[68:69], v[58:59], v[192:193]
	s_waitcnt vmcnt(52)
	v_fmac_f64_e32 v[68:69], v[60:61], v[196:197]
	v_add_f64 v[70:71], v[66:67], v[68:69]
	ds_read_b128 v[66:69], v1 offset:1616
	s_waitcnt lgkmcnt(1)
	v_mul_f64 v[72:73], v[62:63], v[162:163]
	v_fmac_f64_e32 v[72:73], v[64:65], v[166:167]
	v_add_f64 v[74:75], v[70:71], v[72:73]
	ds_read_b128 v[70:73], v1 offset:1632
	s_waitcnt vmcnt(46) lgkmcnt(1)
	v_mul_f64 v[76:77], v[66:67], v[200:201]
	s_waitcnt vmcnt(44)
	v_fmac_f64_e32 v[76:77], v[68:69], v[204:205]
	v_add_f64 v[82:83], v[74:75], v[76:77]
	ds_read_b128 v[74:77], v1 offset:1648
	ds_read_b128 v[78:81], v1 offset:1664
	s_waitcnt lgkmcnt(2)
	v_mul_f64 v[84:85], v[70:71], v[170:171]
	v_fmac_f64_e32 v[84:85], v[72:73], v[174:175]
	v_add_f64 v[82:83], v[82:83], v[84:85]
	s_waitcnt vmcnt(38) lgkmcnt(1)
	v_mul_f64 v[84:85], v[74:75], v[208:209]
	s_waitcnt vmcnt(36)
	v_fmac_f64_e32 v[84:85], v[76:77], v[210:211]
	v_add_f64 v[82:83], v[82:83], v[84:85]
	s_waitcnt lgkmcnt(0)
	v_mul_f64 v[84:85], v[78:79], v[178:179]
	v_fmac_f64_e32 v[84:85], v[80:81], v[182:183]
	v_add_f64 v[118:119], v[82:83], v[84:85]
	ds_read_b128 v[82:85], v1 offset:1680
	ds_read_b128 v[86:89], v1 offset:1696
	;; [unrolled: 1-line block ×3, first 2 shown]
	v_fma_f64 v[246:247], v[244:245], v[104:105], -v[102:103]
	ds_read_b128 v[102:105], v1 offset:1776
	ds_read_b128 v[110:113], v1 offset:1792
	s_waitcnt vmcnt(30) lgkmcnt(4)
	v_mul_f64 v[94:95], v[82:83], v[212:213]
	s_waitcnt vmcnt(28)
	v_fmac_f64_e32 v[94:95], v[84:85], v[214:215]
	v_add_f64 v[94:95], v[118:119], v[94:95]
	v_fma_f64 v[118:119], v[106:107], v[90:91], -v[92:93]
	ds_read_b128 v[90:93], v1 offset:1712
	s_waitcnt lgkmcnt(4)
	v_mul_f64 v[96:97], v[86:87], v[186:187]
	v_fmac_f64_e32 v[96:97], v[88:89], v[190:191]
	v_add_f64 v[106:107], v[94:95], v[96:97]
	ds_read_b128 v[94:97], v1 offset:1728
	s_waitcnt vmcnt(22) lgkmcnt(1)
	v_mul_f64 v[108:109], v[90:91], v[216:217]
	s_waitcnt vmcnt(20)
	v_fmac_f64_e32 v[108:109], v[92:93], v[218:219]
	v_add_f64 v[106:107], v[106:107], v[108:109]
	v_add_f64 v[118:119], v[224:225], v[118:119]
	s_waitcnt lgkmcnt(0)
	v_mul_f64 v[108:109], v[94:95], v[194:195]
	v_fmac_f64_e32 v[108:109], v[96:97], v[198:199]
	v_add_f64 v[114:115], v[106:107], v[108:109]
	ds_read_b128 v[106:109], v1 offset:1760
	s_waitcnt vmcnt(14)
	v_mul_f64 v[116:117], v[98:99], v[220:221]
	s_waitcnt vmcnt(12)
	v_fmac_f64_e32 v[116:117], v[100:101], v[222:223]
	v_add_f64 v[114:115], v[114:115], v[116:117]
	v_add_f64 v[250:251], v[118:119], v[226:227]
	s_waitcnt lgkmcnt(0)
	v_mul_f64 v[116:117], v[106:107], v[202:203]
	v_fmac_f64_e32 v[116:117], v[108:109], v[206:207]
	v_add_f64 v[114:115], v[114:115], v[116:117]
	v_add_f64 v[118:119], v[250:251], v[246:247]
	v_mul_f64 v[24:25], v[24:25], v[124:125]
	v_add_f64 v[118:119], v[118:119], v[248:249]
	v_fma_f64 v[22:23], v[22:23], v[136:137], -v[24:25]
	v_add_f64 v[22:23], v[118:119], v[22:23]
	v_mul_f64 v[16:17], v[16:17], v[132:133]
	v_add_f64 v[18:19], v[22:23], v[18:19]
	v_fma_f64 v[14:15], v[14:15], v[134:135], -v[16:17]
	v_mul_f64 v[12:13], v[12:13], v[126:127]
	s_waitcnt vmcnt(9)
	v_mul_f64 v[116:117], v[102:103], v[236:237]
	v_add_f64 v[14:15], v[18:19], v[14:15]
	s_waitcnt vmcnt(7)
	v_fmac_f64_e32 v[116:117], v[104:105], v[238:239]
	v_add_f64 v[114:115], v[114:115], v[116:117]
	s_waitcnt vmcnt(5)
	v_mul_f64 v[116:117], v[110:111], v[232:233]
	s_waitcnt vmcnt(4)
	v_fmac_f64_e32 v[116:117], v[112:113], v[234:235]
	v_add_f64 v[228:229], v[114:115], v[116:117]
	ds_read_b128 v[114:117], v1 offset:1808
	buffer_load_dword v254, off, s[0:3], 0 offset:368
	buffer_load_dword v255, off, s[0:3], 0 offset:372
	buffer_load_dword v252, off, s[0:3], 0 offset:376
	buffer_load_dword v253, off, s[0:3], 0 offset:380
	v_fma_f64 v[10:11], v[10:11], v[128:129], -v[12:13]
	v_mul_f64 v[4:5], v[4:5], v[130:131]
	v_add_f64 v[10:11], v[14:15], v[10:11]
	v_fma_f64 v[2:3], v[2:3], v[146:147], -v[4:5]
	v_mul_f64 v[4:5], v[8:9], v[138:139]
	v_add_f64 v[2:3], v[10:11], v[2:3]
	v_fma_f64 v[4:5], v[6:7], v[140:141], -v[4:5]
	v_add_f64 v[2:3], v[2:3], v[4:5]
	v_mul_f64 v[4:5], v[28:29], v[148:149]
	v_fma_f64 v[4:5], v[26:27], v[164:165], -v[4:5]
	v_add_f64 v[2:3], v[2:3], v[4:5]
	v_mul_f64 v[4:5], v[32:33], v[142:143]
	;; [unrolled: 3-line block ×22, first 2 shown]
	v_fma_f64 v[4:5], v[110:111], v[234:235], -v[4:5]
	v_add_f64 v[2:3], v[2:3], v[4:5]
	s_waitcnt vmcnt(6) lgkmcnt(0)
	v_mul_f64 v[4:5], v[116:117], v[240:241]
	s_waitcnt vmcnt(4)
	v_fma_f64 v[4:5], v[114:115], v[242:243], -v[4:5]
	v_mul_f64 v[230:231], v[114:115], v[240:241]
	v_add_f64 v[2:3], v[2:3], v[4:5]
	v_fmac_f64_e32 v[230:231], v[116:117], v[242:243]
	s_waitcnt vmcnt(2)
	v_add_f64 v[2:3], v[254:255], -v[2:3]
	v_accvgpr_read_b32 v254, a170
	v_add_f64 v[244:245], v[228:229], v[230:231]
	v_cmp_lt_u32_e32 vcc, 21, v254
	s_waitcnt vmcnt(0)
	v_add_f64 v[4:5], v[252:253], -v[244:245]
	buffer_store_dword v3, off, s[0:3], 0 offset:372
	buffer_store_dword v2, off, s[0:3], 0 offset:368
	;; [unrolled: 1-line block ×4, first 2 shown]
	s_and_saveexec_b64 s[4:5], vcc
	s_cbranch_execz .LBB56_313
; %bb.312:
	v_accvgpr_read_b32 v0, a149
	buffer_load_dword v2, v0, s[0:3], 0 offen
	buffer_load_dword v3, v0, s[0:3], 0 offen offset:4
	buffer_load_dword v4, v0, s[0:3], 0 offen offset:8
	;; [unrolled: 1-line block ×3, first 2 shown]
	v_mov_b32_e32 v0, 0
	v_accvgpr_read_b32 v1, a171
	buffer_store_dword v0, off, s[0:3], 0 offset:352
	buffer_store_dword v0, off, s[0:3], 0 offset:356
	;; [unrolled: 1-line block ×4, first 2 shown]
	s_waitcnt vmcnt(4)
	ds_write_b128 v1, v[2:5]
.LBB56_313:
	s_or_b64 exec, exec, s[4:5]
	s_waitcnt lgkmcnt(0)
	; wave barrier
	s_waitcnt lgkmcnt(0)
	buffer_load_dword v82, off, s[0:3], 0 offset:368
	buffer_load_dword v83, off, s[0:3], 0 offset:372
	;; [unrolled: 1-line block ×54, first 2 shown]
	v_mov_b32_e32 v1, 0
	ds_read_b128 v[90:93], v1 offset:1264
	ds_read_b128 v[106:109], v1 offset:1280
	;; [unrolled: 1-line block ×9, first 2 shown]
	buffer_load_dword v151, off, s[0:3], 0 offset:596
	buffer_load_dword v150, off, s[0:3], 0 offset:592
	;; [unrolled: 1-line block ×62, first 2 shown]
	v_cmp_lt_u32_e32 vcc, 20, v254
	s_waitcnt vmcnt(62) lgkmcnt(8)
	v_mul_f64 v[14:15], v[90:91], v[84:85]
	v_fmac_f64_e32 v[14:15], v[92:93], v[82:83]
	v_add_f64 v[14:15], v[14:15], 0
	v_mul_f64 v[84:85], v[92:93], v[84:85]
	s_waitcnt lgkmcnt(7)
	v_mul_f64 v[16:17], v[106:107], v[88:89]
	v_fmac_f64_e32 v[16:17], v[108:109], v[86:87]
	s_waitcnt lgkmcnt(6)
	v_mul_f64 v[18:19], v[114:115], v[94:95]
	v_add_f64 v[14:15], v[14:15], v[16:17]
	s_waitcnt lgkmcnt(4)
	v_mul_f64 v[22:23], v[246:247], v[102:103]
	v_fma_f64 v[224:225], v[90:91], v[82:83], -v[84:85]
	v_fmac_f64_e32 v[22:23], v[248:249], v[104:105]
	v_mul_f64 v[88:89], v[108:109], v[88:89]
	v_mul_f64 v[20:21], v[242:243], v[98:99]
	v_fma_f64 v[226:227], v[106:107], v[86:87], -v[88:89]
	s_waitcnt lgkmcnt(2)
	v_mul_f64 v[26:27], v[10:11], v[120:121]
	v_mul_f64 v[94:95], v[116:117], v[94:95]
	v_fmac_f64_e32 v[26:27], v[12:13], v[122:123]
	v_mul_f64 v[98:99], v[244:245], v[98:99]
	v_mul_f64 v[24:25], v[250:251], v[110:111]
	;; [unrolled: 1-line block ×3, first 2 shown]
	s_waitcnt lgkmcnt(1)
	v_mul_f64 v[28:29], v[6:7], v[124:125]
	v_mul_f64 v[110:111], v[252:253], v[110:111]
	v_fmac_f64_e32 v[18:19], v[116:117], v[96:97]
	v_add_f64 v[14:15], v[14:15], v[18:19]
	v_fmac_f64_e32 v[20:21], v[244:245], v[100:101]
	v_add_f64 v[14:15], v[14:15], v[20:21]
	;; [unrolled: 2-line block ×3, first 2 shown]
	v_add_f64 v[14:15], v[14:15], v[24:25]
	v_fmac_f64_e32 v[28:29], v[8:9], v[128:129]
	v_add_f64 v[14:15], v[14:15], v[26:27]
	v_add_f64 v[18:19], v[14:15], v[28:29]
	ds_read_b128 v[14:17], v1 offset:1408
	s_waitcnt lgkmcnt(1)
	v_mul_f64 v[20:21], v[2:3], v[126:127]
	v_fmac_f64_e32 v[20:21], v[4:5], v[130:131]
	v_add_f64 v[22:23], v[18:19], v[20:21]
	ds_read_b128 v[18:21], v1 offset:1424
	s_waitcnt lgkmcnt(1)
	v_mul_f64 v[24:25], v[14:15], v[136:137]
	v_fmac_f64_e32 v[24:25], v[16:17], v[138:139]
	;; [unrolled: 5-line block ×5, first 2 shown]
	v_add_f64 v[38:39], v[34:35], v[36:37]
	ds_read_b128 v[34:37], v1 offset:1488
	s_waitcnt vmcnt(58) lgkmcnt(1)
	v_mul_f64 v[40:41], v[30:31], v[164:165]
	s_waitcnt vmcnt(56)
	v_fmac_f64_e32 v[40:41], v[32:33], v[168:169]
	v_add_f64 v[42:43], v[38:39], v[40:41]
	ds_read_b128 v[38:41], v1 offset:1504
	s_waitcnt lgkmcnt(1)
	v_mul_f64 v[44:45], v[34:35], v[144:145]
	v_fmac_f64_e32 v[44:45], v[36:37], v[150:151]
	v_add_f64 v[46:47], v[42:43], v[44:45]
	ds_read_b128 v[42:45], v1 offset:1520
	s_waitcnt vmcnt(50) lgkmcnt(1)
	v_mul_f64 v[48:49], v[38:39], v[172:173]
	s_waitcnt vmcnt(48)
	v_fmac_f64_e32 v[48:49], v[40:41], v[176:177]
	v_add_f64 v[50:51], v[46:47], v[48:49]
	ds_read_b128 v[46:49], v1 offset:1536
	buffer_load_dword v213, off, s[0:3], 0 offset:844
	buffer_load_dword v212, off, s[0:3], 0 offset:840
	;; [unrolled: 1-line block ×8, first 2 shown]
	s_waitcnt lgkmcnt(1)
	v_mul_f64 v[52:53], v[42:43], v[152:153]
	v_fmac_f64_e32 v[52:53], v[44:45], v[154:155]
	v_add_f64 v[54:55], v[50:51], v[52:53]
	ds_read_b128 v[50:53], v1 offset:1552
	s_waitcnt vmcnt(50) lgkmcnt(1)
	v_mul_f64 v[56:57], v[46:47], v[180:181]
	s_waitcnt vmcnt(48)
	v_fmac_f64_e32 v[56:57], v[48:49], v[184:185]
	buffer_load_dword v217, off, s[0:3], 0 offset:892
	buffer_load_dword v223, off, s[0:3], 0 offset:876
	;; [unrolled: 1-line block ×12, first 2 shown]
	v_add_f64 v[58:59], v[54:55], v[56:57]
	ds_read_b128 v[54:57], v1 offset:1568
	s_waitcnt lgkmcnt(1)
	v_mul_f64 v[60:61], v[50:51], v[156:157]
	v_fmac_f64_e32 v[60:61], v[52:53], v[158:159]
	v_add_f64 v[62:63], v[58:59], v[60:61]
	ds_read_b128 v[58:61], v1 offset:1584
	s_waitcnt vmcnt(54) lgkmcnt(1)
	v_mul_f64 v[64:65], v[54:55], v[188:189]
	s_waitcnt vmcnt(52)
	v_fmac_f64_e32 v[64:65], v[56:57], v[192:193]
	v_add_f64 v[66:67], v[62:63], v[64:65]
	ds_read_b128 v[62:65], v1 offset:1600
	s_waitcnt lgkmcnt(1)
	v_mul_f64 v[68:69], v[58:59], v[160:161]
	v_fmac_f64_e32 v[68:69], v[60:61], v[162:163]
	v_add_f64 v[70:71], v[66:67], v[68:69]
	ds_read_b128 v[66:69], v1 offset:1616
	s_waitcnt vmcnt(46) lgkmcnt(1)
	v_mul_f64 v[72:73], v[62:63], v[196:197]
	s_waitcnt vmcnt(44)
	v_fmac_f64_e32 v[72:73], v[64:65], v[198:199]
	v_add_f64 v[78:79], v[70:71], v[72:73]
	ds_read_b128 v[70:73], v1 offset:1632
	ds_read_b128 v[74:77], v1 offset:1648
	s_waitcnt lgkmcnt(2)
	v_mul_f64 v[80:81], v[66:67], v[166:167]
	v_fmac_f64_e32 v[80:81], v[68:69], v[170:171]
	v_add_f64 v[78:79], v[78:79], v[80:81]
	s_waitcnt vmcnt(38) lgkmcnt(1)
	v_mul_f64 v[80:81], v[70:71], v[200:201]
	s_waitcnt vmcnt(36)
	v_fmac_f64_e32 v[80:81], v[72:73], v[202:203]
	v_add_f64 v[78:79], v[78:79], v[80:81]
	s_waitcnt lgkmcnt(0)
	v_mul_f64 v[80:81], v[74:75], v[174:175]
	v_fmac_f64_e32 v[80:81], v[76:77], v[178:179]
	v_add_f64 v[118:119], v[78:79], v[80:81]
	ds_read_b128 v[78:81], v1 offset:1664
	ds_read_b128 v[82:85], v1 offset:1680
	;; [unrolled: 1-line block ×3, first 2 shown]
	v_fma_f64 v[228:229], v[242:243], v[100:101], -v[98:99]
	ds_read_b128 v[98:101], v1 offset:1744
	s_waitcnt vmcnt(30) lgkmcnt(3)
	v_mul_f64 v[90:91], v[78:79], v[204:205]
	s_waitcnt vmcnt(28)
	v_fmac_f64_e32 v[90:91], v[80:81], v[206:207]
	s_waitcnt lgkmcnt(2)
	v_mul_f64 v[92:93], v[82:83], v[182:183]
	v_add_f64 v[90:91], v[118:119], v[90:91]
	v_fmac_f64_e32 v[92:93], v[84:85], v[186:187]
	v_add_f64 v[90:91], v[90:91], v[92:93]
	v_fma_f64 v[118:119], v[114:115], v[96:97], -v[94:95]
	ds_read_b128 v[94:97], v1 offset:1728
	s_waitcnt vmcnt(22) lgkmcnt(2)
	v_mul_f64 v[92:93], v[86:87], v[208:209]
	s_waitcnt vmcnt(20)
	v_fmac_f64_e32 v[92:93], v[88:89], v[210:211]
	v_add_f64 v[106:107], v[90:91], v[92:93]
	ds_read_b128 v[90:93], v1 offset:1712
	buffer_load_dword v240, off, s[0:3], 0 offset:920
	v_fma_f64 v[230:231], v[246:247], v[104:105], -v[102:103]
	ds_read_b128 v[102:105], v1 offset:1760
	v_fma_f64 v[250:251], v[250:251], v[112:113], -v[110:111]
	s_waitcnt lgkmcnt(1)
	v_mul_f64 v[108:109], v[90:91], v[190:191]
	v_fmac_f64_e32 v[108:109], v[92:93], v[194:195]
	v_add_f64 v[106:107], v[106:107], v[108:109]
	ds_read_b128 v[110:113], v1 offset:1792
	v_add_f64 v[224:225], v[224:225], 0
	v_add_f64 v[224:225], v[224:225], v[226:227]
	;; [unrolled: 1-line block ×5, first 2 shown]
	v_mul_f64 v[12:13], v[12:13], v[120:121]
	v_add_f64 v[118:119], v[252:253], v[250:251]
	v_fma_f64 v[10:11], v[10:11], v[122:123], -v[12:13]
	v_mul_f64 v[8:9], v[8:9], v[124:125]
	v_add_f64 v[10:11], v[118:119], v[10:11]
	v_fma_f64 v[6:7], v[6:7], v[128:129], -v[8:9]
	;; [unrolled: 3-line block ×3, first 2 shown]
	v_mul_f64 v[4:5], v[16:17], v[136:137]
	v_add_f64 v[2:3], v[6:7], v[2:3]
	s_waitcnt vmcnt(19)
	v_mul_f64 v[108:109], v[94:95], v[212:213]
	v_fma_f64 v[4:5], v[14:15], v[138:139], -v[4:5]
	s_waitcnt vmcnt(17)
	v_fmac_f64_e32 v[108:109], v[96:97], v[214:215]
	v_add_f64 v[106:107], v[106:107], v[108:109]
	s_waitcnt vmcnt(15)
	v_mul_f64 v[108:109], v[98:99], v[218:219]
	s_waitcnt vmcnt(13)
	v_fmac_f64_e32 v[108:109], v[100:101], v[220:221]
	v_add_f64 v[114:115], v[106:107], v[108:109]
	ds_read_b128 v[106:109], v1 offset:1776
	buffer_load_dword v244, off, s[0:3], 0 offset:912
	buffer_load_dword v241, off, s[0:3], 0 offset:924
	;; [unrolled: 1-line block ×3, first 2 shown]
	s_waitcnt vmcnt(13) lgkmcnt(2)
	v_mul_f64 v[116:117], v[102:103], v[222:223]
	s_waitcnt vmcnt(11)
	v_fmac_f64_e32 v[116:117], v[104:105], v[236:237]
	v_add_f64 v[114:115], v[114:115], v[116:117]
	s_waitcnt vmcnt(10) lgkmcnt(0)
	v_mul_f64 v[116:117], v[106:107], v[216:217]
	s_waitcnt vmcnt(8)
	v_fmac_f64_e32 v[116:117], v[108:109], v[234:235]
	v_add_f64 v[114:115], v[114:115], v[116:117]
	s_waitcnt vmcnt(6)
	v_mul_f64 v[116:117], v[110:111], v[232:233]
	s_waitcnt vmcnt(4)
	v_fmac_f64_e32 v[116:117], v[112:113], v[238:239]
	v_add_f64 v[242:243], v[114:115], v[116:117]
	ds_read_b128 v[114:117], v1 offset:1808
	buffer_load_dword v248, off, s[0:3], 0 offset:352
	buffer_load_dword v249, off, s[0:3], 0 offset:356
	v_add_f64 v[2:3], v[2:3], v[4:5]
	v_mul_f64 v[4:5], v[20:21], v[132:133]
	v_fma_f64 v[4:5], v[18:19], v[134:135], -v[4:5]
	v_add_f64 v[2:3], v[2:3], v[4:5]
	v_mul_f64 v[4:5], v[24:25], v[146:147]
	v_fma_f64 v[4:5], v[22:23], v[148:149], -v[4:5]
	;; [unrolled: 3-line block ×22, first 2 shown]
	v_add_f64 v[2:3], v[2:3], v[4:5]
	s_waitcnt vmcnt(3) lgkmcnt(0)
	v_mul_f64 v[246:247], v[114:115], v[240:241]
	s_waitcnt vmcnt(2)
	v_fmac_f64_e32 v[246:247], v[116:117], v[244:245]
	v_add_f64 v[242:243], v[242:243], v[246:247]
	buffer_load_dword v246, off, s[0:3], 0 offset:360
	buffer_load_dword v247, off, s[0:3], 0 offset:364
	v_mul_f64 v[4:5], v[108:109], v[216:217]
	v_fma_f64 v[4:5], v[106:107], v[234:235], -v[4:5]
	v_add_f64 v[2:3], v[2:3], v[4:5]
	v_mul_f64 v[4:5], v[112:113], v[232:233]
	v_fma_f64 v[4:5], v[110:111], v[238:239], -v[4:5]
	v_add_f64 v[2:3], v[2:3], v[4:5]
	;; [unrolled: 3-line block ×3, first 2 shown]
	s_waitcnt vmcnt(2)
	v_add_f64 v[2:3], v[248:249], -v[2:3]
	s_waitcnt vmcnt(0)
	v_add_f64 v[4:5], v[246:247], -v[242:243]
	buffer_store_dword v3, off, s[0:3], 0 offset:356
	buffer_store_dword v2, off, s[0:3], 0 offset:352
	;; [unrolled: 1-line block ×4, first 2 shown]
	s_and_saveexec_b64 s[4:5], vcc
	s_cbranch_execz .LBB56_315
; %bb.314:
	v_accvgpr_read_b32 v0, a150
	buffer_load_dword v2, v0, s[0:3], 0 offen
	buffer_load_dword v3, v0, s[0:3], 0 offen offset:4
	buffer_load_dword v4, v0, s[0:3], 0 offen offset:8
	buffer_load_dword v5, v0, s[0:3], 0 offen offset:12
	v_accvgpr_read_b32 v0, a171
	buffer_store_dword v1, off, s[0:3], 0 offset:336
	buffer_store_dword v1, off, s[0:3], 0 offset:340
	;; [unrolled: 1-line block ×4, first 2 shown]
	s_waitcnt vmcnt(4)
	ds_write_b128 v0, v[2:5]
.LBB56_315:
	s_or_b64 exec, exec, s[4:5]
	s_waitcnt lgkmcnt(0)
	; wave barrier
	s_waitcnt lgkmcnt(0)
	buffer_load_dword v84, off, s[0:3], 0 offset:352
	buffer_load_dword v85, off, s[0:3], 0 offset:356
	;; [unrolled: 1-line block ×34, first 2 shown]
	ds_read_b128 v[74:77], v1 offset:1248
	ds_read_b128 v[78:81], v1 offset:1264
	;; [unrolled: 1-line block ×8, first 2 shown]
	buffer_load_dword v127, off, s[0:3], 0 offset:468
	buffer_load_dword v126, off, s[0:3], 0 offset:464
	ds_read_b128 v[6:9], v1 offset:1376
	buffer_load_dword v129, off, s[0:3], 0 offset:524
	buffer_load_dword v128, off, s[0:3], 0 offset:520
	;; [unrolled: 1-line block ×80, first 2 shown]
	s_waitcnt vmcnt(62) lgkmcnt(8)
	v_mul_f64 v[10:11], v[74:75], v[106:107]
	v_fmac_f64_e32 v[10:11], v[76:77], v[84:85]
	v_add_f64 v[10:11], v[10:11], 0
	v_mul_f64 v[76:77], v[76:77], v[106:107]
	s_waitcnt lgkmcnt(7)
	v_mul_f64 v[12:13], v[78:79], v[96:97]
	v_fmac_f64_e32 v[12:13], v[80:81], v[82:83]
	s_waitcnt lgkmcnt(6)
	v_mul_f64 v[14:15], v[86:87], v[94:95]
	v_add_f64 v[10:11], v[10:11], v[12:13]
	s_waitcnt lgkmcnt(4)
	v_mul_f64 v[18:19], v[98:99], v[108:109]
	v_fma_f64 v[224:225], v[74:75], v[84:85], -v[76:77]
	v_fmac_f64_e32 v[18:19], v[100:101], v[114:115]
	v_mul_f64 v[80:81], v[80:81], v[96:97]
	v_mul_f64 v[16:17], v[90:91], v[116:117]
	v_fma_f64 v[226:227], v[78:79], v[82:83], -v[80:81]
	s_waitcnt lgkmcnt(2)
	v_mul_f64 v[22:23], v[110:111], v[240:241]
	v_mul_f64 v[100:101], v[100:101], v[108:109]
	v_fma_f64 v[230:231], v[98:99], v[114:115], -v[100:101]
	v_mul_f64 v[20:21], v[102:103], v[244:245]
	v_add_f64 v[224:225], v[224:225], 0
	s_waitcnt lgkmcnt(1)
	v_mul_f64 v[24:25], v[2:3], v[120:121]
	v_add_f64 v[224:225], v[224:225], v[226:227]
	v_fmac_f64_e32 v[14:15], v[88:89], v[250:251]
	v_add_f64 v[10:11], v[10:11], v[14:15]
	v_fmac_f64_e32 v[16:17], v[92:93], v[248:249]
	;; [unrolled: 2-line block ×4, first 2 shown]
	v_add_f64 v[10:11], v[10:11], v[20:21]
	v_add_f64 v[10:11], v[10:11], v[22:23]
	s_waitcnt lgkmcnt(0)
	v_mul_f64 v[16:17], v[6:7], v[122:123]
	v_fmac_f64_e32 v[16:17], v[8:9], v[124:125]
	v_fmac_f64_e32 v[24:25], v[4:5], v[126:127]
	v_add_f64 v[14:15], v[10:11], v[24:25]
	ds_read_b128 v[10:13], v1 offset:1392
	v_add_f64 v[18:19], v[14:15], v[16:17]
	ds_read_b128 v[14:17], v1 offset:1408
	v_mul_f64 v[88:89], v[88:89], v[94:95]
	v_mul_f64 v[92:93], v[92:93], v[116:117]
	s_waitcnt lgkmcnt(1)
	v_mul_f64 v[20:21], v[10:11], v[132:133]
	v_fmac_f64_e32 v[20:21], v[12:13], v[134:135]
	s_waitcnt lgkmcnt(0)
	v_mul_f64 v[24:25], v[14:15], v[128:129]
	v_add_f64 v[22:23], v[18:19], v[20:21]
	ds_read_b128 v[18:21], v1 offset:1424
	v_fmac_f64_e32 v[24:25], v[16:17], v[130:131]
	v_add_f64 v[26:27], v[22:23], v[24:25]
	ds_read_b128 v[22:25], v1 offset:1440
	v_fma_f64 v[228:229], v[90:91], v[248:249], -v[92:93]
	s_waitcnt lgkmcnt(1)
	v_mul_f64 v[28:29], v[18:19], v[144:145]
	v_fmac_f64_e32 v[28:29], v[20:21], v[146:147]
	v_add_f64 v[30:31], v[26:27], v[28:29]
	s_waitcnt lgkmcnt(0)
	v_mul_f64 v[32:33], v[22:23], v[136:137]
	ds_read_b128 v[26:29], v1 offset:1456
	v_fmac_f64_e32 v[32:33], v[24:25], v[138:139]
	v_add_f64 v[34:35], v[30:31], v[32:33]
	ds_read_b128 v[30:33], v1 offset:1472
	v_mul_f64 v[104:105], v[104:105], v[244:245]
	s_waitcnt vmcnt(58) lgkmcnt(1)
	v_mul_f64 v[36:37], v[26:27], v[160:161]
	s_waitcnt vmcnt(56)
	v_fmac_f64_e32 v[36:37], v[28:29], v[164:165]
	v_add_f64 v[38:39], v[34:35], v[36:37]
	s_waitcnt lgkmcnt(0)
	v_mul_f64 v[40:41], v[30:31], v[140:141]
	ds_read_b128 v[34:37], v1 offset:1488
	v_fmac_f64_e32 v[40:41], v[32:33], v[142:143]
	v_add_f64 v[42:43], v[38:39], v[40:41]
	ds_read_b128 v[38:41], v1 offset:1504
	v_mul_f64 v[112:113], v[112:113], v[240:241]
	s_waitcnt vmcnt(50) lgkmcnt(1)
	v_mul_f64 v[44:45], v[34:35], v[168:169]
	s_waitcnt vmcnt(48)
	v_fmac_f64_e32 v[44:45], v[36:37], v[172:173]
	v_add_f64 v[46:47], v[42:43], v[44:45]
	s_waitcnt lgkmcnt(0)
	v_mul_f64 v[48:49], v[38:39], v[148:149]
	v_fmac_f64_e32 v[48:49], v[40:41], v[150:151]
	ds_read_b128 v[42:45], v1 offset:1520
	v_add_f64 v[50:51], v[46:47], v[48:49]
	ds_read_b128 v[46:49], v1 offset:1536
	buffer_load_dword v209, off, s[0:3], 0 offset:844
	buffer_load_dword v211, off, s[0:3], 0 offset:828
	;; [unrolled: 1-line block ×12, first 2 shown]
	v_fma_f64 v[252:253], v[110:111], v[242:243], -v[112:113]
	s_waitcnt vmcnt(54) lgkmcnt(1)
	v_mul_f64 v[52:53], v[42:43], v[176:177]
	s_waitcnt vmcnt(52)
	v_fmac_f64_e32 v[52:53], v[44:45], v[180:181]
	v_add_f64 v[54:55], v[50:51], v[52:53]
	ds_read_b128 v[50:53], v1 offset:1552
	s_waitcnt lgkmcnt(1)
	v_mul_f64 v[56:57], v[46:47], v[152:153]
	v_fmac_f64_e32 v[56:57], v[48:49], v[154:155]
	buffer_load_dword v223, off, s[0:3], 0 offset:876
	buffer_load_dword v222, off, s[0:3], 0 offset:872
	;; [unrolled: 1-line block ×12, first 2 shown]
	v_add_f64 v[58:59], v[54:55], v[56:57]
	ds_read_b128 v[54:57], v1 offset:1568
	s_waitcnt vmcnt(58) lgkmcnt(1)
	v_mul_f64 v[60:61], v[50:51], v[184:185]
	s_waitcnt vmcnt(56)
	v_fmac_f64_e32 v[60:61], v[52:53], v[188:189]
	v_add_f64 v[62:63], v[58:59], v[60:61]
	ds_read_b128 v[58:61], v1 offset:1584
	s_waitcnt lgkmcnt(1)
	v_mul_f64 v[64:65], v[54:55], v[156:157]
	v_fmac_f64_e32 v[64:65], v[56:57], v[158:159]
	v_add_f64 v[70:71], v[62:63], v[64:65]
	ds_read_b128 v[62:65], v1 offset:1600
	ds_read_b128 v[66:69], v1 offset:1616
	s_waitcnt vmcnt(50) lgkmcnt(2)
	v_mul_f64 v[72:73], v[58:59], v[192:193]
	s_waitcnt vmcnt(48)
	v_fmac_f64_e32 v[72:73], v[60:61], v[194:195]
	v_add_f64 v[70:71], v[70:71], v[72:73]
	s_waitcnt lgkmcnt(1)
	v_mul_f64 v[72:73], v[62:63], v[162:163]
	v_fmac_f64_e32 v[72:73], v[64:65], v[166:167]
	v_add_f64 v[70:71], v[70:71], v[72:73]
	s_waitcnt vmcnt(42) lgkmcnt(0)
	v_mul_f64 v[72:73], v[66:67], v[196:197]
	s_waitcnt vmcnt(40)
	v_fmac_f64_e32 v[72:73], v[68:69], v[198:199]
	v_add_f64 v[118:119], v[70:71], v[72:73]
	ds_read_b128 v[70:73], v1 offset:1632
	ds_read_b128 v[74:77], v1 offset:1648
	;; [unrolled: 1-line block ×5, first 2 shown]
	s_waitcnt lgkmcnt(4)
	v_mul_f64 v[84:85], v[70:71], v[170:171]
	v_fmac_f64_e32 v[84:85], v[72:73], v[174:175]
	v_add_f64 v[82:83], v[118:119], v[84:85]
	s_waitcnt vmcnt(34) lgkmcnt(3)
	v_mul_f64 v[84:85], v[74:75], v[200:201]
	s_waitcnt vmcnt(32)
	v_fmac_f64_e32 v[84:85], v[76:77], v[202:203]
	v_add_f64 v[82:83], v[82:83], v[84:85]
	v_fma_f64 v[118:119], v[86:87], v[250:251], -v[88:89]
	ds_read_b128 v[86:89], v1 offset:1696
	s_waitcnt lgkmcnt(3)
	v_mul_f64 v[84:85], v[78:79], v[178:179]
	v_fmac_f64_e32 v[84:85], v[80:81], v[182:183]
	v_add_f64 v[96:97], v[82:83], v[84:85]
	ds_read_b128 v[82:85], v1 offset:1680
	v_fma_f64 v[250:251], v[102:103], v[246:247], -v[104:105]
	ds_read_b128 v[110:113], v1 offset:1792
	v_add_f64 v[118:119], v[224:225], v[118:119]
	v_add_f64 v[118:119], v[118:119], v[228:229]
	s_waitcnt vmcnt(26) lgkmcnt(1)
	v_mul_f64 v[94:95], v[82:83], v[204:205]
	s_waitcnt vmcnt(24)
	v_fmac_f64_e32 v[94:95], v[84:85], v[206:207]
	v_add_f64 v[94:95], v[96:97], v[94:95]
	v_mul_f64 v[96:97], v[86:87], v[186:187]
	v_fmac_f64_e32 v[96:97], v[88:89], v[190:191]
	v_add_f64 v[106:107], v[94:95], v[96:97]
	ds_read_b128 v[94:97], v1 offset:1728
	v_add_f64 v[254:255], v[118:119], v[230:231]
	v_add_f64 v[118:119], v[254:255], v[250:251]
	v_mul_f64 v[4:5], v[4:5], v[120:121]
	v_add_f64 v[118:119], v[118:119], v[252:253]
	ds_read_b128 v[102:105], v1 offset:1776
	v_fma_f64 v[2:3], v[2:3], v[126:127], -v[4:5]
	v_mul_f64 v[4:5], v[8:9], v[122:123]
	v_add_f64 v[2:3], v[118:119], v[2:3]
	v_fma_f64 v[4:5], v[6:7], v[124:125], -v[4:5]
	v_add_f64 v[2:3], v[2:3], v[4:5]
	v_mul_f64 v[4:5], v[12:13], v[132:133]
	v_fma_f64 v[4:5], v[10:11], v[134:135], -v[4:5]
	v_add_f64 v[2:3], v[2:3], v[4:5]
	v_mul_f64 v[4:5], v[16:17], v[128:129]
	s_waitcnt vmcnt(21)
	v_mul_f64 v[108:109], v[90:91], v[210:211]
	v_fma_f64 v[4:5], v[14:15], v[130:131], -v[4:5]
	s_waitcnt vmcnt(19)
	v_fmac_f64_e32 v[108:109], v[92:93], v[216:217]
	v_add_f64 v[106:107], v[106:107], v[108:109]
	s_waitcnt vmcnt(18) lgkmcnt(1)
	v_mul_f64 v[108:109], v[94:95], v[208:209]
	s_waitcnt vmcnt(16)
	v_fmac_f64_e32 v[108:109], v[96:97], v[214:215]
	v_add_f64 v[114:115], v[106:107], v[108:109]
	ds_read_b128 v[106:109], v1 offset:1760
	buffer_load_dword v243, off, s[0:3], 0 offset:924
	buffer_load_dword v242, off, s[0:3], 0 offset:920
	;; [unrolled: 1-line block ×4, first 2 shown]
	s_waitcnt vmcnt(18)
	v_mul_f64 v[116:117], v[98:99], v[212:213]
	s_waitcnt vmcnt(16)
	v_fmac_f64_e32 v[116:117], v[100:101], v[218:219]
	v_add_f64 v[114:115], v[114:115], v[116:117]
	s_waitcnt vmcnt(14) lgkmcnt(0)
	v_mul_f64 v[116:117], v[106:107], v[222:223]
	s_waitcnt vmcnt(12)
	v_fmac_f64_e32 v[116:117], v[108:109], v[232:233]
	v_add_f64 v[114:115], v[114:115], v[116:117]
	s_waitcnt vmcnt(9)
	v_mul_f64 v[116:117], v[102:103], v[236:237]
	s_waitcnt vmcnt(7)
	v_fmac_f64_e32 v[116:117], v[104:105], v[238:239]
	v_add_f64 v[114:115], v[114:115], v[116:117]
	s_waitcnt vmcnt(5)
	v_mul_f64 v[116:117], v[110:111], v[220:221]
	s_waitcnt vmcnt(4)
	v_fmac_f64_e32 v[116:117], v[112:113], v[234:235]
	v_add_f64 v[240:241], v[114:115], v[116:117]
	ds_read_b128 v[114:117], v1 offset:1808
	v_add_f64 v[2:3], v[2:3], v[4:5]
	v_mul_f64 v[4:5], v[20:21], v[144:145]
	v_fma_f64 v[4:5], v[18:19], v[146:147], -v[4:5]
	v_add_f64 v[2:3], v[2:3], v[4:5]
	v_mul_f64 v[4:5], v[24:25], v[136:137]
	v_fma_f64 v[4:5], v[22:23], v[138:139], -v[4:5]
	;; [unrolled: 3-line block ×21, first 2 shown]
	v_add_f64 v[2:3], v[2:3], v[4:5]
	s_waitcnt vmcnt(2) lgkmcnt(0)
	v_mul_f64 v[246:247], v[114:115], v[242:243]
	v_mul_f64 v[4:5], v[108:109], v[222:223]
	s_waitcnt vmcnt(0)
	v_fmac_f64_e32 v[246:247], v[116:117], v[244:245]
	v_add_f64 v[240:241], v[240:241], v[246:247]
	buffer_load_dword v248, off, s[0:3], 0 offset:336
	buffer_load_dword v249, off, s[0:3], 0 offset:340
	buffer_load_dword v246, off, s[0:3], 0 offset:344
	buffer_load_dword v247, off, s[0:3], 0 offset:348
	v_fma_f64 v[4:5], v[106:107], v[232:233], -v[4:5]
	v_add_f64 v[2:3], v[2:3], v[4:5]
	v_mul_f64 v[4:5], v[104:105], v[236:237]
	v_fma_f64 v[4:5], v[102:103], v[238:239], -v[4:5]
	v_add_f64 v[2:3], v[2:3], v[4:5]
	v_mul_f64 v[4:5], v[112:113], v[220:221]
	;; [unrolled: 3-line block ×3, first 2 shown]
	v_fma_f64 v[4:5], v[114:115], v[244:245], -v[4:5]
	v_add_f64 v[2:3], v[2:3], v[4:5]
	v_accvgpr_read_b32 v254, a170
	v_cmp_lt_u32_e32 vcc, 19, v254
	s_waitcnt vmcnt(2)
	v_add_f64 v[2:3], v[248:249], -v[2:3]
	s_waitcnt vmcnt(0)
	v_add_f64 v[4:5], v[246:247], -v[240:241]
	buffer_store_dword v3, off, s[0:3], 0 offset:340
	buffer_store_dword v2, off, s[0:3], 0 offset:336
	;; [unrolled: 1-line block ×4, first 2 shown]
	s_and_saveexec_b64 s[4:5], vcc
	s_cbranch_execz .LBB56_317
; %bb.316:
	v_accvgpr_read_b32 v0, a151
	buffer_load_dword v2, v0, s[0:3], 0 offen
	buffer_load_dword v3, v0, s[0:3], 0 offen offset:4
	buffer_load_dword v4, v0, s[0:3], 0 offen offset:8
	;; [unrolled: 1-line block ×3, first 2 shown]
	v_mov_b32_e32 v0, 0
	v_accvgpr_read_b32 v1, a171
	buffer_store_dword v0, off, s[0:3], 0 offset:320
	buffer_store_dword v0, off, s[0:3], 0 offset:324
	;; [unrolled: 1-line block ×4, first 2 shown]
	s_waitcnt vmcnt(4)
	ds_write_b128 v1, v[2:5]
.LBB56_317:
	s_or_b64 exec, exec, s[4:5]
	s_waitcnt lgkmcnt(0)
	; wave barrier
	s_waitcnt lgkmcnt(0)
	buffer_load_dword v66, off, s[0:3], 0 offset:336
	buffer_load_dword v67, off, s[0:3], 0 offset:340
	;; [unrolled: 1-line block ×55, first 2 shown]
	v_mov_b32_e32 v1, 0
	ds_read_b128 v[74:77], v1 offset:1232
	ds_read_b128 v[86:89], v1 offset:1248
	;; [unrolled: 1-line block ×9, first 2 shown]
	buffer_load_dword v138, off, s[0:3], 0 offset:560
	buffer_load_dword v157, off, s[0:3], 0 offset:556
	;; [unrolled: 1-line block ×61, first 2 shown]
	v_cmp_lt_u32_e32 vcc, 18, v254
	s_waitcnt vmcnt(62) lgkmcnt(8)
	v_mul_f64 v[6:7], v[74:75], v[68:69]
	v_fmac_f64_e32 v[6:7], v[76:77], v[66:67]
	v_add_f64 v[6:7], v[6:7], 0
	v_mul_f64 v[68:69], v[76:77], v[68:69]
	s_waitcnt lgkmcnt(7)
	v_mul_f64 v[8:9], v[86:87], v[72:73]
	v_fmac_f64_e32 v[8:9], v[88:89], v[70:71]
	s_waitcnt lgkmcnt(6)
	v_mul_f64 v[10:11], v[98:99], v[78:79]
	v_add_f64 v[6:7], v[6:7], v[8:9]
	s_waitcnt lgkmcnt(4)
	v_mul_f64 v[14:15], v[114:115], v[90:91]
	v_fma_f64 v[224:225], v[74:75], v[66:67], -v[68:69]
	v_fmac_f64_e32 v[14:15], v[116:117], v[92:93]
	v_mul_f64 v[72:73], v[88:89], v[72:73]
	v_mul_f64 v[12:13], v[110:111], v[82:83]
	;; [unrolled: 1-line block ×3, first 2 shown]
	s_waitcnt lgkmcnt(2)
	v_mul_f64 v[18:19], v[244:245], v[102:103]
	v_mul_f64 v[82:83], v[112:113], v[82:83]
	;; [unrolled: 1-line block ×4, first 2 shown]
	v_fma_f64 v[230:231], v[114:115], v[92:93], -v[90:91]
	s_waitcnt lgkmcnt(1)
	v_mul_f64 v[20:21], v[248:249], v[106:107]
	v_fmac_f64_e32 v[20:21], v[250:251], v[108:109]
	v_fmac_f64_e32 v[10:11], v[100:101], v[80:81]
	v_add_f64 v[6:7], v[6:7], v[10:11]
	v_fmac_f64_e32 v[12:13], v[112:113], v[84:85]
	v_add_f64 v[6:7], v[6:7], v[12:13]
	;; [unrolled: 2-line block ×4, first 2 shown]
	v_add_f64 v[6:7], v[6:7], v[18:19]
	v_add_f64 v[10:11], v[6:7], v[20:21]
	ds_read_b128 v[6:9], v1 offset:1376
	s_waitcnt lgkmcnt(1)
	v_mul_f64 v[12:13], v[2:3], v[120:121]
	v_fmac_f64_e32 v[12:13], v[4:5], v[122:123]
	v_add_f64 v[14:15], v[10:11], v[12:13]
	ds_read_b128 v[10:13], v1 offset:1392
	s_waitcnt lgkmcnt(1)
	v_mul_f64 v[16:17], v[6:7], v[128:129]
	v_fmac_f64_e32 v[16:17], v[8:9], v[130:131]
	;; [unrolled: 5-line block ×5, first 2 shown]
	v_add_f64 v[30:31], v[26:27], v[28:29]
	ds_read_b128 v[26:29], v1 offset:1456
	s_waitcnt vmcnt(58) lgkmcnt(1)
	v_mul_f64 v[32:33], v[22:23], v[156:157]
	s_waitcnt vmcnt(56)
	v_fmac_f64_e32 v[32:33], v[24:25], v[160:161]
	v_add_f64 v[34:35], v[30:31], v[32:33]
	ds_read_b128 v[30:33], v1 offset:1472
	s_waitcnt lgkmcnt(1)
	v_mul_f64 v[36:37], v[26:27], v[136:137]
	v_fmac_f64_e32 v[36:37], v[28:29], v[138:139]
	v_add_f64 v[38:39], v[34:35], v[36:37]
	ds_read_b128 v[34:37], v1 offset:1488
	s_waitcnt vmcnt(50) lgkmcnt(1)
	v_mul_f64 v[40:41], v[30:31], v[164:165]
	s_waitcnt vmcnt(48)
	v_fmac_f64_e32 v[40:41], v[32:33], v[168:169]
	v_add_f64 v[42:43], v[38:39], v[40:41]
	ds_read_b128 v[38:41], v1 offset:1504
	s_waitcnt lgkmcnt(1)
	v_mul_f64 v[44:45], v[34:35], v[144:145]
	v_fmac_f64_e32 v[44:45], v[36:37], v[146:147]
	v_add_f64 v[46:47], v[42:43], v[44:45]
	ds_read_b128 v[42:45], v1 offset:1520
	s_waitcnt vmcnt(42) lgkmcnt(1)
	v_mul_f64 v[48:49], v[38:39], v[172:173]
	s_waitcnt vmcnt(40)
	v_fmac_f64_e32 v[48:49], v[40:41], v[176:177]
	v_add_f64 v[50:51], v[46:47], v[48:49]
	ds_read_b128 v[46:49], v1 offset:1536
	buffer_load_dword v205, off, s[0:3], 0 offset:812
	buffer_load_dword v204, off, s[0:3], 0 offset:808
	;; [unrolled: 1-line block ×4, first 2 shown]
	s_waitcnt lgkmcnt(1)
	v_mul_f64 v[52:53], v[42:43], v[148:149]
	v_fmac_f64_e32 v[52:53], v[44:45], v[150:151]
	v_add_f64 v[54:55], v[50:51], v[52:53]
	ds_read_b128 v[50:53], v1 offset:1552
	buffer_load_dword v209, off, s[0:3], 0 offset:828
	buffer_load_dword v208, off, s[0:3], 0 offset:824
	;; [unrolled: 1-line block ×8, first 2 shown]
	s_waitcnt vmcnt(46) lgkmcnt(1)
	v_mul_f64 v[56:57], v[46:47], v[180:181]
	s_waitcnt vmcnt(44)
	v_fmac_f64_e32 v[56:57], v[48:49], v[184:185]
	v_add_f64 v[58:59], v[54:55], v[56:57]
	ds_read_b128 v[54:57], v1 offset:1568
	buffer_load_dword v219, off, s[0:3], 0 offset:860
	buffer_load_dword v218, off, s[0:3], 0 offset:856
	;; [unrolled: 1-line block ×12, first 2 shown]
	s_waitcnt lgkmcnt(1)
	v_mul_f64 v[60:61], v[50:51], v[152:153]
	v_fmac_f64_e32 v[60:61], v[52:53], v[154:155]
	v_add_f64 v[62:63], v[58:59], v[60:61]
	ds_read_b128 v[58:61], v1 offset:1584
	s_waitcnt vmcnt(50) lgkmcnt(1)
	v_mul_f64 v[64:65], v[54:55], v[188:189]
	s_waitcnt vmcnt(48)
	v_fmac_f64_e32 v[64:65], v[56:57], v[190:191]
	v_add_f64 v[62:63], v[62:63], v[64:65]
	buffer_load_dword v237, off, s[0:3], 0 offset:908
	buffer_load_dword v236, off, s[0:3], 0 offset:904
	;; [unrolled: 1-line block ×4, first 2 shown]
	s_waitcnt lgkmcnt(0)
	v_mul_f64 v[64:65], v[58:59], v[158:159]
	v_fmac_f64_e32 v[64:65], v[60:61], v[162:163]
	v_add_f64 v[118:119], v[62:63], v[64:65]
	ds_read_b128 v[62:65], v1 offset:1600
	ds_read_b128 v[66:69], v1 offset:1616
	v_fma_f64 v[226:227], v[98:99], v[80:81], -v[78:79]
	ds_read_b128 v[78:81], v1 offset:1664
	v_fma_f64 v[228:229], v[110:111], v[84:85], -v[82:83]
	ds_read_b128 v[82:85], v1 offset:1680
	s_waitcnt vmcnt(46) lgkmcnt(3)
	v_mul_f64 v[74:75], v[62:63], v[192:193]
	s_waitcnt vmcnt(44)
	v_fmac_f64_e32 v[74:75], v[64:65], v[194:195]
	v_add_f64 v[74:75], v[118:119], v[74:75]
	v_fma_f64 v[118:119], v[86:87], v[70:71], -v[72:73]
	ds_read_b128 v[70:73], v1 offset:1632
	s_waitcnt lgkmcnt(3)
	v_mul_f64 v[76:77], v[66:67], v[166:167]
	v_fmac_f64_e32 v[76:77], v[68:69], v[170:171]
	v_add_f64 v[86:87], v[74:75], v[76:77]
	ds_read_b128 v[74:77], v1 offset:1648
	s_waitcnt vmcnt(38) lgkmcnt(1)
	v_mul_f64 v[88:89], v[70:71], v[196:197]
	s_waitcnt vmcnt(36)
	v_fmac_f64_e32 v[88:89], v[72:73], v[198:199]
	v_add_f64 v[86:87], v[86:87], v[88:89]
	ds_read_b128 v[90:93], v1 offset:1712
	s_waitcnt lgkmcnt(1)
	v_mul_f64 v[88:89], v[74:75], v[174:175]
	v_fmac_f64_e32 v[88:89], v[76:77], v[178:179]
	v_add_f64 v[86:87], v[86:87], v[88:89]
	s_waitcnt vmcnt(30)
	v_mul_f64 v[88:89], v[78:79], v[200:201]
	s_waitcnt vmcnt(28)
	v_fmac_f64_e32 v[88:89], v[80:81], v[202:203]
	v_add_f64 v[86:87], v[86:87], v[88:89]
	v_mul_f64 v[88:89], v[82:83], v[182:183]
	v_fmac_f64_e32 v[88:89], v[84:85], v[186:187]
	v_add_f64 v[98:99], v[86:87], v[88:89]
	ds_read_b128 v[86:89], v1 offset:1696
	v_mul_f64 v[94:95], v[242:243], v[94:95]
	v_fma_f64 v[252:253], v[240:241], v[96:97], -v[94:95]
	ds_read_b128 v[94:97], v1 offset:1728
	v_mul_f64 v[102:103], v[246:247], v[102:103]
	v_fma_f64 v[246:247], v[244:245], v[104:105], -v[102:103]
	;; [unrolled: 3-line block ×3, first 2 shown]
	v_add_f64 v[224:225], v[224:225], 0
	v_add_f64 v[118:119], v[224:225], v[118:119]
	;; [unrolled: 1-line block ×7, first 2 shown]
	v_mul_f64 v[4:5], v[4:5], v[120:121]
	v_add_f64 v[118:119], v[252:253], v[250:251]
	v_fma_f64 v[2:3], v[2:3], v[122:123], -v[4:5]
	v_mul_f64 v[4:5], v[8:9], v[128:129]
	v_add_f64 v[2:3], v[118:119], v[2:3]
	v_fma_f64 v[4:5], v[6:7], v[130:131], -v[4:5]
	v_add_f64 v[2:3], v[2:3], v[4:5]
	ds_read_b128 v[106:109], v1 offset:1776
	v_mul_f64 v[4:5], v[12:13], v[124:125]
	v_fma_f64 v[4:5], v[10:11], v[126:127], -v[4:5]
	v_add_f64 v[2:3], v[2:3], v[4:5]
	s_waitcnt vmcnt(26) lgkmcnt(3)
	v_mul_f64 v[100:101], v[86:87], v[204:205]
	v_mul_f64 v[4:5], v[16:17], v[140:141]
	s_waitcnt vmcnt(24)
	v_fmac_f64_e32 v[100:101], v[88:89], v[206:207]
	v_add_f64 v[98:99], v[98:99], v[100:101]
	s_waitcnt vmcnt(22)
	v_mul_f64 v[100:101], v[90:91], v[208:209]
	s_waitcnt vmcnt(20)
	v_fmac_f64_e32 v[100:101], v[92:93], v[212:213]
	v_add_f64 v[98:99], v[98:99], v[100:101]
	s_waitcnt vmcnt(18) lgkmcnt(2)
	v_mul_f64 v[100:101], v[94:95], v[210:211]
	s_waitcnt vmcnt(16)
	v_fmac_f64_e32 v[100:101], v[96:97], v[214:215]
	v_add_f64 v[110:111], v[98:99], v[100:101]
	ds_read_b128 v[98:101], v1 offset:1744
	v_fma_f64 v[4:5], v[14:15], v[142:143], -v[4:5]
	v_add_f64 v[2:3], v[2:3], v[4:5]
	v_mul_f64 v[4:5], v[20:21], v[132:133]
	v_fma_f64 v[4:5], v[18:19], v[134:135], -v[4:5]
	s_waitcnt vmcnt(14) lgkmcnt(0)
	v_mul_f64 v[112:113], v[98:99], v[218:219]
	s_waitcnt vmcnt(12)
	v_fmac_f64_e32 v[112:113], v[100:101], v[220:221]
	v_add_f64 v[110:111], v[110:111], v[112:113]
	s_waitcnt vmcnt(9)
	v_mul_f64 v[112:113], v[102:103], v[232:233]
	s_waitcnt vmcnt(7)
	v_fmac_f64_e32 v[112:113], v[104:105], v[234:235]
	v_add_f64 v[110:111], v[110:111], v[112:113]
	s_waitcnt vmcnt(5)
	v_mul_f64 v[112:113], v[106:107], v[216:217]
	s_waitcnt vmcnt(4)
	v_fmac_f64_e32 v[112:113], v[108:109], v[222:223]
	v_add_f64 v[114:115], v[110:111], v[112:113]
	ds_read_b128 v[110:113], v1 offset:1792
	buffer_load_dword v242, off, s[0:3], 0 offset:920
	buffer_load_dword v243, off, s[0:3], 0 offset:924
	;; [unrolled: 1-line block ×4, first 2 shown]
	v_add_f64 v[2:3], v[2:3], v[4:5]
	v_mul_f64 v[4:5], v[24:25], v[156:157]
	v_fma_f64 v[4:5], v[22:23], v[160:161], -v[4:5]
	s_waitcnt vmcnt(6) lgkmcnt(0)
	v_mul_f64 v[116:117], v[110:111], v[236:237]
	s_waitcnt vmcnt(4)
	v_fmac_f64_e32 v[116:117], v[112:113], v[238:239]
	v_add_f64 v[240:241], v[114:115], v[116:117]
	ds_read_b128 v[114:117], v1 offset:1808
	v_add_f64 v[2:3], v[2:3], v[4:5]
	v_mul_f64 v[4:5], v[28:29], v[136:137]
	v_fma_f64 v[4:5], v[26:27], v[138:139], -v[4:5]
	v_add_f64 v[2:3], v[2:3], v[4:5]
	v_mul_f64 v[4:5], v[32:33], v[164:165]
	v_fma_f64 v[4:5], v[30:31], v[168:169], -v[4:5]
	;; [unrolled: 3-line block ×22, first 2 shown]
	v_add_f64 v[2:3], v[2:3], v[4:5]
	s_waitcnt vmcnt(2) lgkmcnt(0)
	v_mul_f64 v[248:249], v[114:115], v[242:243]
	v_mul_f64 v[4:5], v[116:117], v[242:243]
	s_waitcnt vmcnt(0)
	v_fmac_f64_e32 v[248:249], v[116:117], v[244:245]
	v_add_f64 v[240:241], v[240:241], v[248:249]
	buffer_load_dword v248, off, s[0:3], 0 offset:320
	buffer_load_dword v249, off, s[0:3], 0 offset:324
	;; [unrolled: 1-line block ×4, first 2 shown]
	v_fma_f64 v[4:5], v[114:115], v[244:245], -v[4:5]
	v_add_f64 v[2:3], v[2:3], v[4:5]
	s_waitcnt vmcnt(2)
	v_add_f64 v[2:3], v[248:249], -v[2:3]
	s_waitcnt vmcnt(0)
	v_add_f64 v[4:5], v[246:247], -v[240:241]
	buffer_store_dword v3, off, s[0:3], 0 offset:324
	buffer_store_dword v2, off, s[0:3], 0 offset:320
	;; [unrolled: 1-line block ×4, first 2 shown]
	s_and_saveexec_b64 s[4:5], vcc
	s_cbranch_execz .LBB56_319
; %bb.318:
	v_accvgpr_read_b32 v0, a152
	buffer_load_dword v2, v0, s[0:3], 0 offen
	buffer_load_dword v3, v0, s[0:3], 0 offen offset:4
	buffer_load_dword v4, v0, s[0:3], 0 offen offset:8
	;; [unrolled: 1-line block ×3, first 2 shown]
	v_accvgpr_read_b32 v0, a171
	buffer_store_dword v1, off, s[0:3], 0 offset:304
	buffer_store_dword v1, off, s[0:3], 0 offset:308
	buffer_store_dword v1, off, s[0:3], 0 offset:312
	buffer_store_dword v1, off, s[0:3], 0 offset:316
	s_waitcnt vmcnt(4)
	ds_write_b128 v0, v[2:5]
.LBB56_319:
	s_or_b64 exec, exec, s[4:5]
	s_waitcnt lgkmcnt(0)
	; wave barrier
	s_waitcnt lgkmcnt(0)
	buffer_load_dword v66, off, s[0:3], 0 offset:320
	buffer_load_dword v67, off, s[0:3], 0 offset:324
	;; [unrolled: 1-line block ×42, first 2 shown]
	ds_read_b128 v[78:81], v1 offset:1216
	ds_read_b128 v[90:93], v1 offset:1232
	;; [unrolled: 1-line block ×10, first 2 shown]
	buffer_load_dword v131, off, s[0:3], 0 offset:468
	buffer_load_dword v130, off, s[0:3], 0 offset:464
	ds_read_b128 v[6:9], v1 offset:1376
	buffer_load_dword v127, off, s[0:3], 0 offset:524
	buffer_load_dword v126, off, s[0:3], 0 offset:520
	;; [unrolled: 1-line block ×80, first 2 shown]
	s_waitcnt vmcnt(62) lgkmcnt(10)
	v_mul_f64 v[10:11], v[78:79], v[68:69]
	v_fmac_f64_e32 v[10:11], v[80:81], v[66:67]
	v_add_f64 v[10:11], v[10:11], 0
	v_mul_f64 v[68:69], v[80:81], v[68:69]
	s_waitcnt lgkmcnt(9)
	v_mul_f64 v[12:13], v[90:91], v[64:65]
	v_fmac_f64_e32 v[12:13], v[92:93], v[62:63]
	s_waitcnt lgkmcnt(8)
	v_mul_f64 v[14:15], v[102:103], v[70:71]
	v_add_f64 v[10:11], v[10:11], v[12:13]
	s_waitcnt lgkmcnt(6)
	v_mul_f64 v[18:19], v[114:115], v[82:83]
	v_mul_f64 v[64:65], v[92:93], v[64:65]
	v_fmac_f64_e32 v[18:19], v[116:117], v[84:85]
	v_fma_f64 v[226:227], v[90:91], v[62:63], -v[64:65]
	v_mul_f64 v[16:17], v[110:111], v[74:75]
	v_fma_f64 v[224:225], v[78:79], v[66:67], -v[68:69]
	s_waitcnt lgkmcnt(4)
	v_mul_f64 v[22:23], v[244:245], v[94:95]
	v_mul_f64 v[70:71], v[104:105], v[70:71]
	v_fmac_f64_e32 v[22:23], v[246:247], v[96:97]
	v_mul_f64 v[74:75], v[112:113], v[74:75]
	v_mul_f64 v[20:21], v[240:241], v[86:87]
	;; [unrolled: 1-line block ×3, first 2 shown]
	s_waitcnt lgkmcnt(2)
	v_mul_f64 v[26:27], v[252:253], v[106:107]
	v_fma_f64 v[230:231], v[114:115], v[84:85], -v[82:83]
	v_mul_f64 v[86:87], v[242:243], v[86:87]
	v_mul_f64 v[24:25], v[248:249], v[98:99]
	;; [unrolled: 1-line block ×3, first 2 shown]
	s_waitcnt lgkmcnt(1)
	v_mul_f64 v[28:29], v[120:121], v[4:5]
	v_fma_f64 v[246:247], v[244:245], v[96:97], -v[94:95]
	v_fmac_f64_e32 v[14:15], v[104:105], v[72:73]
	v_add_f64 v[10:11], v[10:11], v[14:15]
	v_fmac_f64_e32 v[16:17], v[112:113], v[76:77]
	v_add_f64 v[10:11], v[10:11], v[16:17]
	;; [unrolled: 2-line block ×3, first 2 shown]
	v_add_f64 v[10:11], v[10:11], v[20:21]
	v_fmac_f64_e32 v[24:25], v[250:251], v[100:101]
	v_add_f64 v[10:11], v[10:11], v[22:23]
	v_fmac_f64_e32 v[26:27], v[254:255], v[108:109]
	v_add_f64 v[10:11], v[10:11], v[24:25]
	v_add_f64 v[10:11], v[10:11], v[26:27]
	s_waitcnt lgkmcnt(0)
	v_mul_f64 v[16:17], v[6:7], v[2:3]
	v_fmac_f64_e32 v[28:29], v[122:123], v[130:131]
	v_add_f64 v[14:15], v[10:11], v[28:29]
	ds_read_b128 v[10:13], v1 offset:1392
	v_fmac_f64_e32 v[16:17], v[8:9], v[124:125]
	v_add_f64 v[18:19], v[14:15], v[16:17]
	ds_read_b128 v[14:17], v1 offset:1408
	v_fma_f64 v[228:229], v[110:111], v[76:77], -v[74:75]
	s_waitcnt lgkmcnt(1)
	v_mul_f64 v[20:21], v[10:11], v[132:133]
	v_fmac_f64_e32 v[20:21], v[12:13], v[148:149]
	v_add_f64 v[22:23], v[18:19], v[20:21]
	ds_read_b128 v[18:21], v1 offset:1424
	s_waitcnt lgkmcnt(1)
	v_mul_f64 v[24:25], v[14:15], v[126:127]
	v_fmac_f64_e32 v[24:25], v[16:17], v[128:129]
	v_add_f64 v[26:27], v[22:23], v[24:25]
	ds_read_b128 v[22:25], v1 offset:1440
	;; [unrolled: 5-line block ×4, first 2 shown]
	s_waitcnt vmcnt(58) lgkmcnt(1)
	v_mul_f64 v[36:37], v[26:27], v[160:161]
	s_waitcnt vmcnt(56)
	v_fmac_f64_e32 v[36:37], v[28:29], v[164:165]
	v_add_f64 v[38:39], v[34:35], v[36:37]
	ds_read_b128 v[34:37], v1 offset:1488
	s_waitcnt lgkmcnt(1)
	v_mul_f64 v[40:41], v[30:31], v[138:139]
	v_fmac_f64_e32 v[40:41], v[32:33], v[140:141]
	v_add_f64 v[42:43], v[38:39], v[40:41]
	ds_read_b128 v[38:41], v1 offset:1504
	s_waitcnt vmcnt(50) lgkmcnt(1)
	v_mul_f64 v[44:45], v[34:35], v[168:169]
	s_waitcnt vmcnt(48)
	v_fmac_f64_e32 v[44:45], v[36:37], v[172:173]
	v_add_f64 v[46:47], v[42:43], v[44:45]
	ds_read_b128 v[42:45], v1 offset:1520
	s_waitcnt lgkmcnt(1)
	v_mul_f64 v[48:49], v[38:39], v[142:143]
	v_fmac_f64_e32 v[48:49], v[40:41], v[144:145]
	v_add_f64 v[50:51], v[46:47], v[48:49]
	ds_read_b128 v[46:49], v1 offset:1536
	s_waitcnt vmcnt(42) lgkmcnt(1)
	v_mul_f64 v[52:53], v[42:43], v[176:177]
	s_waitcnt vmcnt(40)
	v_fmac_f64_e32 v[52:53], v[44:45], v[180:181]
	v_add_f64 v[54:55], v[50:51], v[52:53]
	ds_read_b128 v[50:53], v1 offset:1552
	s_waitcnt lgkmcnt(1)
	v_mul_f64 v[56:57], v[46:47], v[146:147]
	buffer_load_dword v209, off, s[0:3], 0 offset:828
	buffer_load_dword v208, off, s[0:3], 0 offset:824
	;; [unrolled: 1-line block ×4, first 2 shown]
	v_fmac_f64_e32 v[56:57], v[48:49], v[150:151]
	v_add_f64 v[58:59], v[54:55], v[56:57]
	ds_read_b128 v[54:57], v1 offset:1568
	buffer_load_dword v214, off, s[0:3], 0 offset:840
	buffer_load_dword v216, off, s[0:3], 0 offset:832
	;; [unrolled: 1-line block ×16, first 2 shown]
	s_waitcnt vmcnt(54) lgkmcnt(1)
	v_mul_f64 v[60:61], v[50:51], v[184:185]
	s_waitcnt vmcnt(52)
	v_fmac_f64_e32 v[60:61], v[52:53], v[188:189]
	v_add_f64 v[118:119], v[58:59], v[60:61]
	ds_read_b128 v[58:61], v1 offset:1584
	buffer_load_dword v236, off, s[0:3], 0 offset:904
	buffer_load_dword v238, off, s[0:3], 0 offset:896
	;; [unrolled: 1-line block ×4, first 2 shown]
	ds_read_b128 v[62:65], v1 offset:1600
	s_waitcnt lgkmcnt(2)
	v_mul_f64 v[66:67], v[54:55], v[154:155]
	v_fmac_f64_e32 v[66:67], v[56:57], v[158:159]
	s_waitcnt vmcnt(50) lgkmcnt(1)
	v_mul_f64 v[68:69], v[58:59], v[192:193]
	v_add_f64 v[66:67], v[118:119], v[66:67]
	s_waitcnt vmcnt(48)
	v_fmac_f64_e32 v[68:69], v[60:61], v[194:195]
	v_add_f64 v[66:67], v[66:67], v[68:69]
	v_fma_f64 v[118:119], v[102:103], v[72:73], -v[70:71]
	ds_read_b128 v[70:73], v1 offset:1632
	s_waitcnt lgkmcnt(1)
	v_mul_f64 v[68:69], v[62:63], v[162:163]
	v_fmac_f64_e32 v[68:69], v[64:65], v[166:167]
	v_add_f64 v[78:79], v[66:67], v[68:69]
	ds_read_b128 v[66:69], v1 offset:1616
	ds_read_b128 v[74:77], v1 offset:1648
	;; [unrolled: 1-line block ×3, first 2 shown]
	v_accvgpr_write_b32 a173, v3
	v_accvgpr_write_b32 a172, v2
	s_waitcnt vmcnt(42) lgkmcnt(2)
	v_mul_f64 v[80:81], v[66:67], v[196:197]
	s_waitcnt vmcnt(40)
	v_fmac_f64_e32 v[80:81], v[68:69], v[198:199]
	v_add_f64 v[78:79], v[78:79], v[80:81]
	v_mul_f64 v[80:81], v[70:71], v[170:171]
	v_fmac_f64_e32 v[80:81], v[72:73], v[174:175]
	v_add_f64 v[90:91], v[78:79], v[80:81]
	ds_read_b128 v[78:81], v1 offset:1664
	s_waitcnt vmcnt(34) lgkmcnt(2)
	v_mul_f64 v[92:93], v[74:75], v[200:201]
	s_waitcnt vmcnt(32)
	v_fmac_f64_e32 v[92:93], v[76:77], v[202:203]
	v_fma_f64 v[2:3], v[240:241], v[88:89], -v[86:87]
	ds_read_b128 v[86:89], v1 offset:1696
	ds_read_b128 v[94:97], v1 offset:1728
	v_add_f64 v[90:91], v[90:91], v[92:93]
	s_waitcnt lgkmcnt(2)
	v_mul_f64 v[92:93], v[78:79], v[178:179]
	v_fmac_f64_e32 v[92:93], v[80:81], v[182:183]
	v_add_f64 v[90:91], v[90:91], v[92:93]
	s_waitcnt vmcnt(26)
	v_mul_f64 v[92:93], v[82:83], v[204:205]
	s_waitcnt vmcnt(24)
	v_fmac_f64_e32 v[92:93], v[84:85], v[206:207]
	v_add_f64 v[90:91], v[90:91], v[92:93]
	s_waitcnt lgkmcnt(1)
	v_mul_f64 v[92:93], v[86:87], v[186:187]
	v_fmac_f64_e32 v[92:93], v[88:89], v[190:191]
	v_add_f64 v[102:103], v[90:91], v[92:93]
	ds_read_b128 v[90:93], v1 offset:1712
	v_mul_f64 v[98:99], v[250:251], v[98:99]
	v_fma_f64 v[250:251], v[248:249], v[100:101], -v[98:99]
	ds_read_b128 v[98:101], v1 offset:1744
	v_mul_f64 v[106:107], v[254:255], v[106:107]
	v_fma_f64 v[252:253], v[252:253], v[108:109], -v[106:107]
	v_add_f64 v[224:225], v[224:225], 0
	v_add_f64 v[224:225], v[224:225], v[226:227]
	;; [unrolled: 1-line block ×8, first 2 shown]
	v_mul_f64 v[4:5], v[122:123], v[4:5]
	v_add_f64 v[2:3], v[2:3], v[252:253]
	v_fma_f64 v[4:5], v[120:121], v[130:131], -v[4:5]
	v_add_f64 v[2:3], v[2:3], v[4:5]
	ds_read_b128 v[106:109], v1 offset:1776
	s_waitcnt vmcnt(13) lgkmcnt(1)
	v_mul_f64 v[112:113], v[98:99], v[218:219]
	v_mul_f64 v[104:105], v[90:91], v[208:209]
	s_waitcnt vmcnt(11)
	v_fmac_f64_e32 v[112:113], v[100:101], v[232:233]
	v_fmac_f64_e32 v[104:105], v[92:93], v[210:211]
	v_add_f64 v[102:103], v[102:103], v[104:105]
	v_mul_f64 v[104:105], v[94:95], v[214:215]
	v_fmac_f64_e32 v[104:105], v[96:97], v[216:217]
	v_add_f64 v[110:111], v[102:103], v[104:105]
	ds_read_b128 v[102:105], v1 offset:1760
	v_add_f64 v[110:111], v[110:111], v[112:113]
	s_waitcnt vmcnt(10) lgkmcnt(0)
	v_mul_f64 v[112:113], v[102:103], v[212:213]
	s_waitcnt vmcnt(8)
	v_fmac_f64_e32 v[112:113], v[104:105], v[222:223]
	v_add_f64 v[110:111], v[110:111], v[112:113]
	s_waitcnt vmcnt(6)
	v_mul_f64 v[112:113], v[106:107], v[220:221]
	s_waitcnt vmcnt(4)
	v_fmac_f64_e32 v[112:113], v[108:109], v[234:235]
	v_add_f64 v[114:115], v[110:111], v[112:113]
	ds_read_b128 v[110:113], v1 offset:1792
	buffer_load_dword v243, off, s[0:3], 0 offset:924
	buffer_load_dword v242, off, s[0:3], 0 offset:920
	;; [unrolled: 1-line block ×4, first 2 shown]
	s_waitcnt vmcnt(5) lgkmcnt(0)
	v_mul_f64 v[116:117], v[110:111], v[236:237]
	s_waitcnt vmcnt(4)
	v_fmac_f64_e32 v[116:117], v[112:113], v[238:239]
	v_add_f64 v[240:241], v[114:115], v[116:117]
	ds_read_b128 v[114:117], v1 offset:1808
	v_accvgpr_read_b32 v0, a172
	v_accvgpr_read_b32 v1, a173
	v_mul_f64 v[4:5], v[8:9], v[0:1]
	v_fma_f64 v[4:5], v[6:7], v[124:125], -v[4:5]
	v_add_f64 v[2:3], v[2:3], v[4:5]
	v_mul_f64 v[4:5], v[12:13], v[132:133]
	v_fma_f64 v[4:5], v[10:11], v[148:149], -v[4:5]
	v_add_f64 v[2:3], v[2:3], v[4:5]
	;; [unrolled: 3-line block ×22, first 2 shown]
	v_mul_f64 v[4:5], v[96:97], v[214:215]
	v_fma_f64 v[4:5], v[94:95], v[216:217], -v[4:5]
	s_waitcnt vmcnt(2) lgkmcnt(0)
	v_mul_f64 v[248:249], v[114:115], v[242:243]
	v_add_f64 v[2:3], v[2:3], v[4:5]
	s_waitcnt vmcnt(0)
	v_fmac_f64_e32 v[248:249], v[116:117], v[244:245]
	v_add_f64 v[240:241], v[240:241], v[248:249]
	buffer_load_dword v248, off, s[0:3], 0 offset:304
	buffer_load_dword v249, off, s[0:3], 0 offset:308
	;; [unrolled: 1-line block ×4, first 2 shown]
	v_mul_f64 v[4:5], v[100:101], v[218:219]
	v_fma_f64 v[4:5], v[98:99], v[232:233], -v[4:5]
	v_add_f64 v[2:3], v[2:3], v[4:5]
	v_mul_f64 v[4:5], v[104:105], v[212:213]
	v_fma_f64 v[4:5], v[102:103], v[222:223], -v[4:5]
	v_add_f64 v[2:3], v[2:3], v[4:5]
	;; [unrolled: 3-line block ×5, first 2 shown]
	v_accvgpr_read_b32 v0, a170
	v_cmp_lt_u32_e32 vcc, 17, v0
	s_waitcnt vmcnt(2)
	v_add_f64 v[2:3], v[248:249], -v[2:3]
	s_waitcnt vmcnt(0)
	v_add_f64 v[4:5], v[246:247], -v[240:241]
	buffer_store_dword v3, off, s[0:3], 0 offset:308
	buffer_store_dword v2, off, s[0:3], 0 offset:304
	;; [unrolled: 1-line block ×4, first 2 shown]
	s_and_saveexec_b64 s[4:5], vcc
	s_cbranch_execz .LBB56_321
; %bb.320:
	v_accvgpr_read_b32 v0, a153
	buffer_load_dword v2, v0, s[0:3], 0 offen
	buffer_load_dword v3, v0, s[0:3], 0 offen offset:4
	buffer_load_dword v4, v0, s[0:3], 0 offen offset:8
	;; [unrolled: 1-line block ×3, first 2 shown]
	v_mov_b32_e32 v0, 0
	v_accvgpr_read_b32 v1, a171
	buffer_store_dword v0, off, s[0:3], 0 offset:288
	buffer_store_dword v0, off, s[0:3], 0 offset:292
	;; [unrolled: 1-line block ×4, first 2 shown]
	s_waitcnt vmcnt(4)
	ds_write_b128 v1, v[2:5]
.LBB56_321:
	s_or_b64 exec, exec, s[4:5]
	s_waitcnt lgkmcnt(0)
	; wave barrier
	s_waitcnt lgkmcnt(0)
	buffer_load_dword v54, off, s[0:3], 0 offset:304
	buffer_load_dword v55, off, s[0:3], 0 offset:308
	;; [unrolled: 1-line block ×49, first 2 shown]
	s_waitcnt vmcnt(8)
	v_pk_mov_b32 v[2:3], v[0:1], v[0:1] op_sel:[0,1]
	v_mov_b32_e32 v1, 0
	ds_read_b128 v[62:65], v1 offset:1200
	ds_read_b128 v[74:77], v1 offset:1216
	;; [unrolled: 1-line block ×11, first 2 shown]
	s_waitcnt lgkmcnt(10)
	v_mul_f64 v[6:7], v[62:63], v[56:57]
	s_waitcnt lgkmcnt(9)
	v_mul_f64 v[8:9], v[74:75], v[60:61]
	v_fmac_f64_e32 v[6:7], v[64:65], v[54:55]
	s_waitcnt lgkmcnt(8)
	v_mul_f64 v[10:11], v[86:87], v[66:67]
	v_fmac_f64_e32 v[8:9], v[76:77], v[58:59]
	v_add_f64 v[6:7], v[6:7], 0
	s_waitcnt lgkmcnt(7)
	v_mul_f64 v[12:13], v[98:99], v[70:71]
	v_fmac_f64_e32 v[10:11], v[88:89], v[68:69]
	v_add_f64 v[6:7], v[6:7], v[8:9]
	;; [unrolled: 4-line block ×4, first 2 shown]
	buffer_load_dword v128, off, s[0:3], 0 offset:488
	buffer_load_dword v145, off, s[0:3], 0 offset:484
	;; [unrolled: 1-line block ×75, first 2 shown]
	s_waitcnt lgkmcnt(4)
	v_mul_f64 v[18:19], v[236:237], v[90:91]
	v_fmac_f64_e32 v[16:17], v[116:117], v[84:85]
	v_add_f64 v[6:7], v[6:7], v[14:15]
	s_waitcnt lgkmcnt(3)
	v_mul_f64 v[20:21], v[240:241], v[94:95]
	v_fmac_f64_e32 v[18:19], v[238:239], v[92:93]
	v_add_f64 v[6:7], v[6:7], v[16:17]
	;; [unrolled: 4-line block ×4, first 2 shown]
	v_add_f64 v[6:7], v[6:7], v[22:23]
	s_waitcnt vmcnt(62)
	v_fmac_f64_e32 v[24:25], v[250:251], v[108:109]
	v_add_f64 v[10:11], v[6:7], v[24:25]
	ds_read_b128 v[6:9], v1 offset:1376
	s_waitcnt lgkmcnt(1)
	v_mul_f64 v[12:13], v[120:121], v[4:5]
	v_fmac_f64_e32 v[12:13], v[122:123], v[2:3]
	v_add_f64 v[14:15], v[10:11], v[12:13]
	ds_read_b128 v[10:13], v1 offset:1392
	s_waitcnt lgkmcnt(1)
	v_mul_f64 v[16:17], v[6:7], v[128:129]
	;; [unrolled: 5-line block ×5, first 2 shown]
	v_fmac_f64_e32 v[28:29], v[20:21], v[132:133]
	v_add_f64 v[30:31], v[26:27], v[28:29]
	ds_read_b128 v[26:29], v1 offset:1456
	s_waitcnt vmcnt(58) lgkmcnt(1)
	v_mul_f64 v[32:33], v[22:23], v[156:157]
	s_waitcnt vmcnt(56)
	v_fmac_f64_e32 v[32:33], v[24:25], v[160:161]
	v_add_f64 v[34:35], v[30:31], v[32:33]
	ds_read_b128 v[30:33], v1 offset:1472
	s_waitcnt lgkmcnt(1)
	v_mul_f64 v[36:37], v[26:27], v[134:135]
	v_fmac_f64_e32 v[36:37], v[28:29], v[136:137]
	v_add_f64 v[38:39], v[34:35], v[36:37]
	ds_read_b128 v[34:37], v1 offset:1488
	s_waitcnt vmcnt(50) lgkmcnt(1)
	v_mul_f64 v[40:41], v[30:31], v[164:165]
	s_waitcnt vmcnt(48)
	v_fmac_f64_e32 v[40:41], v[32:33], v[168:169]
	v_add_f64 v[42:43], v[38:39], v[40:41]
	ds_read_b128 v[38:41], v1 offset:1504
	s_waitcnt lgkmcnt(1)
	v_mul_f64 v[44:45], v[34:35], v[138:139]
	;; [unrolled: 11-line block ×3, first 2 shown]
	buffer_load_dword v205, off, s[0:3], 0 offset:812
	buffer_load_dword v204, off, s[0:3], 0 offset:808
	;; [unrolled: 1-line block ×4, first 2 shown]
	v_fmac_f64_e32 v[52:53], v[44:45], v[146:147]
	v_add_f64 v[118:119], v[50:51], v[52:53]
	ds_read_b128 v[50:53], v1 offset:1552
	buffer_load_dword v208, off, s[0:3], 0 offset:824
	buffer_load_dword v210, off, s[0:3], 0 offset:816
	;; [unrolled: 1-line block ×12, first 2 shown]
	s_waitcnt vmcnt(50) lgkmcnt(1)
	v_mul_f64 v[212:213], v[46:47], v[180:181]
	s_waitcnt vmcnt(48)
	v_fmac_f64_e32 v[212:213], v[48:49], v[184:185]
	v_add_f64 v[118:119], v[118:119], v[212:213]
	buffer_load_dword v212, off, s[0:3], 0 offset:888
	buffer_load_dword v233, off, s[0:3], 0 offset:876
	;; [unrolled: 1-line block ×8, first 2 shown]
	v_mul_f64 v[56:57], v[64:65], v[56:57]
	v_fma_f64 v[224:225], v[62:63], v[54:55], -v[56:57]
	ds_read_b128 v[54:57], v1 offset:1568
	v_mul_f64 v[60:61], v[76:77], v[60:61]
	v_fma_f64 v[226:227], v[74:75], v[58:59], -v[60:61]
	ds_read_b128 v[58:61], v1 offset:1584
	s_waitcnt lgkmcnt(2)
	v_mul_f64 v[62:63], v[50:51], v[150:151]
	v_fmac_f64_e32 v[62:63], v[52:53], v[154:155]
	s_waitcnt vmcnt(50) lgkmcnt(1)
	v_mul_f64 v[64:65], v[54:55], v[188:189]
	v_add_f64 v[62:63], v[118:119], v[62:63]
	s_waitcnt vmcnt(48)
	v_fmac_f64_e32 v[64:65], v[56:57], v[190:191]
	v_add_f64 v[62:63], v[62:63], v[64:65]
	s_waitcnt lgkmcnt(0)
	v_mul_f64 v[64:65], v[58:59], v[158:159]
	v_fmac_f64_e32 v[64:65], v[60:61], v[162:163]
	v_add_f64 v[74:75], v[62:63], v[64:65]
	ds_read_b128 v[62:65], v1 offset:1600
	v_mul_f64 v[66:67], v[88:89], v[66:67]
	v_fma_f64 v[118:119], v[86:87], v[68:69], -v[66:67]
	ds_read_b128 v[66:69], v1 offset:1616
	v_mul_f64 v[70:71], v[100:101], v[70:71]
	s_waitcnt vmcnt(42) lgkmcnt(1)
	v_mul_f64 v[76:77], v[62:63], v[192:193]
	s_waitcnt vmcnt(40)
	v_fmac_f64_e32 v[76:77], v[64:65], v[194:195]
	v_add_f64 v[74:75], v[74:75], v[76:77]
	v_fma_f64 v[228:229], v[98:99], v[72:73], -v[70:71]
	ds_read_b128 v[70:73], v1 offset:1632
	s_waitcnt lgkmcnt(1)
	v_mul_f64 v[76:77], v[66:67], v[166:167]
	v_fmac_f64_e32 v[76:77], v[68:69], v[170:171]
	v_add_f64 v[86:87], v[74:75], v[76:77]
	ds_read_b128 v[74:77], v1 offset:1648
	v_mul_f64 v[78:79], v[112:113], v[78:79]
	v_fma_f64 v[230:231], v[110:111], v[80:81], -v[78:79]
	ds_read_b128 v[78:81], v1 offset:1664
	s_waitcnt vmcnt(34) lgkmcnt(2)
	v_mul_f64 v[88:89], v[70:71], v[196:197]
	v_mul_f64 v[82:83], v[116:117], v[82:83]
	s_waitcnt vmcnt(32)
	v_fmac_f64_e32 v[88:89], v[72:73], v[198:199]
	v_fma_f64 v[252:253], v[114:115], v[84:85], -v[82:83]
	ds_read_b128 v[82:85], v1 offset:1680
	v_add_f64 v[86:87], v[86:87], v[88:89]
	s_waitcnt lgkmcnt(2)
	v_mul_f64 v[88:89], v[74:75], v[174:175]
	v_fmac_f64_e32 v[88:89], v[76:77], v[178:179]
	v_add_f64 v[86:87], v[86:87], v[88:89]
	s_waitcnt vmcnt(26) lgkmcnt(1)
	v_mul_f64 v[88:89], v[78:79], v[200:201]
	s_waitcnt vmcnt(24)
	v_fmac_f64_e32 v[88:89], v[80:81], v[202:203]
	v_add_f64 v[86:87], v[86:87], v[88:89]
	s_waitcnt lgkmcnt(0)
	v_mul_f64 v[88:89], v[82:83], v[182:183]
	v_fmac_f64_e32 v[88:89], v[84:85], v[186:187]
	v_add_f64 v[98:99], v[86:87], v[88:89]
	ds_read_b128 v[86:89], v1 offset:1696
	v_mul_f64 v[90:91], v[238:239], v[90:91]
	v_fma_f64 v[254:255], v[236:237], v[92:93], -v[90:91]
	ds_read_b128 v[90:93], v1 offset:1712
	v_accvgpr_write_b32 a173, v3
	v_mul_f64 v[94:95], v[242:243], v[94:95]
	v_accvgpr_write_b32 a172, v2
	v_fma_f64 v[2:3], v[240:241], v[96:97], -v[94:95]
	ds_read_b128 v[94:97], v1 offset:1728
	v_mul_f64 v[102:103], v[246:247], v[102:103]
	v_fma_f64 v[246:247], v[244:245], v[104:105], -v[102:103]
	ds_read_b128 v[102:105], v1 offset:1760
	v_mul_f64 v[106:107], v[250:251], v[106:107]
	v_fma_f64 v[250:251], v[248:249], v[108:109], -v[106:107]
	ds_read_b128 v[106:109], v1 offset:1776
	v_add_f64 v[224:225], v[224:225], 0
	v_add_f64 v[224:225], v[224:225], v[226:227]
	;; [unrolled: 1-line block ×6, first 2 shown]
	s_waitcnt vmcnt(22) lgkmcnt(4)
	v_mul_f64 v[100:101], v[86:87], v[204:205]
	v_add_f64 v[118:119], v[118:119], v[254:255]
	s_waitcnt vmcnt(20)
	v_fmac_f64_e32 v[100:101], v[88:89], v[206:207]
	v_add_f64 v[98:99], v[98:99], v[100:101]
	v_add_f64 v[2:3], v[118:119], v[2:3]
	s_waitcnt vmcnt(17) lgkmcnt(3)
	v_mul_f64 v[100:101], v[90:91], v[208:209]
	s_waitcnt vmcnt(16)
	v_fmac_f64_e32 v[100:101], v[92:93], v[210:211]
	v_add_f64 v[110:111], v[98:99], v[100:101]
	ds_read_b128 v[98:101], v1 offset:1744
	s_waitcnt vmcnt(14) lgkmcnt(3)
	v_mul_f64 v[112:113], v[94:95], v[214:215]
	s_waitcnt vmcnt(12)
	v_fmac_f64_e32 v[112:113], v[96:97], v[218:219]
	buffer_load_dword v237, off, s[0:3], 0 offset:908
	buffer_load_dword v236, off, s[0:3], 0 offset:904
	;; [unrolled: 1-line block ×4, first 2 shown]
	v_add_f64 v[110:111], v[110:111], v[112:113]
	s_waitcnt vmcnt(14) lgkmcnt(0)
	v_mul_f64 v[112:113], v[98:99], v[216:217]
	s_waitcnt vmcnt(12)
	v_fmac_f64_e32 v[112:113], v[100:101], v[220:221]
	v_add_f64 v[110:111], v[110:111], v[112:113]
	s_waitcnt vmcnt(9)
	v_mul_f64 v[112:113], v[102:103], v[232:233]
	s_waitcnt vmcnt(7)
	v_fmac_f64_e32 v[112:113], v[104:105], v[234:235]
	v_add_f64 v[110:111], v[110:111], v[112:113]
	s_waitcnt vmcnt(5)
	v_mul_f64 v[112:113], v[106:107], v[212:213]
	s_waitcnt vmcnt(4)
	v_fmac_f64_e32 v[112:113], v[108:109], v[222:223]
	v_add_f64 v[114:115], v[110:111], v[112:113]
	ds_read_b128 v[110:113], v1 offset:1792
	buffer_load_dword v242, off, s[0:3], 0 offset:920
	buffer_load_dword v243, off, s[0:3], 0 offset:924
	;; [unrolled: 1-line block ×4, first 2 shown]
	v_add_f64 v[252:253], v[2:3], v[246:247]
	v_accvgpr_read_b32 v118, a172
	v_mul_f64 v[4:5], v[122:123], v[4:5]
	v_accvgpr_read_b32 v119, a173
	v_add_f64 v[2:3], v[252:253], v[250:251]
	v_fma_f64 v[4:5], v[120:121], v[118:119], -v[4:5]
	v_add_f64 v[2:3], v[2:3], v[4:5]
	v_mul_f64 v[4:5], v[8:9], v[128:129]
	v_fma_f64 v[4:5], v[6:7], v[144:145], -v[4:5]
	v_add_f64 v[2:3], v[2:3], v[4:5]
	v_mul_f64 v[4:5], v[12:13], v[124:125]
	;; [unrolled: 3-line block ×20, first 2 shown]
	s_waitcnt vmcnt(6) lgkmcnt(0)
	v_mul_f64 v[116:117], v[110:111], v[236:237]
	v_fma_f64 v[4:5], v[82:83], v[186:187], -v[4:5]
	s_waitcnt vmcnt(4)
	v_fmac_f64_e32 v[116:117], v[112:113], v[238:239]
	v_add_f64 v[240:241], v[114:115], v[116:117]
	ds_read_b128 v[114:117], v1 offset:1808
	v_add_f64 v[2:3], v[2:3], v[4:5]
	v_mul_f64 v[4:5], v[88:89], v[204:205]
	v_fma_f64 v[4:5], v[86:87], v[206:207], -v[4:5]
	v_add_f64 v[2:3], v[2:3], v[4:5]
	v_mul_f64 v[4:5], v[92:93], v[208:209]
	v_fma_f64 v[4:5], v[90:91], v[210:211], -v[4:5]
	v_add_f64 v[2:3], v[2:3], v[4:5]
	s_waitcnt vmcnt(2) lgkmcnt(0)
	v_mul_f64 v[248:249], v[114:115], v[242:243]
	v_mul_f64 v[4:5], v[96:97], v[214:215]
	s_waitcnt vmcnt(0)
	v_fmac_f64_e32 v[248:249], v[116:117], v[244:245]
	v_add_f64 v[240:241], v[240:241], v[248:249]
	buffer_load_dword v248, off, s[0:3], 0 offset:288
	buffer_load_dword v249, off, s[0:3], 0 offset:292
	;; [unrolled: 1-line block ×4, first 2 shown]
	v_fma_f64 v[4:5], v[94:95], v[218:219], -v[4:5]
	v_add_f64 v[2:3], v[2:3], v[4:5]
	v_mul_f64 v[4:5], v[100:101], v[216:217]
	v_fma_f64 v[4:5], v[98:99], v[220:221], -v[4:5]
	v_add_f64 v[2:3], v[2:3], v[4:5]
	v_mul_f64 v[4:5], v[104:105], v[232:233]
	;; [unrolled: 3-line block ×5, first 2 shown]
	v_fma_f64 v[4:5], v[114:115], v[244:245], -v[4:5]
	v_add_f64 v[2:3], v[2:3], v[4:5]
	v_accvgpr_read_b32 v0, a170
	v_cmp_lt_u32_e32 vcc, 16, v0
	s_waitcnt vmcnt(2)
	v_add_f64 v[2:3], v[248:249], -v[2:3]
	s_waitcnt vmcnt(0)
	v_add_f64 v[4:5], v[246:247], -v[240:241]
	buffer_store_dword v3, off, s[0:3], 0 offset:292
	buffer_store_dword v2, off, s[0:3], 0 offset:288
	;; [unrolled: 1-line block ×4, first 2 shown]
	s_and_saveexec_b64 s[4:5], vcc
	s_cbranch_execz .LBB56_323
; %bb.322:
	v_accvgpr_read_b32 v0, a154
	buffer_load_dword v2, v0, s[0:3], 0 offen
	buffer_load_dword v3, v0, s[0:3], 0 offen offset:4
	buffer_load_dword v4, v0, s[0:3], 0 offen offset:8
	;; [unrolled: 1-line block ×3, first 2 shown]
	v_accvgpr_read_b32 v0, a171
	buffer_store_dword v1, off, s[0:3], 0 offset:272
	buffer_store_dword v1, off, s[0:3], 0 offset:276
	;; [unrolled: 1-line block ×4, first 2 shown]
	s_waitcnt vmcnt(4)
	ds_write_b128 v0, v[2:5]
.LBB56_323:
	s_or_b64 exec, exec, s[4:5]
	s_waitcnt lgkmcnt(0)
	; wave barrier
	s_waitcnt lgkmcnt(0)
	buffer_load_dword v56, off, s[0:3], 0 offset:288
	buffer_load_dword v57, off, s[0:3], 0 offset:292
	;; [unrolled: 1-line block ×42, first 2 shown]
	ds_read_b128 v[78:81], v1 offset:1184
	ds_read_b128 v[90:93], v1 offset:1200
	;; [unrolled: 1-line block ×10, first 2 shown]
	buffer_load_dword v105, off, s[0:3], 0 offset:436
	buffer_load_dword v104, off, s[0:3], 0 offset:432
	ds_read_b128 v[106:109], v1 offset:1344
	buffer_load_dword v3, off, s[0:3], 0 offset:492
	buffer_load_dword v2, off, s[0:3], 0 offset:488
	s_waitcnt vmcnt(38) lgkmcnt(9)
	v_mul_f64 v[4:5], v[90:91], v[62:63]
	v_fmac_f64_e32 v[4:5], v[92:93], v[54:55]
	s_waitcnt vmcnt(36) lgkmcnt(8)
	v_mul_f64 v[6:7], v[114:115], v[58:59]
	v_mul_f64 v[58:59], v[116:117], v[58:59]
	s_waitcnt vmcnt(34) lgkmcnt(6)
	v_mul_f64 v[10:11], v[240:241], v[70:71]
	v_mul_f64 v[70:71], v[242:243], v[70:71]
	s_waitcnt vmcnt(32)
	v_fmac_f64_e32 v[10:11], v[242:243], v[72:73]
	v_fma_f64 v[240:241], v[240:241], v[72:73], -v[70:71]
	s_waitcnt vmcnt(30)
	v_mul_f64 v[8:9], v[236:237], v[64:65]
	s_waitcnt vmcnt(28) lgkmcnt(4)
	v_mul_f64 v[14:15], v[248:249], v[82:83]
	v_mul_f64 v[82:83], v[250:251], v[82:83]
	s_waitcnt vmcnt(26)
	v_fmac_f64_e32 v[14:15], v[250:251], v[84:85]
	v_fma_f64 v[248:249], v[248:249], v[84:85], -v[82:83]
	s_waitcnt vmcnt(24)
	v_mul_f64 v[12:13], v[244:245], v[74:75]
	v_mul_f64 v[74:75], v[246:247], v[74:75]
	s_waitcnt vmcnt(22) lgkmcnt(2)
	v_mul_f64 v[18:19], v[224:225], v[94:95]
	v_mul_f64 v[94:95], v[226:227], v[94:95]
	s_waitcnt vmcnt(19)
	v_mul_f64 v[16:17], v[252:253], v[86:87]
	v_mul_f64 v[86:87], v[254:255], v[86:87]
	s_waitcnt vmcnt(17) lgkmcnt(1)
	v_mul_f64 v[20:21], v[98:99], v[102:103]
	s_waitcnt vmcnt(15)
	v_fmac_f64_e32 v[6:7], v[116:117], v[68:69]
	s_waitcnt vmcnt(13)
	v_fmac_f64_e32 v[8:9], v[238:239], v[66:67]
	;; [unrolled: 2-line block ×3, first 2 shown]
	v_fma_f64 v[246:247], v[244:245], v[76:77], -v[74:75]
	s_waitcnt vmcnt(9)
	v_fmac_f64_e32 v[16:17], v[254:255], v[88:89]
	s_waitcnt vmcnt(8)
	v_fmac_f64_e32 v[18:19], v[226:227], v[96:97]
	v_fma_f64 v[254:255], v[252:253], v[88:89], -v[86:87]
	v_fma_f64 v[224:225], v[224:225], v[96:97], -v[94:95]
	s_waitcnt vmcnt(2)
	v_fmac_f64_e32 v[20:21], v[100:101], v[104:105]
	v_mul_f64 v[100:101], v[100:101], v[102:103]
	s_waitcnt vmcnt(0)
	v_pk_mov_b32 v[22:23], v[2:3], v[2:3] op_sel:[0,1]
	buffer_load_dword v3, off, s[0:3], 0 offset:484
	buffer_load_dword v2, off, s[0:3], 0 offset:480
	buffer_load_dword v125, off, s[0:3], 0 offset:476
	buffer_load_dword v124, off, s[0:3], 0 offset:472
	buffer_load_dword v141, off, s[0:3], 0 offset:468
	buffer_load_dword v140, off, s[0:3], 0 offset:464
	buffer_load_dword v127, off, s[0:3], 0 offset:524
	buffer_load_dword v126, off, s[0:3], 0 offset:520
	buffer_load_dword v129, off, s[0:3], 0 offset:516
	buffer_load_dword v128, off, s[0:3], 0 offset:512
	buffer_load_dword v145, off, s[0:3], 0 offset:508
	buffer_load_dword v144, off, s[0:3], 0 offset:504
	buffer_load_dword v149, off, s[0:3], 0 offset:500
	buffer_load_dword v148, off, s[0:3], 0 offset:496
	buffer_load_dword v131, off, s[0:3], 0 offset:556
	buffer_load_dword v130, off, s[0:3], 0 offset:552
	buffer_load_dword v133, off, s[0:3], 0 offset:548
	buffer_load_dword v132, off, s[0:3], 0 offset:544
	buffer_load_dword v153, off, s[0:3], 0 offset:540
	buffer_load_dword v152, off, s[0:3], 0 offset:536
	buffer_load_dword v157, off, s[0:3], 0 offset:532
	buffer_load_dword v156, off, s[0:3], 0 offset:528
	buffer_load_dword v135, off, s[0:3], 0 offset:588
	buffer_load_dword v134, off, s[0:3], 0 offset:584
	buffer_load_dword v137, off, s[0:3], 0 offset:580
	buffer_load_dword v136, off, s[0:3], 0 offset:576
	buffer_load_dword v161, off, s[0:3], 0 offset:572
	buffer_load_dword v160, off, s[0:3], 0 offset:568
	buffer_load_dword v165, off, s[0:3], 0 offset:564
	buffer_load_dword v164, off, s[0:3], 0 offset:560
	buffer_load_dword v139, off, s[0:3], 0 offset:620
	buffer_load_dword v138, off, s[0:3], 0 offset:616
	buffer_load_dword v143, off, s[0:3], 0 offset:612
	buffer_load_dword v142, off, s[0:3], 0 offset:608
	buffer_load_dword v169, off, s[0:3], 0 offset:604
	buffer_load_dword v168, off, s[0:3], 0 offset:600
	buffer_load_dword v173, off, s[0:3], 0 offset:596
	buffer_load_dword v172, off, s[0:3], 0 offset:592
	buffer_load_dword v147, off, s[0:3], 0 offset:652
	buffer_load_dword v146, off, s[0:3], 0 offset:648
	buffer_load_dword v151, off, s[0:3], 0 offset:644
	buffer_load_dword v150, off, s[0:3], 0 offset:640
	buffer_load_dword v177, off, s[0:3], 0 offset:636
	buffer_load_dword v176, off, s[0:3], 0 offset:632
	buffer_load_dword v181, off, s[0:3], 0 offset:628
	buffer_load_dword v180, off, s[0:3], 0 offset:624
	buffer_load_dword v155, off, s[0:3], 0 offset:684
	buffer_load_dword v154, off, s[0:3], 0 offset:680
	buffer_load_dword v159, off, s[0:3], 0 offset:676
	buffer_load_dword v158, off, s[0:3], 0 offset:672
	buffer_load_dword v185, off, s[0:3], 0 offset:668
	buffer_load_dword v184, off, s[0:3], 0 offset:664
	buffer_load_dword v187, off, s[0:3], 0 offset:660
	buffer_load_dword v186, off, s[0:3], 0 offset:656
	buffer_load_dword v163, off, s[0:3], 0 offset:716
	buffer_load_dword v162, off, s[0:3], 0 offset:712
	buffer_load_dword v167, off, s[0:3], 0 offset:708
	buffer_load_dword v166, off, s[0:3], 0 offset:704
	buffer_load_dword v189, off, s[0:3], 0 offset:700
	buffer_load_dword v188, off, s[0:3], 0 offset:696
	buffer_load_dword v191, off, s[0:3], 0 offset:692
	buffer_load_dword v190, off, s[0:3], 0 offset:688
	buffer_load_dword v171, off, s[0:3], 0 offset:748
	buffer_load_dword v170, off, s[0:3], 0 offset:744
	buffer_load_dword v175, off, s[0:3], 0 offset:740
	buffer_load_dword v174, off, s[0:3], 0 offset:736
	buffer_load_dword v193, off, s[0:3], 0 offset:732
	buffer_load_dword v192, off, s[0:3], 0 offset:728
	buffer_load_dword v195, off, s[0:3], 0 offset:724
	buffer_load_dword v194, off, s[0:3], 0 offset:720
	buffer_load_dword v179, off, s[0:3], 0 offset:780
	buffer_load_dword v178, off, s[0:3], 0 offset:776
	buffer_load_dword v183, off, s[0:3], 0 offset:772
	buffer_load_dword v182, off, s[0:3], 0 offset:768
	buffer_load_dword v197, off, s[0:3], 0 offset:764
	buffer_load_dword v196, off, s[0:3], 0 offset:760
	buffer_load_dword v199, off, s[0:3], 0 offset:756
	buffer_load_dword v198, off, s[0:3], 0 offset:752
	ds_read_b128 v[120:123], v1 offset:1360
	v_accvgpr_write_b32 a173, v23
	v_accvgpr_write_b32 a172, v22
	v_fma_f64 v[250:251], v[98:99], v[104:105], -v[100:101]
	s_waitcnt vmcnt(62)
	v_pk_mov_b32 v[24:25], v[2:3], v[2:3] op_sel:[0,1]
	v_mul_f64 v[2:3], v[78:79], v[60:61]
	v_fmac_f64_e32 v[2:3], v[80:81], v[56:57]
	v_add_f64 v[2:3], v[2:3], 0
	v_add_f64 v[2:3], v[2:3], v[4:5]
	;; [unrolled: 1-line block ×9, first 2 shown]
	s_waitcnt lgkmcnt(1)
	v_mul_f64 v[8:9], v[106:107], v[110:111]
	v_add_f64 v[6:7], v[2:3], v[20:21]
	v_fmac_f64_e32 v[8:9], v[108:109], v[112:113]
	v_add_f64 v[10:11], v[6:7], v[8:9]
	ds_read_b128 v[6:9], v1 offset:1376
	s_waitcnt lgkmcnt(1)
	v_mul_f64 v[12:13], v[120:121], v[124:125]
	v_fmac_f64_e32 v[12:13], v[122:123], v[140:141]
	v_add_f64 v[14:15], v[10:11], v[12:13]
	ds_read_b128 v[10:13], v1 offset:1392
	s_waitcnt lgkmcnt(1)
	v_mul_f64 v[16:17], v[6:7], v[22:23]
	;; [unrolled: 5-line block ×3, first 2 shown]
	v_fmac_f64_e32 v[20:21], v[12:13], v[148:149]
	v_add_f64 v[22:23], v[18:19], v[20:21]
	ds_read_b128 v[18:21], v1 offset:1424
	v_accvgpr_write_b32 a175, v25
	v_accvgpr_write_b32 a174, v24
	s_waitcnt lgkmcnt(1)
	v_mul_f64 v[24:25], v[14:15], v[126:127]
	v_fmac_f64_e32 v[24:25], v[16:17], v[128:129]
	v_add_f64 v[26:27], v[22:23], v[24:25]
	ds_read_b128 v[22:25], v1 offset:1440
	s_waitcnt vmcnt(58) lgkmcnt(1)
	v_mul_f64 v[28:29], v[18:19], v[152:153]
	s_waitcnt vmcnt(56)
	v_fmac_f64_e32 v[28:29], v[20:21], v[156:157]
	v_add_f64 v[30:31], v[26:27], v[28:29]
	ds_read_b128 v[26:29], v1 offset:1456
	s_waitcnt lgkmcnt(1)
	v_mul_f64 v[32:33], v[22:23], v[130:131]
	v_fmac_f64_e32 v[32:33], v[24:25], v[132:133]
	v_add_f64 v[34:35], v[30:31], v[32:33]
	ds_read_b128 v[30:33], v1 offset:1472
	s_waitcnt vmcnt(50) lgkmcnt(1)
	v_mul_f64 v[36:37], v[26:27], v[160:161]
	s_waitcnt vmcnt(48)
	v_fmac_f64_e32 v[36:37], v[28:29], v[164:165]
	v_add_f64 v[38:39], v[34:35], v[36:37]
	ds_read_b128 v[34:37], v1 offset:1488
	;; [unrolled: 11-line block ×4, first 2 shown]
	buffer_load_dword v200, off, s[0:3], 0 offset:808
	buffer_load_dword v205, off, s[0:3], 0 offset:796
	;; [unrolled: 1-line block ×8, first 2 shown]
	s_waitcnt lgkmcnt(1)
	v_mul_f64 v[208:209], v[46:47], v[146:147]
	v_fmac_f64_e32 v[208:209], v[48:49], v[150:151]
	v_add_f64 v[118:119], v[118:119], v[208:209]
	buffer_load_dword v209, off, s[0:3], 0 offset:828
	buffer_load_dword v208, off, s[0:3], 0 offset:824
	;; [unrolled: 1-line block ×20, first 2 shown]
	v_mul_f64 v[60:61], v[80:81], v[60:61]
	s_waitcnt vmcnt(54) lgkmcnt(0)
	v_mul_f64 v[228:229], v[50:51], v[184:185]
	v_fma_f64 v[230:231], v[78:79], v[56:57], -v[60:61]
	v_mul_f64 v[56:57], v[92:93], v[62:63]
	v_fma_f64 v[2:3], v[90:91], v[54:55], -v[56:57]
	s_waitcnt vmcnt(52)
	v_fmac_f64_e32 v[228:229], v[52:53], v[186:187]
	ds_read_b128 v[54:57], v1 offset:1568
	v_add_f64 v[4:5], v[118:119], v[228:229]
	v_fma_f64 v[118:119], v[114:115], v[68:69], -v[58:59]
	ds_read_b128 v[58:61], v1 offset:1584
	v_mul_f64 v[62:63], v[238:239], v[64:65]
	v_fma_f64 v[228:229], v[236:237], v[66:67], -v[62:63]
	ds_read_b128 v[62:65], v1 offset:1600
	ds_read_b128 v[70:73], v1 offset:1632
	s_waitcnt lgkmcnt(3)
	v_mul_f64 v[68:69], v[54:55], v[154:155]
	v_fmac_f64_e32 v[68:69], v[56:57], v[158:159]
	s_waitcnt vmcnt(46) lgkmcnt(2)
	v_mul_f64 v[66:67], v[58:59], v[188:189]
	v_add_f64 v[4:5], v[4:5], v[68:69]
	s_waitcnt vmcnt(44)
	v_fmac_f64_e32 v[66:67], v[60:61], v[190:191]
	v_add_f64 v[4:5], v[4:5], v[66:67]
	s_waitcnt lgkmcnt(1)
	v_mul_f64 v[66:67], v[62:63], v[162:163]
	v_fmac_f64_e32 v[66:67], v[64:65], v[166:167]
	v_add_f64 v[4:5], v[4:5], v[66:67]
	ds_read_b128 v[66:69], v1 offset:1616
	ds_read_b128 v[74:77], v1 offset:1648
	;; [unrolled: 1-line block ×5, first 2 shown]
	s_waitcnt vmcnt(38) lgkmcnt(4)
	v_mul_f64 v[78:79], v[66:67], v[192:193]
	s_waitcnt vmcnt(36)
	v_fmac_f64_e32 v[78:79], v[68:69], v[194:195]
	v_add_f64 v[4:5], v[4:5], v[78:79]
	v_mul_f64 v[78:79], v[70:71], v[170:171]
	v_fmac_f64_e32 v[78:79], v[72:73], v[174:175]
	v_add_f64 v[4:5], v[4:5], v[78:79]
	s_waitcnt vmcnt(30) lgkmcnt(3)
	v_mul_f64 v[78:79], v[74:75], v[196:197]
	s_waitcnt vmcnt(28)
	v_fmac_f64_e32 v[78:79], v[76:77], v[198:199]
	v_add_f64 v[4:5], v[4:5], v[78:79]
	ds_read_b128 v[78:81], v1 offset:1664
	v_mul_f64 v[108:109], v[108:109], v[110:111]
	v_fma_f64 v[252:253], v[106:107], v[112:113], -v[108:109]
	ds_read_b128 v[98:101], v1 offset:1744
	ds_read_b128 v[106:109], v1 offset:1776
	s_waitcnt lgkmcnt(2)
	v_mul_f64 v[90:91], v[78:79], v[178:179]
	v_fmac_f64_e32 v[90:91], v[80:81], v[182:183]
	v_add_f64 v[4:5], v[4:5], v[90:91]
	s_waitcnt vmcnt(25)
	v_mul_f64 v[90:91], v[82:83], v[204:205]
	s_waitcnt vmcnt(23)
	v_fmac_f64_e32 v[90:91], v[84:85], v[206:207]
	v_add_f64 v[4:5], v[4:5], v[90:91]
	s_waitcnt vmcnt(21)
	v_mul_f64 v[90:91], v[86:87], v[200:201]
	s_waitcnt vmcnt(20)
	v_fmac_f64_e32 v[90:91], v[88:89], v[202:203]
	v_add_f64 v[4:5], v[4:5], v[90:91]
	ds_read_b128 v[90:93], v1 offset:1712
	s_waitcnt vmcnt(14)
	v_mul_f64 v[102:103], v[94:95], v[214:215]
	s_waitcnt vmcnt(9) lgkmcnt(2)
	v_mul_f64 v[110:111], v[98:99], v[220:221]
	v_fmac_f64_e32 v[102:103], v[96:97], v[216:217]
	s_waitcnt vmcnt(7)
	v_fmac_f64_e32 v[110:111], v[100:101], v[232:233]
	s_waitcnt lgkmcnt(0)
	v_mul_f64 v[114:115], v[90:91], v[208:209]
	v_fmac_f64_e32 v[114:115], v[92:93], v[210:211]
	v_add_f64 v[4:5], v[4:5], v[114:115]
	v_add_f64 v[4:5], v[4:5], v[102:103]
	ds_read_b128 v[102:105], v1 offset:1760
	buffer_load_dword v236, off, s[0:3], 0 offset:904
	buffer_load_dword v237, off, s[0:3], 0 offset:908
	;; [unrolled: 1-line block ×4, first 2 shown]
	v_add_f64 v[4:5], v[4:5], v[110:111]
	s_waitcnt vmcnt(9) lgkmcnt(0)
	v_mul_f64 v[110:111], v[102:103], v[212:213]
	s_waitcnt vmcnt(8)
	v_fmac_f64_e32 v[110:111], v[104:105], v[218:219]
	v_add_f64 v[4:5], v[4:5], v[110:111]
	s_waitcnt vmcnt(6)
	v_mul_f64 v[110:111], v[106:107], v[222:223]
	s_waitcnt vmcnt(4)
	v_fmac_f64_e32 v[110:111], v[108:109], v[234:235]
	v_add_f64 v[4:5], v[4:5], v[110:111]
	ds_read_b128 v[110:113], v1 offset:1792
	buffer_load_dword v243, off, s[0:3], 0 offset:924
	buffer_load_dword v242, off, s[0:3], 0 offset:920
	;; [unrolled: 1-line block ×4, first 2 shown]
	s_waitcnt vmcnt(6) lgkmcnt(0)
	v_mul_f64 v[114:115], v[110:111], v[236:237]
	s_waitcnt vmcnt(4)
	v_fmac_f64_e32 v[114:115], v[112:113], v[238:239]
	v_add_f64 v[4:5], v[4:5], v[114:115]
	ds_read_b128 v[114:117], v1 offset:1808
	v_accvgpr_read_b32 v0, a172
	v_accvgpr_read_b32 v1, a173
	v_mul_f64 v[8:9], v[8:9], v[0:1]
	v_accvgpr_read_b32 v0, a174
	v_accvgpr_read_b32 v1, a175
	v_fma_f64 v[6:7], v[6:7], v[0:1], -v[8:9]
	s_waitcnt vmcnt(2) lgkmcnt(0)
	v_mul_f64 v[226:227], v[114:115], v[242:243]
	v_accvgpr_read_b32 v0, a170
	s_waitcnt vmcnt(0)
	v_fmac_f64_e32 v[226:227], v[116:117], v[244:245]
	v_add_f64 v[4:5], v[4:5], v[226:227]
	v_add_f64 v[226:227], v[230:231], 0
	;; [unrolled: 1-line block ×8, first 2 shown]
	buffer_load_dword v248, off, s[0:3], 0 offset:272
	buffer_load_dword v249, off, s[0:3], 0 offset:276
	buffer_load_dword v246, off, s[0:3], 0 offset:280
	buffer_load_dword v247, off, s[0:3], 0 offset:284
	v_add_f64 v[2:3], v[2:3], v[254:255]
	v_add_f64 v[254:255], v[2:3], v[224:225]
	;; [unrolled: 1-line block ×3, first 2 shown]
	v_mul_f64 v[118:119], v[122:123], v[124:125]
	v_add_f64 v[2:3], v[2:3], v[252:253]
	v_fma_f64 v[118:119], v[120:121], v[140:141], -v[118:119]
	v_add_f64 v[2:3], v[2:3], v[118:119]
	v_add_f64 v[2:3], v[2:3], v[6:7]
	v_mul_f64 v[6:7], v[12:13], v[144:145]
	v_fma_f64 v[6:7], v[10:11], v[148:149], -v[6:7]
	v_add_f64 v[2:3], v[2:3], v[6:7]
	v_mul_f64 v[6:7], v[16:17], v[126:127]
	v_fma_f64 v[6:7], v[14:15], v[128:129], -v[6:7]
	;; [unrolled: 3-line block ×27, first 2 shown]
	v_add_f64 v[2:3], v[2:3], v[6:7]
	s_waitcnt vmcnt(2)
	v_add_f64 v[2:3], v[248:249], -v[2:3]
	v_cmp_lt_u32_e32 vcc, 15, v0
	s_waitcnt vmcnt(0)
	v_add_f64 v[4:5], v[246:247], -v[4:5]
	buffer_store_dword v3, off, s[0:3], 0 offset:276
	buffer_store_dword v2, off, s[0:3], 0 offset:272
	;; [unrolled: 1-line block ×4, first 2 shown]
	s_and_saveexec_b64 s[4:5], vcc
	s_cbranch_execz .LBB56_325
; %bb.324:
	v_accvgpr_read_b32 v0, a155
	buffer_load_dword v2, v0, s[0:3], 0 offen
	buffer_load_dword v3, v0, s[0:3], 0 offen offset:4
	buffer_load_dword v4, v0, s[0:3], 0 offen offset:8
	;; [unrolled: 1-line block ×3, first 2 shown]
	v_mov_b32_e32 v0, 0
	v_accvgpr_read_b32 v1, a171
	buffer_store_dword v0, off, s[0:3], 0 offset:256
	buffer_store_dword v0, off, s[0:3], 0 offset:260
	;; [unrolled: 1-line block ×4, first 2 shown]
	s_waitcnt vmcnt(4)
	ds_write_b128 v1, v[2:5]
.LBB56_325:
	s_or_b64 exec, exec, s[4:5]
	s_waitcnt lgkmcnt(0)
	; wave barrier
	s_waitcnt lgkmcnt(0)
	buffer_load_dword v54, off, s[0:3], 0 offset:272
	buffer_load_dword v55, off, s[0:3], 0 offset:276
	;; [unrolled: 1-line block ×46, first 2 shown]
	v_mov_b32_e32 v1, 0
	v_accvgpr_read_b32 v0, a170
	v_cmp_lt_u32_e32 vcc, 14, v0
	s_waitcnt vmcnt(0)
	v_pk_mov_b32 v[22:23], v[2:3], v[2:3] op_sel:[0,1]
	buffer_load_dword v3, off, s[0:3], 0 offset:468
	buffer_load_dword v2, off, s[0:3], 0 offset:464
	;; [unrolled: 1-line block ×3, first 2 shown]
	ds_read_b128 v[94:97], v1 offset:1168
	ds_read_b128 v[108:111], v1 offset:1184
	;; [unrolled: 1-line block ×11, first 2 shown]
	buffer_load_dword v106, off, s[0:3], 0 offset:456
	buffer_load_dword v233, off, s[0:3], 0 offset:452
	;; [unrolled: 1-line block ×75, first 2 shown]
	s_waitcnt lgkmcnt(9)
	v_mul_f64 v[4:5], v[108:109], v[62:63]
	s_waitcnt lgkmcnt(8)
	v_mul_f64 v[6:7], v[112:113], v[60:61]
	v_fmac_f64_e32 v[4:5], v[110:111], v[58:59]
	s_waitcnt lgkmcnt(7)
	v_mul_f64 v[8:9], v[224:225], v[68:69]
	v_fmac_f64_e32 v[6:7], v[114:115], v[84:85]
	;; [unrolled: 3-line block ×5, first 2 shown]
	ds_read_b128 v[116:119], v1 offset:1344
	ds_read_b128 v[120:123], v1 offset:1360
	s_waitcnt lgkmcnt(5)
	v_mul_f64 v[16:17], v[248:249], v[78:79]
	v_fmac_f64_e32 v[14:15], v[246:247], v[76:77]
	s_waitcnt lgkmcnt(4)
	v_mul_f64 v[18:19], v[252:253], v[86:87]
	v_fmac_f64_e32 v[16:17], v[250:251], v[80:81]
	s_waitcnt lgkmcnt(3)
	v_mul_f64 v[20:21], v[228:229], v[90:91]
	v_fmac_f64_e32 v[18:19], v[254:255], v[88:89]
	v_fmac_f64_e32 v[20:21], v[230:231], v[92:93]
	v_accvgpr_write_b32 a173, v23
	v_accvgpr_write_b32 a172, v22
	v_mul_f64 v[62:63], v[110:111], v[62:63]
	v_mul_f64 v[74:75], v[246:247], v[74:75]
	v_fma_f64 v[246:247], v[244:245], v[76:77], -v[74:75]
	v_mul_f64 v[78:79], v[250:251], v[78:79]
	v_fma_f64 v[248:249], v[248:249], v[80:81], -v[78:79]
	;; [unrolled: 2-line block ×4, first 2 shown]
	s_waitcnt vmcnt(62)
	v_pk_mov_b32 v[24:25], v[2:3], v[2:3] op_sel:[0,1]
	v_mul_f64 v[2:3], v[94:95], v[56:57]
	v_fmac_f64_e32 v[2:3], v[96:97], v[54:55]
	v_add_f64 v[2:3], v[2:3], 0
	v_add_f64 v[2:3], v[2:3], v[4:5]
	;; [unrolled: 1-line block ×9, first 2 shown]
	s_waitcnt lgkmcnt(2)
	v_mul_f64 v[4:5], v[98:99], v[102:103]
	v_add_f64 v[2:3], v[2:3], v[20:21]
	v_fmac_f64_e32 v[4:5], v[100:101], v[104:105]
	s_waitcnt lgkmcnt(1)
	v_mul_f64 v[8:9], v[116:117], v[106:107]
	v_add_f64 v[6:7], v[2:3], v[4:5]
	v_fmac_f64_e32 v[8:9], v[118:119], v[232:233]
	s_waitcnt lgkmcnt(0)
	v_mul_f64 v[12:13], v[120:121], v[22:23]
	v_add_f64 v[10:11], v[6:7], v[8:9]
	ds_read_b128 v[6:9], v1 offset:1376
	v_fmac_f64_e32 v[12:13], v[122:123], v[24:25]
	v_add_f64 v[14:15], v[10:11], v[12:13]
	ds_read_b128 v[10:13], v1 offset:1392
	v_accvgpr_write_b32 a175, v25
	s_waitcnt lgkmcnt(1)
	v_mul_f64 v[16:17], v[6:7], v[140:141]
	v_fmac_f64_e32 v[16:17], v[8:9], v[144:145]
	v_add_f64 v[18:19], v[14:15], v[16:17]
	s_waitcnt lgkmcnt(0)
	v_mul_f64 v[20:21], v[10:11], v[124:125]
	ds_read_b128 v[14:17], v1 offset:1408
	v_fmac_f64_e32 v[20:21], v[12:13], v[126:127]
	v_add_f64 v[22:23], v[18:19], v[20:21]
	ds_read_b128 v[18:21], v1 offset:1424
	v_accvgpr_write_b32 a174, v24
	s_waitcnt vmcnt(58) lgkmcnt(1)
	v_mul_f64 v[24:25], v[14:15], v[148:149]
	s_waitcnt vmcnt(56)
	v_fmac_f64_e32 v[24:25], v[16:17], v[152:153]
	v_add_f64 v[26:27], v[22:23], v[24:25]
	s_waitcnt lgkmcnt(0)
	v_mul_f64 v[28:29], v[18:19], v[128:129]
	ds_read_b128 v[22:25], v1 offset:1440
	v_fmac_f64_e32 v[28:29], v[20:21], v[130:131]
	v_add_f64 v[30:31], v[26:27], v[28:29]
	ds_read_b128 v[26:29], v1 offset:1456
	v_mul_f64 v[56:57], v[96:97], v[56:57]
	s_waitcnt vmcnt(50) lgkmcnt(1)
	v_mul_f64 v[32:33], v[22:23], v[156:157]
	s_waitcnt vmcnt(48)
	v_fmac_f64_e32 v[32:33], v[24:25], v[160:161]
	v_add_f64 v[34:35], v[30:31], v[32:33]
	s_waitcnt lgkmcnt(0)
	v_mul_f64 v[36:37], v[26:27], v[132:133]
	ds_read_b128 v[30:33], v1 offset:1472
	v_fmac_f64_e32 v[36:37], v[28:29], v[134:135]
	v_add_f64 v[38:39], v[34:35], v[36:37]
	ds_read_b128 v[34:37], v1 offset:1488
	v_fma_f64 v[2:3], v[94:95], v[54:55], -v[56:57]
	s_waitcnt vmcnt(42) lgkmcnt(1)
	v_mul_f64 v[40:41], v[30:31], v[164:165]
	s_waitcnt vmcnt(40)
	v_fmac_f64_e32 v[40:41], v[32:33], v[168:169]
	v_add_f64 v[42:43], v[38:39], v[40:41]
	s_waitcnt lgkmcnt(0)
	v_mul_f64 v[44:45], v[34:35], v[136:137]
	ds_read_b128 v[38:41], v1 offset:1504
	v_fmac_f64_e32 v[44:45], v[36:37], v[138:139]
	v_add_f64 v[46:47], v[42:43], v[44:45]
	ds_read_b128 v[42:45], v1 offset:1520
	v_fma_f64 v[94:95], v[108:109], v[58:59], -v[62:63]
	s_waitcnt vmcnt(34) lgkmcnt(1)
	v_mul_f64 v[48:49], v[38:39], v[172:173]
	s_waitcnt vmcnt(32)
	v_fmac_f64_e32 v[48:49], v[40:41], v[176:177]
	v_add_f64 v[50:51], v[46:47], v[48:49]
	s_waitcnt lgkmcnt(0)
	v_mul_f64 v[52:53], v[42:43], v[142:143]
	v_fmac_f64_e32 v[52:53], v[44:45], v[146:147]
	ds_read_b128 v[46:49], v1 offset:1536
	v_add_f64 v[200:201], v[50:51], v[52:53]
	ds_read_b128 v[50:53], v1 offset:1552
	buffer_load_dword v197, off, s[0:3], 0 offset:780
	buffer_load_dword v196, off, s[0:3], 0 offset:776
	buffer_load_dword v199, off, s[0:3], 0 offset:772
	buffer_load_dword v198, off, s[0:3], 0 offset:768
	v_mul_f64 v[58:59], v[114:115], v[60:61]
	s_waitcnt vmcnt(30) lgkmcnt(1)
	v_mul_f64 v[202:203], v[46:47], v[180:181]
	s_waitcnt vmcnt(28)
	v_fmac_f64_e32 v[202:203], v[48:49], v[182:183]
	v_add_f64 v[234:235], v[200:201], v[202:203]
	buffer_load_dword v202, off, s[0:3], 0 offset:792
	buffer_load_dword v204, off, s[0:3], 0 offset:784
	;; [unrolled: 1-line block ×12, first 2 shown]
	ds_read_b128 v[54:57], v1 offset:1568
	buffer_load_dword v213, off, s[0:3], 0 offset:844
	buffer_load_dword v212, off, s[0:3], 0 offset:840
	;; [unrolled: 1-line block ×4, first 2 shown]
	s_waitcnt lgkmcnt(1)
	v_mul_f64 v[4:5], v[50:51], v[150:151]
	buffer_load_dword v216, off, s[0:3], 0 offset:856
	buffer_load_dword v218, off, s[0:3], 0 offset:848
	;; [unrolled: 1-line block ×8, first 2 shown]
	v_fma_f64 v[96:97], v[112:113], v[84:85], -v[58:59]
	v_fmac_f64_e32 v[4:5], v[52:53], v[154:155]
	v_mul_f64 v[58:59], v[226:227], v[68:69]
	v_add_f64 v[4:5], v[234:235], v[4:5]
	v_fma_f64 v[108:109], v[224:225], v[82:83], -v[58:59]
	buffer_load_dword v224, off, s[0:3], 0 offset:888
	buffer_load_dword v234, off, s[0:3], 0 offset:880
	;; [unrolled: 1-line block ×4, first 2 shown]
	s_waitcnt vmcnt(50) lgkmcnt(0)
	v_mul_f64 v[58:59], v[54:55], v[184:185]
	s_waitcnt vmcnt(48)
	v_fmac_f64_e32 v[58:59], v[56:57], v[186:187]
	v_add_f64 v[4:5], v[4:5], v[58:59]
	ds_read_b128 v[58:61], v1 offset:1584
	v_mul_f64 v[62:63], v[238:239], v[64:65]
	v_fma_f64 v[236:237], v[236:237], v[66:67], -v[62:63]
	ds_read_b128 v[62:65], v1 offset:1600
	v_mul_f64 v[66:67], v[242:243], v[70:71]
	v_fma_f64 v[240:241], v[240:241], v[72:73], -v[66:67]
	ds_read_b128 v[66:69], v1 offset:1616
	ds_read_b128 v[74:77], v1 offset:1648
	s_waitcnt lgkmcnt(3)
	v_mul_f64 v[82:83], v[58:59], v[158:159]
	v_fmac_f64_e32 v[82:83], v[60:61], v[162:163]
	s_waitcnt vmcnt(42) lgkmcnt(2)
	v_mul_f64 v[70:71], v[62:63], v[188:189]
	v_add_f64 v[4:5], v[4:5], v[82:83]
	s_waitcnt vmcnt(40)
	v_fmac_f64_e32 v[70:71], v[64:65], v[190:191]
	v_add_f64 v[4:5], v[4:5], v[70:71]
	s_waitcnt lgkmcnt(1)
	v_mul_f64 v[70:71], v[66:67], v[166:167]
	v_fmac_f64_e32 v[70:71], v[68:69], v[170:171]
	v_add_f64 v[4:5], v[4:5], v[70:71]
	ds_read_b128 v[70:73], v1 offset:1632
	ds_read_b128 v[78:81], v1 offset:1664
	;; [unrolled: 1-line block ×4, first 2 shown]
	v_mul_f64 v[100:101], v[100:101], v[102:103]
	s_waitcnt vmcnt(34) lgkmcnt(3)
	v_mul_f64 v[82:83], v[70:71], v[192:193]
	s_waitcnt vmcnt(32)
	v_fmac_f64_e32 v[82:83], v[72:73], v[194:195]
	v_add_f64 v[4:5], v[4:5], v[82:83]
	v_mul_f64 v[82:83], v[74:75], v[174:175]
	v_fmac_f64_e32 v[82:83], v[76:77], v[178:179]
	v_add_f64 v[4:5], v[4:5], v[82:83]
	v_mul_f64 v[102:103], v[118:119], v[106:107]
	v_fma_f64 v[250:251], v[98:99], v[104:105], -v[100:101]
	ds_read_b128 v[98:101], v1 offset:1744
	v_fma_f64 v[102:103], v[116:117], v[232:233], -v[102:103]
	v_accvgpr_write_b32 a177, v103
	v_accvgpr_write_b32 a176, v102
	ds_read_b128 v[102:105], v1 offset:1760
	ds_read_b128 v[230:233], v1 offset:1776
	v_add_f64 v[2:3], v[2:3], 0
	ds_read_b128 v[86:89], v1 offset:1696
	v_add_f64 v[2:3], v[2:3], v[94:95]
	v_add_f64 v[2:3], v[2:3], v[96:97]
	;; [unrolled: 1-line block ×9, first 2 shown]
	v_accvgpr_read_b32 v94, a172
	v_add_f64 v[252:253], v[2:3], v[250:251]
	v_accvgpr_read_b32 v2, a176
	v_accvgpr_read_b32 v95, a173
	;; [unrolled: 1-line block ×4, first 2 shown]
	v_mul_f64 v[94:95], v[122:123], v[94:95]
	v_accvgpr_read_b32 v97, a175
	v_add_f64 v[2:3], v[252:253], v[2:3]
	v_fma_f64 v[94:95], v[120:121], v[96:97], -v[94:95]
	v_mul_f64 v[8:9], v[8:9], v[140:141]
	s_waitcnt vmcnt(30) lgkmcnt(6)
	v_mul_f64 v[82:83], v[78:79], v[196:197]
	v_add_f64 v[2:3], v[2:3], v[94:95]
	s_waitcnt vmcnt(28)
	v_fmac_f64_e32 v[82:83], v[80:81], v[198:199]
	v_add_f64 v[4:5], v[4:5], v[82:83]
	ds_read_b128 v[82:85], v1 offset:1680
	v_fma_f64 v[6:7], v[6:7], v[144:145], -v[8:9]
	v_add_f64 v[2:3], v[2:3], v[6:7]
	s_waitcnt vmcnt(9) lgkmcnt(4)
	v_mul_f64 v[106:107], v[98:99], v[216:217]
	s_waitcnt vmcnt(8)
	v_fmac_f64_e32 v[106:107], v[100:101], v[218:219]
	s_waitcnt lgkmcnt(0)
	v_mul_f64 v[110:111], v[82:83], v[202:203]
	v_fmac_f64_e32 v[110:111], v[84:85], v[204:205]
	v_add_f64 v[4:5], v[4:5], v[110:111]
	v_mul_f64 v[110:111], v[86:87], v[206:207]
	v_fmac_f64_e32 v[110:111], v[88:89], v[210:211]
	v_add_f64 v[4:5], v[4:5], v[110:111]
	;; [unrolled: 3-line block ×4, first 2 shown]
	v_add_f64 v[4:5], v[4:5], v[106:107]
	s_waitcnt vmcnt(6)
	v_mul_f64 v[106:107], v[102:103], v[220:221]
	s_waitcnt vmcnt(4)
	v_fmac_f64_e32 v[106:107], v[104:105], v[222:223]
	v_add_f64 v[4:5], v[4:5], v[106:107]
	s_waitcnt vmcnt(1)
	v_mul_f64 v[106:107], v[230:231], v[224:225]
	s_waitcnt vmcnt(0)
	v_fmac_f64_e32 v[106:107], v[232:233], v[234:235]
	v_add_f64 v[106:107], v[4:5], v[106:107]
	buffer_load_dword v5, off, s[0:3], 0 offset:908
	buffer_load_dword v4, off, s[0:3], 0 offset:904
	;; [unrolled: 1-line block ×4, first 2 shown]
	ds_read_b128 v[110:113], v1 offset:1792
	buffer_load_dword v242, off, s[0:3], 0 offset:920
	buffer_load_dword v243, off, s[0:3], 0 offset:924
	;; [unrolled: 1-line block ×4, first 2 shown]
	v_mul_f64 v[6:7], v[12:13], v[124:125]
	v_fma_f64 v[6:7], v[10:11], v[126:127], -v[6:7]
	v_add_f64 v[2:3], v[2:3], v[6:7]
	v_mul_f64 v[6:7], v[16:17], v[148:149]
	v_fma_f64 v[6:7], v[14:15], v[152:153], -v[6:7]
	v_add_f64 v[2:3], v[2:3], v[6:7]
	v_mul_f64 v[6:7], v[20:21], v[128:129]
	v_fma_f64 v[6:7], v[18:19], v[130:131], -v[6:7]
	v_add_f64 v[2:3], v[2:3], v[6:7]
	v_mul_f64 v[6:7], v[24:25], v[156:157]
	v_fma_f64 v[6:7], v[22:23], v[160:161], -v[6:7]
	v_add_f64 v[2:3], v[2:3], v[6:7]
	v_mul_f64 v[6:7], v[28:29], v[132:133]
	v_fma_f64 v[6:7], v[26:27], v[134:135], -v[6:7]
	v_add_f64 v[2:3], v[2:3], v[6:7]
	v_mul_f64 v[6:7], v[32:33], v[164:165]
	v_fma_f64 v[6:7], v[30:31], v[168:169], -v[6:7]
	v_add_f64 v[2:3], v[2:3], v[6:7]
	v_mul_f64 v[6:7], v[36:37], v[136:137]
	v_fma_f64 v[6:7], v[34:35], v[138:139], -v[6:7]
	v_add_f64 v[2:3], v[2:3], v[6:7]
	v_mul_f64 v[6:7], v[40:41], v[172:173]
	v_fma_f64 v[6:7], v[38:39], v[176:177], -v[6:7]
	v_add_f64 v[2:3], v[2:3], v[6:7]
	v_mul_f64 v[6:7], v[44:45], v[142:143]
	v_fma_f64 v[6:7], v[42:43], v[146:147], -v[6:7]
	v_add_f64 v[2:3], v[2:3], v[6:7]
	v_mul_f64 v[6:7], v[48:49], v[180:181]
	v_fma_f64 v[6:7], v[46:47], v[182:183], -v[6:7]
	v_add_f64 v[2:3], v[2:3], v[6:7]
	v_mul_f64 v[6:7], v[52:53], v[150:151]
	v_fma_f64 v[6:7], v[50:51], v[154:155], -v[6:7]
	v_add_f64 v[2:3], v[2:3], v[6:7]
	v_mul_f64 v[6:7], v[56:57], v[184:185]
	v_fma_f64 v[6:7], v[54:55], v[186:187], -v[6:7]
	v_add_f64 v[2:3], v[2:3], v[6:7]
	v_mul_f64 v[6:7], v[60:61], v[158:159]
	v_fma_f64 v[6:7], v[58:59], v[162:163], -v[6:7]
	v_add_f64 v[2:3], v[2:3], v[6:7]
	v_mul_f64 v[6:7], v[64:65], v[188:189]
	v_fma_f64 v[6:7], v[62:63], v[190:191], -v[6:7]
	v_add_f64 v[2:3], v[2:3], v[6:7]
	v_mul_f64 v[6:7], v[68:69], v[166:167]
	v_fma_f64 v[6:7], v[66:67], v[170:171], -v[6:7]
	v_add_f64 v[2:3], v[2:3], v[6:7]
	v_mul_f64 v[6:7], v[72:73], v[192:193]
	v_fma_f64 v[6:7], v[70:71], v[194:195], -v[6:7]
	v_add_f64 v[2:3], v[2:3], v[6:7]
	v_mul_f64 v[6:7], v[76:77], v[174:175]
	v_fma_f64 v[6:7], v[74:75], v[178:179], -v[6:7]
	v_add_f64 v[2:3], v[2:3], v[6:7]
	v_mul_f64 v[6:7], v[80:81], v[196:197]
	v_fma_f64 v[6:7], v[78:79], v[198:199], -v[6:7]
	v_add_f64 v[2:3], v[2:3], v[6:7]
	v_mul_f64 v[6:7], v[84:85], v[202:203]
	v_fma_f64 v[6:7], v[82:83], v[204:205], -v[6:7]
	v_add_f64 v[2:3], v[2:3], v[6:7]
	v_mul_f64 v[6:7], v[88:89], v[206:207]
	v_fma_f64 v[6:7], v[86:87], v[210:211], -v[6:7]
	v_add_f64 v[2:3], v[2:3], v[6:7]
	v_mul_f64 v[6:7], v[92:93], v[200:201]
	v_fma_f64 v[6:7], v[90:91], v[208:209], -v[6:7]
	v_add_f64 v[2:3], v[2:3], v[6:7]
	v_mul_f64 v[6:7], v[228:229], v[212:213]
	v_fma_f64 v[6:7], v[226:227], v[214:215], -v[6:7]
	v_add_f64 v[2:3], v[2:3], v[6:7]
	v_mul_f64 v[6:7], v[100:101], v[216:217]
	v_fma_f64 v[6:7], v[98:99], v[218:219], -v[6:7]
	v_add_f64 v[2:3], v[2:3], v[6:7]
	v_mul_f64 v[6:7], v[104:105], v[220:221]
	v_fma_f64 v[6:7], v[102:103], v[222:223], -v[6:7]
	v_add_f64 v[2:3], v[2:3], v[6:7]
	v_mul_f64 v[6:7], v[232:233], v[224:225]
	v_fma_f64 v[6:7], v[230:231], v[234:235], -v[6:7]
	v_add_f64 v[2:3], v[2:3], v[6:7]
	s_waitcnt vmcnt(6) lgkmcnt(0)
	v_mul_f64 v[114:115], v[110:111], v[4:5]
	v_mul_f64 v[4:5], v[112:113], v[4:5]
	s_waitcnt vmcnt(4)
	v_fmac_f64_e32 v[114:115], v[112:113], v[238:239]
	v_add_f64 v[106:107], v[106:107], v[114:115]
	ds_read_b128 v[114:117], v1 offset:1808
	buffer_load_dword v248, off, s[0:3], 0 offset:256
	buffer_load_dword v249, off, s[0:3], 0 offset:260
	;; [unrolled: 1-line block ×4, first 2 shown]
	v_fma_f64 v[4:5], v[110:111], v[238:239], -v[4:5]
	v_add_f64 v[2:3], v[2:3], v[4:5]
	s_waitcnt vmcnt(6) lgkmcnt(0)
	v_mul_f64 v[4:5], v[116:117], v[242:243]
	v_mul_f64 v[118:119], v[114:115], v[242:243]
	s_waitcnt vmcnt(4)
	v_fma_f64 v[4:5], v[114:115], v[244:245], -v[4:5]
	v_fmac_f64_e32 v[118:119], v[116:117], v[244:245]
	v_add_f64 v[2:3], v[2:3], v[4:5]
	v_add_f64 v[106:107], v[106:107], v[118:119]
	s_waitcnt vmcnt(2)
	v_add_f64 v[2:3], v[248:249], -v[2:3]
	s_waitcnt vmcnt(0)
	v_add_f64 v[4:5], v[246:247], -v[106:107]
	buffer_store_dword v3, off, s[0:3], 0 offset:260
	buffer_store_dword v2, off, s[0:3], 0 offset:256
	;; [unrolled: 1-line block ×4, first 2 shown]
	s_and_saveexec_b64 s[4:5], vcc
	s_cbranch_execz .LBB56_327
; %bb.326:
	v_accvgpr_read_b32 v0, a156
	buffer_load_dword v2, v0, s[0:3], 0 offen
	buffer_load_dword v3, v0, s[0:3], 0 offen offset:4
	buffer_load_dword v4, v0, s[0:3], 0 offen offset:8
	;; [unrolled: 1-line block ×3, first 2 shown]
	v_accvgpr_read_b32 v0, a171
	buffer_store_dword v1, off, s[0:3], 0 offset:240
	buffer_store_dword v1, off, s[0:3], 0 offset:244
	buffer_store_dword v1, off, s[0:3], 0 offset:248
	buffer_store_dword v1, off, s[0:3], 0 offset:252
	s_waitcnt vmcnt(4)
	ds_write_b128 v0, v[2:5]
.LBB56_327:
	s_or_b64 exec, exec, s[4:5]
	s_waitcnt lgkmcnt(0)
	; wave barrier
	s_waitcnt lgkmcnt(0)
	buffer_load_dword v58, off, s[0:3], 0 offset:256
	buffer_load_dword v59, off, s[0:3], 0 offset:260
	;; [unrolled: 1-line block ×42, first 2 shown]
	ds_read_b128 v[110:113], v1 offset:1152
	ds_read_b128 v[114:117], v1 offset:1168
	;; [unrolled: 1-line block ×10, first 2 shown]
	buffer_load_dword v119, off, s[0:3], 0 offset:404
	buffer_load_dword v118, off, s[0:3], 0 offset:400
	ds_read_b128 v[90:93], v1 offset:1312
	buffer_load_dword v105, off, s[0:3], 0 offset:460
	buffer_load_dword v104, off, s[0:3], 0 offset:456
	;; [unrolled: 1-line block ×6, first 2 shown]
	s_waitcnt vmcnt(46) lgkmcnt(10)
	v_mul_f64 v[2:3], v[110:111], v[60:61]
	v_fmac_f64_e32 v[2:3], v[112:113], v[58:59]
	v_add_f64 v[2:3], v[2:3], 0
	v_mul_f64 v[60:61], v[112:113], v[60:61]
	s_waitcnt vmcnt(42) lgkmcnt(9)
	v_mul_f64 v[4:5], v[114:115], v[62:63]
	v_fmac_f64_e32 v[4:5], v[116:117], v[56:57]
	v_add_f64 v[2:3], v[2:3], v[4:5]
	buffer_load_dword v233, off, s[0:3], 0 offset:436
	buffer_load_dword v232, off, s[0:3], 0 offset:432
	;; [unrolled: 1-line block ×4, first 2 shown]
	s_waitcnt vmcnt(44) lgkmcnt(8)
	v_mul_f64 v[6:7], v[212:213], v[220:221]
	s_waitcnt vmcnt(42) lgkmcnt(6)
	v_mul_f64 v[10:11], v[224:225], v[64:65]
	s_waitcnt vmcnt(40)
	v_fmac_f64_e32 v[10:11], v[226:227], v[66:67]
	s_waitcnt vmcnt(38)
	v_mul_f64 v[8:9], v[216:217], v[68:69]
	s_waitcnt vmcnt(36) lgkmcnt(4)
	v_mul_f64 v[14:15], v[236:237], v[70:71]
	s_waitcnt vmcnt(34)
	v_fmac_f64_e32 v[14:15], v[238:239], v[72:73]
	s_waitcnt vmcnt(32)
	v_mul_f64 v[12:13], v[228:229], v[74:75]
	s_waitcnt vmcnt(30) lgkmcnt(2)
	v_mul_f64 v[18:19], v[244:245], v[78:79]
	v_mul_f64 v[78:79], v[246:247], v[78:79]
	s_waitcnt vmcnt(27)
	v_mul_f64 v[16:17], v[240:241], v[76:77]
	s_waitcnt vmcnt(25) lgkmcnt(1)
	v_mul_f64 v[20:21], v[82:83], v[86:87]
	s_waitcnt vmcnt(23)
	v_fmac_f64_e32 v[6:7], v[214:215], v[100:101]
	v_add_f64 v[2:3], v[2:3], v[6:7]
	s_waitcnt vmcnt(21)
	v_fmac_f64_e32 v[8:9], v[218:219], v[98:99]
	v_add_f64 v[2:3], v[2:3], v[8:9]
	;; [unrolled: 3-line block ×3, first 2 shown]
	v_add_f64 v[2:3], v[2:3], v[12:13]
	s_waitcnt vmcnt(17)
	v_fmac_f64_e32 v[16:17], v[242:243], v[88:89]
	v_add_f64 v[2:3], v[2:3], v[14:15]
	s_waitcnt vmcnt(16)
	v_fmac_f64_e32 v[18:19], v[246:247], v[80:81]
	v_add_f64 v[2:3], v[2:3], v[16:17]
	v_add_f64 v[2:3], v[2:3], v[18:19]
	v_fma_f64 v[246:247], v[244:245], v[80:81], -v[78:79]
	s_waitcnt vmcnt(10)
	v_fmac_f64_e32 v[20:21], v[84:85], v[118:119]
	v_add_f64 v[2:3], v[2:3], v[20:21]
	v_mul_f64 v[84:85], v[84:85], v[86:87]
	s_waitcnt vmcnt(0)
	v_pk_mov_b32 v[18:19], v[4:5], v[4:5] op_sel:[0,1]
	buffer_load_dword v5, off, s[0:3], 0 offset:484
	buffer_load_dword v4, off, s[0:3], 0 offset:480
	v_accvgpr_write_b32 a173, v19
	v_accvgpr_write_b32 a172, v18
	s_waitcnt vmcnt(0)
	v_pk_mov_b32 v[22:23], v[4:5], v[4:5] op_sel:[0,1]
	buffer_load_dword v137, off, s[0:3], 0 offset:476
	buffer_load_dword v136, off, s[0:3], 0 offset:472
	;; [unrolled: 1-line block ×6, first 2 shown]
	v_accvgpr_write_b32 a175, v23
	v_accvgpr_write_b32 a174, v22
	s_waitcnt vmcnt(0)
	v_pk_mov_b32 v[26:27], v[4:5], v[4:5] op_sel:[0,1]
	buffer_load_dword v5, off, s[0:3], 0 offset:516
	buffer_load_dword v4, off, s[0:3], 0 offset:512
	v_accvgpr_write_b32 a177, v27
	v_accvgpr_write_b32 a176, v26
	s_waitcnt vmcnt(0)
	v_pk_mov_b32 v[28:29], v[4:5], v[4:5] op_sel:[0,1]
	buffer_load_dword v145, off, s[0:3], 0 offset:508
	buffer_load_dword v144, off, s[0:3], 0 offset:504
	;; [unrolled: 1-line block ×60, first 2 shown]
	ds_read_b128 v[248:251], v1 offset:1328
	ds_read_b128 v[252:255], v1 offset:1344
	;; [unrolled: 1-line block ×5, first 2 shown]
	v_accvgpr_write_b32 a179, v29
	s_waitcnt lgkmcnt(3)
	v_mul_f64 v[8:9], v[252:253], v[104:105]
	v_fmac_f64_e32 v[8:9], v[254:255], v[106:107]
	s_waitcnt lgkmcnt(2)
	v_mul_f64 v[12:13], v[120:121], v[136:137]
	v_fmac_f64_e32 v[12:13], v[122:123], v[140:141]
	;; [unrolled: 3-line block ×3, first 2 shown]
	v_accvgpr_write_b32 a178, v28
	s_waitcnt vmcnt(54)
	v_pk_mov_b32 v[34:35], v[4:5], v[4:5] op_sel:[0,1]
	v_mul_f64 v[4:5], v[90:91], v[96:97]
	v_fmac_f64_e32 v[4:5], v[92:93], v[102:103]
	v_add_f64 v[2:3], v[2:3], v[4:5]
	v_mul_f64 v[4:5], v[248:249], v[108:109]
	v_fmac_f64_e32 v[4:5], v[250:251], v[232:233]
	v_add_f64 v[6:7], v[2:3], v[4:5]
	v_add_f64 v[10:11], v[6:7], v[8:9]
	;; [unrolled: 1-line block ×4, first 2 shown]
	ds_read_b128 v[14:17], v1 offset:1408
	s_waitcnt lgkmcnt(1)
	v_mul_f64 v[20:21], v[124:125], v[144:145]
	v_fmac_f64_e32 v[20:21], v[126:127], v[148:149]
	v_add_f64 v[22:23], v[18:19], v[20:21]
	ds_read_b128 v[18:21], v1 offset:1424
	s_waitcnt lgkmcnt(1)
	v_mul_f64 v[24:25], v[14:15], v[26:27]
	v_fmac_f64_e32 v[24:25], v[16:17], v[28:29]
	v_add_f64 v[26:27], v[22:23], v[24:25]
	ds_read_b128 v[22:25], v1 offset:1440
	s_waitcnt vmcnt(50) lgkmcnt(1)
	v_mul_f64 v[28:29], v[18:19], v[152:153]
	s_waitcnt vmcnt(48)
	v_fmac_f64_e32 v[28:29], v[20:21], v[156:157]
	v_add_f64 v[30:31], v[26:27], v[28:29]
	ds_read_b128 v[26:29], v1 offset:1456
	s_waitcnt lgkmcnt(1)
	v_mul_f64 v[32:33], v[22:23], v[34:35]
	v_accvgpr_write_b32 a181, v35
	v_fmac_f64_e32 v[32:33], v[24:25], v[130:131]
	v_accvgpr_write_b32 a180, v34
	v_add_f64 v[34:35], v[30:31], v[32:33]
	ds_read_b128 v[30:33], v1 offset:1472
	s_waitcnt vmcnt(42) lgkmcnt(1)
	v_mul_f64 v[36:37], v[26:27], v[160:161]
	s_waitcnt vmcnt(40)
	v_fmac_f64_e32 v[36:37], v[28:29], v[164:165]
	v_add_f64 v[38:39], v[34:35], v[36:37]
	ds_read_b128 v[34:37], v1 offset:1488
	s_waitcnt lgkmcnt(1)
	v_mul_f64 v[40:41], v[30:31], v[132:133]
	v_fmac_f64_e32 v[40:41], v[32:33], v[134:135]
	v_add_f64 v[42:43], v[38:39], v[40:41]
	ds_read_b128 v[38:41], v1 offset:1504
	s_waitcnt vmcnt(34) lgkmcnt(1)
	v_mul_f64 v[44:45], v[34:35], v[168:169]
	s_waitcnt vmcnt(32)
	v_fmac_f64_e32 v[44:45], v[36:37], v[172:173]
	v_add_f64 v[46:47], v[42:43], v[44:45]
	ds_read_b128 v[42:45], v1 offset:1520
	s_waitcnt lgkmcnt(1)
	v_mul_f64 v[48:49], v[38:39], v[138:139]
	v_fmac_f64_e32 v[48:49], v[40:41], v[142:143]
	v_add_f64 v[50:51], v[46:47], v[48:49]
	ds_read_b128 v[46:49], v1 offset:1536
	s_waitcnt vmcnt(26) lgkmcnt(1)
	v_mul_f64 v[52:53], v[42:43], v[176:177]
	s_waitcnt vmcnt(24)
	v_fmac_f64_e32 v[52:53], v[44:45], v[178:179]
	v_add_f64 v[234:235], v[50:51], v[52:53]
	ds_read_b128 v[50:53], v1 offset:1552
	buffer_load_dword v13, off, s[0:3], 0 offset:764
	buffer_load_dword v12, off, s[0:3], 0 offset:760
	;; [unrolled: 1-line block ×20, first 2 shown]
	v_mul_f64 v[4:5], v[116:117], v[62:63]
	v_fma_f64 v[8:9], v[114:115], v[56:57], -v[4:5]
	v_mul_f64 v[56:57], v[214:215], v[220:221]
	v_fma_f64 v[10:11], v[110:111], v[58:59], -v[60:61]
	v_fma_f64 v[58:59], v[212:213], v[100:101], -v[56:57]
	v_mul_f64 v[56:57], v[218:219], v[68:69]
	v_fma_f64 v[60:61], v[216:217], v[98:99], -v[56:57]
	buffer_load_dword v214, off, s[0:3], 0 offset:840
	buffer_load_dword v216, off, s[0:3], 0 offset:832
	;; [unrolled: 1-line block ×12, first 2 shown]
	s_waitcnt lgkmcnt(1)
	v_mul_f64 v[54:55], v[46:47], v[146:147]
	v_fmac_f64_e32 v[54:55], v[48:49], v[150:151]
	v_add_f64 v[62:63], v[234:235], v[54:55]
	v_mul_f64 v[54:55], v[226:227], v[64:65]
	v_fma_f64 v[98:99], v[224:225], v[66:67], -v[54:55]
	buffer_load_dword v225, off, s[0:3], 0 offset:892
	buffer_load_dword v224, off, s[0:3], 0 offset:888
	;; [unrolled: 1-line block ×4, first 2 shown]
	s_waitcnt vmcnt(54) lgkmcnt(0)
	v_mul_f64 v[64:65], v[50:51], v[180:181]
	ds_read_b128 v[54:57], v1 offset:1568
	s_waitcnt vmcnt(52)
	v_fmac_f64_e32 v[64:65], v[52:53], v[182:183]
	v_add_f64 v[62:63], v[62:63], v[64:65]
	v_mul_f64 v[64:65], v[230:231], v[74:75]
	v_fma_f64 v[100:101], v[228:229], v[94:95], -v[64:65]
	ds_read_b128 v[226:229], v1 offset:1584
	s_waitcnt lgkmcnt(1)
	v_mul_f64 v[64:65], v[54:55], v[154:155]
	v_fmac_f64_e32 v[64:65], v[56:57], v[158:159]
	v_add_f64 v[74:75], v[62:63], v[64:65]
	ds_read_b128 v[62:65], v1 offset:1600
	v_mul_f64 v[66:67], v[238:239], v[70:71]
	s_waitcnt vmcnt(46) lgkmcnt(1)
	v_mul_f64 v[70:71], v[226:227], v[184:185]
	v_fma_f64 v[236:237], v[236:237], v[72:73], -v[66:67]
	ds_read_b128 v[66:69], v1 offset:1616
	s_waitcnt vmcnt(44)
	v_fmac_f64_e32 v[70:71], v[228:229], v[186:187]
	v_add_f64 v[74:75], v[74:75], v[70:71]
	v_mul_f64 v[70:71], v[242:243], v[76:77]
	v_fma_f64 v[6:7], v[240:241], v[88:89], -v[70:71]
	ds_read_b128 v[70:73], v1 offset:1632
	ds_read_b128 v[78:81], v1 offset:1664
	s_waitcnt lgkmcnt(3)
	v_mul_f64 v[94:95], v[62:63], v[162:163]
	v_fmac_f64_e32 v[94:95], v[64:65], v[166:167]
	s_waitcnt vmcnt(38) lgkmcnt(2)
	v_mul_f64 v[76:77], v[66:67], v[188:189]
	v_add_f64 v[74:75], v[74:75], v[94:95]
	s_waitcnt vmcnt(36)
	v_fmac_f64_e32 v[76:77], v[68:69], v[190:191]
	v_add_f64 v[74:75], v[74:75], v[76:77]
	s_waitcnt lgkmcnt(1)
	v_mul_f64 v[76:77], v[70:71], v[170:171]
	v_fmac_f64_e32 v[76:77], v[72:73], v[174:175]
	v_add_f64 v[88:89], v[74:75], v[76:77]
	ds_read_b128 v[74:77], v1 offset:1648
	v_fma_f64 v[4:5], v[82:83], v[118:119], -v[84:85]
	ds_read_b128 v[82:85], v1 offset:1680
	v_mul_f64 v[92:93], v[92:93], v[96:97]
	v_fma_f64 v[2:3], v[90:91], v[102:103], -v[92:93]
	v_mul_f64 v[102:103], v[250:251], v[108:109]
	v_fma_f64 v[250:251], v[248:249], v[232:233], -v[102:103]
	ds_read_b128 v[230:233], v1 offset:1728
	v_mul_f64 v[102:103], v[254:255], v[104:105]
	v_fma_f64 v[252:253], v[252:253], v[106:107], -v[102:103]
	ds_read_b128 v[102:105], v1 offset:1760
	v_add_f64 v[10:11], v[10:11], 0
	v_add_f64 v[8:9], v[10:11], v[8:9]
	;; [unrolled: 1-line block ×4, first 2 shown]
	ds_read_b128 v[90:93], v1 offset:1712
	v_add_f64 v[8:9], v[8:9], v[98:99]
	v_add_f64 v[8:9], v[8:9], v[100:101]
	;; [unrolled: 1-line block ×8, first 2 shown]
	v_mul_f64 v[4:5], v[122:123], v[136:137]
	v_add_f64 v[2:3], v[2:3], v[252:253]
	s_waitcnt vmcnt(25) lgkmcnt(3)
	v_mul_f64 v[96:97], v[82:83], v[202:203]
	v_fma_f64 v[4:5], v[120:121], v[140:141], -v[4:5]
	s_waitcnt vmcnt(23)
	v_fmac_f64_e32 v[96:97], v[84:85], v[208:209]
	v_add_f64 v[2:3], v[2:3], v[4:5]
	v_mul_f64 v[94:95], v[74:75], v[12:13]
	v_fmac_f64_e32 v[94:95], v[76:77], v[128:129]
	v_mul_f64 v[86:87], v[78:79], v[198:199]
	v_add_f64 v[88:89], v[88:89], v[94:95]
	v_fmac_f64_e32 v[86:87], v[80:81], v[200:201]
	v_add_f64 v[94:95], v[88:89], v[86:87]
	ds_read_b128 v[86:89], v1 offset:1696
	v_add_f64 v[94:95], v[94:95], v[96:97]
	s_waitcnt vmcnt(22) lgkmcnt(0)
	v_mul_f64 v[96:97], v[86:87], v[196:197]
	s_waitcnt vmcnt(20)
	v_fmac_f64_e32 v[96:97], v[88:89], v[206:207]
	v_add_f64 v[94:95], v[94:95], v[96:97]
	s_waitcnt vmcnt(18)
	v_mul_f64 v[96:97], v[90:91], v[204:205]
	s_waitcnt vmcnt(16)
	v_fmac_f64_e32 v[96:97], v[92:93], v[210:211]
	v_add_f64 v[108:109], v[94:95], v[96:97]
	ds_read_b128 v[94:97], v1 offset:1744
	s_waitcnt vmcnt(13)
	v_mul_f64 v[106:107], v[230:231], v[214:215]
	s_waitcnt vmcnt(12)
	v_fmac_f64_e32 v[106:107], v[232:233], v[216:217]
	v_add_f64 v[106:107], v[108:109], v[106:107]
	s_waitcnt vmcnt(9) lgkmcnt(0)
	v_mul_f64 v[108:109], v[94:95], v[220:221]
	s_waitcnt vmcnt(7)
	v_fmac_f64_e32 v[108:109], v[96:97], v[222:223]
	v_add_f64 v[106:107], v[106:107], v[108:109]
	s_waitcnt vmcnt(5)
	v_mul_f64 v[108:109], v[102:103], v[212:213]
	s_waitcnt vmcnt(4)
	v_fmac_f64_e32 v[108:109], v[104:105], v[218:219]
	v_add_f64 v[110:111], v[106:107], v[108:109]
	ds_read_b128 v[106:109], v1 offset:1776
	buffer_load_dword v118, off, s[0:3], 0 offset:904
	buffer_load_dword v119, off, s[0:3], 0 offset:908
	buffer_load_dword v238, off, s[0:3], 0 offset:896
	buffer_load_dword v239, off, s[0:3], 0 offset:900
	s_waitcnt vmcnt(6) lgkmcnt(0)
	v_mul_f64 v[112:113], v[106:107], v[224:225]
	s_waitcnt vmcnt(4)
	v_fmac_f64_e32 v[112:113], v[108:109], v[234:235]
	v_add_f64 v[114:115], v[110:111], v[112:113]
	ds_read_b128 v[110:113], v1 offset:1792
	buffer_load_dword v243, off, s[0:3], 0 offset:924
	buffer_load_dword v242, off, s[0:3], 0 offset:920
	buffer_load_dword v245, off, s[0:3], 0 offset:916
	buffer_load_dword v244, off, s[0:3], 0 offset:912
	s_waitcnt vmcnt(6) lgkmcnt(0)
	v_mul_f64 v[116:117], v[110:111], v[118:119]
	s_waitcnt vmcnt(4)
	v_fmac_f64_e32 v[116:117], v[112:113], v[238:239]
	v_add_f64 v[240:241], v[114:115], v[116:117]
	ds_read_b128 v[114:117], v1 offset:1808
	v_accvgpr_read_b32 v0, a172
	v_accvgpr_read_b32 v1, a173
	v_mul_f64 v[4:5], v[194:195], v[0:1]
	v_accvgpr_read_b32 v0, a174
	s_waitcnt vmcnt(2) lgkmcnt(0)
	v_mul_f64 v[248:249], v[114:115], v[242:243]
	s_waitcnt vmcnt(0)
	v_fmac_f64_e32 v[248:249], v[116:117], v[244:245]
	v_add_f64 v[240:241], v[240:241], v[248:249]
	buffer_load_dword v248, off, s[0:3], 0 offset:240
	buffer_load_dword v249, off, s[0:3], 0 offset:244
	;; [unrolled: 1-line block ×4, first 2 shown]
	v_accvgpr_read_b32 v1, a175
	v_fma_f64 v[4:5], v[192:193], v[0:1], -v[4:5]
	v_add_f64 v[2:3], v[2:3], v[4:5]
	v_mul_f64 v[4:5], v[126:127], v[144:145]
	v_accvgpr_read_b32 v0, a176
	v_fma_f64 v[4:5], v[124:125], v[148:149], -v[4:5]
	v_accvgpr_read_b32 v1, a177
	v_add_f64 v[2:3], v[2:3], v[4:5]
	v_mul_f64 v[4:5], v[16:17], v[0:1]
	v_accvgpr_read_b32 v0, a178
	v_accvgpr_read_b32 v1, a179
	v_fma_f64 v[4:5], v[14:15], v[0:1], -v[4:5]
	v_add_f64 v[2:3], v[2:3], v[4:5]
	v_mul_f64 v[4:5], v[20:21], v[152:153]
	v_accvgpr_read_b32 v0, a180
	v_fma_f64 v[4:5], v[18:19], v[156:157], -v[4:5]
	v_accvgpr_read_b32 v1, a181
	v_add_f64 v[2:3], v[2:3], v[4:5]
	v_mul_f64 v[4:5], v[24:25], v[0:1]
	v_fma_f64 v[4:5], v[22:23], v[130:131], -v[4:5]
	v_add_f64 v[2:3], v[2:3], v[4:5]
	v_mul_f64 v[4:5], v[28:29], v[160:161]
	v_fma_f64 v[4:5], v[26:27], v[164:165], -v[4:5]
	;; [unrolled: 3-line block ×24, first 2 shown]
	v_add_f64 v[2:3], v[2:3], v[4:5]
	v_accvgpr_read_b32 v0, a170
	s_waitcnt vmcnt(2)
	v_add_f64 v[2:3], v[248:249], -v[2:3]
	v_cmp_lt_u32_e32 vcc, 13, v0
	s_waitcnt vmcnt(0)
	v_add_f64 v[4:5], v[246:247], -v[240:241]
	buffer_store_dword v3, off, s[0:3], 0 offset:244
	buffer_store_dword v2, off, s[0:3], 0 offset:240
	buffer_store_dword v5, off, s[0:3], 0 offset:252
	buffer_store_dword v4, off, s[0:3], 0 offset:248
	s_and_saveexec_b64 s[4:5], vcc
	s_cbranch_execz .LBB56_329
; %bb.328:
	v_accvgpr_read_b32 v0, a157
	buffer_load_dword v2, v0, s[0:3], 0 offen
	buffer_load_dword v3, v0, s[0:3], 0 offen offset:4
	buffer_load_dword v4, v0, s[0:3], 0 offen offset:8
	;; [unrolled: 1-line block ×3, first 2 shown]
	v_mov_b32_e32 v0, 0
	v_accvgpr_read_b32 v1, a171
	buffer_store_dword v0, off, s[0:3], 0 offset:224
	buffer_store_dword v0, off, s[0:3], 0 offset:228
	;; [unrolled: 1-line block ×4, first 2 shown]
	s_waitcnt vmcnt(4)
	ds_write_b128 v1, v[2:5]
.LBB56_329:
	s_or_b64 exec, exec, s[4:5]
	s_waitcnt lgkmcnt(0)
	; wave barrier
	s_waitcnt lgkmcnt(0)
	buffer_load_dword v50, off, s[0:3], 0 offset:240
	buffer_load_dword v51, off, s[0:3], 0 offset:244
	;; [unrolled: 1-line block ×54, first 2 shown]
	v_mov_b32_e32 v1, 0
	ds_read_b128 v[102:105], v1 offset:1136
	ds_read_b128 v[106:109], v1 offset:1152
	;; [unrolled: 1-line block ×9, first 2 shown]
	v_accvgpr_read_b32 v0, a170
	v_cmp_lt_u32_e32 vcc, 12, v0
	s_waitcnt vmcnt(46) lgkmcnt(7)
	v_mul_f64 v[4:5], v[106:107], v[58:59]
	v_fmac_f64_e32 v[4:5], v[108:109], v[52:53]
	s_waitcnt vmcnt(44) lgkmcnt(6)
	v_mul_f64 v[6:7], v[110:111], v[204:205]
	s_waitcnt vmcnt(42) lgkmcnt(4)
	v_mul_f64 v[10:11], v[208:209], v[62:63]
	s_waitcnt vmcnt(40)
	v_fmac_f64_e32 v[10:11], v[210:211], v[60:61]
	s_waitcnt vmcnt(38)
	v_mul_f64 v[8:9], v[114:115], v[64:65]
	s_waitcnt vmcnt(36) lgkmcnt(2)
	v_mul_f64 v[14:15], v[228:229], v[66:67]
	s_waitcnt vmcnt(34)
	v_fmac_f64_e32 v[14:15], v[230:231], v[70:71]
	s_waitcnt vmcnt(32)
	;; [unrolled: 6-line block ×3, first 2 shown]
	v_fmac_f64_e32 v[8:9], v[116:117], v[80:81]
	s_waitcnt vmcnt(24)
	v_fmac_f64_e32 v[12:13], v[226:227], v[78:79]
	s_waitcnt vmcnt(22)
	;; [unrolled: 2-line block ×3, first 2 shown]
	v_pk_mov_b32 v[18:19], v[2:3], v[2:3] op_sel:[0,1]
	v_mul_f64 v[2:3], v[102:103], v[56:57]
	v_fmac_f64_e32 v[2:3], v[104:105], v[50:51]
	v_add_f64 v[2:3], v[2:3], 0
	v_add_f64 v[2:3], v[2:3], v[4:5]
	buffer_load_dword v5, off, s[0:3], 0 offset:468
	buffer_load_dword v4, off, s[0:3], 0 offset:464
	v_add_f64 v[2:3], v[2:3], v[6:7]
	v_add_f64 v[2:3], v[2:3], v[8:9]
	;; [unrolled: 1-line block ×6, first 2 shown]
	v_accvgpr_write_b32 a173, v19
	v_accvgpr_write_b32 a172, v18
	s_waitcnt vmcnt(0)
	v_pk_mov_b32 v[14:15], v[4:5], v[4:5] op_sel:[0,1]
	buffer_load_dword v55, off, s[0:3], 0 offset:460
	buffer_load_dword v54, off, s[0:3], 0 offset:456
	;; [unrolled: 1-line block ×6, first 2 shown]
	v_accvgpr_write_b32 a175, v15
	v_accvgpr_write_b32 a174, v14
	s_waitcnt vmcnt(0)
	v_pk_mov_b32 v[22:23], v[4:5], v[4:5] op_sel:[0,1]
	buffer_load_dword v5, off, s[0:3], 0 offset:500
	buffer_load_dword v4, off, s[0:3], 0 offset:496
	v_accvgpr_write_b32 a177, v23
	v_accvgpr_write_b32 a176, v22
	s_waitcnt vmcnt(0)
	v_pk_mov_b32 v[24:25], v[4:5], v[4:5] op_sel:[0,1]
	buffer_load_dword v141, off, s[0:3], 0 offset:492
	buffer_load_dword v140, off, s[0:3], 0 offset:488
	;; [unrolled: 1-line block ×52, first 2 shown]
	ds_read_b128 v[240:243], v1 offset:1280
	ds_read_b128 v[244:247], v1 offset:1296
	;; [unrolled: 1-line block ×7, first 2 shown]
	v_accvgpr_write_b32 a179, v25
	v_accvgpr_write_b32 a178, v24
	s_waitcnt lgkmcnt(2)
	v_mul_f64 v[8:9], v[118:119], v[54:55]
	v_fmac_f64_e32 v[8:9], v[120:121], v[200:201]
	s_waitcnt lgkmcnt(1)
	v_mul_f64 v[12:13], v[126:127], v[18:19]
	v_fmac_f64_e32 v[12:13], v[128:129], v[14:15]
	v_mul_f64 v[54:55], v[120:121], v[54:55]
	s_waitcnt vmcnt(46)
	v_pk_mov_b32 v[30:31], v[4:5], v[4:5] op_sel:[0,1]
	v_mul_f64 v[4:5], v[236:237], v[74:75]
	v_fmac_f64_e32 v[4:5], v[238:239], v[84:85]
	v_add_f64 v[2:3], v[2:3], v[4:5]
	v_mul_f64 v[4:5], v[240:241], v[90:91]
	v_fmac_f64_e32 v[4:5], v[242:243], v[92:93]
	v_add_f64 v[2:3], v[2:3], v[4:5]
	v_mul_f64 v[4:5], v[244:245], v[86:87]
	v_fmac_f64_e32 v[4:5], v[246:247], v[88:89]
	v_add_f64 v[2:3], v[2:3], v[4:5]
	v_mul_f64 v[4:5], v[248:249], v[98:99]
	v_fmac_f64_e32 v[4:5], v[250:251], v[100:101]
	v_add_f64 v[2:3], v[2:3], v[4:5]
	v_mul_f64 v[4:5], v[252:253], v[94:95]
	v_fmac_f64_e32 v[4:5], v[254:255], v[96:97]
	v_add_f64 v[6:7], v[2:3], v[4:5]
	v_add_f64 v[10:11], v[6:7], v[8:9]
	v_add_f64 v[14:15], v[10:11], v[12:13]
	ds_read_b128 v[10:13], v1 offset:1392
	s_waitcnt lgkmcnt(1)
	v_mul_f64 v[16:17], v[122:123], v[140:141]
	v_fmac_f64_e32 v[16:17], v[124:125], v[144:145]
	v_add_f64 v[18:19], v[14:15], v[16:17]
	ds_read_b128 v[14:17], v1 offset:1408
	s_waitcnt lgkmcnt(1)
	v_mul_f64 v[20:21], v[10:11], v[22:23]
	v_fmac_f64_e32 v[20:21], v[12:13], v[24:25]
	v_add_f64 v[22:23], v[18:19], v[20:21]
	ds_read_b128 v[18:21], v1 offset:1424
	s_waitcnt vmcnt(42) lgkmcnt(1)
	v_mul_f64 v[24:25], v[14:15], v[148:149]
	s_waitcnt vmcnt(40)
	v_fmac_f64_e32 v[24:25], v[16:17], v[152:153]
	v_add_f64 v[26:27], v[22:23], v[24:25]
	ds_read_b128 v[22:25], v1 offset:1440
	s_waitcnt lgkmcnt(1)
	v_mul_f64 v[28:29], v[18:19], v[30:31]
	v_accvgpr_write_b32 a181, v31
	v_fmac_f64_e32 v[28:29], v[20:21], v[130:131]
	v_accvgpr_write_b32 a180, v30
	v_add_f64 v[30:31], v[26:27], v[28:29]
	ds_read_b128 v[26:29], v1 offset:1456
	s_waitcnt vmcnt(34) lgkmcnt(1)
	v_mul_f64 v[32:33], v[22:23], v[156:157]
	s_waitcnt vmcnt(32)
	v_fmac_f64_e32 v[32:33], v[24:25], v[160:161]
	v_add_f64 v[34:35], v[30:31], v[32:33]
	ds_read_b128 v[30:33], v1 offset:1472
	s_waitcnt lgkmcnt(1)
	v_mul_f64 v[36:37], v[26:27], v[132:133]
	v_fmac_f64_e32 v[36:37], v[28:29], v[134:135]
	v_add_f64 v[38:39], v[34:35], v[36:37]
	ds_read_b128 v[34:37], v1 offset:1488
	s_waitcnt vmcnt(26) lgkmcnt(1)
	v_mul_f64 v[40:41], v[30:31], v[164:165]
	s_waitcnt vmcnt(24)
	v_fmac_f64_e32 v[40:41], v[32:33], v[166:167]
	v_add_f64 v[42:43], v[38:39], v[40:41]
	ds_read_b128 v[38:41], v1 offset:1504
	s_waitcnt lgkmcnt(1)
	v_mul_f64 v[44:45], v[34:35], v[136:137]
	v_fmac_f64_e32 v[44:45], v[36:37], v[138:139]
	v_add_f64 v[46:47], v[42:43], v[44:45]
	ds_read_b128 v[42:45], v1 offset:1520
	buffer_load_dword v181, off, s[0:3], 0 offset:732
	buffer_load_dword v183, off, s[0:3], 0 offset:716
	buffer_load_dword v182, off, s[0:3], 0 offset:712
	buffer_load_dword v187, off, s[0:3], 0 offset:708
	buffer_load_dword v186, off, s[0:3], 0 offset:704
	buffer_load_dword v180, off, s[0:3], 0 offset:728
	buffer_load_dword v185, off, s[0:3], 0 offset:724
	buffer_load_dword v184, off, s[0:3], 0 offset:720
	s_waitcnt vmcnt(26) lgkmcnt(1)
	v_mul_f64 v[48:49], v[38:39], v[168:169]
	s_waitcnt vmcnt(24)
	v_fmac_f64_e32 v[48:49], v[40:41], v[170:171]
	v_add_f64 v[192:193], v[46:47], v[48:49]
	ds_read_b128 v[46:49], v1 offset:1536
	buffer_load_dword v189, off, s[0:3], 0 offset:748
	buffer_load_dword v188, off, s[0:3], 0 offset:744
	;; [unrolled: 1-line block ×4, first 2 shown]
	s_waitcnt lgkmcnt(1)
	v_mul_f64 v[194:195], v[42:43], v[142:143]
	v_fmac_f64_e32 v[194:195], v[44:45], v[146:147]
	v_add_f64 v[2:3], v[192:193], v[194:195]
	buffer_load_dword v193, off, s[0:3], 0 offset:764
	buffer_load_dword v192, off, s[0:3], 0 offset:760
	;; [unrolled: 1-line block ×8, first 2 shown]
	v_mul_f64 v[4:5], v[104:105], v[56:57]
	buffer_load_dword v56, off, s[0:3], 0 offset:792
	buffer_load_dword v202, off, s[0:3], 0 offset:784
	;; [unrolled: 1-line block ×4, first 2 shown]
	v_fma_f64 v[6:7], v[102:103], v[50:51], -v[4:5]
	v_mul_f64 v[50:51], v[108:109], v[58:59]
	v_fma_f64 v[102:103], v[106:107], v[52:53], -v[50:51]
	v_mul_f64 v[50:51], v[112:113], v[204:205]
	v_fma_f64 v[104:105], v[110:111], v[82:83], -v[50:51]
	buffer_load_dword v205, off, s[0:3], 0 offset:812
	buffer_load_dword v204, off, s[0:3], 0 offset:808
	;; [unrolled: 1-line block ×4, first 2 shown]
	v_mul_f64 v[50:51], v[116:117], v[64:65]
	v_fma_f64 v[64:65], v[114:115], v[80:81], -v[50:51]
	v_mul_f64 v[50:51], v[210:211], v[62:63]
	buffer_load_dword v211, off, s[0:3], 0 offset:828
	buffer_load_dword v210, off, s[0:3], 0 offset:824
	;; [unrolled: 1-line block ×4, first 2 shown]
	v_fma_f64 v[62:63], v[208:209], v[60:61], -v[50:51]
	buffer_load_dword v209, off, s[0:3], 0 offset:860
	buffer_load_dword v215, off, s[0:3], 0 offset:844
	;; [unrolled: 1-line block ×12, first 2 shown]
	ds_read_b128 v[50:53], v1 offset:1552
	v_mul_f64 v[60:61], v[226:227], v[76:77]
	v_fma_f64 v[4:5], v[224:225], v[78:79], -v[60:61]
	ds_read_b128 v[224:227], v1 offset:1568
	s_waitcnt vmcnt(54) lgkmcnt(2)
	v_mul_f64 v[58:59], v[46:47], v[172:173]
	s_waitcnt vmcnt(52)
	v_fmac_f64_e32 v[58:59], v[48:49], v[174:175]
	s_waitcnt lgkmcnt(1)
	v_mul_f64 v[8:9], v[50:51], v[150:151]
	v_add_f64 v[2:3], v[2:3], v[58:59]
	v_fmac_f64_e32 v[8:9], v[52:53], v[154:155]
	v_add_f64 v[2:3], v[2:3], v[8:9]
	s_waitcnt vmcnt(46) lgkmcnt(0)
	v_mul_f64 v[8:9], v[224:225], v[176:177]
	s_waitcnt vmcnt(44)
	v_fmac_f64_e32 v[8:9], v[226:227], v[178:179]
	ds_read_b128 v[58:61], v1 offset:1584
	v_add_f64 v[2:3], v[2:3], v[8:9]
	v_mul_f64 v[8:9], v[230:231], v[66:67]
	v_fma_f64 v[8:9], v[228:229], v[70:71], -v[8:9]
	ds_read_b128 v[228:231], v1 offset:1600
	v_mul_f64 v[66:67], v[234:235], v[68:69]
	v_fma_f64 v[232:233], v[232:233], v[72:73], -v[66:67]
	ds_read_b128 v[66:69], v1 offset:1616
	s_waitcnt lgkmcnt(2)
	v_mul_f64 v[70:71], v[58:59], v[158:159]
	v_fmac_f64_e32 v[70:71], v[60:61], v[162:163]
	v_add_f64 v[2:3], v[2:3], v[70:71]
	v_mul_f64 v[74:75], v[238:239], v[74:75]
	v_fma_f64 v[234:235], v[236:237], v[84:85], -v[74:75]
	ds_read_b128 v[74:77], v1 offset:1648
	v_mul_f64 v[78:79], v[242:243], v[90:91]
	v_fma_f64 v[240:241], v[240:241], v[92:93], -v[78:79]
	v_mul_f64 v[86:87], v[246:247], v[86:87]
	v_fma_f64 v[246:247], v[244:245], v[88:89], -v[86:87]
	;; [unrolled: 2-line block ×3, first 2 shown]
	v_add_f64 v[6:7], v[6:7], 0
	v_add_f64 v[6:7], v[6:7], v[102:103]
	;; [unrolled: 1-line block ×3, first 2 shown]
	ds_read_b128 v[78:81], v1 offset:1664
	v_add_f64 v[6:7], v[6:7], v[64:65]
	v_add_f64 v[6:7], v[6:7], v[62:63]
	;; [unrolled: 1-line block ×8, first 2 shown]
	v_accvgpr_read_b32 v6, a172
	v_accvgpr_read_b32 v7, a173
	ds_read_b128 v[86:89], v1 offset:1696
	v_accvgpr_read_b32 v8, a174
	v_mul_f64 v[6:7], v[128:129], v[6:7]
	v_accvgpr_read_b32 v9, a175
	s_waitcnt vmcnt(41) lgkmcnt(4)
	v_mul_f64 v[70:71], v[228:229], v[182:183]
	v_fma_f64 v[6:7], v[126:127], v[8:9], -v[6:7]
	s_waitcnt vmcnt(39)
	v_fmac_f64_e32 v[70:71], v[230:231], v[186:187]
	v_add_f64 v[2:3], v[2:3], v[70:71]
	s_waitcnt vmcnt(38) lgkmcnt(3)
	v_mul_f64 v[70:71], v[66:67], v[180:181]
	s_waitcnt vmcnt(36)
	v_fmac_f64_e32 v[70:71], v[68:69], v[184:185]
	v_add_f64 v[2:3], v[2:3], v[70:71]
	ds_read_b128 v[70:73], v1 offset:1632
	ds_read_b128 v[94:97], v1 offset:1728
	v_accvgpr_read_b32 v8, a178
	v_accvgpr_read_b32 v9, a179
	s_waitcnt vmcnt(34) lgkmcnt(1)
	v_mul_f64 v[82:83], v[70:71], v[188:189]
	s_waitcnt vmcnt(32)
	v_fmac_f64_e32 v[82:83], v[72:73], v[190:191]
	v_add_f64 v[2:3], v[2:3], v[82:83]
	s_waitcnt vmcnt(30)
	v_mul_f64 v[82:83], v[74:75], v[192:193]
	s_waitcnt vmcnt(28)
	v_fmac_f64_e32 v[82:83], v[76:77], v[196:197]
	v_add_f64 v[2:3], v[2:3], v[82:83]
	s_waitcnt vmcnt(26)
	v_mul_f64 v[82:83], v[78:79], v[194:195]
	s_waitcnt vmcnt(24)
	v_fmac_f64_e32 v[82:83], v[80:81], v[198:199]
	v_add_f64 v[2:3], v[2:3], v[82:83]
	ds_read_b128 v[82:85], v1 offset:1680
	s_waitcnt vmcnt(21) lgkmcnt(0)
	v_mul_f64 v[90:91], v[82:83], v[56:57]
	s_waitcnt vmcnt(20)
	v_fmac_f64_e32 v[90:91], v[84:85], v[202:203]
	v_add_f64 v[106:107], v[2:3], v[90:91]
	v_mul_f64 v[90:91], v[250:251], v[98:99]
	v_fma_f64 v[248:249], v[248:249], v[100:101], -v[90:91]
	ds_read_b128 v[90:93], v1 offset:1712
	s_waitcnt vmcnt(18)
	v_mul_f64 v[98:99], v[86:87], v[204:205]
	s_waitcnt vmcnt(16)
	v_fmac_f64_e32 v[98:99], v[88:89], v[206:207]
	v_add_f64 v[98:99], v[106:107], v[98:99]
	v_fma_f64 v[250:251], v[118:119], v[200:201], -v[54:55]
	s_waitcnt vmcnt(14) lgkmcnt(0)
	v_mul_f64 v[100:101], v[90:91], v[210:211]
	s_waitcnt vmcnt(12)
	v_fmac_f64_e32 v[100:101], v[92:93], v[212:213]
	v_add_f64 v[106:107], v[98:99], v[100:101]
	ds_read_b128 v[98:101], v1 offset:1744
	ds_read_b128 v[118:121], v1 offset:1760
	s_waitcnt vmcnt(9)
	v_mul_f64 v[54:55], v[94:95], v[214:215]
	s_waitcnt vmcnt(7)
	v_fmac_f64_e32 v[54:55], v[96:97], v[220:221]
	v_add_f64 v[54:55], v[106:107], v[54:55]
	s_waitcnt vmcnt(6) lgkmcnt(1)
	v_mul_f64 v[106:107], v[98:99], v[208:209]
	s_waitcnt vmcnt(4)
	v_fmac_f64_e32 v[106:107], v[100:101], v[218:219]
	v_add_f64 v[54:55], v[54:55], v[106:107]
	s_waitcnt vmcnt(2) lgkmcnt(0)
	v_mul_f64 v[106:107], v[118:119], v[216:217]
	buffer_load_dword v2, off, s[0:3], 0 offset:888
	s_waitcnt vmcnt(1)
	v_fmac_f64_e32 v[106:107], v[120:121], v[222:223]
	v_add_f64 v[110:111], v[54:55], v[106:107]
	buffer_load_dword v54, off, s[0:3], 0 offset:880
	buffer_load_dword v3, off, s[0:3], 0 offset:892
	;; [unrolled: 1-line block ×3, first 2 shown]
	ds_read_b128 v[106:109], v1 offset:1776
	buffer_load_dword v237, off, s[0:3], 0 offset:908
	buffer_load_dword v236, off, s[0:3], 0 offset:904
	;; [unrolled: 1-line block ×4, first 2 shown]
	v_add_f64 v[4:5], v[4:5], v[248:249]
	v_add_f64 v[252:253], v[4:5], v[252:253]
	;; [unrolled: 1-line block ×4, first 2 shown]
	v_mul_f64 v[6:7], v[124:125], v[140:141]
	v_fma_f64 v[6:7], v[122:123], v[144:145], -v[6:7]
	v_add_f64 v[4:5], v[4:5], v[6:7]
	v_accvgpr_read_b32 v6, a176
	v_accvgpr_read_b32 v7, a177
	v_mul_f64 v[6:7], v[12:13], v[6:7]
	v_fma_f64 v[6:7], v[10:11], v[8:9], -v[6:7]
	v_add_f64 v[4:5], v[4:5], v[6:7]
	v_mul_f64 v[6:7], v[16:17], v[148:149]
	v_fma_f64 v[6:7], v[14:15], v[152:153], -v[6:7]
	v_add_f64 v[4:5], v[4:5], v[6:7]
	v_accvgpr_read_b32 v6, a180
	v_accvgpr_read_b32 v7, a181
	v_mul_f64 v[6:7], v[20:21], v[6:7]
	v_fma_f64 v[6:7], v[18:19], v[130:131], -v[6:7]
	v_add_f64 v[4:5], v[4:5], v[6:7]
	v_mul_f64 v[6:7], v[24:25], v[156:157]
	v_fma_f64 v[6:7], v[22:23], v[160:161], -v[6:7]
	v_add_f64 v[4:5], v[4:5], v[6:7]
	;; [unrolled: 3-line block ×19, first 2 shown]
	v_mul_f64 v[6:7], v[96:97], v[214:215]
	v_fma_f64 v[6:7], v[94:95], v[220:221], -v[6:7]
	s_waitcnt vmcnt(5) lgkmcnt(0)
	v_mul_f64 v[112:113], v[106:107], v[2:3]
	s_waitcnt vmcnt(4)
	v_fmac_f64_e32 v[112:113], v[108:109], v[54:55]
	v_add_f64 v[114:115], v[110:111], v[112:113]
	ds_read_b128 v[110:113], v1 offset:1792
	buffer_load_dword v242, off, s[0:3], 0 offset:920
	buffer_load_dword v243, off, s[0:3], 0 offset:924
	;; [unrolled: 1-line block ×4, first 2 shown]
	v_add_f64 v[4:5], v[4:5], v[6:7]
	v_mul_f64 v[6:7], v[100:101], v[208:209]
	v_fma_f64 v[6:7], v[98:99], v[218:219], -v[6:7]
	s_waitcnt vmcnt(6) lgkmcnt(0)
	v_mul_f64 v[116:117], v[110:111], v[236:237]
	s_waitcnt vmcnt(4)
	v_fmac_f64_e32 v[116:117], v[112:113], v[238:239]
	v_add_f64 v[200:201], v[114:115], v[116:117]
	ds_read_b128 v[114:117], v1 offset:1808
	buffer_load_dword v248, off, s[0:3], 0 offset:224
	buffer_load_dword v249, off, s[0:3], 0 offset:228
	;; [unrolled: 1-line block ×4, first 2 shown]
	v_add_f64 v[4:5], v[4:5], v[6:7]
	v_mul_f64 v[6:7], v[120:121], v[216:217]
	v_fma_f64 v[6:7], v[118:119], v[222:223], -v[6:7]
	v_mul_f64 v[2:3], v[108:109], v[2:3]
	v_add_f64 v[4:5], v[4:5], v[6:7]
	v_fma_f64 v[2:3], v[106:107], v[54:55], -v[2:3]
	v_add_f64 v[2:3], v[4:5], v[2:3]
	v_mul_f64 v[4:5], v[112:113], v[236:237]
	v_fma_f64 v[4:5], v[110:111], v[238:239], -v[4:5]
	v_add_f64 v[2:3], v[2:3], v[4:5]
	s_waitcnt vmcnt(6) lgkmcnt(0)
	v_mul_f64 v[4:5], v[116:117], v[242:243]
	v_mul_f64 v[254:255], v[114:115], v[242:243]
	s_waitcnt vmcnt(4)
	v_fma_f64 v[4:5], v[114:115], v[244:245], -v[4:5]
	v_fmac_f64_e32 v[254:255], v[116:117], v[244:245]
	v_add_f64 v[2:3], v[2:3], v[4:5]
	v_add_f64 v[200:201], v[200:201], v[254:255]
	s_waitcnt vmcnt(2)
	v_add_f64 v[2:3], v[248:249], -v[2:3]
	s_waitcnt vmcnt(0)
	v_add_f64 v[4:5], v[246:247], -v[200:201]
	buffer_store_dword v3, off, s[0:3], 0 offset:228
	buffer_store_dword v2, off, s[0:3], 0 offset:224
	;; [unrolled: 1-line block ×4, first 2 shown]
	s_and_saveexec_b64 s[4:5], vcc
	s_cbranch_execz .LBB56_331
; %bb.330:
	v_accvgpr_read_b32 v0, a158
	buffer_load_dword v2, v0, s[0:3], 0 offen
	buffer_load_dword v3, v0, s[0:3], 0 offen offset:4
	buffer_load_dword v4, v0, s[0:3], 0 offen offset:8
	;; [unrolled: 1-line block ×3, first 2 shown]
	v_accvgpr_read_b32 v0, a171
	buffer_store_dword v1, off, s[0:3], 0 offset:208
	buffer_store_dword v1, off, s[0:3], 0 offset:212
	;; [unrolled: 1-line block ×4, first 2 shown]
	s_waitcnt vmcnt(4)
	ds_write_b128 v0, v[2:5]
.LBB56_331:
	s_or_b64 exec, exec, s[4:5]
	s_waitcnt lgkmcnt(0)
	; wave barrier
	s_waitcnt lgkmcnt(0)
	buffer_load_dword v186, off, s[0:3], 0 offset:224
	buffer_load_dword v187, off, s[0:3], 0 offset:228
	buffer_load_dword v194, off, s[0:3], 0 offset:232
	buffer_load_dword v195, off, s[0:3], 0 offset:236
	buffer_load_dword v196, off, s[0:3], 0 offset:240
	buffer_load_dword v197, off, s[0:3], 0 offset:244
	buffer_load_dword v198, off, s[0:3], 0 offset:248
	buffer_load_dword v199, off, s[0:3], 0 offset:252
	buffer_load_dword v202, off, s[0:3], 0 offset:264
	buffer_load_dword v203, off, s[0:3], 0 offset:268
	buffer_load_dword v213, off, s[0:3], 0 offset:300
	buffer_load_dword v212, off, s[0:3], 0 offset:296
	buffer_load_dword v215, off, s[0:3], 0 offset:292
	buffer_load_dword v214, off, s[0:3], 0 offset:288
	buffer_load_dword v205, off, s[0:3], 0 offset:284
	buffer_load_dword v204, off, s[0:3], 0 offset:280
	buffer_load_dword v105, off, s[0:3], 0 offset:332
	buffer_load_dword v104, off, s[0:3], 0 offset:328
	buffer_load_dword v109, off, s[0:3], 0 offset:324
	buffer_load_dword v108, off, s[0:3], 0 offset:320
	buffer_load_dword v113, off, s[0:3], 0 offset:316
	buffer_load_dword v112, off, s[0:3], 0 offset:312
	buffer_load_dword v107, off, s[0:3], 0 offset:348
	buffer_load_dword v106, off, s[0:3], 0 offset:344
	buffer_load_dword v200, off, s[0:3], 0 offset:256
	buffer_load_dword v201, off, s[0:3], 0 offset:260
	buffer_load_dword v117, off, s[0:3], 0 offset:276
	buffer_load_dword v116, off, s[0:3], 0 offset:272
	buffer_load_dword v115, off, s[0:3], 0 offset:308
	buffer_load_dword v114, off, s[0:3], 0 offset:304
	buffer_load_dword v111, off, s[0:3], 0 offset:340
	buffer_load_dword v110, off, s[0:3], 0 offset:336
	buffer_load_dword v102, off, s[0:3], 0 offset:360
	buffer_load_dword v232, off, s[0:3], 0 offset:352
	buffer_load_dword v233, off, s[0:3], 0 offset:356
	buffer_load_dword v103, off, s[0:3], 0 offset:364
	ds_read_b128 v[82:85], v1 offset:1120
	ds_read_b128 v[78:81], v1 offset:1136
	;; [unrolled: 1-line block ×9, first 2 shown]
	buffer_load_dword v235, off, s[0:3], 0 offset:396
	buffer_load_dword v234, off, s[0:3], 0 offset:392
	;; [unrolled: 1-line block ×19, first 2 shown]
	s_waitcnt vmcnt(51) lgkmcnt(8)
	v_mul_f64 v[2:3], v[82:83], v[194:195]
	v_fmac_f64_e32 v[2:3], v[84:85], v[186:187]
	v_add_f64 v[2:3], v[2:3], 0
	s_waitcnt vmcnt(47) lgkmcnt(7)
	v_mul_f64 v[4:5], v[78:79], v[198:199]
	v_fmac_f64_e32 v[4:5], v[80:81], v[196:197]
	v_add_f64 v[2:3], v[2:3], v[4:5]
	buffer_load_dword v244, off, s[0:3], 0 offset:448
	buffer_load_dword v99, off, s[0:3], 0 offset:444
	;; [unrolled: 1-line block ×7, first 2 shown]
	s_waitcnt vmcnt(52) lgkmcnt(6)
	v_mul_f64 v[6:7], v[74:75], v[202:203]
	s_waitcnt vmcnt(50) lgkmcnt(4)
	v_mul_f64 v[10:11], v[62:63], v[212:213]
	s_waitcnt vmcnt(48)
	v_fmac_f64_e32 v[10:11], v[64:65], v[214:215]
	v_mul_f64 v[80:81], v[80:81], v[198:199]
	s_waitcnt vmcnt(46)
	v_mul_f64 v[8:9], v[70:71], v[204:205]
	v_fma_f64 v[78:79], v[78:79], v[196:197], -v[80:81]
	s_waitcnt vmcnt(44) lgkmcnt(2)
	v_mul_f64 v[14:15], v[54:55], v[104:105]
	v_mul_f64 v[64:65], v[64:65], v[212:213]
	s_waitcnt vmcnt(42)
	v_fmac_f64_e32 v[14:15], v[56:57], v[108:109]
	v_fma_f64 v[212:213], v[62:63], v[214:215], -v[64:65]
	s_waitcnt vmcnt(40)
	v_mul_f64 v[12:13], v[50:51], v[112:113]
	s_waitcnt vmcnt(38) lgkmcnt(1)
	v_mul_f64 v[16:17], v[58:59], v[106:107]
	s_waitcnt vmcnt(36)
	v_fmac_f64_e32 v[6:7], v[76:77], v[200:201]
	v_add_f64 v[2:3], v[2:3], v[6:7]
	s_waitcnt vmcnt(34)
	v_fmac_f64_e32 v[8:9], v[72:73], v[116:117]
	v_add_f64 v[2:3], v[2:3], v[8:9]
	;; [unrolled: 3-line block ×3, first 2 shown]
	v_add_f64 v[2:3], v[2:3], v[12:13]
	s_waitcnt vmcnt(30)
	v_fmac_f64_e32 v[16:17], v[60:61], v[110:111]
	v_add_f64 v[2:3], v[2:3], v[14:15]
	v_add_f64 v[2:3], v[2:3], v[16:17]
	v_mul_f64 v[76:77], v[76:77], v[202:203]
	v_fma_f64 v[80:81], v[74:75], v[200:201], -v[76:77]
	v_mul_f64 v[72:73], v[72:73], v[204:205]
	v_mul_f64 v[52:53], v[52:53], v[112:113]
	v_mul_f64 v[60:61], v[60:61], v[106:107]
	v_fma_f64 v[116:117], v[70:71], v[116:117], -v[72:73]
	s_waitcnt vmcnt(0)
	v_pk_mov_b32 v[18:19], v[4:5], v[4:5] op_sel:[0,1]
	buffer_load_dword v5, off, s[0:3], 0 offset:484
	buffer_load_dword v4, off, s[0:3], 0 offset:480
	v_accvgpr_write_b32 a173, v19
	v_accvgpr_write_b32 a172, v18
	s_waitcnt vmcnt(0)
	v_pk_mov_b32 v[20:21], v[4:5], v[4:5] op_sel:[0,1]
	buffer_load_dword v137, off, s[0:3], 0 offset:476
	buffer_load_dword v136, off, s[0:3], 0 offset:472
	;; [unrolled: 1-line block ×6, first 2 shown]
	v_accvgpr_write_b32 a175, v21
	v_accvgpr_write_b32 a174, v20
	s_waitcnt vmcnt(0)
	v_pk_mov_b32 v[26:27], v[4:5], v[4:5] op_sel:[0,1]
	buffer_load_dword v5, off, s[0:3], 0 offset:516
	buffer_load_dword v4, off, s[0:3], 0 offset:512
	v_accvgpr_write_b32 a177, v27
	v_accvgpr_write_b32 a176, v26
	s_waitcnt vmcnt(0)
	v_pk_mov_b32 v[28:29], v[4:5], v[4:5] op_sel:[0,1]
	buffer_load_dword v145, off, s[0:3], 0 offset:508
	buffer_load_dword v144, off, s[0:3], 0 offset:504
	;; [unrolled: 1-line block ×6, first 2 shown]
	v_accvgpr_write_b32 a179, v29
	v_accvgpr_write_b32 a178, v28
	s_waitcnt vmcnt(0)
	v_pk_mov_b32 v[34:35], v[4:5], v[4:5] op_sel:[0,1]
	buffer_load_dword v255, off, s[0:3], 0 offset:548
	buffer_load_dword v254, off, s[0:3], 0 offset:544
	;; [unrolled: 1-line block ×38, first 2 shown]
	ds_read_b128 v[224:227], v1 offset:1264
	ds_read_b128 v[228:231], v1 offset:1280
	;; [unrolled: 1-line block ×9, first 2 shown]
	v_accvgpr_write_b32 a181, v35
	s_waitcnt lgkmcnt(3)
	v_mul_f64 v[8:9], v[94:95], v[242:243]
	v_fmac_f64_e32 v[8:9], v[96:97], v[244:245]
	s_waitcnt lgkmcnt(2)
	v_mul_f64 v[12:13], v[130:131], v[136:137]
	v_fmac_f64_e32 v[12:13], v[132:133], v[140:141]
	;; [unrolled: 3-line block ×3, first 2 shown]
	v_accvgpr_write_b32 a180, v34
	v_mul_f64 v[70:71], v[226:227], v[238:239]
	v_mul_f64 v[96:97], v[96:97], v[242:243]
	s_waitcnt vmcnt(30)
	v_pk_mov_b32 v[42:43], v[4:5], v[4:5] op_sel:[0,1]
	v_mul_f64 v[4:5], v[66:67], v[102:103]
	v_fmac_f64_e32 v[4:5], v[68:69], v[232:233]
	v_add_f64 v[2:3], v[2:3], v[4:5]
	v_mul_f64 v[4:5], v[224:225], v[238:239]
	v_fmac_f64_e32 v[4:5], v[226:227], v[240:241]
	v_add_f64 v[2:3], v[2:3], v[4:5]
	;; [unrolled: 3-line block ×6, first 2 shown]
	v_add_f64 v[10:11], v[6:7], v[8:9]
	v_add_f64 v[14:15], v[10:11], v[12:13]
	v_add_f64 v[18:19], v[14:15], v[16:17]
	ds_read_b128 v[14:17], v1 offset:1408
	s_waitcnt lgkmcnt(1)
	v_mul_f64 v[20:21], v[122:123], v[144:145]
	v_fmac_f64_e32 v[20:21], v[124:125], v[148:149]
	v_add_f64 v[22:23], v[18:19], v[20:21]
	ds_read_b128 v[18:21], v1 offset:1424
	s_waitcnt lgkmcnt(1)
	v_mul_f64 v[24:25], v[14:15], v[26:27]
	v_fmac_f64_e32 v[24:25], v[16:17], v[28:29]
	v_add_f64 v[26:27], v[22:23], v[24:25]
	;; [unrolled: 5-line block ×4, first 2 shown]
	ds_read_b128 v[30:33], v1 offset:1472
	s_waitcnt vmcnt(26) lgkmcnt(1)
	v_mul_f64 v[36:37], v[26:27], v[160:161]
	s_waitcnt vmcnt(24)
	v_fmac_f64_e32 v[36:37], v[28:29], v[162:163]
	v_add_f64 v[38:39], v[34:35], v[36:37]
	ds_read_b128 v[34:37], v1 offset:1488
	s_waitcnt lgkmcnt(1)
	v_mul_f64 v[40:41], v[30:31], v[42:43]
	v_accvgpr_write_b32 a183, v43
	v_fmac_f64_e32 v[40:41], v[32:33], v[134:135]
	v_accvgpr_write_b32 a182, v42
	v_add_f64 v[42:43], v[38:39], v[40:41]
	ds_read_b128 v[38:41], v1 offset:1504
	s_waitcnt vmcnt(18) lgkmcnt(1)
	v_mul_f64 v[44:45], v[34:35], v[164:165]
	s_waitcnt vmcnt(16)
	v_fmac_f64_e32 v[44:45], v[36:37], v[166:167]
	v_add_f64 v[46:47], v[42:43], v[44:45]
	ds_read_b128 v[42:45], v1 offset:1520
	buffer_load_dword v177, off, s[0:3], 0 offset:700
	buffer_load_dword v176, off, s[0:3], 0 offset:696
	;; [unrolled: 1-line block ×4, first 2 shown]
	s_waitcnt lgkmcnt(1)
	v_mul_f64 v[48:49], v[38:39], v[138:139]
	v_fmac_f64_e32 v[48:49], v[40:41], v[142:143]
	v_add_f64 v[180:181], v[46:47], v[48:49]
	ds_read_b128 v[46:49], v1 offset:1536
	buffer_load_dword v183, off, s[0:3], 0 offset:716
	buffer_load_dword v182, off, s[0:3], 0 offset:712
	;; [unrolled: 1-line block ×4, first 2 shown]
	s_waitcnt vmcnt(18) lgkmcnt(1)
	v_mul_f64 v[188:189], v[42:43], v[168:169]
	s_waitcnt vmcnt(16)
	v_fmac_f64_e32 v[188:189], v[44:45], v[170:171]
	v_add_f64 v[2:3], v[180:181], v[188:189]
	buffer_load_dword v181, off, s[0:3], 0 offset:748
	buffer_load_dword v189, off, s[0:3], 0 offset:732
	;; [unrolled: 1-line block ×8, first 2 shown]
	v_mul_f64 v[4:5], v[84:85], v[194:195]
	v_fma_f64 v[10:11], v[82:83], v[186:187], -v[4:5]
	buffer_load_dword v186, off, s[0:3], 0 offset:776
	buffer_load_dword v195, off, s[0:3], 0 offset:764
	;; [unrolled: 1-line block ×20, first 2 shown]
	s_waitcnt lgkmcnt(0)
	v_mul_f64 v[8:9], v[46:47], v[146:147]
	v_fmac_f64_e32 v[8:9], v[48:49], v[150:151]
	v_fma_f64 v[6:7], v[50:51], v[114:115], -v[52:53]
	buffer_load_dword v215, off, s[0:3], 0 offset:844
	buffer_load_dword v214, off, s[0:3], 0 offset:840
	buffer_load_dword v217, off, s[0:3], 0 offset:836
	buffer_load_dword v216, off, s[0:3], 0 offset:832
	buffer_load_dword v114, off, s[0:3], 0 offset:872
	buffer_load_dword v221, off, s[0:3], 0 offset:860
	buffer_load_dword v220, off, s[0:3], 0 offset:856
	buffer_load_dword v223, off, s[0:3], 0 offset:852
	buffer_load_dword v222, off, s[0:3], 0 offset:848
	buffer_load_dword v218, off, s[0:3], 0 offset:864
	buffer_load_dword v115, off, s[0:3], 0 offset:876
	buffer_load_dword v219, off, s[0:3], 0 offset:868
	v_add_f64 v[2:3], v[2:3], v[8:9]
	ds_read_b128 v[50:53], v1 offset:1552
	v_mul_f64 v[8:9], v[56:57], v[104:105]
	v_fma_f64 v[8:9], v[54:55], v[108:109], -v[8:9]
	ds_read_b128 v[54:57], v1 offset:1568
	v_fma_f64 v[4:5], v[58:59], v[110:111], -v[60:61]
	ds_read_b128 v[58:61], v1 offset:1584
	s_waitcnt vmcnt(50) lgkmcnt(2)
	v_mul_f64 v[62:63], v[50:51], v[172:173]
	s_waitcnt vmcnt(48)
	v_fmac_f64_e32 v[62:63], v[52:53], v[174:175]
	s_waitcnt lgkmcnt(1)
	v_mul_f64 v[12:13], v[54:55], v[154:155]
	v_add_f64 v[2:3], v[2:3], v[62:63]
	ds_read_b128 v[62:65], v1 offset:1600
	v_fmac_f64_e32 v[12:13], v[56:57], v[158:159]
	v_add_f64 v[2:3], v[2:3], v[12:13]
	v_fma_f64 v[240:241], v[224:225], v[240:241], -v[70:71]
	v_mul_f64 v[82:83], v[230:231], v[234:235]
	v_mul_f64 v[88:89], v[88:89], v[246:247]
	v_fma_f64 v[246:247], v[86:87], v[248:249], -v[88:89]
	ds_read_b128 v[86:89], v1 offset:1712
	v_mul_f64 v[92:93], v[92:93], v[98:99]
	v_add_f64 v[10:11], v[10:11], 0
	v_add_f64 v[10:11], v[10:11], v[78:79]
	;; [unrolled: 1-line block ×8, first 2 shown]
	v_mul_f64 v[6:7], v[132:133], v[136:137]
	v_fma_f64 v[6:7], v[130:131], v[140:141], -v[6:7]
	ds_read_b128 v[70:73], v1 offset:1632
	ds_read_b128 v[224:227], v1 offset:1696
	s_waitcnt vmcnt(46) lgkmcnt(4)
	v_mul_f64 v[12:13], v[58:59], v[176:177]
	s_waitcnt vmcnt(44)
	v_fmac_f64_e32 v[12:13], v[60:61], v[178:179]
	v_add_f64 v[2:3], v[2:3], v[12:13]
	v_mul_f64 v[12:13], v[68:69], v[102:103]
	v_fma_f64 v[12:13], v[66:67], v[232:233], -v[12:13]
	ds_read_b128 v[66:69], v1 offset:1616
	s_waitcnt vmcnt(42) lgkmcnt(4)
	v_mul_f64 v[74:75], v[62:63], v[182:183]
	s_waitcnt vmcnt(40)
	v_fmac_f64_e32 v[74:75], v[64:65], v[184:185]
	v_add_f64 v[2:3], v[2:3], v[74:75]
	v_fma_f64 v[232:233], v[228:229], v[236:237], -v[82:83]
	s_waitcnt vmcnt(37) lgkmcnt(0)
	v_mul_f64 v[74:75], v[66:67], v[188:189]
	s_waitcnt vmcnt(35)
	v_fmac_f64_e32 v[74:75], v[68:69], v[192:193]
	v_add_f64 v[2:3], v[2:3], v[74:75]
	s_waitcnt vmcnt(34)
	v_mul_f64 v[74:75], v[70:71], v[180:181]
	s_waitcnt vmcnt(32)
	v_fmac_f64_e32 v[74:75], v[72:73], v[190:191]
	v_add_f64 v[2:3], v[2:3], v[74:75]
	ds_read_b128 v[74:77], v1 offset:1648
	ds_read_b128 v[228:231], v1 offset:1664
	v_add_f64 v[4:5], v[4:5], v[12:13]
	v_add_f64 v[4:5], v[4:5], v[240:241]
	;; [unrolled: 1-line block ×3, first 2 shown]
	s_waitcnt vmcnt(29) lgkmcnt(1)
	v_mul_f64 v[82:83], v[74:75], v[194:195]
	s_waitcnt vmcnt(27)
	v_fmac_f64_e32 v[82:83], v[76:77], v[198:199]
	v_add_f64 v[2:3], v[2:3], v[82:83]
	v_mul_f64 v[82:83], v[120:121], v[250:251]
	v_fma_f64 v[118:119], v[118:119], v[252:253], -v[82:83]
	ds_read_b128 v[82:85], v1 offset:1680
	s_waitcnt vmcnt(25) lgkmcnt(1)
	v_mul_f64 v[102:103], v[228:229], v[186:187]
	s_waitcnt vmcnt(24)
	v_fmac_f64_e32 v[102:103], v[230:231], v[196:197]
	v_add_f64 v[2:3], v[2:3], v[102:103]
	v_fma_f64 v[250:251], v[90:91], v[100:101], -v[92:93]
	s_waitcnt vmcnt(21) lgkmcnt(0)
	v_mul_f64 v[102:103], v[82:83], v[202:203]
	s_waitcnt vmcnt(19)
	v_fmac_f64_e32 v[102:103], v[84:85], v[208:209]
	v_add_f64 v[2:3], v[2:3], v[102:103]
	s_waitcnt vmcnt(18)
	v_mul_f64 v[102:103], v[224:225], v[200:201]
	s_waitcnt vmcnt(16)
	v_fmac_f64_e32 v[102:103], v[226:227], v[206:207]
	v_add_f64 v[2:3], v[2:3], v[102:103]
	ds_read_b128 v[98:101], v1 offset:1728
	s_waitcnt vmcnt(14)
	v_mul_f64 v[102:103], v[86:87], v[204:205]
	s_waitcnt vmcnt(12)
	v_fmac_f64_e32 v[102:103], v[88:89], v[210:211]
	v_add_f64 v[2:3], v[2:3], v[102:103]
	ds_read_b128 v[90:93], v1 offset:1744
	ds_read_b128 v[102:105], v1 offset:1760
	buffer_load_dword v121, off, s[0:3], 0 offset:892
	buffer_load_dword v120, off, s[0:3], 0 offset:888
	;; [unrolled: 1-line block ×4, first 2 shown]
	ds_read_b128 v[106:109], v1 offset:1776
	buffer_load_dword v236, off, s[0:3], 0 offset:904
	buffer_load_dword v237, off, s[0:3], 0 offset:908
	;; [unrolled: 1-line block ×4, first 2 shown]
	v_fma_f64 v[252:253], v[94:95], v[244:245], -v[96:97]
	ds_read_b128 v[110:113], v1 offset:1792
	buffer_load_dword v243, off, s[0:3], 0 offset:924
	buffer_load_dword v242, off, s[0:3], 0 offset:920
	;; [unrolled: 1-line block ×4, first 2 shown]
	s_waitcnt vmcnt(22) lgkmcnt(4)
	v_mul_f64 v[94:95], v[98:99], v[214:215]
	s_waitcnt vmcnt(20)
	v_fmac_f64_e32 v[94:95], v[100:101], v[216:217]
	v_add_f64 v[2:3], v[2:3], v[94:95]
	s_waitcnt vmcnt(17) lgkmcnt(3)
	v_mul_f64 v[94:95], v[90:91], v[220:221]
	s_waitcnt vmcnt(15)
	v_fmac_f64_e32 v[94:95], v[92:93], v[222:223]
	v_add_f64 v[2:3], v[2:3], v[94:95]
	;; [unrolled: 5-line block ×3, first 2 shown]
	v_add_f64 v[4:5], v[4:5], v[118:119]
	v_add_f64 v[118:119], v[4:5], v[246:247]
	;; [unrolled: 1-line block ×5, first 2 shown]
	s_waitcnt vmcnt(10) lgkmcnt(1)
	v_mul_f64 v[94:95], v[106:107], v[120:121]
	s_waitcnt vmcnt(8)
	v_fmac_f64_e32 v[94:95], v[108:109], v[234:235]
	v_add_f64 v[2:3], v[2:3], v[94:95]
	s_waitcnt vmcnt(6) lgkmcnt(0)
	v_mul_f64 v[94:95], v[110:111], v[236:237]
	s_waitcnt vmcnt(4)
	v_fmac_f64_e32 v[94:95], v[112:113], v[238:239]
	v_add_f64 v[2:3], v[2:3], v[94:95]
	ds_read_b128 v[94:97], v1 offset:1808
	v_accvgpr_read_b32 v0, a172
	v_accvgpr_read_b32 v1, a173
	v_mul_f64 v[6:7], v[128:129], v[0:1]
	v_accvgpr_read_b32 v0, a174
	s_waitcnt vmcnt(2) lgkmcnt(0)
	v_mul_f64 v[248:249], v[94:95], v[242:243]
	s_waitcnt vmcnt(0)
	v_fmac_f64_e32 v[248:249], v[96:97], v[244:245]
	v_add_f64 v[2:3], v[2:3], v[248:249]
	buffer_load_dword v248, off, s[0:3], 0 offset:208
	buffer_load_dword v249, off, s[0:3], 0 offset:212
	;; [unrolled: 1-line block ×4, first 2 shown]
	v_accvgpr_read_b32 v1, a175
	v_fma_f64 v[6:7], v[126:127], v[0:1], -v[6:7]
	v_add_f64 v[4:5], v[4:5], v[6:7]
	v_mul_f64 v[6:7], v[124:125], v[144:145]
	v_accvgpr_read_b32 v0, a176
	v_fma_f64 v[6:7], v[122:123], v[148:149], -v[6:7]
	v_accvgpr_read_b32 v1, a177
	v_add_f64 v[4:5], v[4:5], v[6:7]
	v_mul_f64 v[6:7], v[16:17], v[0:1]
	v_accvgpr_read_b32 v0, a178
	v_accvgpr_read_b32 v1, a179
	v_fma_f64 v[6:7], v[14:15], v[0:1], -v[6:7]
	v_add_f64 v[4:5], v[4:5], v[6:7]
	v_mul_f64 v[6:7], v[20:21], v[152:153]
	v_accvgpr_read_b32 v0, a180
	v_fma_f64 v[6:7], v[18:19], v[156:157], -v[6:7]
	v_accvgpr_read_b32 v1, a181
	v_add_f64 v[4:5], v[4:5], v[6:7]
	v_mul_f64 v[6:7], v[24:25], v[0:1]
	v_fma_f64 v[6:7], v[22:23], v[254:255], -v[6:7]
	v_add_f64 v[4:5], v[4:5], v[6:7]
	v_mul_f64 v[6:7], v[28:29], v[160:161]
	v_accvgpr_read_b32 v0, a182
	v_fma_f64 v[6:7], v[26:27], v[162:163], -v[6:7]
	v_accvgpr_read_b32 v1, a183
	v_add_f64 v[4:5], v[4:5], v[6:7]
	v_mul_f64 v[6:7], v[32:33], v[0:1]
	v_fma_f64 v[6:7], v[30:31], v[134:135], -v[6:7]
	v_add_f64 v[4:5], v[4:5], v[6:7]
	v_mul_f64 v[6:7], v[36:37], v[164:165]
	v_fma_f64 v[6:7], v[34:35], v[166:167], -v[6:7]
	;; [unrolled: 3-line block ×22, first 2 shown]
	v_add_f64 v[4:5], v[4:5], v[6:7]
	v_accvgpr_read_b32 v0, a170
	s_waitcnt vmcnt(2)
	v_add_f64 v[4:5], v[248:249], -v[4:5]
	v_cmp_lt_u32_e32 vcc, 11, v0
	s_waitcnt vmcnt(0)
	v_add_f64 v[2:3], v[246:247], -v[2:3]
	buffer_store_dword v5, off, s[0:3], 0 offset:212
	buffer_store_dword v4, off, s[0:3], 0 offset:208
	;; [unrolled: 1-line block ×4, first 2 shown]
	s_and_saveexec_b64 s[4:5], vcc
	s_cbranch_execz .LBB56_333
; %bb.332:
	v_accvgpr_read_b32 v0, a159
	buffer_load_dword v2, v0, s[0:3], 0 offen
	buffer_load_dword v3, v0, s[0:3], 0 offen offset:4
	buffer_load_dword v4, v0, s[0:3], 0 offen offset:8
	;; [unrolled: 1-line block ×3, first 2 shown]
	v_mov_b32_e32 v0, 0
	v_accvgpr_read_b32 v1, a171
	buffer_store_dword v0, off, s[0:3], 0 offset:192
	buffer_store_dword v0, off, s[0:3], 0 offset:196
	;; [unrolled: 1-line block ×4, first 2 shown]
	s_waitcnt vmcnt(4)
	ds_write_b128 v1, v[2:5]
.LBB56_333:
	s_or_b64 exec, exec, s[4:5]
	s_waitcnt lgkmcnt(0)
	; wave barrier
	s_waitcnt lgkmcnt(0)
	buffer_load_dword v56, off, s[0:3], 0 offset:208
	buffer_load_dword v57, off, s[0:3], 0 offset:212
	;; [unrolled: 1-line block ×36, first 2 shown]
	v_mov_b32_e32 v1, 0
	buffer_load_dword v87, off, s[0:3], 0 offset:380
	buffer_load_dword v86, off, s[0:3], 0 offset:376
	;; [unrolled: 1-line block ×18, first 2 shown]
	ds_read_b128 v[110:113], v1 offset:1104
	ds_read_b128 v[114:117], v1 offset:1120
	;; [unrolled: 1-line block ×9, first 2 shown]
	v_accvgpr_read_b32 v0, a170
	v_cmp_lt_u32_e32 vcc, 10, v0
	s_waitcnt vmcnt(50) lgkmcnt(8)
	v_mul_f64 v[2:3], v[110:111], v[182:183]
	v_fmac_f64_e32 v[2:3], v[112:113], v[56:57]
	v_add_f64 v[2:3], v[2:3], 0
	s_waitcnt vmcnt(46) lgkmcnt(7)
	v_mul_f64 v[4:5], v[114:115], v[54:55]
	v_fmac_f64_e32 v[4:5], v[116:117], v[52:53]
	v_add_f64 v[2:3], v[2:3], v[4:5]
	buffer_load_dword v105, off, s[0:3], 0 offset:436
	buffer_load_dword v104, off, s[0:3], 0 offset:432
	;; [unrolled: 1-line block ×8, first 2 shown]
	s_waitcnt vmcnt(52) lgkmcnt(6)
	v_mul_f64 v[6:7], v[196:197], v[50:51]
	s_waitcnt vmcnt(50) lgkmcnt(4)
	v_mul_f64 v[10:11], v[204:205], v[60:61]
	s_waitcnt vmcnt(48)
	v_fmac_f64_e32 v[10:11], v[206:207], v[62:63]
	v_mul_f64 v[50:51], v[198:199], v[50:51]
	s_waitcnt vmcnt(46)
	v_mul_f64 v[8:9], v[200:201], v[64:65]
	v_mul_f64 v[54:55], v[116:117], v[54:55]
	s_waitcnt vmcnt(44) lgkmcnt(2)
	v_mul_f64 v[14:15], v[214:215], v[74:75]
	v_fma_f64 v[212:213], v[114:115], v[52:53], -v[54:55]
	s_waitcnt vmcnt(42)
	v_fmac_f64_e32 v[14:15], v[216:217], v[72:73]
	s_waitcnt vmcnt(40)
	v_mul_f64 v[12:13], v[208:209], v[76:77]
	v_mul_f64 v[54:55], v[210:211], v[76:77]
	s_waitcnt vmcnt(38) lgkmcnt(1)
	v_mul_f64 v[16:17], v[220:221], v[68:69]
	s_waitcnt vmcnt(36)
	v_fmac_f64_e32 v[6:7], v[198:199], v[82:83]
	v_add_f64 v[2:3], v[2:3], v[6:7]
	s_waitcnt vmcnt(34)
	v_fmac_f64_e32 v[8:9], v[202:203], v[80:81]
	v_add_f64 v[2:3], v[2:3], v[8:9]
	;; [unrolled: 3-line block ×3, first 2 shown]
	v_add_f64 v[2:3], v[2:3], v[12:13]
	v_add_f64 v[2:3], v[2:3], v[14:15]
	s_waitcnt vmcnt(30)
	v_fmac_f64_e32 v[16:17], v[222:223], v[70:71]
	v_add_f64 v[2:3], v[2:3], v[16:17]
	v_fma_f64 v[82:83], v[196:197], v[82:83], -v[50:51]
	v_mul_f64 v[50:51], v[202:203], v[64:65]
	s_waitcnt vmcnt(0)
	v_pk_mov_b32 v[14:15], v[4:5], v[4:5] op_sel:[0,1]
	buffer_load_dword v5, off, s[0:3], 0 offset:468
	buffer_load_dword v4, off, s[0:3], 0 offset:464
	v_accvgpr_write_b32 a173, v15
	v_accvgpr_write_b32 a172, v14
	s_waitcnt vmcnt(0)
	v_pk_mov_b32 v[18:19], v[4:5], v[4:5] op_sel:[0,1]
	buffer_load_dword v107, off, s[0:3], 0 offset:460
	buffer_load_dword v106, off, s[0:3], 0 offset:456
	buffer_load_dword v109, off, s[0:3], 0 offset:452
	buffer_load_dword v108, off, s[0:3], 0 offset:448
	buffer_load_dword v5, off, s[0:3], 0 offset:508
	buffer_load_dword v4, off, s[0:3], 0 offset:504
	v_accvgpr_write_b32 a175, v19
	v_accvgpr_write_b32 a174, v18
	s_waitcnt vmcnt(0)
	v_pk_mov_b32 v[22:23], v[4:5], v[4:5] op_sel:[0,1]
	buffer_load_dword v5, off, s[0:3], 0 offset:500
	buffer_load_dword v4, off, s[0:3], 0 offset:496
	v_accvgpr_write_b32 a177, v23
	v_accvgpr_write_b32 a176, v22
	s_waitcnt vmcnt(0)
	v_pk_mov_b32 v[24:25], v[4:5], v[4:5] op_sel:[0,1]
	buffer_load_dword v141, off, s[0:3], 0 offset:492
	buffer_load_dword v140, off, s[0:3], 0 offset:488
	buffer_load_dword v145, off, s[0:3], 0 offset:484
	buffer_load_dword v144, off, s[0:3], 0 offset:480
	buffer_load_dword v5, off, s[0:3], 0 offset:540
	buffer_load_dword v4, off, s[0:3], 0 offset:536
	v_accvgpr_write_b32 a179, v25
	v_accvgpr_write_b32 a178, v24
	;; [unrolled: 16-line block ×3, first 2 shown]
	s_waitcnt vmcnt(0)
	v_pk_mov_b32 v[38:39], v[4:5], v[4:5] op_sel:[0,1]
	buffer_load_dword v5, off, s[0:3], 0 offset:564
	buffer_load_dword v4, off, s[0:3], 0 offset:560
	;; [unrolled: 1-line block ×30, first 2 shown]
	ds_read_b128 v[228:231], v1 offset:1248
	ds_read_b128 v[232:235], v1 offset:1264
	;; [unrolled: 1-line block ×11, first 2 shown]
	s_waitcnt lgkmcnt(4)
	v_mul_f64 v[8:9], v[252:253], v[106:107]
	v_fmac_f64_e32 v[8:9], v[254:255], v[108:109]
	s_waitcnt lgkmcnt(3)
	v_mul_f64 v[12:13], v[132:133], v[14:15]
	v_fmac_f64_e32 v[12:13], v[134:135], v[18:19]
	;; [unrolled: 3-line block ×4, first 2 shown]
	v_accvgpr_write_b32 a185, v39
	v_accvgpr_write_b32 a184, v38
	s_waitcnt vmcnt(28)
	v_pk_mov_b32 v[40:41], v[4:5], v[4:5] op_sel:[0,1]
	v_mul_f64 v[4:5], v[224:225], v[66:67]
	v_fmac_f64_e32 v[4:5], v[226:227], v[84:85]
	v_add_f64 v[2:3], v[2:3], v[4:5]
	v_mul_f64 v[4:5], v[228:229], v[90:91]
	v_fmac_f64_e32 v[4:5], v[230:231], v[92:93]
	v_add_f64 v[2:3], v[2:3], v[4:5]
	;; [unrolled: 3-line block ×7, first 2 shown]
	v_add_f64 v[10:11], v[6:7], v[8:9]
	v_add_f64 v[14:15], v[10:11], v[12:13]
	;; [unrolled: 1-line block ×4, first 2 shown]
	ds_read_b128 v[18:21], v1 offset:1424
	s_waitcnt lgkmcnt(1)
	v_mul_f64 v[24:25], v[120:121], v[148:149]
	v_fmac_f64_e32 v[24:25], v[122:123], v[152:153]
	v_add_f64 v[26:27], v[22:23], v[24:25]
	ds_read_b128 v[22:25], v1 offset:1440
	s_waitcnt lgkmcnt(1)
	v_mul_f64 v[28:29], v[18:19], v[30:31]
	v_fmac_f64_e32 v[28:29], v[20:21], v[32:33]
	v_add_f64 v[30:31], v[26:27], v[28:29]
	ds_read_b128 v[26:29], v1 offset:1456
	s_waitcnt vmcnt(26) lgkmcnt(1)
	v_mul_f64 v[32:33], v[22:23], v[156:157]
	s_waitcnt vmcnt(24)
	v_fmac_f64_e32 v[32:33], v[24:25], v[158:159]
	v_add_f64 v[34:35], v[30:31], v[32:33]
	ds_read_b128 v[30:33], v1 offset:1472
	s_waitcnt lgkmcnt(1)
	v_mul_f64 v[36:37], v[26:27], v[38:39]
	v_fmac_f64_e32 v[36:37], v[28:29], v[40:41]
	v_accvgpr_write_b32 a187, v41
	v_accvgpr_write_b32 a186, v40
	v_add_f64 v[38:39], v[34:35], v[36:37]
	ds_read_b128 v[34:37], v1 offset:1488
	s_waitcnt vmcnt(18) lgkmcnt(1)
	v_mul_f64 v[40:41], v[30:31], v[160:161]
	s_waitcnt vmcnt(16)
	v_fmac_f64_e32 v[40:41], v[32:33], v[162:163]
	v_add_f64 v[42:43], v[38:39], v[40:41]
	ds_read_b128 v[38:41], v1 offset:1504
	s_waitcnt lgkmcnt(1)
	v_mul_f64 v[44:45], v[34:35], v[136:137]
	v_fmac_f64_e32 v[44:45], v[36:37], v[138:139]
	v_add_f64 v[46:47], v[42:43], v[44:45]
	ds_read_b128 v[42:45], v1 offset:1520
	s_waitcnt vmcnt(10) lgkmcnt(1)
	v_mul_f64 v[48:49], v[38:39], v[164:165]
	s_waitcnt vmcnt(8)
	v_fmac_f64_e32 v[48:49], v[40:41], v[166:167]
	v_add_f64 v[174:175], v[46:47], v[48:49]
	ds_read_b128 v[46:49], v1 offset:1536
	buffer_load_dword v173, off, s[0:3], 0 offset:684
	buffer_load_dword v172, off, s[0:3], 0 offset:680
	;; [unrolled: 1-line block ×4, first 2 shown]
	s_waitcnt lgkmcnt(1)
	v_mul_f64 v[178:179], v[42:43], v[142:143]
	v_fmac_f64_e32 v[178:179], v[44:45], v[146:147]
	v_add_f64 v[2:3], v[174:175], v[178:179]
	buffer_load_dword v179, off, s[0:3], 0 offset:700
	buffer_load_dword v178, off, s[0:3], 0 offset:696
	;; [unrolled: 1-line block ×5, first 2 shown]
	v_mul_f64 v[4:5], v[112:113], v[182:183]
	buffer_load_dword v185, off, s[0:3], 0 offset:716
	buffer_load_dword v184, off, s[0:3], 0 offset:712
	;; [unrolled: 1-line block ×19, first 2 shown]
	v_mul_f64 v[8:9], v[206:207], v[60:61]
	v_fma_f64 v[10:11], v[200:201], v[80:81], -v[50:51]
	v_fma_f64 v[8:9], v[204:205], v[62:63], -v[8:9]
	buffer_load_dword v201, off, s[0:3], 0 offset:796
	buffer_load_dword v200, off, s[0:3], 0 offset:792
	;; [unrolled: 1-line block ×8, first 2 shown]
	ds_read_b128 v[50:53], v1 offset:1552
	buffer_load_dword v211, off, s[0:3], 0 offset:828
	buffer_load_dword v210, off, s[0:3], 0 offset:824
	;; [unrolled: 1-line block ×4, first 2 shown]
	v_mul_f64 v[12:13], v[216:217], v[74:75]
	v_fma_f64 v[6:7], v[208:209], v[78:79], -v[54:55]
	v_fma_f64 v[12:13], v[214:215], v[72:73], -v[12:13]
	buffer_load_dword v208, off, s[0:3], 0 offset:856
	buffer_load_dword v217, off, s[0:3], 0 offset:844
	;; [unrolled: 1-line block ×8, first 2 shown]
	v_fma_f64 v[14:15], v[110:111], v[56:57], -v[4:5]
	v_mul_f64 v[56:57], v[222:223], v[68:69]
	v_fma_f64 v[4:5], v[220:221], v[70:71], -v[56:57]
	buffer_load_dword v221, off, s[0:3], 0 offset:876
	buffer_load_dword v220, off, s[0:3], 0 offset:872
	;; [unrolled: 1-line block ×4, first 2 shown]
	s_waitcnt vmcnt(54) lgkmcnt(1)
	v_mul_f64 v[54:55], v[46:47], v[168:169]
	s_waitcnt vmcnt(52)
	v_fmac_f64_e32 v[54:55], v[48:49], v[170:171]
	v_add_f64 v[2:3], v[2:3], v[54:55]
	ds_read_b128 v[54:57], v1 offset:1568
	s_waitcnt lgkmcnt(1)
	v_mul_f64 v[16:17], v[50:51], v[150:151]
	v_fmac_f64_e32 v[16:17], v[52:53], v[154:155]
	v_add_f64 v[2:3], v[2:3], v[16:17]
	v_mul_f64 v[16:17], v[226:227], v[66:67]
	v_fma_f64 v[16:17], v[224:225], v[84:85], -v[16:17]
	ds_read_b128 v[224:227], v1 offset:1584
	v_mul_f64 v[70:71], v[234:235], v[86:87]
	v_fma_f64 v[232:233], v[232:233], v[88:89], -v[70:71]
	ds_read_b128 v[70:73], v1 offset:1632
	v_mul_f64 v[86:87], v[242:243], v[96:97]
	v_fma_f64 v[240:241], v[240:241], v[98:99], -v[86:87]
	v_mul_f64 v[86:87], v[246:247], v[118:119]
	v_fma_f64 v[246:247], v[244:245], v[58:59], -v[86:87]
	ds_read_b128 v[86:89], v1 offset:1696
	v_mul_f64 v[98:99], v[254:255], v[106:107]
	v_add_f64 v[14:15], v[14:15], 0
	v_add_f64 v[14:15], v[14:15], v[212:213]
	;; [unrolled: 1-line block ×9, first 2 shown]
	v_accvgpr_read_b32 v6, a172
	v_accvgpr_read_b32 v7, a173
	;; [unrolled: 1-line block ×3, first 2 shown]
	v_mul_f64 v[6:7], v[134:135], v[6:7]
	v_accvgpr_read_b32 v9, a175
	v_fma_f64 v[6:7], v[132:133], v[8:9], -v[6:7]
	v_accvgpr_read_b32 v8, a178
	v_accvgpr_read_b32 v9, a179
	s_waitcnt vmcnt(50) lgkmcnt(3)
	v_mul_f64 v[62:63], v[54:55], v[172:173]
	s_waitcnt vmcnt(48)
	v_fmac_f64_e32 v[62:63], v[56:57], v[176:177]
	v_add_f64 v[2:3], v[2:3], v[62:63]
	v_mul_f64 v[62:63], v[230:231], v[90:91]
	v_fma_f64 v[84:85], v[228:229], v[92:93], -v[62:63]
	ds_read_b128 v[62:65], v1 offset:1600
	s_waitcnt vmcnt(46) lgkmcnt(3)
	v_mul_f64 v[66:67], v[224:225], v[178:179]
	s_waitcnt vmcnt(44)
	v_fmac_f64_e32 v[66:67], v[226:227], v[180:181]
	v_add_f64 v[2:3], v[2:3], v[66:67]
	ds_read_b128 v[66:69], v1 offset:1616
	s_waitcnt vmcnt(41) lgkmcnt(1)
	v_mul_f64 v[74:75], v[62:63], v[184:185]
	s_waitcnt vmcnt(39)
	v_fmac_f64_e32 v[74:75], v[64:65], v[188:189]
	v_add_f64 v[2:3], v[2:3], v[74:75]
	v_mul_f64 v[74:75], v[238:239], v[100:101]
	v_fma_f64 v[234:235], v[236:237], v[102:103], -v[74:75]
	ds_read_b128 v[74:77], v1 offset:1648
	s_waitcnt vmcnt(38) lgkmcnt(1)
	v_mul_f64 v[78:79], v[66:67], v[174:175]
	s_waitcnt vmcnt(36)
	v_fmac_f64_e32 v[78:79], v[68:69], v[186:187]
	v_add_f64 v[2:3], v[2:3], v[78:79]
	s_waitcnt vmcnt(33)
	v_mul_f64 v[78:79], v[70:71], v[192:193]
	s_waitcnt vmcnt(31)
	v_fmac_f64_e32 v[78:79], v[72:73], v[194:195]
	v_add_f64 v[2:3], v[2:3], v[78:79]
	s_waitcnt vmcnt(29) lgkmcnt(0)
	v_mul_f64 v[78:79], v[74:75], v[182:183]
	s_waitcnt vmcnt(28)
	v_fmac_f64_e32 v[78:79], v[76:77], v[190:191]
	v_add_f64 v[2:3], v[2:3], v[78:79]
	ds_read_b128 v[78:81], v1 offset:1664
	ds_read_b128 v[228:231], v1 offset:1680
	v_add_f64 v[4:5], v[4:5], v[84:85]
	v_add_f64 v[4:5], v[4:5], v[232:233]
	;; [unrolled: 1-line block ×3, first 2 shown]
	s_waitcnt vmcnt(26) lgkmcnt(1)
	v_mul_f64 v[90:91], v[78:79], v[196:197]
	s_waitcnt vmcnt(24)
	v_fmac_f64_e32 v[90:91], v[80:81], v[198:199]
	s_waitcnt vmcnt(22) lgkmcnt(0)
	v_mul_f64 v[58:59], v[228:229], v[200:201]
	v_add_f64 v[2:3], v[2:3], v[90:91]
	s_waitcnt vmcnt(20)
	v_fmac_f64_e32 v[58:59], v[230:231], v[204:205]
	v_add_f64 v[2:3], v[2:3], v[58:59]
	ds_read_b128 v[90:93], v1 offset:1712
	s_waitcnt vmcnt(18)
	v_mul_f64 v[58:59], v[86:87], v[202:203]
	s_waitcnt vmcnt(16)
	v_fmac_f64_e32 v[58:59], v[88:89], v[206:207]
	v_add_f64 v[2:3], v[2:3], v[58:59]
	v_mul_f64 v[58:59], v[250:251], v[94:95]
	ds_read_b128 v[94:97], v1 offset:1728
	v_fma_f64 v[250:251], v[252:253], v[108:109], -v[98:99]
	ds_read_b128 v[98:101], v1 offset:1744
	v_fma_f64 v[118:119], v[248:249], v[104:105], -v[58:59]
	s_waitcnt vmcnt(14) lgkmcnt(2)
	v_mul_f64 v[58:59], v[90:91], v[210:211]
	s_waitcnt vmcnt(12)
	v_fmac_f64_e32 v[58:59], v[92:93], v[60:61]
	ds_read_b128 v[102:105], v1 offset:1760
	v_add_f64 v[2:3], v[2:3], v[58:59]
	s_waitcnt vmcnt(9) lgkmcnt(2)
	v_mul_f64 v[58:59], v[94:95], v[216:217]
	s_waitcnt vmcnt(7)
	v_fmac_f64_e32 v[58:59], v[96:97], v[218:219]
	v_add_f64 v[2:3], v[2:3], v[58:59]
	s_waitcnt vmcnt(5) lgkmcnt(1)
	v_mul_f64 v[58:59], v[98:99], v[208:209]
	s_waitcnt vmcnt(4)
	v_fmac_f64_e32 v[58:59], v[100:101], v[214:215]
	;; [unrolled: 5-line block ×3, first 2 shown]
	v_add_f64 v[110:111], v[2:3], v[58:59]
	buffer_load_dword v2, off, s[0:3], 0 offset:888
	buffer_load_dword v3, off, s[0:3], 0 offset:892
	;; [unrolled: 1-line block ×4, first 2 shown]
	ds_read_b128 v[106:109], v1 offset:1776
	buffer_load_dword v237, off, s[0:3], 0 offset:908
	buffer_load_dword v236, off, s[0:3], 0 offset:904
	;; [unrolled: 1-line block ×4, first 2 shown]
	v_add_f64 v[4:5], v[4:5], v[240:241]
	v_add_f64 v[4:5], v[4:5], v[246:247]
	s_waitcnt vmcnt(6) lgkmcnt(0)
	v_mul_f64 v[112:113], v[106:107], v[2:3]
	v_mul_f64 v[2:3], v[108:109], v[2:3]
	s_waitcnt vmcnt(4)
	v_fmac_f64_e32 v[112:113], v[108:109], v[58:59]
	v_add_f64 v[114:115], v[110:111], v[112:113]
	ds_read_b128 v[110:113], v1 offset:1792
	buffer_load_dword v242, off, s[0:3], 0 offset:920
	buffer_load_dword v243, off, s[0:3], 0 offset:924
	;; [unrolled: 1-line block ×4, first 2 shown]
	v_fma_f64 v[2:3], v[106:107], v[58:59], -v[2:3]
	s_waitcnt vmcnt(6) lgkmcnt(0)
	v_mul_f64 v[116:117], v[110:111], v[236:237]
	s_waitcnt vmcnt(4)
	v_fmac_f64_e32 v[116:117], v[112:113], v[238:239]
	v_add_f64 v[248:249], v[114:115], v[116:117]
	ds_read_b128 v[114:117], v1 offset:1808
	s_waitcnt vmcnt(2) lgkmcnt(0)
	v_mul_f64 v[252:253], v[114:115], v[242:243]
	s_waitcnt vmcnt(0)
	v_fmac_f64_e32 v[252:253], v[116:117], v[244:245]
	v_add_f64 v[254:255], v[248:249], v[252:253]
	buffer_load_dword v248, off, s[0:3], 0 offset:192
	buffer_load_dword v249, off, s[0:3], 0 offset:196
	;; [unrolled: 1-line block ×4, first 2 shown]
	v_add_f64 v[252:253], v[4:5], v[118:119]
	v_add_f64 v[4:5], v[252:253], v[250:251]
	;; [unrolled: 1-line block ×3, first 2 shown]
	v_mul_f64 v[6:7], v[130:131], v[140:141]
	v_fma_f64 v[6:7], v[128:129], v[144:145], -v[6:7]
	v_add_f64 v[4:5], v[4:5], v[6:7]
	v_accvgpr_read_b32 v6, a176
	v_accvgpr_read_b32 v7, a177
	v_mul_f64 v[6:7], v[126:127], v[6:7]
	v_fma_f64 v[6:7], v[124:125], v[8:9], -v[6:7]
	v_add_f64 v[4:5], v[4:5], v[6:7]
	v_mul_f64 v[6:7], v[122:123], v[148:149]
	v_fma_f64 v[6:7], v[120:121], v[152:153], -v[6:7]
	v_add_f64 v[4:5], v[4:5], v[6:7]
	v_accvgpr_read_b32 v6, a180
	v_accvgpr_read_b32 v7, a181
	;; [unrolled: 1-line block ×3, first 2 shown]
	v_mul_f64 v[6:7], v[20:21], v[6:7]
	v_accvgpr_read_b32 v9, a183
	v_fma_f64 v[6:7], v[18:19], v[8:9], -v[6:7]
	v_add_f64 v[4:5], v[4:5], v[6:7]
	v_mul_f64 v[6:7], v[24:25], v[156:157]
	v_fma_f64 v[6:7], v[22:23], v[158:159], -v[6:7]
	v_add_f64 v[4:5], v[4:5], v[6:7]
	v_accvgpr_read_b32 v6, a184
	v_accvgpr_read_b32 v7, a185
	;; [unrolled: 1-line block ×3, first 2 shown]
	v_mul_f64 v[6:7], v[28:29], v[6:7]
	v_accvgpr_read_b32 v9, a187
	v_fma_f64 v[6:7], v[26:27], v[8:9], -v[6:7]
	v_add_f64 v[4:5], v[4:5], v[6:7]
	v_mul_f64 v[6:7], v[32:33], v[160:161]
	v_fma_f64 v[6:7], v[30:31], v[162:163], -v[6:7]
	v_add_f64 v[4:5], v[4:5], v[6:7]
	v_mul_f64 v[6:7], v[36:37], v[136:137]
	;; [unrolled: 3-line block ×19, first 2 shown]
	v_fma_f64 v[6:7], v[102:103], v[222:223], -v[6:7]
	v_add_f64 v[4:5], v[4:5], v[6:7]
	v_add_f64 v[2:3], v[4:5], v[2:3]
	v_mul_f64 v[4:5], v[112:113], v[236:237]
	v_fma_f64 v[4:5], v[110:111], v[238:239], -v[4:5]
	v_add_f64 v[2:3], v[2:3], v[4:5]
	v_mul_f64 v[4:5], v[116:117], v[242:243]
	v_fma_f64 v[4:5], v[114:115], v[244:245], -v[4:5]
	v_add_f64 v[2:3], v[2:3], v[4:5]
	s_waitcnt vmcnt(2)
	v_add_f64 v[2:3], v[248:249], -v[2:3]
	s_waitcnt vmcnt(0)
	v_add_f64 v[4:5], v[246:247], -v[254:255]
	buffer_store_dword v3, off, s[0:3], 0 offset:196
	buffer_store_dword v2, off, s[0:3], 0 offset:192
	;; [unrolled: 1-line block ×4, first 2 shown]
	s_and_saveexec_b64 s[4:5], vcc
	s_cbranch_execz .LBB56_335
; %bb.334:
	v_accvgpr_read_b32 v0, a160
	buffer_load_dword v2, v0, s[0:3], 0 offen
	buffer_load_dword v3, v0, s[0:3], 0 offen offset:4
	buffer_load_dword v4, v0, s[0:3], 0 offen offset:8
	;; [unrolled: 1-line block ×3, first 2 shown]
	v_accvgpr_read_b32 v0, a171
	buffer_store_dword v1, off, s[0:3], 0 offset:176
	buffer_store_dword v1, off, s[0:3], 0 offset:180
	;; [unrolled: 1-line block ×4, first 2 shown]
	s_waitcnt vmcnt(4)
	ds_write_b128 v0, v[2:5]
.LBB56_335:
	s_or_b64 exec, exec, s[4:5]
	s_waitcnt lgkmcnt(0)
	; wave barrier
	s_waitcnt lgkmcnt(0)
	buffer_load_dword v60, off, s[0:3], 0 offset:192
	buffer_load_dword v61, off, s[0:3], 0 offset:196
	;; [unrolled: 1-line block ×42, first 2 shown]
	ds_read_b128 v[114:117], v1 offset:1088
	ds_read_b128 v[182:185], v1 offset:1104
	;; [unrolled: 1-line block ×10, first 2 shown]
	buffer_load_dword v119, off, s[0:3], 0 offset:340
	buffer_load_dword v118, off, s[0:3], 0 offset:336
	ds_read_b128 v[62:65], v1 offset:1248
	buffer_load_dword v101, off, s[0:3], 0 offset:396
	buffer_load_dword v100, off, s[0:3], 0 offset:392
	;; [unrolled: 1-line block ×6, first 2 shown]
	s_waitcnt vmcnt(46) lgkmcnt(10)
	v_mul_f64 v[2:3], v[114:115], v[176:177]
	v_fmac_f64_e32 v[2:3], v[116:117], v[60:61]
	v_add_f64 v[2:3], v[2:3], 0
	s_waitcnt vmcnt(42) lgkmcnt(9)
	v_mul_f64 v[4:5], v[182:183], v[58:59]
	v_fmac_f64_e32 v[4:5], v[184:185], v[50:51]
	v_add_f64 v[2:3], v[2:3], v[4:5]
	buffer_load_dword v249, off, s[0:3], 0 offset:372
	buffer_load_dword v248, off, s[0:3], 0 offset:368
	;; [unrolled: 1-line block ×20, first 2 shown]
	s_waitcnt vmcnt(60) lgkmcnt(8)
	v_mul_f64 v[6:7], v[186:187], v[52:53]
	s_waitcnt vmcnt(58) lgkmcnt(6)
	v_mul_f64 v[10:11], v[200:201], v[68:69]
	s_waitcnt vmcnt(56)
	v_fmac_f64_e32 v[10:11], v[202:203], v[70:71]
	v_mul_f64 v[58:59], v[184:185], v[58:59]
	s_waitcnt vmcnt(54)
	v_mul_f64 v[8:9], v[194:195], v[72:73]
	v_fma_f64 v[216:217], v[182:183], v[50:51], -v[58:59]
	s_waitcnt vmcnt(52) lgkmcnt(4)
	v_mul_f64 v[14:15], v[208:209], v[74:75]
	v_mul_f64 v[50:51], v[188:189], v[52:53]
	s_waitcnt vmcnt(50)
	v_fmac_f64_e32 v[14:15], v[210:211], v[76:77]
	s_waitcnt vmcnt(48)
	v_mul_f64 v[12:13], v[204:205], v[78:79]
	s_waitcnt vmcnt(46) lgkmcnt(2)
	v_mul_f64 v[18:19], v[220:221], v[82:83]
	s_waitcnt vmcnt(43)
	v_mul_f64 v[16:17], v[212:213], v[86:87]
	s_waitcnt vmcnt(41) lgkmcnt(1)
	v_mul_f64 v[20:21], v[54:55], v[80:81]
	s_waitcnt vmcnt(39)
	v_fmac_f64_e32 v[6:7], v[188:189], v[96:97]
	v_add_f64 v[2:3], v[2:3], v[6:7]
	s_waitcnt vmcnt(37)
	v_fmac_f64_e32 v[8:9], v[196:197], v[92:93]
	v_add_f64 v[2:3], v[2:3], v[8:9]
	;; [unrolled: 3-line block ×3, first 2 shown]
	v_add_f64 v[2:3], v[2:3], v[12:13]
	s_waitcnt vmcnt(33)
	v_fmac_f64_e32 v[16:17], v[214:215], v[88:89]
	v_add_f64 v[2:3], v[2:3], v[14:15]
	s_waitcnt vmcnt(32)
	v_fmac_f64_e32 v[18:19], v[222:223], v[84:85]
	v_add_f64 v[2:3], v[2:3], v[16:17]
	v_add_f64 v[2:3], v[2:3], v[18:19]
	v_fma_f64 v[96:97], v[186:187], v[96:97], -v[50:51]
	s_waitcnt vmcnt(26)
	v_fmac_f64_e32 v[20:21], v[56:57], v[118:119]
	v_add_f64 v[2:3], v[2:3], v[20:21]
	v_mul_f64 v[50:51], v[196:197], v[72:73]
	v_mul_f64 v[56:57], v[56:57], v[80:81]
	v_fma_f64 v[118:119], v[54:55], v[118:119], -v[56:57]
	s_waitcnt vmcnt(0)
	v_pk_mov_b32 v[18:19], v[4:5], v[4:5] op_sel:[0,1]
	buffer_load_dword v5, off, s[0:3], 0 offset:484
	buffer_load_dword v4, off, s[0:3], 0 offset:480
	v_accvgpr_write_b32 a175, v19
	v_accvgpr_write_b32 a174, v18
	s_waitcnt vmcnt(0)
	v_pk_mov_b32 v[22:23], v[4:5], v[4:5] op_sel:[0,1]
	buffer_load_dword v5, off, s[0:3], 0 offset:476
	buffer_load_dword v4, off, s[0:3], 0 offset:472
	v_accvgpr_write_b32 a177, v23
	v_accvgpr_write_b32 a176, v22
	s_waitcnt vmcnt(0)
	v_pk_mov_b32 v[14:15], v[4:5], v[4:5] op_sel:[0,1]
	buffer_load_dword v141, off, s[0:3], 0 offset:468
	buffer_load_dword v140, off, s[0:3], 0 offset:464
	buffer_load_dword v5, off, s[0:3], 0 offset:524
	buffer_load_dword v4, off, s[0:3], 0 offset:520
	v_accvgpr_write_b32 a173, v15
	v_accvgpr_write_b32 a172, v14
	s_waitcnt vmcnt(0)
	v_pk_mov_b32 v[26:27], v[4:5], v[4:5] op_sel:[0,1]
	buffer_load_dword v5, off, s[0:3], 0 offset:516
	buffer_load_dword v4, off, s[0:3], 0 offset:512
	v_accvgpr_write_b32 a179, v27
	v_accvgpr_write_b32 a178, v26
	s_waitcnt vmcnt(0)
	v_pk_mov_b32 v[28:29], v[4:5], v[4:5] op_sel:[0,1]
	buffer_load_dword v145, off, s[0:3], 0 offset:508
	buffer_load_dword v144, off, s[0:3], 0 offset:504
	buffer_load_dword v149, off, s[0:3], 0 offset:500
	buffer_load_dword v148, off, s[0:3], 0 offset:496
	buffer_load_dword v5, off, s[0:3], 0 offset:556
	buffer_load_dword v4, off, s[0:3], 0 offset:552
	v_accvgpr_write_b32 a181, v29
	v_accvgpr_write_b32 a180, v28
	s_waitcnt vmcnt(0)
	v_pk_mov_b32 v[34:35], v[4:5], v[4:5] op_sel:[0,1]
	buffer_load_dword v5, off, s[0:3], 0 offset:548
	buffer_load_dword v4, off, s[0:3], 0 offset:544
	v_accvgpr_write_b32 a183, v35
	v_accvgpr_write_b32 a182, v34
	s_waitcnt vmcnt(0)
	v_pk_mov_b32 v[36:37], v[4:5], v[4:5] op_sel:[0,1]
	buffer_load_dword v153, off, s[0:3], 0 offset:540
	buffer_load_dword v152, off, s[0:3], 0 offset:536
	;; [unrolled: 16-line block ×3, first 2 shown]
	buffer_load_dword v163, off, s[0:3], 0 offset:564
	buffer_load_dword v162, off, s[0:3], 0 offset:560
	;; [unrolled: 1-line block ×26, first 2 shown]
	ds_read_b128 v[224:227], v1 offset:1264
	ds_read_b128 v[228:231], v1 offset:1280
	;; [unrolled: 1-line block ×10, first 2 shown]
	s_waitcnt lgkmcnt(4)
	v_mul_f64 v[8:9], v[244:245], v[106:107]
	v_fmac_f64_e32 v[8:9], v[246:247], v[108:109]
	s_waitcnt lgkmcnt(3)
	v_mul_f64 v[12:13], v[136:137], v[14:15]
	v_fmac_f64_e32 v[12:13], v[138:139], v[140:141]
	;; [unrolled: 3-line block ×4, first 2 shown]
	ds_read_b128 v[120:123], v1 offset:1424
	s_waitcnt lgkmcnt(1)
	v_mul_f64 v[24:25], v[124:125], v[26:27]
	v_fmac_f64_e32 v[24:25], v[126:127], v[28:29]
	v_accvgpr_write_b32 a189, v45
	v_accvgpr_write_b32 a188, v44
	s_waitcnt vmcnt(22)
	v_pk_mov_b32 v[178:179], v[4:5], v[4:5] op_sel:[0,1]
	v_mul_f64 v[4:5], v[62:63], v[94:95]
	v_fmac_f64_e32 v[4:5], v[64:65], v[98:99]
	v_add_f64 v[2:3], v[2:3], v[4:5]
	v_mul_f64 v[4:5], v[224:225], v[104:105]
	v_fmac_f64_e32 v[4:5], v[226:227], v[248:249]
	v_add_f64 v[2:3], v[2:3], v[4:5]
	;; [unrolled: 3-line block ×6, first 2 shown]
	v_add_f64 v[10:11], v[6:7], v[8:9]
	v_add_f64 v[14:15], v[10:11], v[12:13]
	v_add_f64 v[18:19], v[14:15], v[16:17]
	v_add_f64 v[22:23], v[18:19], v[20:21]
	v_add_f64 v[26:27], v[22:23], v[24:25]
	ds_read_b128 v[22:25], v1 offset:1440
	s_waitcnt lgkmcnt(1)
	v_mul_f64 v[28:29], v[120:121], v[152:153]
	v_fmac_f64_e32 v[28:29], v[122:123], v[156:157]
	v_add_f64 v[30:31], v[26:27], v[28:29]
	ds_read_b128 v[26:29], v1 offset:1456
	s_waitcnt lgkmcnt(1)
	v_mul_f64 v[32:33], v[22:23], v[34:35]
	v_fmac_f64_e32 v[32:33], v[24:25], v[36:37]
	v_add_f64 v[34:35], v[30:31], v[32:33]
	;; [unrolled: 5-line block ×4, first 2 shown]
	ds_read_b128 v[38:41], v1 offset:1504
	ds_read_b128 v[42:45], v1 offset:1520
	s_waitcnt vmcnt(18) lgkmcnt(2)
	v_mul_f64 v[48:49], v[34:35], v[164:165]
	s_waitcnt vmcnt(16)
	v_fmac_f64_e32 v[48:49], v[36:37], v[166:167]
	v_add_f64 v[46:47], v[46:47], v[48:49]
	s_waitcnt lgkmcnt(1)
	v_mul_f64 v[48:49], v[38:39], v[178:179]
	v_fmac_f64_e32 v[48:49], v[40:41], v[142:143]
	v_add_f64 v[46:47], v[46:47], v[48:49]
	s_waitcnt vmcnt(10) lgkmcnt(0)
	v_mul_f64 v[48:49], v[42:43], v[168:169]
	v_accvgpr_write_b32 a191, v179
	s_waitcnt vmcnt(8)
	v_fmac_f64_e32 v[48:49], v[44:45], v[170:171]
	v_accvgpr_write_b32 a190, v178
	v_add_f64 v[2:3], v[46:47], v[48:49]
	ds_read_b128 v[46:49], v1 offset:1536
	v_mul_f64 v[4:5], v[116:117], v[176:177]
	buffer_load_dword v177, off, s[0:3], 0 offset:700
	buffer_load_dword v176, off, s[0:3], 0 offset:696
	;; [unrolled: 1-line block ×16, first 2 shown]
	v_fma_f64 v[14:15], v[194:195], v[92:93], -v[50:51]
	buffer_load_dword v184, off, s[0:3], 0 offset:776
	buffer_load_dword v197, off, s[0:3], 0 offset:764
	;; [unrolled: 1-line block ×8, first 2 shown]
	v_mul_f64 v[8:9], v[202:203], v[68:69]
	v_fma_f64 v[10:11], v[200:201], v[70:71], -v[8:9]
	buffer_load_dword v201, off, s[0:3], 0 offset:796
	buffer_load_dword v200, off, s[0:3], 0 offset:792
	;; [unrolled: 1-line block ×4, first 2 shown]
	v_mul_f64 v[12:13], v[210:211], v[74:75]
	v_mul_f64 v[50:51], v[206:207], v[78:79]
	v_fma_f64 v[12:13], v[208:209], v[76:77], -v[12:13]
	buffer_load_dword v206, off, s[0:3], 0 offset:808
	buffer_load_dword v208, off, s[0:3], 0 offset:800
	buffer_load_dword v207, off, s[0:3], 0 offset:812
	buffer_load_dword v209, off, s[0:3], 0 offset:804
	v_fma_f64 v[8:9], v[204:205], v[90:91], -v[50:51]
	v_mul_f64 v[50:51], v[214:215], v[86:87]
	v_fma_f64 v[6:7], v[212:213], v[88:89], -v[50:51]
	buffer_load_dword v205, off, s[0:3], 0 offset:844
	buffer_load_dword v211, off, s[0:3], 0 offset:828
	;; [unrolled: 1-line block ×12, first 2 shown]
	v_mul_f64 v[16:17], v[222:223], v[82:83]
	ds_read_b128 v[50:53], v1 offset:1552
	v_fma_f64 v[16:17], v[220:221], v[84:85], -v[16:17]
	buffer_load_dword v220, off, s[0:3], 0 offset:872
	buffer_load_dword v222, off, s[0:3], 0 offset:864
	;; [unrolled: 1-line block ×4, first 2 shown]
	ds_read_b128 v[54:57], v1 offset:1568
	s_waitcnt lgkmcnt(2)
	v_mul_f64 v[58:59], v[46:47], v[146:147]
	v_fmac_f64_e32 v[58:59], v[48:49], v[150:151]
	v_add_f64 v[2:3], v[2:3], v[58:59]
	s_waitcnt vmcnt(50) lgkmcnt(1)
	v_mul_f64 v[58:59], v[50:51], v[172:173]
	s_waitcnt vmcnt(48)
	v_fmac_f64_e32 v[58:59], v[52:53], v[174:175]
	v_mul_f64 v[64:65], v[64:65], v[94:95]
	v_add_f64 v[2:3], v[2:3], v[58:59]
	v_fma_f64 v[94:95], v[62:63], v[98:99], -v[64:65]
	ds_read_b128 v[62:65], v1 offset:1600
	s_waitcnt lgkmcnt(1)
	v_mul_f64 v[58:59], v[54:55], v[154:155]
	v_fmac_f64_e32 v[58:59], v[56:57], v[158:159]
	v_fma_f64 v[18:19], v[114:115], v[60:61], -v[4:5]
	v_add_f64 v[2:3], v[2:3], v[58:59]
	ds_read_b128 v[58:61], v1 offset:1584
	v_mul_f64 v[74:75], v[230:231], v[100:101]
	v_fma_f64 v[4:5], v[228:229], v[102:103], -v[74:75]
	ds_read_b128 v[74:77], v1 offset:1648
	v_mul_f64 v[78:79], v[234:235], v[250:251]
	v_fma_f64 v[250:251], v[232:233], v[252:253], -v[78:79]
	ds_read_b128 v[78:81], v1 offset:1664
	ds_read_b128 v[82:85], v1 offset:1680
	;; [unrolled: 1-line block ×4, first 2 shown]
	v_add_f64 v[18:19], v[18:19], 0
	v_add_f64 v[18:19], v[18:19], v[216:217]
	;; [unrolled: 1-line block ×11, first 2 shown]
	s_waitcnt vmcnt(46) lgkmcnt(5)
	v_mul_f64 v[70:71], v[58:59], v[176:177]
	s_waitcnt vmcnt(44)
	v_fmac_f64_e32 v[70:71], v[60:61], v[180:181]
	v_add_f64 v[2:3], v[2:3], v[70:71]
	v_mul_f64 v[70:71], v[226:227], v[104:105]
	v_fma_f64 v[248:249], v[224:225], v[248:249], -v[70:71]
	ds_read_b128 v[224:227], v1 offset:1616
	s_waitcnt vmcnt(41)
	v_mul_f64 v[70:71], v[62:63], v[178:179]
	s_waitcnt vmcnt(40)
	v_fmac_f64_e32 v[70:71], v[64:65], v[182:183]
	v_add_f64 v[2:3], v[2:3], v[70:71]
	ds_read_b128 v[70:73], v1 offset:1632
	s_waitcnt vmcnt(38) lgkmcnt(1)
	v_mul_f64 v[20:21], v[224:225], v[186:187]
	s_waitcnt vmcnt(36)
	v_fmac_f64_e32 v[20:21], v[226:227], v[190:191]
	v_add_f64 v[2:3], v[2:3], v[20:21]
	s_waitcnt vmcnt(22)
	v_mul_f64 v[90:91], v[82:83], v[200:201]
	s_waitcnt lgkmcnt(0)
	v_mul_f64 v[20:21], v[70:71], v[188:189]
	v_fmac_f64_e32 v[20:21], v[72:73], v[192:193]
	v_add_f64 v[2:3], v[2:3], v[20:21]
	v_mul_f64 v[20:21], v[74:75], v[196:197]
	v_fmac_f64_e32 v[20:21], v[76:77], v[198:199]
	v_add_f64 v[2:3], v[2:3], v[20:21]
	;; [unrolled: 3-line block ×3, first 2 shown]
	s_waitcnt vmcnt(20)
	v_fmac_f64_e32 v[90:91], v[84:85], v[202:203]
	v_add_f64 v[98:99], v[2:3], v[90:91]
	v_mul_f64 v[2:3], v[242:243], v[254:255]
	ds_read_b128 v[90:93], v1 offset:1712
	v_fma_f64 v[2:3], v[240:241], v[66:67], -v[2:3]
	s_waitcnt vmcnt(17)
	v_mul_f64 v[66:67], v[86:87], v[206:207]
	s_waitcnt vmcnt(16)
	v_fmac_f64_e32 v[66:67], v[88:89], v[208:209]
	v_add_f64 v[66:67], v[98:99], v[66:67]
	v_mul_f64 v[98:99], v[246:247], v[106:107]
	v_fma_f64 v[252:253], v[244:245], v[108:109], -v[98:99]
	ds_read_b128 v[98:101], v1 offset:1744
	s_waitcnt vmcnt(13) lgkmcnt(1)
	v_mul_f64 v[102:103], v[90:91], v[210:211]
	s_waitcnt vmcnt(11)
	v_fmac_f64_e32 v[102:103], v[92:93], v[68:69]
	v_add_f64 v[66:67], v[66:67], v[102:103]
	s_waitcnt vmcnt(10)
	v_mul_f64 v[102:103], v[228:229], v[204:205]
	s_waitcnt vmcnt(8)
	v_fmac_f64_e32 v[102:103], v[230:231], v[214:215]
	v_add_f64 v[66:67], v[66:67], v[102:103]
	s_waitcnt vmcnt(6) lgkmcnt(0)
	v_mul_f64 v[102:103], v[98:99], v[212:213]
	s_waitcnt vmcnt(4)
	v_fmac_f64_e32 v[102:103], v[100:101], v[218:219]
	v_add_f64 v[66:67], v[66:67], v[102:103]
	ds_read_b128 v[102:105], v1 offset:1760
	buffer_load_dword v233, off, s[0:3], 0 offset:892
	buffer_load_dword v232, off, s[0:3], 0 offset:888
	;; [unrolled: 1-line block ×4, first 2 shown]
	v_mul_f64 v[20:21], v[238:239], v[110:111]
	v_fma_f64 v[20:21], v[236:237], v[112:113], -v[20:21]
	v_add_f64 v[6:7], v[6:7], v[248:249]
	s_waitcnt vmcnt(5) lgkmcnt(0)
	v_mul_f64 v[106:107], v[102:103], v[220:221]
	s_waitcnt vmcnt(4)
	v_fmac_f64_e32 v[106:107], v[104:105], v[222:223]
	v_add_f64 v[66:67], v[66:67], v[106:107]
	ds_read_b128 v[106:109], v1 offset:1776
	buffer_load_dword v236, off, s[0:3], 0 offset:904
	buffer_load_dword v237, off, s[0:3], 0 offset:908
	;; [unrolled: 1-line block ×4, first 2 shown]
	v_add_f64 v[4:5], v[6:7], v[4:5]
	v_add_f64 v[4:5], v[4:5], v[250:251]
	;; [unrolled: 1-line block ×5, first 2 shown]
	s_waitcnt vmcnt(6) lgkmcnt(0)
	v_mul_f64 v[110:111], v[106:107], v[232:233]
	s_waitcnt vmcnt(4)
	v_fmac_f64_e32 v[110:111], v[108:109], v[234:235]
	v_add_f64 v[66:67], v[66:67], v[110:111]
	ds_read_b128 v[110:113], v1 offset:1792
	buffer_load_dword v243, off, s[0:3], 0 offset:924
	buffer_load_dword v242, off, s[0:3], 0 offset:920
	;; [unrolled: 1-line block ×4, first 2 shown]
	s_waitcnt vmcnt(6) lgkmcnt(0)
	v_mul_f64 v[114:115], v[110:111], v[236:237]
	s_waitcnt vmcnt(4)
	v_fmac_f64_e32 v[114:115], v[112:113], v[238:239]
	v_add_f64 v[66:67], v[66:67], v[114:115]
	ds_read_b128 v[114:117], v1 offset:1808
	buffer_load_dword v248, off, s[0:3], 0 offset:176
	buffer_load_dword v249, off, s[0:3], 0 offset:180
	;; [unrolled: 1-line block ×4, first 2 shown]
	v_accvgpr_read_b32 v0, a172
	v_accvgpr_read_b32 v1, a173
	v_mul_f64 v[4:5], v[138:139], v[0:1]
	v_accvgpr_read_b32 v0, a174
	v_fma_f64 v[4:5], v[136:137], v[140:141], -v[4:5]
	v_accvgpr_read_b32 v1, a175
	v_add_f64 v[2:3], v[2:3], v[4:5]
	v_mul_f64 v[4:5], v[134:135], v[0:1]
	v_accvgpr_read_b32 v0, a176
	v_accvgpr_read_b32 v1, a177
	v_fma_f64 v[4:5], v[132:133], v[0:1], -v[4:5]
	v_add_f64 v[2:3], v[2:3], v[4:5]
	v_mul_f64 v[4:5], v[130:131], v[144:145]
	v_accvgpr_read_b32 v0, a178
	v_fma_f64 v[4:5], v[128:129], v[148:149], -v[4:5]
	v_accvgpr_read_b32 v1, a179
	v_add_f64 v[2:3], v[2:3], v[4:5]
	v_mul_f64 v[4:5], v[126:127], v[0:1]
	v_accvgpr_read_b32 v0, a180
	v_accvgpr_read_b32 v1, a181
	v_fma_f64 v[4:5], v[124:125], v[0:1], -v[4:5]
	v_add_f64 v[2:3], v[2:3], v[4:5]
	;; [unrolled: 10-line block ×4, first 2 shown]
	v_mul_f64 v[4:5], v[36:37], v[164:165]
	v_accvgpr_read_b32 v0, a190
	v_fma_f64 v[4:5], v[34:35], v[166:167], -v[4:5]
	v_accvgpr_read_b32 v1, a191
	v_add_f64 v[2:3], v[2:3], v[4:5]
	v_mul_f64 v[4:5], v[40:41], v[0:1]
	v_fma_f64 v[4:5], v[38:39], v[142:143], -v[4:5]
	v_add_f64 v[2:3], v[2:3], v[4:5]
	v_mul_f64 v[4:5], v[44:45], v[168:169]
	v_fma_f64 v[4:5], v[42:43], v[170:171], -v[4:5]
	v_add_f64 v[2:3], v[2:3], v[4:5]
	v_mul_f64 v[4:5], v[48:49], v[146:147]
	v_fma_f64 v[4:5], v[46:47], v[150:151], -v[4:5]
	v_add_f64 v[2:3], v[2:3], v[4:5]
	v_mul_f64 v[4:5], v[52:53], v[172:173]
	v_fma_f64 v[4:5], v[50:51], v[174:175], -v[4:5]
	v_add_f64 v[2:3], v[2:3], v[4:5]
	v_mul_f64 v[4:5], v[56:57], v[154:155]
	v_fma_f64 v[4:5], v[54:55], v[158:159], -v[4:5]
	v_add_f64 v[2:3], v[2:3], v[4:5]
	v_mul_f64 v[4:5], v[60:61], v[176:177]
	v_fma_f64 v[4:5], v[58:59], v[180:181], -v[4:5]
	v_add_f64 v[2:3], v[2:3], v[4:5]
	v_mul_f64 v[4:5], v[64:65], v[178:179]
	v_fma_f64 v[4:5], v[62:63], v[182:183], -v[4:5]
	v_add_f64 v[2:3], v[2:3], v[4:5]
	v_mul_f64 v[4:5], v[226:227], v[186:187]
	v_fma_f64 v[4:5], v[224:225], v[190:191], -v[4:5]
	v_add_f64 v[2:3], v[2:3], v[4:5]
	v_mul_f64 v[4:5], v[72:73], v[188:189]
	v_fma_f64 v[4:5], v[70:71], v[192:193], -v[4:5]
	v_add_f64 v[2:3], v[2:3], v[4:5]
	v_mul_f64 v[4:5], v[76:77], v[196:197]
	v_fma_f64 v[4:5], v[74:75], v[198:199], -v[4:5]
	v_add_f64 v[2:3], v[2:3], v[4:5]
	v_mul_f64 v[4:5], v[80:81], v[184:185]
	v_fma_f64 v[4:5], v[78:79], v[194:195], -v[4:5]
	v_add_f64 v[2:3], v[2:3], v[4:5]
	v_mul_f64 v[4:5], v[84:85], v[200:201]
	v_fma_f64 v[4:5], v[82:83], v[202:203], -v[4:5]
	v_add_f64 v[2:3], v[2:3], v[4:5]
	v_mul_f64 v[4:5], v[88:89], v[206:207]
	v_fma_f64 v[4:5], v[86:87], v[208:209], -v[4:5]
	v_add_f64 v[2:3], v[2:3], v[4:5]
	v_mul_f64 v[4:5], v[92:93], v[210:211]
	v_fma_f64 v[4:5], v[90:91], v[68:69], -v[4:5]
	v_add_f64 v[2:3], v[2:3], v[4:5]
	v_mul_f64 v[4:5], v[230:231], v[204:205]
	v_fma_f64 v[4:5], v[228:229], v[214:215], -v[4:5]
	v_add_f64 v[2:3], v[2:3], v[4:5]
	v_mul_f64 v[4:5], v[100:101], v[212:213]
	v_fma_f64 v[4:5], v[98:99], v[218:219], -v[4:5]
	v_add_f64 v[2:3], v[2:3], v[4:5]
	v_mul_f64 v[4:5], v[104:105], v[220:221]
	v_fma_f64 v[4:5], v[102:103], v[222:223], -v[4:5]
	v_add_f64 v[2:3], v[2:3], v[4:5]
	v_mul_f64 v[4:5], v[108:109], v[232:233]
	v_fma_f64 v[4:5], v[106:107], v[234:235], -v[4:5]
	v_add_f64 v[2:3], v[2:3], v[4:5]
	v_mul_f64 v[4:5], v[112:113], v[236:237]
	v_fma_f64 v[4:5], v[110:111], v[238:239], -v[4:5]
	v_add_f64 v[2:3], v[2:3], v[4:5]
	s_waitcnt vmcnt(6) lgkmcnt(0)
	v_mul_f64 v[4:5], v[116:117], v[242:243]
	v_mul_f64 v[240:241], v[114:115], v[242:243]
	s_waitcnt vmcnt(4)
	v_fma_f64 v[4:5], v[114:115], v[244:245], -v[4:5]
	v_fmac_f64_e32 v[240:241], v[116:117], v[244:245]
	v_add_f64 v[2:3], v[2:3], v[4:5]
	v_accvgpr_read_b32 v0, a170
	v_add_f64 v[240:241], v[66:67], v[240:241]
	s_waitcnt vmcnt(2)
	v_add_f64 v[2:3], v[248:249], -v[2:3]
	v_cmp_lt_u32_e32 vcc, 9, v0
	s_waitcnt vmcnt(0)
	v_add_f64 v[4:5], v[246:247], -v[240:241]
	buffer_store_dword v3, off, s[0:3], 0 offset:180
	buffer_store_dword v2, off, s[0:3], 0 offset:176
	;; [unrolled: 1-line block ×4, first 2 shown]
	s_and_saveexec_b64 s[4:5], vcc
	s_cbranch_execz .LBB56_337
; %bb.336:
	v_accvgpr_read_b32 v0, a161
	buffer_load_dword v2, v0, s[0:3], 0 offen
	buffer_load_dword v3, v0, s[0:3], 0 offen offset:4
	buffer_load_dword v4, v0, s[0:3], 0 offen offset:8
	;; [unrolled: 1-line block ×3, first 2 shown]
	v_mov_b32_e32 v0, 0
	v_accvgpr_read_b32 v1, a171
	buffer_store_dword v0, off, s[0:3], 0 offset:160
	buffer_store_dword v0, off, s[0:3], 0 offset:164
	;; [unrolled: 1-line block ×4, first 2 shown]
	s_waitcnt vmcnt(4)
	ds_write_b128 v1, v[2:5]
.LBB56_337:
	s_or_b64 exec, exec, s[4:5]
	s_waitcnt lgkmcnt(0)
	; wave barrier
	s_waitcnt lgkmcnt(0)
	buffer_load_dword v48, off, s[0:3], 0 offset:176
	buffer_load_dword v49, off, s[0:3], 0 offset:180
	;; [unrolled: 1-line block ×42, first 2 shown]
	v_mov_b32_e32 v1, 0
	buffer_load_dword v99, off, s[0:3], 0 offset:324
	buffer_load_dword v98, off, s[0:3], 0 offset:320
	;; [unrolled: 1-line block ×7, first 2 shown]
	ds_read_b128 v[112:115], v1 offset:1072
	ds_read_b128 v[116:119], v1 offset:1088
	;; [unrolled: 1-line block ×11, first 2 shown]
	v_accvgpr_read_b32 v0, a170
	v_cmp_lt_u32_e32 vcc, 8, v0
	s_waitcnt vmcnt(45) lgkmcnt(10)
	v_mul_f64 v[2:3], v[112:113], v[52:53]
	v_fmac_f64_e32 v[2:3], v[114:115], v[48:49]
	v_add_f64 v[2:3], v[2:3], 0
	s_waitcnt vmcnt(41) lgkmcnt(9)
	v_mul_f64 v[4:5], v[116:117], v[54:55]
	v_fmac_f64_e32 v[4:5], v[118:119], v[50:51]
	v_add_f64 v[2:3], v[2:3], v[4:5]
	buffer_load_dword v96, off, s[0:3], 0 offset:360
	buffer_load_dword v253, off, s[0:3], 0 offset:356
	;; [unrolled: 1-line block ×21, first 2 shown]
	s_waitcnt vmcnt(60) lgkmcnt(8)
	v_mul_f64 v[6:7], v[180:181], v[46:47]
	s_waitcnt vmcnt(58) lgkmcnt(6)
	v_mul_f64 v[10:11], v[190:191], v[188:189]
	s_waitcnt vmcnt(56)
	v_fmac_f64_e32 v[10:11], v[192:193], v[56:57]
	v_mul_f64 v[46:47], v[182:183], v[46:47]
	s_waitcnt vmcnt(54)
	v_mul_f64 v[8:9], v[184:185], v[64:65]
	s_waitcnt vmcnt(52) lgkmcnt(4)
	v_mul_f64 v[14:15], v[200:201], v[66:67]
	s_waitcnt vmcnt(50)
	v_fmac_f64_e32 v[14:15], v[202:203], v[68:69]
	s_waitcnt vmcnt(48)
	v_mul_f64 v[12:13], v[196:197], v[70:71]
	s_waitcnt vmcnt(46) lgkmcnt(2)
	v_mul_f64 v[18:19], v[214:215], v[76:77]
	s_waitcnt vmcnt(43)
	v_mul_f64 v[16:17], v[204:205], v[78:79]
	s_waitcnt vmcnt(41) lgkmcnt(1)
	v_mul_f64 v[20:21], v[220:221], v[72:73]
	s_waitcnt vmcnt(39)
	v_fmac_f64_e32 v[6:7], v[182:183], v[90:91]
	v_add_f64 v[2:3], v[2:3], v[6:7]
	s_waitcnt vmcnt(37)
	v_fmac_f64_e32 v[8:9], v[186:187], v[88:89]
	v_add_f64 v[2:3], v[2:3], v[8:9]
	;; [unrolled: 3-line block ×3, first 2 shown]
	v_add_f64 v[2:3], v[2:3], v[12:13]
	v_add_f64 v[2:3], v[2:3], v[14:15]
	s_waitcnt vmcnt(33)
	v_fmac_f64_e32 v[16:17], v[206:207], v[80:81]
	v_add_f64 v[2:3], v[2:3], v[16:17]
	s_waitcnt vmcnt(32)
	v_fmac_f64_e32 v[18:19], v[216:217], v[74:75]
	;; [unrolled: 3-line block ×3, first 2 shown]
	v_add_f64 v[2:3], v[2:3], v[20:21]
	s_waitcnt vmcnt(0)
	v_pk_mov_b32 v[14:15], v[4:5], v[4:5] op_sel:[0,1]
	buffer_load_dword v5, off, s[0:3], 0 offset:468
	buffer_load_dword v4, off, s[0:3], 0 offset:464
	v_accvgpr_write_b32 a173, v15
	v_accvgpr_write_b32 a172, v14
	s_waitcnt vmcnt(0)
	v_pk_mov_b32 v[16:17], v[4:5], v[4:5] op_sel:[0,1]
	buffer_load_dword v105, off, s[0:3], 0 offset:460
	buffer_load_dword v104, off, s[0:3], 0 offset:456
	buffer_load_dword v107, off, s[0:3], 0 offset:452
	buffer_load_dword v106, off, s[0:3], 0 offset:448
	buffer_load_dword v5, off, s[0:3], 0 offset:508
	buffer_load_dword v4, off, s[0:3], 0 offset:504
	v_accvgpr_write_b32 a175, v17
	v_accvgpr_write_b32 a174, v16
	s_waitcnt vmcnt(0)
	v_pk_mov_b32 v[22:23], v[4:5], v[4:5] op_sel:[0,1]
	buffer_load_dword v5, off, s[0:3], 0 offset:500
	buffer_load_dword v4, off, s[0:3], 0 offset:496
	v_accvgpr_write_b32 a177, v23
	v_accvgpr_write_b32 a176, v22
	s_waitcnt vmcnt(0)
	v_pk_mov_b32 v[24:25], v[4:5], v[4:5] op_sel:[0,1]
	buffer_load_dword v141, off, s[0:3], 0 offset:492
	buffer_load_dword v140, off, s[0:3], 0 offset:488
	buffer_load_dword v145, off, s[0:3], 0 offset:484
	buffer_load_dword v144, off, s[0:3], 0 offset:480
	buffer_load_dword v5, off, s[0:3], 0 offset:540
	buffer_load_dword v4, off, s[0:3], 0 offset:536
	v_accvgpr_write_b32 a179, v25
	v_accvgpr_write_b32 a178, v24
	;; [unrolled: 16-line block ×4, first 2 shown]
	s_waitcnt vmcnt(0)
	v_pk_mov_b32 v[174:175], v[4:5], v[4:5] op_sel:[0,1]
	buffer_load_dword v5, off, s[0:3], 0 offset:596
	buffer_load_dword v4, off, s[0:3], 0 offset:592
	;; [unrolled: 1-line block ×22, first 2 shown]
	ds_read_b128 v[224:227], v1 offset:1248
	ds_read_b128 v[228:231], v1 offset:1264
	;; [unrolled: 1-line block ×12, first 2 shown]
	s_waitcnt lgkmcnt(5)
	v_mul_f64 v[8:9], v[248:249], v[104:105]
	v_fmac_f64_e32 v[8:9], v[250:251], v[106:107]
	s_waitcnt lgkmcnt(4)
	v_mul_f64 v[12:13], v[136:137], v[14:15]
	v_fmac_f64_e32 v[12:13], v[138:139], v[16:17]
	;; [unrolled: 3-line block ×6, first 2 shown]
	v_accvgpr_write_b32 a189, v175
	v_accvgpr_write_b32 a188, v174
	s_waitcnt vmcnt(20)
	v_pk_mov_b32 v[176:177], v[4:5], v[4:5] op_sel:[0,1]
	v_mul_f64 v[4:5], v[58:59], v[84:85]
	v_fmac_f64_e32 v[4:5], v[60:61], v[86:87]
	v_add_f64 v[2:3], v[2:3], v[4:5]
	v_mul_f64 v[4:5], v[224:225], v[96:97]
	v_fmac_f64_e32 v[4:5], v[226:227], v[252:253]
	v_add_f64 v[2:3], v[2:3], v[4:5]
	;; [unrolled: 3-line block ×7, first 2 shown]
	v_add_f64 v[10:11], v[6:7], v[8:9]
	v_add_f64 v[14:15], v[10:11], v[12:13]
	;; [unrolled: 1-line block ×5, first 2 shown]
	ds_read_b128 v[22:25], v1 offset:1440
	v_add_f64 v[30:31], v[26:27], v[28:29]
	ds_read_b128 v[26:29], v1 offset:1456
	v_accvgpr_write_b32 a191, v177
	v_mul_f64 v[4:5], v[114:115], v[52:53]
	s_waitcnt lgkmcnt(1)
	v_mul_f64 v[32:33], v[22:23], v[156:157]
	v_fmac_f64_e32 v[32:33], v[24:25], v[158:159]
	s_waitcnt lgkmcnt(0)
	v_mul_f64 v[36:37], v[26:27], v[38:39]
	v_add_f64 v[34:35], v[30:31], v[32:33]
	ds_read_b128 v[30:33], v1 offset:1472
	v_fmac_f64_e32 v[36:37], v[28:29], v[40:41]
	v_add_f64 v[38:39], v[34:35], v[36:37]
	ds_read_b128 v[34:37], v1 offset:1488
	v_accvgpr_write_b32 a190, v176
	s_waitcnt vmcnt(18) lgkmcnt(1)
	v_mul_f64 v[40:41], v[30:31], v[160:161]
	s_waitcnt vmcnt(16)
	v_fmac_f64_e32 v[40:41], v[32:33], v[162:163]
	v_add_f64 v[42:43], v[38:39], v[40:41]
	s_waitcnt lgkmcnt(0)
	v_mul_f64 v[44:45], v[34:35], v[174:175]
	v_fmac_f64_e32 v[44:45], v[36:37], v[176:177]
	ds_read_b128 v[38:41], v1 offset:1504
	v_add_f64 v[2:3], v[42:43], v[44:45]
	ds_read_b128 v[42:45], v1 offset:1520
	v_fma_f64 v[18:19], v[112:113], v[48:49], -v[4:5]
	v_mul_f64 v[48:49], v[118:119], v[54:55]
	buffer_load_dword v119, off, s[0:3], 0 offset:684
	buffer_load_dword v118, off, s[0:3], 0 offset:680
	;; [unrolled: 1-line block ×8, first 2 shown]
	v_mul_f64 v[8:9], v[186:187], v[64:65]
	v_fma_f64 v[14:15], v[180:181], v[90:91], -v[46:47]
	v_fma_f64 v[10:11], v[184:185], v[88:89], -v[8:9]
	buffer_load_dword v181, off, s[0:3], 0 offset:732
	buffer_load_dword v185, off, s[0:3], 0 offset:716
	;; [unrolled: 1-line block ×6, first 2 shown]
	v_mul_f64 v[46:47], v[192:193], v[188:189]
	buffer_load_dword v189, off, s[0:3], 0 offset:724
	buffer_load_dword v188, off, s[0:3], 0 offset:720
	v_fma_f64 v[8:9], v[190:191], v[56:57], -v[46:47]
	buffer_load_dword v182, off, s[0:3], 0 offset:760
	buffer_load_dword v193, off, s[0:3], 0 offset:748
	;; [unrolled: 1-line block ×8, first 2 shown]
	v_mul_f64 v[12:13], v[198:199], v[70:71]
	v_fma_f64 v[112:113], v[116:117], v[50:51], -v[48:49]
	ds_read_b128 v[46:49], v1 offset:1536
	v_fma_f64 v[12:13], v[196:197], v[82:83], -v[12:13]
	buffer_load_dword v197, off, s[0:3], 0 offset:780
	buffer_load_dword v196, off, s[0:3], 0 offset:776
	;; [unrolled: 1-line block ×4, first 2 shown]
	v_mul_f64 v[50:51], v[202:203], v[66:67]
	v_fma_f64 v[6:7], v[200:201], v[68:69], -v[50:51]
	buffer_load_dword v200, off, s[0:3], 0 offset:792
	buffer_load_dword v202, off, s[0:3], 0 offset:784
	;; [unrolled: 1-line block ×4, first 2 shown]
	v_mul_f64 v[16:17], v[206:207], v[78:79]
	buffer_load_dword v207, off, s[0:3], 0 offset:812
	buffer_load_dword v206, off, s[0:3], 0 offset:808
	;; [unrolled: 1-line block ×8, first 2 shown]
	v_mul_f64 v[50:51], v[216:217], v[76:77]
	v_fma_f64 v[16:17], v[204:205], v[80:81], -v[16:17]
	v_fma_f64 v[4:5], v[214:215], v[74:75], -v[50:51]
	buffer_load_dword v204, off, s[0:3], 0 offset:856
	buffer_load_dword v217, off, s[0:3], 0 offset:844
	;; [unrolled: 1-line block ×8, first 2 shown]
	s_waitcnt vmcnt(58) lgkmcnt(2)
	v_mul_f64 v[52:53], v[38:39], v[164:165]
	s_waitcnt vmcnt(56)
	v_fmac_f64_e32 v[52:53], v[40:41], v[166:167]
	v_mul_f64 v[50:51], v[222:223], v[72:73]
	v_add_f64 v[2:3], v[2:3], v[52:53]
	v_fma_f64 v[220:221], v[220:221], v[98:99], -v[50:51]
	ds_read_b128 v[50:53], v1 offset:1552
	ds_read_b128 v[54:57], v1 offset:1568
	s_waitcnt lgkmcnt(3)
	v_mul_f64 v[20:21], v[42:43], v[142:143]
	v_fmac_f64_e32 v[20:21], v[44:45], v[146:147]
	v_add_f64 v[2:3], v[2:3], v[20:21]
	s_waitcnt vmcnt(50) lgkmcnt(2)
	v_mul_f64 v[20:21], v[46:47], v[168:169]
	s_waitcnt vmcnt(48)
	v_fmac_f64_e32 v[20:21], v[48:49], v[170:171]
	v_add_f64 v[2:3], v[2:3], v[20:21]
	s_waitcnt lgkmcnt(1)
	v_mul_f64 v[20:21], v[50:51], v[150:151]
	v_fmac_f64_e32 v[20:21], v[52:53], v[154:155]
	v_add_f64 v[2:3], v[2:3], v[20:21]
	v_mul_f64 v[20:21], v[60:61], v[84:85]
	v_fma_f64 v[20:21], v[58:59], v[86:87], -v[20:21]
	ds_read_b128 v[58:61], v1 offset:1584
	v_mul_f64 v[70:71], v[230:231], v[92:93]
	v_fma_f64 v[222:223], v[228:229], v[94:95], -v[70:71]
	v_mul_f64 v[82:83], v[238:239], v[108:109]
	v_fma_f64 v[110:111], v[236:237], v[110:111], -v[82:83]
	;; [unrolled: 2-line block ×4, first 2 shown]
	v_add_f64 v[18:19], v[18:19], 0
	v_add_f64 v[18:19], v[18:19], v[112:113]
	ds_read_b128 v[70:73], v1 offset:1632
	v_add_f64 v[14:15], v[18:19], v[14:15]
	v_add_f64 v[10:11], v[14:15], v[10:11]
	;; [unrolled: 1-line block ×4, first 2 shown]
	ds_read_b128 v[82:85], v1 offset:1680
	v_add_f64 v[6:7], v[8:9], v[6:7]
	v_add_f64 v[6:7], v[6:7], v[16:17]
	;; [unrolled: 1-line block ×5, first 2 shown]
	v_accvgpr_read_b32 v6, a172
	ds_read_b128 v[90:93], v1 offset:1712
	v_accvgpr_read_b32 v7, a173
	v_accvgpr_read_b32 v8, a174
	v_mul_f64 v[6:7], v[138:139], v[6:7]
	v_accvgpr_read_b32 v9, a175
	v_fma_f64 v[6:7], v[136:137], v[8:9], -v[6:7]
	v_accvgpr_read_b32 v8, a178
	v_accvgpr_read_b32 v9, a179
	s_waitcnt vmcnt(46) lgkmcnt(4)
	v_mul_f64 v[66:67], v[54:55], v[118:119]
	s_waitcnt vmcnt(44)
	v_fmac_f64_e32 v[66:67], v[56:57], v[178:179]
	v_add_f64 v[2:3], v[2:3], v[66:67]
	v_mul_f64 v[66:67], v[226:227], v[96:97]
	v_fma_f64 v[252:253], v[224:225], v[252:253], -v[66:67]
	ds_read_b128 v[224:227], v1 offset:1600
	s_waitcnt vmcnt(41) lgkmcnt(4)
	v_mul_f64 v[66:67], v[58:59], v[174:175]
	s_waitcnt vmcnt(40)
	v_fmac_f64_e32 v[66:67], v[60:61], v[176:177]
	v_add_f64 v[2:3], v[2:3], v[66:67]
	ds_read_b128 v[66:69], v1 offset:1616
	s_waitcnt vmcnt(37) lgkmcnt(1)
	v_mul_f64 v[74:75], v[224:225], v[184:185]
	s_waitcnt vmcnt(35)
	v_fmac_f64_e32 v[74:75], v[226:227], v[186:187]
	v_add_f64 v[2:3], v[2:3], v[74:75]
	v_mul_f64 v[74:75], v[234:235], v[254:255]
	v_fma_f64 v[172:173], v[232:233], v[172:173], -v[74:75]
	ds_read_b128 v[74:77], v1 offset:1648
	s_waitcnt vmcnt(34) lgkmcnt(1)
	v_mul_f64 v[78:79], v[66:67], v[180:181]
	s_waitcnt vmcnt(32)
	v_fmac_f64_e32 v[78:79], v[68:69], v[188:189]
	v_add_f64 v[2:3], v[2:3], v[78:79]
	s_waitcnt vmcnt(29)
	v_mul_f64 v[78:79], v[70:71], v[192:193]
	s_waitcnt vmcnt(27)
	v_fmac_f64_e32 v[78:79], v[72:73], v[64:65]
	v_add_f64 v[2:3], v[2:3], v[78:79]
	s_waitcnt vmcnt(25) lgkmcnt(0)
	v_mul_f64 v[78:79], v[74:75], v[182:183]
	s_waitcnt vmcnt(24)
	v_fmac_f64_e32 v[78:79], v[76:77], v[190:191]
	v_add_f64 v[2:3], v[2:3], v[78:79]
	ds_read_b128 v[78:81], v1 offset:1664
	s_waitcnt vmcnt(17)
	v_mul_f64 v[62:63], v[82:83], v[200:201]
	s_waitcnt vmcnt(16)
	v_fmac_f64_e32 v[62:63], v[84:85], v[202:203]
	ds_read_b128 v[94:97], v1 offset:1728
	v_add_f64 v[4:5], v[4:5], v[252:253]
	s_waitcnt lgkmcnt(1)
	v_mul_f64 v[86:87], v[78:79], v[196:197]
	v_fmac_f64_e32 v[86:87], v[80:81], v[198:199]
	v_add_f64 v[2:3], v[2:3], v[86:87]
	ds_read_b128 v[86:89], v1 offset:1696
	v_add_f64 v[2:3], v[2:3], v[62:63]
	v_mul_f64 v[62:63], v[246:247], v[100:101]
	v_fma_f64 v[246:247], v[244:245], v[102:103], -v[62:63]
	ds_read_b128 v[98:101], v1 offset:1744
	s_waitcnt vmcnt(14) lgkmcnt(1)
	v_mul_f64 v[62:63], v[86:87], v[206:207]
	s_waitcnt vmcnt(12)
	v_fmac_f64_e32 v[62:63], v[88:89], v[210:211]
	v_add_f64 v[2:3], v[2:3], v[62:63]
	s_waitcnt vmcnt(10)
	v_mul_f64 v[62:63], v[90:91], v[208:209]
	s_waitcnt vmcnt(8)
	v_fmac_f64_e32 v[62:63], v[92:93], v[212:213]
	v_add_f64 v[2:3], v[2:3], v[62:63]
	s_waitcnt vmcnt(5)
	v_mul_f64 v[62:63], v[94:95], v[216:217]
	s_waitcnt vmcnt(3)
	v_fmac_f64_e32 v[62:63], v[96:97], v[218:219]
	v_add_f64 v[2:3], v[2:3], v[62:63]
	s_waitcnt vmcnt(1) lgkmcnt(0)
	v_mul_f64 v[62:63], v[98:99], v[204:205]
	s_waitcnt vmcnt(0)
	v_fmac_f64_e32 v[62:63], v[100:101], v[214:215]
	v_add_f64 v[106:107], v[2:3], v[62:63]
	buffer_load_dword v3, off, s[0:3], 0 offset:876
	buffer_load_dword v2, off, s[0:3], 0 offset:872
	;; [unrolled: 1-line block ×4, first 2 shown]
	ds_read_b128 v[102:105], v1 offset:1760
	buffer_load_dword v232, off, s[0:3], 0 offset:888
	buffer_load_dword v233, off, s[0:3], 0 offset:892
	;; [unrolled: 1-line block ×4, first 2 shown]
	v_add_f64 v[4:5], v[4:5], v[222:223]
	v_add_f64 v[4:5], v[4:5], v[172:173]
	;; [unrolled: 1-line block ×7, first 2 shown]
	v_mul_f64 v[6:7], v[134:135], v[140:141]
	v_fma_f64 v[6:7], v[132:133], v[144:145], -v[6:7]
	v_add_f64 v[4:5], v[4:5], v[6:7]
	v_accvgpr_read_b32 v6, a176
	v_accvgpr_read_b32 v7, a177
	v_mul_f64 v[6:7], v[130:131], v[6:7]
	v_fma_f64 v[6:7], v[128:129], v[8:9], -v[6:7]
	v_add_f64 v[4:5], v[4:5], v[6:7]
	v_mul_f64 v[6:7], v[126:127], v[148:149]
	v_fma_f64 v[6:7], v[124:125], v[152:153], -v[6:7]
	v_add_f64 v[4:5], v[4:5], v[6:7]
	v_accvgpr_read_b32 v6, a180
	v_accvgpr_read_b32 v7, a181
	v_accvgpr_read_b32 v8, a182
	v_mul_f64 v[6:7], v[122:123], v[6:7]
	v_accvgpr_read_b32 v9, a183
	v_fma_f64 v[6:7], v[120:121], v[8:9], -v[6:7]
	v_add_f64 v[4:5], v[4:5], v[6:7]
	v_mul_f64 v[6:7], v[24:25], v[156:157]
	v_fma_f64 v[6:7], v[22:23], v[158:159], -v[6:7]
	v_add_f64 v[4:5], v[4:5], v[6:7]
	v_accvgpr_read_b32 v6, a184
	v_accvgpr_read_b32 v7, a185
	v_accvgpr_read_b32 v8, a186
	v_mul_f64 v[6:7], v[28:29], v[6:7]
	v_accvgpr_read_b32 v9, a187
	;; [unrolled: 10-line block ×3, first 2 shown]
	v_fma_f64 v[6:7], v[34:35], v[8:9], -v[6:7]
	v_add_f64 v[4:5], v[4:5], v[6:7]
	v_mul_f64 v[6:7], v[40:41], v[164:165]
	v_fma_f64 v[6:7], v[38:39], v[166:167], -v[6:7]
	v_add_f64 v[4:5], v[4:5], v[6:7]
	v_mul_f64 v[6:7], v[44:45], v[142:143]
	;; [unrolled: 3-line block ×10, first 2 shown]
	v_fma_f64 v[6:7], v[74:75], v[190:191], -v[6:7]
	v_add_f64 v[4:5], v[4:5], v[6:7]
	s_waitcnt vmcnt(6) lgkmcnt(0)
	v_mul_f64 v[108:109], v[102:103], v[2:3]
	v_mul_f64 v[6:7], v[80:81], v[196:197]
	s_waitcnt vmcnt(4)
	v_fmac_f64_e32 v[108:109], v[104:105], v[62:63]
	v_add_f64 v[114:115], v[106:107], v[108:109]
	ds_read_b128 v[106:109], v1 offset:1776
	buffer_load_dword v237, off, s[0:3], 0 offset:908
	buffer_load_dword v236, off, s[0:3], 0 offset:904
	;; [unrolled: 1-line block ×4, first 2 shown]
	ds_read_b128 v[228:231], v1 offset:1792
	buffer_load_dword v242, off, s[0:3], 0 offset:920
	buffer_load_dword v243, off, s[0:3], 0 offset:924
	;; [unrolled: 1-line block ×4, first 2 shown]
	v_fma_f64 v[6:7], v[78:79], v[198:199], -v[6:7]
	s_waitcnt vmcnt(10) lgkmcnt(1)
	v_mul_f64 v[116:117], v[106:107], v[232:233]
	s_waitcnt vmcnt(8)
	v_fmac_f64_e32 v[116:117], v[108:109], v[234:235]
	v_add_f64 v[114:115], v[114:115], v[116:117]
	v_add_f64 v[4:5], v[4:5], v[6:7]
	v_mul_f64 v[6:7], v[84:85], v[200:201]
	v_fma_f64 v[6:7], v[82:83], v[202:203], -v[6:7]
	v_add_f64 v[4:5], v[4:5], v[6:7]
	v_mul_f64 v[6:7], v[88:89], v[206:207]
	v_fma_f64 v[6:7], v[86:87], v[210:211], -v[6:7]
	;; [unrolled: 3-line block ×5, first 2 shown]
	v_mul_f64 v[2:3], v[104:105], v[2:3]
	v_add_f64 v[4:5], v[4:5], v[6:7]
	v_fma_f64 v[2:3], v[102:103], v[62:63], -v[2:3]
	v_add_f64 v[2:3], v[4:5], v[2:3]
	v_mul_f64 v[4:5], v[108:109], v[232:233]
	v_fma_f64 v[4:5], v[106:107], v[234:235], -v[4:5]
	v_add_f64 v[2:3], v[2:3], v[4:5]
	s_waitcnt vmcnt(6) lgkmcnt(0)
	v_mul_f64 v[116:117], v[228:229], v[236:237]
	v_mul_f64 v[4:5], v[230:231], v[236:237]
	s_waitcnt vmcnt(4)
	v_fmac_f64_e32 v[116:117], v[230:231], v[238:239]
	v_add_f64 v[240:241], v[114:115], v[116:117]
	ds_read_b128 v[114:117], v1 offset:1808
	v_fma_f64 v[4:5], v[228:229], v[238:239], -v[4:5]
	v_add_f64 v[2:3], v[2:3], v[4:5]
	s_waitcnt vmcnt(2) lgkmcnt(0)
	v_mul_f64 v[248:249], v[114:115], v[242:243]
	s_waitcnt vmcnt(0)
	v_fmac_f64_e32 v[248:249], v[116:117], v[244:245]
	v_add_f64 v[240:241], v[240:241], v[248:249]
	buffer_load_dword v248, off, s[0:3], 0 offset:160
	buffer_load_dword v249, off, s[0:3], 0 offset:164
	;; [unrolled: 1-line block ×4, first 2 shown]
	v_mul_f64 v[4:5], v[116:117], v[242:243]
	v_fma_f64 v[4:5], v[114:115], v[244:245], -v[4:5]
	v_add_f64 v[2:3], v[2:3], v[4:5]
	s_waitcnt vmcnt(2)
	v_add_f64 v[2:3], v[248:249], -v[2:3]
	s_waitcnt vmcnt(0)
	v_add_f64 v[4:5], v[246:247], -v[240:241]
	buffer_store_dword v3, off, s[0:3], 0 offset:164
	buffer_store_dword v2, off, s[0:3], 0 offset:160
	;; [unrolled: 1-line block ×4, first 2 shown]
	s_and_saveexec_b64 s[4:5], vcc
	s_cbranch_execz .LBB56_339
; %bb.338:
	v_accvgpr_read_b32 v0, a162
	buffer_load_dword v2, v0, s[0:3], 0 offen
	buffer_load_dword v3, v0, s[0:3], 0 offen offset:4
	buffer_load_dword v4, v0, s[0:3], 0 offen offset:8
	buffer_load_dword v5, v0, s[0:3], 0 offen offset:12
	v_accvgpr_read_b32 v0, a171
	buffer_store_dword v1, off, s[0:3], 0 offset:144
	buffer_store_dword v1, off, s[0:3], 0 offset:148
	buffer_store_dword v1, off, s[0:3], 0 offset:152
	buffer_store_dword v1, off, s[0:3], 0 offset:156
	s_waitcnt vmcnt(4)
	ds_write_b128 v0, v[2:5]
.LBB56_339:
	s_or_b64 exec, exec, s[4:5]
	s_waitcnt lgkmcnt(0)
	; wave barrier
	s_waitcnt lgkmcnt(0)
	buffer_load_dword v42, off, s[0:3], 0 offset:160
	buffer_load_dword v43, off, s[0:3], 0 offset:164
	;; [unrolled: 1-line block ×42, first 2 shown]
	ds_read_b128 v[110:113], v1 offset:1056
	ds_read_b128 v[114:117], v1 offset:1072
	;; [unrolled: 1-line block ×10, first 2 shown]
	buffer_load_dword v119, off, s[0:3], 0 offset:308
	buffer_load_dword v118, off, s[0:3], 0 offset:304
	ds_read_b128 v[50:53], v1 offset:1216
	buffer_load_dword v89, off, s[0:3], 0 offset:364
	buffer_load_dword v88, off, s[0:3], 0 offset:360
	;; [unrolled: 1-line block ×8, first 2 shown]
	s_waitcnt vmcnt(48) lgkmcnt(10)
	v_mul_f64 v[2:3], v[110:111], v[48:49]
	v_fmac_f64_e32 v[2:3], v[112:113], v[42:43]
	v_add_f64 v[2:3], v[2:3], 0
	s_waitcnt vmcnt(44) lgkmcnt(9)
	v_mul_f64 v[4:5], v[114:115], v[54:55]
	v_fmac_f64_e32 v[4:5], v[116:117], v[44:45]
	v_add_f64 v[2:3], v[2:3], v[4:5]
	buffer_load_dword v107, off, s[0:3], 0 offset:396
	buffer_load_dword v106, off, s[0:3], 0 offset:392
	;; [unrolled: 1-line block ×26, first 2 shown]
	s_waitcnt vmcnt(62) lgkmcnt(8)
	v_mul_f64 v[6:7], v[176:177], v[46:47]
	s_waitcnt lgkmcnt(6)
	v_mul_f64 v[10:11], v[188:189], v[58:59]
	v_fmac_f64_e32 v[10:11], v[190:191], v[56:57]
	v_mul_f64 v[46:47], v[178:179], v[46:47]
	v_mul_f64 v[8:9], v[180:181], v[60:61]
	s_waitcnt vmcnt(60) lgkmcnt(4)
	v_mul_f64 v[14:15], v[196:197], v[208:209]
	s_waitcnt vmcnt(58)
	v_fmac_f64_e32 v[14:15], v[198:199], v[64:65]
	s_waitcnt vmcnt(56)
	v_mul_f64 v[12:13], v[192:193], v[66:67]
	s_waitcnt vmcnt(54) lgkmcnt(2)
	v_mul_f64 v[18:19], v[204:205], v[68:69]
	s_waitcnt vmcnt(51)
	v_mul_f64 v[16:17], v[200:201], v[74:75]
	s_waitcnt vmcnt(49) lgkmcnt(1)
	v_mul_f64 v[20:21], v[210:211], v[72:73]
	s_waitcnt vmcnt(47)
	v_fmac_f64_e32 v[6:7], v[178:179], v[82:83]
	v_add_f64 v[2:3], v[2:3], v[6:7]
	s_waitcnt vmcnt(45)
	v_fmac_f64_e32 v[8:9], v[182:183], v[80:81]
	v_add_f64 v[2:3], v[2:3], v[8:9]
	;; [unrolled: 3-line block ×3, first 2 shown]
	v_add_f64 v[2:3], v[2:3], v[12:13]
	s_waitcnt vmcnt(41)
	v_fmac_f64_e32 v[16:17], v[202:203], v[76:77]
	v_add_f64 v[2:3], v[2:3], v[14:15]
	s_waitcnt vmcnt(40)
	v_fmac_f64_e32 v[18:19], v[206:207], v[70:71]
	v_add_f64 v[2:3], v[2:3], v[16:17]
	v_add_f64 v[2:3], v[2:3], v[18:19]
	s_waitcnt vmcnt(34)
	v_fmac_f64_e32 v[20:21], v[212:213], v[118:119]
	v_add_f64 v[2:3], v[2:3], v[20:21]
	s_waitcnt vmcnt(0)
	v_pk_mov_b32 v[18:19], v[4:5], v[4:5] op_sel:[0,1]
	buffer_load_dword v5, off, s[0:3], 0 offset:484
	buffer_load_dword v7, off, s[0:3], 0 offset:476
	;; [unrolled: 1-line block ×3, first 2 shown]
	v_accvgpr_write_b32 a177, v19
	v_accvgpr_write_b32 a176, v18
	s_waitcnt vmcnt(0)
	v_pk_mov_b32 v[14:15], v[6:7], v[6:7] op_sel:[0,1]
	buffer_load_dword v7, off, s[0:3], 0 offset:468
	buffer_load_dword v6, off, s[0:3], 0 offset:464
	;; [unrolled: 1-line block ×3, first 2 shown]
	v_accvgpr_write_b32 a173, v15
	v_accvgpr_write_b32 a172, v14
	s_waitcnt vmcnt(1)
	v_pk_mov_b32 v[16:17], v[6:7], v[6:7] op_sel:[0,1]
	s_waitcnt vmcnt(0)
	v_pk_mov_b32 v[22:23], v[4:5], v[4:5] op_sel:[0,1]
	buffer_load_dword v5, off, s[0:3], 0 offset:524
	buffer_load_dword v4, off, s[0:3], 0 offset:520
	v_accvgpr_write_b32 a175, v17
	v_accvgpr_write_b32 a174, v16
	;; [unrolled: 1-line block ×4, first 2 shown]
	s_waitcnt vmcnt(0)
	v_pk_mov_b32 v[26:27], v[4:5], v[4:5] op_sel:[0,1]
	buffer_load_dword v5, off, s[0:3], 0 offset:516
	buffer_load_dword v7, off, s[0:3], 0 offset:508
	;; [unrolled: 1-line block ×6, first 2 shown]
	v_accvgpr_write_b32 a183, v27
	v_accvgpr_write_b32 a182, v26
	s_waitcnt vmcnt(3)
	v_pk_mov_b32 v[24:25], v[6:7], v[6:7] op_sel:[0,1]
	s_waitcnt vmcnt(0)
	v_pk_mov_b32 v[28:29], v[4:5], v[4:5] op_sel:[0,1]
	buffer_load_dword v5, off, s[0:3], 0 offset:556
	buffer_load_dword v4, off, s[0:3], 0 offset:552
	v_accvgpr_write_b32 a181, v25
	v_accvgpr_write_b32 a180, v24
	v_accvgpr_write_b32 a185, v29
	v_accvgpr_write_b32 a184, v28
	s_waitcnt vmcnt(0)
	v_pk_mov_b32 v[34:35], v[4:5], v[4:5] op_sel:[0,1]
	buffer_load_dword v5, off, s[0:3], 0 offset:548
	buffer_load_dword v151, off, s[0:3], 0 offset:540
	;; [unrolled: 1-line block ×6, first 2 shown]
	v_accvgpr_write_b32 a187, v35
	v_accvgpr_write_b32 a186, v34
	s_waitcnt vmcnt(0)
	v_pk_mov_b32 v[36:37], v[4:5], v[4:5] op_sel:[0,1]
	buffer_load_dword v5, off, s[0:3], 0 offset:588
	buffer_load_dword v4, off, s[0:3], 0 offset:584
	v_accvgpr_write_b32 a189, v37
	v_accvgpr_write_b32 a188, v36
	s_waitcnt vmcnt(0)
	v_pk_mov_b32 v[38:39], v[4:5], v[4:5] op_sel:[0,1]
	buffer_load_dword v5, off, s[0:3], 0 offset:580
	buffer_load_dword v155, off, s[0:3], 0 offset:572
	;; [unrolled: 1-line block ×6, first 2 shown]
	v_accvgpr_write_b32 a191, v39
	v_accvgpr_write_b32 a190, v38
	s_waitcnt vmcnt(0)
	v_pk_mov_b32 v[40:41], v[4:5], v[4:5] op_sel:[0,1]
	buffer_load_dword v5, off, s[0:3], 0 offset:620
	buffer_load_dword v4, off, s[0:3], 0 offset:616
	;; [unrolled: 1-line block ×14, first 2 shown]
	ds_read_b128 v[220:223], v1 offset:1232
	ds_read_b128 v[224:227], v1 offset:1248
	;; [unrolled: 1-line block ×12, first 2 shown]
	s_waitcnt lgkmcnt(4)
	v_mul_f64 v[8:9], v[252:253], v[98:99]
	ds_read_b128 v[124:127], v1 offset:1424
	ds_read_b128 v[120:123], v1 offset:1440
	v_fmac_f64_e32 v[8:9], v[254:255], v[100:101]
	s_waitcnt lgkmcnt(5)
	v_mul_f64 v[12:13], v[140:141], v[14:15]
	v_fmac_f64_e32 v[12:13], v[142:143], v[16:17]
	s_waitcnt lgkmcnt(4)
	v_mul_f64 v[16:17], v[136:137], v[18:19]
	;; [unrolled: 3-line block ×6, first 2 shown]
	v_fmac_f64_e32 v[32:33], v[122:123], v[36:37]
	v_accvgpr_write_b32 a193, v41
	v_accvgpr_write_b32 a192, v40
	s_waitcnt vmcnt(12)
	v_pk_mov_b32 v[170:171], v[4:5], v[4:5] op_sel:[0,1]
	v_mul_f64 v[4:5], v[50:51], v[84:85]
	v_fmac_f64_e32 v[4:5], v[52:53], v[86:87]
	v_add_f64 v[2:3], v[2:3], v[4:5]
	v_mul_f64 v[4:5], v[220:221], v[96:97]
	v_fmac_f64_e32 v[4:5], v[222:223], v[248:249]
	v_add_f64 v[2:3], v[2:3], v[4:5]
	v_mul_f64 v[4:5], v[224:225], v[88:89]
	v_fmac_f64_e32 v[4:5], v[226:227], v[90:91]
	v_add_f64 v[2:3], v[2:3], v[4:5]
	v_mul_f64 v[4:5], v[228:229], v[250:251]
	v_fmac_f64_e32 v[4:5], v[230:231], v[214:215]
	v_add_f64 v[2:3], v[2:3], v[4:5]
	v_mul_f64 v[4:5], v[232:233], v[106:107]
	v_fmac_f64_e32 v[4:5], v[234:235], v[108:109]
	v_add_f64 v[2:3], v[2:3], v[4:5]
	v_mul_f64 v[4:5], v[236:237], v[62:63]
	v_fmac_f64_e32 v[4:5], v[238:239], v[216:217]
	v_add_f64 v[2:3], v[2:3], v[4:5]
	v_mul_f64 v[4:5], v[240:241], v[92:93]
	v_fmac_f64_e32 v[4:5], v[242:243], v[94:95]
	v_add_f64 v[2:3], v[2:3], v[4:5]
	v_mul_f64 v[4:5], v[244:245], v[102:103]
	v_fmac_f64_e32 v[4:5], v[246:247], v[104:105]
	v_add_f64 v[6:7], v[2:3], v[4:5]
	v_add_f64 v[10:11], v[6:7], v[8:9]
	v_add_f64 v[14:15], v[10:11], v[12:13]
	;; [unrolled: 1-line block ×6, first 2 shown]
	ds_read_b128 v[26:29], v1 offset:1456
	v_add_f64 v[34:35], v[30:31], v[32:33]
	ds_read_b128 v[30:33], v1 offset:1472
	v_accvgpr_write_b32 a195, v171
	v_accvgpr_write_b32 a194, v170
	s_waitcnt lgkmcnt(1)
	v_mul_f64 v[36:37], v[26:27], v[154:155]
	v_fmac_f64_e32 v[36:37], v[28:29], v[156:157]
	v_add_f64 v[166:167], v[34:35], v[36:37]
	ds_read_b128 v[34:37], v1 offset:1488
	s_waitcnt lgkmcnt(1)
	v_mul_f64 v[168:169], v[30:31], v[38:39]
	v_fmac_f64_e32 v[168:169], v[32:33], v[40:41]
	ds_read_b128 v[38:41], v1 offset:1504
	v_add_f64 v[166:167], v[166:167], v[168:169]
	s_waitcnt vmcnt(9) lgkmcnt(1)
	v_mul_f64 v[168:169], v[34:35], v[158:159]
	s_waitcnt vmcnt(7)
	v_fmac_f64_e32 v[168:169], v[36:37], v[162:163]
	v_add_f64 v[166:167], v[166:167], v[168:169]
	s_waitcnt lgkmcnt(0)
	v_mul_f64 v[168:169], v[38:39], v[170:171]
	s_waitcnt vmcnt(6)
	v_fmac_f64_e32 v[168:169], v[40:41], v[144:145]
	v_add_f64 v[2:3], v[166:167], v[168:169]
	buffer_load_dword v169, off, s[0:3], 0 offset:644
	buffer_load_dword v168, off, s[0:3], 0 offset:640
	;; [unrolled: 1-line block ×10, first 2 shown]
	v_mul_f64 v[4:5], v[112:113], v[48:49]
	v_fma_f64 v[22:23], v[110:111], v[42:43], -v[4:5]
	v_mul_f64 v[42:43], v[116:117], v[54:55]
	v_fma_f64 v[110:111], v[114:115], v[44:45], -v[42:43]
	ds_read_b128 v[42:45], v1 offset:1520
	v_fma_f64 v[112:113], v[176:177], v[82:83], -v[46:47]
	v_mul_f64 v[46:47], v[182:183], v[60:61]
	buffer_load_dword v177, off, s[0:3], 0 offset:700
	buffer_load_dword v176, off, s[0:3], 0 offset:696
	;; [unrolled: 1-line block ×4, first 2 shown]
	v_fma_f64 v[80:81], v[180:181], v[80:81], -v[46:47]
	buffer_load_dword v181, off, s[0:3], 0 offset:716
	buffer_load_dword v180, off, s[0:3], 0 offset:712
	;; [unrolled: 1-line block ×8, first 2 shown]
	v_mul_f64 v[46:47], v[190:191], v[58:59]
	v_fma_f64 v[190:191], v[188:189], v[56:57], -v[46:47]
	buffer_load_dword v188, off, s[0:3], 0 offset:744
	v_mul_f64 v[46:47], v[194:195], v[66:67]
	v_fma_f64 v[18:19], v[192:193], v[78:79], -v[46:47]
	buffer_load_dword v192, off, s[0:3], 0 offset:736
	buffer_load_dword v189, off, s[0:3], 0 offset:748
	;; [unrolled: 1-line block ×3, first 2 shown]
	v_mul_f64 v[8:9], v[198:199], v[208:209]
	v_fma_f64 v[14:15], v[196:197], v[64:65], -v[8:9]
	buffer_load_dword v78, off, s[0:3], 0 offset:776
	buffer_load_dword v197, off, s[0:3], 0 offset:764
	;; [unrolled: 1-line block ×8, first 2 shown]
	v_mul_f64 v[48:49], v[202:203], v[74:75]
	v_fma_f64 v[10:11], v[200:201], v[76:77], -v[48:49]
	buffer_load_dword v201, off, s[0:3], 0 offset:796
	buffer_load_dword v200, off, s[0:3], 0 offset:792
	;; [unrolled: 1-line block ×4, first 2 shown]
	v_mul_f64 v[12:13], v[206:207], v[68:69]
	buffer_load_dword v207, off, s[0:3], 0 offset:812
	buffer_load_dword v206, off, s[0:3], 0 offset:808
	;; [unrolled: 1-line block ×4, first 2 shown]
	v_mul_f64 v[48:49], v[212:213], v[72:73]
	v_fma_f64 v[12:13], v[204:205], v[70:71], -v[12:13]
	v_fma_f64 v[8:9], v[210:211], v[118:119], -v[48:49]
	buffer_load_dword v204, off, s[0:3], 0 offset:840
	buffer_load_dword v213, off, s[0:3], 0 offset:828
	;; [unrolled: 1-line block ×12, first 2 shown]
	s_waitcnt vmcnt(56) lgkmcnt(0)
	v_mul_f64 v[46:47], v[42:43], v[160:161]
	s_waitcnt vmcnt(54)
	v_fmac_f64_e32 v[46:47], v[44:45], v[164:165]
	v_add_f64 v[2:3], v[2:3], v[46:47]
	ds_read_b128 v[46:49], v1 offset:1536
	v_mul_f64 v[16:17], v[52:53], v[84:85]
	v_fma_f64 v[16:17], v[50:51], v[86:87], -v[16:17]
	ds_read_b128 v[50:53], v1 offset:1552
	v_mul_f64 v[54:55], v[222:223], v[96:97]
	v_fma_f64 v[248:249], v[220:221], v[248:249], -v[54:55]
	ds_read_b128 v[54:57], v1 offset:1568
	s_waitcnt lgkmcnt(2)
	v_mul_f64 v[58:59], v[46:47], v[148:149]
	v_mul_f64 v[66:67], v[226:227], v[88:89]
	v_fma_f64 v[220:221], v[224:225], v[90:91], -v[66:67]
	ds_read_b128 v[224:227], v1 offset:1600
	v_mul_f64 v[66:67], v[230:231], v[250:251]
	v_fma_f64 v[250:251], v[228:229], v[214:215], -v[66:67]
	v_mul_f64 v[74:75], v[234:235], v[106:107]
	v_fma_f64 v[6:7], v[232:233], v[108:109], -v[74:75]
	ds_read_b128 v[228:231], v1 offset:1664
	ds_read_b128 v[82:85], v1 offset:1680
	;; [unrolled: 1-line block ×3, first 2 shown]
	v_mul_f64 v[62:63], v[238:239], v[62:63]
	v_fma_f64 v[62:63], v[236:237], v[216:217], -v[62:63]
	v_add_f64 v[22:23], v[22:23], 0
	v_add_f64 v[22:23], v[22:23], v[110:111]
	;; [unrolled: 1-line block ×4, first 2 shown]
	ds_read_b128 v[66:69], v1 offset:1616
	v_add_f64 v[22:23], v[22:23], v[190:191]
	v_add_f64 v[18:19], v[22:23], v[18:19]
	;; [unrolled: 1-line block ×10, first 2 shown]
	ds_read_b128 v[74:77], v1 offset:1648
	v_add_f64 v[6:7], v[8:9], v[6:7]
	v_add_f64 v[6:7], v[6:7], v[62:63]
	s_waitcnt vmcnt(52)
	v_fmac_f64_e32 v[58:59], v[48:49], v[168:169]
	v_add_f64 v[2:3], v[2:3], v[58:59]
	s_waitcnt vmcnt(49) lgkmcnt(7)
	v_mul_f64 v[58:59], v[50:51], v[172:173]
	s_waitcnt vmcnt(47)
	v_fmac_f64_e32 v[58:59], v[52:53], v[174:175]
	v_add_f64 v[2:3], v[2:3], v[58:59]
	s_waitcnt vmcnt(45) lgkmcnt(6)
	v_mul_f64 v[58:59], v[54:55], v[166:167]
	s_waitcnt vmcnt(44)
	v_fmac_f64_e32 v[58:59], v[56:57], v[170:171]
	v_add_f64 v[2:3], v[2:3], v[58:59]
	ds_read_b128 v[58:61], v1 offset:1584
	s_waitcnt vmcnt(42) lgkmcnt(0)
	v_mul_f64 v[70:71], v[58:59], v[176:177]
	s_waitcnt vmcnt(40)
	v_fmac_f64_e32 v[70:71], v[60:61], v[178:179]
	v_add_f64 v[2:3], v[2:3], v[70:71]
	s_waitcnt vmcnt(38)
	v_mul_f64 v[70:71], v[224:225], v[180:181]
	s_waitcnt vmcnt(36)
	v_fmac_f64_e32 v[70:71], v[226:227], v[184:185]
	v_add_f64 v[2:3], v[2:3], v[70:71]
	s_waitcnt vmcnt(34)
	v_mul_f64 v[70:71], v[66:67], v[182:183]
	s_waitcnt vmcnt(32)
	v_fmac_f64_e32 v[70:71], v[68:69], v[186:187]
	v_add_f64 v[2:3], v[2:3], v[70:71]
	ds_read_b128 v[70:73], v1 offset:1632
	s_waitcnt vmcnt(18)
	v_mul_f64 v[24:25], v[82:83], v[200:201]
	s_waitcnt vmcnt(16)
	v_fmac_f64_e32 v[24:25], v[84:85], v[202:203]
	s_waitcnt lgkmcnt(0)
	v_mul_f64 v[20:21], v[70:71], v[188:189]
	v_fmac_f64_e32 v[20:21], v[72:73], v[192:193]
	v_add_f64 v[2:3], v[2:3], v[20:21]
	v_mul_f64 v[20:21], v[74:75], v[196:197]
	v_fmac_f64_e32 v[20:21], v[76:77], v[198:199]
	v_add_f64 v[2:3], v[2:3], v[20:21]
	;; [unrolled: 3-line block ×3, first 2 shown]
	v_mul_f64 v[20:21], v[242:243], v[92:93]
	ds_read_b128 v[90:93], v1 offset:1712
	v_add_f64 v[2:3], v[2:3], v[24:25]
	s_waitcnt vmcnt(14)
	v_mul_f64 v[24:25], v[86:87], v[206:207]
	v_fma_f64 v[4:5], v[240:241], v[94:95], -v[20:21]
	s_waitcnt vmcnt(12)
	v_fmac_f64_e32 v[24:25], v[88:89], v[208:209]
	ds_read_b128 v[94:97], v1 offset:1728
	v_add_f64 v[2:3], v[2:3], v[24:25]
	v_mul_f64 v[24:25], v[254:255], v[98:99]
	v_fma_f64 v[252:253], v[252:253], v[100:101], -v[24:25]
	ds_read_b128 v[98:101], v1 offset:1744
	s_waitcnt vmcnt(9) lgkmcnt(2)
	v_mul_f64 v[24:25], v[90:91], v[212:213]
	s_waitcnt vmcnt(7)
	v_fmac_f64_e32 v[24:25], v[92:93], v[64:65]
	v_add_f64 v[2:3], v[2:3], v[24:25]
	s_waitcnt vmcnt(5) lgkmcnt(1)
	v_mul_f64 v[24:25], v[94:95], v[204:205]
	s_waitcnt vmcnt(4)
	v_fmac_f64_e32 v[24:25], v[96:97], v[210:211]
	v_add_f64 v[2:3], v[2:3], v[24:25]
	;; [unrolled: 5-line block ×3, first 2 shown]
	buffer_load_dword v2, off, s[0:3], 0 offset:872
	buffer_load_dword v3, off, s[0:3], 0 offset:876
	;; [unrolled: 1-line block ×4, first 2 shown]
	v_mul_f64 v[20:21], v[246:247], v[102:103]
	v_fma_f64 v[20:21], v[244:245], v[104:105], -v[20:21]
	ds_read_b128 v[102:105], v1 offset:1760
	buffer_load_dword v233, off, s[0:3], 0 offset:892
	buffer_load_dword v232, off, s[0:3], 0 offset:888
	;; [unrolled: 1-line block ×4, first 2 shown]
	v_add_f64 v[254:255], v[6:7], v[4:5]
	v_add_f64 v[4:5], v[254:255], v[20:21]
	;; [unrolled: 1-line block ×3, first 2 shown]
	s_waitcnt vmcnt(6) lgkmcnt(0)
	v_mul_f64 v[106:107], v[102:103], v[2:3]
	v_mul_f64 v[2:3], v[104:105], v[2:3]
	s_waitcnt vmcnt(4)
	v_fmac_f64_e32 v[106:107], v[104:105], v[222:223]
	v_add_f64 v[24:25], v[24:25], v[106:107]
	ds_read_b128 v[106:109], v1 offset:1776
	buffer_load_dword v236, off, s[0:3], 0 offset:904
	buffer_load_dword v237, off, s[0:3], 0 offset:908
	;; [unrolled: 1-line block ×4, first 2 shown]
	ds_read_b128 v[214:217], v1 offset:1792
	buffer_load_dword v243, off, s[0:3], 0 offset:924
	buffer_load_dword v242, off, s[0:3], 0 offset:920
	;; [unrolled: 1-line block ×4, first 2 shown]
	v_fma_f64 v[2:3], v[102:103], v[222:223], -v[2:3]
	s_waitcnt vmcnt(10) lgkmcnt(1)
	v_mul_f64 v[114:115], v[106:107], v[232:233]
	s_waitcnt vmcnt(8)
	v_fmac_f64_e32 v[114:115], v[108:109], v[234:235]
	v_add_f64 v[24:25], v[24:25], v[114:115]
	s_waitcnt vmcnt(6) lgkmcnt(0)
	v_mul_f64 v[114:115], v[214:215], v[236:237]
	s_waitcnt vmcnt(4)
	v_fmac_f64_e32 v[114:115], v[216:217], v[238:239]
	v_add_f64 v[24:25], v[24:25], v[114:115]
	ds_read_b128 v[114:117], v1 offset:1808
	buffer_load_dword v248, off, s[0:3], 0 offset:144
	buffer_load_dword v249, off, s[0:3], 0 offset:148
	;; [unrolled: 1-line block ×4, first 2 shown]
	v_accvgpr_read_b32 v0, a172
	v_accvgpr_read_b32 v1, a173
	v_mul_f64 v[6:7], v[142:143], v[0:1]
	v_accvgpr_read_b32 v0, a174
	v_accvgpr_read_b32 v1, a175
	v_fma_f64 v[6:7], v[140:141], v[0:1], -v[6:7]
	v_accvgpr_read_b32 v0, a176
	v_accvgpr_read_b32 v1, a177
	v_add_f64 v[4:5], v[4:5], v[6:7]
	v_mul_f64 v[6:7], v[138:139], v[0:1]
	v_accvgpr_read_b32 v0, a178
	v_accvgpr_read_b32 v1, a179
	v_fma_f64 v[6:7], v[136:137], v[0:1], -v[6:7]
	v_accvgpr_read_b32 v0, a180
	v_accvgpr_read_b32 v1, a181
	v_add_f64 v[4:5], v[4:5], v[6:7]
	v_mul_f64 v[6:7], v[134:135], v[0:1]
	v_accvgpr_read_b32 v0, a182
	v_fma_f64 v[6:7], v[132:133], v[146:147], -v[6:7]
	v_accvgpr_read_b32 v1, a183
	v_add_f64 v[4:5], v[4:5], v[6:7]
	v_mul_f64 v[6:7], v[130:131], v[0:1]
	v_accvgpr_read_b32 v0, a184
	v_accvgpr_read_b32 v1, a185
	v_fma_f64 v[6:7], v[128:129], v[0:1], -v[6:7]
	v_add_f64 v[4:5], v[4:5], v[6:7]
	v_mul_f64 v[6:7], v[126:127], v[150:151]
	v_accvgpr_read_b32 v0, a186
	v_fma_f64 v[6:7], v[124:125], v[152:153], -v[6:7]
	v_accvgpr_read_b32 v1, a187
	v_add_f64 v[4:5], v[4:5], v[6:7]
	v_mul_f64 v[6:7], v[122:123], v[0:1]
	v_accvgpr_read_b32 v0, a188
	v_accvgpr_read_b32 v1, a189
	v_fma_f64 v[6:7], v[120:121], v[0:1], -v[6:7]
	;; [unrolled: 10-line block ×3, first 2 shown]
	v_add_f64 v[4:5], v[4:5], v[6:7]
	v_mul_f64 v[6:7], v[36:37], v[158:159]
	v_accvgpr_read_b32 v0, a194
	v_fma_f64 v[6:7], v[34:35], v[162:163], -v[6:7]
	v_accvgpr_read_b32 v1, a195
	v_add_f64 v[4:5], v[4:5], v[6:7]
	v_mul_f64 v[6:7], v[40:41], v[0:1]
	v_fma_f64 v[6:7], v[38:39], v[144:145], -v[6:7]
	v_add_f64 v[4:5], v[4:5], v[6:7]
	v_mul_f64 v[6:7], v[44:45], v[160:161]
	v_fma_f64 v[6:7], v[42:43], v[164:165], -v[6:7]
	;; [unrolled: 3-line block ×16, first 2 shown]
	v_add_f64 v[4:5], v[4:5], v[6:7]
	v_add_f64 v[2:3], v[4:5], v[2:3]
	v_mul_f64 v[4:5], v[108:109], v[232:233]
	v_fma_f64 v[4:5], v[106:107], v[234:235], -v[4:5]
	v_add_f64 v[2:3], v[2:3], v[4:5]
	v_mul_f64 v[4:5], v[216:217], v[236:237]
	v_fma_f64 v[4:5], v[214:215], v[238:239], -v[4:5]
	v_add_f64 v[2:3], v[2:3], v[4:5]
	s_waitcnt vmcnt(6) lgkmcnt(0)
	v_mul_f64 v[4:5], v[116:117], v[242:243]
	v_mul_f64 v[240:241], v[114:115], v[242:243]
	s_waitcnt vmcnt(4)
	v_fma_f64 v[4:5], v[114:115], v[244:245], -v[4:5]
	v_fmac_f64_e32 v[240:241], v[116:117], v[244:245]
	v_add_f64 v[2:3], v[2:3], v[4:5]
	v_accvgpr_read_b32 v0, a170
	v_add_f64 v[240:241], v[24:25], v[240:241]
	s_waitcnt vmcnt(2)
	v_add_f64 v[2:3], v[248:249], -v[2:3]
	v_cmp_lt_u32_e32 vcc, 7, v0
	s_waitcnt vmcnt(0)
	v_add_f64 v[4:5], v[246:247], -v[240:241]
	buffer_store_dword v3, off, s[0:3], 0 offset:148
	buffer_store_dword v2, off, s[0:3], 0 offset:144
	;; [unrolled: 1-line block ×4, first 2 shown]
	s_and_saveexec_b64 s[4:5], vcc
	s_cbranch_execz .LBB56_341
; %bb.340:
	v_accvgpr_read_b32 v0, a163
	buffer_load_dword v2, v0, s[0:3], 0 offen
	buffer_load_dword v3, v0, s[0:3], 0 offen offset:4
	buffer_load_dword v4, v0, s[0:3], 0 offen offset:8
	buffer_load_dword v5, v0, s[0:3], 0 offen offset:12
	v_mov_b32_e32 v0, 0
	v_accvgpr_read_b32 v1, a171
	buffer_store_dword v0, off, s[0:3], 0 offset:128
	buffer_store_dword v0, off, s[0:3], 0 offset:132
	;; [unrolled: 1-line block ×4, first 2 shown]
	s_waitcnt vmcnt(4)
	ds_write_b128 v1, v[2:5]
.LBB56_341:
	s_or_b64 exec, exec, s[4:5]
	s_waitcnt lgkmcnt(0)
	; wave barrier
	s_waitcnt lgkmcnt(0)
	buffer_load_dword v38, off, s[0:3], 0 offset:144
	buffer_load_dword v39, off, s[0:3], 0 offset:148
	;; [unrolled: 1-line block ×42, first 2 shown]
	v_mov_b32_e32 v1, 0
	buffer_load_dword v99, off, s[0:3], 0 offset:292
	buffer_load_dword v98, off, s[0:3], 0 offset:288
	;; [unrolled: 1-line block ×7, first 2 shown]
	ds_read_b128 v[108:111], v1 offset:1040
	ds_read_b128 v[112:115], v1 offset:1056
	;; [unrolled: 1-line block ×11, first 2 shown]
	v_accvgpr_read_b32 v0, a170
	v_cmp_lt_u32_e32 vcc, 6, v0
	s_waitcnt vmcnt(45) lgkmcnt(10)
	v_mul_f64 v[2:3], v[108:109], v[40:41]
	v_fmac_f64_e32 v[2:3], v[110:111], v[38:39]
	v_add_f64 v[2:3], v[2:3], 0
	v_mul_f64 v[40:41], v[110:111], v[40:41]
	s_waitcnt vmcnt(41) lgkmcnt(9)
	v_mul_f64 v[4:5], v[112:113], v[46:47]
	v_fmac_f64_e32 v[4:5], v[114:115], v[44:45]
	v_add_f64 v[2:3], v[2:3], v[4:5]
	buffer_load_dword v84, off, s[0:3], 0 offset:328
	buffer_load_dword v253, off, s[0:3], 0 offset:324
	buffer_load_dword v252, off, s[0:3], 0 offset:320
	buffer_load_dword v105, off, s[0:3], 0 offset:380
	buffer_load_dword v104, off, s[0:3], 0 offset:376
	buffer_load_dword v107, off, s[0:3], 0 offset:372
	buffer_load_dword v106, off, s[0:3], 0 offset:368
	buffer_load_dword v255, off, s[0:3], 0 offset:364
	buffer_load_dword v254, off, s[0:3], 0 offset:360
	buffer_load_dword v177, off, s[0:3], 0 offset:356
	buffer_load_dword v176, off, s[0:3], 0 offset:352
	buffer_load_dword v87, off, s[0:3], 0 offset:412
	buffer_load_dword v86, off, s[0:3], 0 offset:408
	buffer_load_dword v89, off, s[0:3], 0 offset:404
	buffer_load_dword v88, off, s[0:3], 0 offset:400
	buffer_load_dword v59, off, s[0:3], 0 offset:396
	buffer_load_dword v58, off, s[0:3], 0 offset:392
	buffer_load_dword v213, off, s[0:3], 0 offset:388
	buffer_load_dword v212, off, s[0:3], 0 offset:384
	buffer_load_dword v91, off, s[0:3], 0 offset:444
	buffer_load_dword v90, off, s[0:3], 0 offset:440
	buffer_load_dword v93, off, s[0:3], 0 offset:436
	buffer_load_dword v92, off, s[0:3], 0 offset:432
	buffer_load_dword v101, off, s[0:3], 0 offset:428
	buffer_load_dword v100, off, s[0:3], 0 offset:424
	buffer_load_dword v103, off, s[0:3], 0 offset:420
	buffer_load_dword v102, off, s[0:3], 0 offset:416
	buffer_load_dword v5, off, s[0:3], 0 offset:476
	buffer_load_dword v4, off, s[0:3], 0 offset:472
	s_waitcnt vmcnt(62) lgkmcnt(8)
	v_mul_f64 v[6:7], v[116:117], v[42:43]
	s_waitcnt lgkmcnt(6)
	v_mul_f64 v[10:11], v[182:183], v[48:49]
	v_fmac_f64_e32 v[10:11], v[184:185], v[50:51]
	v_mul_f64 v[42:43], v[118:119], v[42:43]
	v_mul_f64 v[8:9], v[172:173], v[178:179]
	;; [unrolled: 1-line block ×3, first 2 shown]
	s_waitcnt vmcnt(60) lgkmcnt(4)
	v_mul_f64 v[14:15], v[192:193], v[56:57]
	s_waitcnt vmcnt(58)
	v_fmac_f64_e32 v[14:15], v[194:195], v[54:55]
	s_waitcnt vmcnt(56)
	v_mul_f64 v[12:13], v[186:187], v[190:191]
	s_waitcnt vmcnt(54) lgkmcnt(2)
	v_mul_f64 v[18:19], v[200:201], v[64:65]
	s_waitcnt vmcnt(51)
	v_mul_f64 v[16:17], v[196:197], v[66:67]
	s_waitcnt vmcnt(49) lgkmcnt(1)
	v_mul_f64 v[20:21], v[204:205], v[60:61]
	s_waitcnt vmcnt(47)
	v_fmac_f64_e32 v[6:7], v[118:119], v[74:75]
	v_add_f64 v[2:3], v[2:3], v[6:7]
	s_waitcnt vmcnt(45)
	v_fmac_f64_e32 v[8:9], v[174:175], v[72:73]
	v_add_f64 v[2:3], v[2:3], v[8:9]
	;; [unrolled: 3-line block ×3, first 2 shown]
	v_add_f64 v[2:3], v[2:3], v[12:13]
	v_add_f64 v[2:3], v[2:3], v[14:15]
	s_waitcnt vmcnt(41)
	v_fmac_f64_e32 v[16:17], v[198:199], v[68:69]
	v_add_f64 v[2:3], v[2:3], v[16:17]
	s_waitcnt vmcnt(40)
	v_fmac_f64_e32 v[18:19], v[202:203], v[62:63]
	;; [unrolled: 3-line block ×3, first 2 shown]
	v_add_f64 v[2:3], v[2:3], v[20:21]
	v_fma_f64 v[74:75], v[116:117], v[74:75], -v[42:43]
	v_mul_f64 v[42:43], v[174:175], v[178:179]
	v_fma_f64 v[214:215], v[172:173], v[72:73], -v[42:43]
	s_waitcnt vmcnt(0)
	v_pk_mov_b32 v[14:15], v[4:5], v[4:5] op_sel:[0,1]
	buffer_load_dword v5, off, s[0:3], 0 offset:468
	buffer_load_dword v4, off, s[0:3], 0 offset:464
	v_accvgpr_write_b32 a173, v15
	v_accvgpr_write_b32 a172, v14
	s_waitcnt vmcnt(0)
	v_pk_mov_b32 v[16:17], v[4:5], v[4:5] op_sel:[0,1]
	buffer_load_dword v95, off, s[0:3], 0 offset:460
	buffer_load_dword v94, off, s[0:3], 0 offset:456
	;; [unrolled: 1-line block ×6, first 2 shown]
	v_accvgpr_write_b32 a175, v17
	v_accvgpr_write_b32 a174, v16
	s_waitcnt vmcnt(0)
	v_pk_mov_b32 v[22:23], v[4:5], v[4:5] op_sel:[0,1]
	buffer_load_dword v5, off, s[0:3], 0 offset:500
	buffer_load_dword v4, off, s[0:3], 0 offset:496
	v_accvgpr_write_b32 a179, v23
	v_accvgpr_write_b32 a178, v22
	s_waitcnt vmcnt(0)
	v_pk_mov_b32 v[24:25], v[4:5], v[4:5] op_sel:[0,1]
	buffer_load_dword v5, off, s[0:3], 0 offset:492
	buffer_load_dword v4, off, s[0:3], 0 offset:488
	;; [unrolled: 6-line block ×3, first 2 shown]
	buffer_load_dword v5, off, s[0:3], 0 offset:540
	buffer_load_dword v4, off, s[0:3], 0 offset:536
	v_accvgpr_write_b32 a177, v19
	v_accvgpr_write_b32 a176, v18
	s_waitcnt vmcnt(0)
	v_pk_mov_b32 v[30:31], v[4:5], v[4:5] op_sel:[0,1]
	buffer_load_dword v5, off, s[0:3], 0 offset:532
	buffer_load_dword v4, off, s[0:3], 0 offset:528
	v_accvgpr_write_b32 a183, v31
	v_accvgpr_write_b32 a182, v30
	s_waitcnt vmcnt(0)
	v_pk_mov_b32 v[32:33], v[4:5], v[4:5] op_sel:[0,1]
	buffer_load_dword v149, off, s[0:3], 0 offset:524
	buffer_load_dword v148, off, s[0:3], 0 offset:520
	;; [unrolled: 1-line block ×6, first 2 shown]
	v_accvgpr_write_b32 a185, v33
	v_accvgpr_write_b32 a184, v32
	s_waitcnt vmcnt(0)
	v_pk_mov_b32 v[164:165], v[4:5], v[4:5] op_sel:[0,1]
	buffer_load_dword v5, off, s[0:3], 0 offset:564
	buffer_load_dword v4, off, s[0:3], 0 offset:560
	v_accvgpr_write_b32 a187, v165
	v_accvgpr_write_b32 a186, v164
	s_waitcnt vmcnt(0)
	v_pk_mov_b32 v[166:167], v[4:5], v[4:5] op_sel:[0,1]
	buffer_load_dword v153, off, s[0:3], 0 offset:556
	buffer_load_dword v152, off, s[0:3], 0 offset:552
	;; [unrolled: 1-line block ×6, first 2 shown]
	v_accvgpr_write_b32 a189, v167
	v_accvgpr_write_b32 a188, v166
	s_waitcnt vmcnt(0)
	v_pk_mov_b32 v[168:169], v[4:5], v[4:5] op_sel:[0,1]
	buffer_load_dword v5, off, s[0:3], 0 offset:596
	buffer_load_dword v4, off, s[0:3], 0 offset:592
	;; [unrolled: 1-line block ×14, first 2 shown]
	ds_read_b128 v[216:219], v1 offset:1216
	ds_read_b128 v[220:223], v1 offset:1232
	;; [unrolled: 1-line block ×14, first 2 shown]
	s_waitcnt lgkmcnt(5)
	v_mul_f64 v[8:9], v[248:249], v[94:95]
	v_fmac_f64_e32 v[8:9], v[250:251], v[96:97]
	s_waitcnt lgkmcnt(4)
	v_mul_f64 v[12:13], v[140:141], v[14:15]
	v_fmac_f64_e32 v[12:13], v[142:143], v[16:17]
	s_waitcnt lgkmcnt(3)
	v_mul_f64 v[16:17], v[136:137], v[18:19]
	ds_read_b128 v[120:123], v1 offset:1440
	v_fmac_f64_e32 v[16:17], v[138:139], v[144:145]
	s_waitcnt lgkmcnt(3)
	v_mul_f64 v[20:21], v[132:133], v[22:23]
	v_fmac_f64_e32 v[20:21], v[134:135], v[24:25]
	s_waitcnt lgkmcnt(2)
	v_mul_f64 v[24:25], v[128:129], v[148:149]
	;; [unrolled: 3-line block ×3, first 2 shown]
	v_fmac_f64_e32 v[28:29], v[126:127], v[32:33]
	v_accvgpr_write_b32 a191, v169
	v_accvgpr_write_b32 a190, v168
	v_mul_f64 v[94:95], v[250:251], v[94:95]
	v_fma_f64 v[250:251], v[248:249], v[96:97], -v[94:95]
	s_waitcnt vmcnt(6)
	v_accvgpr_write_b32 a195, v53
	v_accvgpr_write_b32 a194, v52
	v_pk_mov_b32 v[170:171], v[4:5], v[4:5] op_sel:[0,1]
	v_mul_f64 v[4:5], v[208:209], v[76:77]
	v_fmac_f64_e32 v[4:5], v[210:211], v[82:83]
	v_add_f64 v[2:3], v[2:3], v[4:5]
	v_mul_f64 v[4:5], v[216:217], v[84:85]
	v_fmac_f64_e32 v[4:5], v[218:219], v[252:253]
	v_add_f64 v[2:3], v[2:3], v[4:5]
	;; [unrolled: 3-line block ×9, first 2 shown]
	v_add_f64 v[10:11], v[6:7], v[8:9]
	v_add_f64 v[14:15], v[10:11], v[12:13]
	v_add_f64 v[18:19], v[14:15], v[16:17]
	v_add_f64 v[22:23], v[18:19], v[20:21]
	v_add_f64 v[26:27], v[22:23], v[24:25]
	v_add_f64 v[30:31], v[26:27], v[28:29]
	ds_read_b128 v[26:29], v1 offset:1456
	s_waitcnt lgkmcnt(1)
	v_mul_f64 v[32:33], v[120:121], v[152:153]
	v_fmac_f64_e32 v[32:33], v[122:123], v[154:155]
	v_add_f64 v[34:35], v[30:31], v[32:33]
	ds_read_b128 v[30:33], v1 offset:1472
	s_waitcnt lgkmcnt(1)
	v_mul_f64 v[36:37], v[26:27], v[164:165]
	v_fmac_f64_e32 v[36:37], v[28:29], v[166:167]
	v_add_f64 v[164:165], v[34:35], v[36:37]
	ds_read_b128 v[34:37], v1 offset:1488
	s_waitcnt lgkmcnt(1)
	v_mul_f64 v[4:5], v[30:31], v[156:157]
	v_fmac_f64_e32 v[4:5], v[32:33], v[158:159]
	v_fma_f64 v[18:19], v[108:109], v[38:39], -v[40:41]
	ds_read_b128 v[38:41], v1 offset:1504
	v_add_f64 v[4:5], v[164:165], v[4:5]
	buffer_load_dword v165, off, s[0:3], 0 offset:652
	buffer_load_dword v164, off, s[0:3], 0 offset:648
	;; [unrolled: 1-line block ×4, first 2 shown]
	s_waitcnt lgkmcnt(1)
	v_mul_f64 v[108:109], v[34:35], v[168:169]
	v_accvgpr_write_b32 a193, v171
	v_fmac_f64_e32 v[108:109], v[36:37], v[170:171]
	v_accvgpr_write_b32 a192, v170
	buffer_load_dword v22, off, s[0:3], 0 offset:664
	buffer_load_dword v170, off, s[0:3], 0 offset:656
	;; [unrolled: 1-line block ×12, first 2 shown]
	v_fma_f64 v[168:169], v[112:113], v[44:45], -v[46:47]
	v_mul_f64 v[46:47], v[184:185], v[48:49]
	ds_read_b128 v[42:45], v1 offset:1520
	v_fma_f64 v[14:15], v[182:183], v[50:51], -v[46:47]
	buffer_load_dword v118, off, s[0:3], 0 offset:728
	buffer_load_dword v183, off, s[0:3], 0 offset:716
	;; [unrolled: 1-line block ×5, first 2 shown]
	v_mul_f64 v[8:9], v[188:189], v[190:191]
	v_fma_f64 v[10:11], v[186:187], v[70:71], -v[8:9]
	buffer_load_dword v186, off, s[0:3], 0 offset:720
	buffer_load_dword v119, off, s[0:3], 0 offset:732
	;; [unrolled: 1-line block ×7, first 2 shown]
	v_mul_f64 v[12:13], v[198:199], v[66:67]
	v_mul_f64 v[46:47], v[194:195], v[56:57]
	v_fma_f64 v[12:13], v[196:197], v[68:69], -v[12:13]
	buffer_load_dword v194, off, s[0:3], 0 offset:760
	buffer_load_dword v196, off, s[0:3], 0 offset:752
	buffer_load_dword v195, off, s[0:3], 0 offset:764
	buffer_load_dword v197, off, s[0:3], 0 offset:756
	v_fma_f64 v[8:9], v[192:193], v[54:55], -v[46:47]
	v_mul_f64 v[46:47], v[202:203], v[64:65]
	v_fma_f64 v[6:7], v[200:201], v[62:63], -v[46:47]
	buffer_load_dword v193, off, s[0:3], 0 offset:796
	buffer_load_dword v199, off, s[0:3], 0 offset:780
	;; [unrolled: 1-line block ×8, first 2 shown]
	v_add_f64 v[4:5], v[4:5], v[108:109]
	s_waitcnt vmcnt(42) lgkmcnt(1)
	v_mul_f64 v[108:109], v[38:39], v[160:161]
	s_waitcnt vmcnt(40)
	v_fmac_f64_e32 v[108:109], v[40:41], v[162:163]
	v_mul_f64 v[50:51], v[206:207], v[60:61]
	v_add_f64 v[108:109], v[4:5], v[108:109]
	ds_read_b128 v[46:49], v1 offset:1536
	v_fma_f64 v[4:5], v[204:205], v[98:99], -v[50:51]
	buffer_load_dword v205, off, s[0:3], 0 offset:812
	buffer_load_dword v204, off, s[0:3], 0 offset:808
	;; [unrolled: 1-line block ×4, first 2 shown]
	v_mul_f64 v[20:21], v[210:211], v[76:77]
	v_fma_f64 v[20:21], v[208:209], v[82:83], -v[20:21]
	buffer_load_dword v208, off, s[0:3], 0 offset:824
	buffer_load_dword v210, off, s[0:3], 0 offset:816
	;; [unrolled: 1-line block ×8, first 2 shown]
	v_mul_f64 v[50:51], v[218:219], v[84:85]
	v_fma_f64 v[252:253], v[216:217], v[252:253], -v[50:51]
	buffer_load_dword v216, off, s[0:3], 0 offset:856
	buffer_load_dword v218, off, s[0:3], 0 offset:848
	;; [unrolled: 1-line block ×4, first 2 shown]
	s_waitcnt lgkmcnt(1)
	v_mul_f64 v[16:17], v[42:43], v[52:53]
	v_fmac_f64_e32 v[16:17], v[44:45], v[146:147]
	v_add_f64 v[16:17], v[108:109], v[16:17]
	v_mul_f64 v[54:55], v[222:223], v[78:79]
	v_fma_f64 v[220:221], v[220:221], v[80:81], -v[54:55]
	v_mul_f64 v[64:65], v[226:227], v[254:255]
	v_fma_f64 v[176:177], v[224:225], v[176:177], -v[64:65]
	ds_read_b128 v[224:227], v1 offset:1584
	v_mul_f64 v[66:67], v[230:231], v[104:105]
	v_fma_f64 v[254:255], v[228:229], v[106:107], -v[66:67]
	ds_read_b128 v[66:69], v1 offset:1616
	v_mul_f64 v[58:59], v[234:235], v[58:59]
	ds_read_b128 v[228:231], v1 offset:1648
	v_fma_f64 v[58:59], v[232:233], v[212:213], -v[58:59]
	v_mul_f64 v[82:83], v[242:243], v[100:101]
	ds_read_b128 v[54:57], v1 offset:1568
	v_fma_f64 v[2:3], v[240:241], v[102:103], -v[82:83]
	ds_read_b128 v[82:85], v1 offset:1680
	v_add_f64 v[18:19], v[18:19], 0
	v_add_f64 v[18:19], v[18:19], v[168:169]
	;; [unrolled: 1-line block ×8, first 2 shown]
	ds_read_b128 v[70:73], v1 offset:1632
	v_add_f64 v[6:7], v[8:9], v[6:7]
	v_add_f64 v[4:5], v[6:7], v[4:5]
	;; [unrolled: 1-line block ×8, first 2 shown]
	v_accvgpr_read_b32 v6, a174
	v_accvgpr_read_b32 v7, a175
	ds_read_b128 v[94:97], v1 offset:1728
	s_waitcnt vmcnt(54) lgkmcnt(7)
	v_mul_f64 v[50:51], v[46:47], v[164:165]
	s_waitcnt vmcnt(52)
	v_fmac_f64_e32 v[50:51], v[48:49], v[166:167]
	v_add_f64 v[16:17], v[16:17], v[50:51]
	ds_read_b128 v[50:53], v1 offset:1552
	s_waitcnt vmcnt(49) lgkmcnt(0)
	v_mul_f64 v[62:63], v[50:51], v[22:23]
	s_waitcnt vmcnt(48)
	v_fmac_f64_e32 v[62:63], v[52:53], v[170:171]
	v_add_f64 v[16:17], v[16:17], v[62:63]
	s_waitcnt vmcnt(45)
	v_mul_f64 v[62:63], v[54:55], v[174:175]
	s_waitcnt vmcnt(43)
	v_fmac_f64_e32 v[62:63], v[56:57], v[180:181]
	v_add_f64 v[16:17], v[16:17], v[62:63]
	s_waitcnt vmcnt(42)
	v_mul_f64 v[62:63], v[224:225], v[172:173]
	s_waitcnt vmcnt(40)
	v_fmac_f64_e32 v[62:63], v[226:227], v[178:179]
	v_add_f64 v[16:17], v[16:17], v[62:63]
	ds_read_b128 v[62:65], v1 offset:1600
	s_waitcnt vmcnt(37) lgkmcnt(0)
	v_mul_f64 v[78:79], v[62:63], v[182:183]
	s_waitcnt vmcnt(35)
	v_fmac_f64_e32 v[78:79], v[64:65], v[184:185]
	v_add_f64 v[16:17], v[16:17], v[78:79]
	s_waitcnt vmcnt(33)
	v_mul_f64 v[78:79], v[66:67], v[118:119]
	s_waitcnt vmcnt(32)
	v_fmac_f64_e32 v[78:79], v[68:69], v[186:187]
	v_add_f64 v[16:17], v[16:17], v[78:79]
	s_waitcnt vmcnt(30)
	v_mul_f64 v[78:79], v[70:71], v[188:189]
	s_waitcnt vmcnt(28)
	v_fmac_f64_e32 v[78:79], v[72:73], v[190:191]
	v_add_f64 v[16:17], v[16:17], v[78:79]
	v_mul_f64 v[78:79], v[238:239], v[86:87]
	v_fma_f64 v[212:213], v[236:237], v[88:89], -v[78:79]
	ds_read_b128 v[78:81], v1 offset:1664
	s_waitcnt vmcnt(25)
	v_mul_f64 v[86:87], v[228:229], v[194:195]
	s_waitcnt vmcnt(24)
	v_fmac_f64_e32 v[86:87], v[230:231], v[196:197]
	v_add_f64 v[16:17], v[16:17], v[86:87]
	ds_read_b128 v[86:89], v1 offset:1696
	s_waitcnt vmcnt(21) lgkmcnt(1)
	v_mul_f64 v[24:25], v[78:79], v[198:199]
	s_waitcnt vmcnt(19)
	v_fmac_f64_e32 v[24:25], v[80:81], v[202:203]
	v_add_f64 v[16:17], v[16:17], v[24:25]
	s_waitcnt vmcnt(18)
	v_mul_f64 v[24:25], v[82:83], v[192:193]
	s_waitcnt vmcnt(16)
	v_fmac_f64_e32 v[24:25], v[84:85], v[200:201]
	v_add_f64 v[16:17], v[16:17], v[24:25]
	v_mul_f64 v[24:25], v[246:247], v[90:91]
	v_fma_f64 v[24:25], v[244:245], v[92:93], -v[24:25]
	ds_read_b128 v[90:93], v1 offset:1712
	s_waitcnt vmcnt(14) lgkmcnt(1)
	v_mul_f64 v[98:99], v[86:87], v[204:205]
	s_waitcnt vmcnt(12)
	v_fmac_f64_e32 v[98:99], v[88:89], v[206:207]
	v_add_f64 v[16:17], v[16:17], v[98:99]
	v_add_f64 v[4:5], v[4:5], v[212:213]
	s_waitcnt vmcnt(9) lgkmcnt(0)
	v_mul_f64 v[98:99], v[90:91], v[208:209]
	s_waitcnt vmcnt(8)
	v_fmac_f64_e32 v[98:99], v[92:93], v[210:211]
	v_add_f64 v[16:17], v[16:17], v[98:99]
	s_waitcnt vmcnt(6)
	v_mul_f64 v[98:99], v[94:95], v[60:61]
	s_waitcnt vmcnt(4)
	v_fmac_f64_e32 v[98:99], v[96:97], v[76:77]
	v_add_f64 v[16:17], v[16:17], v[98:99]
	ds_read_b128 v[98:101], v1 offset:1744
	v_add_f64 v[2:3], v[4:5], v[2:3]
	v_accvgpr_read_b32 v4, a172
	v_accvgpr_read_b32 v5, a173
	v_add_f64 v[252:253], v[2:3], v[24:25]
	s_waitcnt vmcnt(1) lgkmcnt(0)
	v_mul_f64 v[102:103], v[98:99], v[216:217]
	s_waitcnt vmcnt(0)
	v_fmac_f64_e32 v[102:103], v[100:101], v[218:219]
	v_add_f64 v[106:107], v[16:17], v[102:103]
	buffer_load_dword v17, off, s[0:3], 0 offset:876
	buffer_load_dword v16, off, s[0:3], 0 offset:872
	;; [unrolled: 1-line block ×4, first 2 shown]
	ds_read_b128 v[102:105], v1 offset:1760
	buffer_load_dword v232, off, s[0:3], 0 offset:888
	buffer_load_dword v233, off, s[0:3], 0 offset:892
	;; [unrolled: 1-line block ×4, first 2 shown]
	v_mul_f64 v[4:5], v[142:143], v[4:5]
	v_add_f64 v[2:3], v[252:253], v[250:251]
	v_fma_f64 v[4:5], v[140:141], v[6:7], -v[4:5]
	v_add_f64 v[2:3], v[2:3], v[4:5]
	v_accvgpr_read_b32 v4, a176
	v_accvgpr_read_b32 v5, a177
	v_mul_f64 v[4:5], v[138:139], v[4:5]
	v_fma_f64 v[4:5], v[136:137], v[144:145], -v[4:5]
	v_add_f64 v[2:3], v[2:3], v[4:5]
	v_accvgpr_read_b32 v4, a178
	v_accvgpr_read_b32 v5, a179
	v_accvgpr_read_b32 v6, a180
	v_mul_f64 v[4:5], v[134:135], v[4:5]
	v_accvgpr_read_b32 v7, a181
	v_fma_f64 v[4:5], v[132:133], v[6:7], -v[4:5]
	v_add_f64 v[2:3], v[2:3], v[4:5]
	v_mul_f64 v[4:5], v[130:131], v[148:149]
	v_fma_f64 v[4:5], v[128:129], v[150:151], -v[4:5]
	v_add_f64 v[2:3], v[2:3], v[4:5]
	v_accvgpr_read_b32 v4, a182
	v_accvgpr_read_b32 v5, a183
	v_accvgpr_read_b32 v6, a184
	v_mul_f64 v[4:5], v[126:127], v[4:5]
	v_accvgpr_read_b32 v7, a185
	v_fma_f64 v[4:5], v[124:125], v[6:7], -v[4:5]
	v_add_f64 v[2:3], v[2:3], v[4:5]
	;; [unrolled: 10-line block ×4, first 2 shown]
	v_mul_f64 v[4:5], v[40:41], v[160:161]
	v_fma_f64 v[4:5], v[38:39], v[162:163], -v[4:5]
	v_add_f64 v[2:3], v[2:3], v[4:5]
	v_accvgpr_read_b32 v4, a194
	v_accvgpr_read_b32 v5, a195
	v_mul_f64 v[4:5], v[44:45], v[4:5]
	v_fma_f64 v[4:5], v[42:43], v[146:147], -v[4:5]
	v_add_f64 v[2:3], v[2:3], v[4:5]
	v_mul_f64 v[4:5], v[48:49], v[164:165]
	v_fma_f64 v[4:5], v[46:47], v[166:167], -v[4:5]
	v_add_f64 v[2:3], v[2:3], v[4:5]
	;; [unrolled: 3-line block ×8, first 2 shown]
	s_waitcnt vmcnt(6) lgkmcnt(0)
	v_mul_f64 v[108:109], v[102:103], v[16:17]
	v_mul_f64 v[4:5], v[230:231], v[194:195]
	s_waitcnt vmcnt(4)
	v_fmac_f64_e32 v[108:109], v[104:105], v[222:223]
	v_add_f64 v[110:111], v[106:107], v[108:109]
	ds_read_b128 v[106:109], v1 offset:1776
	buffer_load_dword v237, off, s[0:3], 0 offset:908
	buffer_load_dword v236, off, s[0:3], 0 offset:904
	;; [unrolled: 1-line block ×4, first 2 shown]
	v_fma_f64 v[4:5], v[228:229], v[196:197], -v[4:5]
	v_add_f64 v[2:3], v[2:3], v[4:5]
	v_mul_f64 v[4:5], v[80:81], v[198:199]
	s_waitcnt vmcnt(6) lgkmcnt(0)
	v_mul_f64 v[112:113], v[106:107], v[232:233]
	s_waitcnt vmcnt(4)
	v_fmac_f64_e32 v[112:113], v[108:109], v[234:235]
	v_add_f64 v[114:115], v[110:111], v[112:113]
	ds_read_b128 v[110:113], v1 offset:1792
	buffer_load_dword v242, off, s[0:3], 0 offset:920
	buffer_load_dword v243, off, s[0:3], 0 offset:924
	;; [unrolled: 1-line block ×4, first 2 shown]
	v_fma_f64 v[4:5], v[78:79], v[202:203], -v[4:5]
	v_add_f64 v[2:3], v[2:3], v[4:5]
	v_mul_f64 v[4:5], v[84:85], v[192:193]
	v_fma_f64 v[4:5], v[82:83], v[200:201], -v[4:5]
	v_add_f64 v[2:3], v[2:3], v[4:5]
	v_mul_f64 v[4:5], v[88:89], v[204:205]
	;; [unrolled: 3-line block ×7, first 2 shown]
	v_fma_f64 v[4:5], v[106:107], v[234:235], -v[4:5]
	v_add_f64 v[2:3], v[2:3], v[4:5]
	s_waitcnt vmcnt(6) lgkmcnt(0)
	v_mul_f64 v[116:117], v[110:111], v[236:237]
	v_mul_f64 v[4:5], v[112:113], v[236:237]
	s_waitcnt vmcnt(4)
	v_fmac_f64_e32 v[116:117], v[112:113], v[238:239]
	v_add_f64 v[240:241], v[114:115], v[116:117]
	ds_read_b128 v[114:117], v1 offset:1808
	buffer_load_dword v248, off, s[0:3], 0 offset:128
	buffer_load_dword v249, off, s[0:3], 0 offset:132
	v_fma_f64 v[4:5], v[110:111], v[238:239], -v[4:5]
	v_add_f64 v[2:3], v[2:3], v[4:5]
	s_waitcnt vmcnt(4) lgkmcnt(0)
	v_mul_f64 v[246:247], v[114:115], v[242:243]
	s_waitcnt vmcnt(2)
	v_fmac_f64_e32 v[246:247], v[116:117], v[244:245]
	v_add_f64 v[240:241], v[240:241], v[246:247]
	buffer_load_dword v246, off, s[0:3], 0 offset:136
	buffer_load_dword v247, off, s[0:3], 0 offset:140
	v_mul_f64 v[4:5], v[116:117], v[242:243]
	v_fma_f64 v[4:5], v[114:115], v[244:245], -v[4:5]
	v_add_f64 v[2:3], v[2:3], v[4:5]
	s_waitcnt vmcnt(2)
	v_add_f64 v[2:3], v[248:249], -v[2:3]
	s_waitcnt vmcnt(0)
	v_add_f64 v[4:5], v[246:247], -v[240:241]
	buffer_store_dword v3, off, s[0:3], 0 offset:132
	buffer_store_dword v2, off, s[0:3], 0 offset:128
	;; [unrolled: 1-line block ×4, first 2 shown]
	s_and_saveexec_b64 s[4:5], vcc
	s_cbranch_execz .LBB56_343
; %bb.342:
	v_accvgpr_read_b32 v0, a164
	buffer_load_dword v2, v0, s[0:3], 0 offen
	buffer_load_dword v3, v0, s[0:3], 0 offen offset:4
	buffer_load_dword v4, v0, s[0:3], 0 offen offset:8
	;; [unrolled: 1-line block ×3, first 2 shown]
	v_accvgpr_read_b32 v0, a171
	buffer_store_dword v1, off, s[0:3], 0 offset:112
	buffer_store_dword v1, off, s[0:3], 0 offset:116
	;; [unrolled: 1-line block ×4, first 2 shown]
	s_waitcnt vmcnt(4)
	ds_write_b128 v0, v[2:5]
.LBB56_343:
	s_or_b64 exec, exec, s[4:5]
	s_waitcnt lgkmcnt(0)
	; wave barrier
	s_waitcnt lgkmcnt(0)
	buffer_load_dword v176, off, s[0:3], 0 offset:128
	buffer_load_dword v177, off, s[0:3], 0 offset:132
	;; [unrolled: 1-line block ×42, first 2 shown]
	ds_read_b128 v[42:45], v1 offset:1024
	ds_read_b128 v[108:111], v1 offset:1040
	;; [unrolled: 1-line block ×10, first 2 shown]
	buffer_load_dword v201, off, s[0:3], 0 offset:276
	buffer_load_dword v200, off, s[0:3], 0 offset:272
	ds_read_b128 v[46:49], v1 offset:1184
	buffer_load_dword v85, off, s[0:3], 0 offset:332
	buffer_load_dword v84, off, s[0:3], 0 offset:328
	;; [unrolled: 1-line block ×6, first 2 shown]
	s_waitcnt vmcnt(46) lgkmcnt(10)
	v_mul_f64 v[2:3], v[42:43], v[36:37]
	v_fmac_f64_e32 v[2:3], v[44:45], v[176:177]
	v_add_f64 v[2:3], v[2:3], 0
	v_mul_f64 v[36:37], v[44:45], v[36:37]
	s_waitcnt vmcnt(42) lgkmcnt(9)
	v_mul_f64 v[4:5], v[108:109], v[40:41]
	v_fmac_f64_e32 v[4:5], v[110:111], v[38:39]
	v_add_f64 v[2:3], v[2:3], v[4:5]
	buffer_load_dword v211, off, s[0:3], 0 offset:308
	buffer_load_dword v210, off, s[0:3], 0 offset:304
	;; [unrolled: 1-line block ×36, first 2 shown]
	s_waitcnt vmcnt(62) lgkmcnt(8)
	v_mul_f64 v[6:7], v[112:113], v[160:161]
	s_waitcnt lgkmcnt(6)
	v_mul_f64 v[10:11], v[170:171], v[52:53]
	v_fmac_f64_e32 v[10:11], v[172:173], v[54:55]
	v_mul_f64 v[40:41], v[110:111], v[40:41]
	v_mul_f64 v[8:9], v[116:117], v[56:57]
	v_fma_f64 v[108:109], v[108:109], v[38:39], -v[40:41]
	s_waitcnt lgkmcnt(4)
	v_mul_f64 v[14:15], v[184:185], v[202:203]
	v_mul_f64 v[110:111], v[114:115], v[160:161]
	v_fmac_f64_e32 v[14:15], v[186:187], v[60:61]
	v_mul_f64 v[52:53], v[172:173], v[52:53]
	v_mul_f64 v[12:13], v[180:181], v[62:63]
	s_waitcnt lgkmcnt(2)
	v_mul_f64 v[18:19], v[192:193], v[64:65]
	s_waitcnt vmcnt(59)
	v_mul_f64 v[16:17], v[188:189], v[70:71]
	s_waitcnt vmcnt(57) lgkmcnt(1)
	v_mul_f64 v[20:21], v[196:197], v[68:69]
	s_waitcnt vmcnt(55)
	v_fmac_f64_e32 v[6:7], v[114:115], v[78:79]
	v_add_f64 v[2:3], v[2:3], v[6:7]
	s_waitcnt vmcnt(53)
	v_fmac_f64_e32 v[8:9], v[118:119], v[76:77]
	v_add_f64 v[2:3], v[2:3], v[8:9]
	;; [unrolled: 3-line block ×3, first 2 shown]
	v_add_f64 v[2:3], v[2:3], v[12:13]
	s_waitcnt vmcnt(49)
	v_fmac_f64_e32 v[16:17], v[190:191], v[72:73]
	v_add_f64 v[2:3], v[2:3], v[14:15]
	s_waitcnt vmcnt(48)
	v_fmac_f64_e32 v[18:19], v[194:195], v[66:67]
	v_add_f64 v[2:3], v[2:3], v[16:17]
	v_add_f64 v[2:3], v[2:3], v[18:19]
	s_waitcnt vmcnt(42)
	v_fmac_f64_e32 v[20:21], v[198:199], v[200:201]
	v_add_f64 v[2:3], v[2:3], v[20:21]
	s_waitcnt vmcnt(0)
	v_pk_mov_b32 v[18:19], v[4:5], v[4:5] op_sel:[0,1]
	buffer_load_dword v5, off, s[0:3], 0 offset:484
	buffer_load_dword v4, off, s[0:3], 0 offset:480
	v_accvgpr_write_b32 a177, v19
	v_accvgpr_write_b32 a176, v18
	s_waitcnt vmcnt(0)
	v_pk_mov_b32 v[22:23], v[4:5], v[4:5] op_sel:[0,1]
	buffer_load_dword v5, off, s[0:3], 0 offset:476
	buffer_load_dword v4, off, s[0:3], 0 offset:472
	v_accvgpr_write_b32 a179, v23
	v_accvgpr_write_b32 a178, v22
	;; [unrolled: 6-line block ×12, first 2 shown]
	s_waitcnt vmcnt(0)
	v_pk_mov_b32 v[168:169], v[4:5], v[4:5] op_sel:[0,1]
	buffer_load_dword v5, off, s[0:3], 0 offset:580
	buffer_load_dword v4, off, s[0:3], 0 offset:576
	s_waitcnt vmcnt(0)
	v_pk_mov_b32 v[174:175], v[4:5], v[4:5] op_sel:[0,1]
	buffer_load_dword v153, off, s[0:3], 0 offset:572
	buffer_load_dword v152, off, s[0:3], 0 offset:568
	;; [unrolled: 1-line block ×12, first 2 shown]
	ds_read_b128 v[204:207], v1 offset:1200
	ds_read_b128 v[216:219], v1 offset:1216
	;; [unrolled: 1-line block ×14, first 2 shown]
	s_waitcnt lgkmcnt(4)
	v_mul_f64 v[8:9], v[252:253], v[94:95]
	ds_read_b128 v[132:135], v1 offset:1424
	ds_read_b128 v[128:131], v1 offset:1440
	v_fmac_f64_e32 v[8:9], v[254:255], v[96:97]
	s_waitcnt lgkmcnt(5)
	v_mul_f64 v[12:13], v[148:149], v[14:15]
	v_fmac_f64_e32 v[12:13], v[150:151], v[16:17]
	s_waitcnt lgkmcnt(4)
	v_mul_f64 v[16:17], v[144:145], v[18:19]
	;; [unrolled: 3-line block ×5, first 2 shown]
	ds_read_b128 v[124:127], v1 offset:1456
	v_fmac_f64_e32 v[28:29], v[134:135], v[120:121]
	ds_read_b128 v[120:123], v1 offset:1472
	s_waitcnt lgkmcnt(2)
	v_mul_f64 v[32:33], v[128:129], v[164:165]
	v_fmac_f64_e32 v[32:33], v[130:131], v[166:167]
	v_accvgpr_write_b32 a197, v175
	v_accvgpr_write_b32 a196, v174
	v_mul_f64 v[94:95], v[254:255], v[94:95]
	v_fma_f64 v[252:253], v[252:253], v[96:97], -v[94:95]
	s_waitcnt vmcnt(6)
	v_pk_mov_b32 v[214:215], v[4:5], v[4:5] op_sel:[0,1]
	v_mul_f64 v[4:5], v[46:47], v[80:81]
	v_fmac_f64_e32 v[4:5], v[48:49], v[82:83]
	v_add_f64 v[2:3], v[2:3], v[4:5]
	v_mul_f64 v[4:5], v[204:205], v[208:209]
	v_fmac_f64_e32 v[4:5], v[206:207], v[210:211]
	v_add_f64 v[2:3], v[2:3], v[4:5]
	;; [unrolled: 3-line block ×10, first 2 shown]
	v_add_f64 v[10:11], v[6:7], v[8:9]
	v_add_f64 v[14:15], v[10:11], v[12:13]
	;; [unrolled: 1-line block ×7, first 2 shown]
	ds_read_b128 v[30:33], v1 offset:1488
	s_waitcnt lgkmcnt(2)
	v_mul_f64 v[4:5], v[124:125], v[152:153]
	v_fma_f64 v[26:27], v[42:43], v[176:177], -v[36:37]
	v_fmac_f64_e32 v[4:5], v[126:127], v[154:155]
	s_waitcnt lgkmcnt(1)
	v_mul_f64 v[42:43], v[120:121], v[168:169]
	v_add_f64 v[4:5], v[164:165], v[4:5]
	v_fmac_f64_e32 v[42:43], v[122:123], v[174:175]
	v_add_f64 v[4:5], v[4:5], v[42:43]
	s_waitcnt vmcnt(2) lgkmcnt(0)
	v_mul_f64 v[42:43], v[30:31], v[156:157]
	s_waitcnt vmcnt(0)
	v_fmac_f64_e32 v[42:43], v[32:33], v[158:159]
	v_add_f64 v[4:5], v[4:5], v[42:43]
	ds_read_b128 v[42:45], v1 offset:1504
	ds_read_b128 v[38:41], v1 offset:1520
	buffer_load_dword v160, off, s[0:3], 0 offset:648
	buffer_load_dword v165, off, s[0:3], 0 offset:636
	;; [unrolled: 1-line block ×5, first 2 shown]
	v_pk_mov_b32 v[36:37], v[168:169], v[168:169] op_sel:[0,1]
	v_mul_f64 v[8:9], v[118:119], v[56:57]
	buffer_load_dword v168, off, s[0:3], 0 offset:640
	buffer_load_dword v161, off, s[0:3], 0 offset:652
	;; [unrolled: 1-line block ×5, first 2 shown]
	v_fma_f64 v[14:15], v[170:171], v[54:55], -v[52:53]
	buffer_load_dword v177, off, s[0:3], 0 offset:668
	buffer_load_dword v176, off, s[0:3], 0 offset:664
	;; [unrolled: 1-line block ×7, first 2 shown]
	v_mul_f64 v[12:13], v[182:183], v[62:63]
	v_fma_f64 v[12:13], v[180:181], v[74:75], -v[12:13]
	buffer_load_dword v172, off, s[0:3], 0 offset:704
	buffer_load_dword v181, off, s[0:3], 0 offset:700
	;; [unrolled: 1-line block ×7, first 2 shown]
	v_mul_f64 v[52:53], v[186:187], v[202:203]
	v_fma_f64 v[10:11], v[184:185], v[60:61], -v[52:53]
	buffer_load_dword v185, off, s[0:3], 0 offset:732
	buffer_load_dword v184, off, s[0:3], 0 offset:728
	buffer_load_dword v187, off, s[0:3], 0 offset:724
	buffer_load_dword v186, off, s[0:3], 0 offset:720
	v_mul_f64 v[52:53], v[190:191], v[70:71]
	v_mul_f64 v[20:21], v[194:195], v[64:65]
	buffer_load_dword v190, off, s[0:3], 0 offset:744
	v_fma_f64 v[20:21], v[192:193], v[66:67], -v[20:21]
	buffer_load_dword v192, off, s[0:3], 0 offset:736
	buffer_load_dword v191, off, s[0:3], 0 offset:748
	;; [unrolled: 1-line block ×3, first 2 shown]
	v_fma_f64 v[18:19], v[116:117], v[76:77], -v[8:9]
	v_fma_f64 v[8:9], v[188:189], v[72:73], -v[52:53]
	v_mul_f64 v[52:53], v[198:199], v[68:69]
	v_fma_f64 v[6:7], v[196:197], v[200:201], -v[52:53]
	buffer_load_dword v189, off, s[0:3], 0 offset:780
	buffer_load_dword v195, off, s[0:3], 0 offset:764
	;; [unrolled: 1-line block ×12, first 2 shown]
	v_mul_f64 v[24:25], v[48:49], v[80:81]
	v_accvgpr_write_b32 a198, v214
	v_fma_f64 v[24:25], v[46:47], v[82:83], -v[24:25]
	v_mul_f64 v[46:47], v[206:207], v[208:209]
	s_waitcnt lgkmcnt(1)
	v_mul_f64 v[16:17], v[42:43], v[214:215]
	v_accvgpr_write_b32 a199, v215
	v_fma_f64 v[2:3], v[204:205], v[210:211], -v[46:47]
	buffer_load_dword v206, off, s[0:3], 0 offset:808
	buffer_load_dword v208, off, s[0:3], 0 offset:800
	;; [unrolled: 1-line block ×12, first 2 shown]
	v_fmac_f64_e32 v[16:17], v[44:45], v[34:35]
	v_add_f64 v[4:5], v[4:5], v[16:17]
	v_mul_f64 v[16:17], v[218:219], v[84:85]
	v_fma_f64 v[16:17], v[216:217], v[86:87], -v[16:17]
	buffer_load_dword v217, off, s[0:3], 0 offset:860
	buffer_load_dword v216, off, s[0:3], 0 offset:856
	;; [unrolled: 1-line block ×4, first 2 shown]
	ds_read_b128 v[46:49], v1 offset:1536
	v_mul_f64 v[62:63], v[226:227], v[248:249]
	v_mul_f64 v[58:59], v[230:231], v[58:59]
	;; [unrolled: 1-line block ×3, first 2 shown]
	v_fma_f64 v[58:59], v[228:229], v[212:213], -v[58:59]
	v_fma_f64 v[212:213], v[232:233], v[102:103], -v[70:71]
	v_mul_f64 v[82:83], v[242:243], v[88:89]
	v_fma_f64 v[248:249], v[240:241], v[92:93], -v[82:83]
	v_fma_f64 v[22:23], v[112:113], v[78:79], -v[110:111]
	v_mul_f64 v[88:89], v[246:247], v[90:91]
	ds_read_b128 v[90:93], v1 offset:1696
	ds_read_b128 v[94:97], v1 offset:1728
	;; [unrolled: 1-line block ×4, first 2 shown]
	s_waitcnt vmcnt(57) lgkmcnt(5)
	v_mul_f64 v[28:29], v[38:39], v[164:165]
	s_waitcnt vmcnt(55)
	v_fmac_f64_e32 v[28:29], v[40:41], v[166:167]
	v_add_f64 v[4:5], v[4:5], v[28:29]
	v_mul_f64 v[28:29], v[222:223], v[162:163]
	v_fma_f64 v[28:29], v[220:221], v[50:51], -v[28:29]
	ds_read_b128 v[50:53], v1 offset:1552
	s_waitcnt vmcnt(53) lgkmcnt(5)
	v_mul_f64 v[54:55], v[46:47], v[160:161]
	s_waitcnt vmcnt(52)
	v_fmac_f64_e32 v[54:55], v[48:49], v[168:169]
	v_add_f64 v[4:5], v[4:5], v[54:55]
	ds_read_b128 v[54:57], v1 offset:1568
	v_fma_f64 v[162:163], v[224:225], v[250:251], -v[62:63]
	ds_read_b128 v[224:227], v1 offset:1584
	s_waitcnt vmcnt(48) lgkmcnt(2)
	v_mul_f64 v[62:63], v[50:51], v[176:177]
	s_waitcnt vmcnt(46)
	v_fmac_f64_e32 v[62:63], v[52:53], v[178:179]
	v_add_f64 v[4:5], v[4:5], v[62:63]
	ds_read_b128 v[62:65], v1 offset:1600
	s_waitcnt lgkmcnt(2)
	v_mul_f64 v[66:67], v[54:55], v[118:119]
	s_waitcnt vmcnt(44)
	v_fmac_f64_e32 v[66:67], v[56:57], v[174:175]
	v_add_f64 v[4:5], v[4:5], v[66:67]
	s_waitcnt vmcnt(40) lgkmcnt(1)
	v_mul_f64 v[66:67], v[224:225], v[180:181]
	s_waitcnt vmcnt(38)
	v_fmac_f64_e32 v[66:67], v[226:227], v[182:183]
	v_add_f64 v[4:5], v[4:5], v[66:67]
	s_waitcnt vmcnt(37) lgkmcnt(0)
	v_mul_f64 v[66:67], v[62:63], v[170:171]
	s_waitcnt vmcnt(36)
	v_fmac_f64_e32 v[66:67], v[64:65], v[172:173]
	v_add_f64 v[4:5], v[4:5], v[66:67]
	ds_read_b128 v[66:69], v1 offset:1616
	s_waitcnt vmcnt(29)
	v_mul_f64 v[78:79], v[70:71], v[190:191]
	s_waitcnt vmcnt(28)
	v_fmac_f64_e32 v[78:79], v[72:73], v[192:193]
	v_fma_f64 v[250:251], v[244:245], v[98:99], -v[88:89]
	s_waitcnt lgkmcnt(0)
	v_mul_f64 v[74:75], v[66:67], v[184:185]
	v_fmac_f64_e32 v[74:75], v[68:69], v[186:187]
	v_add_f64 v[4:5], v[4:5], v[74:75]
	v_mul_f64 v[74:75], v[238:239], v[104:105]
	v_fma_f64 v[106:107], v[236:237], v[106:107], -v[74:75]
	ds_read_b128 v[74:77], v1 offset:1648
	v_add_f64 v[4:5], v[4:5], v[78:79]
	ds_read_b128 v[78:81], v1 offset:1664
	s_waitcnt vmcnt(25) lgkmcnt(1)
	v_mul_f64 v[86:87], v[74:75], v[194:195]
	s_waitcnt vmcnt(23)
	v_fmac_f64_e32 v[86:87], v[76:77], v[200:201]
	v_add_f64 v[4:5], v[4:5], v[86:87]
	s_waitcnt vmcnt(22) lgkmcnt(0)
	v_mul_f64 v[86:87], v[78:79], v[188:189]
	s_waitcnt vmcnt(20)
	v_fmac_f64_e32 v[86:87], v[80:81], v[198:199]
	v_add_f64 v[4:5], v[4:5], v[86:87]
	s_waitcnt vmcnt(18)
	v_mul_f64 v[86:87], v[82:83], v[196:197]
	s_waitcnt vmcnt(16)
	v_fmac_f64_e32 v[86:87], v[84:85], v[202:203]
	v_add_f64 v[4:5], v[4:5], v[86:87]
	ds_read_b128 v[86:89], v1 offset:1712
	s_waitcnt vmcnt(13)
	v_mul_f64 v[98:99], v[90:91], v[206:207]
	s_waitcnt vmcnt(12)
	v_fmac_f64_e32 v[98:99], v[92:93], v[208:209]
	v_add_f64 v[4:5], v[4:5], v[98:99]
	s_waitcnt vmcnt(9) lgkmcnt(0)
	v_mul_f64 v[98:99], v[86:87], v[60:61]
	s_waitcnt vmcnt(7)
	v_fmac_f64_e32 v[98:99], v[88:89], v[214:215]
	v_add_f64 v[4:5], v[4:5], v[98:99]
	s_waitcnt vmcnt(5)
	v_mul_f64 v[98:99], v[94:95], v[204:205]
	s_waitcnt vmcnt(4)
	v_fmac_f64_e32 v[98:99], v[96:97], v[210:211]
	v_add_f64 v[4:5], v[4:5], v[98:99]
	ds_read_b128 v[98:101], v1 offset:1744
	buffer_load_dword v220, off, s[0:3], 0 offset:872
	buffer_load_dword v221, off, s[0:3], 0 offset:876
	;; [unrolled: 1-line block ×4, first 2 shown]
	s_waitcnt vmcnt(6) lgkmcnt(0)
	v_mul_f64 v[102:103], v[98:99], v[216:217]
	s_waitcnt vmcnt(4)
	v_fmac_f64_e32 v[102:103], v[100:101], v[218:219]
	v_add_f64 v[4:5], v[4:5], v[102:103]
	ds_read_b128 v[102:105], v1 offset:1760
	buffer_load_dword v233, off, s[0:3], 0 offset:892
	buffer_load_dword v232, off, s[0:3], 0 offset:888
	;; [unrolled: 1-line block ×4, first 2 shown]
	ds_read_b128 v[228:231], v1 offset:1776
	buffer_load_dword v236, off, s[0:3], 0 offset:904
	buffer_load_dword v237, off, s[0:3], 0 offset:908
	;; [unrolled: 1-line block ×4, first 2 shown]
	s_waitcnt vmcnt(10) lgkmcnt(1)
	v_mul_f64 v[110:111], v[102:103], v[220:221]
	s_waitcnt vmcnt(8)
	v_fmac_f64_e32 v[110:111], v[104:105], v[222:223]
	v_add_f64 v[4:5], v[4:5], v[110:111]
	s_waitcnt vmcnt(6) lgkmcnt(0)
	v_mul_f64 v[110:111], v[228:229], v[232:233]
	s_waitcnt vmcnt(4)
	v_fmac_f64_e32 v[110:111], v[230:231], v[234:235]
	v_add_f64 v[4:5], v[4:5], v[110:111]
	ds_read_b128 v[110:113], v1 offset:1792
	buffer_load_dword v243, off, s[0:3], 0 offset:924
	buffer_load_dword v242, off, s[0:3], 0 offset:920
	;; [unrolled: 1-line block ×4, first 2 shown]
	s_waitcnt vmcnt(6) lgkmcnt(0)
	v_mul_f64 v[114:115], v[110:111], v[236:237]
	s_waitcnt vmcnt(4)
	v_fmac_f64_e32 v[114:115], v[112:113], v[238:239]
	v_add_f64 v[4:5], v[4:5], v[114:115]
	ds_read_b128 v[114:117], v1 offset:1808
	v_accvgpr_read_b32 v0, a172
	v_accvgpr_read_b32 v1, a173
	s_waitcnt vmcnt(2) lgkmcnt(0)
	v_mul_f64 v[240:241], v[114:115], v[242:243]
	s_waitcnt vmcnt(0)
	v_fmac_f64_e32 v[240:241], v[116:117], v[244:245]
	v_add_f64 v[240:241], v[4:5], v[240:241]
	v_add_f64 v[4:5], v[26:27], 0
	;; [unrolled: 1-line block ×20, first 2 shown]
	buffer_load_dword v248, off, s[0:3], 0 offset:112
	buffer_load_dword v249, off, s[0:3], 0 offset:116
	;; [unrolled: 1-line block ×4, first 2 shown]
	v_mul_f64 v[4:5], v[150:151], v[0:1]
	v_accvgpr_read_b32 v0, a174
	v_accvgpr_read_b32 v1, a175
	v_add_f64 v[2:3], v[254:255], v[250:251]
	v_fma_f64 v[4:5], v[148:149], v[0:1], -v[4:5]
	v_accvgpr_read_b32 v0, a176
	v_add_f64 v[2:3], v[2:3], v[252:253]
	v_accvgpr_read_b32 v1, a177
	v_add_f64 v[2:3], v[2:3], v[4:5]
	v_mul_f64 v[4:5], v[146:147], v[0:1]
	v_accvgpr_read_b32 v0, a178
	v_accvgpr_read_b32 v1, a179
	v_fma_f64 v[4:5], v[144:145], v[0:1], -v[4:5]
	v_accvgpr_read_b32 v0, a180
	v_accvgpr_read_b32 v1, a181
	v_add_f64 v[2:3], v[2:3], v[4:5]
	v_mul_f64 v[4:5], v[142:143], v[0:1]
	v_accvgpr_read_b32 v0, a182
	v_accvgpr_read_b32 v1, a183
	v_fma_f64 v[4:5], v[140:141], v[0:1], -v[4:5]
	v_accvgpr_read_b32 v0, a184
	;; [unrolled: 7-line block ×4, first 2 shown]
	v_accvgpr_read_b32 v1, a193
	v_add_f64 v[2:3], v[2:3], v[4:5]
	v_mul_f64 v[4:5], v[130:131], v[0:1]
	v_accvgpr_read_b32 v0, a194
	v_accvgpr_read_b32 v1, a195
	v_fma_f64 v[4:5], v[128:129], v[0:1], -v[4:5]
	v_add_f64 v[2:3], v[2:3], v[4:5]
	v_mul_f64 v[4:5], v[126:127], v[152:153]
	v_fma_f64 v[4:5], v[124:125], v[154:155], -v[4:5]
	v_accvgpr_read_b32 v0, a196
	v_add_f64 v[2:3], v[2:3], v[4:5]
	v_mul_f64 v[4:5], v[122:123], v[36:37]
	v_accvgpr_read_b32 v1, a197
	v_fma_f64 v[4:5], v[120:121], v[0:1], -v[4:5]
	v_add_f64 v[2:3], v[2:3], v[4:5]
	v_mul_f64 v[4:5], v[32:33], v[156:157]
	v_accvgpr_read_b32 v0, a198
	v_fma_f64 v[4:5], v[30:31], v[158:159], -v[4:5]
	v_accvgpr_read_b32 v1, a199
	v_add_f64 v[2:3], v[2:3], v[4:5]
	v_mul_f64 v[4:5], v[44:45], v[0:1]
	v_fma_f64 v[4:5], v[42:43], v[34:35], -v[4:5]
	v_add_f64 v[2:3], v[2:3], v[4:5]
	v_mul_f64 v[4:5], v[40:41], v[164:165]
	v_fma_f64 v[4:5], v[38:39], v[166:167], -v[4:5]
	;; [unrolled: 3-line block ×20, first 2 shown]
	v_add_f64 v[2:3], v[2:3], v[4:5]
	v_accvgpr_read_b32 v0, a170
	s_waitcnt vmcnt(2)
	v_add_f64 v[2:3], v[248:249], -v[2:3]
	v_cmp_lt_u32_e32 vcc, 5, v0
	s_waitcnt vmcnt(0)
	v_add_f64 v[4:5], v[246:247], -v[240:241]
	buffer_store_dword v3, off, s[0:3], 0 offset:116
	buffer_store_dword v2, off, s[0:3], 0 offset:112
	;; [unrolled: 1-line block ×4, first 2 shown]
	s_and_saveexec_b64 s[4:5], vcc
	s_cbranch_execz .LBB56_345
; %bb.344:
	v_accvgpr_read_b32 v0, a165
	buffer_load_dword v2, v0, s[0:3], 0 offen
	buffer_load_dword v3, v0, s[0:3], 0 offen offset:4
	buffer_load_dword v4, v0, s[0:3], 0 offen offset:8
	;; [unrolled: 1-line block ×3, first 2 shown]
	v_mov_b32_e32 v0, 0
	v_accvgpr_read_b32 v1, a171
	buffer_store_dword v0, off, s[0:3], 0 offset:96
	buffer_store_dword v0, off, s[0:3], 0 offset:100
	;; [unrolled: 1-line block ×4, first 2 shown]
	s_waitcnt vmcnt(4)
	ds_write_b128 v1, v[2:5]
.LBB56_345:
	s_or_b64 exec, exec, s[4:5]
	v_mov_b32_e32 v144, 0
	s_waitcnt lgkmcnt(0)
	; wave barrier
	s_waitcnt lgkmcnt(0)
	buffer_load_dword v30, off, s[0:3], 0 offset:112
	buffer_load_dword v31, off, s[0:3], 0 offset:116
	;; [unrolled: 1-line block ×54, first 2 shown]
	ds_read_b128 v[114:117], v144 offset:1008
	ds_read_b128 v[158:161], v144 offset:1024
	;; [unrolled: 1-line block ×9, first 2 shown]
	buffer_load_dword v109, off, s[0:3], 0 offset:340
	buffer_load_dword v108, off, s[0:3], 0 offset:336
	;; [unrolled: 1-line block ×32, first 2 shown]
	s_waitcnt vmcnt(62) lgkmcnt(8)
	v_mul_f64 v[2:3], v[114:115], v[32:33]
	v_fmac_f64_e32 v[2:3], v[116:117], v[30:31]
	v_add_f64 v[2:3], v[2:3], 0
	v_mul_f64 v[32:33], v[116:117], v[32:33]
	s_waitcnt lgkmcnt(7)
	v_mul_f64 v[4:5], v[158:159], v[38:39]
	v_fmac_f64_e32 v[4:5], v[160:161], v[36:37]
	s_waitcnt lgkmcnt(6)
	v_mul_f64 v[6:7], v[168:169], v[34:35]
	v_add_f64 v[2:3], v[2:3], v[4:5]
	s_waitcnt lgkmcnt(4)
	v_mul_f64 v[10:11], v[176:177], v[40:41]
	v_fma_f64 v[254:255], v[114:115], v[30:31], -v[32:33]
	v_fmac_f64_e32 v[10:11], v[178:179], v[42:43]
	v_mul_f64 v[38:39], v[160:161], v[38:39]
	v_mul_f64 v[8:9], v[172:173], v[44:45]
	s_waitcnt lgkmcnt(2)
	v_mul_f64 v[14:15], v[184:185], v[48:49]
	v_fmac_f64_e32 v[14:15], v[186:187], v[50:51]
	v_mul_f64 v[12:13], v[180:181], v[56:57]
	s_waitcnt lgkmcnt(1)
	v_mul_f64 v[16:17], v[188:189], v[52:53]
	s_waitcnt vmcnt(60)
	v_fmac_f64_e32 v[6:7], v[170:171], v[62:63]
	v_add_f64 v[2:3], v[2:3], v[6:7]
	s_waitcnt vmcnt(58)
	v_fmac_f64_e32 v[8:9], v[174:175], v[60:61]
	v_add_f64 v[2:3], v[2:3], v[8:9]
	;; [unrolled: 3-line block ×3, first 2 shown]
	v_add_f64 v[2:3], v[2:3], v[12:13]
	v_add_f64 v[2:3], v[2:3], v[14:15]
	s_waitcnt vmcnt(54)
	v_fmac_f64_e32 v[16:17], v[190:191], v[54:55]
	v_add_f64 v[2:3], v[2:3], v[16:17]
	s_waitcnt vmcnt(50) lgkmcnt(0)
	v_mul_f64 v[4:5], v[192:193], v[46:47]
	v_fmac_f64_e32 v[4:5], v[194:195], v[64:65]
	v_add_f64 v[2:3], v[2:3], v[4:5]
	s_waitcnt vmcnt(0)
	v_pk_mov_b32 v[14:15], v[0:1], v[0:1] op_sel:[0,1]
	buffer_load_dword v1, off, s[0:3], 0 offset:468
	buffer_load_dword v0, off, s[0:3], 0 offset:464
	v_accvgpr_write_b32 a173, v15
	v_accvgpr_write_b32 a172, v14
	s_waitcnt vmcnt(0)
	v_pk_mov_b32 v[18:19], v[0:1], v[0:1] op_sel:[0,1]
	buffer_load_dword v95, off, s[0:3], 0 offset:460
	buffer_load_dword v94, off, s[0:3], 0 offset:456
	;; [unrolled: 1-line block ×6, first 2 shown]
	v_accvgpr_write_b32 a175, v19
	v_accvgpr_write_b32 a174, v18
	s_waitcnt vmcnt(0)
	v_pk_mov_b32 v[22:23], v[0:1], v[0:1] op_sel:[0,1]
	buffer_load_dword v1, off, s[0:3], 0 offset:500
	buffer_load_dword v0, off, s[0:3], 0 offset:496
	v_accvgpr_write_b32 a181, v23
	v_accvgpr_write_b32 a180, v22
	s_waitcnt vmcnt(0)
	v_pk_mov_b32 v[24:25], v[0:1], v[0:1] op_sel:[0,1]
	buffer_load_dword v1, off, s[0:3], 0 offset:492
	buffer_load_dword v0, off, s[0:3], 0 offset:488
	;; [unrolled: 6-line block ×11, first 2 shown]
	ds_read_b128 v[196:199], v144 offset:1152
	ds_read_b128 v[200:203], v144 offset:1168
	;; [unrolled: 1-line block ×8, first 2 shown]
	s_waitcnt lgkmcnt(7)
	v_mul_f64 v[4:5], v[196:197], v[70:71]
	v_fmac_f64_e32 v[4:5], v[198:199], v[72:73]
	v_add_f64 v[2:3], v[2:3], v[4:5]
	s_waitcnt lgkmcnt(6)
	v_mul_f64 v[4:5], v[200:201], v[66:67]
	v_fmac_f64_e32 v[4:5], v[202:203], v[68:69]
	v_add_f64 v[2:3], v[2:3], v[4:5]
	;; [unrolled: 4-line block ×8, first 2 shown]
	v_accvgpr_write_b32 a193, v157
	v_accvgpr_write_b32 a192, v156
	s_waitcnt vmcnt(0)
	v_pk_mov_b32 v[166:167], v[0:1], v[0:1] op_sel:[0,1]
	buffer_load_dword v1, off, s[0:3], 0 offset:604
	buffer_load_dword v155, off, s[0:3], 0 offset:588
	;; [unrolled: 1-line block ×8, first 2 shown]
	ds_read_b128 v[232:235], v144 offset:1280
	ds_read_b128 v[236:239], v144 offset:1296
	;; [unrolled: 1-line block ×6, first 2 shown]
	s_waitcnt lgkmcnt(5)
	v_mul_f64 v[4:5], v[232:233], v[102:103]
	v_fmac_f64_e32 v[4:5], v[234:235], v[106:107]
	v_add_f64 v[2:3], v[2:3], v[4:5]
	s_waitcnt lgkmcnt(4)
	v_mul_f64 v[4:5], v[236:237], v[78:79]
	v_fmac_f64_e32 v[4:5], v[238:239], v[80:81]
	v_add_f64 v[2:3], v[2:3], v[4:5]
	s_waitcnt lgkmcnt(3)
	v_mul_f64 v[4:5], v[240:241], v[82:83]
	ds_read_b128 v[136:139], v144 offset:1376
	ds_read_b128 v[132:135], v144 offset:1392
	v_fmac_f64_e32 v[4:5], v[242:243], v[84:85]
	v_add_f64 v[2:3], v[2:3], v[4:5]
	s_waitcnt lgkmcnt(4)
	v_mul_f64 v[4:5], v[244:245], v[86:87]
	ds_read_b128 v[128:131], v144 offset:1408
	ds_read_b128 v[124:127], v144 offset:1424
	v_fmac_f64_e32 v[4:5], v[246:247], v[88:89]
	s_waitcnt lgkmcnt(5)
	v_mul_f64 v[8:9], v[248:249], v[94:95]
	v_add_f64 v[6:7], v[2:3], v[4:5]
	v_fmac_f64_e32 v[8:9], v[250:251], v[96:97]
	s_waitcnt lgkmcnt(4)
	v_mul_f64 v[12:13], v[146:147], v[14:15]
	v_add_f64 v[10:11], v[6:7], v[8:9]
	;; [unrolled: 4-line block ×5, first 2 shown]
	v_fmac_f64_e32 v[28:29], v[130:131], v[142:143]
	ds_read_b128 v[140:143], v144 offset:1440
	v_add_f64 v[26:27], v[26:27], v[28:29]
	s_waitcnt lgkmcnt(1)
	v_mul_f64 v[28:29], v[124:125], v[120:121]
	v_fmac_f64_e32 v[28:29], v[126:127], v[122:123]
	ds_read_b128 v[120:123], v144 offset:1456
	v_add_f64 v[26:27], v[26:27], v[28:29]
	s_waitcnt lgkmcnt(1)
	v_mul_f64 v[28:29], v[140:141], v[156:157]
	v_fmac_f64_e32 v[28:29], v[142:143], v[166:167]
	v_accvgpr_write_b32 a195, v167
	s_waitcnt lgkmcnt(0)
	v_mul_f64 v[114:115], v[120:121], v[162:163]
	v_add_f64 v[156:157], v[26:27], v[28:29]
	v_fmac_f64_e32 v[114:115], v[122:123], v[164:165]
	v_accvgpr_write_b32 a194, v166
	ds_read_b128 v[30:33], v144 offset:1472
	v_add_f64 v[114:115], v[156:157], v[114:115]
	buffer_load_dword v157, off, s[0:3], 0 offset:636
	buffer_load_dword v156, off, s[0:3], 0 offset:632
	v_fma_f64 v[26:27], v[158:159], v[36:37], -v[38:39]
	buffer_load_dword v159, off, s[0:3], 0 offset:628
	buffer_load_dword v158, off, s[0:3], 0 offset:624
	;; [unrolled: 1-line block ×6, first 2 shown]
	v_mul_f64 v[4:5], v[170:171], v[34:35]
	v_fma_f64 v[24:25], v[168:169], v[62:63], -v[4:5]
	buffer_load_dword v160, off, s[0:3], 0 offset:664
	buffer_load_dword v165, off, s[0:3], 0 offset:652
	;; [unrolled: 1-line block ×5, first 2 shown]
	v_mul_f64 v[34:35], v[174:175], v[44:45]
	v_fma_f64 v[60:61], v[172:173], v[60:61], -v[34:35]
	ds_read_b128 v[34:37], v144 offset:1488
	buffer_load_dword v170, off, s[0:3], 0 offset:656
	buffer_load_dword v161, off, s[0:3], 0 offset:668
	;; [unrolled: 1-line block ×3, first 2 shown]
	v_mul_f64 v[8:9], v[194:195], v[46:47]
	v_fma_f64 v[18:19], v[192:193], v[64:65], -v[8:9]
	v_mul_f64 v[12:13], v[202:203], v[66:67]
	v_mul_f64 v[16:17], v[210:211], v[92:93]
	v_fma_f64 v[12:13], v[200:201], v[68:69], -v[12:13]
	v_fma_f64 v[16:17], v[208:209], v[76:77], -v[16:17]
	v_mul_f64 v[46:47], v[218:219], v[118:119]
	v_fma_f64 v[118:119], v[216:217], v[252:253], -v[46:47]
	v_mul_f64 v[66:67], v[226:227], v[110:111]
	;; [unrolled: 2-line block ×3, first 2 shown]
	v_fma_f64 v[216:217], v[228:229], v[98:99], -v[66:67]
	s_waitcnt vmcnt(21) lgkmcnt(1)
	v_mul_f64 v[38:39], v[30:31], v[154:155]
	v_mul_f64 v[78:79], v[238:239], v[78:79]
	s_waitcnt vmcnt(19)
	v_fmac_f64_e32 v[38:39], v[32:33], v[152:153]
	s_waitcnt vmcnt(18) lgkmcnt(0)
	v_mul_f64 v[44:45], v[34:35], v[0:1]
	v_add_f64 v[38:39], v[114:115], v[38:39]
	s_waitcnt vmcnt(16)
	v_fmac_f64_e32 v[44:45], v[36:37], v[150:151]
	v_add_f64 v[62:63], v[38:39], v[44:45]
	v_mul_f64 v[38:39], v[178:179], v[40:41]
	v_fma_f64 v[172:173], v[176:177], v[42:43], -v[38:39]
	v_mul_f64 v[38:39], v[182:183], v[56:57]
	v_fma_f64 v[114:115], v[180:181], v[58:59], -v[38:39]
	buffer_load_dword v59, off, s[0:3], 0 offset:700
	buffer_load_dword v175, off, s[0:3], 0 offset:684
	;; [unrolled: 1-line block ×8, first 2 shown]
	ds_read_b128 v[38:41], v144 offset:1504
	buffer_load_dword v181, off, s[0:3], 0 offset:716
	buffer_load_dword v180, off, s[0:3], 0 offset:712
	;; [unrolled: 1-line block ×4, first 2 shown]
	v_mul_f64 v[42:43], v[186:187], v[48:49]
	v_fma_f64 v[116:117], v[184:185], v[50:51], -v[42:43]
	v_mul_f64 v[42:43], v[190:191], v[52:53]
	v_fma_f64 v[22:23], v[188:189], v[54:55], -v[42:43]
	buffer_load_dword v185, off, s[0:3], 0 offset:732
	buffer_load_dword v184, off, s[0:3], 0 offset:728
	;; [unrolled: 1-line block ×9, first 2 shown]
	v_mul_f64 v[42:43], v[198:199], v[70:71]
	buffer_load_dword v194, off, s[0:3], 0 offset:752
	buffer_load_dword v193, off, s[0:3], 0 offset:764
	;; [unrolled: 1-line block ×3, first 2 shown]
	v_fma_f64 v[14:15], v[196:197], v[72:73], -v[42:43]
	buffer_load_dword v197, off, s[0:3], 0 offset:780
	buffer_load_dword v196, off, s[0:3], 0 offset:776
	;; [unrolled: 1-line block ×4, first 2 shown]
	v_mul_f64 v[42:43], v[206:207], v[100:101]
	v_fma_f64 v[10:11], v[204:205], v[104:105], -v[42:43]
	buffer_load_dword v203, off, s[0:3], 0 offset:796
	buffer_load_dword v202, off, s[0:3], 0 offset:792
	;; [unrolled: 1-line block ×16, first 2 shown]
	ds_read_b128 v[42:45], v144 offset:1520
	ds_read_b128 v[46:49], v144 offset:1536
	v_mul_f64 v[54:55], v[222:223], v[74:75]
	v_fma_f64 v[252:253], v[220:221], v[108:109], -v[54:55]
	ds_read_b128 v[54:57], v144 offset:1568
	ds_read_b128 v[224:227], v144 offset:1584
	;; [unrolled: 1-line block ×3, first 2 shown]
	v_mul_f64 v[70:71], v[234:235], v[102:103]
	v_fma_f64 v[6:7], v[232:233], v[106:107], -v[70:71]
	v_fma_f64 v[4:5], v[236:237], v[80:81], -v[78:79]
	v_mul_f64 v[82:83], v[242:243], v[82:83]
	v_fma_f64 v[2:3], v[240:241], v[84:85], -v[82:83]
	ds_read_b128 v[82:85], v144 offset:1680
	v_mul_f64 v[86:87], v[246:247], v[86:87]
	v_fma_f64 v[246:247], v[244:245], v[88:89], -v[86:87]
	ds_read_b128 v[86:89], v144 offset:1696
	;; [unrolled: 3-line block ×3, first 2 shown]
	ds_read_b128 v[78:81], v144 offset:1664
	ds_read_b128 v[94:97], v144 offset:1728
	s_waitcnt vmcnt(54) lgkmcnt(10)
	v_mul_f64 v[50:51], v[38:39], v[162:163]
	s_waitcnt lgkmcnt(9)
	v_mul_f64 v[52:53], v[42:43], v[156:157]
	s_waitcnt vmcnt(52)
	v_fmac_f64_e32 v[50:51], v[40:41], v[166:167]
	v_add_f64 v[50:51], v[62:63], v[50:51]
	v_fmac_f64_e32 v[52:53], v[44:45], v[158:159]
	v_add_f64 v[50:51], v[50:51], v[52:53]
	s_waitcnt vmcnt(49) lgkmcnt(8)
	v_mul_f64 v[52:53], v[46:47], v[164:165]
	s_waitcnt vmcnt(47)
	v_fmac_f64_e32 v[52:53], v[48:49], v[168:169]
	v_add_f64 v[62:63], v[50:51], v[52:53]
	ds_read_b128 v[50:53], v144 offset:1552
	s_waitcnt vmcnt(45) lgkmcnt(0)
	v_mul_f64 v[64:65], v[50:51], v[160:161]
	s_waitcnt vmcnt(44)
	v_fmac_f64_e32 v[64:65], v[52:53], v[170:171]
	v_add_f64 v[20:21], v[62:63], v[64:65]
	s_waitcnt vmcnt(41)
	v_mul_f64 v[62:63], v[54:55], v[174:175]
	s_waitcnt vmcnt(39)
	v_fmac_f64_e32 v[62:63], v[56:57], v[178:179]
	v_add_f64 v[20:21], v[20:21], v[62:63]
	s_waitcnt vmcnt(38)
	v_mul_f64 v[62:63], v[224:225], v[58:59]
	s_waitcnt vmcnt(36)
	v_fmac_f64_e32 v[62:63], v[226:227], v[176:177]
	v_add_f64 v[20:21], v[20:21], v[62:63]
	ds_read_b128 v[62:65], v144 offset:1600
	s_waitcnt vmcnt(34) lgkmcnt(0)
	v_mul_f64 v[74:75], v[62:63], v[180:181]
	s_waitcnt vmcnt(32)
	v_fmac_f64_e32 v[74:75], v[64:65], v[182:183]
	v_add_f64 v[20:21], v[20:21], v[74:75]
	s_waitcnt vmcnt(30)
	v_mul_f64 v[74:75], v[66:67], v[184:185]
	s_waitcnt vmcnt(28)
	v_fmac_f64_e32 v[74:75], v[68:69], v[188:189]
	v_add_f64 v[20:21], v[20:21], v[74:75]
	s_waitcnt vmcnt(26)
	v_mul_f64 v[74:75], v[70:71], v[186:187]
	s_waitcnt vmcnt(24)
	v_fmac_f64_e32 v[74:75], v[72:73], v[190:191]
	v_add_f64 v[20:21], v[20:21], v[74:75]
	ds_read_b128 v[74:77], v144 offset:1648
	s_waitcnt vmcnt(18)
	v_mul_f64 v[28:29], v[78:79], v[196:197]
	s_waitcnt vmcnt(16)
	v_fmac_f64_e32 v[28:29], v[80:81], v[198:199]
	s_waitcnt vmcnt(9)
	v_mul_f64 v[98:99], v[86:87], v[206:207]
	s_waitcnt vmcnt(7)
	v_fmac_f64_e32 v[98:99], v[88:89], v[212:213]
	s_waitcnt lgkmcnt(0)
	v_mul_f64 v[90:91], v[74:75], v[192:193]
	v_fmac_f64_e32 v[90:91], v[76:77], v[194:195]
	v_add_f64 v[90:91], v[20:21], v[90:91]
	v_add_f64 v[28:29], v[90:91], v[28:29]
	v_mul_f64 v[90:91], v[82:83], v[202:203]
	buffer_load_dword v20, off, s[0:3], 0 offset:856
	v_fmac_f64_e32 v[90:91], v[84:85], v[204:205]
	v_add_f64 v[28:29], v[28:29], v[90:91]
	ds_read_b128 v[90:93], v144 offset:1712
	buffer_load_dword v218, off, s[0:3], 0 offset:848
	buffer_load_dword v21, off, s[0:3], 0 offset:860
	;; [unrolled: 1-line block ×3, first 2 shown]
	v_add_f64 v[28:29], v[28:29], v[98:99]
	s_waitcnt vmcnt(10) lgkmcnt(0)
	v_mul_f64 v[98:99], v[90:91], v[200:201]
	s_waitcnt vmcnt(8)
	v_fmac_f64_e32 v[98:99], v[92:93], v[210:211]
	v_add_f64 v[28:29], v[28:29], v[98:99]
	s_waitcnt vmcnt(6)
	v_mul_f64 v[98:99], v[94:95], v[208:209]
	s_waitcnt vmcnt(4)
	v_fmac_f64_e32 v[98:99], v[96:97], v[214:215]
	v_add_f64 v[28:29], v[28:29], v[98:99]
	ds_read_b128 v[98:101], v144 offset:1744
	buffer_load_dword v221, off, s[0:3], 0 offset:876
	buffer_load_dword v220, off, s[0:3], 0 offset:872
	buffer_load_dword v223, off, s[0:3], 0 offset:868
	buffer_load_dword v222, off, s[0:3], 0 offset:864
	s_waitcnt vmcnt(5) lgkmcnt(0)
	v_mul_f64 v[102:103], v[98:99], v[20:21]
	s_waitcnt vmcnt(4)
	v_fmac_f64_e32 v[102:103], v[100:101], v[218:219]
	v_add_f64 v[28:29], v[28:29], v[102:103]
	ds_read_b128 v[102:105], v144 offset:1760
	buffer_load_dword v232, off, s[0:3], 0 offset:888
	buffer_load_dword v233, off, s[0:3], 0 offset:892
	buffer_load_dword v234, off, s[0:3], 0 offset:880
	buffer_load_dword v235, off, s[0:3], 0 offset:884
	s_waitcnt vmcnt(6) lgkmcnt(0)
	v_mul_f64 v[106:107], v[102:103], v[220:221]
	s_waitcnt vmcnt(4)
	v_fmac_f64_e32 v[106:107], v[104:105], v[222:223]
	v_add_f64 v[28:29], v[28:29], v[106:107]
	ds_read_b128 v[106:109], v144 offset:1776
	buffer_load_dword v237, off, s[0:3], 0 offset:908
	buffer_load_dword v236, off, s[0:3], 0 offset:904
	buffer_load_dword v239, off, s[0:3], 0 offset:900
	buffer_load_dword v238, off, s[0:3], 0 offset:896
	s_waitcnt vmcnt(6) lgkmcnt(0)
	v_mul_f64 v[110:111], v[106:107], v[232:233]
	s_waitcnt vmcnt(4)
	v_fmac_f64_e32 v[110:111], v[108:109], v[234:235]
	v_add_f64 v[28:29], v[28:29], v[110:111]
	ds_read_b128 v[110:113], v144 offset:1792
	buffer_load_dword v242, off, s[0:3], 0 offset:920
	buffer_load_dword v243, off, s[0:3], 0 offset:924
	buffer_load_dword v244, off, s[0:3], 0 offset:912
	buffer_load_dword v245, off, s[0:3], 0 offset:916
	s_waitcnt vmcnt(6) lgkmcnt(0)
	v_mul_f64 v[228:229], v[110:111], v[236:237]
	s_waitcnt vmcnt(4)
	v_fmac_f64_e32 v[228:229], v[112:113], v[238:239]
	v_add_f64 v[28:29], v[28:29], v[228:229]
	ds_read_b128 v[228:231], v144 offset:1808
	buffer_load_dword v248, off, s[0:3], 0 offset:96
	buffer_load_dword v249, off, s[0:3], 0 offset:100
	s_waitcnt vmcnt(4) lgkmcnt(0)
	v_mul_f64 v[240:241], v[228:229], v[242:243]
	s_waitcnt vmcnt(2)
	v_fmac_f64_e32 v[240:241], v[230:231], v[244:245]
	v_add_f64 v[240:241], v[28:29], v[240:241]
	v_add_f64 v[28:29], v[254:255], 0
	;; [unrolled: 1-line block ×22, first 2 shown]
	buffer_load_dword v246, off, s[0:3], 0 offset:104
	buffer_load_dword v247, off, s[0:3], 0 offset:108
	v_accvgpr_read_b32 v4, a172
	v_accvgpr_read_b32 v5, a173
	;; [unrolled: 1-line block ×3, first 2 shown]
	v_mul_f64 v[4:5], v[148:149], v[4:5]
	v_accvgpr_read_b32 v7, a175
	v_add_f64 v[2:3], v[252:253], v[250:251]
	v_fma_f64 v[4:5], v[146:147], v[6:7], -v[4:5]
	v_add_f64 v[2:3], v[2:3], v[4:5]
	v_accvgpr_read_b32 v4, a176
	v_accvgpr_read_b32 v5, a177
	v_accvgpr_read_b32 v6, a178
	v_mul_f64 v[4:5], v[138:139], v[4:5]
	v_accvgpr_read_b32 v7, a179
	v_fma_f64 v[4:5], v[136:137], v[6:7], -v[4:5]
	v_add_f64 v[2:3], v[2:3], v[4:5]
	v_accvgpr_read_b32 v4, a180
	v_accvgpr_read_b32 v5, a181
	v_accvgpr_read_b32 v6, a182
	v_mul_f64 v[4:5], v[134:135], v[4:5]
	v_accvgpr_read_b32 v7, a183
	;; [unrolled: 7-line block ×6, first 2 shown]
	v_fma_f64 v[4:5], v[120:121], v[6:7], -v[4:5]
	v_add_f64 v[2:3], v[2:3], v[4:5]
	v_mul_f64 v[4:5], v[32:33], v[154:155]
	v_fma_f64 v[4:5], v[30:31], v[152:153], -v[4:5]
	v_add_f64 v[2:3], v[2:3], v[4:5]
	v_mul_f64 v[4:5], v[36:37], v[0:1]
	;; [unrolled: 3-line block ×22, first 2 shown]
	v_fma_f64 v[4:5], v[228:229], v[244:245], -v[4:5]
	v_add_f64 v[2:3], v[2:3], v[4:5]
	v_accvgpr_read_b32 v0, a170
	s_waitcnt vmcnt(2)
	v_add_f64 v[2:3], v[248:249], -v[2:3]
	v_cmp_lt_u32_e32 vcc, 4, v0
	s_waitcnt vmcnt(0)
	v_add_f64 v[4:5], v[246:247], -v[240:241]
	buffer_store_dword v3, off, s[0:3], 0 offset:100
	buffer_store_dword v2, off, s[0:3], 0 offset:96
	;; [unrolled: 1-line block ×4, first 2 shown]
	s_and_saveexec_b64 s[4:5], vcc
	s_cbranch_execz .LBB56_347
; %bb.346:
	v_accvgpr_read_b32 v0, a166
	buffer_load_dword v2, v0, s[0:3], 0 offen
	buffer_load_dword v3, v0, s[0:3], 0 offen offset:4
	buffer_load_dword v4, v0, s[0:3], 0 offen offset:8
	;; [unrolled: 1-line block ×3, first 2 shown]
	v_accvgpr_read_b32 v0, a171
	buffer_store_dword v144, off, s[0:3], 0 offset:80
	buffer_store_dword v144, off, s[0:3], 0 offset:84
	buffer_store_dword v144, off, s[0:3], 0 offset:88
	buffer_store_dword v144, off, s[0:3], 0 offset:92
	s_waitcnt vmcnt(4)
	ds_write_b128 v0, v[2:5]
.LBB56_347:
	s_or_b64 exec, exec, s[4:5]
	s_waitcnt lgkmcnt(0)
	; wave barrier
	s_waitcnt lgkmcnt(0)
	buffer_load_dword v22, off, s[0:3], 0 offset:96
	buffer_load_dword v23, off, s[0:3], 0 offset:100
	;; [unrolled: 1-line block ×36, first 2 shown]
	ds_read_b128 v[18:21], v144 offset:992
	ds_read_b128 v[26:29], v144 offset:1008
	;; [unrolled: 1-line block ×9, first 2 shown]
	buffer_load_dword v91, off, s[0:3], 0 offset:268
	buffer_load_dword v90, off, s[0:3], 0 offset:264
	;; [unrolled: 1-line block ×19, first 2 shown]
	s_waitcnt vmcnt(51) lgkmcnt(8)
	v_mul_f64 v[2:3], v[18:19], v[24:25]
	v_fmac_f64_e32 v[2:3], v[20:21], v[22:23]
	v_add_f64 v[2:3], v[2:3], 0
	v_mul_f64 v[20:21], v[20:21], v[24:25]
	s_waitcnt vmcnt(47) lgkmcnt(7)
	v_mul_f64 v[4:5], v[26:27], v[162:163]
	v_fmac_f64_e32 v[4:5], v[28:29], v[160:161]
	v_add_f64 v[2:3], v[2:3], v[4:5]
	buffer_load_dword v104, off, s[0:3], 0 offset:320
	buffer_load_dword v67, off, s[0:3], 0 offset:316
	;; [unrolled: 1-line block ×39, first 2 shown]
	s_waitcnt vmcnt(62) lgkmcnt(6)
	v_mul_f64 v[6:7], v[54:55], v[158:159]
	s_waitcnt lgkmcnt(4)
	v_mul_f64 v[10:11], v[34:35], v[168:169]
	v_fmac_f64_e32 v[10:11], v[36:37], v[170:171]
	v_fma_f64 v[24:25], v[18:19], v[22:23], -v[20:21]
	v_mul_f64 v[8:9], v[30:31], v[166:167]
	v_mul_f64 v[28:29], v[28:29], v[162:163]
	s_waitcnt lgkmcnt(2)
	v_mul_f64 v[14:15], v[50:51], v[74:75]
	v_fma_f64 v[160:161], v[26:27], v[160:161], -v[28:29]
	v_fmac_f64_e32 v[14:15], v[52:53], v[76:77]
	v_mul_f64 v[36:37], v[36:37], v[168:169]
	v_mul_f64 v[12:13], v[38:39], v[80:81]
	;; [unrolled: 1-line block ×3, first 2 shown]
	s_waitcnt lgkmcnt(1)
	v_mul_f64 v[16:17], v[46:47], v[72:73]
	v_fma_f64 v[20:21], v[50:51], v[76:77], -v[52:53]
	v_fmac_f64_e32 v[6:7], v[56:57], v[86:87]
	v_add_f64 v[2:3], v[2:3], v[6:7]
	v_fmac_f64_e32 v[8:9], v[32:33], v[84:85]
	v_add_f64 v[2:3], v[2:3], v[8:9]
	;; [unrolled: 2-line block ×3, first 2 shown]
	v_add_f64 v[2:3], v[2:3], v[12:13]
	v_add_f64 v[2:3], v[2:3], v[14:15]
	v_fmac_f64_e32 v[16:17], v[48:49], v[78:79]
	v_add_f64 v[2:3], v[2:3], v[16:17]
	v_mul_f64 v[32:33], v[32:33], v[166:167]
	v_mul_f64 v[40:41], v[40:41], v[80:81]
	v_fma_f64 v[82:83], v[38:39], v[82:83], -v[40:41]
	v_add_f64 v[24:25], v[24:25], 0
	v_add_f64 v[24:25], v[24:25], v[160:161]
	s_waitcnt vmcnt(0)
	v_pk_mov_b32 v[122:123], v[4:5], v[4:5] op_sel:[0,1]
	buffer_load_dword v5, off, s[0:3], 0 offset:484
	buffer_load_dword v4, off, s[0:3], 0 offset:480
	v_accvgpr_write_b32 a179, v123
	v_accvgpr_write_b32 a178, v122
	s_waitcnt vmcnt(0)
	v_pk_mov_b32 v[124:125], v[4:5], v[4:5] op_sel:[0,1]
	buffer_load_dword v5, off, s[0:3], 0 offset:476
	buffer_load_dword v4, off, s[0:3], 0 offset:472
	v_accvgpr_write_b32 a181, v125
	v_accvgpr_write_b32 a180, v124
	s_waitcnt vmcnt(0)
	v_pk_mov_b32 v[14:15], v[4:5], v[4:5] op_sel:[0,1]
	buffer_load_dword v5, off, s[0:3], 0 offset:468
	buffer_load_dword v4, off, s[0:3], 0 offset:464
	v_pk_mov_b32 v[142:143], v[14:15], v[14:15] op_sel:[0,1]
	s_waitcnt vmcnt(0)
	v_pk_mov_b32 v[126:127], v[4:5], v[4:5] op_sel:[0,1]
	buffer_load_dword v5, off, s[0:3], 0 offset:524
	buffer_load_dword v4, off, s[0:3], 0 offset:520
	v_accvgpr_write_b32 a177, v127
	v_accvgpr_write_b32 a176, v126
	s_waitcnt vmcnt(0)
	v_pk_mov_b32 v[174:175], v[4:5], v[4:5] op_sel:[0,1]
	buffer_load_dword v5, off, s[0:3], 0 offset:516
	buffer_load_dword v4, off, s[0:3], 0 offset:512
	v_accvgpr_write_b32 a187, v175
	v_accvgpr_write_b32 a186, v174
	;; [unrolled: 6-line block ×7, first 2 shown]
	s_waitcnt vmcnt(0)
	v_pk_mov_b32 v[188:189], v[4:5], v[4:5] op_sel:[0,1]
	buffer_load_dword v5, off, s[0:3], 0 offset:532
	buffer_load_dword v4, off, s[0:3], 0 offset:528
	ds_read_b128 v[184:187], v144 offset:1136
	ds_read_b128 v[196:199], v144 offset:1152
	;; [unrolled: 1-line block ×9, first 2 shown]
	buffer_load_dword v1, off, s[0:3], 0 offset:572
	buffer_load_dword v0, off, s[0:3], 0 offset:568
	;; [unrolled: 1-line block ×4, first 2 shown]
	ds_read_b128 v[248:251], v144 offset:1280
	buffer_load_dword v151, off, s[0:3], 0 offset:588
	buffer_load_dword v150, off, s[0:3], 0 offset:584
	;; [unrolled: 1-line block ×8, first 2 shown]
	ds_read_b128 v[252:255], v144 offset:1296
	ds_read_b128 v[118:121], v144 offset:1312
	;; [unrolled: 1-line block ×4, first 2 shown]
	v_accvgpr_write_b32 a191, v189
	v_accvgpr_write_b32 a190, v188
	s_waitcnt lgkmcnt(7)
	v_mul_f64 v[50:51], v[230:231], v[236:237]
	ds_read_b128 v[134:137], v144 offset:1376
	s_waitcnt lgkmcnt(1)
	v_mul_f64 v[8:9], v[62:63], v[96:97]
	v_fmac_f64_e32 v[8:9], v[64:65], v[100:101]
	v_mul_f64 v[64:65], v[64:65], v[96:97]
	s_waitcnt lgkmcnt(0)
	v_mul_f64 v[16:17], v[134:135], v[122:123]
	v_fmac_f64_e32 v[16:17], v[136:137], v[124:125]
	s_waitcnt vmcnt(12)
	v_pk_mov_b32 v[190:191], v[4:5], v[4:5] op_sel:[0,1]
	v_mul_f64 v[4:5], v[42:43], v[70:71]
	v_fmac_f64_e32 v[4:5], v[44:45], v[88:89]
	v_add_f64 v[2:3], v[2:3], v[4:5]
	v_mul_f64 v[4:5], v[184:185], v[94:95]
	v_fmac_f64_e32 v[4:5], v[186:187], v[98:99]
	v_add_f64 v[2:3], v[2:3], v[4:5]
	;; [unrolled: 3-line block ×14, first 2 shown]
	ds_read_b128 v[2:5], v144 offset:1360
	buffer_load_dword v157, off, s[0:3], 0 offset:620
	buffer_load_dword v156, off, s[0:3], 0 offset:616
	ds_read_b128 v[130:133], v144 offset:1392
	ds_read_b128 v[138:141], v144 offset:1408
	v_add_f64 v[10:11], v[6:7], v[8:9]
	s_waitcnt lgkmcnt(2)
	v_mul_f64 v[12:13], v[2:3], v[14:15]
	v_fmac_f64_e32 v[12:13], v[4:5], v[126:127]
	s_waitcnt lgkmcnt(1)
	v_mul_f64 v[172:173], v[130:131], v[128:129]
	ds_read_b128 v[126:129], v144 offset:1424
	ds_read_b128 v[122:125], v144 offset:1440
	v_add_f64 v[14:15], v[10:11], v[12:13]
	v_accvgpr_write_b32 a175, v5
	v_add_f64 v[164:165], v[14:15], v[16:17]
	v_fmac_f64_e32 v[172:173], v[132:133], v[182:183]
	s_waitcnt lgkmcnt(2)
	v_mul_f64 v[22:23], v[138:139], v[174:175]
	v_accvgpr_write_b32 a174, v4
	v_accvgpr_write_b32 a173, v3
	;; [unrolled: 1-line block ×3, first 2 shown]
	v_add_f64 v[4:5], v[164:165], v[172:173]
	v_fmac_f64_e32 v[22:23], v[140:141], v[176:177]
	v_add_f64 v[4:5], v[4:5], v[22:23]
	s_waitcnt lgkmcnt(1)
	v_mul_f64 v[22:23], v[126:127], v[188:189]
	v_fmac_f64_e32 v[22:23], v[128:129], v[190:191]
	s_waitcnt lgkmcnt(0)
	v_mul_f64 v[162:163], v[122:123], v[178:179]
	v_add_f64 v[4:5], v[4:5], v[22:23]
	ds_read_b128 v[26:29], v144 offset:1456
	v_fmac_f64_e32 v[162:163], v[124:125], v[180:181]
	v_add_f64 v[172:173], v[4:5], v[162:163]
	buffer_load_dword v163, off, s[0:3], 0 offset:612
	buffer_load_dword v162, off, s[0:3], 0 offset:608
	v_mul_f64 v[4:5], v[56:57], v[158:159]
	buffer_load_dword v158, off, s[0:3], 0 offset:648
	buffer_load_dword v22, off, s[0:3], 0 offset:640
	;; [unrolled: 1-line block ×7, first 2 shown]
	v_fma_f64 v[188:189], v[30:31], v[84:85], -v[32:33]
	s_waitcnt vmcnt(21) lgkmcnt(0)
	v_mul_f64 v[30:31], v[26:27], v[0:1]
	buffer_load_dword v23, off, s[0:3], 0 offset:644
	s_waitcnt vmcnt(20)
	v_fmac_f64_e32 v[30:31], v[28:29], v[148:149]
	v_fma_f64 v[86:87], v[54:55], v[86:87], -v[4:5]
	v_add_f64 v[54:55], v[172:173], v[30:31]
	ds_read_b128 v[30:33], v144 offset:1472
	v_fma_f64 v[84:85], v[34:35], v[170:171], -v[36:37]
	ds_read_b128 v[34:37], v144 offset:1488
	ds_read_b128 v[38:41], v144 offset:1504
	buffer_load_dword v169, off, s[0:3], 0 offset:668
	buffer_load_dword v168, off, s[0:3], 0 offset:664
	;; [unrolled: 1-line block ×16, first 2 shown]
	v_mul_f64 v[44:45], v[44:45], v[70:71]
	v_accvgpr_write_b32 a193, v191
	v_fma_f64 v[14:15], v[42:43], v[88:89], -v[44:45]
	v_mul_f64 v[42:43], v[186:187], v[94:95]
	v_accvgpr_write_b32 a192, v190
	v_fma_f64 v[94:95], v[184:185], v[98:99], -v[42:43]
	buffer_load_dword v185, off, s[0:3], 0 offset:732
	buffer_load_dword v184, off, s[0:3], 0 offset:728
	;; [unrolled: 1-line block ×8, first 2 shown]
	v_mul_f64 v[42:43], v[198:199], v[90:91]
	v_mul_f64 v[16:17], v[202:203], v[192:193]
	v_fma_f64 v[10:11], v[196:197], v[92:93], -v[42:43]
	v_fma_f64 v[16:17], v[200:201], v[194:195], -v[16:17]
	buffer_load_dword v193, off, s[0:3], 0 offset:780
	buffer_load_dword v195, off, s[0:3], 0 offset:764
	;; [unrolled: 1-line block ×12, first 2 shown]
	v_mul_f64 v[8:9], v[48:49], v[72:73]
	v_mul_f64 v[42:43], v[210:211], v[204:205]
	v_fma_f64 v[18:19], v[46:47], v[78:79], -v[8:9]
	v_fma_f64 v[8:9], v[208:209], v[206:207], -v[42:43]
	v_mul_f64 v[42:43], v[214:215], v[66:67]
	s_waitcnt vmcnt(54) lgkmcnt(2)
	v_mul_f64 v[56:57], v[30:31], v[150:151]
	v_fma_f64 v[6:7], v[212:213], v[68:69], -v[42:43]
	buffer_load_dword v207, off, s[0:3], 0 offset:812
	buffer_load_dword v206, off, s[0:3], 0 offset:808
	;; [unrolled: 1-line block ×12, first 2 shown]
	ds_read_b128 v[42:45], v144 offset:1520
	s_waitcnt vmcnt(62)
	v_fmac_f64_e32 v[56:57], v[32:33], v[152:153]
	v_mul_f64 v[46:47], v[226:227], v[102:103]
	v_add_f64 v[54:55], v[54:55], v[56:57]
	s_waitcnt lgkmcnt(2)
	v_mul_f64 v[56:57], v[34:35], v[154:155]
	v_fma_f64 v[4:5], v[224:225], v[104:105], -v[46:47]
	ds_read_b128 v[46:49], v144 offset:1536
	s_waitcnt vmcnt(60)
	v_fmac_f64_e32 v[56:57], v[36:37], v[146:147]
	v_add_f64 v[54:55], v[54:55], v[56:57]
	v_fma_f64 v[236:237], v[228:229], v[238:239], -v[50:51]
	ds_read_b128 v[50:53], v144 offset:1552
	ds_read_b128 v[224:227], v144 offset:1584
	v_mul_f64 v[66:67], v[242:243], v[220:221]
	ds_read_b128 v[228:231], v144 offset:1600
	v_fma_f64 v[240:241], v[240:241], v[222:223], -v[66:67]
	v_mul_f64 v[68:69], v[246:247], v[232:233]
	s_waitcnt vmcnt(58) lgkmcnt(5)
	v_mul_f64 v[12:13], v[38:39], v[156:157]
	v_fma_f64 v[246:247], v[244:245], v[234:235], -v[68:69]
	v_mul_f64 v[70:71], v[250:251], v[114:115]
	v_fma_f64 v[248:249], v[248:249], v[116:117], -v[70:71]
	ds_read_b128 v[70:73], v144 offset:1632
	v_mul_f64 v[90:91], v[120:121], v[106:107]
	v_fma_f64 v[2:3], v[118:119], v[110:111], -v[90:91]
	ds_read_b128 v[118:121], v144 offset:1680
	v_mul_f64 v[60:61], v[60:61], v[108:109]
	v_fma_f64 v[58:59], v[58:59], v[112:113], -v[60:61]
	v_accvgpr_write_b32 a199, v59
	v_accvgpr_write_b32 a198, v58
	ds_read_b128 v[58:61], v144 offset:1712
	v_add_f64 v[24:25], v[24:25], v[86:87]
	v_add_f64 v[24:25], v[24:25], v[188:189]
	;; [unrolled: 1-line block ×14, first 2 shown]
	s_waitcnt vmcnt(56)
	v_fmac_f64_e32 v[12:13], v[40:41], v[162:163]
	v_add_f64 v[12:13], v[54:55], v[12:13]
	s_waitcnt vmcnt(52) lgkmcnt(7)
	v_mul_f64 v[54:55], v[42:43], v[164:165]
	s_waitcnt vmcnt(50)
	v_fmac_f64_e32 v[54:55], v[44:45], v[166:167]
	v_add_f64 v[12:13], v[12:13], v[54:55]
	s_waitcnt vmcnt(49) lgkmcnt(6)
	v_mul_f64 v[54:55], v[46:47], v[158:159]
	s_waitcnt vmcnt(48)
	v_fmac_f64_e32 v[54:55], v[48:49], v[22:23]
	v_add_f64 v[12:13], v[12:13], v[54:55]
	v_add_f64 v[4:5], v[4:5], v[240:241]
	;; [unrolled: 1-line block ×4, first 2 shown]
	v_accvgpr_read_b32 v6, a172
	s_waitcnt vmcnt(46) lgkmcnt(5)
	v_mul_f64 v[54:55], v[50:51], v[168:169]
	v_accvgpr_read_b32 v8, a174
	s_waitcnt vmcnt(44)
	v_fmac_f64_e32 v[54:55], v[52:53], v[170:171]
	v_add_f64 v[12:13], v[12:13], v[54:55]
	ds_read_b128 v[54:57], v144 offset:1568
	v_accvgpr_read_b32 v9, a175
	v_accvgpr_read_b32 v7, a173
	s_waitcnt vmcnt(42) lgkmcnt(0)
	v_mul_f64 v[66:67], v[54:55], v[174:175]
	s_waitcnt vmcnt(40)
	v_fmac_f64_e32 v[66:67], v[56:57], v[176:177]
	v_add_f64 v[12:13], v[12:13], v[66:67]
	s_waitcnt vmcnt(36)
	v_mul_f64 v[66:67], v[224:225], v[180:181]
	s_waitcnt vmcnt(34)
	v_fmac_f64_e32 v[66:67], v[226:227], v[182:183]
	v_add_f64 v[12:13], v[12:13], v[66:67]
	v_mul_f64 v[66:67], v[228:229], v[172:173]
	s_waitcnt vmcnt(32)
	v_fmac_f64_e32 v[66:67], v[230:231], v[178:179]
	v_add_f64 v[12:13], v[12:13], v[66:67]
	ds_read_b128 v[66:69], v144 offset:1616
	s_waitcnt vmcnt(25)
	v_mul_f64 v[78:79], v[70:71], v[186:187]
	s_waitcnt vmcnt(24)
	v_fmac_f64_e32 v[78:79], v[72:73], v[88:89]
	s_waitcnt lgkmcnt(0)
	v_mul_f64 v[74:75], v[66:67], v[184:185]
	v_fmac_f64_e32 v[74:75], v[68:69], v[190:191]
	v_add_f64 v[12:13], v[12:13], v[74:75]
	v_mul_f64 v[74:75], v[254:255], v[216:217]
	v_fma_f64 v[254:255], v[252:253], v[218:219], -v[74:75]
	ds_read_b128 v[74:77], v144 offset:1648
	v_add_f64 v[12:13], v[12:13], v[78:79]
	ds_read_b128 v[78:81], v144 offset:1664
	v_fma_f64 v[252:253], v[62:63], v[100:101], -v[64:65]
	ds_read_b128 v[62:65], v144 offset:1728
	s_waitcnt vmcnt(21) lgkmcnt(2)
	v_mul_f64 v[90:91], v[74:75], v[194:195]
	s_waitcnt vmcnt(19)
	v_fmac_f64_e32 v[90:91], v[76:77], v[200:201]
	v_add_f64 v[12:13], v[12:13], v[90:91]
	s_waitcnt vmcnt(18) lgkmcnt(1)
	v_mul_f64 v[90:91], v[78:79], v[192:193]
	s_waitcnt vmcnt(16)
	v_fmac_f64_e32 v[90:91], v[80:81], v[198:199]
	v_add_f64 v[12:13], v[12:13], v[90:91]
	ds_read_b128 v[90:93], v144 offset:1696
	s_waitcnt vmcnt(14)
	v_mul_f64 v[98:99], v[118:119], v[196:197]
	buffer_load_dword v217, off, s[0:3], 0 offset:860
	buffer_load_dword v216, off, s[0:3], 0 offset:856
	;; [unrolled: 1-line block ×4, first 2 shown]
	s_waitcnt vmcnt(16)
	v_fmac_f64_e32 v[98:99], v[120:121], v[202:203]
	v_add_f64 v[12:13], v[12:13], v[98:99]
	ds_read_b128 v[98:101], v144 offset:1744
	buffer_load_dword v220, off, s[0:3], 0 offset:872
	buffer_load_dword v221, off, s[0:3], 0 offset:876
	buffer_load_dword v222, off, s[0:3], 0 offset:864
	buffer_load_dword v223, off, s[0:3], 0 offset:868
	ds_read_b128 v[102:105], v144 offset:1760
	buffer_load_dword v233, off, s[0:3], 0 offset:892
	buffer_load_dword v232, off, s[0:3], 0 offset:888
	;; [unrolled: 1-line block ×4, first 2 shown]
	s_waitcnt vmcnt(22) lgkmcnt(2)
	v_mul_f64 v[96:97], v[90:91], v[206:207]
	s_waitcnt vmcnt(20)
	v_fmac_f64_e32 v[96:97], v[92:93], v[208:209]
	v_add_f64 v[12:13], v[12:13], v[96:97]
	s_waitcnt vmcnt(17)
	v_mul_f64 v[96:97], v[58:59], v[212:213]
	s_waitcnt vmcnt(15)
	v_fmac_f64_e32 v[96:97], v[60:61], v[214:215]
	v_add_f64 v[12:13], v[12:13], v[96:97]
	s_waitcnt vmcnt(13)
	v_mul_f64 v[96:97], v[62:63], v[204:205]
	s_waitcnt vmcnt(12)
	v_fmac_f64_e32 v[96:97], v[64:65], v[210:211]
	ds_read_b128 v[106:109], v144 offset:1776
	v_add_f64 v[12:13], v[12:13], v[96:97]
	v_add_f64 v[4:5], v[4:5], v[254:255]
	;; [unrolled: 1-line block ×3, first 2 shown]
	v_accvgpr_read_b32 v2, a198
	v_accvgpr_read_b32 v3, a199
	v_mul_f64 v[4:5], v[8:9], v[142:143]
	v_accvgpr_read_b32 v8, a176
	v_add_f64 v[2:3], v[254:255], v[2:3]
	v_accvgpr_read_b32 v9, a177
	v_add_f64 v[2:3], v[2:3], v[252:253]
	v_fma_f64 v[4:5], v[6:7], v[8:9], -v[4:5]
	v_add_f64 v[2:3], v[2:3], v[4:5]
	v_accvgpr_read_b32 v4, a178
	v_accvgpr_read_b32 v5, a179
	v_accvgpr_read_b32 v6, a180
	v_mul_f64 v[4:5], v[136:137], v[4:5]
	v_accvgpr_read_b32 v7, a181
	v_fma_f64 v[4:5], v[134:135], v[6:7], -v[4:5]
	v_add_f64 v[2:3], v[2:3], v[4:5]
	v_accvgpr_read_b32 v4, a182
	v_accvgpr_read_b32 v5, a183
	v_accvgpr_read_b32 v6, a184
	v_mul_f64 v[4:5], v[132:133], v[4:5]
	v_accvgpr_read_b32 v7, a185
	;; [unrolled: 7-line block ×5, first 2 shown]
	v_fma_f64 v[4:5], v[122:123], v[6:7], -v[4:5]
	v_add_f64 v[2:3], v[2:3], v[4:5]
	v_mul_f64 v[4:5], v[28:29], v[0:1]
	v_fma_f64 v[4:5], v[26:27], v[148:149], -v[4:5]
	v_add_f64 v[2:3], v[2:3], v[4:5]
	v_mul_f64 v[4:5], v[32:33], v[150:151]
	;; [unrolled: 3-line block ×5, first 2 shown]
	v_fma_f64 v[4:5], v[42:43], v[166:167], -v[4:5]
	v_add_f64 v[2:3], v[2:3], v[4:5]
	s_waitcnt vmcnt(10) lgkmcnt(2)
	v_mul_f64 v[96:97], v[98:99], v[216:217]
	v_mul_f64 v[4:5], v[48:49], v[158:159]
	s_waitcnt vmcnt(8)
	v_fmac_f64_e32 v[96:97], v[100:101], v[218:219]
	v_add_f64 v[12:13], v[12:13], v[96:97]
	s_waitcnt vmcnt(6) lgkmcnt(1)
	v_mul_f64 v[96:97], v[102:103], v[220:221]
	v_fma_f64 v[4:5], v[46:47], v[22:23], -v[4:5]
	s_waitcnt vmcnt(4)
	v_fmac_f64_e32 v[96:97], v[104:105], v[222:223]
	v_add_f64 v[12:13], v[12:13], v[96:97]
	s_waitcnt vmcnt(2) lgkmcnt(0)
	v_mul_f64 v[96:97], v[106:107], v[232:233]
	s_waitcnt vmcnt(0)
	v_fmac_f64_e32 v[96:97], v[108:109], v[234:235]
	v_add_f64 v[96:97], v[12:13], v[96:97]
	buffer_load_dword v12, off, s[0:3], 0 offset:904
	buffer_load_dword v13, off, s[0:3], 0 offset:908
	;; [unrolled: 1-line block ×4, first 2 shown]
	ds_read_b128 v[110:113], v144 offset:1792
	buffer_load_dword v243, off, s[0:3], 0 offset:924
	buffer_load_dword v242, off, s[0:3], 0 offset:920
	buffer_load_dword v245, off, s[0:3], 0 offset:916
	buffer_load_dword v244, off, s[0:3], 0 offset:912
	v_add_f64 v[2:3], v[2:3], v[4:5]
	v_mul_f64 v[4:5], v[52:53], v[168:169]
	v_fma_f64 v[4:5], v[50:51], v[170:171], -v[4:5]
	v_add_f64 v[2:3], v[2:3], v[4:5]
	v_mul_f64 v[4:5], v[56:57], v[174:175]
	v_fma_f64 v[4:5], v[54:55], v[176:177], -v[4:5]
	;; [unrolled: 3-line block ×15, first 2 shown]
	v_add_f64 v[2:3], v[2:3], v[4:5]
	v_accvgpr_read_b32 v0, a170
	v_cmp_lt_u32_e32 vcc, 3, v0
	s_waitcnt vmcnt(6) lgkmcnt(0)
	v_mul_f64 v[114:115], v[110:111], v[12:13]
	v_mul_f64 v[4:5], v[112:113], v[12:13]
	s_waitcnt vmcnt(4)
	v_fmac_f64_e32 v[114:115], v[112:113], v[238:239]
	v_add_f64 v[96:97], v[96:97], v[114:115]
	ds_read_b128 v[114:117], v144 offset:1808
	buffer_load_dword v248, off, s[0:3], 0 offset:80
	buffer_load_dword v249, off, s[0:3], 0 offset:84
	;; [unrolled: 1-line block ×4, first 2 shown]
	v_fma_f64 v[4:5], v[110:111], v[238:239], -v[4:5]
	v_add_f64 v[2:3], v[2:3], v[4:5]
	s_waitcnt vmcnt(6) lgkmcnt(0)
	v_mul_f64 v[4:5], v[116:117], v[242:243]
	v_mul_f64 v[250:251], v[114:115], v[242:243]
	s_waitcnt vmcnt(4)
	v_fma_f64 v[4:5], v[114:115], v[244:245], -v[4:5]
	v_fmac_f64_e32 v[250:251], v[116:117], v[244:245]
	v_add_f64 v[2:3], v[2:3], v[4:5]
	v_add_f64 v[96:97], v[96:97], v[250:251]
	s_waitcnt vmcnt(2)
	v_add_f64 v[2:3], v[248:249], -v[2:3]
	s_waitcnt vmcnt(0)
	v_add_f64 v[4:5], v[246:247], -v[96:97]
	buffer_store_dword v3, off, s[0:3], 0 offset:84
	buffer_store_dword v2, off, s[0:3], 0 offset:80
	;; [unrolled: 1-line block ×4, first 2 shown]
	s_and_saveexec_b64 s[4:5], vcc
	s_cbranch_execz .LBB56_349
; %bb.348:
	v_accvgpr_read_b32 v0, a167
	buffer_load_dword v2, v0, s[0:3], 0 offen
	buffer_load_dword v3, v0, s[0:3], 0 offen offset:4
	buffer_load_dword v4, v0, s[0:3], 0 offen offset:8
	;; [unrolled: 1-line block ×3, first 2 shown]
	v_mov_b32_e32 v0, 0
	v_accvgpr_read_b32 v1, a171
	buffer_store_dword v0, off, s[0:3], 0 offset:64
	buffer_store_dword v0, off, s[0:3], 0 offset:68
	;; [unrolled: 1-line block ×4, first 2 shown]
	s_waitcnt vmcnt(4)
	ds_write_b128 v1, v[2:5]
.LBB56_349:
	s_or_b64 exec, exec, s[4:5]
	s_waitcnt lgkmcnt(0)
	; wave barrier
	s_waitcnt lgkmcnt(0)
	buffer_load_dword v158, off, s[0:3], 0 offset:80
	buffer_load_dword v159, off, s[0:3], 0 offset:84
	;; [unrolled: 1-line block ×36, first 2 shown]
	v_mov_b32_e32 v148, 0
	buffer_load_dword v55, off, s[0:3], 0 offset:252
	buffer_load_dword v54, off, s[0:3], 0 offset:248
	;; [unrolled: 1-line block ×18, first 2 shown]
	ds_read_b128 v[22:25], v148 offset:976
	ds_read_b128 v[110:113], v148 offset:992
	;; [unrolled: 1-line block ×9, first 2 shown]
	s_waitcnt vmcnt(50) lgkmcnt(8)
	v_mul_f64 v[2:3], v[22:23], v[16:17]
	v_fmac_f64_e32 v[2:3], v[24:25], v[158:159]
	v_add_f64 v[2:3], v[2:3], 0
	v_mul_f64 v[16:17], v[24:25], v[16:17]
	s_waitcnt vmcnt(46) lgkmcnt(7)
	v_mul_f64 v[4:5], v[110:111], v[20:21]
	v_fmac_f64_e32 v[4:5], v[112:113], v[156:157]
	s_waitcnt vmcnt(44) lgkmcnt(6)
	v_mul_f64 v[6:7], v[114:115], v[26:27]
	v_add_f64 v[2:3], v[2:3], v[4:5]
	s_waitcnt vmcnt(42) lgkmcnt(4)
	v_mul_f64 v[10:11], v[166:167], v[30:31]
	v_fma_f64 v[250:251], v[22:23], v[158:159], -v[16:17]
	s_waitcnt vmcnt(40)
	v_fmac_f64_e32 v[10:11], v[168:169], v[32:33]
	v_mul_f64 v[20:21], v[112:113], v[20:21]
	s_waitcnt vmcnt(38)
	v_mul_f64 v[8:9], v[162:163], v[28:29]
	v_mul_f64 v[26:27], v[116:117], v[26:27]
	s_waitcnt vmcnt(36) lgkmcnt(2)
	v_mul_f64 v[68:69], v[174:175], v[44:45]
	v_mul_f64 v[28:29], v[164:165], v[28:29]
	s_waitcnt vmcnt(34)
	v_fmac_f64_e32 v[68:69], v[176:177], v[46:47]
	v_mul_f64 v[30:31], v[168:169], v[30:31]
	s_waitcnt vmcnt(32)
	v_mul_f64 v[12:13], v[170:171], v[34:35]
	v_mul_f64 v[34:35], v[172:173], v[34:35]
	s_waitcnt vmcnt(30) lgkmcnt(1)
	v_mul_f64 v[118:119], v[178:179], v[42:43]
	v_mul_f64 v[42:43], v[180:181], v[42:43]
	s_waitcnt vmcnt(28)
	v_fmac_f64_e32 v[6:7], v[116:117], v[160:161]
	v_add_f64 v[2:3], v[2:3], v[6:7]
	s_waitcnt vmcnt(26)
	v_fmac_f64_e32 v[8:9], v[164:165], v[38:39]
	v_add_f64 v[2:3], v[2:3], v[8:9]
	;; [unrolled: 3-line block ×3, first 2 shown]
	v_add_f64 v[2:3], v[2:3], v[12:13]
	v_add_f64 v[2:3], v[2:3], v[68:69]
	buffer_load_dword v109, off, s[0:3], 0 offset:308
	buffer_load_dword v108, off, s[0:3], 0 offset:304
	;; [unrolled: 1-line block ×40, first 2 shown]
	s_waitcnt vmcnt(62)
	v_fmac_f64_e32 v[118:119], v[180:181], v[50:51]
	s_waitcnt vmcnt(58) lgkmcnt(0)
	v_mul_f64 v[4:5], v[182:183], v[48:49]
	v_add_f64 v[2:3], v[2:3], v[118:119]
	v_fmac_f64_e32 v[4:5], v[184:185], v[52:53]
	v_add_f64 v[2:3], v[2:3], v[4:5]
	v_fma_f64 v[252:253], v[114:115], v[160:161], -v[26:27]
	v_fma_f64 v[254:255], v[162:163], v[38:39], -v[28:29]
	;; [unrolled: 1-line block ×4, first 2 shown]
	v_mul_f64 v[42:43], v[184:185], v[48:49]
	v_fma_f64 v[116:117], v[182:183], v[52:53], -v[42:43]
	s_waitcnt vmcnt(0)
	v_pk_mov_b32 v[6:7], v[0:1], v[0:1] op_sel:[0,1]
	buffer_load_dword v1, off, s[0:3], 0 offset:468
	buffer_load_dword v0, off, s[0:3], 0 offset:464
	v_pk_mov_b32 v[150:151], v[6:7], v[6:7] op_sel:[0,1]
	s_waitcnt vmcnt(0)
	v_pk_mov_b32 v[8:9], v[0:1], v[0:1] op_sel:[0,1]
	buffer_load_dword v91, off, s[0:3], 0 offset:460
	buffer_load_dword v90, off, s[0:3], 0 offset:456
	buffer_load_dword v93, off, s[0:3], 0 offset:452
	buffer_load_dword v92, off, s[0:3], 0 offset:448
	buffer_load_dword v1, off, s[0:3], 0 offset:508
	buffer_load_dword v0, off, s[0:3], 0 offset:504
	v_accvgpr_write_b32 a177, v9
	v_accvgpr_write_b32 a176, v8
	s_waitcnt vmcnt(0)
	v_pk_mov_b32 v[120:121], v[0:1], v[0:1] op_sel:[0,1]
	buffer_load_dword v1, off, s[0:3], 0 offset:500
	buffer_load_dword v0, off, s[0:3], 0 offset:496
	v_accvgpr_write_b32 a183, v121
	v_accvgpr_write_b32 a182, v120
	s_waitcnt vmcnt(0)
	v_pk_mov_b32 v[122:123], v[0:1], v[0:1] op_sel:[0,1]
	buffer_load_dword v1, off, s[0:3], 0 offset:492
	buffer_load_dword v0, off, s[0:3], 0 offset:488
	;; [unrolled: 6-line block ×7, first 2 shown]
	ds_read_b128 v[186:189], v148 offset:1120
	ds_read_b128 v[190:193], v148 offset:1136
	ds_read_b128 v[194:197], v148 offset:1152
	ds_read_b128 v[198:201], v148 offset:1168
	ds_read_b128 v[202:205], v148 offset:1184
	ds_read_b128 v[206:209], v148 offset:1200
	ds_read_b128 v[212:215], v148 offset:1216
	ds_read_b128 v[216:219], v148 offset:1232
	ds_read_b128 v[220:223], v148 offset:1248
	s_waitcnt lgkmcnt(8)
	v_mul_f64 v[4:5], v[186:187], v[58:59]
	v_fmac_f64_e32 v[4:5], v[188:189], v[60:61]
	v_add_f64 v[2:3], v[2:3], v[4:5]
	s_waitcnt lgkmcnt(7)
	v_mul_f64 v[4:5], v[190:191], v[54:55]
	v_fmac_f64_e32 v[4:5], v[192:193], v[56:57]
	v_add_f64 v[2:3], v[2:3], v[4:5]
	;; [unrolled: 4-line block ×9, first 2 shown]
	v_accvgpr_write_b32 a187, v129
	v_accvgpr_write_b32 a186, v128
	v_mul_f64 v[42:43], v[188:189], v[58:59]
	v_mul_f64 v[16:17], v[214:215], v[104:105]
	v_fma_f64 v[16:17], v[212:213], v[106:107], -v[16:17]
	v_mul_f64 v[50:51], v[218:219], v[84:85]
	s_waitcnt vmcnt(0)
	v_pk_mov_b32 v[130:131], v[0:1], v[0:1] op_sel:[0,1]
	buffer_load_dword v19, off, s[0:3], 0 offset:556
	buffer_load_dword v18, off, s[0:3], 0 offset:552
	;; [unrolled: 1-line block ×4, first 2 shown]
	ds_read_b128 v[224:227], v148 offset:1264
	buffer_load_dword v15, off, s[0:3], 0 offset:572
	buffer_load_dword v14, off, s[0:3], 0 offset:568
	;; [unrolled: 1-line block ×12, first 2 shown]
	ds_read_b128 v[228:231], v148 offset:1280
	ds_read_b128 v[232:235], v148 offset:1296
	s_waitcnt lgkmcnt(2)
	v_mul_f64 v[4:5], v[224:225], v[68:69]
	v_fmac_f64_e32 v[4:5], v[226:227], v[70:71]
	ds_read_b128 v[236:239], v148 offset:1312
	ds_read_b128 v[240:243], v148 offset:1328
	v_add_f64 v[2:3], v[2:3], v[4:5]
	s_waitcnt lgkmcnt(3)
	v_mul_f64 v[4:5], v[228:229], v[72:73]
	v_fmac_f64_e32 v[4:5], v[230:231], v[82:83]
	v_add_f64 v[2:3], v[2:3], v[4:5]
	s_waitcnt lgkmcnt(2)
	v_mul_f64 v[4:5], v[232:233], v[74:75]
	v_fmac_f64_e32 v[4:5], v[234:235], v[76:77]
	v_add_f64 v[2:3], v[2:3], v[4:5]
	s_waitcnt lgkmcnt(1)
	v_mul_f64 v[4:5], v[236:237], v[78:79]
	ds_read_b128 v[244:247], v148 offset:1344
	ds_read_b128 v[144:147], v148 offset:1360
	v_fmac_f64_e32 v[4:5], v[238:239], v[80:81]
	v_add_f64 v[2:3], v[2:3], v[4:5]
	s_waitcnt lgkmcnt(2)
	v_mul_f64 v[4:5], v[240:241], v[86:87]
	v_fmac_f64_e32 v[4:5], v[242:243], v[88:89]
	v_add_f64 v[10:11], v[2:3], v[4:5]
	ds_read_b128 v[2:5], v148 offset:1376
	ds_read_b128 v[132:135], v148 offset:1392
	s_waitcnt lgkmcnt(3)
	v_mul_f64 v[12:13], v[244:245], v[90:91]
	v_fmac_f64_e32 v[12:13], v[246:247], v[92:93]
	v_add_f64 v[10:11], v[10:11], v[12:13]
	s_waitcnt lgkmcnt(2)
	v_mul_f64 v[12:13], v[144:145], v[6:7]
	v_fmac_f64_e32 v[12:13], v[146:147], v[8:9]
	v_add_f64 v[10:11], v[10:11], v[12:13]
	s_waitcnt lgkmcnt(1)
	v_mul_f64 v[12:13], v[2:3], v[124:125]
	v_fmac_f64_e32 v[12:13], v[4:5], v[126:127]
	s_waitcnt lgkmcnt(0)
	v_mul_f64 v[22:23], v[132:133], v[120:121]
	v_add_f64 v[118:119], v[10:11], v[12:13]
	ds_read_b128 v[124:127], v148 offset:1408
	v_fmac_f64_e32 v[22:23], v[134:135], v[122:123]
	v_add_f64 v[22:23], v[118:119], v[22:23]
	v_fma_f64 v[118:119], v[110:111], v[156:157], -v[20:21]
	ds_read_b128 v[156:159], v148 offset:1424
	s_waitcnt lgkmcnt(1)
	v_mul_f64 v[24:25], v[124:125], v[128:129]
	v_accvgpr_write_b32 a189, v131
	v_fmac_f64_e32 v[24:25], v[126:127], v[130:131]
	v_accvgpr_write_b32 a188, v130
	ds_read_b128 v[128:131], v148 offset:1440
	s_waitcnt lgkmcnt(1)
	v_mul_f64 v[26:27], v[156:157], v[136:137]
	v_fmac_f64_e32 v[26:27], v[158:159], v[140:141]
	buffer_load_dword v161, off, s[0:3], 0 offset:620
	buffer_load_dword v160, off, s[0:3], 0 offset:616
	;; [unrolled: 1-line block ×7, first 2 shown]
	ds_read_b128 v[120:123], v148 offset:1456
	v_add_f64 v[110:111], v[22:23], v[24:25]
	buffer_load_dword v141, off, s[0:3], 0 offset:628
	v_fma_f64 v[24:25], v[166:167], v[32:33], -v[30:31]
	ds_read_b128 v[30:33], v148 offset:1472
	v_accvgpr_write_b32 a175, v5
	ds_read_b128 v[34:37], v148 offset:1488
	v_accvgpr_write_b32 a174, v4
	v_accvgpr_write_b32 a173, v3
	;; [unrolled: 1-line block ×3, first 2 shown]
	v_add_f64 v[26:27], v[110:111], v[26:27]
	v_fma_f64 v[22:23], v[186:187], v[60:61], -v[42:43]
	v_mul_f64 v[42:43], v[192:193], v[54:55]
	v_fma_f64 v[20:21], v[190:191], v[56:57], -v[42:43]
	v_mul_f64 v[42:43], v[196:197], v[96:97]
	v_mul_f64 v[12:13], v[200:201], v[64:65]
	;; [unrolled: 1-line block ×4, first 2 shown]
	v_fma_f64 v[2:3], v[236:237], v[80:81], -v[78:79]
	v_mul_f64 v[86:87], v[242:243], v[86:87]
	v_fma_f64 v[242:243], v[240:241], v[88:89], -v[86:87]
	v_mul_f64 v[90:91], v[246:247], v[90:91]
	v_fma_f64 v[90:91], v[244:245], v[92:93], -v[90:91]
	v_accvgpr_write_b32 a201, v91
	v_accvgpr_write_b32 a200, v90
	s_waitcnt vmcnt(22) lgkmcnt(3)
	v_mul_f64 v[28:29], v[128:129], v[18:19]
	v_accvgpr_write_b32 a195, v19
	s_waitcnt vmcnt(20)
	v_fmac_f64_e32 v[28:29], v[130:131], v[0:1]
	s_waitcnt vmcnt(18) lgkmcnt(2)
	v_mul_f64 v[4:5], v[120:121], v[14:15]
	v_add_f64 v[38:39], v[26:27], v[28:29]
	s_waitcnt vmcnt(16)
	v_fmac_f64_e32 v[4:5], v[122:123], v[142:143]
	v_add_f64 v[4:5], v[38:39], v[4:5]
	s_waitcnt vmcnt(13) lgkmcnt(1)
	v_mul_f64 v[38:39], v[30:31], v[152:153]
	s_waitcnt vmcnt(11)
	v_fmac_f64_e32 v[38:39], v[32:33], v[154:155]
	v_add_f64 v[4:5], v[4:5], v[38:39]
	s_waitcnt vmcnt(10) lgkmcnt(0)
	v_mul_f64 v[38:39], v[34:35], v[40:41]
	v_accvgpr_write_b32 a197, v1
	s_waitcnt vmcnt(8)
	v_fmac_f64_e32 v[38:39], v[36:37], v[138:139]
	v_accvgpr_write_b32 a196, v0
	v_pk_mov_b32 v[0:1], v[40:41], v[40:41] op_sel:[0,1]
	v_add_f64 v[110:111], v[4:5], v[38:39]
	ds_read_b128 v[38:41], v148 offset:1504
	buffer_load_dword v27, off, s[0:3], 0 offset:652
	buffer_load_dword v26, off, s[0:3], 0 offset:648
	;; [unrolled: 1-line block ×9, first 2 shown]
	v_mul_f64 v[4:5], v[176:177], v[44:45]
	v_fma_f64 v[112:113], v[174:175], v[46:47], -v[4:5]
	buffer_load_dword v177, off, s[0:3], 0 offset:684
	buffer_load_dword v176, off, s[0:3], 0 offset:680
	;; [unrolled: 1-line block ×19, first 2 shown]
	v_accvgpr_write_b32 a199, v15
	v_accvgpr_write_b32 a194, v18
	;; [unrolled: 1-line block ×3, first 2 shown]
	v_fma_f64 v[18:19], v[194:195], v[98:99], -v[42:43]
	v_fma_f64 v[14:15], v[198:199], v[66:67], -v[12:13]
	buffer_load_dword v193, off, s[0:3], 0 offset:764
	buffer_load_dword v192, off, s[0:3], 0 offset:760
	;; [unrolled: 1-line block ×8, first 2 shown]
	v_mul_f64 v[42:43], v[204:205], v[210:211]
	v_fma_f64 v[248:249], v[202:203], v[248:249], -v[42:43]
	buffer_load_dword v203, off, s[0:3], 0 offset:796
	buffer_load_dword v202, off, s[0:3], 0 offset:792
	;; [unrolled: 1-line block ×4, first 2 shown]
	v_mul_f64 v[42:43], v[208:209], v[62:63]
	v_fma_f64 v[12:13], v[206:207], v[108:109], -v[42:43]
	buffer_load_dword v200, off, s[0:3], 0 offset:824
	buffer_load_dword v209, off, s[0:3], 0 offset:812
	;; [unrolled: 1-line block ×8, first 2 shown]
	ds_read_b128 v[42:45], v148 offset:1520
	buffer_load_dword v213, off, s[0:3], 0 offset:844
	buffer_load_dword v212, off, s[0:3], 0 offset:840
	;; [unrolled: 1-line block ×4, first 2 shown]
	v_mul_f64 v[62:63], v[226:227], v[68:69]
	v_fma_f64 v[8:9], v[224:225], v[70:71], -v[62:63]
	ds_read_b128 v[62:65], v148 offset:1600
	v_fma_f64 v[4:5], v[232:233], v[76:77], -v[74:75]
	ds_read_b128 v[78:81], v148 offset:1664
	ds_read_b128 v[86:89], v148 offset:1696
	;; [unrolled: 1-line block ×4, first 2 shown]
	s_waitcnt vmcnt(58) lgkmcnt(6)
	v_mul_f64 v[46:47], v[38:39], v[160:161]
	s_waitcnt vmcnt(54)
	v_fmac_f64_e32 v[46:47], v[40:41], v[162:163]
	s_waitcnt vmcnt(53) lgkmcnt(5)
	v_mul_f64 v[48:49], v[42:43], v[136:137]
	v_add_f64 v[46:47], v[110:111], v[46:47]
	v_fma_f64 v[110:111], v[216:217], v[94:95], -v[50:51]
	s_waitcnt vmcnt(52)
	v_fmac_f64_e32 v[48:49], v[44:45], v[140:141]
	v_add_f64 v[54:55], v[46:47], v[48:49]
	ds_read_b128 v[46:49], v148 offset:1536
	ds_read_b128 v[50:53], v148 offset:1552
	s_waitcnt vmcnt(50) lgkmcnt(1)
	v_mul_f64 v[56:57], v[46:47], v[26:27]
	s_waitcnt vmcnt(48)
	v_fmac_f64_e32 v[56:57], v[48:49], v[170:171]
	v_add_f64 v[58:59], v[54:55], v[56:57]
	v_mul_f64 v[54:55], v[222:223], v[100:101]
	v_fma_f64 v[10:11], v[220:221], v[102:103], -v[54:55]
	ds_read_b128 v[54:57], v148 offset:1568
	s_waitcnt vmcnt(46) lgkmcnt(1)
	v_mul_f64 v[60:61], v[50:51], v[168:169]
	s_waitcnt vmcnt(44)
	v_fmac_f64_e32 v[60:61], v[52:53], v[172:173]
	v_add_f64 v[66:67], v[58:59], v[60:61]
	ds_read_b128 v[58:61], v148 offset:1584
	s_waitcnt vmcnt(41) lgkmcnt(1)
	v_mul_f64 v[68:69], v[54:55], v[176:177]
	s_waitcnt vmcnt(39)
	v_fmac_f64_e32 v[68:69], v[56:57], v[180:181]
	v_add_f64 v[70:71], v[66:67], v[68:69]
	v_mul_f64 v[66:67], v[230:231], v[72:73]
	v_fma_f64 v[6:7], v[228:229], v[82:83], -v[66:67]
	ds_read_b128 v[66:69], v148 offset:1616
	s_waitcnt vmcnt(38) lgkmcnt(1)
	v_mul_f64 v[84:85], v[58:59], v[166:167]
	s_waitcnt vmcnt(36)
	v_fmac_f64_e32 v[84:85], v[60:61], v[178:179]
	s_waitcnt vmcnt(33)
	v_mul_f64 v[72:73], v[62:63], v[184:185]
	v_add_f64 v[70:71], v[70:71], v[84:85]
	s_waitcnt vmcnt(31)
	v_fmac_f64_e32 v[72:73], v[64:65], v[186:187]
	v_add_f64 v[70:71], v[70:71], v[72:73]
	s_waitcnt vmcnt(29) lgkmcnt(0)
	v_mul_f64 v[72:73], v[66:67], v[174:175]
	s_waitcnt vmcnt(28)
	v_fmac_f64_e32 v[72:73], v[68:69], v[182:183]
	v_add_f64 v[82:83], v[70:71], v[72:73]
	ds_read_b128 v[70:73], v148 offset:1632
	s_waitcnt vmcnt(26) lgkmcnt(0)
	v_mul_f64 v[84:85], v[70:71], v[188:189]
	s_waitcnt vmcnt(24)
	v_fmac_f64_e32 v[84:85], v[72:73], v[190:191]
	v_add_f64 v[28:29], v[82:83], v[84:85]
	s_waitcnt vmcnt(22)
	v_mul_f64 v[82:83], v[74:75], v[192:193]
	s_waitcnt vmcnt(20)
	v_fmac_f64_e32 v[82:83], v[76:77], v[196:197]
	v_add_f64 v[28:29], v[28:29], v[82:83]
	s_waitcnt vmcnt(18)
	v_mul_f64 v[82:83], v[78:79], v[194:195]
	s_waitcnt vmcnt(16)
	v_fmac_f64_e32 v[82:83], v[80:81], v[198:199]
	v_add_f64 v[28:29], v[28:29], v[82:83]
	ds_read_b128 v[82:85], v148 offset:1680
	s_waitcnt vmcnt(14) lgkmcnt(0)
	v_mul_f64 v[94:95], v[82:83], v[202:203]
	s_waitcnt vmcnt(12)
	v_fmac_f64_e32 v[94:95], v[84:85], v[204:205]
	v_add_f64 v[28:29], v[28:29], v[94:95]
	s_waitcnt vmcnt(9)
	v_mul_f64 v[94:95], v[86:87], v[208:209]
	s_waitcnt vmcnt(7)
	v_fmac_f64_e32 v[94:95], v[88:89], v[210:211]
	v_add_f64 v[28:29], v[28:29], v[94:95]
	s_waitcnt vmcnt(5)
	v_mul_f64 v[94:95], v[90:91], v[200:201]
	s_waitcnt vmcnt(4)
	v_fmac_f64_e32 v[94:95], v[92:93], v[206:207]
	v_add_f64 v[28:29], v[28:29], v[94:95]
	ds_read_b128 v[94:97], v148 offset:1728
	buffer_load_dword v216, off, s[0:3], 0 offset:856
	buffer_load_dword v217, off, s[0:3], 0 offset:860
	buffer_load_dword v218, off, s[0:3], 0 offset:848
	buffer_load_dword v219, off, s[0:3], 0 offset:852
	s_waitcnt vmcnt(6) lgkmcnt(0)
	v_mul_f64 v[98:99], v[94:95], v[212:213]
	s_waitcnt vmcnt(4)
	v_fmac_f64_e32 v[98:99], v[96:97], v[214:215]
	v_add_f64 v[28:29], v[28:29], v[98:99]
	ds_read_b128 v[98:101], v148 offset:1744
	buffer_load_dword v221, off, s[0:3], 0 offset:876
	buffer_load_dword v220, off, s[0:3], 0 offset:872
	buffer_load_dword v233, off, s[0:3], 0 offset:868
	buffer_load_dword v232, off, s[0:3], 0 offset:864
	s_waitcnt vmcnt(6) lgkmcnt(0)
	;; [unrolled: 10-line block ×5, first 2 shown]
	v_mul_f64 v[228:229], v[224:225], v[238:239]
	s_waitcnt vmcnt(4)
	v_fmac_f64_e32 v[228:229], v[226:227], v[240:241]
	v_add_f64 v[28:29], v[28:29], v[228:229]
	ds_read_b128 v[228:231], v148 offset:1808
	s_waitcnt vmcnt(2) lgkmcnt(0)
	v_mul_f64 v[222:223], v[228:229], v[244:245]
	s_waitcnt vmcnt(0)
	v_fmac_f64_e32 v[222:223], v[230:231], v[246:247]
	v_add_f64 v[28:29], v[28:29], v[222:223]
	v_add_f64 v[222:223], v[250:251], 0
	v_add_f64 v[118:119], v[222:223], v[118:119]
	v_add_f64 v[118:119], v[118:119], v[252:253]
	v_add_f64 v[118:119], v[118:119], v[254:255]
	v_add_f64 v[24:25], v[118:119], v[24:25]
	v_add_f64 v[24:25], v[24:25], v[164:165]
	v_add_f64 v[24:25], v[24:25], v[112:113]
	v_add_f64 v[24:25], v[24:25], v[114:115]
	v_add_f64 v[24:25], v[24:25], v[116:117]
	v_add_f64 v[22:23], v[24:25], v[22:23]
	v_add_f64 v[20:21], v[22:23], v[20:21]
	v_add_f64 v[18:19], v[20:21], v[18:19]
	v_add_f64 v[14:15], v[18:19], v[14:15]
	v_add_f64 v[14:15], v[14:15], v[248:249]
	v_add_f64 v[12:13], v[14:15], v[12:13]
	v_add_f64 v[12:13], v[12:13], v[16:17]
	buffer_load_dword v250, off, s[0:3], 0 offset:64
	buffer_load_dword v251, off, s[0:3], 0 offset:68
	v_add_f64 v[12:13], v[12:13], v[110:111]
	buffer_load_dword v248, off, s[0:3], 0 offset:72
	buffer_load_dword v249, off, s[0:3], 0 offset:76
	v_add_f64 v[10:11], v[12:13], v[10:11]
	v_add_f64 v[8:9], v[10:11], v[8:9]
	;; [unrolled: 1-line block ×6, first 2 shown]
	v_accvgpr_read_b32 v2, a200
	v_accvgpr_read_b32 v6, a176
	;; [unrolled: 1-line block ×3, first 2 shown]
	v_mul_f64 v[4:5], v[146:147], v[150:151]
	v_accvgpr_read_b32 v7, a177
	v_add_f64 v[2:3], v[252:253], v[2:3]
	v_fma_f64 v[4:5], v[144:145], v[6:7], -v[4:5]
	v_add_f64 v[2:3], v[2:3], v[4:5]
	v_accvgpr_read_b32 v6, a172
	v_accvgpr_read_b32 v4, a178
	;; [unrolled: 1-line block ×5, first 2 shown]
	v_mul_f64 v[4:5], v[8:9], v[4:5]
	v_accvgpr_read_b32 v8, a180
	v_accvgpr_read_b32 v7, a173
	;; [unrolled: 1-line block ×3, first 2 shown]
	v_fma_f64 v[4:5], v[6:7], v[8:9], -v[4:5]
	v_add_f64 v[2:3], v[2:3], v[4:5]
	v_accvgpr_read_b32 v4, a182
	v_accvgpr_read_b32 v5, a183
	v_accvgpr_read_b32 v6, a184
	v_mul_f64 v[4:5], v[134:135], v[4:5]
	v_accvgpr_read_b32 v7, a185
	v_fma_f64 v[4:5], v[132:133], v[6:7], -v[4:5]
	v_add_f64 v[2:3], v[2:3], v[4:5]
	v_accvgpr_read_b32 v4, a186
	v_accvgpr_read_b32 v5, a187
	v_accvgpr_read_b32 v6, a188
	v_mul_f64 v[4:5], v[126:127], v[4:5]
	v_accvgpr_read_b32 v7, a189
	;; [unrolled: 7-line block ×4, first 2 shown]
	v_fma_f64 v[4:5], v[128:129], v[6:7], -v[4:5]
	v_add_f64 v[2:3], v[2:3], v[4:5]
	v_accvgpr_read_b32 v4, a198
	v_accvgpr_read_b32 v5, a199
	v_mul_f64 v[4:5], v[122:123], v[4:5]
	v_fma_f64 v[4:5], v[120:121], v[142:143], -v[4:5]
	v_add_f64 v[2:3], v[2:3], v[4:5]
	v_mul_f64 v[4:5], v[32:33], v[152:153]
	v_fma_f64 v[4:5], v[30:31], v[154:155], -v[4:5]
	v_add_f64 v[2:3], v[2:3], v[4:5]
	;; [unrolled: 3-line block ×23, first 2 shown]
	v_accvgpr_read_b32 v0, a170
	s_waitcnt vmcnt(2)
	v_add_f64 v[2:3], v[250:251], -v[2:3]
	v_cmp_lt_u32_e32 vcc, 2, v0
	s_waitcnt vmcnt(0)
	v_add_f64 v[4:5], v[248:249], -v[28:29]
	buffer_store_dword v3, off, s[0:3], 0 offset:68
	buffer_store_dword v2, off, s[0:3], 0 offset:64
	;; [unrolled: 1-line block ×4, first 2 shown]
	s_and_saveexec_b64 s[4:5], vcc
	s_cbranch_execz .LBB56_351
; %bb.350:
	v_accvgpr_read_b32 v0, a168
	buffer_load_dword v2, v0, s[0:3], 0 offen
	buffer_load_dword v3, v0, s[0:3], 0 offen offset:4
	buffer_load_dword v4, v0, s[0:3], 0 offen offset:8
	;; [unrolled: 1-line block ×3, first 2 shown]
	v_accvgpr_read_b32 v0, a171
	buffer_store_dword v148, off, s[0:3], 0 offset:48
	buffer_store_dword v148, off, s[0:3], 0 offset:52
	;; [unrolled: 1-line block ×4, first 2 shown]
	s_waitcnt vmcnt(4)
	ds_write_b128 v0, v[2:5]
.LBB56_351:
	s_or_b64 exec, exec, s[4:5]
	s_waitcnt lgkmcnt(0)
	; wave barrier
	s_waitcnt lgkmcnt(0)
	buffer_load_dword v130, off, s[0:3], 0 offset:64
	buffer_load_dword v131, off, s[0:3], 0 offset:68
	;; [unrolled: 1-line block ×42, first 2 shown]
	ds_read_b128 v[14:17], v148 offset:960
	ds_read_b128 v[26:29], v148 offset:976
	;; [unrolled: 1-line block ×10, first 2 shown]
	buffer_load_dword v105, off, s[0:3], 0 offset:212
	buffer_load_dword v104, off, s[0:3], 0 offset:208
	ds_read_b128 v[42:45], v148 offset:1120
	buffer_load_dword v65, off, s[0:3], 0 offset:268
	buffer_load_dword v64, off, s[0:3], 0 offset:264
	;; [unrolled: 1-line block ×6, first 2 shown]
	s_waitcnt vmcnt(46) lgkmcnt(10)
	v_mul_f64 v[2:3], v[14:15], v[8:9]
	v_fmac_f64_e32 v[2:3], v[16:17], v[130:131]
	v_add_f64 v[2:3], v[2:3], 0
	v_mul_f64 v[8:9], v[16:17], v[8:9]
	s_waitcnt vmcnt(42) lgkmcnt(9)
	v_mul_f64 v[4:5], v[26:27], v[12:13]
	v_fmac_f64_e32 v[4:5], v[28:29], v[146:147]
	s_waitcnt vmcnt(40) lgkmcnt(8)
	v_mul_f64 v[66:67], v[106:107], v[154:155]
	v_add_f64 v[2:3], v[2:3], v[4:5]
	s_waitcnt vmcnt(38) lgkmcnt(6)
	v_mul_f64 v[72:73], v[114:115], v[30:31]
	v_mul_f64 v[12:13], v[28:29], v[12:13]
	s_waitcnt vmcnt(36)
	v_fmac_f64_e32 v[72:73], v[116:117], v[32:33]
	v_fma_f64 v[130:131], v[14:15], v[130:131], -v[8:9]
	s_waitcnt vmcnt(34)
	v_mul_f64 v[68:69], v[110:111], v[22:23]
	v_mul_f64 v[30:31], v[116:117], v[30:31]
	s_waitcnt vmcnt(32) lgkmcnt(4)
	v_mul_f64 v[76:77], v[164:165], v[38:39]
	v_mul_f64 v[22:23], v[112:113], v[22:23]
	s_waitcnt vmcnt(30)
	v_fmac_f64_e32 v[76:77], v[166:167], v[40:41]
	s_waitcnt vmcnt(28)
	v_mul_f64 v[74:75], v[156:157], v[34:35]
	v_mul_f64 v[34:35], v[158:159], v[34:35]
	s_waitcnt vmcnt(26) lgkmcnt(2)
	v_mul_f64 v[80:81], v[172:173], v[52:53]
	v_mul_f64 v[52:53], v[174:175], v[52:53]
	s_waitcnt vmcnt(23)
	v_mul_f64 v[78:79], v[168:169], v[56:57]
	s_waitcnt vmcnt(21) lgkmcnt(1)
	v_mul_f64 v[144:145], v[46:47], v[50:51]
	s_waitcnt vmcnt(19)
	v_fmac_f64_e32 v[66:67], v[108:109], v[180:181]
	v_add_f64 v[2:3], v[2:3], v[66:67]
	s_waitcnt vmcnt(17)
	v_fmac_f64_e32 v[68:69], v[112:113], v[24:25]
	v_add_f64 v[2:3], v[2:3], v[68:69]
	;; [unrolled: 3-line block ×3, first 2 shown]
	v_add_f64 v[2:3], v[2:3], v[74:75]
	s_waitcnt vmcnt(13)
	v_fmac_f64_e32 v[78:79], v[170:171], v[58:59]
	v_add_f64 v[2:3], v[2:3], v[76:77]
	s_waitcnt vmcnt(12)
	v_fmac_f64_e32 v[80:81], v[174:175], v[54:55]
	v_add_f64 v[2:3], v[2:3], v[78:79]
	v_add_f64 v[2:3], v[2:3], v[80:81]
	buffer_load_dword v187, off, s[0:3], 0 offset:244
	buffer_load_dword v186, off, s[0:3], 0 offset:240
	;; [unrolled: 1-line block ×52, first 2 shown]
	s_waitcnt vmcnt(58)
	v_fmac_f64_e32 v[144:145], v[48:49], v[104:105]
	v_add_f64 v[2:3], v[2:3], v[144:145]
	s_waitcnt vmcnt(0)
	v_pk_mov_b32 v[122:123], v[4:5], v[4:5] op_sel:[0,1]
	buffer_load_dword v5, off, s[0:3], 0 offset:484
	buffer_load_dword v4, off, s[0:3], 0 offset:480
	v_accvgpr_write_b32 a181, v123
	v_accvgpr_write_b32 a180, v122
	s_waitcnt vmcnt(0)
	v_pk_mov_b32 v[124:125], v[4:5], v[4:5] op_sel:[0,1]
	buffer_load_dword v5, off, s[0:3], 0 offset:476
	buffer_load_dword v4, off, s[0:3], 0 offset:472
	v_accvgpr_write_b32 a183, v125
	v_accvgpr_write_b32 a182, v124
	;; [unrolled: 6-line block ×6, first 2 shown]
	s_waitcnt vmcnt(0)
	v_pk_mov_b32 v[184:185], v[4:5], v[4:5] op_sel:[0,1]
	buffer_load_dword v5, off, s[0:3], 0 offset:500
	buffer_load_dword v4, off, s[0:3], 0 offset:496
	s_waitcnt vmcnt(0)
	v_pk_mov_b32 v[188:189], v[4:5], v[4:5] op_sel:[0,1]
	buffer_load_dword v5, off, s[0:3], 0 offset:556
	buffer_load_dword v4, off, s[0:3], 0 offset:552
	v_accvgpr_write_b32 a184, v188
	v_accvgpr_write_b32 a185, v189
	s_waitcnt vmcnt(0)
	v_pk_mov_b32 v[162:163], v[4:5], v[4:5] op_sel:[0,1]
	buffer_load_dword v5, off, s[0:3], 0 offset:548
	buffer_load_dword v4, off, s[0:3], 0 offset:544
	v_accvgpr_write_b32 a191, v163
	v_accvgpr_write_b32 a190, v162
	s_waitcnt vmcnt(0)
	v_pk_mov_b32 v[182:183], v[4:5], v[4:5] op_sel:[0,1]
	buffer_load_dword v7, off, s[0:3], 0 offset:540
	buffer_load_dword v6, off, s[0:3], 0 offset:536
	;; [unrolled: 1-line block ×4, first 2 shown]
	ds_read_b128 v[176:179], v148 offset:1136
	ds_read_b128 v[192:195], v148 offset:1152
	;; [unrolled: 1-line block ×7, first 2 shown]
	buffer_load_dword v11, off, s[0:3], 0 offset:572
	buffer_load_dword v10, off, s[0:3], 0 offset:568
	buffer_load_dword v121, off, s[0:3], 0 offset:564
	buffer_load_dword v120, off, s[0:3], 0 offset:560
	ds_read_b128 v[220:223], v148 offset:1248
	buffer_load_dword v132, off, s[0:3], 0 offset:584
	buffer_load_dword v133, off, s[0:3], 0 offset:588
	;; [unrolled: 1-line block ×4, first 2 shown]
	ds_read_b128 v[224:227], v148 offset:1264
	ds_read_b128 v[228:231], v148 offset:1280
	;; [unrolled: 1-line block ×4, first 2 shown]
	buffer_load_dword v139, off, s[0:3], 0 offset:604
	buffer_load_dword v138, off, s[0:3], 0 offset:600
	;; [unrolled: 1-line block ×4, first 2 shown]
	ds_read_b128 v[242:245], v148 offset:1328
	ds_read_b128 v[246:249], v148 offset:1344
	;; [unrolled: 1-line block ×5, first 2 shown]
	v_accvgpr_write_b32 a193, v183
	v_accvgpr_write_b32 a192, v182
	s_waitcnt lgkmcnt(1)
	v_mul_f64 v[14:15], v[16:17], v[122:123]
	v_fmac_f64_e32 v[14:15], v[18:19], v[124:125]
	ds_read_b128 v[122:125], v148 offset:1456
	v_accvgpr_write_b32 a179, v19
	v_accvgpr_write_b32 a178, v18
	;; [unrolled: 1-line block ×4, first 2 shown]
	v_mul_f64 v[18:19], v[108:109], v[154:155]
	v_fma_f64 v[108:109], v[114:115], v[32:33], -v[30:31]
	ds_read_b128 v[30:33], v148 offset:1472
	v_fma_f64 v[180:181], v[106:107], v[180:181], -v[18:19]
	v_fma_f64 v[106:107], v[110:111], v[24:25], -v[22:23]
	;; [unrolled: 1-line block ×3, first 2 shown]
	v_pk_mov_b32 v[154:155], v[184:185], v[184:185] op_sel:[0,1]
	s_waitcnt vmcnt(14)
	v_accvgpr_write_b32 a197, v7
	v_accvgpr_write_b32 a196, v6
	s_waitcnt vmcnt(12)
	v_pk_mov_b32 v[190:191], v[4:5], v[4:5] op_sel:[0,1]
	v_mul_f64 v[4:5], v[42:43], v[60:61]
	v_fmac_f64_e32 v[4:5], v[44:45], v[62:63]
	v_add_f64 v[2:3], v[2:3], v[4:5]
	v_mul_f64 v[4:5], v[176:177], v[118:119]
	v_fmac_f64_e32 v[4:5], v[178:179], v[186:187]
	v_add_f64 v[2:3], v[2:3], v[4:5]
	;; [unrolled: 3-line block ×16, first 2 shown]
	v_fma_f64 v[160:161], v[26:27], v[146:147], -v[12:13]
	ds_read_b128 v[144:147], v148 offset:1408
	s_waitcnt lgkmcnt(3)
	v_mul_f64 v[26:27], v[150:151], v[184:185]
	v_add_f64 v[4:5], v[4:5], v[14:15]
	v_fmac_f64_e32 v[26:27], v[152:153], v[188:189]
	ds_read_b128 v[140:143], v148 offset:1424
	v_add_f64 v[4:5], v[4:5], v[26:27]
	s_waitcnt lgkmcnt(1)
	v_mul_f64 v[26:27], v[144:145], v[126:127]
	v_fmac_f64_e32 v[26:27], v[146:147], v[128:129]
	ds_read_b128 v[126:129], v148 offset:1440
	v_add_f64 v[4:5], v[4:5], v[26:27]
	s_waitcnt lgkmcnt(1)
	v_mul_f64 v[26:27], v[140:141], v[6:7]
	v_fmac_f64_e32 v[26:27], v[142:143], v[190:191]
	v_add_f64 v[4:5], v[4:5], v[26:27]
	s_waitcnt lgkmcnt(0)
	v_mul_f64 v[26:27], v[126:127], v[162:163]
	v_fmac_f64_e32 v[26:27], v[128:129], v[182:183]
	s_waitcnt vmcnt(10)
	v_mul_f64 v[110:111], v[122:123], v[10:11]
	v_add_f64 v[4:5], v[4:5], v[26:27]
	s_waitcnt vmcnt(8)
	v_fmac_f64_e32 v[110:111], v[124:125], v[120:121]
	v_add_f64 v[4:5], v[4:5], v[110:111]
	v_fma_f64 v[110:111], v[156:157], v[36:37], -v[34:35]
	ds_read_b128 v[34:37], v148 offset:1488
	buffer_load_dword v157, off, s[0:3], 0 offset:620
	buffer_load_dword v156, off, s[0:3], 0 offset:616
	s_waitcnt vmcnt(8)
	v_mul_f64 v[112:113], v[30:31], v[132:133]
	buffer_load_dword v163, off, s[0:3], 0 offset:612
	buffer_load_dword v162, off, s[0:3], 0 offset:608
	s_waitcnt vmcnt(8)
	v_fmac_f64_e32 v[112:113], v[32:33], v[20:21]
	v_add_f64 v[112:113], v[4:5], v[112:113]
	v_mul_f64 v[4:5], v[166:167], v[38:39]
	v_fma_f64 v[182:183], v[164:165], v[40:41], -v[4:5]
	buffer_load_dword v158, off, s[0:3], 0 offset:648
	buffer_load_dword v26, off, s[0:3], 0 offset:640
	buffer_load_dword v165, off, s[0:3], 0 offset:636
	buffer_load_dword v164, off, s[0:3], 0 offset:632
	buffer_load_dword v167, off, s[0:3], 0 offset:628
	buffer_load_dword v166, off, s[0:3], 0 offset:624
	buffer_load_dword v159, off, s[0:3], 0 offset:652
	buffer_load_dword v27, off, s[0:3], 0 offset:644
	v_mul_f64 v[38:39], v[170:171], v[56:57]
	v_fma_f64 v[22:23], v[168:169], v[58:59], -v[38:39]
	ds_read_b128 v[38:41], v148 offset:1504
	buffer_load_dword v169, off, s[0:3], 0 offset:668
	buffer_load_dword v168, off, s[0:3], 0 offset:664
	;; [unrolled: 1-line block ×8, first 2 shown]
	s_waitcnt vmcnt(22) lgkmcnt(1)
	v_mul_f64 v[8:9], v[34:35], v[138:139]
	s_waitcnt vmcnt(20)
	v_fmac_f64_e32 v[8:9], v[36:37], v[0:1]
	v_add_f64 v[8:9], v[112:113], v[8:9]
	v_mul_f64 v[14:15], v[178:179], v[118:119]
	buffer_load_dword v179, off, s[0:3], 0 offset:700
	buffer_load_dword v178, off, s[0:3], 0 offset:696
	;; [unrolled: 1-line block ×8, first 2 shown]
	v_accvgpr_write_b32 a195, v191
	v_accvgpr_write_b32 a194, v190
	v_fma_f64 v[14:15], v[176:177], v[186:187], -v[14:15]
	buffer_load_dword v176, off, s[0:3], 0 offset:744
	buffer_load_dword v189, off, s[0:3], 0 offset:732
	;; [unrolled: 1-line block ×8, first 2 shown]
	v_mul_f64 v[12:13], v[48:49], v[50:51]
	v_mul_f64 v[44:45], v[44:45], v[60:61]
	v_accvgpr_write_b32 a199, v11
	v_fma_f64 v[16:17], v[46:47], v[104:105], -v[12:13]
	v_fma_f64 v[12:13], v[42:43], v[62:63], -v[44:45]
	v_mul_f64 v[42:43], v[194:195], v[64:65]
	v_accvgpr_write_b32 a198, v10
	v_fma_f64 v[10:11], v[192:193], v[70:71], -v[42:43]
	buffer_load_dword v193, off, s[0:3], 0 offset:764
	buffer_load_dword v192, off, s[0:3], 0 offset:760
	;; [unrolled: 1-line block ×4, first 2 shown]
	v_accvgpr_write_b32 a201, v121
	v_accvgpr_write_b32 a200, v120
	v_pk_mov_b32 v[120:121], v[20:21], v[20:21] op_sel:[0,1]
	v_mul_f64 v[20:21], v[198:199], v[232:233]
	v_mul_f64 v[42:43], v[202:203], v[208:209]
	v_fma_f64 v[20:21], v[196:197], v[250:251], -v[20:21]
	v_fma_f64 v[250:251], v[200:201], v[210:211], -v[42:43]
	buffer_load_dword v198, off, s[0:3], 0 offset:776
	buffer_load_dword v200, off, s[0:3], 0 offset:768
	;; [unrolled: 1-line block ×4, first 2 shown]
	v_mul_f64 v[42:43], v[206:207], v[252:253]
	v_fma_f64 v[252:253], v[204:205], v[254:255], -v[42:43]
	buffer_load_dword v197, off, s[0:3], 0 offset:812
	buffer_load_dword v203, off, s[0:3], 0 offset:796
	;; [unrolled: 1-line block ×12, first 2 shown]
	ds_read_b128 v[42:45], v148 offset:1520
	v_mul_f64 v[46:47], v[214:215], v[96:97]
	v_fma_f64 v[6:7], v[212:213], v[98:99], -v[46:47]
	v_mul_f64 v[46:47], v[218:219], v[100:101]
	buffer_load_dword v212, off, s[0:3], 0 offset:840
	buffer_load_dword v232, off, s[0:3], 0 offset:832
	;; [unrolled: 1-line block ×4, first 2 shown]
	v_fma_f64 v[4:5], v[216:217], v[102:103], -v[46:47]
	ds_read_b128 v[46:49], v148 offset:1536
	ds_read_b128 v[54:57], v148 offset:1568
	v_mul_f64 v[66:67], v[230:231], v[66:67]
	v_mul_f64 v[90:91], v[248:249], v[90:91]
	v_fma_f64 v[254:255], v[246:247], v[92:93], -v[90:91]
	ds_read_b128 v[90:93], v148 offset:1712
	s_waitcnt vmcnt(58) lgkmcnt(4)
	v_mul_f64 v[50:51], v[38:39], v[156:157]
	s_waitcnt vmcnt(56)
	v_fmac_f64_e32 v[50:51], v[40:41], v[162:163]
	v_add_f64 v[8:9], v[8:9], v[50:51]
	ds_read_b128 v[50:53], v148 offset:1552
	s_waitcnt vmcnt(52) lgkmcnt(4)
	v_mul_f64 v[24:25], v[42:43], v[164:165]
	s_waitcnt vmcnt(50)
	v_fmac_f64_e32 v[24:25], v[44:45], v[166:167]
	v_add_f64 v[8:9], v[8:9], v[24:25]
	s_waitcnt vmcnt(49) lgkmcnt(3)
	v_mul_f64 v[24:25], v[46:47], v[158:159]
	s_waitcnt vmcnt(48)
	v_fmac_f64_e32 v[24:25], v[48:49], v[26:27]
	s_waitcnt vmcnt(46) lgkmcnt(0)
	v_mul_f64 v[58:59], v[50:51], v[168:169]
	v_add_f64 v[8:9], v[8:9], v[24:25]
	s_waitcnt vmcnt(44)
	v_fmac_f64_e32 v[58:59], v[52:53], v[172:173]
	v_mul_f64 v[24:25], v[222:223], v[76:77]
	v_add_f64 v[8:9], v[8:9], v[58:59]
	v_mul_f64 v[58:59], v[226:227], v[88:89]
	v_fma_f64 v[24:25], v[220:221], v[86:87], -v[24:25]
	v_fma_f64 v[220:221], v[224:225], v[94:95], -v[58:59]
	ds_read_b128 v[58:61], v148 offset:1584
	s_waitcnt vmcnt(41)
	v_mul_f64 v[62:63], v[54:55], v[170:171]
	s_waitcnt vmcnt(40)
	v_fmac_f64_e32 v[62:63], v[56:57], v[174:175]
	v_add_f64 v[8:9], v[8:9], v[62:63]
	ds_read_b128 v[62:65], v148 offset:1600
	s_waitcnt vmcnt(38) lgkmcnt(1)
	v_mul_f64 v[70:71], v[58:59], v[178:179]
	v_fma_f64 v[222:223], v[228:229], v[68:69], -v[66:67]
	ds_read_b128 v[66:69], v148 offset:1616
	s_waitcnt vmcnt(36)
	v_fmac_f64_e32 v[70:71], v[60:61], v[112:113]
	v_add_f64 v[8:9], v[8:9], v[70:71]
	v_mul_f64 v[70:71], v[236:237], v[72:73]
	v_fma_f64 v[2:3], v[234:235], v[74:75], -v[70:71]
	ds_read_b128 v[70:73], v148 offset:1632
	s_waitcnt vmcnt(34) lgkmcnt(2)
	v_mul_f64 v[76:77], v[62:63], v[118:119]
	s_waitcnt vmcnt(32)
	v_fmac_f64_e32 v[76:77], v[64:65], v[184:185]
	s_waitcnt vmcnt(29) lgkmcnt(1)
	v_mul_f64 v[28:29], v[66:67], v[188:189]
	v_add_f64 v[8:9], v[8:9], v[76:77]
	ds_read_b128 v[74:77], v148 offset:1648
	s_waitcnt vmcnt(27)
	v_fmac_f64_e32 v[28:29], v[68:69], v[190:191]
	v_add_f64 v[8:9], v[8:9], v[28:29]
	s_waitcnt vmcnt(25) lgkmcnt(1)
	v_mul_f64 v[28:29], v[70:71], v[176:177]
	s_waitcnt vmcnt(24)
	v_fmac_f64_e32 v[28:29], v[72:73], v[186:187]
	v_add_f64 v[8:9], v[8:9], v[28:29]
	v_mul_f64 v[28:29], v[240:241], v[78:79]
	v_fma_f64 v[28:29], v[238:239], v[80:81], -v[28:29]
	ds_read_b128 v[78:81], v148 offset:1664
	s_waitcnt vmcnt(22) lgkmcnt(1)
	v_mul_f64 v[86:87], v[74:75], v[192:193]
	s_waitcnt vmcnt(20)
	v_fmac_f64_e32 v[86:87], v[76:77], v[194:195]
	v_add_f64 v[86:87], v[8:9], v[86:87]
	v_mul_f64 v[8:9], v[244:245], v[82:83]
	v_fma_f64 v[8:9], v[242:243], v[84:85], -v[8:9]
	ds_read_b128 v[82:85], v148 offset:1680
	s_waitcnt vmcnt(17) lgkmcnt(1)
	v_mul_f64 v[88:89], v[78:79], v[198:199]
	s_waitcnt vmcnt(16)
	v_fmac_f64_e32 v[88:89], v[80:81], v[200:201]
	v_add_f64 v[94:95], v[86:87], v[88:89]
	ds_read_b128 v[86:89], v148 offset:1696
	s_waitcnt vmcnt(13) lgkmcnt(1)
	v_mul_f64 v[96:97], v[82:83], v[202:203]
	s_waitcnt vmcnt(11)
	v_fmac_f64_e32 v[96:97], v[84:85], v[208:209]
	v_add_f64 v[94:95], v[94:95], v[96:97]
	v_accvgpr_write_b32 a203, v9
	s_waitcnt vmcnt(10) lgkmcnt(0)
	v_mul_f64 v[96:97], v[86:87], v[196:197]
	s_waitcnt vmcnt(8)
	v_fmac_f64_e32 v[96:97], v[88:89], v[206:207]
	v_add_f64 v[94:95], v[94:95], v[96:97]
	s_waitcnt vmcnt(6)
	v_mul_f64 v[96:97], v[90:91], v[204:205]
	s_waitcnt vmcnt(4)
	v_fmac_f64_e32 v[96:97], v[92:93], v[210:211]
	v_add_f64 v[98:99], v[94:95], v[96:97]
	ds_read_b128 v[94:97], v148 offset:1728
	buffer_load_dword v215, off, s[0:3], 0 offset:860
	buffer_load_dword v214, off, s[0:3], 0 offset:856
	;; [unrolled: 1-line block ×4, first 2 shown]
	v_accvgpr_write_b32 a202, v8
	s_waitcnt vmcnt(5) lgkmcnt(0)
	v_mul_f64 v[100:101], v[94:95], v[212:213]
	s_waitcnt vmcnt(4)
	v_fmac_f64_e32 v[100:101], v[96:97], v[232:233]
	v_add_f64 v[102:103], v[98:99], v[100:101]
	ds_read_b128 v[98:101], v148 offset:1744
	buffer_load_dword v218, off, s[0:3], 0 offset:872
	buffer_load_dword v219, off, s[0:3], 0 offset:876
	;; [unrolled: 1-line block ×4, first 2 shown]
	s_waitcnt vmcnt(6) lgkmcnt(0)
	v_mul_f64 v[104:105], v[98:99], v[214:215]
	s_waitcnt vmcnt(4)
	v_fmac_f64_e32 v[104:105], v[100:101], v[216:217]
	v_add_f64 v[114:115], v[102:103], v[104:105]
	ds_read_b128 v[102:105], v148 offset:1760
	buffer_load_dword v237, off, s[0:3], 0 offset:892
	buffer_load_dword v236, off, s[0:3], 0 offset:888
	buffer_load_dword v239, off, s[0:3], 0 offset:884
	buffer_load_dword v238, off, s[0:3], 0 offset:880
	ds_read_b128 v[224:227], v148 offset:1776
	buffer_load_dword v240, off, s[0:3], 0 offset:904
	buffer_load_dword v241, off, s[0:3], 0 offset:908
	buffer_load_dword v242, off, s[0:3], 0 offset:896
	buffer_load_dword v243, off, s[0:3], 0 offset:900
	ds_read_b128 v[228:231], v148 offset:1792
	buffer_load_dword v247, off, s[0:3], 0 offset:924
	buffer_load_dword v246, off, s[0:3], 0 offset:920
	buffer_load_dword v249, off, s[0:3], 0 offset:916
	buffer_load_dword v248, off, s[0:3], 0 offset:912
	s_waitcnt vmcnt(14) lgkmcnt(2)
	v_mul_f64 v[116:117], v[102:103], v[218:219]
	s_waitcnt vmcnt(12)
	v_fmac_f64_e32 v[116:117], v[104:105], v[234:235]
	v_add_f64 v[114:115], v[114:115], v[116:117]
	s_waitcnt vmcnt(10) lgkmcnt(1)
	v_mul_f64 v[116:117], v[224:225], v[236:237]
	s_waitcnt vmcnt(8)
	v_fmac_f64_e32 v[116:117], v[226:227], v[238:239]
	v_add_f64 v[114:115], v[114:115], v[116:117]
	;; [unrolled: 5-line block ×3, first 2 shown]
	ds_read_b128 v[114:117], v148 offset:1808
	s_waitcnt vmcnt(2) lgkmcnt(0)
	v_mul_f64 v[8:9], v[114:115], v[246:247]
	s_waitcnt vmcnt(0)
	v_fmac_f64_e32 v[8:9], v[116:117], v[248:249]
	v_add_f64 v[244:245], v[244:245], v[8:9]
	v_add_f64 v[8:9], v[130:131], 0
	;; [unrolled: 1-line block ×21, first 2 shown]
	buffer_load_dword v250, off, s[0:3], 0 offset:48
	buffer_load_dword v251, off, s[0:3], 0 offset:52
	buffer_load_dword v220, off, s[0:3], 0 offset:56
	buffer_load_dword v221, off, s[0:3], 0 offset:60
	v_add_f64 v[4:5], v[4:5], v[222:223]
	v_add_f64 v[2:3], v[4:5], v[2:3]
	;; [unrolled: 1-line block ×3, first 2 shown]
	v_accvgpr_read_b32 v2, a202
	v_accvgpr_read_b32 v4, a172
	;; [unrolled: 1-line block ×5, first 2 shown]
	v_add_f64 v[2:3], v[222:223], v[2:3]
	v_mul_f64 v[4:5], v[136:137], v[4:5]
	v_accvgpr_read_b32 v7, a175
	v_add_f64 v[2:3], v[2:3], v[254:255]
	v_fma_f64 v[4:5], v[134:135], v[6:7], -v[4:5]
	v_add_f64 v[2:3], v[2:3], v[4:5]
	v_accvgpr_read_b32 v6, a176
	v_accvgpr_read_b32 v4, a180
	;; [unrolled: 1-line block ×5, first 2 shown]
	v_mul_f64 v[4:5], v[8:9], v[4:5]
	v_accvgpr_read_b32 v8, a182
	v_accvgpr_read_b32 v7, a177
	;; [unrolled: 1-line block ×3, first 2 shown]
	v_fma_f64 v[4:5], v[6:7], v[8:9], -v[4:5]
	v_accvgpr_read_b32 v6, a184
	v_add_f64 v[2:3], v[2:3], v[4:5]
	v_mul_f64 v[4:5], v[152:153], v[154:155]
	v_accvgpr_read_b32 v7, a185
	v_fma_f64 v[4:5], v[150:151], v[6:7], -v[4:5]
	v_add_f64 v[2:3], v[2:3], v[4:5]
	v_accvgpr_read_b32 v4, a186
	v_accvgpr_read_b32 v5, a187
	v_accvgpr_read_b32 v6, a188
	v_mul_f64 v[4:5], v[146:147], v[4:5]
	v_accvgpr_read_b32 v7, a189
	v_fma_f64 v[4:5], v[144:145], v[6:7], -v[4:5]
	v_add_f64 v[2:3], v[2:3], v[4:5]
	v_accvgpr_read_b32 v4, a196
	v_accvgpr_read_b32 v5, a197
	v_accvgpr_read_b32 v6, a194
	;; [unrolled: 7-line block ×4, first 2 shown]
	v_mul_f64 v[4:5], v[124:125], v[4:5]
	v_accvgpr_read_b32 v7, a201
	v_fma_f64 v[4:5], v[122:123], v[6:7], -v[4:5]
	v_add_f64 v[2:3], v[2:3], v[4:5]
	v_mul_f64 v[4:5], v[32:33], v[132:133]
	v_fma_f64 v[4:5], v[30:31], v[120:121], -v[4:5]
	v_add_f64 v[2:3], v[2:3], v[4:5]
	v_mul_f64 v[4:5], v[36:37], v[138:139]
	;; [unrolled: 3-line block ×22, first 2 shown]
	v_fma_f64 v[4:5], v[114:115], v[248:249], -v[4:5]
	v_add_f64 v[2:3], v[2:3], v[4:5]
	v_accvgpr_read_b32 v0, a170
	s_waitcnt vmcnt(2)
	v_add_f64 v[2:3], v[250:251], -v[2:3]
	v_cmp_lt_u32_e32 vcc, 1, v0
	s_waitcnt vmcnt(0)
	v_add_f64 v[4:5], v[220:221], -v[244:245]
	buffer_store_dword v3, off, s[0:3], 0 offset:52
	buffer_store_dword v2, off, s[0:3], 0 offset:48
	;; [unrolled: 1-line block ×4, first 2 shown]
	s_and_saveexec_b64 s[4:5], vcc
	s_cbranch_execz .LBB56_353
; %bb.352:
	v_accvgpr_read_b32 v0, a169
	buffer_load_dword v2, v0, s[0:3], 0 offen
	buffer_load_dword v3, v0, s[0:3], 0 offen offset:4
	buffer_load_dword v4, v0, s[0:3], 0 offen offset:8
	buffer_load_dword v5, v0, s[0:3], 0 offen offset:12
	v_mov_b32_e32 v0, 0
	v_accvgpr_read_b32 v1, a171
	buffer_store_dword v0, off, s[0:3], 0 offset:32
	buffer_store_dword v0, off, s[0:3], 0 offset:36
	;; [unrolled: 1-line block ×4, first 2 shown]
	s_waitcnt vmcnt(4)
	ds_write_b128 v1, v[2:5]
.LBB56_353:
	s_or_b64 exec, exec, s[4:5]
	s_waitcnt lgkmcnt(0)
	; wave barrier
	s_waitcnt lgkmcnt(0)
	buffer_load_dword v240, off, s[0:3], 0 offset:48
	buffer_load_dword v241, off, s[0:3], 0 offset:52
	;; [unrolled: 1-line block ×42, first 2 shown]
	v_mov_b32_e32 v250, 0
	buffer_load_dword v83, off, s[0:3], 0 offset:196
	buffer_load_dword v82, off, s[0:3], 0 offset:192
	;; [unrolled: 1-line block ×7, first 2 shown]
	ds_read_b128 v[10:13], v250 offset:944
	ds_read_b128 v[22:25], v250 offset:960
	ds_read_b128 v[98:101], v250 offset:976
	ds_read_b128 v[102:105], v250 offset:992
	ds_read_b128 v[106:109], v250 offset:1008
	ds_read_b128 v[110:113], v250 offset:1024
	ds_read_b128 v[114:117], v250 offset:1040
	ds_read_b128 v[138:141], v250 offset:1056
	ds_read_b128 v[142:145], v250 offset:1072
	ds_read_b128 v[148:151], v250 offset:1088
	ds_read_b128 v[152:155], v250 offset:1104
	s_waitcnt vmcnt(45) lgkmcnt(10)
	v_mul_f64 v[56:57], v[10:11], v[4:5]
	v_fmac_f64_e32 v[56:57], v[12:13], v[240:241]
	v_add_f64 v[56:57], v[56:57], 0
	v_mul_f64 v[4:5], v[12:13], v[4:5]
	s_waitcnt vmcnt(41) lgkmcnt(9)
	v_mul_f64 v[58:59], v[22:23], v[8:9]
	v_fmac_f64_e32 v[58:59], v[24:25], v[238:239]
	s_waitcnt vmcnt(39) lgkmcnt(8)
	v_mul_f64 v[60:61], v[98:99], v[14:15]
	v_add_f64 v[56:57], v[56:57], v[58:59]
	s_waitcnt vmcnt(37) lgkmcnt(6)
	v_mul_f64 v[64:65], v[106:107], v[26:27]
	v_mul_f64 v[8:9], v[24:25], v[8:9]
	s_waitcnt vmcnt(35)
	v_fmac_f64_e32 v[64:65], v[108:109], v[28:29]
	v_mul_f64 v[14:15], v[100:101], v[14:15]
	s_waitcnt vmcnt(33)
	v_mul_f64 v[62:63], v[102:103], v[18:19]
	v_mul_f64 v[18:19], v[104:105], v[18:19]
	s_waitcnt vmcnt(31) lgkmcnt(4)
	v_mul_f64 v[68:69], v[114:115], v[34:35]
	v_mul_f64 v[26:27], v[108:109], v[26:27]
	s_waitcnt vmcnt(29)
	v_fmac_f64_e32 v[68:69], v[116:117], v[36:37]
	v_mul_f64 v[34:35], v[116:117], v[34:35]
	s_waitcnt vmcnt(27)
	v_mul_f64 v[66:67], v[110:111], v[30:31]
	s_waitcnt vmcnt(25) lgkmcnt(2)
	v_mul_f64 v[74:75], v[142:143], v[38:39]
	s_waitcnt vmcnt(22)
	v_mul_f64 v[70:71], v[138:139], v[44:45]
	s_waitcnt vmcnt(20) lgkmcnt(1)
	v_mul_f64 v[118:119], v[148:149], v[42:43]
	s_waitcnt vmcnt(18)
	v_fmac_f64_e32 v[60:61], v[100:101], v[242:243]
	v_add_f64 v[56:57], v[56:57], v[60:61]
	s_waitcnt vmcnt(16)
	v_fmac_f64_e32 v[62:63], v[104:105], v[20:21]
	v_add_f64 v[56:57], v[56:57], v[62:63]
	;; [unrolled: 3-line block ×3, first 2 shown]
	v_add_f64 v[56:57], v[56:57], v[66:67]
	s_waitcnt vmcnt(12)
	v_fmac_f64_e32 v[70:71], v[140:141], v[46:47]
	v_add_f64 v[56:57], v[56:57], v[68:69]
	s_waitcnt vmcnt(11)
	v_fmac_f64_e32 v[74:75], v[144:145], v[40:41]
	v_add_f64 v[56:57], v[56:57], v[70:71]
	v_add_f64 v[120:121], v[56:57], v[74:75]
	buffer_load_dword v72, off, s[0:3], 0 offset:232
	buffer_load_dword v177, off, s[0:3], 0 offset:228
	;; [unrolled: 1-line block ×53, first 2 shown]
	s_waitcnt vmcnt(58)
	v_fmac_f64_e32 v[118:119], v[150:151], v[82:83]
	v_add_f64 v[118:119], v[120:121], v[118:119]
	s_waitcnt lgkmcnt(0)
	v_mul_f64 v[120:121], v[152:153], v[48:49]
	v_fmac_f64_e32 v[120:121], v[154:155], v[50:51]
	v_add_f64 v[118:119], v[118:119], v[120:121]
	v_fma_f64 v[100:101], v[106:107], v[28:29], -v[26:27]
	s_waitcnt vmcnt(0)
	v_pk_mov_b32 v[132:133], v[0:1], v[0:1] op_sel:[0,1]
	buffer_load_dword v1, off, s[0:3], 0 offset:468
	buffer_load_dword v0, off, s[0:3], 0 offset:464
	v_accvgpr_write_b32 a177, v133
	v_accvgpr_write_b32 a176, v132
	s_waitcnt vmcnt(0)
	v_pk_mov_b32 v[134:135], v[0:1], v[0:1] op_sel:[0,1]
	buffer_load_dword v91, off, s[0:3], 0 offset:460
	buffer_load_dword v90, off, s[0:3], 0 offset:456
	;; [unrolled: 1-line block ×6, first 2 shown]
	v_accvgpr_write_b32 a179, v135
	v_accvgpr_write_b32 a178, v134
	s_waitcnt vmcnt(0)
	v_pk_mov_b32 v[136:137], v[0:1], v[0:1] op_sel:[0,1]
	buffer_load_dword v1, off, s[0:3], 0 offset:500
	buffer_load_dword v0, off, s[0:3], 0 offset:496
	v_accvgpr_write_b32 a193, v137
	v_accvgpr_write_b32 a192, v136
	s_waitcnt vmcnt(0)
	v_pk_mov_b32 v[146:147], v[0:1], v[0:1] op_sel:[0,1]
	buffer_load_dword v1, off, s[0:3], 0 offset:492
	buffer_load_dword v0, off, s[0:3], 0 offset:488
	;; [unrolled: 6-line block ×5, first 2 shown]
	buffer_load_dword v7, off, s[0:3], 0 offset:524
	buffer_load_dword v6, off, s[0:3], 0 offset:520
	buffer_load_dword v3, off, s[0:3], 0 offset:516
	buffer_load_dword v2, off, s[0:3], 0 offset:512
	ds_read_b128 v[156:159], v250 offset:1120
	ds_read_b128 v[160:163], v250 offset:1136
	;; [unrolled: 1-line block ×6, first 2 shown]
	s_waitcnt lgkmcnt(5)
	v_mul_f64 v[120:121], v[156:157], v[72:73]
	v_fmac_f64_e32 v[120:121], v[158:159], v[176:177]
	v_add_f64 v[118:119], v[118:119], v[120:121]
	s_waitcnt lgkmcnt(4)
	v_mul_f64 v[120:121], v[160:161], v[54:55]
	v_fmac_f64_e32 v[120:121], v[162:163], v[52:53]
	v_add_f64 v[118:119], v[118:119], v[120:121]
	;; [unrolled: 4-line block ×5, first 2 shown]
	ds_read_b128 v[188:191], v250 offset:1216
	buffer_load_dword v17, off, s[0:3], 0 offset:556
	buffer_load_dword v16, off, s[0:3], 0 offset:552
	;; [unrolled: 1-line block ×4, first 2 shown]
	s_waitcnt lgkmcnt(1)
	v_mul_f64 v[122:123], v[182:183], v[228:229]
	v_fmac_f64_e32 v[122:123], v[184:185], v[96:97]
	ds_read_b128 v[192:195], v250 offset:1232
	s_waitcnt lgkmcnt(1)
	v_mul_f64 v[124:125], v[188:189], v[84:85]
	v_add_f64 v[122:123], v[120:121], v[122:123]
	v_fmac_f64_e32 v[124:125], v[190:191], v[94:95]
	buffer_load_dword v120, off, s[0:3], 0 offset:568
	buffer_load_dword v121, off, s[0:3], 0 offset:572
	v_add_f64 v[124:125], v[122:123], v[124:125]
	buffer_load_dword v122, off, s[0:3], 0 offset:560
	buffer_load_dword v123, off, s[0:3], 0 offset:564
	ds_read_b128 v[196:199], v250 offset:1248
	ds_read_b128 v[200:203], v250 offset:1264
	s_waitcnt lgkmcnt(2)
	v_mul_f64 v[126:127], v[192:193], v[56:57]
	ds_read_b128 v[204:207], v250 offset:1280
	ds_read_b128 v[208:211], v250 offset:1296
	v_fmac_f64_e32 v[126:127], v[194:195], v[58:59]
	v_add_f64 v[124:125], v[124:125], v[126:127]
	s_waitcnt lgkmcnt(3)
	v_mul_f64 v[126:127], v[196:197], v[60:61]
	v_fmac_f64_e32 v[126:127], v[198:199], v[70:71]
	v_add_f64 v[124:125], v[124:125], v[126:127]
	s_waitcnt lgkmcnt(2)
	v_mul_f64 v[126:127], v[200:201], v[62:63]
	buffer_load_dword v223, off, s[0:3], 0 offset:588
	buffer_load_dword v222, off, s[0:3], 0 offset:584
	buffer_load_dword v255, off, s[0:3], 0 offset:580
	buffer_load_dword v254, off, s[0:3], 0 offset:576
	ds_read_b128 v[212:215], v250 offset:1312
	ds_read_b128 v[216:219], v250 offset:1328
	v_fmac_f64_e32 v[126:127], v[202:203], v[64:65]
	s_waitcnt lgkmcnt(3)
	v_mul_f64 v[130:131], v[204:205], v[66:67]
	v_add_f64 v[128:129], v[124:125], v[126:127]
	v_fmac_f64_e32 v[130:131], v[206:207], v[68:69]
	v_add_f64 v[128:129], v[128:129], v[130:131]
	s_waitcnt lgkmcnt(2)
	v_mul_f64 v[130:131], v[208:209], v[74:75]
	v_fmac_f64_e32 v[130:131], v[210:211], v[76:77]
	ds_read_b128 v[224:227], v250 offset:1344
	ds_read_b128 v[244:247], v250 offset:1360
	v_add_f64 v[128:129], v[128:129], v[130:131]
	s_waitcnt lgkmcnt(3)
	v_mul_f64 v[130:131], v[212:213], v[78:79]
	v_fmac_f64_e32 v[130:131], v[214:215], v[80:81]
	v_add_f64 v[128:129], v[128:129], v[130:131]
	s_waitcnt lgkmcnt(2)
	v_mul_f64 v[130:131], v[216:217], v[86:87]
	v_fma_f64 v[124:125], v[22:23], v[238:239], -v[8:9]
	ds_read_b128 v[22:25], v250 offset:1376
	v_fmac_f64_e32 v[130:131], v[218:219], v[88:89]
	v_add_f64 v[128:129], v[128:129], v[130:131]
	v_fma_f64 v[130:131], v[10:11], v[240:241], -v[4:5]
	s_waitcnt lgkmcnt(2)
	v_mul_f64 v[10:11], v[224:225], v[90:91]
	s_waitcnt lgkmcnt(1)
	v_mul_f64 v[4:5], v[244:245], v[132:133]
	v_fmac_f64_e32 v[10:11], v[226:227], v[92:93]
	v_fmac_f64_e32 v[4:5], v[246:247], v[134:135]
	ds_read_b128 v[132:135], v250 offset:1392
	v_add_f64 v[10:11], v[128:129], v[10:11]
	v_accvgpr_write_b32 a172, v244
	v_accvgpr_write_b32 a173, v245
	;; [unrolled: 1-line block ×4, first 2 shown]
	v_add_f64 v[4:5], v[10:11], v[4:5]
	s_waitcnt lgkmcnt(1)
	v_pk_mov_b32 v[8:9], v[22:23], v[22:23] op_sel:[0,1]
	ds_read_b128 v[246:249], v250 offset:1408
	v_pk_mov_b32 v[10:11], v[24:25], v[24:25] op_sel:[0,1]
	v_mul_f64 v[22:23], v[8:9], v[234:235]
	v_fma_f64 v[128:129], v[98:99], v[242:243], -v[14:15]
	ds_read_b128 v[242:245], v250 offset:1424
	v_fmac_f64_e32 v[22:23], v[10:11], v[236:237]
	v_add_f64 v[4:5], v[4:5], v[22:23]
	s_waitcnt lgkmcnt(2)
	v_mul_f64 v[22:23], v[132:133], v[136:137]
	ds_read_b128 v[238:241], v250 offset:1440
	ds_read_b128 v[234:237], v250 offset:1456
	v_fmac_f64_e32 v[22:23], v[134:135], v[146:147]
	v_add_f64 v[4:5], v[4:5], v[22:23]
	s_waitcnt vmcnt(14) lgkmcnt(3)
	v_mul_f64 v[22:23], v[246:247], v[6:7]
	s_waitcnt vmcnt(12)
	v_fmac_f64_e32 v[22:23], v[248:249], v[2:3]
	v_add_f64 v[4:5], v[4:5], v[22:23]
	s_waitcnt lgkmcnt(2)
	v_mul_f64 v[22:23], v[242:243], v[232:233]
	v_fma_f64 v[98:99], v[102:103], v[20:21], -v[18:19]
	v_fmac_f64_e32 v[22:23], v[244:245], v[0:1]
	v_add_f64 v[4:5], v[4:5], v[22:23]
	v_accvgpr_write_b32 a196, v232
	v_accvgpr_write_b32 a191, v135
	;; [unrolled: 1-line block ×4, first 2 shown]
	s_waitcnt vmcnt(10) lgkmcnt(1)
	v_mul_f64 v[102:103], v[238:239], v[16:17]
	v_accvgpr_write_b32 a189, v133
	s_waitcnt vmcnt(8)
	v_fmac_f64_e32 v[102:103], v[240:241], v[118:119]
	v_add_f64 v[102:103], v[4:5], v[102:103]
	v_mul_f64 v[4:5], v[112:113], v[30:31]
	v_fma_f64 v[104:105], v[110:111], v[32:33], -v[4:5]
	ds_read_b128 v[30:33], v250 offset:1472
	buffer_load_dword v233, off, s[0:3], 0 offset:604
	buffer_load_dword v232, off, s[0:3], 0 offset:600
	v_accvgpr_write_b32 a188, v132
	buffer_load_dword v135, off, s[0:3], 0 offset:596
	buffer_load_dword v134, off, s[0:3], 0 offset:592
	;; [unrolled: 1-line block ×6, first 2 shown]
	v_accvgpr_write_b32 a183, v11
	v_accvgpr_write_b32 a182, v10
	;; [unrolled: 1-line block ×4, first 2 shown]
	v_mul_f64 v[10:11], v[140:141], v[44:45]
	buffer_load_dword v141, off, s[0:3], 0 offset:612
	buffer_load_dword v140, off, s[0:3], 0 offset:608
	buffer_load_dword v27, off, s[0:3], 0 offset:636
	buffer_load_dword v133, off, s[0:3], 0 offset:628
	v_fma_f64 v[24:25], v[114:115], v[36:37], -v[34:35]
	v_mul_f64 v[34:35], v[144:145], v[38:39]
	v_fma_f64 v[18:19], v[138:139], v[46:47], -v[10:11]
	v_fma_f64 v[14:15], v[142:143], v[40:41], -v[34:35]
	buffer_load_dword v138, off, s[0:3], 0 offset:664
	buffer_load_dword v143, off, s[0:3], 0 offset:652
	buffer_load_dword v142, off, s[0:3], 0 offset:648
	buffer_load_dword v147, off, s[0:3], 0 offset:644
	buffer_load_dword v146, off, s[0:3], 0 offset:640
	buffer_load_dword v144, off, s[0:3], 0 offset:656
	buffer_load_dword v139, off, s[0:3], 0 offset:668
	buffer_load_dword v145, off, s[0:3], 0 offset:660
	v_accvgpr_write_b32 a205, v17
	v_mul_f64 v[8:9], v[150:151], v[42:43]
	v_mul_f64 v[34:35], v[154:155], v[48:49]
	v_accvgpr_write_b32 a204, v16
	v_fma_f64 v[12:13], v[148:149], v[82:83], -v[8:9]
	v_fma_f64 v[10:11], v[152:153], v[50:51], -v[34:35]
	v_mul_f64 v[16:17], v[158:159], v[72:73]
	buffer_load_dword v149, off, s[0:3], 0 offset:700
	buffer_load_dword v153, off, s[0:3], 0 offset:684
	;; [unrolled: 1-line block ×6, first 2 shown]
	v_fma_f64 v[16:17], v[156:157], v[176:177], -v[16:17]
	buffer_load_dword v157, off, s[0:3], 0 offset:692
	buffer_load_dword v156, off, s[0:3], 0 offset:688
	v_mul_f64 v[34:35], v[162:163], v[54:55]
	v_fma_f64 v[176:177], v[160:161], v[52:53], -v[34:35]
	buffer_load_dword v150, off, s[0:3], 0 offset:728
	buffer_load_dword v161, off, s[0:3], 0 offset:716
	;; [unrolled: 1-line block ×8, first 2 shown]
	v_mul_f64 v[42:43], v[166:167], v[186:187]
	ds_read_b128 v[38:41], v250 offset:1488
	ds_read_b128 v[34:37], v250 offset:1504
	v_fma_f64 v[220:221], v[164:165], v[220:221], -v[42:43]
	buffer_load_dword v165, off, s[0:3], 0 offset:748
	buffer_load_dword v164, off, s[0:3], 0 offset:744
	;; [unrolled: 1-line block ×4, first 2 shown]
	v_mul_f64 v[42:43], v[170:171], v[178:179]
	v_fma_f64 v[8:9], v[168:169], v[180:181], -v[42:43]
	buffer_load_dword v168, off, s[0:3], 0 offset:760
	buffer_load_dword v170, off, s[0:3], 0 offset:752
	;; [unrolled: 1-line block ×4, first 2 shown]
	v_accvgpr_write_b32 a201, v7
	v_mul_f64 v[42:43], v[174:175], v[230:231]
	v_accvgpr_write_b32 a200, v6
	v_fma_f64 v[6:7], v[172:173], v[252:253], -v[42:43]
	buffer_load_dword v175, off, s[0:3], 0 offset:780
	buffer_load_dword v174, off, s[0:3], 0 offset:776
	;; [unrolled: 1-line block ×8, first 2 shown]
	v_mul_f64 v[22:23], v[184:185], v[228:229]
	v_fma_f64 v[22:23], v[182:183], v[96:97], -v[22:23]
	buffer_load_dword v172, off, s[0:3], 0 offset:824
	buffer_load_dword v185, off, s[0:3], 0 offset:812
	;; [unrolled: 1-line block ×8, first 2 shown]
	s_waitcnt vmcnt(62) lgkmcnt(3)
	v_mul_f64 v[106:107], v[234:235], v[120:121]
	v_fmac_f64_e32 v[106:107], v[236:237], v[122:123]
	s_waitcnt lgkmcnt(2)
	v_mul_f64 v[44:45], v[30:31], v[222:223]
	v_add_f64 v[102:103], v[102:103], v[106:107]
	s_waitcnt vmcnt(60)
	v_fmac_f64_e32 v[44:45], v[32:33], v[254:255]
	v_mul_f64 v[42:43], v[190:191], v[84:85]
	v_add_f64 v[46:47], v[102:103], v[44:45]
	v_fma_f64 v[102:103], v[188:189], v[94:95], -v[42:43]
	ds_read_b128 v[42:45], v250 offset:1520
	v_mul_f64 v[50:51], v[194:195], v[56:57]
	v_fma_f64 v[4:5], v[192:193], v[58:59], -v[50:51]
	ds_read_b128 v[50:53], v250 offset:1552
	v_accvgpr_write_b32 a203, v3
	v_mul_f64 v[62:63], v[202:203], v[62:63]
	v_accvgpr_write_b32 a202, v2
	v_fma_f64 v[2:3], v[200:201], v[64:65], -v[62:63]
	v_mul_f64 v[66:67], v[206:207], v[66:67]
	ds_read_b128 v[62:65], v250 offset:1600
	v_fma_f64 v[190:191], v[204:205], v[68:69], -v[66:67]
	ds_read_b128 v[66:69], v250 offset:1616
	v_accvgpr_write_b32 a199, v1
	v_accvgpr_write_b32 a198, v0
	ds_read_b128 v[82:85], v250 offset:1680
	v_mul_f64 v[90:91], v[226:227], v[90:91]
	v_accvgpr_write_b32 a209, v121
	v_accvgpr_write_b32 a207, v119
	;; [unrolled: 1-line block ×3, first 2 shown]
	v_add_f64 v[120:121], v[130:131], 0
	v_accvgpr_write_b32 a206, v118
	v_add_f64 v[118:119], v[120:121], v[124:125]
	v_add_f64 v[118:119], v[118:119], v[128:129]
	;; [unrolled: 1-line block ×6, first 2 shown]
	s_waitcnt vmcnt(58) lgkmcnt(6)
	v_mul_f64 v[48:49], v[38:39], v[232:233]
	v_add_f64 v[18:19], v[24:25], v[18:19]
	s_waitcnt vmcnt(56)
	v_fmac_f64_e32 v[48:49], v[40:41], v[134:135]
	v_add_f64 v[46:47], v[46:47], v[48:49]
	s_waitcnt vmcnt(52) lgkmcnt(5)
	v_mul_f64 v[48:49], v[34:35], v[136:137]
	v_add_f64 v[14:15], v[18:19], v[14:15]
	v_add_f64 v[12:13], v[14:15], v[12:13]
	s_waitcnt vmcnt(50)
	v_fmac_f64_e32 v[48:49], v[36:37], v[140:141]
	v_add_f64 v[46:47], v[46:47], v[48:49]
	s_waitcnt vmcnt(49) lgkmcnt(4)
	v_mul_f64 v[48:49], v[42:43], v[26:27]
	s_waitcnt vmcnt(48)
	v_fmac_f64_e32 v[48:49], v[44:45], v[132:133]
	v_add_f64 v[54:55], v[46:47], v[48:49]
	ds_read_b128 v[46:49], v250 offset:1536
	v_add_f64 v[10:11], v[12:13], v[10:11]
	v_add_f64 v[10:11], v[10:11], v[16:17]
	s_waitcnt vmcnt(41) lgkmcnt(4)
	v_mul_f64 v[58:59], v[50:51], v[138:139]
	s_waitcnt vmcnt(40)
	v_fmac_f64_e32 v[58:59], v[52:53], v[144:145]
	s_waitcnt lgkmcnt(0)
	v_mul_f64 v[20:21], v[46:47], v[142:143]
	v_fmac_f64_e32 v[20:21], v[48:49], v[146:147]
	v_add_f64 v[20:21], v[54:55], v[20:21]
	v_mul_f64 v[54:55], v[198:199], v[60:61]
	v_fma_f64 v[188:189], v[196:197], v[70:71], -v[54:55]
	ds_read_b128 v[54:57], v250 offset:1568
	v_add_f64 v[20:21], v[20:21], v[58:59]
	ds_read_b128 v[58:61], v250 offset:1584
	ds_read_b128 v[70:73], v250 offset:1632
	v_add_f64 v[10:11], v[10:11], v[176:177]
	s_waitcnt vmcnt(37) lgkmcnt(2)
	v_mul_f64 v[28:29], v[54:55], v[152:153]
	s_waitcnt vmcnt(35)
	v_fmac_f64_e32 v[28:29], v[56:57], v[154:155]
	v_add_f64 v[20:21], v[20:21], v[28:29]
	s_waitcnt vmcnt(34) lgkmcnt(1)
	v_mul_f64 v[28:29], v[58:59], v[148:149]
	s_waitcnt vmcnt(32)
	v_fmac_f64_e32 v[28:29], v[60:61], v[156:157]
	v_add_f64 v[20:21], v[20:21], v[28:29]
	s_waitcnt vmcnt(29)
	v_mul_f64 v[28:29], v[62:63], v[160:161]
	s_waitcnt vmcnt(27)
	v_fmac_f64_e32 v[28:29], v[64:65], v[162:163]
	v_add_f64 v[20:21], v[20:21], v[28:29]
	s_waitcnt vmcnt(25)
	v_mul_f64 v[28:29], v[66:67], v[150:151]
	s_waitcnt vmcnt(24)
	v_fmac_f64_e32 v[28:29], v[68:69], v[158:159]
	v_add_f64 v[20:21], v[20:21], v[28:29]
	v_mul_f64 v[28:29], v[210:211], v[74:75]
	v_fma_f64 v[0:1], v[208:209], v[76:77], -v[28:29]
	ds_read_b128 v[74:77], v250 offset:1648
	s_waitcnt vmcnt(22) lgkmcnt(1)
	v_mul_f64 v[28:29], v[70:71], v[164:165]
	s_waitcnt vmcnt(20)
	v_fmac_f64_e32 v[28:29], v[72:73], v[166:167]
	v_add_f64 v[20:21], v[20:21], v[28:29]
	v_mul_f64 v[28:29], v[214:215], v[78:79]
	v_fma_f64 v[126:127], v[212:213], v[80:81], -v[28:29]
	ds_read_b128 v[78:81], v250 offset:1664
	s_waitcnt vmcnt(17) lgkmcnt(1)
	;; [unrolled: 8-line block ×3, first 2 shown]
	v_mul_f64 v[28:29], v[78:79], v[174:175]
	s_waitcnt vmcnt(12)
	v_fmac_f64_e32 v[28:29], v[80:81], v[178:179]
	v_fma_f64 v[218:219], v[224:225], v[92:93], -v[90:91]
	ds_read_b128 v[90:93], v250 offset:1712
	v_add_f64 v[20:21], v[20:21], v[28:29]
	s_waitcnt vmcnt(10)
	v_mul_f64 v[28:29], v[82:83], v[252:253]
	s_waitcnt vmcnt(8)
	v_fmac_f64_e32 v[28:29], v[84:85], v[180:181]
	v_add_f64 v[20:21], v[20:21], v[28:29]
	s_waitcnt vmcnt(5) lgkmcnt(1)
	v_mul_f64 v[28:29], v[86:87], v[184:185]
	s_waitcnt vmcnt(3)
	v_fmac_f64_e32 v[28:29], v[88:89], v[186:187]
	v_add_f64 v[20:21], v[20:21], v[28:29]
	s_waitcnt vmcnt(1) lgkmcnt(0)
	v_mul_f64 v[28:29], v[90:91], v[172:173]
	s_waitcnt vmcnt(0)
	v_fmac_f64_e32 v[28:29], v[92:93], v[182:183]
	v_add_f64 v[106:107], v[20:21], v[28:29]
	buffer_load_dword v21, off, s[0:3], 0 offset:844
	buffer_load_dword v20, off, s[0:3], 0 offset:840
	buffer_load_dword v29, off, s[0:3], 0 offset:836
	buffer_load_dword v28, off, s[0:3], 0 offset:832
	ds_read_b128 v[94:97], v250 offset:1728
	buffer_load_dword v192, off, s[0:3], 0 offset:856
	buffer_load_dword v193, off, s[0:3], 0 offset:860
	buffer_load_dword v194, off, s[0:3], 0 offset:848
	buffer_load_dword v195, off, s[0:3], 0 offset:852
	ds_read_b128 v[224:227], v250 offset:1744
	;; [unrolled: 5-line block ×3, first 2 shown]
	buffer_load_dword v200, off, s[0:3], 0 offset:888
	buffer_load_dword v201, off, s[0:3], 0 offset:892
	;; [unrolled: 1-line block ×4, first 2 shown]
	v_add_f64 v[10:11], v[10:11], v[220:221]
	v_add_f64 v[8:9], v[10:11], v[8:9]
	;; [unrolled: 1-line block ×12, first 2 shown]
	v_accvgpr_read_b32 v4, a172
	v_accvgpr_read_b32 v2, a176
	v_accvgpr_read_b32 v6, a174
	v_accvgpr_read_b32 v7, a175
	v_accvgpr_read_b32 v3, a177
	v_mul_f64 v[2:3], v[6:7], v[2:3]
	v_accvgpr_read_b32 v6, a178
	v_accvgpr_read_b32 v5, a173
	;; [unrolled: 1-line block ×3, first 2 shown]
	v_add_f64 v[0:1], v[220:221], v[218:219]
	v_fma_f64 v[2:3], v[4:5], v[6:7], -v[2:3]
	v_add_f64 v[0:1], v[0:1], v[2:3]
	v_accvgpr_read_b32 v4, a180
	v_accvgpr_read_b32 v2, a184
	;; [unrolled: 1-line block ×5, first 2 shown]
	v_mul_f64 v[2:3], v[6:7], v[2:3]
	v_accvgpr_read_b32 v6, a186
	v_accvgpr_read_b32 v5, a181
	;; [unrolled: 1-line block ×3, first 2 shown]
	v_fma_f64 v[2:3], v[4:5], v[6:7], -v[2:3]
	v_add_f64 v[0:1], v[0:1], v[2:3]
	v_accvgpr_read_b32 v4, a188
	v_accvgpr_read_b32 v2, a192
	;; [unrolled: 1-line block ×5, first 2 shown]
	v_mul_f64 v[2:3], v[6:7], v[2:3]
	v_accvgpr_read_b32 v6, a194
	v_accvgpr_read_b32 v5, a189
	;; [unrolled: 1-line block ×3, first 2 shown]
	v_fma_f64 v[2:3], v[4:5], v[6:7], -v[2:3]
	v_add_f64 v[0:1], v[0:1], v[2:3]
	v_accvgpr_read_b32 v2, a200
	v_accvgpr_read_b32 v3, a201
	v_accvgpr_read_b32 v4, a202
	v_mul_f64 v[2:3], v[248:249], v[2:3]
	v_accvgpr_read_b32 v5, a203
	v_fma_f64 v[2:3], v[246:247], v[4:5], -v[2:3]
	v_add_f64 v[0:1], v[0:1], v[2:3]
	v_accvgpr_read_b32 v2, a196
	v_accvgpr_read_b32 v3, a197
	v_accvgpr_read_b32 v4, a198
	v_mul_f64 v[2:3], v[244:245], v[2:3]
	v_accvgpr_read_b32 v5, a199
	v_fma_f64 v[2:3], v[242:243], v[4:5], -v[2:3]
	v_add_f64 v[0:1], v[0:1], v[2:3]
	v_accvgpr_read_b32 v2, a204
	v_accvgpr_read_b32 v3, a205
	v_accvgpr_read_b32 v4, a206
	v_mul_f64 v[2:3], v[240:241], v[2:3]
	v_accvgpr_read_b32 v5, a207
	v_fma_f64 v[2:3], v[238:239], v[4:5], -v[2:3]
	v_add_f64 v[0:1], v[0:1], v[2:3]
	v_accvgpr_read_b32 v2, a208
	v_accvgpr_read_b32 v3, a209
	v_mul_f64 v[2:3], v[236:237], v[2:3]
	v_fma_f64 v[2:3], v[234:235], v[122:123], -v[2:3]
	s_waitcnt vmcnt(14) lgkmcnt(2)
	v_mul_f64 v[108:109], v[94:95], v[20:21]
	v_add_f64 v[0:1], v[0:1], v[2:3]
	s_waitcnt vmcnt(12)
	v_fmac_f64_e32 v[108:109], v[96:97], v[28:29]
	v_add_f64 v[106:107], v[106:107], v[108:109]
	s_waitcnt vmcnt(10) lgkmcnt(1)
	v_mul_f64 v[108:109], v[224:225], v[192:193]
	s_waitcnt vmcnt(8)
	v_fmac_f64_e32 v[108:109], v[226:227], v[194:195]
	v_add_f64 v[106:107], v[106:107], v[108:109]
	s_waitcnt vmcnt(6) lgkmcnt(0)
	v_mul_f64 v[108:109], v[228:229], v[196:197]
	s_waitcnt vmcnt(4)
	v_fmac_f64_e32 v[108:109], v[230:231], v[198:199]
	v_add_f64 v[110:111], v[106:107], v[108:109]
	ds_read_b128 v[106:109], v250 offset:1776
	buffer_load_dword v205, off, s[0:3], 0 offset:908
	buffer_load_dword v204, off, s[0:3], 0 offset:904
	;; [unrolled: 1-line block ×4, first 2 shown]
	v_mul_f64 v[2:3], v[32:33], v[222:223]
	v_fma_f64 v[2:3], v[30:31], v[254:255], -v[2:3]
	v_add_f64 v[0:1], v[0:1], v[2:3]
	s_waitcnt vmcnt(6) lgkmcnt(0)
	v_mul_f64 v[112:113], v[106:107], v[200:201]
	s_waitcnt vmcnt(4)
	v_fmac_f64_e32 v[112:113], v[108:109], v[202:203]
	v_add_f64 v[114:115], v[110:111], v[112:113]
	ds_read_b128 v[110:113], v250 offset:1792
	buffer_load_dword v210, off, s[0:3], 0 offset:920
	buffer_load_dword v211, off, s[0:3], 0 offset:924
	;; [unrolled: 1-line block ×4, first 2 shown]
	v_mul_f64 v[2:3], v[40:41], v[232:233]
	v_fma_f64 v[2:3], v[38:39], v[134:135], -v[2:3]
	v_add_f64 v[0:1], v[0:1], v[2:3]
	v_mul_f64 v[2:3], v[36:37], v[136:137]
	v_fma_f64 v[2:3], v[34:35], v[140:141], -v[2:3]
	v_add_f64 v[0:1], v[0:1], v[2:3]
	;; [unrolled: 3-line block ×19, first 2 shown]
	s_waitcnt vmcnt(6) lgkmcnt(0)
	v_mul_f64 v[116:117], v[110:111], v[204:205]
	v_mul_f64 v[2:3], v[112:113], v[204:205]
	s_waitcnt vmcnt(4)
	v_fmac_f64_e32 v[116:117], v[112:113], v[206:207]
	v_add_f64 v[208:209], v[114:115], v[116:117]
	ds_read_b128 v[114:117], v250 offset:1808
	v_fma_f64 v[2:3], v[110:111], v[206:207], -v[2:3]
	v_add_f64 v[0:1], v[0:1], v[2:3]
	s_waitcnt vmcnt(2) lgkmcnt(0)
	v_mul_f64 v[216:217], v[114:115], v[210:211]
	s_waitcnt vmcnt(0)
	v_fmac_f64_e32 v[216:217], v[116:117], v[212:213]
	v_add_f64 v[208:209], v[208:209], v[216:217]
	buffer_load_dword v216, off, s[0:3], 0 offset:32
	buffer_load_dword v217, off, s[0:3], 0 offset:36
	;; [unrolled: 1-line block ×4, first 2 shown]
	v_mul_f64 v[2:3], v[116:117], v[210:211]
	v_fma_f64 v[2:3], v[114:115], v[212:213], -v[2:3]
	v_add_f64 v[0:1], v[0:1], v[2:3]
	s_waitcnt vmcnt(2)
	v_add_f64 v[0:1], v[216:217], -v[0:1]
	s_waitcnt vmcnt(0)
	v_add_f64 v[2:3], v[214:215], -v[208:209]
	buffer_store_dword v1, off, s[0:3], 0 offset:36
	buffer_store_dword v0, off, s[0:3], 0 offset:32
	;; [unrolled: 1-line block ×4, first 2 shown]
	v_accvgpr_read_b32 v0, a170
	v_cmp_ne_u32_e32 vcc, 0, v0
	s_and_saveexec_b64 s[4:5], vcc
	s_cbranch_execz .LBB56_355
; %bb.354:
	buffer_load_dword v0, off, s[0:3], 0 offset:16
	buffer_load_dword v1, off, s[0:3], 0 offset:20
	;; [unrolled: 1-line block ×4, first 2 shown]
	v_accvgpr_read_b32 v4, a171
	buffer_store_dword v250, off, s[0:3], 0 offset:16
	buffer_store_dword v250, off, s[0:3], 0 offset:20
	;; [unrolled: 1-line block ×4, first 2 shown]
	s_waitcnt vmcnt(4)
	ds_write_b128 v4, v[0:3]
.LBB56_355:
	s_or_b64 exec, exec, s[4:5]
	s_waitcnt lgkmcnt(0)
	; wave barrier
	s_waitcnt lgkmcnt(0)
	buffer_load_dword v6, off, s[0:3], 0 offset:32
	buffer_load_dword v7, off, s[0:3], 0 offset:36
	;; [unrolled: 1-line block ×42, first 2 shown]
	ds_read_b128 v[102:105], v250 offset:928
	ds_read_b128 v[106:109], v250 offset:944
	;; [unrolled: 1-line block ×10, first 2 shown]
	buffer_load_dword v97, off, s[0:3], 0 offset:180
	buffer_load_dword v96, off, s[0:3], 0 offset:176
	ds_read_b128 v[32:35], v250 offset:1088
	buffer_load_dword v57, off, s[0:3], 0 offset:236
	buffer_load_dword v56, off, s[0:3], 0 offset:232
	;; [unrolled: 1-line block ×6, first 2 shown]
	s_and_b64 vcc, exec, s[20:21]
	s_waitcnt vmcnt(46) lgkmcnt(10)
	v_mul_f64 v[52:53], v[102:103], v[8:9]
	v_fmac_f64_e32 v[52:53], v[104:105], v[6:7]
	v_add_f64 v[52:53], v[52:53], 0
	v_mul_f64 v[8:9], v[104:105], v[8:9]
	s_waitcnt vmcnt(42) lgkmcnt(9)
	v_mul_f64 v[54:55], v[106:107], v[2:3]
	v_fmac_f64_e32 v[54:55], v[108:109], v[230:231]
	s_waitcnt vmcnt(40) lgkmcnt(8)
	v_mul_f64 v[58:59], v[110:111], v[4:5]
	v_add_f64 v[52:53], v[52:53], v[54:55]
	s_waitcnt vmcnt(38) lgkmcnt(6)
	v_mul_f64 v[62:63], v[132:133], v[16:17]
	v_fma_f64 v[214:215], v[102:103], v[6:7], -v[8:9]
	s_waitcnt vmcnt(36)
	v_fmac_f64_e32 v[62:63], v[134:135], v[238:239]
	v_mul_f64 v[2:3], v[108:109], v[2:3]
	s_waitcnt vmcnt(34)
	v_mul_f64 v[60:61], v[128:129], v[12:13]
	v_mul_f64 v[4:5], v[112:113], v[4:5]
	s_waitcnt vmcnt(32) lgkmcnt(4)
	v_mul_f64 v[66:67], v[140:141], v[24:25]
	v_mul_f64 v[16:17], v[134:135], v[16:17]
	s_waitcnt vmcnt(30)
	v_fmac_f64_e32 v[66:67], v[142:143], v[26:27]
	v_mul_f64 v[12:13], v[130:131], v[12:13]
	s_waitcnt vmcnt(28)
	v_mul_f64 v[64:65], v[136:137], v[20:21]
	v_mul_f64 v[20:21], v[138:139], v[20:21]
	s_waitcnt vmcnt(26) lgkmcnt(2)
	v_mul_f64 v[70:71], v[148:149], v[42:43]
	v_mul_f64 v[24:25], v[142:143], v[24:25]
	v_mul_f64 v[42:43], v[150:151], v[42:43]
	s_waitcnt vmcnt(23)
	v_mul_f64 v[68:69], v[144:145], v[28:29]
	v_mul_f64 v[28:29], v[146:147], v[28:29]
	s_waitcnt vmcnt(21) lgkmcnt(1)
	v_mul_f64 v[114:115], v[36:37], v[40:41]
	s_waitcnt vmcnt(19)
	v_fmac_f64_e32 v[58:59], v[112:113], v[10:11]
	v_add_f64 v[52:53], v[52:53], v[58:59]
	s_waitcnt vmcnt(17)
	v_fmac_f64_e32 v[60:61], v[130:131], v[254:255]
	v_add_f64 v[52:53], v[52:53], v[60:61]
	;; [unrolled: 3-line block ×3, first 2 shown]
	v_add_f64 v[52:53], v[52:53], v[64:65]
	s_waitcnt vmcnt(13)
	v_fmac_f64_e32 v[68:69], v[146:147], v[30:31]
	v_add_f64 v[52:53], v[52:53], v[66:67]
	s_waitcnt vmcnt(12)
	v_fmac_f64_e32 v[70:71], v[150:151], v[44:45]
	v_add_f64 v[52:53], v[52:53], v[68:69]
	v_add_f64 v[118:119], v[52:53], v[70:71]
	buffer_load_dword v161, off, s[0:3], 0 offset:212
	buffer_load_dword v160, off, s[0:3], 0 offset:208
	;; [unrolled: 1-line block ×60, first 2 shown]
	s_waitcnt vmcnt(62)
	v_fmac_f64_e32 v[114:115], v[38:39], v[96:97]
	v_add_f64 v[114:115], v[118:119], v[114:115]
	s_waitcnt lgkmcnt(0)
	v_mul_f64 v[118:119], v[32:33], v[46:47]
	v_fmac_f64_e32 v[118:119], v[34:35], v[48:49]
	v_add_f64 v[114:115], v[114:115], v[118:119]
	v_fma_f64 v[254:255], v[128:129], v[254:255], -v[12:13]
	v_mul_f64 v[38:39], v[38:39], v[40:41]
	s_waitcnt vmcnt(0)
	v_pk_mov_b32 v[120:121], v[116:117], v[116:117] op_sel:[0,1]
	buffer_load_dword v117, off, s[0:3], 0 offset:484
	buffer_load_dword v116, off, s[0:3], 0 offset:480
	v_accvgpr_write_b32 a179, v121
	v_accvgpr_write_b32 a178, v120
	s_waitcnt vmcnt(0)
	v_pk_mov_b32 v[122:123], v[116:117], v[116:117] op_sel:[0,1]
	buffer_load_dword v117, off, s[0:3], 0 offset:476
	buffer_load_dword v116, off, s[0:3], 0 offset:472
	v_accvgpr_write_b32 a181, v123
	v_accvgpr_write_b32 a180, v122
	;; [unrolled: 6-line block ×4, first 2 shown]
	s_waitcnt vmcnt(0)
	v_pk_mov_b32 v[124:125], v[116:117], v[116:117] op_sel:[0,1]
	buffer_load_dword v117, off, s[0:3], 0 offset:516
	buffer_load_dword v116, off, s[0:3], 0 offset:512
	buffer_load_dword v153, off, s[0:3], 0 offset:508
	buffer_load_dword v152, off, s[0:3], 0 offset:504
	v_accvgpr_write_b32 a191, v125
	v_accvgpr_write_b32 a190, v124
	s_waitcnt vmcnt(2)
	v_accvgpr_write_b32 a193, v117
	v_accvgpr_write_b32 a192, v116
	s_waitcnt vmcnt(0)
	v_pk_mov_b32 v[234:235], v[152:153], v[152:153] op_sel:[0,1]
	buffer_load_dword v153, off, s[0:3], 0 offset:500
	buffer_load_dword v152, off, s[0:3], 0 offset:496
	ds_read_b128 v[164:167], v250 offset:1136
	ds_read_b128 v[168:171], v250 offset:1152
	;; [unrolled: 1-line block ×6, first 2 shown]
	v_accvgpr_write_b32 a186, v234
	v_accvgpr_write_b32 a187, v235
	ds_read_b128 v[156:159], v250 offset:1120
	s_waitcnt lgkmcnt(2)
	v_mul_f64 v[40:41], v[182:183], v[98:99]
	s_waitcnt vmcnt(0)
	v_pk_mov_b32 v[236:237], v[152:153], v[152:153] op_sel:[0,1]
	ds_read_b128 v[152:155], v250 offset:1104
	buffer_load_dword v193, off, s[0:3], 0 offset:540
	buffer_load_dword v192, off, s[0:3], 0 offset:536
	v_accvgpr_write_b32 a188, v236
	v_accvgpr_write_b32 a189, v237
	s_waitcnt lgkmcnt(0)
	v_mul_f64 v[118:119], v[152:153], v[82:83]
	v_fmac_f64_e32 v[118:119], v[154:155], v[160:161]
	v_add_f64 v[114:115], v[114:115], v[118:119]
	v_mul_f64 v[118:119], v[156:157], v[56:57]
	v_fmac_f64_e32 v[118:119], v[158:159], v[50:51]
	v_add_f64 v[114:115], v[114:115], v[118:119]
	v_mul_f64 v[118:119], v[164:165], v[162:163]
	v_fmac_f64_e32 v[118:119], v[166:167], v[212:213]
	v_add_f64 v[114:115], v[114:115], v[118:119]
	v_mul_f64 v[118:119], v[168:169], v[184:185]
	v_fmac_f64_e32 v[118:119], v[170:171], v[186:187]
	v_add_f64 v[114:115], v[114:115], v[118:119]
	v_mul_f64 v[118:119], v[172:173], v[220:221]
	v_fmac_f64_e32 v[118:119], v[174:175], v[228:229]
	v_add_f64 v[114:115], v[114:115], v[118:119]
	v_mul_f64 v[118:119], v[176:177], v[92:93]
	v_fmac_f64_e32 v[118:119], v[178:179], v[94:95]
	v_add_f64 v[114:115], v[114:115], v[118:119]
	v_mul_f64 v[118:119], v[180:181], v[98:99]
	v_fmac_f64_e32 v[118:119], v[182:183], v[100:101]
	v_add_f64 v[114:115], v[114:115], v[118:119]
	v_mul_f64 v[118:119], v[188:189], v[58:59]
	v_fmac_f64_e32 v[118:119], v[190:191], v[70:71]
	v_add_f64 v[114:115], v[114:115], v[118:119]
	s_waitcnt vmcnt(0)
	v_pk_mov_b32 v[240:241], v[192:193], v[192:193] op_sel:[0,1]
	buffer_load_dword v193, off, s[0:3], 0 offset:532
	buffer_load_dword v192, off, s[0:3], 0 offset:528
	v_accvgpr_write_b32 a194, v240
	v_accvgpr_write_b32 a195, v241
	ds_read_b128 v[196:199], v250 offset:1248
	s_waitcnt vmcnt(0)
	v_pk_mov_b32 v[242:243], v[192:193], v[192:193] op_sel:[0,1]
	ds_read_b128 v[192:195], v250 offset:1232
	buffer_load_dword v0, off, s[0:3], 0 offset:552
	buffer_load_dword v200, off, s[0:3], 0 offset:544
	;; [unrolled: 1-line block ×4, first 2 shown]
	ds_read_b128 v[88:91], v250 offset:1264
	ds_read_b128 v[204:207], v250 offset:1280
	buffer_load_dword v19, off, s[0:3], 0 offset:588
	buffer_load_dword v15, off, s[0:3], 0 offset:572
	;; [unrolled: 1-line block ×8, first 2 shown]
	s_waitcnt lgkmcnt(2)
	v_mul_f64 v[118:119], v[192:193], v[68:69]
	v_fmac_f64_e32 v[118:119], v[194:195], v[80:81]
	v_add_f64 v[114:115], v[114:115], v[118:119]
	v_mul_f64 v[118:119], v[196:197], v[52:53]
	v_fmac_f64_e32 v[118:119], v[198:199], v[54:55]
	v_add_f64 v[114:115], v[114:115], v[118:119]
	s_waitcnt lgkmcnt(1)
	v_mul_f64 v[118:119], v[88:89], v[60:61]
	v_fmac_f64_e32 v[118:119], v[90:91], v[62:63]
	ds_read_b128 v[246:249], v250 offset:1360
	v_add_f64 v[114:115], v[114:115], v[118:119]
	s_waitcnt lgkmcnt(1)
	v_mul_f64 v[118:119], v[204:205], v[64:65]
	v_fmac_f64_e32 v[118:119], v[206:207], v[66:67]
	v_add_f64 v[114:115], v[114:115], v[118:119]
	ds_read_b128 v[102:105], v250 offset:1328
	ds_read_b128 v[224:227], v250 offset:1344
	v_mul_f64 v[52:53], v[198:199], v[52:53]
	v_mul_f64 v[60:61], v[90:91], v[60:61]
	v_accvgpr_write_b32 a196, v242
	v_mul_f64 v[64:65], v[206:207], v[64:65]
	v_accvgpr_write_b32 a197, v243
	ds_read_b128 v[216:219], v250 offset:1312
	s_waitcnt lgkmcnt(0)
	v_mul_f64 v[8:9], v[216:217], v[76:77]
	v_mul_f64 v[76:77], v[218:219], v[76:77]
	v_fmac_f64_e32 v[8:9], v[218:219], v[78:79]
	s_waitcnt vmcnt(9)
	v_accvgpr_write_b32 a199, v1
	v_accvgpr_write_b32 a198, v0
	s_waitcnt vmcnt(5)
	v_accvgpr_write_b32 a205, v15
	v_accvgpr_write_b32 a204, v14
	s_waitcnt vmcnt(3)
	v_pk_mov_b32 v[252:253], v[208:209], v[208:209] op_sel:[0,1]
	ds_read_b128 v[208:211], v250 offset:1296
	s_waitcnt vmcnt(2)
	v_accvgpr_write_b32 a203, v19
	v_accvgpr_write_b32 a202, v18
	;; [unrolled: 1-line block ×4, first 2 shown]
	s_waitcnt lgkmcnt(0)
	v_mul_f64 v[118:119], v[208:209], v[72:73]
	v_fmac_f64_e32 v[118:119], v[210:211], v[74:75]
	v_add_f64 v[6:7], v[114:115], v[118:119]
	v_fma_f64 v[118:119], v[106:107], v[230:231], -v[2:3]
	v_fma_f64 v[230:231], v[110:111], v[10:11], -v[4:5]
	ds_read_b128 v[2:5], v250 offset:1376
	v_mul_f64 v[10:11], v[246:247], v[126:127]
	v_accvgpr_write_b32 a170, v246
	v_fmac_f64_e32 v[10:11], v[248:249], v[232:233]
	v_accvgpr_write_b32 a171, v247
	v_accvgpr_write_b32 a172, v248
	;; [unrolled: 1-line block ×3, first 2 shown]
	ds_read_b128 v[246:249], v250 offset:1392
	v_add_f64 v[6:7], v[6:7], v[8:9]
	v_mul_f64 v[8:9], v[102:103], v[84:85]
	v_fmac_f64_e32 v[8:9], v[104:105], v[86:87]
	v_mul_f64 v[106:107], v[224:225], v[202:203]
	v_add_f64 v[8:9], v[6:7], v[8:9]
	v_fmac_f64_e32 v[106:107], v[226:227], v[22:23]
	s_waitcnt lgkmcnt(0)
	v_mul_f64 v[108:109], v[246:247], v[234:235]
	ds_read_b128 v[232:235], v250 offset:1408
	v_add_f64 v[8:9], v[8:9], v[106:107]
	v_add_f64 v[8:9], v[8:9], v[10:11]
	v_mul_f64 v[10:11], v[2:3], v[120:121]
	v_fmac_f64_e32 v[108:109], v[248:249], v[236:237]
	v_fma_f64 v[110:111], v[132:133], v[238:239], -v[16:17]
	ds_read_b128 v[236:239], v250 offset:1424
	v_fmac_f64_e32 v[10:11], v[4:5], v[122:123]
	v_accvgpr_write_b32 a177, v5
	v_add_f64 v[106:107], v[8:9], v[10:11]
	v_accvgpr_write_b32 a176, v4
	v_accvgpr_write_b32 a175, v3
	;; [unrolled: 1-line block ×3, first 2 shown]
	v_add_f64 v[2:3], v[106:107], v[108:109]
	s_waitcnt lgkmcnt(1)
	v_mul_f64 v[106:107], v[232:233], v[124:125]
	v_fmac_f64_e32 v[106:107], v[234:235], v[116:117]
	v_add_f64 v[2:3], v[2:3], v[106:107]
	s_waitcnt lgkmcnt(0)
	v_mul_f64 v[106:107], v[236:237], v[240:241]
	v_fma_f64 v[132:133], v[136:137], v[244:245], -v[20:21]
	buffer_load_dword v245, off, s[0:3], 0 offset:604
	buffer_load_dword v244, off, s[0:3], 0 offset:600
	;; [unrolled: 1-line block ×4, first 2 shown]
	ds_read_b128 v[128:131], v250 offset:1440
	ds_read_b128 v[124:127], v250 offset:1456
	buffer_load_dword v116, off, s[0:3], 0 offset:616
	buffer_load_dword v134, off, s[0:3], 0 offset:608
	;; [unrolled: 1-line block ×4, first 2 shown]
	ds_read_b128 v[120:123], v250 offset:1472
	buffer_load_dword v137, off, s[0:3], 0 offset:636
	buffer_load_dword v136, off, s[0:3], 0 offset:632
	buffer_load_dword v139, off, s[0:3], 0 offset:628
	buffer_load_dword v138, off, s[0:3], 0 offset:624
	v_fmac_f64_e32 v[106:107], v[238:239], v[242:243]
	s_waitcnt lgkmcnt(2)
	v_mul_f64 v[108:109], v[128:129], v[0:1]
	v_add_f64 v[2:3], v[2:3], v[106:107]
	v_fmac_f64_e32 v[108:109], v[130:131], v[200:201]
	s_waitcnt lgkmcnt(1)
	v_mul_f64 v[6:7], v[124:125], v[14:15]
	v_add_f64 v[108:109], v[2:3], v[108:109]
	v_fmac_f64_e32 v[6:7], v[126:127], v[252:253]
	v_add_f64 v[6:7], v[108:109], v[6:7]
	s_waitcnt lgkmcnt(0)
	v_mul_f64 v[108:109], v[120:121], v[18:19]
	s_waitcnt vmcnt(12)
	v_fmac_f64_e32 v[108:109], v[122:123], v[222:223]
	v_fma_f64 v[106:107], v[140:141], v[26:27], -v[24:25]
	v_fma_f64 v[140:141], v[148:149], v[44:45], -v[42:43]
	v_add_f64 v[44:45], v[6:7], v[108:109]
	buffer_load_dword v108, off, s[0:3], 0 offset:648
	v_fma_f64 v[24:25], v[144:145], v[30:31], -v[28:29]
	buffer_load_dword v144, off, s[0:3], 0 offset:640
	buffer_load_dword v109, off, s[0:3], 0 offset:652
	;; [unrolled: 1-line block ×11, first 2 shown]
	v_fma_f64 v[28:29], v[36:37], v[96:97], -v[38:39]
	v_mul_f64 v[10:11], v[34:35], v[46:47]
	v_mul_f64 v[36:37], v[154:155], v[82:83]
	v_fma_f64 v[20:21], v[32:33], v[48:49], -v[10:11]
	ds_read_b128 v[32:35], v250 offset:1488
	v_fma_f64 v[16:17], v[152:153], v[160:161], -v[36:37]
	v_mul_f64 v[14:15], v[158:159], v[56:57]
	buffer_load_dword v153, off, s[0:3], 0 offset:700
	buffer_load_dword v152, off, s[0:3], 0 offset:696
	;; [unrolled: 1-line block ×4, first 2 shown]
	v_fma_f64 v[14:15], v[156:157], v[50:51], -v[14:15]
	buffer_load_dword v156, off, s[0:3], 0 offset:712
	v_mul_f64 v[36:37], v[166:167], v[162:163]
	buffer_load_dword v158, off, s[0:3], 0 offset:704
	buffer_load_dword v157, off, s[0:3], 0 offset:716
	;; [unrolled: 1-line block ×7, first 2 shown]
	v_fma_f64 v[212:213], v[164:165], v[212:213], -v[36:37]
	v_mul_f64 v[36:37], v[170:171], v[184:185]
	v_fma_f64 v[12:13], v[168:169], v[186:187], -v[36:37]
	buffer_load_dword v166, off, s[0:3], 0 offset:744
	buffer_load_dword v168, off, s[0:3], 0 offset:736
	;; [unrolled: 1-line block ×4, first 2 shown]
	v_mul_f64 v[18:19], v[174:175], v[220:221]
	v_fma_f64 v[18:19], v[172:173], v[228:229], -v[18:19]
	buffer_load_dword v165, off, s[0:3], 0 offset:780
	buffer_load_dword v171, off, s[0:3], 0 offset:764
	;; [unrolled: 1-line block ×8, first 2 shown]
	v_mul_f64 v[36:37], v[178:179], v[92:93]
	v_fma_f64 v[220:221], v[176:177], v[94:95], -v[36:37]
	buffer_load_dword v177, off, s[0:3], 0 offset:796
	buffer_load_dword v176, off, s[0:3], 0 offset:792
	;; [unrolled: 1-line block ×4, first 2 shown]
	ds_read_b128 v[36:39], v250 offset:1504
	v_fma_f64 v[10:11], v[180:181], v[100:101], -v[40:41]
	v_mul_f64 v[40:41], v[190:191], v[58:59]
	buffer_load_dword v180, off, s[0:3], 0 offset:808
	buffer_load_dword v182, off, s[0:3], 0 offset:800
	;; [unrolled: 1-line block ×8, first 2 shown]
	v_fma_f64 v[8:9], v[188:189], v[70:71], -v[40:41]
	ds_read_b128 v[40:43], v250 offset:1520
	v_mul_f64 v[48:49], v[194:195], v[68:69]
	v_fma_f64 v[6:7], v[192:193], v[80:81], -v[48:49]
	ds_read_b128 v[48:51], v250 offset:1552
	v_fma_f64 v[4:5], v[196:197], v[54:55], -v[52:53]
	ds_read_b128 v[52:55], v250 offset:1568
	;; [unrolled: 2-line block ×4, first 2 shown]
	v_mul_f64 v[72:73], v[210:211], v[72:73]
	v_fma_f64 v[208:209], v[208:209], v[74:75], -v[72:73]
	ds_read_b128 v[72:75], v250 offset:1648
	v_fma_f64 v[0:1], v[216:217], v[78:79], -v[76:77]
	ds_read_b128 v[76:79], v250 offset:1664
	buffer_load_dword v188, off, s[0:3], 0 offset:840
	ds_read_b128 v[88:91], v250 offset:1712
	s_waitcnt vmcnt(59) lgkmcnt(9)
	v_mul_f64 v[46:47], v[32:33], v[244:245]
	s_waitcnt vmcnt(57)
	v_fmac_f64_e32 v[46:47], v[34:35], v[240:241]
	v_add_f64 v[44:45], v[44:45], v[46:47]
	s_waitcnt vmcnt(54) lgkmcnt(8)
	v_mul_f64 v[46:47], v[36:37], v[116:117]
	s_waitcnt vmcnt(53)
	v_fmac_f64_e32 v[46:47], v[38:39], v[134:135]
	v_add_f64 v[44:45], v[44:45], v[46:47]
	;; [unrolled: 5-line block ×3, first 2 shown]
	ds_read_b128 v[44:47], v250 offset:1536
	s_waitcnt vmcnt(46) lgkmcnt(0)
	v_mul_f64 v[58:59], v[44:45], v[108:109]
	s_waitcnt vmcnt(45)
	v_fmac_f64_e32 v[58:59], v[46:47], v[144:145]
	v_add_f64 v[56:57], v[56:57], v[58:59]
	s_waitcnt vmcnt(42)
	v_mul_f64 v[58:59], v[48:49], v[146:147]
	s_waitcnt vmcnt(40)
	v_fmac_f64_e32 v[58:59], v[50:51], v[150:151]
	v_add_f64 v[56:57], v[56:57], v[58:59]
	s_waitcnt vmcnt(39)
	v_mul_f64 v[58:59], v[52:53], v[142:143]
	s_waitcnt vmcnt(37)
	v_fmac_f64_e32 v[58:59], v[54:55], v[148:149]
	v_add_f64 v[68:69], v[56:57], v[58:59]
	ds_read_b128 v[56:59], v250 offset:1584
	s_waitcnt vmcnt(35) lgkmcnt(0)
	v_mul_f64 v[26:27], v[56:57], v[152:153]
	s_waitcnt vmcnt(33)
	v_fmac_f64_e32 v[26:27], v[58:59], v[154:155]
	v_add_f64 v[26:27], v[68:69], v[26:27]
	s_waitcnt vmcnt(30)
	v_mul_f64 v[68:69], v[60:61], v[156:157]
	s_waitcnt vmcnt(29)
	v_fmac_f64_e32 v[68:69], v[62:63], v[158:159]
	v_add_f64 v[26:27], v[26:27], v[68:69]
	s_waitcnt vmcnt(27)
	v_mul_f64 v[68:69], v[64:65], v[160:161]
	s_waitcnt vmcnt(25)
	v_fmac_f64_e32 v[68:69], v[66:67], v[162:163]
	v_add_f64 v[26:27], v[26:27], v[68:69]
	ds_read_b128 v[68:71], v250 offset:1632
	s_waitcnt vmcnt(18)
	v_mul_f64 v[30:31], v[72:73], v[170:171]
	s_waitcnt vmcnt(16)
	v_fmac_f64_e32 v[30:31], v[74:75], v[174:175]
	s_waitcnt lgkmcnt(0)
	v_mul_f64 v[80:81], v[68:69], v[166:167]
	v_fmac_f64_e32 v[80:81], v[70:71], v[168:169]
	v_add_f64 v[26:27], v[26:27], v[80:81]
	v_add_f64 v[26:27], v[26:27], v[30:31]
	s_waitcnt vmcnt(15)
	v_mul_f64 v[30:31], v[76:77], v[164:165]
	s_waitcnt vmcnt(13)
	v_fmac_f64_e32 v[30:31], v[78:79], v[172:173]
	v_add_f64 v[26:27], v[26:27], v[30:31]
	ds_read_b128 v[80:83], v250 offset:1680
	v_mul_f64 v[30:31], v[104:105], v[84:85]
	v_fma_f64 v[30:31], v[102:103], v[86:87], -v[30:31]
	ds_read_b128 v[84:87], v250 offset:1696
	buffer_load_dword v190, off, s[0:3], 0 offset:832
	buffer_load_dword v189, off, s[0:3], 0 offset:844
	;; [unrolled: 1-line block ×3, first 2 shown]
	ds_read_b128 v[92:95], v250 offset:1728
	buffer_load_dword v193, off, s[0:3], 0 offset:860
	buffer_load_dword v192, off, s[0:3], 0 offset:856
	buffer_load_dword v195, off, s[0:3], 0 offset:852
	buffer_load_dword v194, off, s[0:3], 0 offset:848
	v_accvgpr_write_b32 a207, v31
	v_accvgpr_write_b32 a206, v30
	s_waitcnt vmcnt(18) lgkmcnt(2)
	v_mul_f64 v[30:31], v[80:81], v[176:177]
	ds_read_b128 v[96:99], v250 offset:1744
	buffer_load_dword v196, off, s[0:3], 0 offset:872
	buffer_load_dword v197, off, s[0:3], 0 offset:876
	;; [unrolled: 1-line block ×4, first 2 shown]
	s_waitcnt vmcnt(20)
	v_fmac_f64_e32 v[30:31], v[82:83], v[178:179]
	v_add_f64 v[26:27], v[26:27], v[30:31]
	v_mul_f64 v[30:31], v[226:227], v[202:203]
	ds_read_b128 v[100:103], v250 offset:1760
	buffer_load_dword v201, off, s[0:3], 0 offset:892
	buffer_load_dword v200, off, s[0:3], 0 offset:888
	buffer_load_dword v203, off, s[0:3], 0 offset:884
	buffer_load_dword v202, off, s[0:3], 0 offset:880
	ds_read_b128 v[226:229], v250 offset:1776
	buffer_load_dword v204, off, s[0:3], 0 offset:904
	buffer_load_dword v205, off, s[0:3], 0 offset:908
	buffer_load_dword v206, off, s[0:3], 0 offset:896
	buffer_load_dword v207, off, s[0:3], 0 offset:900
	;; [unrolled: 5-line block ×3, first 2 shown]
	v_fma_f64 v[224:225], v[224:225], v[22:23], -v[30:31]
	s_waitcnt vmcnt(29) lgkmcnt(5)
	v_mul_f64 v[30:31], v[84:85], v[180:181]
	s_waitcnt vmcnt(28)
	v_fmac_f64_e32 v[30:31], v[86:87], v[182:183]
	v_add_f64 v[26:27], v[26:27], v[30:31]
	s_waitcnt vmcnt(26)
	v_mul_f64 v[30:31], v[88:89], v[184:185]
	s_waitcnt vmcnt(24)
	v_fmac_f64_e32 v[30:31], v[90:91], v[186:187]
	v_add_f64 v[26:27], v[26:27], v[30:31]
	ds_read_b128 v[112:115], v250 offset:1808
	s_waitcnt vmcnt(21) lgkmcnt(5)
	v_mul_f64 v[30:31], v[92:93], v[188:189]
	s_waitcnt vmcnt(20)
	v_fmac_f64_e32 v[30:31], v[94:95], v[190:191]
	v_add_f64 v[26:27], v[26:27], v[30:31]
	s_waitcnt vmcnt(18) lgkmcnt(4)
	v_mul_f64 v[30:31], v[96:97], v[192:193]
	s_waitcnt vmcnt(16)
	v_fmac_f64_e32 v[30:31], v[98:99], v[194:195]
	v_add_f64 v[26:27], v[26:27], v[30:31]
	;; [unrolled: 5-line block ×6, first 2 shown]
	v_add_f64 v[30:31], v[214:215], 0
	v_add_f64 v[30:31], v[30:31], v[118:119]
	;; [unrolled: 1-line block ×24, first 2 shown]
	buffer_load_dword v2, off, s[0:3], 0 offset:16
	buffer_load_dword v3, off, s[0:3], 0 offset:20
	buffer_load_dword v214, off, s[0:3], 0 offset:24
	buffer_load_dword v215, off, s[0:3], 0 offset:28
	v_add_f64 v[220:221], v[4:5], v[0:1]
	v_accvgpr_read_b32 v6, a170
	v_accvgpr_read_b32 v4, a182
	;; [unrolled: 1-line block ×7, first 2 shown]
	v_mul_f64 v[4:5], v[8:9], v[4:5]
	v_accvgpr_read_b32 v8, a184
	v_add_f64 v[0:1], v[220:221], v[0:1]
	v_accvgpr_read_b32 v7, a171
	v_accvgpr_read_b32 v9, a185
	v_add_f64 v[0:1], v[0:1], v[224:225]
	v_fma_f64 v[4:5], v[6:7], v[8:9], -v[4:5]
	v_add_f64 v[0:1], v[0:1], v[4:5]
	v_accvgpr_read_b32 v6, a174
	v_accvgpr_read_b32 v4, a178
	;; [unrolled: 1-line block ×5, first 2 shown]
	v_mul_f64 v[4:5], v[8:9], v[4:5]
	v_accvgpr_read_b32 v8, a180
	v_accvgpr_read_b32 v7, a175
	;; [unrolled: 1-line block ×3, first 2 shown]
	v_fma_f64 v[4:5], v[6:7], v[8:9], -v[4:5]
	v_add_f64 v[0:1], v[0:1], v[4:5]
	v_accvgpr_read_b32 v4, a186
	v_accvgpr_read_b32 v5, a187
	v_accvgpr_read_b32 v6, a188
	v_mul_f64 v[4:5], v[248:249], v[4:5]
	v_accvgpr_read_b32 v7, a189
	v_fma_f64 v[4:5], v[246:247], v[6:7], -v[4:5]
	v_add_f64 v[0:1], v[0:1], v[4:5]
	v_accvgpr_read_b32 v4, a190
	v_accvgpr_read_b32 v5, a191
	v_accvgpr_read_b32 v6, a192
	v_mul_f64 v[4:5], v[234:235], v[4:5]
	v_accvgpr_read_b32 v7, a193
	;; [unrolled: 7-line block ×4, first 2 shown]
	v_fma_f64 v[4:5], v[128:129], v[6:7], -v[4:5]
	v_add_f64 v[0:1], v[0:1], v[4:5]
	v_accvgpr_read_b32 v4, a204
	v_accvgpr_read_b32 v5, a205
	v_mul_f64 v[4:5], v[126:127], v[4:5]
	v_fma_f64 v[4:5], v[124:125], v[252:253], -v[4:5]
	v_add_f64 v[0:1], v[0:1], v[4:5]
	v_accvgpr_read_b32 v4, a202
	v_accvgpr_read_b32 v5, a203
	v_mul_f64 v[4:5], v[122:123], v[4:5]
	v_fma_f64 v[4:5], v[120:121], v[222:223], -v[4:5]
	v_add_f64 v[0:1], v[0:1], v[4:5]
	v_mul_f64 v[4:5], v[34:35], v[244:245]
	v_fma_f64 v[4:5], v[32:33], v[240:241], -v[4:5]
	v_add_f64 v[0:1], v[0:1], v[4:5]
	;; [unrolled: 3-line block ×22, first 2 shown]
	s_waitcnt vmcnt(2)
	v_add_f64 v[0:1], v[2:3], -v[0:1]
	s_waitcnt vmcnt(0)
	v_add_f64 v[2:3], v[214:215], -v[26:27]
	buffer_store_dword v1, off, s[0:3], 0 offset:20
	buffer_store_dword v0, off, s[0:3], 0 offset:16
	;; [unrolled: 1-line block ×4, first 2 shown]
	s_cbranch_vccz .LBB56_469
; %bb.356:
	v_pk_mov_b32 v[0:1], s[10:11], s[10:11] op_sel:[0,1]
	flat_load_dword v0, v[0:1] offset:220
	s_waitcnt vmcnt(0) lgkmcnt(0)
	v_add_u32_e32 v0, -1, v0
	v_cmp_ne_u32_e32 vcc, 55, v0
	s_and_saveexec_b64 s[4:5], vcc
	s_cbranch_execz .LBB56_358
; %bb.357:
	v_mov_b32_e32 v1, 16
	v_accvgpr_read_b32 v9, a115
	v_lshl_add_u32 v0, v0, 4, v1
	buffer_load_dword v1, v9, s[0:3], 0 offen offset:4
	buffer_load_dword v2, v9, s[0:3], 0 offen offset:8
	buffer_load_dword v3, v9, s[0:3], 0 offen offset:12
	buffer_load_dword v4, v0, s[0:3], 0 offen
	buffer_load_dword v5, v0, s[0:3], 0 offen offset:4
	buffer_load_dword v6, v0, s[0:3], 0 offen offset:8
	buffer_load_dword v7, v0, s[0:3], 0 offen offset:12
	buffer_load_dword v8, v9, s[0:3], 0 offen
	s_waitcnt vmcnt(4)
	buffer_store_dword v4, v9, s[0:3], 0 offen
	s_waitcnt vmcnt(4)
	buffer_store_dword v5, v9, s[0:3], 0 offen offset:4
	s_waitcnt vmcnt(4)
	buffer_store_dword v6, v9, s[0:3], 0 offen offset:8
	s_waitcnt vmcnt(4)
	buffer_store_dword v7, v9, s[0:3], 0 offen offset:12
	buffer_store_dword v3, v0, s[0:3], 0 offen offset:12
	buffer_store_dword v2, v0, s[0:3], 0 offen offset:8
	buffer_store_dword v1, v0, s[0:3], 0 offen offset:4
	s_waitcnt vmcnt(7)
	buffer_store_dword v8, v0, s[0:3], 0 offen
.LBB56_358:
	s_or_b64 exec, exec, s[4:5]
	v_pk_mov_b32 v[0:1], s[10:11], s[10:11] op_sel:[0,1]
	flat_load_dword v0, v[0:1] offset:216
	s_waitcnt vmcnt(0) lgkmcnt(0)
	v_add_u32_e32 v0, -1, v0
	v_cmp_ne_u32_e32 vcc, 54, v0
	s_and_saveexec_b64 s[4:5], vcc
	s_cbranch_execz .LBB56_360
; %bb.359:
	v_mov_b32_e32 v1, 16
	v_accvgpr_read_b32 v9, a116
	v_lshl_add_u32 v0, v0, 4, v1
	buffer_load_dword v1, v9, s[0:3], 0 offen offset:4
	buffer_load_dword v2, v9, s[0:3], 0 offen offset:8
	buffer_load_dword v3, v9, s[0:3], 0 offen offset:12
	buffer_load_dword v4, v0, s[0:3], 0 offen
	buffer_load_dword v5, v0, s[0:3], 0 offen offset:4
	buffer_load_dword v6, v0, s[0:3], 0 offen offset:8
	buffer_load_dword v7, v0, s[0:3], 0 offen offset:12
	buffer_load_dword v8, v9, s[0:3], 0 offen
	s_waitcnt vmcnt(4)
	buffer_store_dword v4, v9, s[0:3], 0 offen
	s_waitcnt vmcnt(4)
	buffer_store_dword v5, v9, s[0:3], 0 offen offset:4
	s_waitcnt vmcnt(4)
	buffer_store_dword v6, v9, s[0:3], 0 offen offset:8
	s_waitcnt vmcnt(4)
	buffer_store_dword v7, v9, s[0:3], 0 offen offset:12
	buffer_store_dword v3, v0, s[0:3], 0 offen offset:12
	buffer_store_dword v2, v0, s[0:3], 0 offen offset:8
	buffer_store_dword v1, v0, s[0:3], 0 offen offset:4
	s_waitcnt vmcnt(7)
	buffer_store_dword v8, v0, s[0:3], 0 offen
.LBB56_360:
	s_or_b64 exec, exec, s[4:5]
	v_pk_mov_b32 v[0:1], s[10:11], s[10:11] op_sel:[0,1]
	flat_load_dword v0, v[0:1] offset:212
	s_waitcnt vmcnt(0) lgkmcnt(0)
	v_add_u32_e32 v0, -1, v0
	v_cmp_ne_u32_e32 vcc, 53, v0
	s_and_saveexec_b64 s[4:5], vcc
	s_cbranch_execz .LBB56_362
; %bb.361:
	v_mov_b32_e32 v1, 16
	v_accvgpr_read_b32 v9, a117
	v_lshl_add_u32 v0, v0, 4, v1
	buffer_load_dword v1, v9, s[0:3], 0 offen offset:4
	buffer_load_dword v2, v9, s[0:3], 0 offen offset:8
	buffer_load_dword v3, v9, s[0:3], 0 offen offset:12
	buffer_load_dword v4, v0, s[0:3], 0 offen
	buffer_load_dword v5, v0, s[0:3], 0 offen offset:4
	buffer_load_dword v6, v0, s[0:3], 0 offen offset:8
	buffer_load_dword v7, v0, s[0:3], 0 offen offset:12
	buffer_load_dword v8, v9, s[0:3], 0 offen
	s_waitcnt vmcnt(4)
	buffer_store_dword v4, v9, s[0:3], 0 offen
	s_waitcnt vmcnt(4)
	buffer_store_dword v5, v9, s[0:3], 0 offen offset:4
	s_waitcnt vmcnt(4)
	buffer_store_dword v6, v9, s[0:3], 0 offen offset:8
	s_waitcnt vmcnt(4)
	buffer_store_dword v7, v9, s[0:3], 0 offen offset:12
	buffer_store_dword v3, v0, s[0:3], 0 offen offset:12
	buffer_store_dword v2, v0, s[0:3], 0 offen offset:8
	buffer_store_dword v1, v0, s[0:3], 0 offen offset:4
	s_waitcnt vmcnt(7)
	buffer_store_dword v8, v0, s[0:3], 0 offen
.LBB56_362:
	s_or_b64 exec, exec, s[4:5]
	v_pk_mov_b32 v[0:1], s[10:11], s[10:11] op_sel:[0,1]
	flat_load_dword v0, v[0:1] offset:208
	s_waitcnt vmcnt(0) lgkmcnt(0)
	v_add_u32_e32 v0, -1, v0
	v_cmp_ne_u32_e32 vcc, 52, v0
	s_and_saveexec_b64 s[4:5], vcc
	s_cbranch_execz .LBB56_364
; %bb.363:
	v_mov_b32_e32 v1, 16
	v_accvgpr_read_b32 v9, a118
	v_lshl_add_u32 v0, v0, 4, v1
	buffer_load_dword v1, v9, s[0:3], 0 offen offset:4
	buffer_load_dword v2, v9, s[0:3], 0 offen offset:8
	buffer_load_dword v3, v9, s[0:3], 0 offen offset:12
	buffer_load_dword v4, v0, s[0:3], 0 offen
	buffer_load_dword v5, v0, s[0:3], 0 offen offset:4
	buffer_load_dword v6, v0, s[0:3], 0 offen offset:8
	buffer_load_dword v7, v0, s[0:3], 0 offen offset:12
	buffer_load_dword v8, v9, s[0:3], 0 offen
	s_waitcnt vmcnt(4)
	buffer_store_dword v4, v9, s[0:3], 0 offen
	s_waitcnt vmcnt(4)
	buffer_store_dword v5, v9, s[0:3], 0 offen offset:4
	s_waitcnt vmcnt(4)
	buffer_store_dword v6, v9, s[0:3], 0 offen offset:8
	s_waitcnt vmcnt(4)
	buffer_store_dword v7, v9, s[0:3], 0 offen offset:12
	buffer_store_dword v3, v0, s[0:3], 0 offen offset:12
	buffer_store_dword v2, v0, s[0:3], 0 offen offset:8
	buffer_store_dword v1, v0, s[0:3], 0 offen offset:4
	s_waitcnt vmcnt(7)
	buffer_store_dword v8, v0, s[0:3], 0 offen
.LBB56_364:
	s_or_b64 exec, exec, s[4:5]
	v_pk_mov_b32 v[0:1], s[10:11], s[10:11] op_sel:[0,1]
	flat_load_dword v0, v[0:1] offset:204
	s_waitcnt vmcnt(0) lgkmcnt(0)
	v_add_u32_e32 v0, -1, v0
	v_cmp_ne_u32_e32 vcc, 51, v0
	s_and_saveexec_b64 s[4:5], vcc
	s_cbranch_execz .LBB56_366
; %bb.365:
	v_mov_b32_e32 v1, 16
	v_accvgpr_read_b32 v9, a119
	v_lshl_add_u32 v0, v0, 4, v1
	buffer_load_dword v1, v9, s[0:3], 0 offen offset:4
	buffer_load_dword v2, v9, s[0:3], 0 offen offset:8
	buffer_load_dword v3, v9, s[0:3], 0 offen offset:12
	buffer_load_dword v4, v0, s[0:3], 0 offen
	buffer_load_dword v5, v0, s[0:3], 0 offen offset:4
	buffer_load_dword v6, v0, s[0:3], 0 offen offset:8
	buffer_load_dword v7, v0, s[0:3], 0 offen offset:12
	buffer_load_dword v8, v9, s[0:3], 0 offen
	s_waitcnt vmcnt(4)
	buffer_store_dword v4, v9, s[0:3], 0 offen
	s_waitcnt vmcnt(4)
	buffer_store_dword v5, v9, s[0:3], 0 offen offset:4
	s_waitcnt vmcnt(4)
	buffer_store_dword v6, v9, s[0:3], 0 offen offset:8
	s_waitcnt vmcnt(4)
	buffer_store_dword v7, v9, s[0:3], 0 offen offset:12
	buffer_store_dword v3, v0, s[0:3], 0 offen offset:12
	buffer_store_dword v2, v0, s[0:3], 0 offen offset:8
	buffer_store_dword v1, v0, s[0:3], 0 offen offset:4
	s_waitcnt vmcnt(7)
	buffer_store_dword v8, v0, s[0:3], 0 offen
.LBB56_366:
	s_or_b64 exec, exec, s[4:5]
	v_pk_mov_b32 v[0:1], s[10:11], s[10:11] op_sel:[0,1]
	flat_load_dword v0, v[0:1] offset:200
	s_waitcnt vmcnt(0) lgkmcnt(0)
	v_add_u32_e32 v0, -1, v0
	v_cmp_ne_u32_e32 vcc, 50, v0
	s_and_saveexec_b64 s[4:5], vcc
	s_cbranch_execz .LBB56_368
; %bb.367:
	v_mov_b32_e32 v1, 16
	v_accvgpr_read_b32 v9, a120
	v_lshl_add_u32 v0, v0, 4, v1
	buffer_load_dword v1, v9, s[0:3], 0 offen offset:4
	buffer_load_dword v2, v9, s[0:3], 0 offen offset:8
	buffer_load_dword v3, v9, s[0:3], 0 offen offset:12
	buffer_load_dword v4, v0, s[0:3], 0 offen
	buffer_load_dword v5, v0, s[0:3], 0 offen offset:4
	buffer_load_dword v6, v0, s[0:3], 0 offen offset:8
	buffer_load_dword v7, v0, s[0:3], 0 offen offset:12
	buffer_load_dword v8, v9, s[0:3], 0 offen
	s_waitcnt vmcnt(4)
	buffer_store_dword v4, v9, s[0:3], 0 offen
	s_waitcnt vmcnt(4)
	buffer_store_dword v5, v9, s[0:3], 0 offen offset:4
	s_waitcnt vmcnt(4)
	buffer_store_dword v6, v9, s[0:3], 0 offen offset:8
	s_waitcnt vmcnt(4)
	buffer_store_dword v7, v9, s[0:3], 0 offen offset:12
	buffer_store_dword v3, v0, s[0:3], 0 offen offset:12
	buffer_store_dword v2, v0, s[0:3], 0 offen offset:8
	buffer_store_dword v1, v0, s[0:3], 0 offen offset:4
	s_waitcnt vmcnt(7)
	buffer_store_dword v8, v0, s[0:3], 0 offen
.LBB56_368:
	s_or_b64 exec, exec, s[4:5]
	v_pk_mov_b32 v[0:1], s[10:11], s[10:11] op_sel:[0,1]
	flat_load_dword v0, v[0:1] offset:196
	s_waitcnt vmcnt(0) lgkmcnt(0)
	v_add_u32_e32 v0, -1, v0
	v_cmp_ne_u32_e32 vcc, 49, v0
	s_and_saveexec_b64 s[4:5], vcc
	s_cbranch_execz .LBB56_370
; %bb.369:
	v_mov_b32_e32 v1, 16
	v_accvgpr_read_b32 v9, a121
	v_lshl_add_u32 v0, v0, 4, v1
	buffer_load_dword v1, v9, s[0:3], 0 offen offset:4
	buffer_load_dword v2, v9, s[0:3], 0 offen offset:8
	buffer_load_dword v3, v9, s[0:3], 0 offen offset:12
	buffer_load_dword v4, v0, s[0:3], 0 offen
	buffer_load_dword v5, v0, s[0:3], 0 offen offset:4
	buffer_load_dword v6, v0, s[0:3], 0 offen offset:8
	buffer_load_dword v7, v0, s[0:3], 0 offen offset:12
	buffer_load_dword v8, v9, s[0:3], 0 offen
	s_waitcnt vmcnt(4)
	buffer_store_dword v4, v9, s[0:3], 0 offen
	s_waitcnt vmcnt(4)
	buffer_store_dword v5, v9, s[0:3], 0 offen offset:4
	s_waitcnt vmcnt(4)
	buffer_store_dword v6, v9, s[0:3], 0 offen offset:8
	s_waitcnt vmcnt(4)
	buffer_store_dword v7, v9, s[0:3], 0 offen offset:12
	buffer_store_dword v3, v0, s[0:3], 0 offen offset:12
	buffer_store_dword v2, v0, s[0:3], 0 offen offset:8
	buffer_store_dword v1, v0, s[0:3], 0 offen offset:4
	s_waitcnt vmcnt(7)
	buffer_store_dword v8, v0, s[0:3], 0 offen
.LBB56_370:
	s_or_b64 exec, exec, s[4:5]
	v_pk_mov_b32 v[0:1], s[10:11], s[10:11] op_sel:[0,1]
	flat_load_dword v0, v[0:1] offset:192
	s_waitcnt vmcnt(0) lgkmcnt(0)
	v_add_u32_e32 v0, -1, v0
	v_cmp_ne_u32_e32 vcc, 48, v0
	s_and_saveexec_b64 s[4:5], vcc
	s_cbranch_execz .LBB56_372
; %bb.371:
	v_mov_b32_e32 v1, 16
	v_accvgpr_read_b32 v9, a122
	v_lshl_add_u32 v0, v0, 4, v1
	buffer_load_dword v1, v9, s[0:3], 0 offen offset:4
	buffer_load_dword v2, v9, s[0:3], 0 offen offset:8
	buffer_load_dword v3, v9, s[0:3], 0 offen offset:12
	buffer_load_dword v4, v0, s[0:3], 0 offen
	buffer_load_dword v5, v0, s[0:3], 0 offen offset:4
	buffer_load_dword v6, v0, s[0:3], 0 offen offset:8
	buffer_load_dword v7, v0, s[0:3], 0 offen offset:12
	buffer_load_dword v8, v9, s[0:3], 0 offen
	s_waitcnt vmcnt(4)
	buffer_store_dword v4, v9, s[0:3], 0 offen
	s_waitcnt vmcnt(4)
	buffer_store_dword v5, v9, s[0:3], 0 offen offset:4
	s_waitcnt vmcnt(4)
	buffer_store_dword v6, v9, s[0:3], 0 offen offset:8
	s_waitcnt vmcnt(4)
	buffer_store_dword v7, v9, s[0:3], 0 offen offset:12
	buffer_store_dword v3, v0, s[0:3], 0 offen offset:12
	buffer_store_dword v2, v0, s[0:3], 0 offen offset:8
	buffer_store_dword v1, v0, s[0:3], 0 offen offset:4
	s_waitcnt vmcnt(7)
	buffer_store_dword v8, v0, s[0:3], 0 offen
.LBB56_372:
	s_or_b64 exec, exec, s[4:5]
	v_pk_mov_b32 v[0:1], s[10:11], s[10:11] op_sel:[0,1]
	flat_load_dword v0, v[0:1] offset:188
	s_waitcnt vmcnt(0) lgkmcnt(0)
	v_add_u32_e32 v0, -1, v0
	v_cmp_ne_u32_e32 vcc, 47, v0
	s_and_saveexec_b64 s[4:5], vcc
	s_cbranch_execz .LBB56_374
; %bb.373:
	v_mov_b32_e32 v1, 16
	v_accvgpr_read_b32 v9, a123
	v_lshl_add_u32 v0, v0, 4, v1
	buffer_load_dword v1, v9, s[0:3], 0 offen offset:4
	buffer_load_dword v2, v9, s[0:3], 0 offen offset:8
	buffer_load_dword v3, v9, s[0:3], 0 offen offset:12
	buffer_load_dword v4, v0, s[0:3], 0 offen
	buffer_load_dword v5, v0, s[0:3], 0 offen offset:4
	buffer_load_dword v6, v0, s[0:3], 0 offen offset:8
	buffer_load_dword v7, v0, s[0:3], 0 offen offset:12
	buffer_load_dword v8, v9, s[0:3], 0 offen
	s_waitcnt vmcnt(4)
	buffer_store_dword v4, v9, s[0:3], 0 offen
	s_waitcnt vmcnt(4)
	buffer_store_dword v5, v9, s[0:3], 0 offen offset:4
	s_waitcnt vmcnt(4)
	buffer_store_dword v6, v9, s[0:3], 0 offen offset:8
	s_waitcnt vmcnt(4)
	buffer_store_dword v7, v9, s[0:3], 0 offen offset:12
	buffer_store_dword v3, v0, s[0:3], 0 offen offset:12
	buffer_store_dword v2, v0, s[0:3], 0 offen offset:8
	buffer_store_dword v1, v0, s[0:3], 0 offen offset:4
	s_waitcnt vmcnt(7)
	buffer_store_dword v8, v0, s[0:3], 0 offen
.LBB56_374:
	s_or_b64 exec, exec, s[4:5]
	v_pk_mov_b32 v[0:1], s[10:11], s[10:11] op_sel:[0,1]
	flat_load_dword v0, v[0:1] offset:184
	s_waitcnt vmcnt(0) lgkmcnt(0)
	v_add_u32_e32 v0, -1, v0
	v_cmp_ne_u32_e32 vcc, 46, v0
	s_and_saveexec_b64 s[4:5], vcc
	s_cbranch_execz .LBB56_376
; %bb.375:
	v_mov_b32_e32 v1, 16
	v_accvgpr_read_b32 v9, a124
	v_lshl_add_u32 v0, v0, 4, v1
	buffer_load_dword v1, v9, s[0:3], 0 offen offset:4
	buffer_load_dword v2, v9, s[0:3], 0 offen offset:8
	buffer_load_dword v3, v9, s[0:3], 0 offen offset:12
	buffer_load_dword v4, v0, s[0:3], 0 offen
	buffer_load_dword v5, v0, s[0:3], 0 offen offset:4
	buffer_load_dword v6, v0, s[0:3], 0 offen offset:8
	buffer_load_dword v7, v0, s[0:3], 0 offen offset:12
	buffer_load_dword v8, v9, s[0:3], 0 offen
	s_waitcnt vmcnt(4)
	buffer_store_dword v4, v9, s[0:3], 0 offen
	s_waitcnt vmcnt(4)
	buffer_store_dword v5, v9, s[0:3], 0 offen offset:4
	s_waitcnt vmcnt(4)
	buffer_store_dword v6, v9, s[0:3], 0 offen offset:8
	s_waitcnt vmcnt(4)
	buffer_store_dword v7, v9, s[0:3], 0 offen offset:12
	buffer_store_dword v3, v0, s[0:3], 0 offen offset:12
	buffer_store_dword v2, v0, s[0:3], 0 offen offset:8
	buffer_store_dword v1, v0, s[0:3], 0 offen offset:4
	s_waitcnt vmcnt(7)
	buffer_store_dword v8, v0, s[0:3], 0 offen
.LBB56_376:
	s_or_b64 exec, exec, s[4:5]
	v_pk_mov_b32 v[0:1], s[10:11], s[10:11] op_sel:[0,1]
	flat_load_dword v0, v[0:1] offset:180
	s_waitcnt vmcnt(0) lgkmcnt(0)
	v_add_u32_e32 v0, -1, v0
	v_cmp_ne_u32_e32 vcc, 45, v0
	s_and_saveexec_b64 s[4:5], vcc
	s_cbranch_execz .LBB56_378
; %bb.377:
	v_mov_b32_e32 v1, 16
	v_accvgpr_read_b32 v9, a125
	v_lshl_add_u32 v0, v0, 4, v1
	buffer_load_dword v1, v9, s[0:3], 0 offen offset:4
	buffer_load_dword v2, v9, s[0:3], 0 offen offset:8
	buffer_load_dword v3, v9, s[0:3], 0 offen offset:12
	buffer_load_dword v4, v0, s[0:3], 0 offen
	buffer_load_dword v5, v0, s[0:3], 0 offen offset:4
	buffer_load_dword v6, v0, s[0:3], 0 offen offset:8
	buffer_load_dword v7, v0, s[0:3], 0 offen offset:12
	buffer_load_dword v8, v9, s[0:3], 0 offen
	s_waitcnt vmcnt(4)
	buffer_store_dword v4, v9, s[0:3], 0 offen
	s_waitcnt vmcnt(4)
	buffer_store_dword v5, v9, s[0:3], 0 offen offset:4
	s_waitcnt vmcnt(4)
	buffer_store_dword v6, v9, s[0:3], 0 offen offset:8
	s_waitcnt vmcnt(4)
	buffer_store_dword v7, v9, s[0:3], 0 offen offset:12
	buffer_store_dword v3, v0, s[0:3], 0 offen offset:12
	buffer_store_dword v2, v0, s[0:3], 0 offen offset:8
	buffer_store_dword v1, v0, s[0:3], 0 offen offset:4
	s_waitcnt vmcnt(7)
	buffer_store_dword v8, v0, s[0:3], 0 offen
.LBB56_378:
	s_or_b64 exec, exec, s[4:5]
	v_pk_mov_b32 v[0:1], s[10:11], s[10:11] op_sel:[0,1]
	flat_load_dword v0, v[0:1] offset:176
	s_waitcnt vmcnt(0) lgkmcnt(0)
	v_add_u32_e32 v0, -1, v0
	v_cmp_ne_u32_e32 vcc, 44, v0
	s_and_saveexec_b64 s[4:5], vcc
	s_cbranch_execz .LBB56_380
; %bb.379:
	v_mov_b32_e32 v1, 16
	v_accvgpr_read_b32 v9, a126
	v_lshl_add_u32 v0, v0, 4, v1
	buffer_load_dword v1, v9, s[0:3], 0 offen offset:4
	buffer_load_dword v2, v9, s[0:3], 0 offen offset:8
	buffer_load_dword v3, v9, s[0:3], 0 offen offset:12
	buffer_load_dword v4, v0, s[0:3], 0 offen
	buffer_load_dword v5, v0, s[0:3], 0 offen offset:4
	buffer_load_dword v6, v0, s[0:3], 0 offen offset:8
	buffer_load_dword v7, v0, s[0:3], 0 offen offset:12
	buffer_load_dword v8, v9, s[0:3], 0 offen
	s_waitcnt vmcnt(4)
	buffer_store_dword v4, v9, s[0:3], 0 offen
	s_waitcnt vmcnt(4)
	buffer_store_dword v5, v9, s[0:3], 0 offen offset:4
	s_waitcnt vmcnt(4)
	buffer_store_dword v6, v9, s[0:3], 0 offen offset:8
	s_waitcnt vmcnt(4)
	buffer_store_dword v7, v9, s[0:3], 0 offen offset:12
	buffer_store_dword v3, v0, s[0:3], 0 offen offset:12
	buffer_store_dword v2, v0, s[0:3], 0 offen offset:8
	buffer_store_dword v1, v0, s[0:3], 0 offen offset:4
	s_waitcnt vmcnt(7)
	buffer_store_dword v8, v0, s[0:3], 0 offen
.LBB56_380:
	s_or_b64 exec, exec, s[4:5]
	v_pk_mov_b32 v[0:1], s[10:11], s[10:11] op_sel:[0,1]
	flat_load_dword v0, v[0:1] offset:172
	s_waitcnt vmcnt(0) lgkmcnt(0)
	v_add_u32_e32 v0, -1, v0
	v_cmp_ne_u32_e32 vcc, 43, v0
	s_and_saveexec_b64 s[4:5], vcc
	s_cbranch_execz .LBB56_382
; %bb.381:
	v_mov_b32_e32 v1, 16
	v_accvgpr_read_b32 v9, a127
	v_lshl_add_u32 v0, v0, 4, v1
	buffer_load_dword v1, v9, s[0:3], 0 offen offset:4
	buffer_load_dword v2, v9, s[0:3], 0 offen offset:8
	buffer_load_dword v3, v9, s[0:3], 0 offen offset:12
	buffer_load_dword v4, v0, s[0:3], 0 offen
	buffer_load_dword v5, v0, s[0:3], 0 offen offset:4
	buffer_load_dword v6, v0, s[0:3], 0 offen offset:8
	buffer_load_dword v7, v0, s[0:3], 0 offen offset:12
	buffer_load_dword v8, v9, s[0:3], 0 offen
	s_waitcnt vmcnt(4)
	buffer_store_dword v4, v9, s[0:3], 0 offen
	s_waitcnt vmcnt(4)
	buffer_store_dword v5, v9, s[0:3], 0 offen offset:4
	s_waitcnt vmcnt(4)
	buffer_store_dword v6, v9, s[0:3], 0 offen offset:8
	s_waitcnt vmcnt(4)
	buffer_store_dword v7, v9, s[0:3], 0 offen offset:12
	buffer_store_dword v3, v0, s[0:3], 0 offen offset:12
	buffer_store_dword v2, v0, s[0:3], 0 offen offset:8
	buffer_store_dword v1, v0, s[0:3], 0 offen offset:4
	s_waitcnt vmcnt(7)
	buffer_store_dword v8, v0, s[0:3], 0 offen
.LBB56_382:
	s_or_b64 exec, exec, s[4:5]
	v_pk_mov_b32 v[0:1], s[10:11], s[10:11] op_sel:[0,1]
	flat_load_dword v0, v[0:1] offset:168
	s_waitcnt vmcnt(0) lgkmcnt(0)
	v_add_u32_e32 v0, -1, v0
	v_cmp_ne_u32_e32 vcc, 42, v0
	s_and_saveexec_b64 s[4:5], vcc
	s_cbranch_execz .LBB56_384
; %bb.383:
	v_mov_b32_e32 v1, 16
	v_accvgpr_read_b32 v9, a128
	v_lshl_add_u32 v0, v0, 4, v1
	buffer_load_dword v1, v9, s[0:3], 0 offen offset:4
	buffer_load_dword v2, v9, s[0:3], 0 offen offset:8
	buffer_load_dword v3, v9, s[0:3], 0 offen offset:12
	buffer_load_dword v4, v0, s[0:3], 0 offen
	buffer_load_dword v5, v0, s[0:3], 0 offen offset:4
	buffer_load_dword v6, v0, s[0:3], 0 offen offset:8
	buffer_load_dword v7, v0, s[0:3], 0 offen offset:12
	buffer_load_dword v8, v9, s[0:3], 0 offen
	s_waitcnt vmcnt(4)
	buffer_store_dword v4, v9, s[0:3], 0 offen
	s_waitcnt vmcnt(4)
	buffer_store_dword v5, v9, s[0:3], 0 offen offset:4
	s_waitcnt vmcnt(4)
	buffer_store_dword v6, v9, s[0:3], 0 offen offset:8
	s_waitcnt vmcnt(4)
	buffer_store_dword v7, v9, s[0:3], 0 offen offset:12
	buffer_store_dword v3, v0, s[0:3], 0 offen offset:12
	buffer_store_dword v2, v0, s[0:3], 0 offen offset:8
	buffer_store_dword v1, v0, s[0:3], 0 offen offset:4
	s_waitcnt vmcnt(7)
	buffer_store_dword v8, v0, s[0:3], 0 offen
.LBB56_384:
	s_or_b64 exec, exec, s[4:5]
	v_pk_mov_b32 v[0:1], s[10:11], s[10:11] op_sel:[0,1]
	flat_load_dword v0, v[0:1] offset:164
	s_waitcnt vmcnt(0) lgkmcnt(0)
	v_add_u32_e32 v0, -1, v0
	v_cmp_ne_u32_e32 vcc, 41, v0
	s_and_saveexec_b64 s[4:5], vcc
	s_cbranch_execz .LBB56_386
; %bb.385:
	v_mov_b32_e32 v1, 16
	v_accvgpr_read_b32 v9, a129
	v_lshl_add_u32 v0, v0, 4, v1
	buffer_load_dword v1, v9, s[0:3], 0 offen offset:4
	buffer_load_dword v2, v9, s[0:3], 0 offen offset:8
	buffer_load_dword v3, v9, s[0:3], 0 offen offset:12
	buffer_load_dword v4, v0, s[0:3], 0 offen
	buffer_load_dword v5, v0, s[0:3], 0 offen offset:4
	buffer_load_dword v6, v0, s[0:3], 0 offen offset:8
	buffer_load_dword v7, v0, s[0:3], 0 offen offset:12
	buffer_load_dword v8, v9, s[0:3], 0 offen
	s_waitcnt vmcnt(4)
	buffer_store_dword v4, v9, s[0:3], 0 offen
	s_waitcnt vmcnt(4)
	buffer_store_dword v5, v9, s[0:3], 0 offen offset:4
	s_waitcnt vmcnt(4)
	buffer_store_dword v6, v9, s[0:3], 0 offen offset:8
	s_waitcnt vmcnt(4)
	buffer_store_dword v7, v9, s[0:3], 0 offen offset:12
	buffer_store_dword v3, v0, s[0:3], 0 offen offset:12
	buffer_store_dword v2, v0, s[0:3], 0 offen offset:8
	buffer_store_dword v1, v0, s[0:3], 0 offen offset:4
	s_waitcnt vmcnt(7)
	buffer_store_dword v8, v0, s[0:3], 0 offen
.LBB56_386:
	s_or_b64 exec, exec, s[4:5]
	v_pk_mov_b32 v[0:1], s[10:11], s[10:11] op_sel:[0,1]
	flat_load_dword v0, v[0:1] offset:160
	s_waitcnt vmcnt(0) lgkmcnt(0)
	v_add_u32_e32 v0, -1, v0
	v_cmp_ne_u32_e32 vcc, 40, v0
	s_and_saveexec_b64 s[4:5], vcc
	s_cbranch_execz .LBB56_388
; %bb.387:
	v_mov_b32_e32 v1, 16
	v_accvgpr_read_b32 v9, a130
	v_lshl_add_u32 v0, v0, 4, v1
	buffer_load_dword v1, v9, s[0:3], 0 offen offset:4
	buffer_load_dword v2, v9, s[0:3], 0 offen offset:8
	buffer_load_dword v3, v9, s[0:3], 0 offen offset:12
	buffer_load_dword v4, v0, s[0:3], 0 offen
	buffer_load_dword v5, v0, s[0:3], 0 offen offset:4
	buffer_load_dword v6, v0, s[0:3], 0 offen offset:8
	buffer_load_dword v7, v0, s[0:3], 0 offen offset:12
	buffer_load_dword v8, v9, s[0:3], 0 offen
	s_waitcnt vmcnt(4)
	buffer_store_dword v4, v9, s[0:3], 0 offen
	s_waitcnt vmcnt(4)
	buffer_store_dword v5, v9, s[0:3], 0 offen offset:4
	s_waitcnt vmcnt(4)
	buffer_store_dword v6, v9, s[0:3], 0 offen offset:8
	s_waitcnt vmcnt(4)
	buffer_store_dword v7, v9, s[0:3], 0 offen offset:12
	buffer_store_dword v3, v0, s[0:3], 0 offen offset:12
	buffer_store_dword v2, v0, s[0:3], 0 offen offset:8
	buffer_store_dword v1, v0, s[0:3], 0 offen offset:4
	s_waitcnt vmcnt(7)
	buffer_store_dword v8, v0, s[0:3], 0 offen
.LBB56_388:
	s_or_b64 exec, exec, s[4:5]
	v_pk_mov_b32 v[0:1], s[10:11], s[10:11] op_sel:[0,1]
	flat_load_dword v0, v[0:1] offset:156
	s_waitcnt vmcnt(0) lgkmcnt(0)
	v_add_u32_e32 v0, -1, v0
	v_cmp_ne_u32_e32 vcc, 39, v0
	s_and_saveexec_b64 s[4:5], vcc
	s_cbranch_execz .LBB56_390
; %bb.389:
	v_mov_b32_e32 v1, 16
	v_accvgpr_read_b32 v9, a131
	v_lshl_add_u32 v0, v0, 4, v1
	buffer_load_dword v1, v9, s[0:3], 0 offen offset:4
	buffer_load_dword v2, v9, s[0:3], 0 offen offset:8
	buffer_load_dword v3, v9, s[0:3], 0 offen offset:12
	buffer_load_dword v4, v0, s[0:3], 0 offen
	buffer_load_dword v5, v0, s[0:3], 0 offen offset:4
	buffer_load_dword v6, v0, s[0:3], 0 offen offset:8
	buffer_load_dword v7, v0, s[0:3], 0 offen offset:12
	buffer_load_dword v8, v9, s[0:3], 0 offen
	s_waitcnt vmcnt(4)
	buffer_store_dword v4, v9, s[0:3], 0 offen
	s_waitcnt vmcnt(4)
	buffer_store_dword v5, v9, s[0:3], 0 offen offset:4
	s_waitcnt vmcnt(4)
	buffer_store_dword v6, v9, s[0:3], 0 offen offset:8
	s_waitcnt vmcnt(4)
	buffer_store_dword v7, v9, s[0:3], 0 offen offset:12
	buffer_store_dword v3, v0, s[0:3], 0 offen offset:12
	buffer_store_dword v2, v0, s[0:3], 0 offen offset:8
	buffer_store_dword v1, v0, s[0:3], 0 offen offset:4
	s_waitcnt vmcnt(7)
	buffer_store_dword v8, v0, s[0:3], 0 offen
.LBB56_390:
	s_or_b64 exec, exec, s[4:5]
	v_pk_mov_b32 v[0:1], s[10:11], s[10:11] op_sel:[0,1]
	flat_load_dword v0, v[0:1] offset:152
	s_waitcnt vmcnt(0) lgkmcnt(0)
	v_add_u32_e32 v0, -1, v0
	v_cmp_ne_u32_e32 vcc, 38, v0
	s_and_saveexec_b64 s[4:5], vcc
	s_cbranch_execz .LBB56_392
; %bb.391:
	v_mov_b32_e32 v1, 16
	v_accvgpr_read_b32 v9, a132
	v_lshl_add_u32 v0, v0, 4, v1
	buffer_load_dword v1, v9, s[0:3], 0 offen offset:4
	buffer_load_dword v2, v9, s[0:3], 0 offen offset:8
	buffer_load_dword v3, v9, s[0:3], 0 offen offset:12
	buffer_load_dword v4, v0, s[0:3], 0 offen
	buffer_load_dword v5, v0, s[0:3], 0 offen offset:4
	buffer_load_dword v6, v0, s[0:3], 0 offen offset:8
	buffer_load_dword v7, v0, s[0:3], 0 offen offset:12
	buffer_load_dword v8, v9, s[0:3], 0 offen
	s_waitcnt vmcnt(4)
	buffer_store_dword v4, v9, s[0:3], 0 offen
	s_waitcnt vmcnt(4)
	buffer_store_dword v5, v9, s[0:3], 0 offen offset:4
	s_waitcnt vmcnt(4)
	buffer_store_dword v6, v9, s[0:3], 0 offen offset:8
	s_waitcnt vmcnt(4)
	buffer_store_dword v7, v9, s[0:3], 0 offen offset:12
	buffer_store_dword v3, v0, s[0:3], 0 offen offset:12
	buffer_store_dword v2, v0, s[0:3], 0 offen offset:8
	buffer_store_dword v1, v0, s[0:3], 0 offen offset:4
	s_waitcnt vmcnt(7)
	buffer_store_dword v8, v0, s[0:3], 0 offen
.LBB56_392:
	s_or_b64 exec, exec, s[4:5]
	v_pk_mov_b32 v[0:1], s[10:11], s[10:11] op_sel:[0,1]
	flat_load_dword v0, v[0:1] offset:148
	s_waitcnt vmcnt(0) lgkmcnt(0)
	v_add_u32_e32 v0, -1, v0
	v_cmp_ne_u32_e32 vcc, 37, v0
	s_and_saveexec_b64 s[4:5], vcc
	s_cbranch_execz .LBB56_394
; %bb.393:
	v_mov_b32_e32 v1, 16
	v_accvgpr_read_b32 v9, a133
	v_lshl_add_u32 v0, v0, 4, v1
	buffer_load_dword v1, v9, s[0:3], 0 offen offset:4
	buffer_load_dword v2, v9, s[0:3], 0 offen offset:8
	buffer_load_dword v3, v9, s[0:3], 0 offen offset:12
	buffer_load_dword v4, v0, s[0:3], 0 offen
	buffer_load_dword v5, v0, s[0:3], 0 offen offset:4
	buffer_load_dword v6, v0, s[0:3], 0 offen offset:8
	buffer_load_dword v7, v0, s[0:3], 0 offen offset:12
	buffer_load_dword v8, v9, s[0:3], 0 offen
	s_waitcnt vmcnt(4)
	buffer_store_dword v4, v9, s[0:3], 0 offen
	s_waitcnt vmcnt(4)
	buffer_store_dword v5, v9, s[0:3], 0 offen offset:4
	s_waitcnt vmcnt(4)
	buffer_store_dword v6, v9, s[0:3], 0 offen offset:8
	s_waitcnt vmcnt(4)
	buffer_store_dword v7, v9, s[0:3], 0 offen offset:12
	buffer_store_dword v3, v0, s[0:3], 0 offen offset:12
	buffer_store_dword v2, v0, s[0:3], 0 offen offset:8
	buffer_store_dword v1, v0, s[0:3], 0 offen offset:4
	s_waitcnt vmcnt(7)
	buffer_store_dword v8, v0, s[0:3], 0 offen
.LBB56_394:
	s_or_b64 exec, exec, s[4:5]
	v_pk_mov_b32 v[0:1], s[10:11], s[10:11] op_sel:[0,1]
	flat_load_dword v0, v[0:1] offset:144
	s_waitcnt vmcnt(0) lgkmcnt(0)
	v_add_u32_e32 v0, -1, v0
	v_cmp_ne_u32_e32 vcc, 36, v0
	s_and_saveexec_b64 s[4:5], vcc
	s_cbranch_execz .LBB56_396
; %bb.395:
	v_mov_b32_e32 v1, 16
	v_accvgpr_read_b32 v9, a134
	v_lshl_add_u32 v0, v0, 4, v1
	buffer_load_dword v1, v9, s[0:3], 0 offen offset:4
	buffer_load_dword v2, v9, s[0:3], 0 offen offset:8
	buffer_load_dword v3, v9, s[0:3], 0 offen offset:12
	buffer_load_dword v4, v0, s[0:3], 0 offen
	buffer_load_dword v5, v0, s[0:3], 0 offen offset:4
	buffer_load_dword v6, v0, s[0:3], 0 offen offset:8
	buffer_load_dword v7, v0, s[0:3], 0 offen offset:12
	buffer_load_dword v8, v9, s[0:3], 0 offen
	s_waitcnt vmcnt(4)
	buffer_store_dword v4, v9, s[0:3], 0 offen
	s_waitcnt vmcnt(4)
	buffer_store_dword v5, v9, s[0:3], 0 offen offset:4
	s_waitcnt vmcnt(4)
	buffer_store_dword v6, v9, s[0:3], 0 offen offset:8
	s_waitcnt vmcnt(4)
	buffer_store_dword v7, v9, s[0:3], 0 offen offset:12
	buffer_store_dword v3, v0, s[0:3], 0 offen offset:12
	buffer_store_dword v2, v0, s[0:3], 0 offen offset:8
	buffer_store_dword v1, v0, s[0:3], 0 offen offset:4
	s_waitcnt vmcnt(7)
	buffer_store_dword v8, v0, s[0:3], 0 offen
.LBB56_396:
	s_or_b64 exec, exec, s[4:5]
	v_pk_mov_b32 v[0:1], s[10:11], s[10:11] op_sel:[0,1]
	flat_load_dword v0, v[0:1] offset:140
	s_waitcnt vmcnt(0) lgkmcnt(0)
	v_add_u32_e32 v0, -1, v0
	v_cmp_ne_u32_e32 vcc, 35, v0
	s_and_saveexec_b64 s[4:5], vcc
	s_cbranch_execz .LBB56_398
; %bb.397:
	v_mov_b32_e32 v1, 16
	v_accvgpr_read_b32 v9, a135
	v_lshl_add_u32 v0, v0, 4, v1
	buffer_load_dword v1, v9, s[0:3], 0 offen offset:4
	buffer_load_dword v2, v9, s[0:3], 0 offen offset:8
	buffer_load_dword v3, v9, s[0:3], 0 offen offset:12
	buffer_load_dword v4, v0, s[0:3], 0 offen
	buffer_load_dword v5, v0, s[0:3], 0 offen offset:4
	buffer_load_dword v6, v0, s[0:3], 0 offen offset:8
	buffer_load_dword v7, v0, s[0:3], 0 offen offset:12
	buffer_load_dword v8, v9, s[0:3], 0 offen
	s_waitcnt vmcnt(4)
	buffer_store_dword v4, v9, s[0:3], 0 offen
	s_waitcnt vmcnt(4)
	buffer_store_dword v5, v9, s[0:3], 0 offen offset:4
	s_waitcnt vmcnt(4)
	buffer_store_dword v6, v9, s[0:3], 0 offen offset:8
	s_waitcnt vmcnt(4)
	buffer_store_dword v7, v9, s[0:3], 0 offen offset:12
	buffer_store_dword v3, v0, s[0:3], 0 offen offset:12
	buffer_store_dword v2, v0, s[0:3], 0 offen offset:8
	buffer_store_dword v1, v0, s[0:3], 0 offen offset:4
	s_waitcnt vmcnt(7)
	buffer_store_dword v8, v0, s[0:3], 0 offen
.LBB56_398:
	s_or_b64 exec, exec, s[4:5]
	v_pk_mov_b32 v[0:1], s[10:11], s[10:11] op_sel:[0,1]
	flat_load_dword v0, v[0:1] offset:136
	s_waitcnt vmcnt(0) lgkmcnt(0)
	v_add_u32_e32 v0, -1, v0
	v_cmp_ne_u32_e32 vcc, 34, v0
	s_and_saveexec_b64 s[4:5], vcc
	s_cbranch_execz .LBB56_400
; %bb.399:
	v_mov_b32_e32 v1, 16
	v_accvgpr_read_b32 v9, a136
	v_lshl_add_u32 v0, v0, 4, v1
	buffer_load_dword v1, v9, s[0:3], 0 offen offset:4
	buffer_load_dword v2, v9, s[0:3], 0 offen offset:8
	buffer_load_dword v3, v9, s[0:3], 0 offen offset:12
	buffer_load_dword v4, v0, s[0:3], 0 offen
	buffer_load_dword v5, v0, s[0:3], 0 offen offset:4
	buffer_load_dword v6, v0, s[0:3], 0 offen offset:8
	buffer_load_dword v7, v0, s[0:3], 0 offen offset:12
	buffer_load_dword v8, v9, s[0:3], 0 offen
	s_waitcnt vmcnt(4)
	buffer_store_dword v4, v9, s[0:3], 0 offen
	s_waitcnt vmcnt(4)
	buffer_store_dword v5, v9, s[0:3], 0 offen offset:4
	s_waitcnt vmcnt(4)
	buffer_store_dword v6, v9, s[0:3], 0 offen offset:8
	s_waitcnt vmcnt(4)
	buffer_store_dword v7, v9, s[0:3], 0 offen offset:12
	buffer_store_dword v3, v0, s[0:3], 0 offen offset:12
	buffer_store_dword v2, v0, s[0:3], 0 offen offset:8
	buffer_store_dword v1, v0, s[0:3], 0 offen offset:4
	s_waitcnt vmcnt(7)
	buffer_store_dword v8, v0, s[0:3], 0 offen
.LBB56_400:
	s_or_b64 exec, exec, s[4:5]
	v_pk_mov_b32 v[0:1], s[10:11], s[10:11] op_sel:[0,1]
	flat_load_dword v0, v[0:1] offset:132
	s_waitcnt vmcnt(0) lgkmcnt(0)
	v_add_u32_e32 v0, -1, v0
	v_cmp_ne_u32_e32 vcc, 33, v0
	s_and_saveexec_b64 s[4:5], vcc
	s_cbranch_execz .LBB56_402
; %bb.401:
	v_mov_b32_e32 v1, 16
	v_accvgpr_read_b32 v9, a137
	v_lshl_add_u32 v0, v0, 4, v1
	buffer_load_dword v1, v9, s[0:3], 0 offen offset:4
	buffer_load_dword v2, v9, s[0:3], 0 offen offset:8
	buffer_load_dword v3, v9, s[0:3], 0 offen offset:12
	buffer_load_dword v4, v0, s[0:3], 0 offen
	buffer_load_dword v5, v0, s[0:3], 0 offen offset:4
	buffer_load_dword v6, v0, s[0:3], 0 offen offset:8
	buffer_load_dword v7, v0, s[0:3], 0 offen offset:12
	buffer_load_dword v8, v9, s[0:3], 0 offen
	s_waitcnt vmcnt(4)
	buffer_store_dword v4, v9, s[0:3], 0 offen
	s_waitcnt vmcnt(4)
	buffer_store_dword v5, v9, s[0:3], 0 offen offset:4
	s_waitcnt vmcnt(4)
	buffer_store_dword v6, v9, s[0:3], 0 offen offset:8
	s_waitcnt vmcnt(4)
	buffer_store_dword v7, v9, s[0:3], 0 offen offset:12
	buffer_store_dword v3, v0, s[0:3], 0 offen offset:12
	buffer_store_dword v2, v0, s[0:3], 0 offen offset:8
	buffer_store_dword v1, v0, s[0:3], 0 offen offset:4
	s_waitcnt vmcnt(7)
	buffer_store_dword v8, v0, s[0:3], 0 offen
.LBB56_402:
	s_or_b64 exec, exec, s[4:5]
	v_pk_mov_b32 v[0:1], s[10:11], s[10:11] op_sel:[0,1]
	flat_load_dword v0, v[0:1] offset:128
	s_waitcnt vmcnt(0) lgkmcnt(0)
	v_add_u32_e32 v0, -1, v0
	v_cmp_ne_u32_e32 vcc, 32, v0
	s_and_saveexec_b64 s[4:5], vcc
	s_cbranch_execz .LBB56_404
; %bb.403:
	v_mov_b32_e32 v1, 16
	v_accvgpr_read_b32 v9, a138
	v_lshl_add_u32 v0, v0, 4, v1
	buffer_load_dword v1, v9, s[0:3], 0 offen offset:4
	buffer_load_dword v2, v9, s[0:3], 0 offen offset:8
	buffer_load_dword v3, v9, s[0:3], 0 offen offset:12
	buffer_load_dword v4, v0, s[0:3], 0 offen
	buffer_load_dword v5, v0, s[0:3], 0 offen offset:4
	buffer_load_dword v6, v0, s[0:3], 0 offen offset:8
	buffer_load_dword v7, v0, s[0:3], 0 offen offset:12
	buffer_load_dword v8, v9, s[0:3], 0 offen
	s_waitcnt vmcnt(4)
	buffer_store_dword v4, v9, s[0:3], 0 offen
	s_waitcnt vmcnt(4)
	buffer_store_dword v5, v9, s[0:3], 0 offen offset:4
	s_waitcnt vmcnt(4)
	buffer_store_dword v6, v9, s[0:3], 0 offen offset:8
	s_waitcnt vmcnt(4)
	buffer_store_dword v7, v9, s[0:3], 0 offen offset:12
	buffer_store_dword v3, v0, s[0:3], 0 offen offset:12
	buffer_store_dword v2, v0, s[0:3], 0 offen offset:8
	buffer_store_dword v1, v0, s[0:3], 0 offen offset:4
	s_waitcnt vmcnt(7)
	buffer_store_dword v8, v0, s[0:3], 0 offen
.LBB56_404:
	s_or_b64 exec, exec, s[4:5]
	v_pk_mov_b32 v[0:1], s[10:11], s[10:11] op_sel:[0,1]
	flat_load_dword v0, v[0:1] offset:124
	s_waitcnt vmcnt(0) lgkmcnt(0)
	v_add_u32_e32 v0, -1, v0
	v_cmp_ne_u32_e32 vcc, 31, v0
	s_and_saveexec_b64 s[4:5], vcc
	s_cbranch_execz .LBB56_406
; %bb.405:
	v_mov_b32_e32 v1, 16
	v_accvgpr_read_b32 v9, a139
	v_lshl_add_u32 v0, v0, 4, v1
	buffer_load_dword v1, v9, s[0:3], 0 offen offset:4
	buffer_load_dword v2, v9, s[0:3], 0 offen offset:8
	buffer_load_dword v3, v9, s[0:3], 0 offen offset:12
	buffer_load_dword v4, v0, s[0:3], 0 offen
	buffer_load_dword v5, v0, s[0:3], 0 offen offset:4
	buffer_load_dword v6, v0, s[0:3], 0 offen offset:8
	buffer_load_dword v7, v0, s[0:3], 0 offen offset:12
	buffer_load_dword v8, v9, s[0:3], 0 offen
	s_waitcnt vmcnt(4)
	buffer_store_dword v4, v9, s[0:3], 0 offen
	s_waitcnt vmcnt(4)
	buffer_store_dword v5, v9, s[0:3], 0 offen offset:4
	s_waitcnt vmcnt(4)
	buffer_store_dword v6, v9, s[0:3], 0 offen offset:8
	s_waitcnt vmcnt(4)
	buffer_store_dword v7, v9, s[0:3], 0 offen offset:12
	buffer_store_dword v3, v0, s[0:3], 0 offen offset:12
	buffer_store_dword v2, v0, s[0:3], 0 offen offset:8
	buffer_store_dword v1, v0, s[0:3], 0 offen offset:4
	s_waitcnt vmcnt(7)
	buffer_store_dword v8, v0, s[0:3], 0 offen
.LBB56_406:
	s_or_b64 exec, exec, s[4:5]
	v_pk_mov_b32 v[0:1], s[10:11], s[10:11] op_sel:[0,1]
	flat_load_dword v0, v[0:1] offset:120
	s_waitcnt vmcnt(0) lgkmcnt(0)
	v_add_u32_e32 v0, -1, v0
	v_cmp_ne_u32_e32 vcc, 30, v0
	s_and_saveexec_b64 s[4:5], vcc
	s_cbranch_execz .LBB56_408
; %bb.407:
	v_mov_b32_e32 v1, 16
	v_accvgpr_read_b32 v9, a140
	v_lshl_add_u32 v0, v0, 4, v1
	buffer_load_dword v1, v9, s[0:3], 0 offen offset:4
	buffer_load_dword v2, v9, s[0:3], 0 offen offset:8
	buffer_load_dword v3, v9, s[0:3], 0 offen offset:12
	buffer_load_dword v4, v0, s[0:3], 0 offen
	buffer_load_dword v5, v0, s[0:3], 0 offen offset:4
	buffer_load_dword v6, v0, s[0:3], 0 offen offset:8
	buffer_load_dword v7, v0, s[0:3], 0 offen offset:12
	buffer_load_dword v8, v9, s[0:3], 0 offen
	s_waitcnt vmcnt(4)
	buffer_store_dword v4, v9, s[0:3], 0 offen
	s_waitcnt vmcnt(4)
	buffer_store_dword v5, v9, s[0:3], 0 offen offset:4
	s_waitcnt vmcnt(4)
	buffer_store_dword v6, v9, s[0:3], 0 offen offset:8
	s_waitcnt vmcnt(4)
	buffer_store_dword v7, v9, s[0:3], 0 offen offset:12
	buffer_store_dword v3, v0, s[0:3], 0 offen offset:12
	buffer_store_dword v2, v0, s[0:3], 0 offen offset:8
	buffer_store_dword v1, v0, s[0:3], 0 offen offset:4
	s_waitcnt vmcnt(7)
	buffer_store_dword v8, v0, s[0:3], 0 offen
.LBB56_408:
	s_or_b64 exec, exec, s[4:5]
	v_pk_mov_b32 v[0:1], s[10:11], s[10:11] op_sel:[0,1]
	flat_load_dword v0, v[0:1] offset:116
	s_waitcnt vmcnt(0) lgkmcnt(0)
	v_add_u32_e32 v0, -1, v0
	v_cmp_ne_u32_e32 vcc, 29, v0
	s_and_saveexec_b64 s[4:5], vcc
	s_cbranch_execz .LBB56_410
; %bb.409:
	v_mov_b32_e32 v1, 16
	v_accvgpr_read_b32 v9, a141
	v_lshl_add_u32 v0, v0, 4, v1
	buffer_load_dword v1, v9, s[0:3], 0 offen offset:4
	buffer_load_dword v2, v9, s[0:3], 0 offen offset:8
	buffer_load_dword v3, v9, s[0:3], 0 offen offset:12
	buffer_load_dword v4, v0, s[0:3], 0 offen
	buffer_load_dword v5, v0, s[0:3], 0 offen offset:4
	buffer_load_dword v6, v0, s[0:3], 0 offen offset:8
	buffer_load_dword v7, v0, s[0:3], 0 offen offset:12
	buffer_load_dword v8, v9, s[0:3], 0 offen
	s_waitcnt vmcnt(4)
	buffer_store_dword v4, v9, s[0:3], 0 offen
	s_waitcnt vmcnt(4)
	buffer_store_dword v5, v9, s[0:3], 0 offen offset:4
	s_waitcnt vmcnt(4)
	buffer_store_dword v6, v9, s[0:3], 0 offen offset:8
	s_waitcnt vmcnt(4)
	buffer_store_dword v7, v9, s[0:3], 0 offen offset:12
	buffer_store_dword v3, v0, s[0:3], 0 offen offset:12
	buffer_store_dword v2, v0, s[0:3], 0 offen offset:8
	buffer_store_dword v1, v0, s[0:3], 0 offen offset:4
	s_waitcnt vmcnt(7)
	buffer_store_dword v8, v0, s[0:3], 0 offen
.LBB56_410:
	s_or_b64 exec, exec, s[4:5]
	v_pk_mov_b32 v[0:1], s[10:11], s[10:11] op_sel:[0,1]
	flat_load_dword v0, v[0:1] offset:112
	s_waitcnt vmcnt(0) lgkmcnt(0)
	v_add_u32_e32 v0, -1, v0
	v_cmp_ne_u32_e32 vcc, 28, v0
	s_and_saveexec_b64 s[4:5], vcc
	s_cbranch_execz .LBB56_412
; %bb.411:
	v_mov_b32_e32 v1, 16
	v_accvgpr_read_b32 v9, a142
	v_lshl_add_u32 v0, v0, 4, v1
	buffer_load_dword v1, v9, s[0:3], 0 offen offset:4
	buffer_load_dword v2, v9, s[0:3], 0 offen offset:8
	buffer_load_dword v3, v9, s[0:3], 0 offen offset:12
	buffer_load_dword v4, v0, s[0:3], 0 offen
	buffer_load_dword v5, v0, s[0:3], 0 offen offset:4
	buffer_load_dword v6, v0, s[0:3], 0 offen offset:8
	buffer_load_dword v7, v0, s[0:3], 0 offen offset:12
	buffer_load_dword v8, v9, s[0:3], 0 offen
	s_waitcnt vmcnt(4)
	buffer_store_dword v4, v9, s[0:3], 0 offen
	s_waitcnt vmcnt(4)
	buffer_store_dword v5, v9, s[0:3], 0 offen offset:4
	s_waitcnt vmcnt(4)
	buffer_store_dword v6, v9, s[0:3], 0 offen offset:8
	s_waitcnt vmcnt(4)
	buffer_store_dword v7, v9, s[0:3], 0 offen offset:12
	buffer_store_dword v3, v0, s[0:3], 0 offen offset:12
	buffer_store_dword v2, v0, s[0:3], 0 offen offset:8
	buffer_store_dword v1, v0, s[0:3], 0 offen offset:4
	s_waitcnt vmcnt(7)
	buffer_store_dword v8, v0, s[0:3], 0 offen
.LBB56_412:
	s_or_b64 exec, exec, s[4:5]
	v_pk_mov_b32 v[0:1], s[10:11], s[10:11] op_sel:[0,1]
	flat_load_dword v0, v[0:1] offset:108
	s_waitcnt vmcnt(0) lgkmcnt(0)
	v_add_u32_e32 v0, -1, v0
	v_cmp_ne_u32_e32 vcc, 27, v0
	s_and_saveexec_b64 s[4:5], vcc
	s_cbranch_execz .LBB56_414
; %bb.413:
	v_mov_b32_e32 v1, 16
	v_accvgpr_read_b32 v9, a143
	v_lshl_add_u32 v0, v0, 4, v1
	buffer_load_dword v1, v9, s[0:3], 0 offen offset:4
	buffer_load_dword v2, v9, s[0:3], 0 offen offset:8
	buffer_load_dword v3, v9, s[0:3], 0 offen offset:12
	buffer_load_dword v4, v0, s[0:3], 0 offen
	buffer_load_dword v5, v0, s[0:3], 0 offen offset:4
	buffer_load_dword v6, v0, s[0:3], 0 offen offset:8
	buffer_load_dword v7, v0, s[0:3], 0 offen offset:12
	buffer_load_dword v8, v9, s[0:3], 0 offen
	s_waitcnt vmcnt(4)
	buffer_store_dword v4, v9, s[0:3], 0 offen
	s_waitcnt vmcnt(4)
	buffer_store_dword v5, v9, s[0:3], 0 offen offset:4
	s_waitcnt vmcnt(4)
	buffer_store_dword v6, v9, s[0:3], 0 offen offset:8
	s_waitcnt vmcnt(4)
	buffer_store_dword v7, v9, s[0:3], 0 offen offset:12
	buffer_store_dword v3, v0, s[0:3], 0 offen offset:12
	buffer_store_dword v2, v0, s[0:3], 0 offen offset:8
	buffer_store_dword v1, v0, s[0:3], 0 offen offset:4
	s_waitcnt vmcnt(7)
	buffer_store_dword v8, v0, s[0:3], 0 offen
.LBB56_414:
	s_or_b64 exec, exec, s[4:5]
	v_pk_mov_b32 v[0:1], s[10:11], s[10:11] op_sel:[0,1]
	flat_load_dword v0, v[0:1] offset:104
	s_waitcnt vmcnt(0) lgkmcnt(0)
	v_add_u32_e32 v0, -1, v0
	v_cmp_ne_u32_e32 vcc, 26, v0
	s_and_saveexec_b64 s[4:5], vcc
	s_cbranch_execz .LBB56_416
; %bb.415:
	v_mov_b32_e32 v1, 16
	v_accvgpr_read_b32 v9, a144
	v_lshl_add_u32 v0, v0, 4, v1
	buffer_load_dword v1, v9, s[0:3], 0 offen offset:4
	buffer_load_dword v2, v9, s[0:3], 0 offen offset:8
	buffer_load_dword v3, v9, s[0:3], 0 offen offset:12
	buffer_load_dword v4, v0, s[0:3], 0 offen
	buffer_load_dword v5, v0, s[0:3], 0 offen offset:4
	buffer_load_dword v6, v0, s[0:3], 0 offen offset:8
	buffer_load_dword v7, v0, s[0:3], 0 offen offset:12
	buffer_load_dword v8, v9, s[0:3], 0 offen
	s_waitcnt vmcnt(4)
	buffer_store_dword v4, v9, s[0:3], 0 offen
	s_waitcnt vmcnt(4)
	buffer_store_dword v5, v9, s[0:3], 0 offen offset:4
	s_waitcnt vmcnt(4)
	buffer_store_dword v6, v9, s[0:3], 0 offen offset:8
	s_waitcnt vmcnt(4)
	buffer_store_dword v7, v9, s[0:3], 0 offen offset:12
	buffer_store_dword v3, v0, s[0:3], 0 offen offset:12
	buffer_store_dword v2, v0, s[0:3], 0 offen offset:8
	buffer_store_dword v1, v0, s[0:3], 0 offen offset:4
	s_waitcnt vmcnt(7)
	buffer_store_dword v8, v0, s[0:3], 0 offen
.LBB56_416:
	s_or_b64 exec, exec, s[4:5]
	v_pk_mov_b32 v[0:1], s[10:11], s[10:11] op_sel:[0,1]
	flat_load_dword v0, v[0:1] offset:100
	s_waitcnt vmcnt(0) lgkmcnt(0)
	v_add_u32_e32 v0, -1, v0
	v_cmp_ne_u32_e32 vcc, 25, v0
	s_and_saveexec_b64 s[4:5], vcc
	s_cbranch_execz .LBB56_418
; %bb.417:
	v_mov_b32_e32 v1, 16
	v_accvgpr_read_b32 v9, a145
	v_lshl_add_u32 v0, v0, 4, v1
	buffer_load_dword v1, v9, s[0:3], 0 offen offset:4
	buffer_load_dword v2, v9, s[0:3], 0 offen offset:8
	buffer_load_dword v3, v9, s[0:3], 0 offen offset:12
	buffer_load_dword v4, v0, s[0:3], 0 offen
	buffer_load_dword v5, v0, s[0:3], 0 offen offset:4
	buffer_load_dword v6, v0, s[0:3], 0 offen offset:8
	buffer_load_dword v7, v0, s[0:3], 0 offen offset:12
	buffer_load_dword v8, v9, s[0:3], 0 offen
	s_waitcnt vmcnt(4)
	buffer_store_dword v4, v9, s[0:3], 0 offen
	s_waitcnt vmcnt(4)
	buffer_store_dword v5, v9, s[0:3], 0 offen offset:4
	s_waitcnt vmcnt(4)
	buffer_store_dword v6, v9, s[0:3], 0 offen offset:8
	s_waitcnt vmcnt(4)
	buffer_store_dword v7, v9, s[0:3], 0 offen offset:12
	buffer_store_dword v3, v0, s[0:3], 0 offen offset:12
	buffer_store_dword v2, v0, s[0:3], 0 offen offset:8
	buffer_store_dword v1, v0, s[0:3], 0 offen offset:4
	s_waitcnt vmcnt(7)
	buffer_store_dword v8, v0, s[0:3], 0 offen
.LBB56_418:
	s_or_b64 exec, exec, s[4:5]
	v_pk_mov_b32 v[0:1], s[10:11], s[10:11] op_sel:[0,1]
	flat_load_dword v0, v[0:1] offset:96
	s_waitcnt vmcnt(0) lgkmcnt(0)
	v_add_u32_e32 v0, -1, v0
	v_cmp_ne_u32_e32 vcc, 24, v0
	s_and_saveexec_b64 s[4:5], vcc
	s_cbranch_execz .LBB56_420
; %bb.419:
	v_mov_b32_e32 v1, 16
	v_accvgpr_read_b32 v9, a146
	v_lshl_add_u32 v0, v0, 4, v1
	buffer_load_dword v1, v9, s[0:3], 0 offen offset:4
	buffer_load_dword v2, v9, s[0:3], 0 offen offset:8
	buffer_load_dword v3, v9, s[0:3], 0 offen offset:12
	buffer_load_dword v4, v0, s[0:3], 0 offen
	buffer_load_dword v5, v0, s[0:3], 0 offen offset:4
	buffer_load_dword v6, v0, s[0:3], 0 offen offset:8
	buffer_load_dword v7, v0, s[0:3], 0 offen offset:12
	buffer_load_dword v8, v9, s[0:3], 0 offen
	s_waitcnt vmcnt(4)
	buffer_store_dword v4, v9, s[0:3], 0 offen
	s_waitcnt vmcnt(4)
	buffer_store_dword v5, v9, s[0:3], 0 offen offset:4
	s_waitcnt vmcnt(4)
	buffer_store_dword v6, v9, s[0:3], 0 offen offset:8
	s_waitcnt vmcnt(4)
	buffer_store_dword v7, v9, s[0:3], 0 offen offset:12
	buffer_store_dword v3, v0, s[0:3], 0 offen offset:12
	buffer_store_dword v2, v0, s[0:3], 0 offen offset:8
	buffer_store_dword v1, v0, s[0:3], 0 offen offset:4
	s_waitcnt vmcnt(7)
	buffer_store_dword v8, v0, s[0:3], 0 offen
.LBB56_420:
	s_or_b64 exec, exec, s[4:5]
	v_pk_mov_b32 v[0:1], s[10:11], s[10:11] op_sel:[0,1]
	flat_load_dword v0, v[0:1] offset:92
	s_waitcnt vmcnt(0) lgkmcnt(0)
	v_add_u32_e32 v0, -1, v0
	v_cmp_ne_u32_e32 vcc, 23, v0
	s_and_saveexec_b64 s[4:5], vcc
	s_cbranch_execz .LBB56_422
; %bb.421:
	v_mov_b32_e32 v1, 16
	v_accvgpr_read_b32 v9, a147
	v_lshl_add_u32 v0, v0, 4, v1
	buffer_load_dword v1, v9, s[0:3], 0 offen offset:4
	buffer_load_dword v2, v9, s[0:3], 0 offen offset:8
	buffer_load_dword v3, v9, s[0:3], 0 offen offset:12
	buffer_load_dword v4, v0, s[0:3], 0 offen
	buffer_load_dword v5, v0, s[0:3], 0 offen offset:4
	buffer_load_dword v6, v0, s[0:3], 0 offen offset:8
	buffer_load_dword v7, v0, s[0:3], 0 offen offset:12
	buffer_load_dword v8, v9, s[0:3], 0 offen
	s_waitcnt vmcnt(4)
	buffer_store_dword v4, v9, s[0:3], 0 offen
	s_waitcnt vmcnt(4)
	buffer_store_dword v5, v9, s[0:3], 0 offen offset:4
	s_waitcnt vmcnt(4)
	buffer_store_dword v6, v9, s[0:3], 0 offen offset:8
	s_waitcnt vmcnt(4)
	buffer_store_dword v7, v9, s[0:3], 0 offen offset:12
	buffer_store_dword v3, v0, s[0:3], 0 offen offset:12
	buffer_store_dword v2, v0, s[0:3], 0 offen offset:8
	buffer_store_dword v1, v0, s[0:3], 0 offen offset:4
	s_waitcnt vmcnt(7)
	buffer_store_dword v8, v0, s[0:3], 0 offen
.LBB56_422:
	s_or_b64 exec, exec, s[4:5]
	v_pk_mov_b32 v[0:1], s[10:11], s[10:11] op_sel:[0,1]
	flat_load_dword v0, v[0:1] offset:88
	s_waitcnt vmcnt(0) lgkmcnt(0)
	v_add_u32_e32 v0, -1, v0
	v_cmp_ne_u32_e32 vcc, 22, v0
	s_and_saveexec_b64 s[4:5], vcc
	s_cbranch_execz .LBB56_424
; %bb.423:
	v_mov_b32_e32 v1, 16
	v_accvgpr_read_b32 v9, a148
	v_lshl_add_u32 v0, v0, 4, v1
	buffer_load_dword v1, v9, s[0:3], 0 offen offset:4
	buffer_load_dword v2, v9, s[0:3], 0 offen offset:8
	buffer_load_dword v3, v9, s[0:3], 0 offen offset:12
	buffer_load_dword v4, v0, s[0:3], 0 offen
	buffer_load_dword v5, v0, s[0:3], 0 offen offset:4
	buffer_load_dword v6, v0, s[0:3], 0 offen offset:8
	buffer_load_dword v7, v0, s[0:3], 0 offen offset:12
	buffer_load_dword v8, v9, s[0:3], 0 offen
	s_waitcnt vmcnt(4)
	buffer_store_dword v4, v9, s[0:3], 0 offen
	s_waitcnt vmcnt(4)
	buffer_store_dword v5, v9, s[0:3], 0 offen offset:4
	s_waitcnt vmcnt(4)
	buffer_store_dword v6, v9, s[0:3], 0 offen offset:8
	s_waitcnt vmcnt(4)
	buffer_store_dword v7, v9, s[0:3], 0 offen offset:12
	buffer_store_dword v3, v0, s[0:3], 0 offen offset:12
	buffer_store_dword v2, v0, s[0:3], 0 offen offset:8
	buffer_store_dword v1, v0, s[0:3], 0 offen offset:4
	s_waitcnt vmcnt(7)
	buffer_store_dword v8, v0, s[0:3], 0 offen
.LBB56_424:
	s_or_b64 exec, exec, s[4:5]
	v_pk_mov_b32 v[0:1], s[10:11], s[10:11] op_sel:[0,1]
	flat_load_dword v0, v[0:1] offset:84
	s_waitcnt vmcnt(0) lgkmcnt(0)
	v_add_u32_e32 v0, -1, v0
	v_cmp_ne_u32_e32 vcc, 21, v0
	s_and_saveexec_b64 s[4:5], vcc
	s_cbranch_execz .LBB56_426
; %bb.425:
	v_mov_b32_e32 v1, 16
	v_accvgpr_read_b32 v9, a149
	v_lshl_add_u32 v0, v0, 4, v1
	buffer_load_dword v1, v9, s[0:3], 0 offen offset:4
	buffer_load_dword v2, v9, s[0:3], 0 offen offset:8
	buffer_load_dword v3, v9, s[0:3], 0 offen offset:12
	buffer_load_dword v4, v0, s[0:3], 0 offen
	buffer_load_dword v5, v0, s[0:3], 0 offen offset:4
	buffer_load_dword v6, v0, s[0:3], 0 offen offset:8
	buffer_load_dword v7, v0, s[0:3], 0 offen offset:12
	buffer_load_dword v8, v9, s[0:3], 0 offen
	s_waitcnt vmcnt(4)
	buffer_store_dword v4, v9, s[0:3], 0 offen
	s_waitcnt vmcnt(4)
	buffer_store_dword v5, v9, s[0:3], 0 offen offset:4
	s_waitcnt vmcnt(4)
	buffer_store_dword v6, v9, s[0:3], 0 offen offset:8
	s_waitcnt vmcnt(4)
	buffer_store_dword v7, v9, s[0:3], 0 offen offset:12
	buffer_store_dword v3, v0, s[0:3], 0 offen offset:12
	buffer_store_dword v2, v0, s[0:3], 0 offen offset:8
	buffer_store_dword v1, v0, s[0:3], 0 offen offset:4
	s_waitcnt vmcnt(7)
	buffer_store_dword v8, v0, s[0:3], 0 offen
.LBB56_426:
	s_or_b64 exec, exec, s[4:5]
	v_pk_mov_b32 v[0:1], s[10:11], s[10:11] op_sel:[0,1]
	flat_load_dword v0, v[0:1] offset:80
	s_waitcnt vmcnt(0) lgkmcnt(0)
	v_add_u32_e32 v0, -1, v0
	v_cmp_ne_u32_e32 vcc, 20, v0
	s_and_saveexec_b64 s[4:5], vcc
	s_cbranch_execz .LBB56_428
; %bb.427:
	v_mov_b32_e32 v1, 16
	v_accvgpr_read_b32 v9, a150
	v_lshl_add_u32 v0, v0, 4, v1
	buffer_load_dword v1, v9, s[0:3], 0 offen offset:4
	buffer_load_dword v2, v9, s[0:3], 0 offen offset:8
	buffer_load_dword v3, v9, s[0:3], 0 offen offset:12
	buffer_load_dword v4, v0, s[0:3], 0 offen
	buffer_load_dword v5, v0, s[0:3], 0 offen offset:4
	buffer_load_dword v6, v0, s[0:3], 0 offen offset:8
	buffer_load_dword v7, v0, s[0:3], 0 offen offset:12
	buffer_load_dword v8, v9, s[0:3], 0 offen
	s_waitcnt vmcnt(4)
	buffer_store_dword v4, v9, s[0:3], 0 offen
	s_waitcnt vmcnt(4)
	buffer_store_dword v5, v9, s[0:3], 0 offen offset:4
	s_waitcnt vmcnt(4)
	buffer_store_dword v6, v9, s[0:3], 0 offen offset:8
	s_waitcnt vmcnt(4)
	buffer_store_dword v7, v9, s[0:3], 0 offen offset:12
	buffer_store_dword v3, v0, s[0:3], 0 offen offset:12
	buffer_store_dword v2, v0, s[0:3], 0 offen offset:8
	buffer_store_dword v1, v0, s[0:3], 0 offen offset:4
	s_waitcnt vmcnt(7)
	buffer_store_dword v8, v0, s[0:3], 0 offen
.LBB56_428:
	s_or_b64 exec, exec, s[4:5]
	v_pk_mov_b32 v[0:1], s[10:11], s[10:11] op_sel:[0,1]
	flat_load_dword v0, v[0:1] offset:76
	s_waitcnt vmcnt(0) lgkmcnt(0)
	v_add_u32_e32 v0, -1, v0
	v_cmp_ne_u32_e32 vcc, 19, v0
	s_and_saveexec_b64 s[4:5], vcc
	s_cbranch_execz .LBB56_430
; %bb.429:
	v_mov_b32_e32 v1, 16
	v_accvgpr_read_b32 v9, a151
	v_lshl_add_u32 v0, v0, 4, v1
	buffer_load_dword v1, v9, s[0:3], 0 offen offset:4
	buffer_load_dword v2, v9, s[0:3], 0 offen offset:8
	buffer_load_dword v3, v9, s[0:3], 0 offen offset:12
	buffer_load_dword v4, v0, s[0:3], 0 offen
	buffer_load_dword v5, v0, s[0:3], 0 offen offset:4
	buffer_load_dword v6, v0, s[0:3], 0 offen offset:8
	buffer_load_dword v7, v0, s[0:3], 0 offen offset:12
	buffer_load_dword v8, v9, s[0:3], 0 offen
	s_waitcnt vmcnt(4)
	buffer_store_dword v4, v9, s[0:3], 0 offen
	s_waitcnt vmcnt(4)
	buffer_store_dword v5, v9, s[0:3], 0 offen offset:4
	s_waitcnt vmcnt(4)
	buffer_store_dword v6, v9, s[0:3], 0 offen offset:8
	s_waitcnt vmcnt(4)
	buffer_store_dword v7, v9, s[0:3], 0 offen offset:12
	buffer_store_dword v3, v0, s[0:3], 0 offen offset:12
	buffer_store_dword v2, v0, s[0:3], 0 offen offset:8
	buffer_store_dword v1, v0, s[0:3], 0 offen offset:4
	s_waitcnt vmcnt(7)
	buffer_store_dword v8, v0, s[0:3], 0 offen
.LBB56_430:
	s_or_b64 exec, exec, s[4:5]
	v_pk_mov_b32 v[0:1], s[10:11], s[10:11] op_sel:[0,1]
	flat_load_dword v0, v[0:1] offset:72
	s_waitcnt vmcnt(0) lgkmcnt(0)
	v_add_u32_e32 v0, -1, v0
	v_cmp_ne_u32_e32 vcc, 18, v0
	s_and_saveexec_b64 s[4:5], vcc
	s_cbranch_execz .LBB56_432
; %bb.431:
	v_mov_b32_e32 v1, 16
	v_accvgpr_read_b32 v9, a152
	v_lshl_add_u32 v0, v0, 4, v1
	buffer_load_dword v1, v9, s[0:3], 0 offen offset:4
	buffer_load_dword v2, v9, s[0:3], 0 offen offset:8
	buffer_load_dword v3, v9, s[0:3], 0 offen offset:12
	buffer_load_dword v4, v0, s[0:3], 0 offen
	buffer_load_dword v5, v0, s[0:3], 0 offen offset:4
	buffer_load_dword v6, v0, s[0:3], 0 offen offset:8
	buffer_load_dword v7, v0, s[0:3], 0 offen offset:12
	buffer_load_dword v8, v9, s[0:3], 0 offen
	s_waitcnt vmcnt(4)
	buffer_store_dword v4, v9, s[0:3], 0 offen
	s_waitcnt vmcnt(4)
	buffer_store_dword v5, v9, s[0:3], 0 offen offset:4
	s_waitcnt vmcnt(4)
	buffer_store_dword v6, v9, s[0:3], 0 offen offset:8
	s_waitcnt vmcnt(4)
	buffer_store_dword v7, v9, s[0:3], 0 offen offset:12
	buffer_store_dword v3, v0, s[0:3], 0 offen offset:12
	buffer_store_dword v2, v0, s[0:3], 0 offen offset:8
	buffer_store_dword v1, v0, s[0:3], 0 offen offset:4
	s_waitcnt vmcnt(7)
	buffer_store_dword v8, v0, s[0:3], 0 offen
.LBB56_432:
	s_or_b64 exec, exec, s[4:5]
	v_pk_mov_b32 v[0:1], s[10:11], s[10:11] op_sel:[0,1]
	flat_load_dword v0, v[0:1] offset:68
	s_waitcnt vmcnt(0) lgkmcnt(0)
	v_add_u32_e32 v0, -1, v0
	v_cmp_ne_u32_e32 vcc, 17, v0
	s_and_saveexec_b64 s[4:5], vcc
	s_cbranch_execz .LBB56_434
; %bb.433:
	v_mov_b32_e32 v1, 16
	v_accvgpr_read_b32 v9, a153
	v_lshl_add_u32 v0, v0, 4, v1
	buffer_load_dword v1, v9, s[0:3], 0 offen offset:4
	buffer_load_dword v2, v9, s[0:3], 0 offen offset:8
	buffer_load_dword v3, v9, s[0:3], 0 offen offset:12
	buffer_load_dword v4, v0, s[0:3], 0 offen
	buffer_load_dword v5, v0, s[0:3], 0 offen offset:4
	buffer_load_dword v6, v0, s[0:3], 0 offen offset:8
	buffer_load_dword v7, v0, s[0:3], 0 offen offset:12
	buffer_load_dword v8, v9, s[0:3], 0 offen
	s_waitcnt vmcnt(4)
	buffer_store_dword v4, v9, s[0:3], 0 offen
	s_waitcnt vmcnt(4)
	buffer_store_dword v5, v9, s[0:3], 0 offen offset:4
	s_waitcnt vmcnt(4)
	buffer_store_dword v6, v9, s[0:3], 0 offen offset:8
	s_waitcnt vmcnt(4)
	buffer_store_dword v7, v9, s[0:3], 0 offen offset:12
	buffer_store_dword v3, v0, s[0:3], 0 offen offset:12
	buffer_store_dword v2, v0, s[0:3], 0 offen offset:8
	buffer_store_dword v1, v0, s[0:3], 0 offen offset:4
	s_waitcnt vmcnt(7)
	buffer_store_dword v8, v0, s[0:3], 0 offen
.LBB56_434:
	s_or_b64 exec, exec, s[4:5]
	v_pk_mov_b32 v[0:1], s[10:11], s[10:11] op_sel:[0,1]
	flat_load_dword v0, v[0:1] offset:64
	s_waitcnt vmcnt(0) lgkmcnt(0)
	v_add_u32_e32 v0, -1, v0
	v_cmp_ne_u32_e32 vcc, 16, v0
	s_and_saveexec_b64 s[4:5], vcc
	s_cbranch_execz .LBB56_436
; %bb.435:
	v_mov_b32_e32 v1, 16
	v_accvgpr_read_b32 v9, a154
	v_lshl_add_u32 v0, v0, 4, v1
	buffer_load_dword v1, v9, s[0:3], 0 offen offset:4
	buffer_load_dword v2, v9, s[0:3], 0 offen offset:8
	buffer_load_dword v3, v9, s[0:3], 0 offen offset:12
	buffer_load_dword v4, v0, s[0:3], 0 offen
	buffer_load_dword v5, v0, s[0:3], 0 offen offset:4
	buffer_load_dword v6, v0, s[0:3], 0 offen offset:8
	buffer_load_dword v7, v0, s[0:3], 0 offen offset:12
	buffer_load_dword v8, v9, s[0:3], 0 offen
	s_waitcnt vmcnt(4)
	buffer_store_dword v4, v9, s[0:3], 0 offen
	s_waitcnt vmcnt(4)
	buffer_store_dword v5, v9, s[0:3], 0 offen offset:4
	s_waitcnt vmcnt(4)
	buffer_store_dword v6, v9, s[0:3], 0 offen offset:8
	s_waitcnt vmcnt(4)
	buffer_store_dword v7, v9, s[0:3], 0 offen offset:12
	buffer_store_dword v3, v0, s[0:3], 0 offen offset:12
	buffer_store_dword v2, v0, s[0:3], 0 offen offset:8
	buffer_store_dword v1, v0, s[0:3], 0 offen offset:4
	s_waitcnt vmcnt(7)
	buffer_store_dword v8, v0, s[0:3], 0 offen
.LBB56_436:
	s_or_b64 exec, exec, s[4:5]
	v_pk_mov_b32 v[0:1], s[10:11], s[10:11] op_sel:[0,1]
	flat_load_dword v0, v[0:1] offset:60
	s_waitcnt vmcnt(0) lgkmcnt(0)
	v_add_u32_e32 v0, -1, v0
	v_cmp_ne_u32_e32 vcc, 15, v0
	s_and_saveexec_b64 s[4:5], vcc
	s_cbranch_execz .LBB56_438
; %bb.437:
	v_mov_b32_e32 v1, 16
	v_accvgpr_read_b32 v9, a155
	v_lshl_add_u32 v0, v0, 4, v1
	buffer_load_dword v1, v9, s[0:3], 0 offen offset:4
	buffer_load_dword v2, v9, s[0:3], 0 offen offset:8
	buffer_load_dword v3, v9, s[0:3], 0 offen offset:12
	buffer_load_dword v4, v0, s[0:3], 0 offen
	buffer_load_dword v5, v0, s[0:3], 0 offen offset:4
	buffer_load_dword v6, v0, s[0:3], 0 offen offset:8
	buffer_load_dword v7, v0, s[0:3], 0 offen offset:12
	buffer_load_dword v8, v9, s[0:3], 0 offen
	s_waitcnt vmcnt(4)
	buffer_store_dword v4, v9, s[0:3], 0 offen
	s_waitcnt vmcnt(4)
	buffer_store_dword v5, v9, s[0:3], 0 offen offset:4
	s_waitcnt vmcnt(4)
	buffer_store_dword v6, v9, s[0:3], 0 offen offset:8
	s_waitcnt vmcnt(4)
	buffer_store_dword v7, v9, s[0:3], 0 offen offset:12
	buffer_store_dword v3, v0, s[0:3], 0 offen offset:12
	buffer_store_dword v2, v0, s[0:3], 0 offen offset:8
	buffer_store_dword v1, v0, s[0:3], 0 offen offset:4
	s_waitcnt vmcnt(7)
	buffer_store_dword v8, v0, s[0:3], 0 offen
.LBB56_438:
	s_or_b64 exec, exec, s[4:5]
	v_pk_mov_b32 v[0:1], s[10:11], s[10:11] op_sel:[0,1]
	flat_load_dword v0, v[0:1] offset:56
	s_waitcnt vmcnt(0) lgkmcnt(0)
	v_add_u32_e32 v0, -1, v0
	v_cmp_ne_u32_e32 vcc, 14, v0
	s_and_saveexec_b64 s[4:5], vcc
	s_cbranch_execz .LBB56_440
; %bb.439:
	v_mov_b32_e32 v1, 16
	v_accvgpr_read_b32 v9, a156
	v_lshl_add_u32 v0, v0, 4, v1
	buffer_load_dword v1, v9, s[0:3], 0 offen offset:4
	buffer_load_dword v2, v9, s[0:3], 0 offen offset:8
	buffer_load_dword v3, v9, s[0:3], 0 offen offset:12
	buffer_load_dword v4, v0, s[0:3], 0 offen
	buffer_load_dword v5, v0, s[0:3], 0 offen offset:4
	buffer_load_dword v6, v0, s[0:3], 0 offen offset:8
	buffer_load_dword v7, v0, s[0:3], 0 offen offset:12
	buffer_load_dword v8, v9, s[0:3], 0 offen
	s_waitcnt vmcnt(4)
	buffer_store_dword v4, v9, s[0:3], 0 offen
	s_waitcnt vmcnt(4)
	buffer_store_dword v5, v9, s[0:3], 0 offen offset:4
	s_waitcnt vmcnt(4)
	buffer_store_dword v6, v9, s[0:3], 0 offen offset:8
	s_waitcnt vmcnt(4)
	buffer_store_dword v7, v9, s[0:3], 0 offen offset:12
	buffer_store_dword v3, v0, s[0:3], 0 offen offset:12
	buffer_store_dword v2, v0, s[0:3], 0 offen offset:8
	buffer_store_dword v1, v0, s[0:3], 0 offen offset:4
	s_waitcnt vmcnt(7)
	buffer_store_dword v8, v0, s[0:3], 0 offen
.LBB56_440:
	s_or_b64 exec, exec, s[4:5]
	v_pk_mov_b32 v[0:1], s[10:11], s[10:11] op_sel:[0,1]
	flat_load_dword v0, v[0:1] offset:52
	s_waitcnt vmcnt(0) lgkmcnt(0)
	v_add_u32_e32 v0, -1, v0
	v_cmp_ne_u32_e32 vcc, 13, v0
	s_and_saveexec_b64 s[4:5], vcc
	s_cbranch_execz .LBB56_442
; %bb.441:
	v_mov_b32_e32 v1, 16
	v_accvgpr_read_b32 v9, a157
	v_lshl_add_u32 v0, v0, 4, v1
	buffer_load_dword v1, v9, s[0:3], 0 offen offset:4
	buffer_load_dword v2, v9, s[0:3], 0 offen offset:8
	buffer_load_dword v3, v9, s[0:3], 0 offen offset:12
	buffer_load_dword v4, v0, s[0:3], 0 offen
	buffer_load_dword v5, v0, s[0:3], 0 offen offset:4
	buffer_load_dword v6, v0, s[0:3], 0 offen offset:8
	buffer_load_dword v7, v0, s[0:3], 0 offen offset:12
	buffer_load_dword v8, v9, s[0:3], 0 offen
	s_waitcnt vmcnt(4)
	buffer_store_dword v4, v9, s[0:3], 0 offen
	s_waitcnt vmcnt(4)
	buffer_store_dword v5, v9, s[0:3], 0 offen offset:4
	s_waitcnt vmcnt(4)
	buffer_store_dword v6, v9, s[0:3], 0 offen offset:8
	s_waitcnt vmcnt(4)
	buffer_store_dword v7, v9, s[0:3], 0 offen offset:12
	buffer_store_dword v3, v0, s[0:3], 0 offen offset:12
	buffer_store_dword v2, v0, s[0:3], 0 offen offset:8
	buffer_store_dword v1, v0, s[0:3], 0 offen offset:4
	s_waitcnt vmcnt(7)
	buffer_store_dword v8, v0, s[0:3], 0 offen
.LBB56_442:
	s_or_b64 exec, exec, s[4:5]
	v_pk_mov_b32 v[0:1], s[10:11], s[10:11] op_sel:[0,1]
	flat_load_dword v0, v[0:1] offset:48
	s_waitcnt vmcnt(0) lgkmcnt(0)
	v_add_u32_e32 v0, -1, v0
	v_cmp_ne_u32_e32 vcc, 12, v0
	s_and_saveexec_b64 s[4:5], vcc
	s_cbranch_execz .LBB56_444
; %bb.443:
	v_mov_b32_e32 v1, 16
	v_accvgpr_read_b32 v9, a158
	v_lshl_add_u32 v0, v0, 4, v1
	buffer_load_dword v1, v9, s[0:3], 0 offen offset:4
	buffer_load_dword v2, v9, s[0:3], 0 offen offset:8
	buffer_load_dword v3, v9, s[0:3], 0 offen offset:12
	buffer_load_dword v4, v0, s[0:3], 0 offen
	buffer_load_dword v5, v0, s[0:3], 0 offen offset:4
	buffer_load_dword v6, v0, s[0:3], 0 offen offset:8
	buffer_load_dword v7, v0, s[0:3], 0 offen offset:12
	buffer_load_dword v8, v9, s[0:3], 0 offen
	s_waitcnt vmcnt(4)
	buffer_store_dword v4, v9, s[0:3], 0 offen
	s_waitcnt vmcnt(4)
	buffer_store_dword v5, v9, s[0:3], 0 offen offset:4
	s_waitcnt vmcnt(4)
	buffer_store_dword v6, v9, s[0:3], 0 offen offset:8
	s_waitcnt vmcnt(4)
	buffer_store_dword v7, v9, s[0:3], 0 offen offset:12
	buffer_store_dword v3, v0, s[0:3], 0 offen offset:12
	buffer_store_dword v2, v0, s[0:3], 0 offen offset:8
	buffer_store_dword v1, v0, s[0:3], 0 offen offset:4
	s_waitcnt vmcnt(7)
	buffer_store_dword v8, v0, s[0:3], 0 offen
.LBB56_444:
	s_or_b64 exec, exec, s[4:5]
	v_pk_mov_b32 v[0:1], s[10:11], s[10:11] op_sel:[0,1]
	flat_load_dword v0, v[0:1] offset:44
	s_waitcnt vmcnt(0) lgkmcnt(0)
	v_add_u32_e32 v0, -1, v0
	v_cmp_ne_u32_e32 vcc, 11, v0
	s_and_saveexec_b64 s[4:5], vcc
	s_cbranch_execz .LBB56_446
; %bb.445:
	v_mov_b32_e32 v1, 16
	v_accvgpr_read_b32 v9, a159
	v_lshl_add_u32 v0, v0, 4, v1
	buffer_load_dword v1, v9, s[0:3], 0 offen offset:4
	buffer_load_dword v2, v9, s[0:3], 0 offen offset:8
	buffer_load_dword v3, v9, s[0:3], 0 offen offset:12
	buffer_load_dword v4, v0, s[0:3], 0 offen
	buffer_load_dword v5, v0, s[0:3], 0 offen offset:4
	buffer_load_dword v6, v0, s[0:3], 0 offen offset:8
	buffer_load_dword v7, v0, s[0:3], 0 offen offset:12
	buffer_load_dword v8, v9, s[0:3], 0 offen
	s_waitcnt vmcnt(4)
	buffer_store_dword v4, v9, s[0:3], 0 offen
	s_waitcnt vmcnt(4)
	buffer_store_dword v5, v9, s[0:3], 0 offen offset:4
	s_waitcnt vmcnt(4)
	buffer_store_dword v6, v9, s[0:3], 0 offen offset:8
	s_waitcnt vmcnt(4)
	buffer_store_dword v7, v9, s[0:3], 0 offen offset:12
	buffer_store_dword v3, v0, s[0:3], 0 offen offset:12
	buffer_store_dword v2, v0, s[0:3], 0 offen offset:8
	buffer_store_dword v1, v0, s[0:3], 0 offen offset:4
	s_waitcnt vmcnt(7)
	buffer_store_dword v8, v0, s[0:3], 0 offen
.LBB56_446:
	s_or_b64 exec, exec, s[4:5]
	v_pk_mov_b32 v[0:1], s[10:11], s[10:11] op_sel:[0,1]
	flat_load_dword v0, v[0:1] offset:40
	s_waitcnt vmcnt(0) lgkmcnt(0)
	v_add_u32_e32 v0, -1, v0
	v_cmp_ne_u32_e32 vcc, 10, v0
	s_and_saveexec_b64 s[4:5], vcc
	s_cbranch_execz .LBB56_448
; %bb.447:
	v_mov_b32_e32 v1, 16
	v_accvgpr_read_b32 v9, a160
	v_lshl_add_u32 v0, v0, 4, v1
	buffer_load_dword v1, v9, s[0:3], 0 offen offset:4
	buffer_load_dword v2, v9, s[0:3], 0 offen offset:8
	buffer_load_dword v3, v9, s[0:3], 0 offen offset:12
	buffer_load_dword v4, v0, s[0:3], 0 offen
	buffer_load_dword v5, v0, s[0:3], 0 offen offset:4
	buffer_load_dword v6, v0, s[0:3], 0 offen offset:8
	buffer_load_dword v7, v0, s[0:3], 0 offen offset:12
	buffer_load_dword v8, v9, s[0:3], 0 offen
	s_waitcnt vmcnt(4)
	buffer_store_dword v4, v9, s[0:3], 0 offen
	s_waitcnt vmcnt(4)
	buffer_store_dword v5, v9, s[0:3], 0 offen offset:4
	s_waitcnt vmcnt(4)
	buffer_store_dword v6, v9, s[0:3], 0 offen offset:8
	s_waitcnt vmcnt(4)
	buffer_store_dword v7, v9, s[0:3], 0 offen offset:12
	buffer_store_dword v3, v0, s[0:3], 0 offen offset:12
	buffer_store_dword v2, v0, s[0:3], 0 offen offset:8
	buffer_store_dword v1, v0, s[0:3], 0 offen offset:4
	s_waitcnt vmcnt(7)
	buffer_store_dword v8, v0, s[0:3], 0 offen
.LBB56_448:
	s_or_b64 exec, exec, s[4:5]
	v_pk_mov_b32 v[0:1], s[10:11], s[10:11] op_sel:[0,1]
	flat_load_dword v0, v[0:1] offset:36
	s_waitcnt vmcnt(0) lgkmcnt(0)
	v_add_u32_e32 v0, -1, v0
	v_cmp_ne_u32_e32 vcc, 9, v0
	s_and_saveexec_b64 s[4:5], vcc
	s_cbranch_execz .LBB56_450
; %bb.449:
	v_mov_b32_e32 v1, 16
	v_accvgpr_read_b32 v9, a161
	v_lshl_add_u32 v0, v0, 4, v1
	buffer_load_dword v1, v9, s[0:3], 0 offen offset:4
	buffer_load_dword v2, v9, s[0:3], 0 offen offset:8
	buffer_load_dword v3, v9, s[0:3], 0 offen offset:12
	buffer_load_dword v4, v0, s[0:3], 0 offen
	buffer_load_dword v5, v0, s[0:3], 0 offen offset:4
	buffer_load_dword v6, v0, s[0:3], 0 offen offset:8
	buffer_load_dword v7, v0, s[0:3], 0 offen offset:12
	buffer_load_dword v8, v9, s[0:3], 0 offen
	s_waitcnt vmcnt(4)
	buffer_store_dword v4, v9, s[0:3], 0 offen
	s_waitcnt vmcnt(4)
	buffer_store_dword v5, v9, s[0:3], 0 offen offset:4
	s_waitcnt vmcnt(4)
	buffer_store_dword v6, v9, s[0:3], 0 offen offset:8
	s_waitcnt vmcnt(4)
	buffer_store_dword v7, v9, s[0:3], 0 offen offset:12
	buffer_store_dword v3, v0, s[0:3], 0 offen offset:12
	buffer_store_dword v2, v0, s[0:3], 0 offen offset:8
	buffer_store_dword v1, v0, s[0:3], 0 offen offset:4
	s_waitcnt vmcnt(7)
	buffer_store_dword v8, v0, s[0:3], 0 offen
.LBB56_450:
	s_or_b64 exec, exec, s[4:5]
	v_pk_mov_b32 v[0:1], s[10:11], s[10:11] op_sel:[0,1]
	flat_load_dword v0, v[0:1] offset:32
	s_waitcnt vmcnt(0) lgkmcnt(0)
	v_add_u32_e32 v0, -1, v0
	v_cmp_ne_u32_e32 vcc, 8, v0
	s_and_saveexec_b64 s[4:5], vcc
	s_cbranch_execz .LBB56_452
; %bb.451:
	v_mov_b32_e32 v1, 16
	v_accvgpr_read_b32 v9, a162
	v_lshl_add_u32 v0, v0, 4, v1
	buffer_load_dword v1, v9, s[0:3], 0 offen offset:4
	buffer_load_dword v2, v9, s[0:3], 0 offen offset:8
	buffer_load_dword v3, v9, s[0:3], 0 offen offset:12
	buffer_load_dword v4, v0, s[0:3], 0 offen
	buffer_load_dword v5, v0, s[0:3], 0 offen offset:4
	buffer_load_dword v6, v0, s[0:3], 0 offen offset:8
	buffer_load_dword v7, v0, s[0:3], 0 offen offset:12
	buffer_load_dword v8, v9, s[0:3], 0 offen
	s_waitcnt vmcnt(4)
	buffer_store_dword v4, v9, s[0:3], 0 offen
	s_waitcnt vmcnt(4)
	buffer_store_dword v5, v9, s[0:3], 0 offen offset:4
	s_waitcnt vmcnt(4)
	buffer_store_dword v6, v9, s[0:3], 0 offen offset:8
	s_waitcnt vmcnt(4)
	buffer_store_dword v7, v9, s[0:3], 0 offen offset:12
	buffer_store_dword v3, v0, s[0:3], 0 offen offset:12
	buffer_store_dword v2, v0, s[0:3], 0 offen offset:8
	buffer_store_dword v1, v0, s[0:3], 0 offen offset:4
	s_waitcnt vmcnt(7)
	buffer_store_dword v8, v0, s[0:3], 0 offen
.LBB56_452:
	s_or_b64 exec, exec, s[4:5]
	v_pk_mov_b32 v[0:1], s[10:11], s[10:11] op_sel:[0,1]
	flat_load_dword v0, v[0:1] offset:28
	s_waitcnt vmcnt(0) lgkmcnt(0)
	v_add_u32_e32 v0, -1, v0
	v_cmp_ne_u32_e32 vcc, 7, v0
	s_and_saveexec_b64 s[4:5], vcc
	s_cbranch_execz .LBB56_454
; %bb.453:
	v_mov_b32_e32 v1, 16
	v_accvgpr_read_b32 v9, a163
	v_lshl_add_u32 v0, v0, 4, v1
	buffer_load_dword v1, v9, s[0:3], 0 offen offset:4
	buffer_load_dword v2, v9, s[0:3], 0 offen offset:8
	buffer_load_dword v3, v9, s[0:3], 0 offen offset:12
	buffer_load_dword v4, v0, s[0:3], 0 offen
	buffer_load_dword v5, v0, s[0:3], 0 offen offset:4
	buffer_load_dword v6, v0, s[0:3], 0 offen offset:8
	buffer_load_dword v7, v0, s[0:3], 0 offen offset:12
	buffer_load_dword v8, v9, s[0:3], 0 offen
	s_waitcnt vmcnt(4)
	buffer_store_dword v4, v9, s[0:3], 0 offen
	s_waitcnt vmcnt(4)
	buffer_store_dword v5, v9, s[0:3], 0 offen offset:4
	s_waitcnt vmcnt(4)
	buffer_store_dword v6, v9, s[0:3], 0 offen offset:8
	s_waitcnt vmcnt(4)
	buffer_store_dword v7, v9, s[0:3], 0 offen offset:12
	buffer_store_dword v3, v0, s[0:3], 0 offen offset:12
	buffer_store_dword v2, v0, s[0:3], 0 offen offset:8
	buffer_store_dword v1, v0, s[0:3], 0 offen offset:4
	s_waitcnt vmcnt(7)
	buffer_store_dword v8, v0, s[0:3], 0 offen
.LBB56_454:
	s_or_b64 exec, exec, s[4:5]
	v_pk_mov_b32 v[0:1], s[10:11], s[10:11] op_sel:[0,1]
	flat_load_dword v0, v[0:1] offset:24
	s_waitcnt vmcnt(0) lgkmcnt(0)
	v_add_u32_e32 v0, -1, v0
	v_cmp_ne_u32_e32 vcc, 6, v0
	s_and_saveexec_b64 s[4:5], vcc
	s_cbranch_execz .LBB56_456
; %bb.455:
	v_mov_b32_e32 v1, 16
	v_accvgpr_read_b32 v9, a164
	v_lshl_add_u32 v0, v0, 4, v1
	buffer_load_dword v1, v9, s[0:3], 0 offen offset:4
	buffer_load_dword v2, v9, s[0:3], 0 offen offset:8
	buffer_load_dword v3, v9, s[0:3], 0 offen offset:12
	buffer_load_dword v4, v0, s[0:3], 0 offen
	buffer_load_dword v5, v0, s[0:3], 0 offen offset:4
	buffer_load_dword v6, v0, s[0:3], 0 offen offset:8
	buffer_load_dword v7, v0, s[0:3], 0 offen offset:12
	buffer_load_dword v8, v9, s[0:3], 0 offen
	s_waitcnt vmcnt(4)
	buffer_store_dword v4, v9, s[0:3], 0 offen
	s_waitcnt vmcnt(4)
	buffer_store_dword v5, v9, s[0:3], 0 offen offset:4
	s_waitcnt vmcnt(4)
	buffer_store_dword v6, v9, s[0:3], 0 offen offset:8
	s_waitcnt vmcnt(4)
	buffer_store_dword v7, v9, s[0:3], 0 offen offset:12
	buffer_store_dword v3, v0, s[0:3], 0 offen offset:12
	buffer_store_dword v2, v0, s[0:3], 0 offen offset:8
	buffer_store_dword v1, v0, s[0:3], 0 offen offset:4
	s_waitcnt vmcnt(7)
	buffer_store_dword v8, v0, s[0:3], 0 offen
.LBB56_456:
	s_or_b64 exec, exec, s[4:5]
	v_pk_mov_b32 v[0:1], s[10:11], s[10:11] op_sel:[0,1]
	flat_load_dword v0, v[0:1] offset:20
	s_waitcnt vmcnt(0) lgkmcnt(0)
	v_add_u32_e32 v0, -1, v0
	v_cmp_ne_u32_e32 vcc, 5, v0
	s_and_saveexec_b64 s[4:5], vcc
	s_cbranch_execz .LBB56_458
; %bb.457:
	v_mov_b32_e32 v1, 16
	v_accvgpr_read_b32 v9, a165
	v_lshl_add_u32 v0, v0, 4, v1
	buffer_load_dword v1, v9, s[0:3], 0 offen offset:4
	buffer_load_dword v2, v9, s[0:3], 0 offen offset:8
	buffer_load_dword v3, v9, s[0:3], 0 offen offset:12
	buffer_load_dword v4, v0, s[0:3], 0 offen
	buffer_load_dword v5, v0, s[0:3], 0 offen offset:4
	buffer_load_dword v6, v0, s[0:3], 0 offen offset:8
	buffer_load_dword v7, v0, s[0:3], 0 offen offset:12
	buffer_load_dword v8, v9, s[0:3], 0 offen
	s_waitcnt vmcnt(4)
	buffer_store_dword v4, v9, s[0:3], 0 offen
	s_waitcnt vmcnt(4)
	buffer_store_dword v5, v9, s[0:3], 0 offen offset:4
	s_waitcnt vmcnt(4)
	buffer_store_dword v6, v9, s[0:3], 0 offen offset:8
	s_waitcnt vmcnt(4)
	buffer_store_dword v7, v9, s[0:3], 0 offen offset:12
	buffer_store_dword v3, v0, s[0:3], 0 offen offset:12
	buffer_store_dword v2, v0, s[0:3], 0 offen offset:8
	buffer_store_dword v1, v0, s[0:3], 0 offen offset:4
	s_waitcnt vmcnt(7)
	buffer_store_dword v8, v0, s[0:3], 0 offen
.LBB56_458:
	s_or_b64 exec, exec, s[4:5]
	v_pk_mov_b32 v[0:1], s[10:11], s[10:11] op_sel:[0,1]
	flat_load_dword v0, v[0:1] offset:16
	s_waitcnt vmcnt(0) lgkmcnt(0)
	v_add_u32_e32 v0, -1, v0
	v_cmp_ne_u32_e32 vcc, 4, v0
	s_and_saveexec_b64 s[4:5], vcc
	s_cbranch_execz .LBB56_460
; %bb.459:
	v_mov_b32_e32 v1, 16
	v_accvgpr_read_b32 v9, a166
	v_lshl_add_u32 v0, v0, 4, v1
	buffer_load_dword v1, v9, s[0:3], 0 offen offset:4
	buffer_load_dword v2, v9, s[0:3], 0 offen offset:8
	buffer_load_dword v3, v9, s[0:3], 0 offen offset:12
	buffer_load_dword v4, v0, s[0:3], 0 offen
	buffer_load_dword v5, v0, s[0:3], 0 offen offset:4
	buffer_load_dword v6, v0, s[0:3], 0 offen offset:8
	buffer_load_dword v7, v0, s[0:3], 0 offen offset:12
	buffer_load_dword v8, v9, s[0:3], 0 offen
	s_waitcnt vmcnt(4)
	buffer_store_dword v4, v9, s[0:3], 0 offen
	s_waitcnt vmcnt(4)
	buffer_store_dword v5, v9, s[0:3], 0 offen offset:4
	s_waitcnt vmcnt(4)
	buffer_store_dword v6, v9, s[0:3], 0 offen offset:8
	s_waitcnt vmcnt(4)
	buffer_store_dword v7, v9, s[0:3], 0 offen offset:12
	buffer_store_dword v3, v0, s[0:3], 0 offen offset:12
	buffer_store_dword v2, v0, s[0:3], 0 offen offset:8
	buffer_store_dword v1, v0, s[0:3], 0 offen offset:4
	s_waitcnt vmcnt(7)
	buffer_store_dword v8, v0, s[0:3], 0 offen
.LBB56_460:
	s_or_b64 exec, exec, s[4:5]
	v_pk_mov_b32 v[0:1], s[10:11], s[10:11] op_sel:[0,1]
	flat_load_dword v0, v[0:1] offset:12
	s_waitcnt vmcnt(0) lgkmcnt(0)
	v_add_u32_e32 v0, -1, v0
	v_cmp_ne_u32_e32 vcc, 3, v0
	s_and_saveexec_b64 s[4:5], vcc
	s_cbranch_execz .LBB56_462
; %bb.461:
	v_mov_b32_e32 v1, 16
	v_accvgpr_read_b32 v9, a167
	v_lshl_add_u32 v0, v0, 4, v1
	buffer_load_dword v1, v9, s[0:3], 0 offen offset:4
	buffer_load_dword v2, v9, s[0:3], 0 offen offset:8
	buffer_load_dword v3, v9, s[0:3], 0 offen offset:12
	buffer_load_dword v4, v0, s[0:3], 0 offen
	buffer_load_dword v5, v0, s[0:3], 0 offen offset:4
	buffer_load_dword v6, v0, s[0:3], 0 offen offset:8
	buffer_load_dword v7, v0, s[0:3], 0 offen offset:12
	buffer_load_dword v8, v9, s[0:3], 0 offen
	s_waitcnt vmcnt(4)
	buffer_store_dword v4, v9, s[0:3], 0 offen
	s_waitcnt vmcnt(4)
	buffer_store_dword v5, v9, s[0:3], 0 offen offset:4
	s_waitcnt vmcnt(4)
	buffer_store_dword v6, v9, s[0:3], 0 offen offset:8
	s_waitcnt vmcnt(4)
	buffer_store_dword v7, v9, s[0:3], 0 offen offset:12
	buffer_store_dword v3, v0, s[0:3], 0 offen offset:12
	buffer_store_dword v2, v0, s[0:3], 0 offen offset:8
	buffer_store_dword v1, v0, s[0:3], 0 offen offset:4
	s_waitcnt vmcnt(7)
	buffer_store_dword v8, v0, s[0:3], 0 offen
.LBB56_462:
	s_or_b64 exec, exec, s[4:5]
	v_pk_mov_b32 v[0:1], s[10:11], s[10:11] op_sel:[0,1]
	flat_load_dword v0, v[0:1] offset:8
	s_waitcnt vmcnt(0) lgkmcnt(0)
	v_add_u32_e32 v0, -1, v0
	v_cmp_ne_u32_e32 vcc, 2, v0
	s_and_saveexec_b64 s[4:5], vcc
	s_cbranch_execz .LBB56_464
; %bb.463:
	v_mov_b32_e32 v1, 16
	v_accvgpr_read_b32 v9, a168
	v_lshl_add_u32 v0, v0, 4, v1
	buffer_load_dword v1, v9, s[0:3], 0 offen offset:4
	buffer_load_dword v2, v9, s[0:3], 0 offen offset:8
	buffer_load_dword v3, v9, s[0:3], 0 offen offset:12
	buffer_load_dword v4, v0, s[0:3], 0 offen
	buffer_load_dword v5, v0, s[0:3], 0 offen offset:4
	buffer_load_dword v6, v0, s[0:3], 0 offen offset:8
	buffer_load_dword v7, v0, s[0:3], 0 offen offset:12
	buffer_load_dword v8, v9, s[0:3], 0 offen
	s_waitcnt vmcnt(4)
	buffer_store_dword v4, v9, s[0:3], 0 offen
	s_waitcnt vmcnt(4)
	buffer_store_dword v5, v9, s[0:3], 0 offen offset:4
	s_waitcnt vmcnt(4)
	buffer_store_dword v6, v9, s[0:3], 0 offen offset:8
	s_waitcnt vmcnt(4)
	buffer_store_dword v7, v9, s[0:3], 0 offen offset:12
	buffer_store_dword v3, v0, s[0:3], 0 offen offset:12
	buffer_store_dword v2, v0, s[0:3], 0 offen offset:8
	buffer_store_dword v1, v0, s[0:3], 0 offen offset:4
	s_waitcnt vmcnt(7)
	buffer_store_dword v8, v0, s[0:3], 0 offen
.LBB56_464:
	s_or_b64 exec, exec, s[4:5]
	v_pk_mov_b32 v[0:1], s[10:11], s[10:11] op_sel:[0,1]
	flat_load_dword v0, v[0:1] offset:4
	s_waitcnt vmcnt(0) lgkmcnt(0)
	v_add_u32_e32 v0, -1, v0
	v_cmp_ne_u32_e32 vcc, 1, v0
	s_and_saveexec_b64 s[4:5], vcc
	s_cbranch_execz .LBB56_466
; %bb.465:
	v_mov_b32_e32 v1, 16
	v_accvgpr_read_b32 v9, a169
	v_lshl_add_u32 v0, v0, 4, v1
	buffer_load_dword v1, v9, s[0:3], 0 offen offset:4
	buffer_load_dword v2, v9, s[0:3], 0 offen offset:8
	buffer_load_dword v3, v9, s[0:3], 0 offen offset:12
	buffer_load_dword v4, v0, s[0:3], 0 offen
	buffer_load_dword v5, v0, s[0:3], 0 offen offset:4
	buffer_load_dword v6, v0, s[0:3], 0 offen offset:8
	buffer_load_dword v7, v0, s[0:3], 0 offen offset:12
	buffer_load_dword v8, v9, s[0:3], 0 offen
	s_waitcnt vmcnt(4)
	buffer_store_dword v4, v9, s[0:3], 0 offen
	s_waitcnt vmcnt(4)
	buffer_store_dword v5, v9, s[0:3], 0 offen offset:4
	s_waitcnt vmcnt(4)
	buffer_store_dword v6, v9, s[0:3], 0 offen offset:8
	s_waitcnt vmcnt(4)
	buffer_store_dword v7, v9, s[0:3], 0 offen offset:12
	buffer_store_dword v3, v0, s[0:3], 0 offen offset:12
	buffer_store_dword v2, v0, s[0:3], 0 offen offset:8
	buffer_store_dword v1, v0, s[0:3], 0 offen offset:4
	s_waitcnt vmcnt(7)
	buffer_store_dword v8, v0, s[0:3], 0 offen
.LBB56_466:
	s_or_b64 exec, exec, s[4:5]
	v_pk_mov_b32 v[0:1], s[10:11], s[10:11] op_sel:[0,1]
	flat_load_dword v0, v[0:1]
	s_waitcnt vmcnt(0) lgkmcnt(0)
	v_add_u32_e32 v0, -1, v0
	v_cmp_ne_u32_e32 vcc, 0, v0
	s_and_saveexec_b64 s[4:5], vcc
	s_cbranch_execz .LBB56_468
; %bb.467:
	v_mov_b32_e32 v1, 16
	v_lshl_add_u32 v0, v0, 4, v1
	buffer_load_dword v1, v0, s[0:3], 0 offen
	buffer_load_dword v2, v0, s[0:3], 0 offen offset:4
	buffer_load_dword v3, v0, s[0:3], 0 offen offset:8
	;; [unrolled: 1-line block ×3, first 2 shown]
	buffer_load_dword v5, off, s[0:3], 0 offset:28
	buffer_load_dword v6, off, s[0:3], 0 offset:24
	;; [unrolled: 1-line block ×4, first 2 shown]
	s_waitcnt vmcnt(7)
	buffer_store_dword v1, off, s[0:3], 0 offset:16
	s_waitcnt vmcnt(7)
	buffer_store_dword v2, off, s[0:3], 0 offset:20
	;; [unrolled: 2-line block ×4, first 2 shown]
	s_waitcnt vmcnt(7)
	buffer_store_dword v5, v0, s[0:3], 0 offen offset:12
	s_waitcnt vmcnt(7)
	buffer_store_dword v6, v0, s[0:3], 0 offen offset:8
	;; [unrolled: 2-line block ×3, first 2 shown]
	s_waitcnt vmcnt(7)
	buffer_store_dword v8, v0, s[0:3], 0 offen
.LBB56_468:
	s_or_b64 exec, exec, s[4:5]
.LBB56_469:
	buffer_load_dword v0, off, s[0:3], 0 offset:16
	buffer_load_dword v1, off, s[0:3], 0 offset:20
	;; [unrolled: 1-line block ×4, first 2 shown]
	v_accvgpr_read_b32 v5, a1
	v_accvgpr_read_b32 v4, a0
	s_waitcnt vmcnt(0)
	global_store_dwordx4 v[4:5], v[0:3], off
	s_nop 0
	v_accvgpr_read_b32 v3, a169
	buffer_load_dword v0, v3, s[0:3], 0 offen
	buffer_load_dword v1, v3, s[0:3], 0 offen offset:4
	buffer_load_dword v2, v3, s[0:3], 0 offen offset:8
	s_nop 0
	buffer_load_dword v3, v3, s[0:3], 0 offen offset:12
	v_accvgpr_read_b32 v5, a3
	v_accvgpr_read_b32 v4, a2
	s_waitcnt vmcnt(0)
	global_store_dwordx4 v[4:5], v[0:3], off
	s_nop 0
	v_accvgpr_read_b32 v3, a168
	buffer_load_dword v0, v3, s[0:3], 0 offen
	buffer_load_dword v1, v3, s[0:3], 0 offen offset:4
	buffer_load_dword v2, v3, s[0:3], 0 offen offset:8
	s_nop 0
	buffer_load_dword v3, v3, s[0:3], 0 offen offset:12
	;; [unrolled: 11-line block ×15, first 2 shown]
	v_accvgpr_read_b32 v4, a30
	v_accvgpr_read_b32 v5, a31
	s_waitcnt vmcnt(0)
	global_store_dwordx4 v[4:5], v[0:3], off
	v_accvgpr_read_b32 v4, a154
	buffer_load_dword v0, v4, s[0:3], 0 offen
	buffer_load_dword v1, v4, s[0:3], 0 offen offset:4
	buffer_load_dword v2, v4, s[0:3], 0 offen offset:8
	buffer_load_dword v3, v4, s[0:3], 0 offen offset:12
	v_accvgpr_read_b32 v4, a32
	v_accvgpr_read_b32 v5, a33
	s_waitcnt vmcnt(0)
	global_store_dwordx4 v[4:5], v[0:3], off
	v_accvgpr_read_b32 v4, a153
	buffer_load_dword v0, v4, s[0:3], 0 offen
	buffer_load_dword v1, v4, s[0:3], 0 offen offset:4
	buffer_load_dword v2, v4, s[0:3], 0 offen offset:8
	buffer_load_dword v3, v4, s[0:3], 0 offen offset:12
	;; [unrolled: 9-line block ×41, first 2 shown]
	v_accvgpr_read_b32 v4, a74
	v_accvgpr_read_b32 v5, a75
	s_waitcnt vmcnt(0)
	global_store_dwordx4 v[4:5], v[0:3], off
	s_endpgm
	.section	.rodata,"a",@progbits
	.p2align	6, 0x0
	.amdhsa_kernel _ZN9rocsolver6v33100L18getri_kernel_smallILi57E19rocblas_complex_numIdEPS3_EEvT1_iilPiilS6_bb
		.amdhsa_group_segment_fixed_size 1832
		.amdhsa_private_segment_fixed_size 944
		.amdhsa_kernarg_size 60
		.amdhsa_user_sgpr_count 8
		.amdhsa_user_sgpr_private_segment_buffer 1
		.amdhsa_user_sgpr_dispatch_ptr 0
		.amdhsa_user_sgpr_queue_ptr 0
		.amdhsa_user_sgpr_kernarg_segment_ptr 1
		.amdhsa_user_sgpr_dispatch_id 0
		.amdhsa_user_sgpr_flat_scratch_init 1
		.amdhsa_user_sgpr_kernarg_preload_length 0
		.amdhsa_user_sgpr_kernarg_preload_offset 0
		.amdhsa_user_sgpr_private_segment_size 0
		.amdhsa_uses_dynamic_stack 0
		.amdhsa_system_sgpr_private_segment_wavefront_offset 1
		.amdhsa_system_sgpr_workgroup_id_x 1
		.amdhsa_system_sgpr_workgroup_id_y 0
		.amdhsa_system_sgpr_workgroup_id_z 0
		.amdhsa_system_sgpr_workgroup_info 0
		.amdhsa_system_vgpr_workitem_id 0
		.amdhsa_next_free_vgpr 466
		.amdhsa_next_free_sgpr 23
		.amdhsa_accum_offset 256
		.amdhsa_reserve_vcc 1
		.amdhsa_reserve_flat_scratch 1
		.amdhsa_float_round_mode_32 0
		.amdhsa_float_round_mode_16_64 0
		.amdhsa_float_denorm_mode_32 3
		.amdhsa_float_denorm_mode_16_64 3
		.amdhsa_dx10_clamp 1
		.amdhsa_ieee_mode 1
		.amdhsa_fp16_overflow 0
		.amdhsa_tg_split 0
		.amdhsa_exception_fp_ieee_invalid_op 0
		.amdhsa_exception_fp_denorm_src 0
		.amdhsa_exception_fp_ieee_div_zero 0
		.amdhsa_exception_fp_ieee_overflow 0
		.amdhsa_exception_fp_ieee_underflow 0
		.amdhsa_exception_fp_ieee_inexact 0
		.amdhsa_exception_int_div_zero 0
	.end_amdhsa_kernel
	.section	.text._ZN9rocsolver6v33100L18getri_kernel_smallILi57E19rocblas_complex_numIdEPS3_EEvT1_iilPiilS6_bb,"axG",@progbits,_ZN9rocsolver6v33100L18getri_kernel_smallILi57E19rocblas_complex_numIdEPS3_EEvT1_iilPiilS6_bb,comdat
.Lfunc_end56:
	.size	_ZN9rocsolver6v33100L18getri_kernel_smallILi57E19rocblas_complex_numIdEPS3_EEvT1_iilPiilS6_bb, .Lfunc_end56-_ZN9rocsolver6v33100L18getri_kernel_smallILi57E19rocblas_complex_numIdEPS3_EEvT1_iilPiilS6_bb
                                        ; -- End function
	.section	.AMDGPU.csdata,"",@progbits
; Kernel info:
; codeLenInByte = 202556
; NumSgprs: 29
; NumVgprs: 256
; NumAgprs: 210
; TotalNumVgprs: 466
; ScratchSize: 944
; MemoryBound: 0
; FloatMode: 240
; IeeeMode: 1
; LDSByteSize: 1832 bytes/workgroup (compile time only)
; SGPRBlocks: 3
; VGPRBlocks: 58
; NumSGPRsForWavesPerEU: 29
; NumVGPRsForWavesPerEU: 466
; AccumOffset: 256
; Occupancy: 1
; WaveLimiterHint : 1
; COMPUTE_PGM_RSRC2:SCRATCH_EN: 1
; COMPUTE_PGM_RSRC2:USER_SGPR: 8
; COMPUTE_PGM_RSRC2:TRAP_HANDLER: 0
; COMPUTE_PGM_RSRC2:TGID_X_EN: 1
; COMPUTE_PGM_RSRC2:TGID_Y_EN: 0
; COMPUTE_PGM_RSRC2:TGID_Z_EN: 0
; COMPUTE_PGM_RSRC2:TIDIG_COMP_CNT: 0
; COMPUTE_PGM_RSRC3_GFX90A:ACCUM_OFFSET: 63
; COMPUTE_PGM_RSRC3_GFX90A:TG_SPLIT: 0
	.section	.text._ZN9rocsolver6v33100L18getri_kernel_smallILi58E19rocblas_complex_numIdEPS3_EEvT1_iilPiilS6_bb,"axG",@progbits,_ZN9rocsolver6v33100L18getri_kernel_smallILi58E19rocblas_complex_numIdEPS3_EEvT1_iilPiilS6_bb,comdat
	.globl	_ZN9rocsolver6v33100L18getri_kernel_smallILi58E19rocblas_complex_numIdEPS3_EEvT1_iilPiilS6_bb ; -- Begin function _ZN9rocsolver6v33100L18getri_kernel_smallILi58E19rocblas_complex_numIdEPS3_EEvT1_iilPiilS6_bb
	.p2align	8
	.type	_ZN9rocsolver6v33100L18getri_kernel_smallILi58E19rocblas_complex_numIdEPS3_EEvT1_iilPiilS6_bb,@function
_ZN9rocsolver6v33100L18getri_kernel_smallILi58E19rocblas_complex_numIdEPS3_EEvT1_iilPiilS6_bb: ; @_ZN9rocsolver6v33100L18getri_kernel_smallILi58E19rocblas_complex_numIdEPS3_EEvT1_iilPiilS6_bb
; %bb.0:
	s_add_u32 flat_scratch_lo, s6, s9
	s_addc_u32 flat_scratch_hi, s7, 0
	s_add_u32 s0, s0, s9
	s_addc_u32 s1, s1, 0
	v_cmp_gt_u32_e32 vcc, 58, v0
	s_and_saveexec_b64 s[6:7], vcc
	s_cbranch_execz .LBB57_246
; %bb.1:
	s_load_dword s22, s[4:5], 0x38
	s_load_dwordx4 s[16:19], s[4:5], 0x10
	s_load_dwordx4 s[12:15], s[4:5], 0x28
                                        ; implicit-def: $sgpr10_sgpr11
	s_waitcnt lgkmcnt(0)
	s_bitcmp1_b32 s22, 8
	s_cselect_b64 s[20:21], -1, 0
	s_ashr_i32 s9, s8, 31
	s_bfe_u32 s6, s22, 0x10008
	s_cmp_eq_u32 s6, 0
	s_cbranch_scc1 .LBB57_3
; %bb.2:
	s_load_dword s6, s[4:5], 0x20
	s_mul_i32 s7, s8, s13
	s_mul_hi_u32 s10, s8, s12
	s_mul_i32 s11, s9, s12
	s_add_i32 s10, s10, s7
	s_add_i32 s11, s10, s11
	s_mul_i32 s10, s8, s12
	s_waitcnt lgkmcnt(0)
	s_ashr_i32 s7, s6, 31
	s_lshl_b64 s[10:11], s[10:11], 2
	s_add_u32 s10, s18, s10
	s_addc_u32 s11, s19, s11
	s_lshl_b64 s[6:7], s[6:7], 2
	s_add_u32 s10, s10, s6
	s_addc_u32 s11, s11, s7
.LBB57_3:
	s_load_dwordx4 s[4:7], s[4:5], 0x0
	s_mul_i32 s12, s8, s17
	s_mul_hi_u32 s13, s8, s16
	s_add_i32 s17, s13, s12
	v_lshlrev_b32_e32 v1, 4, v0
	s_waitcnt lgkmcnt(0)
	s_ashr_i32 s13, s6, 31
	s_mov_b32 s12, s6
	s_mul_i32 s6, s9, s16
	s_add_i32 s17, s17, s6
	s_mul_i32 s16, s8, s16
	s_lshl_b64 s[16:17], s[16:17], 4
	s_add_u32 s6, s4, s16
	s_addc_u32 s16, s5, s17
	s_lshl_b64 s[4:5], s[12:13], 4
	s_add_u32 s4, s6, s4
	s_addc_u32 s5, s16, s5
	s_add_i32 s6, s7, s7
	v_add_u32_e32 v4, s6, v0
	v_ashrrev_i32_e32 v5, 31, v4
	v_add_u32_e32 v2, s7, v4
	v_lshlrev_b64 v[4:5], 4, v[4:5]
	v_mov_b32_e32 v3, s5
	v_add_co_u32_e32 v4, vcc, s4, v4
	v_addc_co_u32_e32 v5, vcc, v3, v5, vcc
	v_add_co_u32_e32 v106, vcc, s4, v1
	s_ashr_i32 s13, s7, 31
	s_mov_b32 s12, s7
	global_load_dwordx4 v[100:103], v1, s[4:5]
	v_addc_co_u32_e32 v107, vcc, 0, v3, vcc
	s_lshl_b64 s[12:13], s[12:13], 4
	v_mov_b32_e32 v3, s13
	v_add_co_u32_e32 v104, vcc, s12, v106
	v_addc_co_u32_e32 v105, vcc, v107, v3, vcc
	v_accvgpr_write_b32 a115, v107
	v_accvgpr_write_b32 a111, v105
	;; [unrolled: 1-line block ×4, first 2 shown]
	global_load_dwordx4 v[104:107], v[104:105], off
	v_ashrrev_i32_e32 v3, 31, v2
	global_load_dwordx4 v[108:111], v[4:5], off
	v_add_u32_e32 v8, s7, v2
	v_accvgpr_write_b32 a93, v5
	v_lshlrev_b64 v[2:3], 4, v[2:3]
	v_accvgpr_write_b32 a92, v4
	v_mov_b32_e32 v4, s5
	v_add_co_u32_e32 v112, vcc, s4, v2
	v_addc_co_u32_e32 v113, vcc, v4, v3, vcc
	v_accvgpr_write_b32 a104, v112
	v_ashrrev_i32_e32 v9, 31, v8
	v_accvgpr_write_b32 a105, v113
	global_load_dwordx4 v[112:115], v[112:113], off
	v_lshlrev_b64 v[2:3], 4, v[8:9]
	v_add_co_u32_e32 v2, vcc, s4, v2
	v_add_u32_e32 v10, s7, v8
	v_addc_co_u32_e32 v3, vcc, v4, v3, vcc
	v_accvgpr_write_b32 a95, v3
	global_load_dwordx4 v[116:119], v[2:3], off
	v_ashrrev_i32_e32 v11, 31, v10
	v_accvgpr_write_b32 a94, v2
	v_lshlrev_b64 v[2:3], 4, v[10:11]
	v_add_co_u32_e32 v8, vcc, s4, v2
	v_add_u32_e32 v12, s7, v10
	v_addc_co_u32_e32 v9, vcc, v4, v3, vcc
	v_ashrrev_i32_e32 v13, 31, v12
	global_load_dwordx4 v[120:123], v[8:9], off
	v_lshlrev_b64 v[2:3], 4, v[12:13]
	v_add_co_u32_e32 v2, vcc, s4, v2
	v_add_u32_e32 v18, s7, v12
	v_addc_co_u32_e32 v3, vcc, v4, v3, vcc
	global_load_dwordx4 v[124:127], v[2:3], off
	v_accvgpr_write_b32 a81, v3
	v_ashrrev_i32_e32 v19, 31, v18
	v_add_u32_e32 v24, s7, v18
	v_accvgpr_write_b32 a97, v9
	v_accvgpr_write_b32 a80, v2
	v_lshlrev_b64 v[2:3], 4, v[18:19]
	v_add_u32_e32 v26, s7, v24
	v_accvgpr_write_b32 a96, v8
	v_add_co_u32_e32 v8, vcc, s4, v2
	v_add_u32_e32 v32, s7, v26
	v_addc_co_u32_e32 v9, vcc, v4, v3, vcc
	v_add_u32_e32 v34, s7, v32
	v_ashrrev_i32_e32 v25, 31, v24
	global_load_dwordx4 v[128:131], v[8:9], off
	v_add_u32_e32 v42, s7, v34
	v_lshlrev_b64 v[2:3], 4, v[24:25]
	v_add_u32_e32 v44, s7, v42
	v_add_co_u32_e32 v2, vcc, s4, v2
	v_add_u32_e32 v54, s7, v44
	v_addc_co_u32_e32 v3, vcc, v4, v3, vcc
	global_load_dwordx4 v[132:135], v[2:3], off
	v_add_u32_e32 v56, s7, v54
	v_accvgpr_write_b32 a69, v3
	v_ashrrev_i32_e32 v27, 31, v26
	v_add_u32_e32 v66, s7, v56
	v_accvgpr_write_b32 a83, v9
	v_accvgpr_write_b32 a68, v2
	v_lshlrev_b64 v[2:3], 4, v[26:27]
	v_add_u32_e32 v6, s7, v66
	v_accvgpr_write_b32 a82, v8
	v_add_co_u32_e32 v8, vcc, s4, v2
	v_add_u32_e32 v14, s7, v6
	v_addc_co_u32_e32 v9, vcc, v4, v3, vcc
	v_add_u32_e32 v16, s7, v14
	v_ashrrev_i32_e32 v33, 31, v32
	global_load_dwordx4 v[136:139], v[8:9], off
	v_add_u32_e32 v20, s7, v16
	v_lshlrev_b64 v[2:3], 4, v[32:33]
	v_add_u32_e32 v22, s7, v20
	v_add_co_u32_e32 v2, vcc, s4, v2
	v_add_u32_e32 v28, s7, v22
	v_addc_co_u32_e32 v3, vcc, v4, v3, vcc
	global_load_dwordx4 v[140:143], v[2:3], off
	v_add_u32_e32 v30, s7, v28
	;; [unrolled: 22-line block ×5, first 2 shown]
	v_add_u32_e32 v92, s7, v86
	v_add_u32_e32 v94, s7, v92
	;; [unrolled: 1-line block ×8, first 2 shown]
	v_accvgpr_write_b32 a35, v3
	v_add_u32_e32 v18, s7, v24
	v_accvgpr_write_b32 a34, v2
	v_add_u32_e32 v2, s7, v18
	v_ashrrev_i32_e32 v3, 31, v2
	v_lshlrev_b64 v[2:3], 4, v[2:3]
	v_add_co_u32_e32 v2, vcc, s4, v2
	v_ashrrev_i32_e32 v7, 31, v6
	v_accvgpr_write_b32 a43, v9
	v_addc_co_u32_e32 v3, vcc, v4, v3, vcc
	v_lshlrev_b64 v[6:7], 4, v[6:7]
	v_accvgpr_write_b32 a42, v8
	v_accvgpr_write_b32 a0, v2
	v_mov_b32_e32 v8, s5
	v_add_co_u32_e32 v44, vcc, s4, v6
	v_accvgpr_write_b32 a1, v3
	global_load_dwordx4 v[2:5], v[2:3], off
	s_waitcnt vmcnt(17)
	buffer_store_dword v103, off, s[0:3], 0 offset:28
	buffer_store_dword v102, off, s[0:3], 0 offset:24
	buffer_store_dword v101, off, s[0:3], 0 offset:20
	buffer_store_dword v100, off, s[0:3], 0 offset:16
	s_waitcnt vmcnt(20)
	buffer_store_dword v107, off, s[0:3], 0 offset:44
	buffer_store_dword v106, off, s[0:3], 0 offset:40
	buffer_store_dword v105, off, s[0:3], 0 offset:36
	buffer_store_dword v104, off, s[0:3], 0 offset:32
	;; [unrolled: 5-line block ×16, first 2 shown]
	s_waitcnt vmcnt(62)
	buffer_store_dword v13, off, s[0:3], 0 offset:284
	v_addc_co_u32_e32 v45, vcc, v8, v7, vcc
	v_ashrrev_i32_e32 v15, 31, v14
	v_lshlrev_b64 v[6:7], 4, v[14:15]
	global_load_dwordx4 v[54:57], v[44:45], off
	v_add_co_u32_e32 v6, vcc, s4, v6
	v_addc_co_u32_e32 v7, vcc, v8, v7, vcc
	global_load_dwordx4 v[100:103], v[6:7], off
	v_accvgpr_write_b32 a107, v7
	v_ashrrev_i32_e32 v17, 31, v16
	v_accvgpr_write_b32 a106, v6
	v_lshlrev_b64 v[6:7], 4, v[16:17]
	v_add_co_u32_e32 v14, vcc, s4, v6
	v_addc_co_u32_e32 v15, vcc, v8, v7, vcc
	v_ashrrev_i32_e32 v21, 31, v20
	v_accvgpr_write_b32 a109, v15
	v_lshlrev_b64 v[6:7], 4, v[20:21]
	v_accvgpr_write_b32 a108, v14
	global_load_dwordx4 v[14:17], v[14:15], off
	v_add_co_u32_e32 v6, vcc, s4, v6
	v_addc_co_u32_e32 v7, vcc, v8, v7, vcc
	global_load_dwordx4 v[104:107], v[6:7], off
	v_accvgpr_write_b32 a101, v7
	v_ashrrev_i32_e32 v23, 31, v22
	v_accvgpr_write_b32 a100, v6
	v_lshlrev_b64 v[6:7], 4, v[22:23]
	v_add_co_u32_e32 v20, vcc, s4, v6
	v_addc_co_u32_e32 v21, vcc, v8, v7, vcc
	v_ashrrev_i32_e32 v29, 31, v28
	v_accvgpr_write_b32 a103, v21
	v_lshlrev_b64 v[6:7], 4, v[28:29]
	v_accvgpr_write_b32 a102, v20
	;; [unrolled: 14-line block ×3, first 2 shown]
	global_load_dwordx4 v[28:31], v[28:29], off
	v_add_co_u32_e32 v6, vcc, s4, v6
	v_addc_co_u32_e32 v7, vcc, v8, v7, vcc
	global_load_dwordx4 v[112:115], v[6:7], off
	v_accvgpr_write_b32 a77, v7
	v_ashrrev_i32_e32 v41, 31, v40
	v_accvgpr_write_b32 a76, v6
	v_lshlrev_b64 v[6:7], 4, v[40:41]
	v_add_co_u32_e32 v38, vcc, s4, v6
	v_addc_co_u32_e32 v39, vcc, v8, v7, vcc
	v_accvgpr_write_b32 a79, v39
	v_ashrrev_i32_e32 v51, 31, v50
	v_accvgpr_write_b32 a78, v38
	global_load_dwordx4 v[38:41], v[38:39], off
	v_lshlrev_b64 v[6:7], 4, v[50:51]
	v_add_co_u32_e32 v6, vcc, s4, v6
	v_addc_co_u32_e32 v7, vcc, v8, v7, vcc
	global_load_dwordx4 v[116:119], v[6:7], off
	v_accvgpr_write_b32 a65, v7
	v_ashrrev_i32_e32 v53, 31, v52
	v_accvgpr_write_b32 a113, v45
	v_accvgpr_write_b32 a64, v6
	v_lshlrev_b64 v[6:7], 4, v[52:53]
	v_accvgpr_write_b32 a112, v44
	v_add_co_u32_e32 v44, vcc, s4, v6
	v_addc_co_u32_e32 v45, vcc, v8, v7, vcc
	v_ashrrev_i32_e32 v63, 31, v62
	global_load_dwordx4 v[50:53], v[44:45], off
	v_lshlrev_b64 v[6:7], 4, v[62:63]
	v_add_co_u32_e32 v6, vcc, s4, v6
	v_addc_co_u32_e32 v7, vcc, v8, v7, vcc
	global_load_dwordx4 v[120:123], v[6:7], off
	v_accvgpr_write_b32 a49, v7
	v_ashrrev_i32_e32 v65, 31, v64
	v_accvgpr_write_b32 a67, v45
	v_accvgpr_write_b32 a48, v6
	v_lshlrev_b64 v[6:7], 4, v[64:65]
	v_accvgpr_write_b32 a66, v44
	v_add_co_u32_e32 v44, vcc, s4, v6
	v_addc_co_u32_e32 v45, vcc, v8, v7, vcc
	v_ashrrev_i32_e32 v73, 31, v72
	;; [unrolled: 14-line block ×5, first 2 shown]
	v_lshlrev_b64 v[6:7], 4, v[96:97]
	global_load_dwordx4 v[88:91], v[44:45], off
	v_add_co_u32_e32 v6, vcc, s4, v6
	v_addc_co_u32_e32 v7, vcc, v8, v7, vcc
	v_accvgpr_write_b32 a13, v7
	v_accvgpr_write_b32 a12, v6
	global_load_dwordx4 v[6:9], v[6:7], off
	v_ashrrev_i32_e32 v37, 31, v36
	buffer_store_dword v12, off, s[0:3], 0 offset:280
	buffer_store_dword v11, off, s[0:3], 0 offset:276
	buffer_store_dword v10, off, s[0:3], 0 offset:272
	s_waitcnt vmcnt(22)
	buffer_store_dword v57, off, s[0:3], 0 offset:300
	buffer_store_dword v56, off, s[0:3], 0 offset:296
	buffer_store_dword v55, off, s[0:3], 0 offset:292
	buffer_store_dword v54, off, s[0:3], 0 offset:288
	s_waitcnt vmcnt(25)
	buffer_store_dword v103, off, s[0:3], 0 offset:316
	;; [unrolled: 5-line block ×15, first 2 shown]
	buffer_store_dword v74, off, s[0:3], 0 offset:520
	buffer_store_dword v73, off, s[0:3], 0 offset:516
	;; [unrolled: 1-line block ×11, first 2 shown]
	s_waitcnt vmcnt(62)
	buffer_store_dword v135, off, s[0:3], 0 offset:572
	buffer_store_dword v134, off, s[0:3], 0 offset:568
	;; [unrolled: 1-line block ×9, first 2 shown]
	v_lshlrev_b64 v[10:11], 4, v[36:37]
	v_mov_b32_e32 v9, s5
	v_add_co_u32_e32 v12, vcc, s4, v10
	v_ashrrev_i32_e32 v47, 31, v46
	v_addc_co_u32_e32 v13, vcc, v9, v11, vcc
	v_lshlrev_b64 v[10:11], 4, v[46:47]
	v_add_co_u32_e32 v14, vcc, s4, v10
	v_accvgpr_write_b32 a99, v13
	v_addc_co_u32_e32 v15, vcc, v9, v11, vcc
	v_accvgpr_write_b32 a98, v12
	global_load_dwordx4 v[10:13], v[12:13], off
	v_accvgpr_write_b32 a85, v15
	v_ashrrev_i32_e32 v49, 31, v48
	v_accvgpr_write_b32 a84, v14
	global_load_dwordx4 v[14:17], v[14:15], off
	v_lshlrev_b64 v[20:21], 4, v[48:49]
	v_add_co_u32_e32 v22, vcc, s4, v20
	v_ashrrev_i32_e32 v59, 31, v58
	v_addc_co_u32_e32 v23, vcc, v9, v21, vcc
	v_lshlrev_b64 v[20:21], 4, v[58:59]
	v_add_co_u32_e32 v28, vcc, s4, v20
	v_accvgpr_write_b32 a87, v23
	v_addc_co_u32_e32 v29, vcc, v9, v21, vcc
	v_accvgpr_write_b32 a86, v22
	global_load_dwordx4 v[20:23], v[22:23], off
	v_accvgpr_write_b32 a71, v29
	v_ashrrev_i32_e32 v61, 31, v60
	v_accvgpr_write_b32 a70, v28
	global_load_dwordx4 v[28:31], v[28:29], off
	v_lshlrev_b64 v[36:37], 4, v[60:61]
	v_add_co_u32_e32 v38, vcc, s4, v36
	v_ashrrev_i32_e32 v69, 31, v68
	v_addc_co_u32_e32 v39, vcc, v9, v37, vcc
	v_lshlrev_b64 v[36:37], 4, v[68:69]
	v_add_co_u32_e32 v40, vcc, s4, v36
	v_accvgpr_write_b32 a73, v39
	v_addc_co_u32_e32 v41, vcc, v9, v37, vcc
	v_accvgpr_write_b32 a72, v38
	global_load_dwordx4 v[36:39], v[38:39], off
	v_accvgpr_write_b32 a20, v44
	v_accvgpr_write_b32 a57, v41
	v_ashrrev_i32_e32 v71, 31, v70
	v_accvgpr_write_b32 a21, v45
	v_accvgpr_write_b32 a56, v40
	global_load_dwordx4 v[44:47], v[40:41], off
	v_lshlrev_b64 v[40:41], 4, v[70:71]
	v_add_co_u32_e32 v48, vcc, s4, v40
	v_addc_co_u32_e32 v49, vcc, v9, v41, vcc
	v_accvgpr_write_b32 a59, v49
	v_ashrrev_i32_e32 v77, 31, v76
	v_accvgpr_write_b32 a58, v48
	global_load_dwordx4 v[48:51], v[48:49], off
	v_lshlrev_b64 v[40:41], 4, v[76:77]
	v_add_co_u32_e32 v40, vcc, s4, v40
	v_addc_co_u32_e32 v41, vcc, v9, v41, vcc
	global_load_dwordx4 v[52:55], v[40:41], off
	v_accvgpr_write_b32 a45, v41
	v_ashrrev_i32_e32 v79, 31, v78
	v_accvgpr_write_b32 a44, v40
	v_lshlrev_b64 v[40:41], 4, v[78:79]
	v_add_co_u32_e32 v56, vcc, s4, v40
	v_addc_co_u32_e32 v57, vcc, v9, v41, vcc
	v_accvgpr_write_b32 a46, v56
	v_ashrrev_i32_e32 v85, 31, v84
	v_accvgpr_write_b32 a47, v57
	global_load_dwordx4 v[56:59], v[56:57], off
	v_lshlrev_b64 v[40:41], 4, v[84:85]
	v_add_co_u32_e32 v40, vcc, s4, v40
	v_addc_co_u32_e32 v41, vcc, v9, v41, vcc
	global_load_dwordx4 v[60:63], v[40:41], off
	v_accvgpr_write_b32 a30, v40
	v_ashrrev_i32_e32 v87, 31, v86
	v_accvgpr_write_b32 a31, v41
	;; [unrolled: 14-line block ×4, first 2 shown]
	v_lshlrev_b64 v[40:41], 4, v[42:43]
	v_add_co_u32_e32 v40, vcc, s4, v40
	v_addc_co_u32_e32 v41, vcc, v9, v41, vcc
	v_accvgpr_write_b32 a16, v40
	v_ashrrev_i32_e32 v35, 31, v34
	v_accvgpr_write_b32 a17, v41
	global_load_dwordx4 v[40:43], v[40:41], off
	v_lshlrev_b64 v[34:35], 4, v[34:35]
	v_add_co_u32_e32 v34, vcc, s4, v34
	v_addc_co_u32_e32 v35, vcc, v9, v35, vcc
	global_load_dwordx4 v[80:83], v[34:35], off
	v_ashrrev_i32_e32 v33, 31, v32
	v_lshlrev_b64 v[32:33], 4, v[32:33]
	v_add_co_u32_e32 v32, vcc, s4, v32
	v_accvgpr_write_b32 a8, v34
	v_addc_co_u32_e32 v33, vcc, v9, v33, vcc
	v_accvgpr_write_b32 a10, v32
	v_accvgpr_write_b32 a9, v35
	v_ashrrev_i32_e32 v27, 31, v26
	v_accvgpr_write_b32 a11, v33
	global_load_dwordx4 v[32:35], v[32:33], off
	v_lshlrev_b64 v[26:27], 4, v[26:27]
	v_add_co_u32_e32 v26, vcc, s4, v26
	v_addc_co_u32_e32 v27, vcc, v9, v27, vcc
	global_load_dwordx4 v[84:87], v[26:27], off
	v_ashrrev_i32_e32 v25, 31, v24
	v_lshlrev_b64 v[24:25], 4, v[24:25]
	v_add_co_u32_e32 v24, vcc, s4, v24
	v_accvgpr_write_b32 a4, v26
	v_addc_co_u32_e32 v25, vcc, v9, v25, vcc
	v_accvgpr_write_b32 a6, v24
	v_accvgpr_write_b32 a5, v27
	v_ashrrev_i32_e32 v19, 31, v18
	v_accvgpr_write_b32 a7, v25
	global_load_dwordx4 v[24:27], v[24:25], off
	v_lshlrev_b64 v[18:19], 4, v[18:19]
	v_add_co_u32_e32 v18, vcc, s4, v18
	v_addc_co_u32_e32 v19, vcc, v9, v19, vcc
	global_load_dwordx4 v[88:91], v[18:19], off
	s_nop 0
	buffer_store_dword v8, off, s[0:3], 0 offset:600
	buffer_store_dword v7, off, s[0:3], 0 offset:596
	buffer_store_dword v6, off, s[0:3], 0 offset:592
	s_waitcnt vmcnt(22)
	buffer_store_dword v13, off, s[0:3], 0 offset:620
	buffer_store_dword v12, off, s[0:3], 0 offset:616
	buffer_store_dword v11, off, s[0:3], 0 offset:612
	buffer_store_dword v10, off, s[0:3], 0 offset:608
	s_waitcnt vmcnt(25)
	buffer_store_dword v17, off, s[0:3], 0 offset:636
	;; [unrolled: 5-line block ×15, first 2 shown]
	buffer_store_dword v42, off, s[0:3], 0 offset:840
	buffer_store_dword v41, off, s[0:3], 0 offset:836
	;; [unrolled: 1-line block ×11, first 2 shown]
	s_waitcnt vmcnt(62)
	buffer_store_dword v87, off, s[0:3], 0 offset:892
	buffer_store_dword v86, off, s[0:3], 0 offset:888
	;; [unrolled: 1-line block ×16, first 2 shown]
	v_mov_b32_e32 v2, 16
	v_add_u32_e32 v3, 16, v2
	v_accvgpr_write_b32 a172, v3
	v_add_u32_e32 v3, 32, v2
	v_accvgpr_write_b32 a171, v3
	;; [unrolled: 2-line block ×55, first 2 shown]
	v_accvgpr_write_b32 a118, v3
	v_add_u32_e32 v3, 0x380, v2
	v_add_u32_e32 v2, 0x390, v2
	v_accvgpr_write_b32 a3, v19
	s_bitcmp0_b32 s22, 0
	v_accvgpr_write_b32 a117, v3
	v_accvgpr_write_b32 a116, v2
	s_mov_b64 s[6:7], -1
	s_cbranch_scc1 .LBB57_244
; %bb.4:
	v_cmp_eq_u32_e64 s[4:5], 0, v0
	s_and_saveexec_b64 s[6:7], s[4:5]
	s_cbranch_execz .LBB57_6
; %bb.5:
	v_mov_b32_e32 v2, 0
	ds_write_b32 v2, v2 offset:1856
.LBB57_6:
	s_or_b64 exec, exec, s[6:7]
	v_mov_b32_e32 v2, 16
	v_lshl_add_u32 v12, v0, 4, v2
	s_waitcnt lgkmcnt(0)
	; wave barrier
	s_waitcnt lgkmcnt(0)
	buffer_load_dword v2, v12, s[0:3], 0 offen
	buffer_load_dword v3, v12, s[0:3], 0 offen offset:4
	buffer_load_dword v4, v12, s[0:3], 0 offen offset:8
	buffer_load_dword v5, v12, s[0:3], 0 offen offset:12
	s_waitcnt vmcnt(2)
	v_cmp_eq_f64_e32 vcc, 0, v[2:3]
	s_waitcnt vmcnt(0)
	v_cmp_eq_f64_e64 s[6:7], 0, v[4:5]
	s_and_b64 s[6:7], vcc, s[6:7]
	s_and_saveexec_b64 s[12:13], s[6:7]
	s_cbranch_execz .LBB57_10
; %bb.7:
	v_mov_b32_e32 v2, 0
	ds_read_b32 v4, v2 offset:1856
	v_add_u32_e32 v3, 1, v0
	s_waitcnt lgkmcnt(0)
	v_readfirstlane_b32 s6, v4
	s_cmp_eq_u32 s6, 0
	s_cselect_b64 s[16:17], -1, 0
	v_cmp_gt_i32_e32 vcc, s6, v3
	s_or_b64 s[16:17], s[16:17], vcc
	s_and_b64 exec, exec, s[16:17]
	s_cbranch_execz .LBB57_10
; %bb.8:
	s_mov_b64 s[16:17], 0
	v_mov_b32_e32 v4, s6
.LBB57_9:                               ; =>This Inner Loop Header: Depth=1
	ds_cmpst_rtn_b32 v4, v2, v4, v3 offset:1856
	s_waitcnt lgkmcnt(0)
	v_cmp_ne_u32_e32 vcc, 0, v4
	v_cmp_le_i32_e64 s[6:7], v4, v3
	s_and_b64 s[6:7], vcc, s[6:7]
	s_and_b64 s[6:7], exec, s[6:7]
	s_or_b64 s[16:17], s[6:7], s[16:17]
	s_andn2_b64 exec, exec, s[16:17]
	s_cbranch_execnz .LBB57_9
.LBB57_10:
	s_or_b64 exec, exec, s[12:13]
	v_mov_b32_e32 v3, 0
	s_waitcnt lgkmcnt(0)
	; wave barrier
	ds_read_b32 v2, v3 offset:1856
	s_and_saveexec_b64 s[6:7], s[4:5]
	s_cbranch_execz .LBB57_12
; %bb.11:
	s_lshl_b64 s[12:13], s[8:9], 2
	s_add_u32 s12, s14, s12
	s_addc_u32 s13, s15, s13
	s_waitcnt lgkmcnt(0)
	global_store_dword v3, v2, s[12:13]
.LBB57_12:
	s_or_b64 exec, exec, s[6:7]
	s_waitcnt lgkmcnt(0)
	v_cmp_ne_u32_e32 vcc, 0, v2
	s_mov_b64 s[6:7], 0
	s_cbranch_vccnz .LBB57_244
; %bb.13:
	buffer_load_dword v7, v12, s[0:3], 0 offen offset:4
	buffer_load_dword v6, v12, s[0:3], 0 offen
	buffer_load_dword v9, v12, s[0:3], 0 offen offset:12
	buffer_load_dword v8, v12, s[0:3], 0 offen offset:8
                                        ; implicit-def: $vgpr10_vgpr11
	s_waitcnt vmcnt(3)
	v_xor_b32_e32 v3, 0x80000000, v7
	s_waitcnt vmcnt(2)
	v_cmp_gt_f64_e32 vcc, 0, v[6:7]
	s_waitcnt vmcnt(1)
	v_xor_b32_e32 v4, 0x80000000, v9
	v_cndmask_b32_e32 v3, v7, v3, vcc
	s_waitcnt vmcnt(0)
	v_cmp_gt_f64_e32 vcc, 0, v[8:9]
	v_mov_b32_e32 v2, v6
	v_cndmask_b32_e32 v5, v9, v4, vcc
	v_mov_b32_e32 v4, v8
	v_cmp_ngt_f64_e32 vcc, v[2:3], v[4:5]
                                        ; implicit-def: $vgpr4_vgpr5
	s_and_saveexec_b64 s[6:7], vcc
	s_xor_b64 s[6:7], exec, s[6:7]
	s_cbranch_execz .LBB57_15
; %bb.14:
	v_div_scale_f64 v[2:3], s[12:13], v[8:9], v[8:9], v[6:7]
	v_rcp_f64_e32 v[4:5], v[2:3]
	v_div_scale_f64 v[10:11], vcc, v[6:7], v[8:9], v[6:7]
	v_fma_f64 v[14:15], -v[2:3], v[4:5], 1.0
	v_fmac_f64_e32 v[4:5], v[4:5], v[14:15]
	v_fma_f64 v[14:15], -v[2:3], v[4:5], 1.0
	v_fmac_f64_e32 v[4:5], v[4:5], v[14:15]
	v_mul_f64 v[14:15], v[10:11], v[4:5]
	v_fma_f64 v[2:3], -v[2:3], v[14:15], v[10:11]
	v_div_fmas_f64 v[2:3], v[2:3], v[4:5], v[14:15]
	v_div_fixup_f64 v[2:3], v[2:3], v[8:9], v[6:7]
	v_fmac_f64_e32 v[8:9], v[6:7], v[2:3]
	v_div_scale_f64 v[4:5], s[12:13], v[8:9], v[8:9], 1.0
	v_rcp_f64_e32 v[6:7], v[4:5]
	v_fma_f64 v[10:11], -v[4:5], v[6:7], 1.0
	v_fmac_f64_e32 v[6:7], v[6:7], v[10:11]
	v_fma_f64 v[10:11], -v[4:5], v[6:7], 1.0
	v_fmac_f64_e32 v[6:7], v[6:7], v[10:11]
	v_div_scale_f64 v[10:11], vcc, 1.0, v[8:9], 1.0
	v_mul_f64 v[14:15], v[10:11], v[6:7]
	v_fma_f64 v[4:5], -v[4:5], v[14:15], v[10:11]
	s_nop 1
	v_div_fmas_f64 v[4:5], v[4:5], v[6:7], v[14:15]
	v_div_fixup_f64 v[4:5], v[4:5], v[8:9], 1.0
	v_mul_f64 v[10:11], v[2:3], v[4:5]
	v_xor_b32_e32 v5, 0x80000000, v5
	v_xor_b32_e32 v3, 0x80000000, v11
	v_mov_b32_e32 v2, v10
                                        ; implicit-def: $vgpr6_vgpr7
                                        ; implicit-def: $vgpr8_vgpr9
.LBB57_15:
	s_andn2_saveexec_b64 s[6:7], s[6:7]
	s_cbranch_execz .LBB57_17
; %bb.16:
	v_div_scale_f64 v[2:3], s[12:13], v[6:7], v[6:7], v[8:9]
	v_rcp_f64_e32 v[4:5], v[2:3]
	v_div_scale_f64 v[10:11], vcc, v[8:9], v[6:7], v[8:9]
	v_fma_f64 v[14:15], -v[2:3], v[4:5], 1.0
	v_fmac_f64_e32 v[4:5], v[4:5], v[14:15]
	v_fma_f64 v[14:15], -v[2:3], v[4:5], 1.0
	v_fmac_f64_e32 v[4:5], v[4:5], v[14:15]
	v_mul_f64 v[14:15], v[10:11], v[4:5]
	v_fma_f64 v[2:3], -v[2:3], v[14:15], v[10:11]
	v_div_fmas_f64 v[2:3], v[2:3], v[4:5], v[14:15]
	v_div_fixup_f64 v[4:5], v[2:3], v[6:7], v[8:9]
	v_fmac_f64_e32 v[6:7], v[8:9], v[4:5]
	v_div_scale_f64 v[2:3], s[12:13], v[6:7], v[6:7], 1.0
	v_rcp_f64_e32 v[8:9], v[2:3]
	v_fma_f64 v[10:11], -v[2:3], v[8:9], 1.0
	v_fmac_f64_e32 v[8:9], v[8:9], v[10:11]
	v_fma_f64 v[10:11], -v[2:3], v[8:9], 1.0
	v_fmac_f64_e32 v[8:9], v[8:9], v[10:11]
	v_div_scale_f64 v[10:11], vcc, 1.0, v[6:7], 1.0
	v_mul_f64 v[14:15], v[10:11], v[8:9]
	v_fma_f64 v[2:3], -v[2:3], v[14:15], v[10:11]
	s_nop 1
	v_div_fmas_f64 v[2:3], v[2:3], v[8:9], v[14:15]
	v_div_fixup_f64 v[10:11], v[2:3], v[6:7], 1.0
	v_xor_b32_e32 v3, 0x80000000, v11
	v_mov_b32_e32 v2, v10
	v_mul_f64 v[4:5], v[4:5], -v[10:11]
.LBB57_17:
	s_or_b64 exec, exec, s[6:7]
	buffer_store_dword v11, v12, s[0:3], 0 offen offset:4
	buffer_store_dword v10, v12, s[0:3], 0 offen
	buffer_store_dword v5, v12, s[0:3], 0 offen offset:12
	buffer_store_dword v4, v12, s[0:3], 0 offen offset:8
	v_accvgpr_read_b32 v6, a172
	buffer_load_dword v11, v6, s[0:3], 0 offen offset:12
	buffer_load_dword v10, v6, s[0:3], 0 offen offset:8
	;; [unrolled: 1-line block ×3, first 2 shown]
	buffer_load_dword v8, v6, s[0:3], 0 offen
	v_xor_b32_e32 v5, 0x80000000, v5
	v_add_u32_e32 v6, 0x3a0, v1
	ds_write_b128 v1, v[2:5]
	s_waitcnt vmcnt(0)
	ds_write_b128 v1, v[8:11] offset:928
	s_waitcnt lgkmcnt(0)
	; wave barrier
	s_waitcnt lgkmcnt(0)
	s_and_saveexec_b64 s[6:7], s[4:5]
	s_cbranch_execz .LBB57_19
; %bb.18:
	buffer_load_dword v14, v12, s[0:3], 0 offen offset:8
	buffer_load_dword v15, v12, s[0:3], 0 offen offset:12
	buffer_load_dword v16, v12, s[0:3], 0 offen
	buffer_load_dword v17, v12, s[0:3], 0 offen offset:4
	ds_read_b128 v[2:5], v6
	v_mov_b32_e32 v7, 0
	ds_read_b128 v[8:11], v7 offset:16
	s_waitcnt vmcnt(2) lgkmcnt(1)
	v_mul_f64 v[18:19], v[4:5], v[14:15]
	v_mul_f64 v[14:15], v[2:3], v[14:15]
	s_waitcnt vmcnt(0)
	v_fmac_f64_e32 v[14:15], v[4:5], v[16:17]
	v_fma_f64 v[2:3], v[2:3], v[16:17], -v[18:19]
	v_add_f64 v[4:5], v[14:15], 0
	v_add_f64 v[2:3], v[2:3], 0
	s_waitcnt lgkmcnt(0)
	v_mul_f64 v[14:15], v[4:5], v[10:11]
	v_mul_f64 v[10:11], v[2:3], v[10:11]
	v_fma_f64 v[2:3], v[2:3], v[8:9], -v[14:15]
	v_fmac_f64_e32 v[10:11], v[4:5], v[8:9]
	buffer_store_dword v2, off, s[0:3], 0 offset:32
	buffer_store_dword v3, off, s[0:3], 0 offset:36
	;; [unrolled: 1-line block ×4, first 2 shown]
.LBB57_19:
	s_or_b64 exec, exec, s[6:7]
	v_accvgpr_read_b32 v5, a171
	s_waitcnt lgkmcnt(0)
	; wave barrier
	buffer_load_dword v2, v5, s[0:3], 0 offen
	buffer_load_dword v3, v5, s[0:3], 0 offen offset:4
	buffer_load_dword v4, v5, s[0:3], 0 offen offset:8
	s_nop 0
	buffer_load_dword v5, v5, s[0:3], 0 offen offset:12
	v_cmp_gt_u32_e32 vcc, 2, v0
	s_waitcnt vmcnt(0)
	ds_write_b128 v6, v[2:5]
	s_waitcnt lgkmcnt(0)
	; wave barrier
	s_waitcnt lgkmcnt(0)
	s_and_saveexec_b64 s[6:7], vcc
	s_cbranch_execz .LBB57_23
; %bb.20:
	buffer_load_dword v8, v12, s[0:3], 0 offen offset:8
	buffer_load_dword v9, v12, s[0:3], 0 offen offset:12
	buffer_load_dword v10, v12, s[0:3], 0 offen
	buffer_load_dword v11, v12, s[0:3], 0 offen offset:4
	ds_read_b128 v[2:5], v6
	s_waitcnt vmcnt(2) lgkmcnt(0)
	v_mul_f64 v[12:13], v[4:5], v[8:9]
	v_mul_f64 v[8:9], v[2:3], v[8:9]
	s_waitcnt vmcnt(0)
	v_fma_f64 v[2:3], v[2:3], v[10:11], -v[12:13]
	v_fmac_f64_e32 v[8:9], v[4:5], v[10:11]
	v_add_f64 v[4:5], v[2:3], 0
	v_add_f64 v[2:3], v[8:9], 0
	s_and_saveexec_b64 s[12:13], s[4:5]
	s_cbranch_execz .LBB57_22
; %bb.21:
	buffer_load_dword v12, off, s[0:3], 0 offset:40
	buffer_load_dword v13, off, s[0:3], 0 offset:44
	;; [unrolled: 1-line block ×4, first 2 shown]
	v_mov_b32_e32 v7, 0
	ds_read_b128 v[8:11], v7 offset:944
	s_waitcnt vmcnt(2) lgkmcnt(0)
	v_mul_f64 v[16:17], v[8:9], v[12:13]
	v_mul_f64 v[12:13], v[10:11], v[12:13]
	s_waitcnt vmcnt(0)
	v_fmac_f64_e32 v[16:17], v[10:11], v[14:15]
	v_fma_f64 v[8:9], v[8:9], v[14:15], -v[12:13]
	v_add_f64 v[2:3], v[2:3], v[16:17]
	v_add_f64 v[4:5], v[4:5], v[8:9]
.LBB57_22:
	s_or_b64 exec, exec, s[12:13]
	v_mov_b32_e32 v7, 0
	ds_read_b128 v[8:11], v7 offset:32
	s_waitcnt lgkmcnt(0)
	v_mul_f64 v[12:13], v[2:3], v[10:11]
	v_mul_f64 v[10:11], v[4:5], v[10:11]
	v_fma_f64 v[4:5], v[4:5], v[8:9], -v[12:13]
	v_fmac_f64_e32 v[10:11], v[2:3], v[8:9]
	buffer_store_dword v5, off, s[0:3], 0 offset:52
	buffer_store_dword v4, off, s[0:3], 0 offset:48
	;; [unrolled: 1-line block ×4, first 2 shown]
.LBB57_23:
	s_or_b64 exec, exec, s[6:7]
	v_accvgpr_read_b32 v5, a170
	s_waitcnt lgkmcnt(0)
	; wave barrier
	buffer_load_dword v2, v5, s[0:3], 0 offen
	buffer_load_dword v3, v5, s[0:3], 0 offen offset:4
	buffer_load_dword v4, v5, s[0:3], 0 offen offset:8
	s_nop 0
	buffer_load_dword v5, v5, s[0:3], 0 offen offset:12
	v_cmp_gt_u32_e32 vcc, 3, v0
	v_add_u32_e32 v7, -1, v0
	s_waitcnt vmcnt(0)
	ds_write_b128 v6, v[2:5]
	s_waitcnt lgkmcnt(0)
	; wave barrier
	s_waitcnt lgkmcnt(0)
	s_and_saveexec_b64 s[4:5], vcc
	s_cbranch_execz .LBB57_27
; %bb.24:
	v_pk_mov_b32 v[2:3], 0, 0
	v_add_u32_e32 v8, -1, v0
	v_add_u32_e32 v9, 0x3a0, v1
	v_add_u32_e32 v10, 16, v1
	s_mov_b64 s[6:7], 0
	v_pk_mov_b32 v[4:5], v[2:3], v[2:3] op_sel:[0,1]
.LBB57_25:                              ; =>This Inner Loop Header: Depth=1
	buffer_load_dword v16, v10, s[0:3], 0 offen offset:8
	buffer_load_dword v17, v10, s[0:3], 0 offen offset:12
	buffer_load_dword v18, v10, s[0:3], 0 offen
	buffer_load_dword v19, v10, s[0:3], 0 offen offset:4
	ds_read_b128 v[12:15], v9
	v_add_u32_e32 v8, 1, v8
	v_cmp_lt_u32_e32 vcc, 1, v8
	v_add_u32_e32 v9, 16, v9
	v_add_u32_e32 v10, 16, v10
	s_or_b64 s[6:7], vcc, s[6:7]
	s_waitcnt vmcnt(2) lgkmcnt(0)
	v_mul_f64 v[20:21], v[14:15], v[16:17]
	v_mul_f64 v[16:17], v[12:13], v[16:17]
	s_waitcnt vmcnt(0)
	v_fma_f64 v[12:13], v[12:13], v[18:19], -v[20:21]
	v_fmac_f64_e32 v[16:17], v[14:15], v[18:19]
	v_add_f64 v[4:5], v[4:5], v[12:13]
	v_add_f64 v[2:3], v[2:3], v[16:17]
	s_andn2_b64 exec, exec, s[6:7]
	s_cbranch_execnz .LBB57_25
; %bb.26:
	s_or_b64 exec, exec, s[6:7]
	v_mov_b32_e32 v8, 0
	ds_read_b128 v[8:11], v8 offset:48
	s_waitcnt lgkmcnt(0)
	v_mul_f64 v[12:13], v[2:3], v[10:11]
	v_mul_f64 v[10:11], v[4:5], v[10:11]
	v_fma_f64 v[4:5], v[4:5], v[8:9], -v[12:13]
	v_fmac_f64_e32 v[10:11], v[2:3], v[8:9]
	buffer_store_dword v5, off, s[0:3], 0 offset:68
	buffer_store_dword v4, off, s[0:3], 0 offset:64
	buffer_store_dword v11, off, s[0:3], 0 offset:76
	buffer_store_dword v10, off, s[0:3], 0 offset:72
.LBB57_27:
	s_or_b64 exec, exec, s[4:5]
	v_accvgpr_read_b32 v5, a169
	s_waitcnt lgkmcnt(0)
	; wave barrier
	buffer_load_dword v2, v5, s[0:3], 0 offen
	buffer_load_dword v3, v5, s[0:3], 0 offen offset:4
	buffer_load_dword v4, v5, s[0:3], 0 offen offset:8
	s_nop 0
	buffer_load_dword v5, v5, s[0:3], 0 offen offset:12
	v_cmp_gt_u32_e32 vcc, 4, v0
	s_waitcnt vmcnt(0)
	ds_write_b128 v6, v[2:5]
	s_waitcnt lgkmcnt(0)
	; wave barrier
	s_waitcnt lgkmcnt(0)
	s_and_saveexec_b64 s[4:5], vcc
	s_cbranch_execz .LBB57_31
; %bb.28:
	v_pk_mov_b32 v[2:3], 0, 0
	v_add_u32_e32 v8, -1, v0
	v_add_u32_e32 v9, 0x3a0, v1
	v_add_u32_e32 v10, 16, v1
	s_mov_b64 s[6:7], 0
	v_pk_mov_b32 v[4:5], v[2:3], v[2:3] op_sel:[0,1]
.LBB57_29:                              ; =>This Inner Loop Header: Depth=1
	buffer_load_dword v16, v10, s[0:3], 0 offen offset:8
	buffer_load_dword v17, v10, s[0:3], 0 offen offset:12
	buffer_load_dword v18, v10, s[0:3], 0 offen
	buffer_load_dword v19, v10, s[0:3], 0 offen offset:4
	ds_read_b128 v[12:15], v9
	v_add_u32_e32 v8, 1, v8
	v_cmp_lt_u32_e32 vcc, 2, v8
	v_add_u32_e32 v9, 16, v9
	v_add_u32_e32 v10, 16, v10
	s_or_b64 s[6:7], vcc, s[6:7]
	s_waitcnt vmcnt(2) lgkmcnt(0)
	v_mul_f64 v[20:21], v[14:15], v[16:17]
	v_mul_f64 v[16:17], v[12:13], v[16:17]
	s_waitcnt vmcnt(0)
	v_fma_f64 v[12:13], v[12:13], v[18:19], -v[20:21]
	v_fmac_f64_e32 v[16:17], v[14:15], v[18:19]
	v_add_f64 v[4:5], v[4:5], v[12:13]
	v_add_f64 v[2:3], v[2:3], v[16:17]
	s_andn2_b64 exec, exec, s[6:7]
	s_cbranch_execnz .LBB57_29
; %bb.30:
	s_or_b64 exec, exec, s[6:7]
	v_mov_b32_e32 v8, 0
	ds_read_b128 v[8:11], v8 offset:64
	s_waitcnt lgkmcnt(0)
	v_mul_f64 v[12:13], v[2:3], v[10:11]
	v_mul_f64 v[10:11], v[4:5], v[10:11]
	v_fma_f64 v[4:5], v[4:5], v[8:9], -v[12:13]
	v_fmac_f64_e32 v[10:11], v[2:3], v[8:9]
	buffer_store_dword v5, off, s[0:3], 0 offset:84
	buffer_store_dword v4, off, s[0:3], 0 offset:80
	buffer_store_dword v11, off, s[0:3], 0 offset:92
	buffer_store_dword v10, off, s[0:3], 0 offset:88
.LBB57_31:
	s_or_b64 exec, exec, s[4:5]
	v_accvgpr_read_b32 v5, a168
	s_waitcnt lgkmcnt(0)
	; wave barrier
	buffer_load_dword v2, v5, s[0:3], 0 offen
	buffer_load_dword v3, v5, s[0:3], 0 offen offset:4
	buffer_load_dword v4, v5, s[0:3], 0 offen offset:8
	s_nop 0
	buffer_load_dword v5, v5, s[0:3], 0 offen offset:12
	v_cmp_gt_u32_e32 vcc, 5, v0
	;; [unrolled: 59-line block ×19, first 2 shown]
	s_waitcnt vmcnt(0)
	ds_write_b128 v6, v[2:5]
	s_waitcnt lgkmcnt(0)
	; wave barrier
	s_waitcnt lgkmcnt(0)
	s_and_saveexec_b64 s[4:5], vcc
	s_cbranch_execz .LBB57_103
; %bb.100:
	v_pk_mov_b32 v[2:3], 0, 0
	v_add_u32_e32 v8, -1, v0
	v_add_u32_e32 v9, 0x3a0, v1
	v_add_u32_e32 v10, 16, v1
	s_mov_b64 s[6:7], 0
	v_pk_mov_b32 v[4:5], v[2:3], v[2:3] op_sel:[0,1]
.LBB57_101:                             ; =>This Inner Loop Header: Depth=1
	buffer_load_dword v16, v10, s[0:3], 0 offen offset:8
	buffer_load_dword v17, v10, s[0:3], 0 offen offset:12
	buffer_load_dword v18, v10, s[0:3], 0 offen
	buffer_load_dword v19, v10, s[0:3], 0 offen offset:4
	ds_read_b128 v[12:15], v9
	v_add_u32_e32 v8, 1, v8
	v_cmp_lt_u32_e32 vcc, 20, v8
	v_add_u32_e32 v9, 16, v9
	v_add_u32_e32 v10, 16, v10
	s_or_b64 s[6:7], vcc, s[6:7]
	s_waitcnt vmcnt(2) lgkmcnt(0)
	v_mul_f64 v[20:21], v[14:15], v[16:17]
	v_mul_f64 v[16:17], v[12:13], v[16:17]
	s_waitcnt vmcnt(0)
	v_fma_f64 v[12:13], v[12:13], v[18:19], -v[20:21]
	v_fmac_f64_e32 v[16:17], v[14:15], v[18:19]
	v_add_f64 v[4:5], v[4:5], v[12:13]
	v_add_f64 v[2:3], v[2:3], v[16:17]
	s_andn2_b64 exec, exec, s[6:7]
	s_cbranch_execnz .LBB57_101
; %bb.102:
	s_or_b64 exec, exec, s[6:7]
	v_mov_b32_e32 v8, 0
	ds_read_b128 v[8:11], v8 offset:352
	s_waitcnt lgkmcnt(0)
	v_mul_f64 v[12:13], v[2:3], v[10:11]
	v_mul_f64 v[10:11], v[4:5], v[10:11]
	v_fma_f64 v[4:5], v[4:5], v[8:9], -v[12:13]
	v_fmac_f64_e32 v[10:11], v[2:3], v[8:9]
	buffer_store_dword v5, off, s[0:3], 0 offset:372
	buffer_store_dword v4, off, s[0:3], 0 offset:368
	buffer_store_dword v11, off, s[0:3], 0 offset:380
	buffer_store_dword v10, off, s[0:3], 0 offset:376
.LBB57_103:
	s_or_b64 exec, exec, s[4:5]
	v_accvgpr_read_b32 v5, a150
	s_waitcnt lgkmcnt(0)
	; wave barrier
	buffer_load_dword v2, v5, s[0:3], 0 offen
	buffer_load_dword v3, v5, s[0:3], 0 offen offset:4
	buffer_load_dword v4, v5, s[0:3], 0 offen offset:8
	s_nop 0
	buffer_load_dword v5, v5, s[0:3], 0 offen offset:12
	v_cmp_gt_u32_e32 vcc, 23, v0
	s_waitcnt vmcnt(0)
	ds_write_b128 v6, v[2:5]
	s_waitcnt lgkmcnt(0)
	; wave barrier
	s_waitcnt lgkmcnt(0)
	s_and_saveexec_b64 s[4:5], vcc
	s_cbranch_execz .LBB57_107
; %bb.104:
	v_pk_mov_b32 v[2:3], 0, 0
	v_add_u32_e32 v8, -1, v0
	v_add_u32_e32 v9, 0x3a0, v1
	v_add_u32_e32 v10, 16, v1
	s_mov_b64 s[6:7], 0
	v_pk_mov_b32 v[4:5], v[2:3], v[2:3] op_sel:[0,1]
.LBB57_105:                             ; =>This Inner Loop Header: Depth=1
	buffer_load_dword v16, v10, s[0:3], 0 offen offset:8
	buffer_load_dword v17, v10, s[0:3], 0 offen offset:12
	buffer_load_dword v18, v10, s[0:3], 0 offen
	buffer_load_dword v19, v10, s[0:3], 0 offen offset:4
	ds_read_b128 v[12:15], v9
	v_add_u32_e32 v8, 1, v8
	v_cmp_lt_u32_e32 vcc, 21, v8
	v_add_u32_e32 v9, 16, v9
	v_add_u32_e32 v10, 16, v10
	s_or_b64 s[6:7], vcc, s[6:7]
	s_waitcnt vmcnt(2) lgkmcnt(0)
	v_mul_f64 v[20:21], v[14:15], v[16:17]
	v_mul_f64 v[16:17], v[12:13], v[16:17]
	s_waitcnt vmcnt(0)
	v_fma_f64 v[12:13], v[12:13], v[18:19], -v[20:21]
	v_fmac_f64_e32 v[16:17], v[14:15], v[18:19]
	v_add_f64 v[4:5], v[4:5], v[12:13]
	v_add_f64 v[2:3], v[2:3], v[16:17]
	s_andn2_b64 exec, exec, s[6:7]
	s_cbranch_execnz .LBB57_105
; %bb.106:
	s_or_b64 exec, exec, s[6:7]
	v_mov_b32_e32 v8, 0
	ds_read_b128 v[8:11], v8 offset:368
	s_waitcnt lgkmcnt(0)
	v_mul_f64 v[12:13], v[2:3], v[10:11]
	v_mul_f64 v[10:11], v[4:5], v[10:11]
	v_fma_f64 v[4:5], v[4:5], v[8:9], -v[12:13]
	v_fmac_f64_e32 v[10:11], v[2:3], v[8:9]
	buffer_store_dword v5, off, s[0:3], 0 offset:388
	buffer_store_dword v4, off, s[0:3], 0 offset:384
	buffer_store_dword v11, off, s[0:3], 0 offset:396
	buffer_store_dword v10, off, s[0:3], 0 offset:392
.LBB57_107:
	s_or_b64 exec, exec, s[4:5]
	v_accvgpr_read_b32 v5, a149
	s_waitcnt lgkmcnt(0)
	; wave barrier
	buffer_load_dword v2, v5, s[0:3], 0 offen
	buffer_load_dword v3, v5, s[0:3], 0 offen offset:4
	buffer_load_dword v4, v5, s[0:3], 0 offen offset:8
	s_nop 0
	buffer_load_dword v5, v5, s[0:3], 0 offen offset:12
	v_cmp_gt_u32_e32 vcc, 24, v0
	;; [unrolled: 59-line block ×34, first 2 shown]
	s_waitcnt vmcnt(0)
	ds_write_b128 v6, v[2:5]
	s_waitcnt lgkmcnt(0)
	; wave barrier
	s_waitcnt lgkmcnt(0)
	s_and_saveexec_b64 s[4:5], vcc
	s_cbranch_execz .LBB57_239
; %bb.236:
	v_pk_mov_b32 v[2:3], 0, 0
	v_add_u32_e32 v8, -1, v0
	v_add_u32_e32 v9, 0x3a0, v1
	v_add_u32_e32 v10, 16, v1
	s_mov_b64 s[6:7], 0
	v_pk_mov_b32 v[4:5], v[2:3], v[2:3] op_sel:[0,1]
.LBB57_237:                             ; =>This Inner Loop Header: Depth=1
	buffer_load_dword v16, v10, s[0:3], 0 offen offset:8
	buffer_load_dword v17, v10, s[0:3], 0 offen offset:12
	buffer_load_dword v18, v10, s[0:3], 0 offen
	buffer_load_dword v19, v10, s[0:3], 0 offen offset:4
	ds_read_b128 v[12:15], v9
	v_add_u32_e32 v8, 1, v8
	v_cmp_lt_u32_e32 vcc, 54, v8
	v_add_u32_e32 v9, 16, v9
	v_add_u32_e32 v10, 16, v10
	s_or_b64 s[6:7], vcc, s[6:7]
	s_waitcnt vmcnt(2) lgkmcnt(0)
	v_mul_f64 v[20:21], v[14:15], v[16:17]
	v_mul_f64 v[16:17], v[12:13], v[16:17]
	s_waitcnt vmcnt(0)
	v_fma_f64 v[12:13], v[12:13], v[18:19], -v[20:21]
	v_fmac_f64_e32 v[16:17], v[14:15], v[18:19]
	v_add_f64 v[4:5], v[4:5], v[12:13]
	v_add_f64 v[2:3], v[2:3], v[16:17]
	s_andn2_b64 exec, exec, s[6:7]
	s_cbranch_execnz .LBB57_237
; %bb.238:
	s_or_b64 exec, exec, s[6:7]
	v_mov_b32_e32 v8, 0
	ds_read_b128 v[8:11], v8 offset:896
	s_waitcnt lgkmcnt(0)
	v_mul_f64 v[12:13], v[2:3], v[10:11]
	v_mul_f64 v[10:11], v[4:5], v[10:11]
	v_fma_f64 v[4:5], v[4:5], v[8:9], -v[12:13]
	v_fmac_f64_e32 v[10:11], v[2:3], v[8:9]
	buffer_store_dword v5, off, s[0:3], 0 offset:916
	buffer_store_dword v4, off, s[0:3], 0 offset:912
	;; [unrolled: 1-line block ×4, first 2 shown]
.LBB57_239:
	s_or_b64 exec, exec, s[4:5]
	v_accvgpr_read_b32 v5, a116
	s_waitcnt lgkmcnt(0)
	; wave barrier
	buffer_load_dword v2, v5, s[0:3], 0 offen
	buffer_load_dword v3, v5, s[0:3], 0 offen offset:4
	buffer_load_dword v4, v5, s[0:3], 0 offen offset:8
	s_nop 0
	buffer_load_dword v5, v5, s[0:3], 0 offen offset:12
	v_cmp_ne_u32_e32 vcc, 57, v0
	s_waitcnt vmcnt(0)
	ds_write_b128 v6, v[2:5]
	s_waitcnt lgkmcnt(0)
	; wave barrier
	s_waitcnt lgkmcnt(0)
	s_and_saveexec_b64 s[4:5], vcc
	s_cbranch_execz .LBB57_243
; %bb.240:
	v_pk_mov_b32 v[2:3], 0, 0
	v_add_u32_e32 v6, 0x3a0, v1
	v_add_u32_e32 v1, 16, v1
	s_mov_b64 s[6:7], 0
	v_pk_mov_b32 v[4:5], v[2:3], v[2:3] op_sel:[0,1]
.LBB57_241:                             ; =>This Inner Loop Header: Depth=1
	buffer_load_dword v12, v1, s[0:3], 0 offen offset:8
	buffer_load_dword v13, v1, s[0:3], 0 offen offset:12
	buffer_load_dword v14, v1, s[0:3], 0 offen
	buffer_load_dword v15, v1, s[0:3], 0 offen offset:4
	ds_read_b128 v[8:11], v6
	v_add_u32_e32 v7, 1, v7
	v_cmp_lt_u32_e32 vcc, 55, v7
	v_add_u32_e32 v6, 16, v6
	v_add_u32_e32 v1, 16, v1
	s_or_b64 s[6:7], vcc, s[6:7]
	s_waitcnt vmcnt(2) lgkmcnt(0)
	v_mul_f64 v[16:17], v[10:11], v[12:13]
	v_mul_f64 v[12:13], v[8:9], v[12:13]
	s_waitcnt vmcnt(0)
	v_fma_f64 v[8:9], v[8:9], v[14:15], -v[16:17]
	v_fmac_f64_e32 v[12:13], v[10:11], v[14:15]
	v_add_f64 v[4:5], v[4:5], v[8:9]
	v_add_f64 v[2:3], v[2:3], v[12:13]
	s_andn2_b64 exec, exec, s[6:7]
	s_cbranch_execnz .LBB57_241
; %bb.242:
	s_or_b64 exec, exec, s[6:7]
	v_mov_b32_e32 v1, 0
	ds_read_b128 v[6:9], v1 offset:912
	s_waitcnt lgkmcnt(0)
	v_mul_f64 v[10:11], v[2:3], v[8:9]
	v_mul_f64 v[8:9], v[4:5], v[8:9]
	v_fma_f64 v[4:5], v[4:5], v[6:7], -v[10:11]
	v_fmac_f64_e32 v[8:9], v[2:3], v[6:7]
	buffer_store_dword v5, off, s[0:3], 0 offset:932
	buffer_store_dword v4, off, s[0:3], 0 offset:928
	;; [unrolled: 1-line block ×4, first 2 shown]
.LBB57_243:
	s_or_b64 exec, exec, s[4:5]
	s_mov_b64 s[6:7], -1
	s_waitcnt lgkmcnt(0)
	; wave barrier
.LBB57_244:
	s_and_b64 vcc, exec, s[6:7]
	s_cbranch_vccz .LBB57_246
; %bb.245:
	s_lshl_b64 s[4:5], s[8:9], 2
	s_add_u32 s4, s14, s4
	s_addc_u32 s5, s15, s5
	v_mov_b32_e32 v1, 0
	global_load_dword v1, v1, s[4:5]
	s_waitcnt vmcnt(0)
	v_cmp_ne_u32_e32 vcc, 0, v1
	s_cbranch_vccz .LBB57_247
.LBB57_246:
	s_endpgm
.LBB57_247:
	v_mov_b32_e32 v1, 0x3a0
	v_lshl_add_u32 v1, v0, 4, v1
	v_accvgpr_write_b32 a173, v1
	v_cmp_eq_u32_e32 vcc, 57, v0
	s_and_saveexec_b64 s[4:5], vcc
	s_cbranch_execz .LBB57_249
; %bb.248:
	v_accvgpr_read_b32 v1, a117
	buffer_load_dword v2, v1, s[0:3], 0 offen
	buffer_load_dword v3, v1, s[0:3], 0 offen offset:4
	buffer_load_dword v4, v1, s[0:3], 0 offen offset:8
	;; [unrolled: 1-line block ×3, first 2 shown]
	v_mov_b32_e32 v1, 0
	v_accvgpr_read_b32 v6, a173
	buffer_store_dword v1, off, s[0:3], 0 offset:912
	buffer_store_dword v1, off, s[0:3], 0 offset:916
	;; [unrolled: 1-line block ×4, first 2 shown]
	s_waitcnt vmcnt(4)
	ds_write_b128 v6, v[2:5]
.LBB57_249:
	s_or_b64 exec, exec, s[4:5]
	s_waitcnt lgkmcnt(0)
	; wave barrier
	s_waitcnt lgkmcnt(0)
	buffer_load_dword v6, off, s[0:3], 0 offset:936
	buffer_load_dword v7, off, s[0:3], 0 offset:940
	;; [unrolled: 1-line block ×8, first 2 shown]
	v_mov_b32_e32 v1, 0
	ds_read_b128 v[2:5], v1 offset:1840
	v_cmp_lt_u32_e32 vcc, 55, v0
	s_waitcnt vmcnt(6) lgkmcnt(0)
	v_mul_f64 v[14:15], v[2:3], v[6:7]
	v_mul_f64 v[6:7], v[4:5], v[6:7]
	s_waitcnt vmcnt(4)
	v_fma_f64 v[2:3], v[2:3], v[8:9], -v[6:7]
	v_fmac_f64_e32 v[14:15], v[4:5], v[8:9]
	v_add_f64 v[2:3], v[2:3], 0
	v_add_f64 v[4:5], v[14:15], 0
	s_waitcnt vmcnt(2)
	v_add_f64 v[2:3], v[10:11], -v[2:3]
	s_waitcnt vmcnt(0)
	v_add_f64 v[4:5], v[12:13], -v[4:5]
	buffer_store_dword v2, off, s[0:3], 0 offset:912
	buffer_store_dword v3, off, s[0:3], 0 offset:916
	;; [unrolled: 1-line block ×4, first 2 shown]
	s_and_saveexec_b64 s[4:5], vcc
	s_cbranch_execz .LBB57_251
; %bb.250:
	v_accvgpr_read_b32 v5, a118
	buffer_load_dword v2, v5, s[0:3], 0 offen
	buffer_load_dword v3, v5, s[0:3], 0 offen offset:4
	buffer_load_dword v4, v5, s[0:3], 0 offen offset:8
	s_nop 0
	buffer_load_dword v5, v5, s[0:3], 0 offen offset:12
	v_accvgpr_read_b32 v6, a173
	buffer_store_dword v1, off, s[0:3], 0 offset:896
	buffer_store_dword v1, off, s[0:3], 0 offset:900
	;; [unrolled: 1-line block ×4, first 2 shown]
	s_waitcnt vmcnt(4)
	ds_write_b128 v6, v[2:5]
.LBB57_251:
	s_or_b64 exec, exec, s[4:5]
	s_waitcnt lgkmcnt(0)
	; wave barrier
	s_waitcnt lgkmcnt(0)
	buffer_load_dword v10, off, s[0:3], 0 offset:920
	buffer_load_dword v11, off, s[0:3], 0 offset:924
	;; [unrolled: 1-line block ×12, first 2 shown]
	ds_read_b128 v[2:5], v1 offset:1824
	ds_read_b128 v[6:9], v1 offset:1840
	v_cmp_lt_u32_e32 vcc, 54, v0
	s_waitcnt vmcnt(10) lgkmcnt(1)
	v_mul_f64 v[22:23], v[2:3], v[10:11]
	v_mul_f64 v[10:11], v[4:5], v[10:11]
	s_waitcnt vmcnt(8) lgkmcnt(0)
	v_mul_f64 v[24:25], v[6:7], v[12:13]
	v_mul_f64 v[12:13], v[8:9], v[12:13]
	s_waitcnt vmcnt(6)
	v_fma_f64 v[2:3], v[2:3], v[14:15], -v[10:11]
	v_fmac_f64_e32 v[22:23], v[4:5], v[14:15]
	s_waitcnt vmcnt(4)
	v_fma_f64 v[4:5], v[6:7], v[16:17], -v[12:13]
	v_add_f64 v[2:3], v[2:3], 0
	v_fmac_f64_e32 v[24:25], v[8:9], v[16:17]
	v_add_f64 v[6:7], v[22:23], 0
	v_add_f64 v[2:3], v[2:3], v[4:5]
	;; [unrolled: 1-line block ×3, first 2 shown]
	s_waitcnt vmcnt(2)
	v_add_f64 v[2:3], v[18:19], -v[2:3]
	s_waitcnt vmcnt(0)
	v_add_f64 v[4:5], v[20:21], -v[6:7]
	buffer_store_dword v2, off, s[0:3], 0 offset:896
	buffer_store_dword v3, off, s[0:3], 0 offset:900
	;; [unrolled: 1-line block ×4, first 2 shown]
	s_and_saveexec_b64 s[4:5], vcc
	s_cbranch_execz .LBB57_253
; %bb.252:
	v_accvgpr_read_b32 v1, a119
	buffer_load_dword v2, v1, s[0:3], 0 offen
	buffer_load_dword v3, v1, s[0:3], 0 offen offset:4
	buffer_load_dword v4, v1, s[0:3], 0 offen offset:8
	;; [unrolled: 1-line block ×3, first 2 shown]
	v_mov_b32_e32 v1, 0
	v_accvgpr_read_b32 v6, a173
	buffer_store_dword v1, off, s[0:3], 0 offset:880
	buffer_store_dword v1, off, s[0:3], 0 offset:884
	;; [unrolled: 1-line block ×4, first 2 shown]
	s_waitcnt vmcnt(4)
	ds_write_b128 v6, v[2:5]
.LBB57_253:
	s_or_b64 exec, exec, s[4:5]
	s_waitcnt lgkmcnt(0)
	; wave barrier
	s_waitcnt lgkmcnt(0)
	buffer_load_dword v14, off, s[0:3], 0 offset:904
	buffer_load_dword v15, off, s[0:3], 0 offset:908
	;; [unrolled: 1-line block ×16, first 2 shown]
	v_mov_b32_e32 v1, 0
	ds_read_b128 v[2:5], v1 offset:1808
	ds_read_b128 v[6:9], v1 offset:1824
	;; [unrolled: 1-line block ×3, first 2 shown]
	v_cmp_lt_u32_e32 vcc, 53, v0
	s_waitcnt vmcnt(14) lgkmcnt(2)
	v_mul_f64 v[30:31], v[2:3], v[14:15]
	v_mul_f64 v[14:15], v[4:5], v[14:15]
	s_waitcnt vmcnt(12) lgkmcnt(1)
	v_mul_f64 v[32:33], v[6:7], v[16:17]
	v_mul_f64 v[16:17], v[8:9], v[16:17]
	;; [unrolled: 3-line block ×3, first 2 shown]
	s_waitcnt vmcnt(8)
	v_fma_f64 v[2:3], v[2:3], v[20:21], -v[14:15]
	v_fmac_f64_e32 v[30:31], v[4:5], v[20:21]
	s_waitcnt vmcnt(6)
	v_fma_f64 v[4:5], v[6:7], v[22:23], -v[16:17]
	v_add_f64 v[2:3], v[2:3], 0
	v_fmac_f64_e32 v[32:33], v[8:9], v[22:23]
	s_waitcnt vmcnt(4)
	v_fma_f64 v[6:7], v[10:11], v[24:25], -v[18:19]
	v_add_f64 v[8:9], v[30:31], 0
	v_add_f64 v[2:3], v[2:3], v[4:5]
	v_fmac_f64_e32 v[34:35], v[12:13], v[24:25]
	v_add_f64 v[8:9], v[8:9], v[32:33]
	v_add_f64 v[2:3], v[2:3], v[6:7]
	;; [unrolled: 1-line block ×3, first 2 shown]
	s_waitcnt vmcnt(2)
	v_add_f64 v[2:3], v[26:27], -v[2:3]
	s_waitcnt vmcnt(0)
	v_add_f64 v[4:5], v[28:29], -v[4:5]
	buffer_store_dword v2, off, s[0:3], 0 offset:880
	buffer_store_dword v3, off, s[0:3], 0 offset:884
	;; [unrolled: 1-line block ×4, first 2 shown]
	s_and_saveexec_b64 s[4:5], vcc
	s_cbranch_execz .LBB57_255
; %bb.254:
	v_accvgpr_read_b32 v5, a120
	buffer_load_dword v2, v5, s[0:3], 0 offen
	buffer_load_dword v3, v5, s[0:3], 0 offen offset:4
	buffer_load_dword v4, v5, s[0:3], 0 offen offset:8
	s_nop 0
	buffer_load_dword v5, v5, s[0:3], 0 offen offset:12
	v_accvgpr_read_b32 v6, a173
	buffer_store_dword v1, off, s[0:3], 0 offset:864
	buffer_store_dword v1, off, s[0:3], 0 offset:868
	;; [unrolled: 1-line block ×4, first 2 shown]
	s_waitcnt vmcnt(4)
	ds_write_b128 v6, v[2:5]
.LBB57_255:
	s_or_b64 exec, exec, s[4:5]
	s_waitcnt lgkmcnt(0)
	; wave barrier
	s_waitcnt lgkmcnt(0)
	buffer_load_dword v18, off, s[0:3], 0 offset:888
	buffer_load_dword v19, off, s[0:3], 0 offset:892
	;; [unrolled: 1-line block ×20, first 2 shown]
	ds_read_b128 v[2:5], v1 offset:1792
	ds_read_b128 v[6:9], v1 offset:1808
	;; [unrolled: 1-line block ×4, first 2 shown]
	v_cmp_lt_u32_e32 vcc, 52, v0
	s_waitcnt vmcnt(18) lgkmcnt(3)
	v_mul_f64 v[38:39], v[2:3], v[18:19]
	v_mul_f64 v[18:19], v[4:5], v[18:19]
	s_waitcnt vmcnt(16) lgkmcnt(2)
	v_mul_f64 v[40:41], v[6:7], v[20:21]
	v_mul_f64 v[20:21], v[8:9], v[20:21]
	;; [unrolled: 3-line block ×4, first 2 shown]
	s_waitcnt vmcnt(10)
	v_fma_f64 v[2:3], v[2:3], v[26:27], -v[18:19]
	v_fmac_f64_e32 v[38:39], v[4:5], v[26:27]
	s_waitcnt vmcnt(8)
	v_fma_f64 v[4:5], v[6:7], v[28:29], -v[20:21]
	v_add_f64 v[2:3], v[2:3], 0
	v_fmac_f64_e32 v[40:41], v[8:9], v[28:29]
	s_waitcnt vmcnt(6)
	v_fma_f64 v[6:7], v[10:11], v[30:31], -v[22:23]
	v_add_f64 v[10:11], v[38:39], 0
	v_add_f64 v[2:3], v[2:3], v[4:5]
	v_fmac_f64_e32 v[42:43], v[12:13], v[30:31]
	s_waitcnt vmcnt(4)
	v_fma_f64 v[8:9], v[14:15], v[32:33], -v[24:25]
	v_add_f64 v[10:11], v[10:11], v[40:41]
	v_add_f64 v[2:3], v[2:3], v[6:7]
	v_fmac_f64_e32 v[44:45], v[16:17], v[32:33]
	v_add_f64 v[4:5], v[10:11], v[42:43]
	v_add_f64 v[2:3], v[2:3], v[8:9]
	;; [unrolled: 1-line block ×3, first 2 shown]
	s_waitcnt vmcnt(2)
	v_add_f64 v[2:3], v[34:35], -v[2:3]
	s_waitcnt vmcnt(0)
	v_add_f64 v[4:5], v[36:37], -v[4:5]
	buffer_store_dword v2, off, s[0:3], 0 offset:864
	buffer_store_dword v3, off, s[0:3], 0 offset:868
	;; [unrolled: 1-line block ×4, first 2 shown]
	s_and_saveexec_b64 s[4:5], vcc
	s_cbranch_execz .LBB57_257
; %bb.256:
	v_accvgpr_read_b32 v1, a121
	buffer_load_dword v2, v1, s[0:3], 0 offen
	buffer_load_dword v3, v1, s[0:3], 0 offen offset:4
	buffer_load_dword v4, v1, s[0:3], 0 offen offset:8
	;; [unrolled: 1-line block ×3, first 2 shown]
	v_mov_b32_e32 v1, 0
	v_accvgpr_read_b32 v6, a173
	buffer_store_dword v1, off, s[0:3], 0 offset:848
	buffer_store_dword v1, off, s[0:3], 0 offset:852
	;; [unrolled: 1-line block ×4, first 2 shown]
	s_waitcnt vmcnt(4)
	ds_write_b128 v6, v[2:5]
.LBB57_257:
	s_or_b64 exec, exec, s[4:5]
	s_waitcnt lgkmcnt(0)
	; wave barrier
	s_waitcnt lgkmcnt(0)
	buffer_load_dword v22, off, s[0:3], 0 offset:872
	buffer_load_dword v23, off, s[0:3], 0 offset:876
	;; [unrolled: 1-line block ×24, first 2 shown]
	v_mov_b32_e32 v1, 0
	ds_read_b128 v[2:5], v1 offset:1776
	ds_read_b128 v[6:9], v1 offset:1792
	;; [unrolled: 1-line block ×5, first 2 shown]
	v_cmp_lt_u32_e32 vcc, 51, v0
	s_waitcnt vmcnt(22) lgkmcnt(4)
	v_mul_f64 v[46:47], v[2:3], v[22:23]
	v_mul_f64 v[22:23], v[4:5], v[22:23]
	s_waitcnt vmcnt(20) lgkmcnt(3)
	v_mul_f64 v[48:49], v[6:7], v[24:25]
	v_mul_f64 v[24:25], v[8:9], v[24:25]
	s_waitcnt vmcnt(18) lgkmcnt(2)
	v_mul_f64 v[50:51], v[10:11], v[26:27]
	v_mul_f64 v[26:27], v[12:13], v[26:27]
	s_waitcnt vmcnt(14) lgkmcnt(1)
	v_mul_f64 v[52:53], v[14:15], v[32:33]
	v_mul_f64 v[32:33], v[16:17], v[32:33]
	s_waitcnt vmcnt(13) lgkmcnt(0)
	v_mul_f64 v[54:55], v[18:19], v[28:29]
	s_waitcnt vmcnt(11)
	v_fma_f64 v[2:3], v[2:3], v[34:35], -v[22:23]
	v_fmac_f64_e32 v[46:47], v[4:5], v[34:35]
	s_waitcnt vmcnt(9)
	v_fma_f64 v[4:5], v[6:7], v[36:37], -v[24:25]
	v_add_f64 v[2:3], v[2:3], 0
	v_fmac_f64_e32 v[48:49], v[8:9], v[36:37]
	s_waitcnt vmcnt(7)
	v_fmac_f64_e32 v[50:51], v[12:13], v[38:39]
	v_fma_f64 v[6:7], v[10:11], v[38:39], -v[26:27]
	v_add_f64 v[12:13], v[46:47], 0
	v_add_f64 v[2:3], v[2:3], v[4:5]
	v_mul_f64 v[28:29], v[20:21], v[28:29]
	s_waitcnt vmcnt(5)
	v_fma_f64 v[8:9], v[14:15], v[40:41], -v[32:33]
	v_add_f64 v[12:13], v[12:13], v[48:49]
	v_add_f64 v[2:3], v[2:3], v[6:7]
	v_fmac_f64_e32 v[52:53], v[16:17], v[40:41]
	s_waitcnt vmcnt(4)
	v_fma_f64 v[10:11], v[18:19], v[30:31], -v[28:29]
	v_add_f64 v[4:5], v[12:13], v[50:51]
	v_add_f64 v[2:3], v[2:3], v[8:9]
	v_fmac_f64_e32 v[54:55], v[20:21], v[30:31]
	v_add_f64 v[4:5], v[4:5], v[52:53]
	v_add_f64 v[2:3], v[2:3], v[10:11]
	;; [unrolled: 1-line block ×3, first 2 shown]
	s_waitcnt vmcnt(2)
	v_add_f64 v[2:3], v[42:43], -v[2:3]
	s_waitcnt vmcnt(0)
	v_add_f64 v[4:5], v[44:45], -v[4:5]
	buffer_store_dword v3, off, s[0:3], 0 offset:852
	buffer_store_dword v2, off, s[0:3], 0 offset:848
	;; [unrolled: 1-line block ×4, first 2 shown]
	s_and_saveexec_b64 s[4:5], vcc
	s_cbranch_execz .LBB57_259
; %bb.258:
	v_accvgpr_read_b32 v5, a122
	buffer_load_dword v2, v5, s[0:3], 0 offen
	buffer_load_dword v3, v5, s[0:3], 0 offen offset:4
	buffer_load_dword v4, v5, s[0:3], 0 offen offset:8
	s_nop 0
	buffer_load_dword v5, v5, s[0:3], 0 offen offset:12
	v_accvgpr_read_b32 v6, a173
	buffer_store_dword v1, off, s[0:3], 0 offset:832
	buffer_store_dword v1, off, s[0:3], 0 offset:836
	;; [unrolled: 1-line block ×4, first 2 shown]
	s_waitcnt vmcnt(4)
	ds_write_b128 v6, v[2:5]
.LBB57_259:
	s_or_b64 exec, exec, s[4:5]
	s_waitcnt lgkmcnt(0)
	; wave barrier
	s_waitcnt lgkmcnt(0)
	buffer_load_dword v26, off, s[0:3], 0 offset:856
	buffer_load_dword v27, off, s[0:3], 0 offset:860
	;; [unrolled: 1-line block ×28, first 2 shown]
	ds_read_b128 v[2:5], v1 offset:1760
	ds_read_b128 v[6:9], v1 offset:1776
	;; [unrolled: 1-line block ×6, first 2 shown]
	v_cmp_lt_u32_e32 vcc, 50, v0
	s_waitcnt vmcnt(26) lgkmcnt(5)
	v_mul_f64 v[54:55], v[2:3], v[26:27]
	v_mul_f64 v[26:27], v[4:5], v[26:27]
	s_waitcnt vmcnt(24) lgkmcnt(4)
	v_mul_f64 v[56:57], v[6:7], v[28:29]
	v_mul_f64 v[28:29], v[8:9], v[28:29]
	;; [unrolled: 3-line block ×4, first 2 shown]
	s_waitcnt vmcnt(17)
	v_mul_f64 v[60:61], v[14:15], v[36:37]
	v_mul_f64 v[36:37], v[16:17], v[36:37]
	s_waitcnt vmcnt(15) lgkmcnt(0)
	v_mul_f64 v[64:65], v[22:23], v[38:39]
	v_mul_f64 v[38:39], v[24:25], v[38:39]
	s_waitcnt vmcnt(14)
	v_fmac_f64_e32 v[62:63], v[20:21], v[34:35]
	s_waitcnt vmcnt(12)
	v_fma_f64 v[2:3], v[2:3], v[40:41], -v[26:27]
	v_fmac_f64_e32 v[54:55], v[4:5], v[40:41]
	s_waitcnt vmcnt(10)
	v_fma_f64 v[4:5], v[6:7], v[42:43], -v[28:29]
	v_add_f64 v[2:3], v[2:3], 0
	v_fmac_f64_e32 v[56:57], v[8:9], v[42:43]
	s_waitcnt vmcnt(8)
	v_fma_f64 v[6:7], v[10:11], v[44:45], -v[30:31]
	s_waitcnt vmcnt(6)
	v_fma_f64 v[8:9], v[14:15], v[46:47], -v[36:37]
	v_add_f64 v[14:15], v[54:55], 0
	v_add_f64 v[2:3], v[2:3], v[4:5]
	v_fmac_f64_e32 v[58:59], v[12:13], v[44:45]
	v_add_f64 v[14:15], v[14:15], v[56:57]
	v_add_f64 v[2:3], v[2:3], v[6:7]
	v_fmac_f64_e32 v[60:61], v[16:17], v[46:47]
	v_fma_f64 v[10:11], v[18:19], v[34:35], -v[32:33]
	v_add_f64 v[4:5], v[14:15], v[58:59]
	v_add_f64 v[2:3], v[2:3], v[8:9]
	s_waitcnt vmcnt(4)
	v_fma_f64 v[12:13], v[22:23], v[48:49], -v[38:39]
	v_add_f64 v[4:5], v[4:5], v[60:61]
	v_add_f64 v[2:3], v[2:3], v[10:11]
	v_fmac_f64_e32 v[64:65], v[24:25], v[48:49]
	v_add_f64 v[4:5], v[4:5], v[62:63]
	v_add_f64 v[2:3], v[2:3], v[12:13]
	;; [unrolled: 1-line block ×3, first 2 shown]
	s_waitcnt vmcnt(2)
	v_add_f64 v[2:3], v[50:51], -v[2:3]
	s_waitcnt vmcnt(0)
	v_add_f64 v[4:5], v[52:53], -v[4:5]
	buffer_store_dword v3, off, s[0:3], 0 offset:836
	buffer_store_dword v2, off, s[0:3], 0 offset:832
	;; [unrolled: 1-line block ×4, first 2 shown]
	s_and_saveexec_b64 s[4:5], vcc
	s_cbranch_execz .LBB57_261
; %bb.260:
	v_accvgpr_read_b32 v1, a123
	buffer_load_dword v2, v1, s[0:3], 0 offen
	buffer_load_dword v3, v1, s[0:3], 0 offen offset:4
	buffer_load_dword v4, v1, s[0:3], 0 offen offset:8
	;; [unrolled: 1-line block ×3, first 2 shown]
	v_mov_b32_e32 v1, 0
	v_accvgpr_read_b32 v6, a173
	buffer_store_dword v1, off, s[0:3], 0 offset:816
	buffer_store_dword v1, off, s[0:3], 0 offset:820
	;; [unrolled: 1-line block ×4, first 2 shown]
	s_waitcnt vmcnt(4)
	ds_write_b128 v6, v[2:5]
.LBB57_261:
	s_or_b64 exec, exec, s[4:5]
	s_waitcnt lgkmcnt(0)
	; wave barrier
	s_waitcnt lgkmcnt(0)
	buffer_load_dword v30, off, s[0:3], 0 offset:840
	buffer_load_dword v31, off, s[0:3], 0 offset:844
	;; [unrolled: 1-line block ×32, first 2 shown]
	v_mov_b32_e32 v1, 0
	ds_read_b128 v[2:5], v1 offset:1744
	ds_read_b128 v[6:9], v1 offset:1760
	;; [unrolled: 1-line block ×7, first 2 shown]
	v_cmp_lt_u32_e32 vcc, 49, v0
	s_waitcnt vmcnt(30) lgkmcnt(6)
	v_mul_f64 v[62:63], v[2:3], v[30:31]
	v_mul_f64 v[30:31], v[4:5], v[30:31]
	s_waitcnt vmcnt(28) lgkmcnt(5)
	v_mul_f64 v[64:65], v[6:7], v[32:33]
	v_mul_f64 v[32:33], v[8:9], v[32:33]
	;; [unrolled: 3-line block ×4, first 2 shown]
	s_waitcnt vmcnt(21)
	v_mul_f64 v[68:69], v[14:15], v[40:41]
	v_mul_f64 v[40:41], v[16:17], v[40:41]
	s_waitcnt vmcnt(17) lgkmcnt(1)
	v_mul_f64 v[72:73], v[22:23], v[46:47]
	v_mul_f64 v[46:47], v[24:25], v[46:47]
	s_waitcnt vmcnt(16) lgkmcnt(0)
	v_mul_f64 v[74:75], v[26:27], v[42:43]
	v_mul_f64 v[42:43], v[28:29], v[42:43]
	s_waitcnt vmcnt(13)
	v_fma_f64 v[2:3], v[2:3], v[48:49], -v[30:31]
	v_fmac_f64_e32 v[62:63], v[4:5], v[48:49]
	s_waitcnt vmcnt(11)
	v_fma_f64 v[4:5], v[6:7], v[50:51], -v[32:33]
	v_add_f64 v[2:3], v[2:3], 0
	v_fmac_f64_e32 v[64:65], v[8:9], v[50:51]
	s_waitcnt vmcnt(9)
	v_fma_f64 v[6:7], v[10:11], v[52:53], -v[34:35]
	s_waitcnt vmcnt(7)
	v_fmac_f64_e32 v[68:69], v[16:17], v[54:55]
	v_add_f64 v[16:17], v[62:63], 0
	v_add_f64 v[2:3], v[2:3], v[4:5]
	v_fmac_f64_e32 v[66:67], v[12:13], v[52:53]
	v_fma_f64 v[8:9], v[14:15], v[54:55], -v[40:41]
	v_add_f64 v[16:17], v[16:17], v[64:65]
	v_add_f64 v[2:3], v[2:3], v[6:7]
	v_fma_f64 v[10:11], v[18:19], v[38:39], -v[36:37]
	v_add_f64 v[4:5], v[16:17], v[66:67]
	v_add_f64 v[2:3], v[2:3], v[8:9]
	v_fmac_f64_e32 v[70:71], v[20:21], v[38:39]
	s_waitcnt vmcnt(5)
	v_fma_f64 v[12:13], v[22:23], v[56:57], -v[46:47]
	v_add_f64 v[4:5], v[4:5], v[68:69]
	v_add_f64 v[2:3], v[2:3], v[10:11]
	v_fmac_f64_e32 v[72:73], v[24:25], v[56:57]
	s_waitcnt vmcnt(4)
	v_fma_f64 v[14:15], v[26:27], v[44:45], -v[42:43]
	v_add_f64 v[4:5], v[4:5], v[70:71]
	v_add_f64 v[2:3], v[2:3], v[12:13]
	v_fmac_f64_e32 v[74:75], v[28:29], v[44:45]
	v_add_f64 v[4:5], v[4:5], v[72:73]
	v_add_f64 v[2:3], v[2:3], v[14:15]
	;; [unrolled: 1-line block ×3, first 2 shown]
	s_waitcnt vmcnt(2)
	v_add_f64 v[2:3], v[58:59], -v[2:3]
	s_waitcnt vmcnt(0)
	v_add_f64 v[4:5], v[60:61], -v[4:5]
	buffer_store_dword v3, off, s[0:3], 0 offset:820
	buffer_store_dword v2, off, s[0:3], 0 offset:816
	;; [unrolled: 1-line block ×4, first 2 shown]
	s_and_saveexec_b64 s[4:5], vcc
	s_cbranch_execz .LBB57_263
; %bb.262:
	v_accvgpr_read_b32 v5, a124
	buffer_load_dword v2, v5, s[0:3], 0 offen
	buffer_load_dword v3, v5, s[0:3], 0 offen offset:4
	buffer_load_dword v4, v5, s[0:3], 0 offen offset:8
	s_nop 0
	buffer_load_dword v5, v5, s[0:3], 0 offen offset:12
	v_accvgpr_read_b32 v6, a173
	buffer_store_dword v1, off, s[0:3], 0 offset:800
	buffer_store_dword v1, off, s[0:3], 0 offset:804
	;; [unrolled: 1-line block ×4, first 2 shown]
	s_waitcnt vmcnt(4)
	ds_write_b128 v6, v[2:5]
.LBB57_263:
	s_or_b64 exec, exec, s[4:5]
	s_waitcnt lgkmcnt(0)
	; wave barrier
	s_waitcnt lgkmcnt(0)
	ds_read_b128 v[14:17], v1 offset:1728
	ds_read_b128 v[10:13], v1 offset:1744
	;; [unrolled: 1-line block ×4, first 2 shown]
	buffer_load_dword v36, off, s[0:3], 0 offset:800
	buffer_load_dword v37, off, s[0:3], 0 offset:804
	;; [unrolled: 1-line block ×20, first 2 shown]
	v_cmp_lt_u32_e32 vcc, 48, v0
	s_waitcnt vmcnt(12) lgkmcnt(3)
	v_mul_f64 v[18:19], v[14:15], v[44:45]
	v_fmac_f64_e32 v[18:19], v[16:17], v[38:39]
	v_add_f64 v[18:19], v[18:19], 0
	v_mul_f64 v[16:17], v[16:17], v[44:45]
	s_waitcnt vmcnt(8) lgkmcnt(2)
	v_mul_f64 v[20:21], v[10:11], v[46:47]
	v_fmac_f64_e32 v[20:21], v[12:13], v[40:41]
	v_add_f64 v[18:19], v[18:19], v[20:21]
	v_fma_f64 v[14:15], v[14:15], v[38:39], -v[16:17]
	s_waitcnt vmcnt(4) lgkmcnt(1)
	v_mul_f64 v[20:21], v[6:7], v[50:51]
	v_fmac_f64_e32 v[20:21], v[8:9], v[42:43]
	v_add_f64 v[18:19], v[18:19], v[20:21]
	s_waitcnt vmcnt(0) lgkmcnt(0)
	v_mul_f64 v[20:21], v[2:3], v[54:55]
	v_fmac_f64_e32 v[20:21], v[4:5], v[52:53]
	v_add_f64 v[22:23], v[18:19], v[20:21]
	ds_read_b128 v[18:21], v1 offset:1792
	buffer_load_dword v49, off, s[0:3], 0 offset:884
	buffer_load_dword v48, off, s[0:3], 0 offset:880
	;; [unrolled: 1-line block ×4, first 2 shown]
	ds_read_b128 v[30:33], v1 offset:1808
	buffer_load_dword v61, off, s[0:3], 0 offset:900
	buffer_load_dword v60, off, s[0:3], 0 offset:896
	;; [unrolled: 1-line block ×4, first 2 shown]
	v_mul_f64 v[12:13], v[12:13], v[46:47]
	v_add_f64 v[14:15], v[14:15], 0
	v_fma_f64 v[10:11], v[10:11], v[40:41], -v[12:13]
	v_mul_f64 v[8:9], v[8:9], v[50:51]
	v_add_f64 v[10:11], v[14:15], v[10:11]
	v_fma_f64 v[6:7], v[6:7], v[42:43], -v[8:9]
	;; [unrolled: 3-line block ×3, first 2 shown]
	v_add_f64 v[2:3], v[6:7], v[2:3]
	s_waitcnt vmcnt(4) lgkmcnt(1)
	v_mul_f64 v[24:25], v[18:19], v[64:65]
	v_fmac_f64_e32 v[24:25], v[20:21], v[48:49]
	v_add_f64 v[22:23], v[22:23], v[24:25]
	s_waitcnt vmcnt(0) lgkmcnt(0)
	v_mul_f64 v[24:25], v[30:31], v[62:63]
	v_fmac_f64_e32 v[24:25], v[32:33], v[60:61]
	v_add_f64 v[26:27], v[22:23], v[24:25]
	ds_read_b128 v[22:25], v1 offset:1824
	buffer_load_dword v57, off, s[0:3], 0 offset:916
	buffer_load_dword v56, off, s[0:3], 0 offset:912
	;; [unrolled: 1-line block ×4, first 2 shown]
	v_mul_f64 v[4:5], v[20:21], v[64:65]
	v_fma_f64 v[4:5], v[18:19], v[48:49], -v[4:5]
	v_add_f64 v[2:3], v[2:3], v[4:5]
	v_mul_f64 v[4:5], v[32:33], v[62:63]
	v_fma_f64 v[4:5], v[30:31], v[60:61], -v[4:5]
	v_add_f64 v[2:3], v[2:3], v[4:5]
	s_waitcnt vmcnt(0) lgkmcnt(0)
	v_mul_f64 v[28:29], v[22:23], v[66:67]
	v_fmac_f64_e32 v[28:29], v[24:25], v[56:57]
	v_add_f64 v[68:69], v[26:27], v[28:29]
	ds_read_b128 v[26:29], v1 offset:1840
	buffer_load_dword v59, off, s[0:3], 0 offset:932
	buffer_load_dword v58, off, s[0:3], 0 offset:928
	;; [unrolled: 1-line block ×4, first 2 shown]
	v_mul_f64 v[4:5], v[24:25], v[66:67]
	v_fma_f64 v[4:5], v[22:23], v[56:57], -v[4:5]
	v_add_f64 v[2:3], v[2:3], v[4:5]
	s_waitcnt vmcnt(0) lgkmcnt(0)
	v_mul_f64 v[4:5], v[28:29], v[70:71]
	v_mul_f64 v[72:73], v[26:27], v[70:71]
	v_fma_f64 v[4:5], v[26:27], v[58:59], -v[4:5]
	v_fmac_f64_e32 v[72:73], v[28:29], v[58:59]
	v_add_f64 v[2:3], v[2:3], v[4:5]
	v_add_f64 v[68:69], v[68:69], v[72:73]
	v_add_f64 v[2:3], v[36:37], -v[2:3]
	v_add_f64 v[4:5], v[34:35], -v[68:69]
	buffer_store_dword v3, off, s[0:3], 0 offset:804
	buffer_store_dword v2, off, s[0:3], 0 offset:800
	;; [unrolled: 1-line block ×4, first 2 shown]
	s_and_saveexec_b64 s[4:5], vcc
	s_cbranch_execz .LBB57_265
; %bb.264:
	v_accvgpr_read_b32 v1, a125
	buffer_load_dword v2, v1, s[0:3], 0 offen
	buffer_load_dword v3, v1, s[0:3], 0 offen offset:4
	buffer_load_dword v4, v1, s[0:3], 0 offen offset:8
	;; [unrolled: 1-line block ×3, first 2 shown]
	v_mov_b32_e32 v1, 0
	v_accvgpr_read_b32 v6, a173
	buffer_store_dword v1, off, s[0:3], 0 offset:784
	buffer_store_dword v1, off, s[0:3], 0 offset:788
	;; [unrolled: 1-line block ×4, first 2 shown]
	s_waitcnt vmcnt(4)
	ds_write_b128 v6, v[2:5]
.LBB57_265:
	s_or_b64 exec, exec, s[4:5]
	v_mov_b32_e32 v1, 0
	s_waitcnt lgkmcnt(0)
	; wave barrier
	s_waitcnt lgkmcnt(0)
	ds_read_b128 v[18:21], v1 offset:1712
	ds_read_b128 v[14:17], v1 offset:1728
	;; [unrolled: 1-line block ×4, first 2 shown]
	buffer_load_dword v40, off, s[0:3], 0 offset:784
	buffer_load_dword v41, off, s[0:3], 0 offset:788
	;; [unrolled: 1-line block ×20, first 2 shown]
	v_cmp_lt_u32_e32 vcc, 47, v0
	s_waitcnt vmcnt(12) lgkmcnt(3)
	v_mul_f64 v[6:7], v[18:19], v[56:57]
	v_fmac_f64_e32 v[6:7], v[20:21], v[44:45]
	v_add_f64 v[6:7], v[6:7], 0
	v_mul_f64 v[20:21], v[20:21], v[56:57]
	s_waitcnt vmcnt(8) lgkmcnt(2)
	v_mul_f64 v[8:9], v[14:15], v[54:55]
	v_fmac_f64_e32 v[8:9], v[16:17], v[50:51]
	v_add_f64 v[6:7], v[6:7], v[8:9]
	v_fma_f64 v[18:19], v[18:19], v[44:45], -v[20:21]
	s_waitcnt vmcnt(4) lgkmcnt(1)
	v_mul_f64 v[8:9], v[10:11], v[52:53]
	v_fmac_f64_e32 v[8:9], v[12:13], v[48:49]
	v_add_f64 v[6:7], v[6:7], v[8:9]
	s_waitcnt vmcnt(0) lgkmcnt(0)
	v_mul_f64 v[8:9], v[2:3], v[58:59]
	v_fmac_f64_e32 v[8:9], v[4:5], v[46:47]
	v_add_f64 v[22:23], v[6:7], v[8:9]
	ds_read_b128 v[6:9], v1 offset:1776
	buffer_load_dword v43, off, s[0:3], 0 offset:868
	buffer_load_dword v42, off, s[0:3], 0 offset:864
	;; [unrolled: 1-line block ×4, first 2 shown]
	v_mul_f64 v[16:17], v[16:17], v[54:55]
	v_add_f64 v[18:19], v[18:19], 0
	v_fma_f64 v[14:15], v[14:15], v[50:51], -v[16:17]
	v_mul_f64 v[12:13], v[12:13], v[52:53]
	v_add_f64 v[14:15], v[18:19], v[14:15]
	v_fma_f64 v[10:11], v[10:11], v[48:49], -v[12:13]
	;; [unrolled: 3-line block ×3, first 2 shown]
	v_add_f64 v[2:3], v[10:11], v[2:3]
	s_waitcnt vmcnt(0) lgkmcnt(0)
	v_mul_f64 v[24:25], v[6:7], v[60:61]
	v_fmac_f64_e32 v[24:25], v[8:9], v[42:43]
	v_add_f64 v[26:27], v[22:23], v[24:25]
	ds_read_b128 v[22:25], v1 offset:1792
	buffer_load_dword v63, off, s[0:3], 0 offset:884
	buffer_load_dword v62, off, s[0:3], 0 offset:880
	buffer_load_dword v65, off, s[0:3], 0 offset:892
	buffer_load_dword v64, off, s[0:3], 0 offset:888
	v_mul_f64 v[4:5], v[8:9], v[60:61]
	v_fma_f64 v[4:5], v[6:7], v[42:43], -v[4:5]
	v_add_f64 v[2:3], v[2:3], v[4:5]
	s_waitcnt vmcnt(0) lgkmcnt(0)
	v_mul_f64 v[28:29], v[22:23], v[64:65]
	v_fmac_f64_e32 v[28:29], v[24:25], v[62:63]
	v_add_f64 v[30:31], v[26:27], v[28:29]
	ds_read_b128 v[26:29], v1 offset:1808
	buffer_load_dword v67, off, s[0:3], 0 offset:900
	buffer_load_dword v66, off, s[0:3], 0 offset:896
	buffer_load_dword v69, off, s[0:3], 0 offset:908
	buffer_load_dword v68, off, s[0:3], 0 offset:904
	v_mul_f64 v[4:5], v[24:25], v[64:65]
	v_fma_f64 v[4:5], v[22:23], v[62:63], -v[4:5]
	;; [unrolled: 12-line block ×4, first 2 shown]
	v_add_f64 v[2:3], v[2:3], v[4:5]
	s_waitcnt vmcnt(0) lgkmcnt(0)
	v_mul_f64 v[4:5], v[36:37], v[76:77]
	v_mul_f64 v[80:81], v[34:35], v[76:77]
	v_fma_f64 v[4:5], v[34:35], v[74:75], -v[4:5]
	v_fmac_f64_e32 v[80:81], v[36:37], v[74:75]
	v_add_f64 v[2:3], v[2:3], v[4:5]
	v_add_f64 v[78:79], v[78:79], v[80:81]
	v_add_f64 v[2:3], v[40:41], -v[2:3]
	v_add_f64 v[4:5], v[38:39], -v[78:79]
	buffer_store_dword v3, off, s[0:3], 0 offset:788
	buffer_store_dword v2, off, s[0:3], 0 offset:784
	;; [unrolled: 1-line block ×4, first 2 shown]
	s_and_saveexec_b64 s[4:5], vcc
	s_cbranch_execz .LBB57_267
; %bb.266:
	v_accvgpr_read_b32 v5, a126
	buffer_load_dword v2, v5, s[0:3], 0 offen
	buffer_load_dword v3, v5, s[0:3], 0 offen offset:4
	buffer_load_dword v4, v5, s[0:3], 0 offen offset:8
	s_nop 0
	buffer_load_dword v5, v5, s[0:3], 0 offen offset:12
	v_accvgpr_read_b32 v6, a173
	buffer_store_dword v1, off, s[0:3], 0 offset:768
	buffer_store_dword v1, off, s[0:3], 0 offset:772
	buffer_store_dword v1, off, s[0:3], 0 offset:776
	buffer_store_dword v1, off, s[0:3], 0 offset:780
	s_waitcnt vmcnt(4)
	ds_write_b128 v6, v[2:5]
.LBB57_267:
	s_or_b64 exec, exec, s[4:5]
	s_waitcnt lgkmcnt(0)
	; wave barrier
	s_waitcnt lgkmcnt(0)
	ds_read_b128 v[18:21], v1 offset:1696
	ds_read_b128 v[10:13], v1 offset:1712
	;; [unrolled: 1-line block ×4, first 2 shown]
	buffer_load_dword v44, off, s[0:3], 0 offset:768
	buffer_load_dword v45, off, s[0:3], 0 offset:772
	;; [unrolled: 1-line block ×20, first 2 shown]
	v_cmp_lt_u32_e32 vcc, 46, v0
	s_waitcnt vmcnt(12) lgkmcnt(3)
	v_mul_f64 v[14:15], v[18:19], v[62:63]
	v_fmac_f64_e32 v[14:15], v[20:21], v[58:59]
	v_add_f64 v[14:15], v[14:15], 0
	v_mul_f64 v[20:21], v[20:21], v[62:63]
	s_waitcnt vmcnt(8) lgkmcnt(2)
	v_mul_f64 v[16:17], v[10:11], v[60:61]
	v_fmac_f64_e32 v[16:17], v[12:13], v[56:57]
	v_add_f64 v[14:15], v[14:15], v[16:17]
	v_fma_f64 v[18:19], v[18:19], v[58:59], -v[20:21]
	s_waitcnt vmcnt(4) lgkmcnt(1)
	v_mul_f64 v[16:17], v[6:7], v[48:49]
	v_fmac_f64_e32 v[16:17], v[8:9], v[46:47]
	v_add_f64 v[14:15], v[14:15], v[16:17]
	s_waitcnt vmcnt(0) lgkmcnt(0)
	v_mul_f64 v[16:17], v[2:3], v[52:53]
	v_fmac_f64_e32 v[16:17], v[4:5], v[50:51]
	v_add_f64 v[22:23], v[14:15], v[16:17]
	ds_read_b128 v[14:17], v1 offset:1760
	buffer_load_dword v55, off, s[0:3], 0 offset:852
	buffer_load_dword v54, off, s[0:3], 0 offset:848
	;; [unrolled: 1-line block ×4, first 2 shown]
	v_mul_f64 v[12:13], v[12:13], v[60:61]
	v_add_f64 v[18:19], v[18:19], 0
	v_fma_f64 v[10:11], v[10:11], v[56:57], -v[12:13]
	v_mul_f64 v[8:9], v[8:9], v[48:49]
	v_add_f64 v[10:11], v[18:19], v[10:11]
	v_fma_f64 v[6:7], v[6:7], v[46:47], -v[8:9]
	;; [unrolled: 3-line block ×3, first 2 shown]
	v_add_f64 v[2:3], v[6:7], v[2:3]
	s_waitcnt vmcnt(0) lgkmcnt(0)
	v_mul_f64 v[24:25], v[14:15], v[64:65]
	v_fmac_f64_e32 v[24:25], v[16:17], v[54:55]
	v_add_f64 v[26:27], v[22:23], v[24:25]
	ds_read_b128 v[22:25], v1 offset:1776
	buffer_load_dword v67, off, s[0:3], 0 offset:868
	buffer_load_dword v66, off, s[0:3], 0 offset:864
	buffer_load_dword v69, off, s[0:3], 0 offset:876
	buffer_load_dword v68, off, s[0:3], 0 offset:872
	v_mul_f64 v[4:5], v[16:17], v[64:65]
	v_fma_f64 v[4:5], v[14:15], v[54:55], -v[4:5]
	v_add_f64 v[2:3], v[2:3], v[4:5]
	s_waitcnt vmcnt(0) lgkmcnt(0)
	v_mul_f64 v[28:29], v[22:23], v[68:69]
	v_fmac_f64_e32 v[28:29], v[24:25], v[66:67]
	v_add_f64 v[30:31], v[26:27], v[28:29]
	ds_read_b128 v[26:29], v1 offset:1792
	buffer_load_dword v71, off, s[0:3], 0 offset:884
	buffer_load_dword v70, off, s[0:3], 0 offset:880
	buffer_load_dword v73, off, s[0:3], 0 offset:892
	buffer_load_dword v72, off, s[0:3], 0 offset:888
	v_mul_f64 v[4:5], v[24:25], v[68:69]
	v_fma_f64 v[4:5], v[22:23], v[66:67], -v[4:5]
	;; [unrolled: 12-line block ×5, first 2 shown]
	v_add_f64 v[2:3], v[2:3], v[4:5]
	s_waitcnt vmcnt(0) lgkmcnt(0)
	v_mul_f64 v[4:5], v[40:41], v[86:87]
	v_mul_f64 v[88:89], v[38:39], v[86:87]
	v_fma_f64 v[4:5], v[38:39], v[82:83], -v[4:5]
	v_fmac_f64_e32 v[88:89], v[40:41], v[82:83]
	v_add_f64 v[2:3], v[2:3], v[4:5]
	v_add_f64 v[84:85], v[84:85], v[88:89]
	v_add_f64 v[2:3], v[44:45], -v[2:3]
	v_add_f64 v[4:5], v[42:43], -v[84:85]
	buffer_store_dword v3, off, s[0:3], 0 offset:772
	buffer_store_dword v2, off, s[0:3], 0 offset:768
	;; [unrolled: 1-line block ×4, first 2 shown]
	s_and_saveexec_b64 s[4:5], vcc
	s_cbranch_execz .LBB57_269
; %bb.268:
	v_accvgpr_read_b32 v1, a127
	buffer_load_dword v2, v1, s[0:3], 0 offen
	buffer_load_dword v3, v1, s[0:3], 0 offen offset:4
	buffer_load_dword v4, v1, s[0:3], 0 offen offset:8
	buffer_load_dword v5, v1, s[0:3], 0 offen offset:12
	v_mov_b32_e32 v1, 0
	v_accvgpr_read_b32 v6, a173
	buffer_store_dword v1, off, s[0:3], 0 offset:752
	buffer_store_dword v1, off, s[0:3], 0 offset:756
	;; [unrolled: 1-line block ×4, first 2 shown]
	s_waitcnt vmcnt(4)
	ds_write_b128 v6, v[2:5]
.LBB57_269:
	s_or_b64 exec, exec, s[4:5]
	v_mov_b32_e32 v1, 0
	s_waitcnt lgkmcnt(0)
	; wave barrier
	s_waitcnt lgkmcnt(0)
	ds_read_b128 v[14:17], v1 offset:1680
	ds_read_b128 v[10:13], v1 offset:1696
	;; [unrolled: 1-line block ×4, first 2 shown]
	buffer_load_dword v48, off, s[0:3], 0 offset:752
	buffer_load_dword v49, off, s[0:3], 0 offset:756
	;; [unrolled: 1-line block ×20, first 2 shown]
	v_cmp_lt_u32_e32 vcc, 45, v0
	s_waitcnt vmcnt(12) lgkmcnt(3)
	v_mul_f64 v[18:19], v[14:15], v[56:57]
	v_fmac_f64_e32 v[18:19], v[16:17], v[50:51]
	v_add_f64 v[18:19], v[18:19], 0
	v_mul_f64 v[16:17], v[16:17], v[56:57]
	s_waitcnt vmcnt(8) lgkmcnt(2)
	v_mul_f64 v[20:21], v[10:11], v[58:59]
	v_fmac_f64_e32 v[20:21], v[12:13], v[52:53]
	v_add_f64 v[18:19], v[18:19], v[20:21]
	v_fma_f64 v[14:15], v[14:15], v[50:51], -v[16:17]
	s_waitcnt vmcnt(4) lgkmcnt(1)
	v_mul_f64 v[20:21], v[6:7], v[60:61]
	v_fmac_f64_e32 v[20:21], v[8:9], v[54:55]
	v_add_f64 v[18:19], v[18:19], v[20:21]
	s_waitcnt vmcnt(0) lgkmcnt(0)
	v_mul_f64 v[20:21], v[2:3], v[64:65]
	v_fmac_f64_e32 v[20:21], v[4:5], v[62:63]
	v_add_f64 v[22:23], v[18:19], v[20:21]
	ds_read_b128 v[18:21], v1 offset:1744
	buffer_load_dword v67, off, s[0:3], 0 offset:836
	buffer_load_dword v66, off, s[0:3], 0 offset:832
	;; [unrolled: 1-line block ×4, first 2 shown]
	v_mul_f64 v[12:13], v[12:13], v[58:59]
	v_add_f64 v[14:15], v[14:15], 0
	v_fma_f64 v[10:11], v[10:11], v[52:53], -v[12:13]
	v_mul_f64 v[8:9], v[8:9], v[60:61]
	v_add_f64 v[10:11], v[14:15], v[10:11]
	v_fma_f64 v[6:7], v[6:7], v[54:55], -v[8:9]
	;; [unrolled: 3-line block ×3, first 2 shown]
	v_add_f64 v[2:3], v[6:7], v[2:3]
	s_waitcnt vmcnt(0) lgkmcnt(0)
	v_mul_f64 v[24:25], v[18:19], v[68:69]
	v_fmac_f64_e32 v[24:25], v[20:21], v[66:67]
	v_add_f64 v[26:27], v[22:23], v[24:25]
	ds_read_b128 v[22:25], v1 offset:1760
	buffer_load_dword v71, off, s[0:3], 0 offset:852
	buffer_load_dword v70, off, s[0:3], 0 offset:848
	buffer_load_dword v73, off, s[0:3], 0 offset:860
	buffer_load_dword v72, off, s[0:3], 0 offset:856
	v_mul_f64 v[4:5], v[20:21], v[68:69]
	v_fma_f64 v[4:5], v[18:19], v[66:67], -v[4:5]
	v_add_f64 v[2:3], v[2:3], v[4:5]
	s_waitcnt vmcnt(0) lgkmcnt(0)
	v_mul_f64 v[28:29], v[22:23], v[72:73]
	v_fmac_f64_e32 v[28:29], v[24:25], v[70:71]
	v_add_f64 v[30:31], v[26:27], v[28:29]
	ds_read_b128 v[26:29], v1 offset:1776
	buffer_load_dword v75, off, s[0:3], 0 offset:868
	buffer_load_dword v74, off, s[0:3], 0 offset:864
	buffer_load_dword v77, off, s[0:3], 0 offset:876
	buffer_load_dword v76, off, s[0:3], 0 offset:872
	v_mul_f64 v[4:5], v[24:25], v[72:73]
	v_fma_f64 v[4:5], v[22:23], v[70:71], -v[4:5]
	;; [unrolled: 12-line block ×6, first 2 shown]
	v_add_f64 v[2:3], v[2:3], v[4:5]
	s_waitcnt vmcnt(0) lgkmcnt(0)
	v_mul_f64 v[4:5], v[44:45], v[92:93]
	v_mul_f64 v[96:97], v[42:43], v[92:93]
	v_fma_f64 v[4:5], v[42:43], v[90:91], -v[4:5]
	v_fmac_f64_e32 v[96:97], v[44:45], v[90:91]
	v_add_f64 v[2:3], v[2:3], v[4:5]
	v_add_f64 v[94:95], v[94:95], v[96:97]
	v_add_f64 v[2:3], v[48:49], -v[2:3]
	v_add_f64 v[4:5], v[46:47], -v[94:95]
	buffer_store_dword v3, off, s[0:3], 0 offset:756
	buffer_store_dword v2, off, s[0:3], 0 offset:752
	;; [unrolled: 1-line block ×4, first 2 shown]
	s_and_saveexec_b64 s[4:5], vcc
	s_cbranch_execz .LBB57_271
; %bb.270:
	v_accvgpr_read_b32 v5, a128
	buffer_load_dword v2, v5, s[0:3], 0 offen
	buffer_load_dword v3, v5, s[0:3], 0 offen offset:4
	buffer_load_dword v4, v5, s[0:3], 0 offen offset:8
	s_nop 0
	buffer_load_dword v5, v5, s[0:3], 0 offen offset:12
	v_accvgpr_read_b32 v6, a173
	buffer_store_dword v1, off, s[0:3], 0 offset:736
	buffer_store_dword v1, off, s[0:3], 0 offset:740
	;; [unrolled: 1-line block ×4, first 2 shown]
	s_waitcnt vmcnt(4)
	ds_write_b128 v6, v[2:5]
.LBB57_271:
	s_or_b64 exec, exec, s[4:5]
	s_waitcnt lgkmcnt(0)
	; wave barrier
	s_waitcnt lgkmcnt(0)
	ds_read_b128 v[14:17], v1 offset:1664
	ds_read_b128 v[10:13], v1 offset:1680
	;; [unrolled: 1-line block ×4, first 2 shown]
	buffer_load_dword v48, off, s[0:3], 0 offset:736
	buffer_load_dword v49, off, s[0:3], 0 offset:740
	;; [unrolled: 1-line block ×20, first 2 shown]
	v_cmp_lt_u32_e32 vcc, 44, v0
	s_waitcnt vmcnt(12) lgkmcnt(3)
	v_mul_f64 v[18:19], v[14:15], v[56:57]
	v_fmac_f64_e32 v[18:19], v[16:17], v[50:51]
	v_add_f64 v[18:19], v[18:19], 0
	v_mul_f64 v[16:17], v[16:17], v[56:57]
	s_waitcnt vmcnt(8) lgkmcnt(2)
	v_mul_f64 v[20:21], v[10:11], v[58:59]
	v_fmac_f64_e32 v[20:21], v[12:13], v[52:53]
	v_add_f64 v[18:19], v[18:19], v[20:21]
	v_fma_f64 v[14:15], v[14:15], v[50:51], -v[16:17]
	s_waitcnt vmcnt(4) lgkmcnt(1)
	v_mul_f64 v[20:21], v[6:7], v[60:61]
	v_fmac_f64_e32 v[20:21], v[8:9], v[54:55]
	v_add_f64 v[18:19], v[18:19], v[20:21]
	s_waitcnt vmcnt(0) lgkmcnt(0)
	v_mul_f64 v[20:21], v[2:3], v[64:65]
	v_fmac_f64_e32 v[20:21], v[4:5], v[62:63]
	v_add_f64 v[22:23], v[18:19], v[20:21]
	ds_read_b128 v[18:21], v1 offset:1728
	buffer_load_dword v67, off, s[0:3], 0 offset:820
	buffer_load_dword v66, off, s[0:3], 0 offset:816
	;; [unrolled: 1-line block ×4, first 2 shown]
	v_mul_f64 v[12:13], v[12:13], v[58:59]
	v_add_f64 v[14:15], v[14:15], 0
	v_fma_f64 v[10:11], v[10:11], v[52:53], -v[12:13]
	v_mul_f64 v[8:9], v[8:9], v[60:61]
	v_add_f64 v[10:11], v[14:15], v[10:11]
	v_fma_f64 v[6:7], v[6:7], v[54:55], -v[8:9]
	v_mul_f64 v[4:5], v[4:5], v[64:65]
	v_add_f64 v[6:7], v[10:11], v[6:7]
	v_fma_f64 v[2:3], v[2:3], v[62:63], -v[4:5]
	v_add_f64 v[2:3], v[6:7], v[2:3]
	s_waitcnt vmcnt(0) lgkmcnt(0)
	v_mul_f64 v[24:25], v[18:19], v[68:69]
	v_fmac_f64_e32 v[24:25], v[20:21], v[66:67]
	v_add_f64 v[26:27], v[22:23], v[24:25]
	ds_read_b128 v[22:25], v1 offset:1744
	buffer_load_dword v71, off, s[0:3], 0 offset:836
	buffer_load_dword v70, off, s[0:3], 0 offset:832
	buffer_load_dword v73, off, s[0:3], 0 offset:844
	buffer_load_dword v72, off, s[0:3], 0 offset:840
	v_mul_f64 v[4:5], v[20:21], v[68:69]
	v_fma_f64 v[4:5], v[18:19], v[66:67], -v[4:5]
	v_add_f64 v[2:3], v[2:3], v[4:5]
	s_waitcnt vmcnt(0) lgkmcnt(0)
	v_mul_f64 v[28:29], v[22:23], v[72:73]
	v_fmac_f64_e32 v[28:29], v[24:25], v[70:71]
	v_add_f64 v[30:31], v[26:27], v[28:29]
	ds_read_b128 v[26:29], v1 offset:1760
	buffer_load_dword v75, off, s[0:3], 0 offset:852
	buffer_load_dword v74, off, s[0:3], 0 offset:848
	buffer_load_dword v77, off, s[0:3], 0 offset:860
	buffer_load_dword v76, off, s[0:3], 0 offset:856
	v_mul_f64 v[4:5], v[24:25], v[72:73]
	v_fma_f64 v[4:5], v[22:23], v[70:71], -v[4:5]
	;; [unrolled: 12-line block ×7, first 2 shown]
	v_add_f64 v[2:3], v[2:3], v[4:5]
	s_waitcnt vmcnt(0) lgkmcnt(0)
	v_mul_f64 v[4:5], v[96:97], v[102:103]
	v_mul_f64 v[104:105], v[94:95], v[102:103]
	v_fma_f64 v[4:5], v[94:95], v[100:101], -v[4:5]
	v_fmac_f64_e32 v[104:105], v[96:97], v[100:101]
	v_add_f64 v[2:3], v[2:3], v[4:5]
	v_add_f64 v[98:99], v[98:99], v[104:105]
	v_add_f64 v[2:3], v[48:49], -v[2:3]
	v_add_f64 v[4:5], v[46:47], -v[98:99]
	buffer_store_dword v3, off, s[0:3], 0 offset:740
	buffer_store_dword v2, off, s[0:3], 0 offset:736
	;; [unrolled: 1-line block ×4, first 2 shown]
	s_and_saveexec_b64 s[4:5], vcc
	s_cbranch_execz .LBB57_273
; %bb.272:
	v_accvgpr_read_b32 v1, a129
	buffer_load_dword v2, v1, s[0:3], 0 offen
	buffer_load_dword v3, v1, s[0:3], 0 offen offset:4
	buffer_load_dword v4, v1, s[0:3], 0 offen offset:8
	buffer_load_dword v5, v1, s[0:3], 0 offen offset:12
	v_mov_b32_e32 v1, 0
	v_accvgpr_read_b32 v6, a173
	buffer_store_dword v1, off, s[0:3], 0 offset:720
	buffer_store_dword v1, off, s[0:3], 0 offset:724
	;; [unrolled: 1-line block ×4, first 2 shown]
	s_waitcnt vmcnt(4)
	ds_write_b128 v6, v[2:5]
.LBB57_273:
	s_or_b64 exec, exec, s[4:5]
	s_waitcnt lgkmcnt(0)
	; wave barrier
	s_waitcnt lgkmcnt(0)
	buffer_load_dword v2, off, s[0:3], 0 offset:736
	buffer_load_dword v3, off, s[0:3], 0 offset:740
	;; [unrolled: 1-line block ×56, first 2 shown]
	v_mov_b32_e32 v1, 0
	ds_read_b128 v[30:33], v1 offset:1648
	ds_read_b128 v[34:37], v1 offset:1664
	;; [unrolled: 1-line block ×9, first 2 shown]
	v_cmp_lt_u32_e32 vcc, 43, v0
	s_waitcnt vmcnt(52) lgkmcnt(8)
	v_mul_f64 v[62:63], v[30:31], v[6:7]
	v_fmac_f64_e32 v[62:63], v[32:33], v[2:3]
	v_mul_f64 v[6:7], v[32:33], v[6:7]
	v_add_f64 v[62:63], v[62:63], 0
	s_waitcnt vmcnt(48) lgkmcnt(7)
	v_mul_f64 v[64:65], v[34:35], v[8:9]
	v_fmac_f64_e32 v[64:65], v[36:37], v[4:5]
	s_waitcnt vmcnt(46) lgkmcnt(6)
	v_mul_f64 v[66:67], v[38:39], v[10:11]
	v_fma_f64 v[2:3], v[30:31], v[2:3], -v[6:7]
	v_mul_f64 v[6:7], v[36:37], v[8:9]
	s_waitcnt vmcnt(44) lgkmcnt(5)
	v_mul_f64 v[68:69], v[42:43], v[12:13]
	v_add_f64 v[62:63], v[62:63], v[64:65]
	v_add_f64 v[2:3], v[2:3], 0
	v_fma_f64 v[4:5], v[34:35], v[4:5], -v[6:7]
	v_add_f64 v[2:3], v[2:3], v[4:5]
	v_mul_f64 v[4:5], v[40:41], v[10:11]
	s_waitcnt vmcnt(37) lgkmcnt(4)
	v_mul_f64 v[70:71], v[46:47], v[20:21]
	s_waitcnt lgkmcnt(3)
	v_mul_f64 v[72:73], v[50:51], v[18:19]
	s_waitcnt vmcnt(35)
	v_fmac_f64_e32 v[70:71], v[48:49], v[22:23]
	s_waitcnt lgkmcnt(2)
	v_mul_f64 v[74:75], v[54:55], v[14:15]
	s_waitcnt vmcnt(33)
	v_fmac_f64_e32 v[66:67], v[40:41], v[28:29]
	v_add_f64 v[62:63], v[62:63], v[66:67]
	s_waitcnt vmcnt(31)
	v_fmac_f64_e32 v[68:69], v[44:45], v[26:27]
	v_add_f64 v[62:63], v[62:63], v[68:69]
	v_fma_f64 v[4:5], v[38:39], v[28:29], -v[4:5]
	s_waitcnt vmcnt(29)
	v_fmac_f64_e32 v[72:73], v[52:53], v[24:25]
	v_add_f64 v[62:63], v[62:63], v[70:71]
	v_add_f64 v[2:3], v[2:3], v[4:5]
	v_mul_f64 v[4:5], v[44:45], v[12:13]
	s_waitcnt vmcnt(28)
	v_fmac_f64_e32 v[74:75], v[56:57], v[16:17]
	v_add_f64 v[62:63], v[62:63], v[72:73]
	v_fma_f64 v[4:5], v[42:43], v[26:27], -v[4:5]
	v_add_f64 v[66:67], v[62:63], v[74:75]
	ds_read_b128 v[62:65], v1 offset:1776
	s_waitcnt vmcnt(24) lgkmcnt(2)
	v_mul_f64 v[68:69], v[58:59], v[86:87]
	v_add_f64 v[2:3], v[2:3], v[4:5]
	v_mul_f64 v[4:5], v[48:49], v[20:21]
	s_waitcnt vmcnt(22)
	v_fmac_f64_e32 v[68:69], v[60:61], v[88:89]
	v_fma_f64 v[4:5], v[46:47], v[22:23], -v[4:5]
	v_add_f64 v[70:71], v[66:67], v[68:69]
	ds_read_b128 v[66:69], v1 offset:1792
	v_add_f64 v[2:3], v[2:3], v[4:5]
	v_mul_f64 v[4:5], v[52:53], v[18:19]
	v_fma_f64 v[4:5], v[50:51], v[24:25], -v[4:5]
	v_add_f64 v[2:3], v[2:3], v[4:5]
	v_mul_f64 v[4:5], v[56:57], v[14:15]
	s_waitcnt vmcnt(21) lgkmcnt(1)
	v_mul_f64 v[72:73], v[62:63], v[82:83]
	v_fma_f64 v[4:5], v[54:55], v[16:17], -v[4:5]
	s_waitcnt vmcnt(20)
	v_fmac_f64_e32 v[72:73], v[64:65], v[84:85]
	v_add_f64 v[2:3], v[2:3], v[4:5]
	v_mul_f64 v[4:5], v[60:61], v[86:87]
	v_add_f64 v[74:75], v[70:71], v[72:73]
	ds_read_b128 v[70:73], v1 offset:1808
	s_waitcnt vmcnt(16) lgkmcnt(1)
	v_mul_f64 v[76:77], v[66:67], v[94:95]
	v_fma_f64 v[4:5], v[58:59], v[88:89], -v[4:5]
	s_waitcnt vmcnt(14)
	v_fmac_f64_e32 v[76:77], v[68:69], v[96:97]
	v_add_f64 v[2:3], v[2:3], v[4:5]
	v_mul_f64 v[4:5], v[64:65], v[82:83]
	v_add_f64 v[110:111], v[74:75], v[76:77]
	ds_read_b128 v[74:77], v1 offset:1824
	v_fma_f64 v[4:5], v[62:63], v[84:85], -v[4:5]
	v_add_f64 v[2:3], v[2:3], v[4:5]
	v_mul_f64 v[4:5], v[68:69], v[94:95]
	v_fma_f64 v[4:5], v[66:67], v[96:97], -v[4:5]
	v_add_f64 v[2:3], v[2:3], v[4:5]
	s_waitcnt vmcnt(13) lgkmcnt(1)
	v_mul_f64 v[4:5], v[72:73], v[90:91]
	v_mul_f64 v[112:113], v[70:71], v[90:91]
	s_waitcnt vmcnt(12)
	v_fma_f64 v[4:5], v[70:71], v[92:93], -v[4:5]
	v_fmac_f64_e32 v[112:113], v[72:73], v[92:93]
	v_add_f64 v[2:3], v[2:3], v[4:5]
	s_waitcnt vmcnt(8) lgkmcnt(0)
	v_mul_f64 v[4:5], v[76:77], v[102:103]
	v_add_f64 v[110:111], v[110:111], v[112:113]
	v_mul_f64 v[112:113], v[74:75], v[102:103]
	s_waitcnt vmcnt(6)
	v_fma_f64 v[4:5], v[74:75], v[104:105], -v[4:5]
	v_fmac_f64_e32 v[112:113], v[76:77], v[104:105]
	v_add_f64 v[2:3], v[2:3], v[4:5]
	s_waitcnt vmcnt(5)
	v_mul_f64 v[4:5], v[80:81], v[98:99]
	v_add_f64 v[110:111], v[110:111], v[112:113]
	v_mul_f64 v[112:113], v[78:79], v[98:99]
	s_waitcnt vmcnt(4)
	v_fma_f64 v[4:5], v[78:79], v[100:101], -v[4:5]
	v_fmac_f64_e32 v[112:113], v[80:81], v[100:101]
	v_add_f64 v[2:3], v[2:3], v[4:5]
	v_add_f64 v[110:111], v[110:111], v[112:113]
	s_waitcnt vmcnt(2)
	v_add_f64 v[2:3], v[106:107], -v[2:3]
	s_waitcnt vmcnt(0)
	v_add_f64 v[4:5], v[108:109], -v[110:111]
	buffer_store_dword v3, off, s[0:3], 0 offset:724
	buffer_store_dword v2, off, s[0:3], 0 offset:720
	;; [unrolled: 1-line block ×4, first 2 shown]
	s_and_saveexec_b64 s[4:5], vcc
	s_cbranch_execz .LBB57_275
; %bb.274:
	v_accvgpr_read_b32 v5, a130
	buffer_load_dword v2, v5, s[0:3], 0 offen
	buffer_load_dword v3, v5, s[0:3], 0 offen offset:4
	buffer_load_dword v4, v5, s[0:3], 0 offen offset:8
	s_nop 0
	buffer_load_dword v5, v5, s[0:3], 0 offen offset:12
	v_accvgpr_read_b32 v6, a173
	buffer_store_dword v1, off, s[0:3], 0 offset:704
	buffer_store_dword v1, off, s[0:3], 0 offset:708
	;; [unrolled: 1-line block ×4, first 2 shown]
	s_waitcnt vmcnt(4)
	ds_write_b128 v6, v[2:5]
.LBB57_275:
	s_or_b64 exec, exec, s[4:5]
	s_waitcnt lgkmcnt(0)
	; wave barrier
	s_waitcnt lgkmcnt(0)
	buffer_load_dword v2, off, s[0:3], 0 offset:720
	buffer_load_dword v3, off, s[0:3], 0 offset:724
	;; [unrolled: 1-line block ×60, first 2 shown]
	ds_read_b128 v[30:33], v1 offset:1632
	ds_read_b128 v[34:37], v1 offset:1648
	;; [unrolled: 1-line block ×8, first 2 shown]
	v_cmp_lt_u32_e32 vcc, 42, v0
	ds_read_b128 v[82:85], v1 offset:1840
	s_waitcnt vmcnt(56) lgkmcnt(8)
	v_mul_f64 v[62:63], v[30:31], v[6:7]
	v_fmac_f64_e32 v[62:63], v[32:33], v[2:3]
	v_add_f64 v[62:63], v[62:63], 0
	v_mul_f64 v[6:7], v[32:33], v[6:7]
	s_waitcnt vmcnt(52) lgkmcnt(7)
	v_mul_f64 v[64:65], v[34:35], v[8:9]
	v_fmac_f64_e32 v[64:65], v[36:37], v[4:5]
	s_waitcnt vmcnt(50) lgkmcnt(6)
	v_mul_f64 v[66:67], v[38:39], v[10:11]
	v_add_f64 v[62:63], v[62:63], v[64:65]
	s_waitcnt vmcnt(48) lgkmcnt(4)
	v_mul_f64 v[70:71], v[46:47], v[12:13]
	v_fma_f64 v[2:3], v[30:31], v[2:3], -v[6:7]
	s_waitcnt vmcnt(46)
	v_fmac_f64_e32 v[70:71], v[48:49], v[14:15]
	v_mul_f64 v[6:7], v[36:37], v[8:9]
	s_waitcnt vmcnt(44)
	v_mul_f64 v[68:69], v[42:43], v[16:17]
	v_add_f64 v[2:3], v[2:3], 0
	v_fma_f64 v[4:5], v[34:35], v[4:5], -v[6:7]
	v_add_f64 v[2:3], v[2:3], v[4:5]
	s_waitcnt vmcnt(40) lgkmcnt(3)
	v_mul_f64 v[72:73], v[50:51], v[22:23]
	v_mul_f64 v[4:5], v[40:41], v[10:11]
	s_waitcnt vmcnt(38)
	v_fmac_f64_e32 v[66:67], v[40:41], v[28:29]
	v_add_f64 v[62:63], v[62:63], v[66:67]
	s_waitcnt vmcnt(36)
	v_fmac_f64_e32 v[68:69], v[44:45], v[26:27]
	v_add_f64 v[62:63], v[62:63], v[68:69]
	;; [unrolled: 3-line block ×3, first 2 shown]
	s_waitcnt vmcnt(33) lgkmcnt(2)
	v_mul_f64 v[64:65], v[54:55], v[18:19]
	v_add_f64 v[62:63], v[62:63], v[72:73]
	s_waitcnt vmcnt(32)
	v_fmac_f64_e32 v[64:65], v[56:57], v[20:21]
	v_add_f64 v[66:67], v[62:63], v[64:65]
	ds_read_b128 v[62:65], v1 offset:1760
	v_fma_f64 v[4:5], v[38:39], v[28:29], -v[4:5]
	v_add_f64 v[2:3], v[2:3], v[4:5]
	v_mul_f64 v[4:5], v[44:45], v[16:17]
	v_fma_f64 v[4:5], v[42:43], v[26:27], -v[4:5]
	s_waitcnt vmcnt(28) lgkmcnt(2)
	v_mul_f64 v[68:69], v[58:59], v[90:91]
	v_add_f64 v[2:3], v[2:3], v[4:5]
	v_mul_f64 v[4:5], v[48:49], v[12:13]
	s_waitcnt vmcnt(26)
	v_fmac_f64_e32 v[68:69], v[60:61], v[92:93]
	v_fma_f64 v[4:5], v[46:47], v[14:15], -v[4:5]
	v_add_f64 v[70:71], v[66:67], v[68:69]
	ds_read_b128 v[66:69], v1 offset:1776
	s_waitcnt vmcnt(25) lgkmcnt(1)
	v_mul_f64 v[72:73], v[62:63], v[86:87]
	v_add_f64 v[2:3], v[2:3], v[4:5]
	v_mul_f64 v[4:5], v[52:53], v[22:23]
	s_waitcnt vmcnt(24)
	v_fmac_f64_e32 v[72:73], v[64:65], v[88:89]
	v_fma_f64 v[4:5], v[50:51], v[24:25], -v[4:5]
	v_add_f64 v[74:75], v[70:71], v[72:73]
	ds_read_b128 v[70:73], v1 offset:1792
	v_add_f64 v[2:3], v[2:3], v[4:5]
	v_mul_f64 v[4:5], v[56:57], v[18:19]
	v_fma_f64 v[4:5], v[54:55], v[20:21], -v[4:5]
	v_add_f64 v[2:3], v[2:3], v[4:5]
	v_mul_f64 v[4:5], v[60:61], v[90:91]
	s_waitcnt vmcnt(20) lgkmcnt(1)
	v_mul_f64 v[76:77], v[66:67], v[98:99]
	v_fma_f64 v[4:5], v[58:59], v[92:93], -v[4:5]
	s_waitcnt vmcnt(18)
	v_fmac_f64_e32 v[76:77], v[68:69], v[100:101]
	v_add_f64 v[2:3], v[2:3], v[4:5]
	v_mul_f64 v[4:5], v[64:65], v[86:87]
	v_add_f64 v[78:79], v[74:75], v[76:77]
	ds_read_b128 v[74:77], v1 offset:1808
	s_waitcnt vmcnt(17) lgkmcnt(1)
	v_mul_f64 v[80:81], v[70:71], v[94:95]
	v_fma_f64 v[4:5], v[62:63], v[88:89], -v[4:5]
	s_waitcnt vmcnt(16)
	v_fmac_f64_e32 v[80:81], v[72:73], v[96:97]
	v_add_f64 v[2:3], v[2:3], v[4:5]
	v_mul_f64 v[4:5], v[68:69], v[98:99]
	v_add_f64 v[118:119], v[78:79], v[80:81]
	ds_read_b128 v[78:81], v1 offset:1824
	v_fma_f64 v[4:5], v[66:67], v[100:101], -v[4:5]
	v_add_f64 v[2:3], v[2:3], v[4:5]
	v_mul_f64 v[4:5], v[72:73], v[94:95]
	v_fma_f64 v[4:5], v[70:71], v[96:97], -v[4:5]
	v_add_f64 v[2:3], v[2:3], v[4:5]
	s_waitcnt vmcnt(12) lgkmcnt(1)
	v_mul_f64 v[4:5], v[76:77], v[106:107]
	v_mul_f64 v[120:121], v[74:75], v[106:107]
	s_waitcnt vmcnt(10)
	v_fma_f64 v[4:5], v[74:75], v[108:109], -v[4:5]
	v_fmac_f64_e32 v[120:121], v[76:77], v[108:109]
	v_add_f64 v[2:3], v[2:3], v[4:5]
	s_waitcnt vmcnt(9) lgkmcnt(0)
	v_mul_f64 v[4:5], v[80:81], v[102:103]
	v_add_f64 v[118:119], v[118:119], v[120:121]
	v_mul_f64 v[120:121], v[78:79], v[102:103]
	s_waitcnt vmcnt(8)
	v_fma_f64 v[4:5], v[78:79], v[104:105], -v[4:5]
	v_fmac_f64_e32 v[120:121], v[80:81], v[104:105]
	v_add_f64 v[2:3], v[2:3], v[4:5]
	s_waitcnt vmcnt(6)
	v_mul_f64 v[4:5], v[84:85], v[110:111]
	v_add_f64 v[118:119], v[118:119], v[120:121]
	v_mul_f64 v[120:121], v[82:83], v[110:111]
	s_waitcnt vmcnt(4)
	v_fma_f64 v[4:5], v[82:83], v[112:113], -v[4:5]
	v_fmac_f64_e32 v[120:121], v[84:85], v[112:113]
	v_add_f64 v[2:3], v[2:3], v[4:5]
	v_add_f64 v[118:119], v[118:119], v[120:121]
	s_waitcnt vmcnt(2)
	v_add_f64 v[2:3], v[114:115], -v[2:3]
	s_waitcnt vmcnt(0)
	v_add_f64 v[4:5], v[116:117], -v[118:119]
	buffer_store_dword v3, off, s[0:3], 0 offset:708
	buffer_store_dword v2, off, s[0:3], 0 offset:704
	;; [unrolled: 1-line block ×4, first 2 shown]
	s_and_saveexec_b64 s[4:5], vcc
	s_cbranch_execz .LBB57_277
; %bb.276:
	v_accvgpr_read_b32 v1, a131
	buffer_load_dword v2, v1, s[0:3], 0 offen
	buffer_load_dword v3, v1, s[0:3], 0 offen offset:4
	buffer_load_dword v4, v1, s[0:3], 0 offen offset:8
	;; [unrolled: 1-line block ×3, first 2 shown]
	v_mov_b32_e32 v1, 0
	v_accvgpr_read_b32 v6, a173
	buffer_store_dword v1, off, s[0:3], 0 offset:688
	buffer_store_dword v1, off, s[0:3], 0 offset:692
	buffer_store_dword v1, off, s[0:3], 0 offset:696
	buffer_store_dword v1, off, s[0:3], 0 offset:700
	s_waitcnt vmcnt(4)
	ds_write_b128 v6, v[2:5]
.LBB57_277:
	s_or_b64 exec, exec, s[4:5]
	s_waitcnt lgkmcnt(0)
	; wave barrier
	s_waitcnt lgkmcnt(0)
	buffer_load_dword v2, off, s[0:3], 0 offset:704
	buffer_load_dword v3, off, s[0:3], 0 offset:708
	;; [unrolled: 1-line block ×64, first 2 shown]
	v_mov_b32_e32 v1, 0
	ds_read_b128 v[38:41], v1 offset:1616
	ds_read_b128 v[42:45], v1 offset:1632
	;; [unrolled: 1-line block ×7, first 2 shown]
	v_cmp_lt_u32_e32 vcc, 41, v0
	s_waitcnt vmcnt(60) lgkmcnt(6)
	v_mul_f64 v[62:63], v[38:39], v[4:5]
	v_fmac_f64_e32 v[62:63], v[40:41], v[2:3]
	s_waitcnt vmcnt(58) lgkmcnt(5)
	v_mul_f64 v[64:65], v[42:43], v[6:7]
	v_add_f64 v[62:63], v[62:63], 0
	s_waitcnt vmcnt(56) lgkmcnt(4)
	v_mul_f64 v[66:67], v[46:47], v[8:9]
	v_mul_f64 v[4:5], v[40:41], v[4:5]
	s_waitcnt vmcnt(54) lgkmcnt(2)
	v_mul_f64 v[70:71], v[54:55], v[10:11]
	v_fma_f64 v[2:3], v[38:39], v[2:3], -v[4:5]
	v_mul_f64 v[4:5], v[44:45], v[6:7]
	s_waitcnt vmcnt(51)
	v_mul_f64 v[68:69], v[50:51], v[14:15]
	v_add_f64 v[2:3], v[2:3], 0
	s_waitcnt vmcnt(49)
	v_fmac_f64_e32 v[64:65], v[44:45], v[20:21]
	v_add_f64 v[62:63], v[62:63], v[64:65]
	s_waitcnt vmcnt(47)
	v_fmac_f64_e32 v[66:67], v[48:49], v[18:19]
	;; [unrolled: 3-line block ×4, first 2 shown]
	v_add_f64 v[66:67], v[62:63], v[70:71]
	ds_read_b128 v[62:65], v1 offset:1712
	s_waitcnt vmcnt(40) lgkmcnt(2)
	v_mul_f64 v[68:69], v[58:59], v[26:27]
	v_fma_f64 v[4:5], v[42:43], v[20:21], -v[4:5]
	s_waitcnt vmcnt(38)
	v_fmac_f64_e32 v[68:69], v[60:61], v[28:29]
	v_add_f64 v[70:71], v[66:67], v[68:69]
	ds_read_b128 v[66:69], v1 offset:1728
	s_waitcnt vmcnt(37) lgkmcnt(1)
	v_mul_f64 v[72:73], v[62:63], v[22:23]
	s_waitcnt vmcnt(36)
	v_fmac_f64_e32 v[72:73], v[64:65], v[24:25]
	v_add_f64 v[2:3], v[2:3], v[4:5]
	v_mul_f64 v[4:5], v[48:49], v[8:9]
	v_add_f64 v[74:75], v[70:71], v[72:73]
	ds_read_b128 v[70:73], v1 offset:1744
	s_waitcnt vmcnt(32) lgkmcnt(1)
	v_mul_f64 v[76:77], v[66:67], v[34:35]
	v_fma_f64 v[4:5], v[46:47], v[18:19], -v[4:5]
	s_waitcnt vmcnt(30)
	v_fmac_f64_e32 v[76:77], v[68:69], v[36:37]
	v_add_f64 v[2:3], v[2:3], v[4:5]
	v_mul_f64 v[4:5], v[52:53], v[14:15]
	v_add_f64 v[78:79], v[74:75], v[76:77]
	ds_read_b128 v[74:77], v1 offset:1760
	v_fma_f64 v[4:5], v[50:51], v[16:17], -v[4:5]
	v_add_f64 v[2:3], v[2:3], v[4:5]
	v_mul_f64 v[4:5], v[56:57], v[10:11]
	v_fma_f64 v[4:5], v[54:55], v[12:13], -v[4:5]
	s_waitcnt vmcnt(29) lgkmcnt(1)
	v_mul_f64 v[80:81], v[70:71], v[30:31]
	v_add_f64 v[2:3], v[2:3], v[4:5]
	v_mul_f64 v[4:5], v[60:61], v[26:27]
	s_waitcnt vmcnt(28)
	v_fmac_f64_e32 v[80:81], v[72:73], v[32:33]
	v_fma_f64 v[4:5], v[58:59], v[28:29], -v[4:5]
	v_add_f64 v[82:83], v[78:79], v[80:81]
	ds_read_b128 v[78:81], v1 offset:1776
	s_waitcnt vmcnt(24) lgkmcnt(1)
	v_mul_f64 v[84:85], v[74:75], v[102:103]
	v_add_f64 v[2:3], v[2:3], v[4:5]
	v_mul_f64 v[4:5], v[64:65], v[22:23]
	s_waitcnt vmcnt(22)
	v_fmac_f64_e32 v[84:85], v[76:77], v[104:105]
	v_fma_f64 v[4:5], v[62:63], v[24:25], -v[4:5]
	v_add_f64 v[86:87], v[82:83], v[84:85]
	ds_read_b128 v[82:85], v1 offset:1792
	v_add_f64 v[2:3], v[2:3], v[4:5]
	v_mul_f64 v[4:5], v[68:69], v[34:35]
	v_fma_f64 v[4:5], v[66:67], v[36:37], -v[4:5]
	v_add_f64 v[2:3], v[2:3], v[4:5]
	v_mul_f64 v[4:5], v[72:73], v[30:31]
	s_waitcnt vmcnt(21) lgkmcnt(1)
	v_mul_f64 v[88:89], v[78:79], v[98:99]
	v_fma_f64 v[4:5], v[70:71], v[32:33], -v[4:5]
	s_waitcnt vmcnt(20)
	v_fmac_f64_e32 v[88:89], v[80:81], v[100:101]
	v_add_f64 v[2:3], v[2:3], v[4:5]
	v_mul_f64 v[4:5], v[76:77], v[102:103]
	v_add_f64 v[90:91], v[86:87], v[88:89]
	ds_read_b128 v[86:89], v1 offset:1808
	s_waitcnt vmcnt(16) lgkmcnt(1)
	v_mul_f64 v[92:93], v[82:83], v[110:111]
	v_fma_f64 v[4:5], v[74:75], v[104:105], -v[4:5]
	s_waitcnt vmcnt(14)
	v_fmac_f64_e32 v[92:93], v[84:85], v[112:113]
	v_add_f64 v[2:3], v[2:3], v[4:5]
	v_mul_f64 v[4:5], v[80:81], v[98:99]
	v_add_f64 v[126:127], v[90:91], v[92:93]
	ds_read_b128 v[90:93], v1 offset:1824
	v_fma_f64 v[4:5], v[78:79], v[100:101], -v[4:5]
	v_add_f64 v[2:3], v[2:3], v[4:5]
	v_mul_f64 v[4:5], v[84:85], v[110:111]
	v_fma_f64 v[4:5], v[82:83], v[112:113], -v[4:5]
	v_add_f64 v[2:3], v[2:3], v[4:5]
	s_waitcnt vmcnt(13) lgkmcnt(1)
	v_mul_f64 v[4:5], v[88:89], v[106:107]
	v_mul_f64 v[128:129], v[86:87], v[106:107]
	s_waitcnt vmcnt(12)
	v_fma_f64 v[4:5], v[86:87], v[108:109], -v[4:5]
	v_fmac_f64_e32 v[128:129], v[88:89], v[108:109]
	v_add_f64 v[2:3], v[2:3], v[4:5]
	s_waitcnt vmcnt(8) lgkmcnt(0)
	v_mul_f64 v[4:5], v[92:93], v[118:119]
	v_add_f64 v[126:127], v[126:127], v[128:129]
	v_mul_f64 v[128:129], v[90:91], v[118:119]
	s_waitcnt vmcnt(6)
	v_fma_f64 v[4:5], v[90:91], v[120:121], -v[4:5]
	v_fmac_f64_e32 v[128:129], v[92:93], v[120:121]
	v_add_f64 v[2:3], v[2:3], v[4:5]
	s_waitcnt vmcnt(5)
	v_mul_f64 v[4:5], v[96:97], v[114:115]
	v_add_f64 v[126:127], v[126:127], v[128:129]
	v_mul_f64 v[128:129], v[94:95], v[114:115]
	s_waitcnt vmcnt(4)
	v_fma_f64 v[4:5], v[94:95], v[116:117], -v[4:5]
	v_fmac_f64_e32 v[128:129], v[96:97], v[116:117]
	v_add_f64 v[2:3], v[2:3], v[4:5]
	v_add_f64 v[126:127], v[126:127], v[128:129]
	s_waitcnt vmcnt(2)
	v_add_f64 v[2:3], v[122:123], -v[2:3]
	s_waitcnt vmcnt(0)
	v_add_f64 v[4:5], v[124:125], -v[126:127]
	buffer_store_dword v3, off, s[0:3], 0 offset:692
	buffer_store_dword v2, off, s[0:3], 0 offset:688
	;; [unrolled: 1-line block ×4, first 2 shown]
	s_and_saveexec_b64 s[4:5], vcc
	s_cbranch_execz .LBB57_279
; %bb.278:
	v_accvgpr_read_b32 v5, a132
	buffer_load_dword v2, v5, s[0:3], 0 offen
	buffer_load_dword v3, v5, s[0:3], 0 offen offset:4
	buffer_load_dword v4, v5, s[0:3], 0 offen offset:8
	s_nop 0
	buffer_load_dword v5, v5, s[0:3], 0 offen offset:12
	v_accvgpr_read_b32 v6, a173
	buffer_store_dword v1, off, s[0:3], 0 offset:672
	buffer_store_dword v1, off, s[0:3], 0 offset:676
	;; [unrolled: 1-line block ×4, first 2 shown]
	s_waitcnt vmcnt(4)
	ds_write_b128 v6, v[2:5]
.LBB57_279:
	s_or_b64 exec, exec, s[4:5]
	s_waitcnt lgkmcnt(0)
	; wave barrier
	s_waitcnt lgkmcnt(0)
	buffer_load_dword v2, off, s[0:3], 0 offset:688
	buffer_load_dword v3, off, s[0:3], 0 offset:692
	;; [unrolled: 1-line block ×64, first 2 shown]
	ds_read_b128 v[46:49], v1 offset:1600
	ds_read_b128 v[50:53], v1 offset:1616
	;; [unrolled: 1-line block ×4, first 2 shown]
	buffer_load_dword v130, off, s[0:3], 0 offset:672
	buffer_load_dword v131, off, s[0:3], 0 offset:676
	;; [unrolled: 1-line block ×4, first 2 shown]
	v_cmp_lt_u32_e32 vcc, 40, v0
	ds_read_b128 v[106:109], v1 offset:1840
	s_waitcnt vmcnt(62) lgkmcnt(4)
	v_mul_f64 v[62:63], v[46:47], v[4:5]
	v_fmac_f64_e32 v[62:63], v[48:49], v[2:3]
	v_add_f64 v[62:63], v[62:63], 0
	s_waitcnt lgkmcnt(2)
	v_mul_f64 v[66:67], v[54:55], v[6:7]
	v_mul_f64 v[4:5], v[48:49], v[4:5]
	v_fma_f64 v[2:3], v[46:47], v[2:3], -v[4:5]
	s_waitcnt vmcnt(58) lgkmcnt(1)
	v_mul_f64 v[68:69], v[58:59], v[12:13]
	v_add_f64 v[2:3], v[2:3], 0
	s_waitcnt vmcnt(56)
	v_mul_f64 v[64:65], v[50:51], v[18:19]
	v_mul_f64 v[4:5], v[52:53], v[18:19]
	s_waitcnt vmcnt(53)
	v_fmac_f64_e32 v[66:67], v[56:57], v[16:17]
	s_waitcnt vmcnt(52)
	v_fmac_f64_e32 v[64:65], v[52:53], v[20:21]
	v_add_f64 v[70:71], v[62:63], v[64:65]
	ds_read_b128 v[62:65], v1 offset:1664
	v_add_f64 v[66:67], v[70:71], v[66:67]
	s_waitcnt vmcnt(50)
	v_fmac_f64_e32 v[68:69], v[60:61], v[14:15]
	v_add_f64 v[70:71], v[66:67], v[68:69]
	ds_read_b128 v[66:69], v1 offset:1680
	s_waitcnt vmcnt(49) lgkmcnt(1)
	v_mul_f64 v[72:73], v[62:63], v[8:9]
	s_waitcnt vmcnt(48)
	v_fmac_f64_e32 v[72:73], v[64:65], v[10:11]
	v_add_f64 v[74:75], v[70:71], v[72:73]
	ds_read_b128 v[70:73], v1 offset:1696
	s_waitcnt vmcnt(44) lgkmcnt(1)
	v_mul_f64 v[76:77], v[66:67], v[26:27]
	;; [unrolled: 6-line block ×3, first 2 shown]
	s_waitcnt vmcnt(40)
	v_fmac_f64_e32 v[80:81], v[72:73], v[24:25]
	v_add_f64 v[82:83], v[78:79], v[80:81]
	ds_read_b128 v[78:81], v1 offset:1728
	v_fma_f64 v[4:5], v[50:51], v[20:21], -v[4:5]
	v_add_f64 v[2:3], v[2:3], v[4:5]
	v_mul_f64 v[4:5], v[56:57], v[6:7]
	s_waitcnt vmcnt(36) lgkmcnt(1)
	v_mul_f64 v[84:85], v[74:75], v[34:35]
	v_fma_f64 v[4:5], v[54:55], v[16:17], -v[4:5]
	s_waitcnt vmcnt(34)
	v_fmac_f64_e32 v[84:85], v[76:77], v[36:37]
	v_add_f64 v[2:3], v[2:3], v[4:5]
	v_mul_f64 v[4:5], v[60:61], v[12:13]
	v_add_f64 v[86:87], v[82:83], v[84:85]
	ds_read_b128 v[82:85], v1 offset:1744
	s_waitcnt vmcnt(33) lgkmcnt(1)
	v_mul_f64 v[88:89], v[78:79], v[30:31]
	v_fma_f64 v[4:5], v[58:59], v[14:15], -v[4:5]
	s_waitcnt vmcnt(32)
	v_fmac_f64_e32 v[88:89], v[80:81], v[32:33]
	v_add_f64 v[2:3], v[2:3], v[4:5]
	v_mul_f64 v[4:5], v[64:65], v[8:9]
	v_add_f64 v[90:91], v[86:87], v[88:89]
	ds_read_b128 v[86:89], v1 offset:1760
	v_fma_f64 v[4:5], v[62:63], v[10:11], -v[4:5]
	v_add_f64 v[2:3], v[2:3], v[4:5]
	v_mul_f64 v[4:5], v[68:69], v[26:27]
	v_fma_f64 v[4:5], v[66:67], v[28:29], -v[4:5]
	s_waitcnt vmcnt(28) lgkmcnt(1)
	v_mul_f64 v[92:93], v[82:83], v[42:43]
	v_add_f64 v[2:3], v[2:3], v[4:5]
	v_mul_f64 v[4:5], v[72:73], v[22:23]
	s_waitcnt vmcnt(26)
	v_fmac_f64_e32 v[92:93], v[84:85], v[44:45]
	v_fma_f64 v[4:5], v[70:71], v[24:25], -v[4:5]
	v_add_f64 v[94:95], v[90:91], v[92:93]
	ds_read_b128 v[90:93], v1 offset:1776
	s_waitcnt vmcnt(25) lgkmcnt(1)
	v_mul_f64 v[96:97], v[86:87], v[38:39]
	v_add_f64 v[2:3], v[2:3], v[4:5]
	v_mul_f64 v[4:5], v[76:77], v[34:35]
	s_waitcnt vmcnt(24)
	v_fmac_f64_e32 v[96:97], v[88:89], v[40:41]
	v_fma_f64 v[4:5], v[74:75], v[36:37], -v[4:5]
	v_add_f64 v[98:99], v[94:95], v[96:97]
	ds_read_b128 v[94:97], v1 offset:1792
	v_add_f64 v[2:3], v[2:3], v[4:5]
	v_mul_f64 v[4:5], v[80:81], v[30:31]
	v_fma_f64 v[4:5], v[78:79], v[32:33], -v[4:5]
	v_add_f64 v[2:3], v[2:3], v[4:5]
	v_mul_f64 v[4:5], v[84:85], v[42:43]
	s_waitcnt vmcnt(20) lgkmcnt(1)
	v_mul_f64 v[100:101], v[90:91], v[114:115]
	v_fma_f64 v[4:5], v[82:83], v[44:45], -v[4:5]
	s_waitcnt vmcnt(18)
	v_fmac_f64_e32 v[100:101], v[92:93], v[116:117]
	v_add_f64 v[2:3], v[2:3], v[4:5]
	v_mul_f64 v[4:5], v[88:89], v[38:39]
	v_add_f64 v[102:103], v[98:99], v[100:101]
	ds_read_b128 v[98:101], v1 offset:1808
	s_waitcnt vmcnt(17) lgkmcnt(1)
	v_mul_f64 v[104:105], v[94:95], v[110:111]
	v_fma_f64 v[4:5], v[86:87], v[40:41], -v[4:5]
	s_waitcnt vmcnt(16)
	v_fmac_f64_e32 v[104:105], v[96:97], v[112:113]
	v_add_f64 v[2:3], v[2:3], v[4:5]
	v_mul_f64 v[4:5], v[92:93], v[114:115]
	v_add_f64 v[134:135], v[102:103], v[104:105]
	ds_read_b128 v[102:105], v1 offset:1824
	v_fma_f64 v[4:5], v[90:91], v[116:117], -v[4:5]
	v_add_f64 v[2:3], v[2:3], v[4:5]
	v_mul_f64 v[4:5], v[96:97], v[110:111]
	v_fma_f64 v[4:5], v[94:95], v[112:113], -v[4:5]
	v_add_f64 v[2:3], v[2:3], v[4:5]
	s_waitcnt vmcnt(12) lgkmcnt(1)
	v_mul_f64 v[4:5], v[100:101], v[122:123]
	v_mul_f64 v[136:137], v[98:99], v[122:123]
	s_waitcnt vmcnt(10)
	v_fma_f64 v[4:5], v[98:99], v[124:125], -v[4:5]
	v_fmac_f64_e32 v[136:137], v[100:101], v[124:125]
	v_add_f64 v[2:3], v[2:3], v[4:5]
	s_waitcnt vmcnt(9) lgkmcnt(0)
	v_mul_f64 v[4:5], v[104:105], v[118:119]
	v_add_f64 v[134:135], v[134:135], v[136:137]
	v_mul_f64 v[136:137], v[102:103], v[118:119]
	s_waitcnt vmcnt(8)
	v_fma_f64 v[4:5], v[102:103], v[120:121], -v[4:5]
	v_fmac_f64_e32 v[136:137], v[104:105], v[120:121]
	v_add_f64 v[2:3], v[2:3], v[4:5]
	s_waitcnt vmcnt(6)
	v_mul_f64 v[4:5], v[108:109], v[126:127]
	v_add_f64 v[134:135], v[134:135], v[136:137]
	v_mul_f64 v[136:137], v[106:107], v[126:127]
	s_waitcnt vmcnt(4)
	v_fma_f64 v[4:5], v[106:107], v[128:129], -v[4:5]
	v_fmac_f64_e32 v[136:137], v[108:109], v[128:129]
	v_add_f64 v[2:3], v[2:3], v[4:5]
	v_add_f64 v[134:135], v[134:135], v[136:137]
	s_waitcnt vmcnt(2)
	v_add_f64 v[2:3], v[130:131], -v[2:3]
	s_waitcnt vmcnt(0)
	v_add_f64 v[4:5], v[132:133], -v[134:135]
	buffer_store_dword v3, off, s[0:3], 0 offset:676
	buffer_store_dword v2, off, s[0:3], 0 offset:672
	;; [unrolled: 1-line block ×4, first 2 shown]
	s_and_saveexec_b64 s[4:5], vcc
	s_cbranch_execz .LBB57_281
; %bb.280:
	v_accvgpr_read_b32 v1, a133
	buffer_load_dword v2, v1, s[0:3], 0 offen
	buffer_load_dword v3, v1, s[0:3], 0 offen offset:4
	buffer_load_dword v4, v1, s[0:3], 0 offen offset:8
	;; [unrolled: 1-line block ×3, first 2 shown]
	v_mov_b32_e32 v1, 0
	v_accvgpr_read_b32 v6, a173
	buffer_store_dword v1, off, s[0:3], 0 offset:656
	buffer_store_dword v1, off, s[0:3], 0 offset:660
	;; [unrolled: 1-line block ×4, first 2 shown]
	s_waitcnt vmcnt(4)
	ds_write_b128 v6, v[2:5]
.LBB57_281:
	s_or_b64 exec, exec, s[4:5]
	s_waitcnt lgkmcnt(0)
	; wave barrier
	s_waitcnt lgkmcnt(0)
	buffer_load_dword v2, off, s[0:3], 0 offset:672
	buffer_load_dword v3, off, s[0:3], 0 offset:676
	;; [unrolled: 1-line block ×68, first 2 shown]
	v_mov_b32_e32 v1, 0
	buffer_load_dword v138, off, s[0:3], 0 offset:656
	buffer_load_dword v139, off, s[0:3], 0 offset:660
	;; [unrolled: 1-line block ×3, first 2 shown]
	ds_read_b128 v[46:49], v1 offset:1584
	ds_read_b128 v[50:53], v1 offset:1600
	buffer_load_dword v141, off, s[0:3], 0 offset:668
	ds_read_b128 v[54:57], v1 offset:1616
	ds_read_b128 v[58:61], v1 offset:1632
	;; [unrolled: 1-line block ×3, first 2 shown]
	v_cmp_lt_u32_e32 vcc, 39, v0
	s_waitcnt vmcnt(62) lgkmcnt(4)
	v_mul_f64 v[62:63], v[46:47], v[6:7]
	v_fmac_f64_e32 v[62:63], v[48:49], v[2:3]
	v_add_f64 v[62:63], v[62:63], 0
	v_mul_f64 v[6:7], v[48:49], v[6:7]
	s_waitcnt lgkmcnt(3)
	v_mul_f64 v[64:65], v[50:51], v[10:11]
	v_fmac_f64_e32 v[64:65], v[52:53], v[4:5]
	v_add_f64 v[62:63], v[62:63], v[64:65]
	v_fma_f64 v[2:3], v[46:47], v[2:3], -v[6:7]
	s_waitcnt vmcnt(60) lgkmcnt(2)
	v_mul_f64 v[64:65], v[54:55], v[12:13]
	v_fmac_f64_e32 v[64:65], v[56:57], v[8:9]
	v_add_f64 v[66:67], v[62:63], v[64:65]
	ds_read_b128 v[62:65], v1 offset:1648
	s_waitcnt vmcnt(56) lgkmcnt(2)
	v_mul_f64 v[68:69], v[58:59], v[18:19]
	v_mul_f64 v[6:7], v[52:53], v[10:11]
	s_waitcnt vmcnt(54)
	v_fmac_f64_e32 v[68:69], v[60:61], v[20:21]
	v_add_f64 v[70:71], v[66:67], v[68:69]
	ds_read_b128 v[66:69], v1 offset:1664
	s_waitcnt vmcnt(53) lgkmcnt(1)
	v_mul_f64 v[72:73], v[62:63], v[14:15]
	s_waitcnt vmcnt(52)
	v_fmac_f64_e32 v[72:73], v[64:65], v[16:17]
	v_add_f64 v[74:75], v[70:71], v[72:73]
	ds_read_b128 v[70:73], v1 offset:1680
	s_waitcnt vmcnt(48) lgkmcnt(1)
	;; [unrolled: 6-line block ×4, first 2 shown]
	v_mul_f64 v[84:85], v[74:75], v[34:35]
	s_waitcnt vmcnt(38)
	v_fmac_f64_e32 v[84:85], v[76:77], v[36:37]
	v_add_f64 v[2:3], v[2:3], 0
	v_fma_f64 v[4:5], v[50:51], v[4:5], -v[6:7]
	v_add_f64 v[86:87], v[82:83], v[84:85]
	ds_read_b128 v[82:85], v1 offset:1728
	v_add_f64 v[2:3], v[2:3], v[4:5]
	v_mul_f64 v[4:5], v[56:57], v[12:13]
	v_fma_f64 v[4:5], v[54:55], v[8:9], -v[4:5]
	v_add_f64 v[2:3], v[2:3], v[4:5]
	v_mul_f64 v[4:5], v[60:61], v[18:19]
	s_waitcnt vmcnt(37) lgkmcnt(1)
	v_mul_f64 v[88:89], v[78:79], v[30:31]
	v_fma_f64 v[4:5], v[58:59], v[20:21], -v[4:5]
	s_waitcnt vmcnt(36)
	v_fmac_f64_e32 v[88:89], v[80:81], v[32:33]
	v_add_f64 v[2:3], v[2:3], v[4:5]
	v_mul_f64 v[4:5], v[64:65], v[14:15]
	v_add_f64 v[90:91], v[86:87], v[88:89]
	ds_read_b128 v[86:89], v1 offset:1744
	s_waitcnt vmcnt(32) lgkmcnt(1)
	v_mul_f64 v[92:93], v[82:83], v[42:43]
	v_fma_f64 v[4:5], v[62:63], v[16:17], -v[4:5]
	s_waitcnt vmcnt(30)
	v_fmac_f64_e32 v[92:93], v[84:85], v[44:45]
	v_add_f64 v[2:3], v[2:3], v[4:5]
	v_mul_f64 v[4:5], v[68:69], v[26:27]
	v_add_f64 v[94:95], v[90:91], v[92:93]
	ds_read_b128 v[90:93], v1 offset:1760
	v_fma_f64 v[4:5], v[66:67], v[28:29], -v[4:5]
	v_add_f64 v[2:3], v[2:3], v[4:5]
	v_mul_f64 v[4:5], v[72:73], v[22:23]
	v_fma_f64 v[4:5], v[70:71], v[24:25], -v[4:5]
	s_waitcnt vmcnt(29) lgkmcnt(1)
	v_mul_f64 v[96:97], v[86:87], v[38:39]
	v_add_f64 v[2:3], v[2:3], v[4:5]
	v_mul_f64 v[4:5], v[76:77], v[34:35]
	s_waitcnt vmcnt(28)
	v_fmac_f64_e32 v[96:97], v[88:89], v[40:41]
	v_fma_f64 v[4:5], v[74:75], v[36:37], -v[4:5]
	v_add_f64 v[98:99], v[94:95], v[96:97]
	ds_read_b128 v[94:97], v1 offset:1776
	s_waitcnt vmcnt(24) lgkmcnt(1)
	v_mul_f64 v[100:101], v[90:91], v[118:119]
	v_add_f64 v[2:3], v[2:3], v[4:5]
	v_mul_f64 v[4:5], v[80:81], v[30:31]
	s_waitcnt vmcnt(22)
	v_fmac_f64_e32 v[100:101], v[92:93], v[120:121]
	v_fma_f64 v[4:5], v[78:79], v[32:33], -v[4:5]
	v_add_f64 v[102:103], v[98:99], v[100:101]
	ds_read_b128 v[98:101], v1 offset:1792
	v_add_f64 v[2:3], v[2:3], v[4:5]
	v_mul_f64 v[4:5], v[84:85], v[42:43]
	v_fma_f64 v[4:5], v[82:83], v[44:45], -v[4:5]
	v_add_f64 v[2:3], v[2:3], v[4:5]
	v_mul_f64 v[4:5], v[88:89], v[38:39]
	s_waitcnt vmcnt(21) lgkmcnt(1)
	v_mul_f64 v[104:105], v[94:95], v[114:115]
	v_fma_f64 v[4:5], v[86:87], v[40:41], -v[4:5]
	s_waitcnt vmcnt(20)
	v_fmac_f64_e32 v[104:105], v[96:97], v[116:117]
	v_add_f64 v[2:3], v[2:3], v[4:5]
	v_mul_f64 v[4:5], v[92:93], v[118:119]
	v_add_f64 v[106:107], v[102:103], v[104:105]
	ds_read_b128 v[102:105], v1 offset:1808
	s_waitcnt vmcnt(16) lgkmcnt(1)
	v_mul_f64 v[108:109], v[98:99], v[126:127]
	v_fma_f64 v[4:5], v[90:91], v[120:121], -v[4:5]
	s_waitcnt vmcnt(14)
	v_fmac_f64_e32 v[108:109], v[100:101], v[128:129]
	v_add_f64 v[2:3], v[2:3], v[4:5]
	v_mul_f64 v[4:5], v[96:97], v[114:115]
	v_add_f64 v[142:143], v[106:107], v[108:109]
	ds_read_b128 v[106:109], v1 offset:1824
	v_fma_f64 v[4:5], v[94:95], v[116:117], -v[4:5]
	v_add_f64 v[2:3], v[2:3], v[4:5]
	v_mul_f64 v[4:5], v[100:101], v[126:127]
	v_fma_f64 v[4:5], v[98:99], v[128:129], -v[4:5]
	v_add_f64 v[2:3], v[2:3], v[4:5]
	s_waitcnt vmcnt(13) lgkmcnt(1)
	v_mul_f64 v[4:5], v[104:105], v[122:123]
	v_mul_f64 v[144:145], v[102:103], v[122:123]
	s_waitcnt vmcnt(12)
	v_fma_f64 v[4:5], v[102:103], v[124:125], -v[4:5]
	v_fmac_f64_e32 v[144:145], v[104:105], v[124:125]
	v_add_f64 v[2:3], v[2:3], v[4:5]
	s_waitcnt vmcnt(8) lgkmcnt(0)
	v_mul_f64 v[4:5], v[108:109], v[134:135]
	v_add_f64 v[142:143], v[142:143], v[144:145]
	v_mul_f64 v[144:145], v[106:107], v[134:135]
	s_waitcnt vmcnt(6)
	v_fma_f64 v[4:5], v[106:107], v[136:137], -v[4:5]
	v_fmac_f64_e32 v[144:145], v[108:109], v[136:137]
	v_add_f64 v[2:3], v[2:3], v[4:5]
	s_waitcnt vmcnt(5)
	v_mul_f64 v[4:5], v[112:113], v[130:131]
	v_add_f64 v[142:143], v[142:143], v[144:145]
	v_mul_f64 v[144:145], v[110:111], v[130:131]
	s_waitcnt vmcnt(4)
	v_fma_f64 v[4:5], v[110:111], v[132:133], -v[4:5]
	v_fmac_f64_e32 v[144:145], v[112:113], v[132:133]
	v_add_f64 v[2:3], v[2:3], v[4:5]
	v_add_f64 v[142:143], v[142:143], v[144:145]
	s_waitcnt vmcnt(2)
	v_add_f64 v[2:3], v[138:139], -v[2:3]
	s_waitcnt vmcnt(0)
	v_add_f64 v[4:5], v[140:141], -v[142:143]
	buffer_store_dword v3, off, s[0:3], 0 offset:660
	buffer_store_dword v2, off, s[0:3], 0 offset:656
	;; [unrolled: 1-line block ×4, first 2 shown]
	s_and_saveexec_b64 s[4:5], vcc
	s_cbranch_execz .LBB57_283
; %bb.282:
	v_accvgpr_read_b32 v5, a134
	buffer_load_dword v2, v5, s[0:3], 0 offen
	buffer_load_dword v3, v5, s[0:3], 0 offen offset:4
	buffer_load_dword v4, v5, s[0:3], 0 offen offset:8
	s_nop 0
	buffer_load_dword v5, v5, s[0:3], 0 offen offset:12
	v_accvgpr_read_b32 v6, a173
	buffer_store_dword v1, off, s[0:3], 0 offset:640
	buffer_store_dword v1, off, s[0:3], 0 offset:644
	;; [unrolled: 1-line block ×4, first 2 shown]
	s_waitcnt vmcnt(4)
	ds_write_b128 v6, v[2:5]
.LBB57_283:
	s_or_b64 exec, exec, s[4:5]
	s_waitcnt lgkmcnt(0)
	; wave barrier
	s_waitcnt lgkmcnt(0)
	buffer_load_dword v2, off, s[0:3], 0 offset:656
	buffer_load_dword v3, off, s[0:3], 0 offset:660
	;; [unrolled: 1-line block ×72, first 2 shown]
	ds_read_b128 v[52:55], v1 offset:1568
	buffer_load_dword v146, off, s[0:3], 0 offset:640
	buffer_load_dword v147, off, s[0:3], 0 offset:644
	;; [unrolled: 1-line block ×4, first 2 shown]
	ds_read_b128 v[56:59], v1 offset:1584
	ds_read_b128 v[60:63], v1 offset:1600
	ds_read_b128 v[64:67], v1 offset:1616
	v_cmp_lt_u32_e32 vcc, 38, v0
	ds_read_b128 v[120:123], v1 offset:1840
	s_waitcnt vmcnt(62) lgkmcnt(4)
	v_mul_f64 v[68:69], v[52:53], v[8:9]
	v_fmac_f64_e32 v[68:69], v[54:55], v[2:3]
	v_add_f64 v[68:69], v[68:69], 0
	v_mul_f64 v[8:9], v[54:55], v[8:9]
	s_waitcnt lgkmcnt(3)
	v_mul_f64 v[70:71], v[56:57], v[10:11]
	v_fmac_f64_e32 v[70:71], v[58:59], v[4:5]
	v_add_f64 v[68:69], v[68:69], v[70:71]
	v_fma_f64 v[2:3], v[52:53], v[2:3], -v[8:9]
	s_waitcnt lgkmcnt(2)
	v_mul_f64 v[70:71], v[60:61], v[12:13]
	v_fmac_f64_e32 v[70:71], v[62:63], v[6:7]
	v_add_f64 v[72:73], v[68:69], v[70:71]
	ds_read_b128 v[68:71], v1 offset:1632
	s_waitcnt vmcnt(60) lgkmcnt(2)
	v_mul_f64 v[74:75], v[64:65], v[18:19]
	v_mul_f64 v[8:9], v[58:59], v[10:11]
	s_waitcnt vmcnt(58)
	v_fmac_f64_e32 v[74:75], v[66:67], v[20:21]
	v_add_f64 v[76:77], v[72:73], v[74:75]
	ds_read_b128 v[72:75], v1 offset:1648
	s_waitcnt vmcnt(57) lgkmcnt(1)
	v_mul_f64 v[78:79], v[68:69], v[14:15]
	s_waitcnt vmcnt(56)
	v_fmac_f64_e32 v[78:79], v[70:71], v[16:17]
	v_add_f64 v[80:81], v[76:77], v[78:79]
	ds_read_b128 v[76:79], v1 offset:1664
	s_waitcnt vmcnt(52) lgkmcnt(1)
	;; [unrolled: 6-line block ×4, first 2 shown]
	v_mul_f64 v[90:91], v[80:81], v[34:35]
	s_waitcnt vmcnt(42)
	v_fmac_f64_e32 v[90:91], v[82:83], v[36:37]
	v_add_f64 v[2:3], v[2:3], 0
	v_fma_f64 v[4:5], v[56:57], v[4:5], -v[8:9]
	v_add_f64 v[92:93], v[88:89], v[90:91]
	ds_read_b128 v[88:91], v1 offset:1712
	s_waitcnt vmcnt(41) lgkmcnt(1)
	v_mul_f64 v[94:95], v[84:85], v[30:31]
	v_add_f64 v[2:3], v[2:3], v[4:5]
	v_mul_f64 v[4:5], v[62:63], v[12:13]
	s_waitcnt vmcnt(40)
	v_fmac_f64_e32 v[94:95], v[86:87], v[32:33]
	v_fma_f64 v[4:5], v[60:61], v[6:7], -v[4:5]
	v_add_f64 v[96:97], v[92:93], v[94:95]
	ds_read_b128 v[92:95], v1 offset:1728
	v_add_f64 v[2:3], v[2:3], v[4:5]
	v_mul_f64 v[4:5], v[66:67], v[18:19]
	v_fma_f64 v[4:5], v[64:65], v[20:21], -v[4:5]
	v_add_f64 v[2:3], v[2:3], v[4:5]
	v_mul_f64 v[4:5], v[70:71], v[14:15]
	s_waitcnt vmcnt(36) lgkmcnt(1)
	v_mul_f64 v[98:99], v[88:89], v[42:43]
	v_fma_f64 v[4:5], v[68:69], v[16:17], -v[4:5]
	s_waitcnt vmcnt(34)
	v_fmac_f64_e32 v[98:99], v[90:91], v[44:45]
	v_add_f64 v[2:3], v[2:3], v[4:5]
	v_mul_f64 v[4:5], v[74:75], v[26:27]
	v_add_f64 v[100:101], v[96:97], v[98:99]
	ds_read_b128 v[96:99], v1 offset:1744
	s_waitcnt vmcnt(33) lgkmcnt(1)
	v_mul_f64 v[102:103], v[92:93], v[38:39]
	v_fma_f64 v[4:5], v[72:73], v[28:29], -v[4:5]
	s_waitcnt vmcnt(32)
	v_fmac_f64_e32 v[102:103], v[94:95], v[40:41]
	v_add_f64 v[2:3], v[2:3], v[4:5]
	v_mul_f64 v[4:5], v[78:79], v[22:23]
	v_add_f64 v[104:105], v[100:101], v[102:103]
	ds_read_b128 v[100:103], v1 offset:1760
	v_fma_f64 v[4:5], v[76:77], v[24:25], -v[4:5]
	v_add_f64 v[2:3], v[2:3], v[4:5]
	v_mul_f64 v[4:5], v[82:83], v[34:35]
	v_fma_f64 v[4:5], v[80:81], v[36:37], -v[4:5]
	s_waitcnt vmcnt(28) lgkmcnt(1)
	v_mul_f64 v[106:107], v[96:97], v[50:51]
	v_add_f64 v[2:3], v[2:3], v[4:5]
	v_mul_f64 v[4:5], v[86:87], v[30:31]
	s_waitcnt vmcnt(26)
	v_fmac_f64_e32 v[106:107], v[98:99], v[124:125]
	v_fma_f64 v[4:5], v[84:85], v[32:33], -v[4:5]
	v_add_f64 v[108:109], v[104:105], v[106:107]
	ds_read_b128 v[104:107], v1 offset:1776
	s_waitcnt vmcnt(25) lgkmcnt(1)
	v_mul_f64 v[110:111], v[100:101], v[46:47]
	v_add_f64 v[2:3], v[2:3], v[4:5]
	v_mul_f64 v[4:5], v[90:91], v[42:43]
	s_waitcnt vmcnt(24)
	v_fmac_f64_e32 v[110:111], v[102:103], v[48:49]
	v_fma_f64 v[4:5], v[88:89], v[44:45], -v[4:5]
	v_add_f64 v[112:113], v[108:109], v[110:111]
	ds_read_b128 v[108:111], v1 offset:1792
	v_add_f64 v[2:3], v[2:3], v[4:5]
	v_mul_f64 v[4:5], v[94:95], v[38:39]
	v_fma_f64 v[4:5], v[92:93], v[40:41], -v[4:5]
	v_add_f64 v[2:3], v[2:3], v[4:5]
	v_mul_f64 v[4:5], v[98:99], v[50:51]
	s_waitcnt vmcnt(20) lgkmcnt(1)
	v_mul_f64 v[114:115], v[104:105], v[130:131]
	v_fma_f64 v[4:5], v[96:97], v[124:125], -v[4:5]
	s_waitcnt vmcnt(18)
	v_fmac_f64_e32 v[114:115], v[106:107], v[132:133]
	v_add_f64 v[2:3], v[2:3], v[4:5]
	v_mul_f64 v[4:5], v[102:103], v[46:47]
	v_add_f64 v[116:117], v[112:113], v[114:115]
	ds_read_b128 v[112:115], v1 offset:1808
	s_waitcnt vmcnt(17) lgkmcnt(1)
	v_mul_f64 v[118:119], v[108:109], v[126:127]
	v_fma_f64 v[4:5], v[100:101], v[48:49], -v[4:5]
	s_waitcnt vmcnt(16)
	v_fmac_f64_e32 v[118:119], v[110:111], v[128:129]
	v_add_f64 v[2:3], v[2:3], v[4:5]
	v_mul_f64 v[4:5], v[106:107], v[130:131]
	v_add_f64 v[150:151], v[116:117], v[118:119]
	ds_read_b128 v[116:119], v1 offset:1824
	v_fma_f64 v[4:5], v[104:105], v[132:133], -v[4:5]
	v_add_f64 v[2:3], v[2:3], v[4:5]
	v_mul_f64 v[4:5], v[110:111], v[126:127]
	v_fma_f64 v[4:5], v[108:109], v[128:129], -v[4:5]
	v_add_f64 v[2:3], v[2:3], v[4:5]
	s_waitcnt vmcnt(12) lgkmcnt(1)
	v_mul_f64 v[4:5], v[114:115], v[138:139]
	v_mul_f64 v[152:153], v[112:113], v[138:139]
	s_waitcnt vmcnt(10)
	v_fma_f64 v[4:5], v[112:113], v[140:141], -v[4:5]
	v_fmac_f64_e32 v[152:153], v[114:115], v[140:141]
	v_add_f64 v[2:3], v[2:3], v[4:5]
	s_waitcnt vmcnt(9) lgkmcnt(0)
	v_mul_f64 v[4:5], v[118:119], v[134:135]
	v_add_f64 v[150:151], v[150:151], v[152:153]
	v_mul_f64 v[152:153], v[116:117], v[134:135]
	s_waitcnt vmcnt(8)
	v_fma_f64 v[4:5], v[116:117], v[136:137], -v[4:5]
	v_fmac_f64_e32 v[152:153], v[118:119], v[136:137]
	v_add_f64 v[2:3], v[2:3], v[4:5]
	s_waitcnt vmcnt(6)
	v_mul_f64 v[4:5], v[122:123], v[142:143]
	v_add_f64 v[150:151], v[150:151], v[152:153]
	v_mul_f64 v[152:153], v[120:121], v[142:143]
	s_waitcnt vmcnt(4)
	v_fma_f64 v[4:5], v[120:121], v[144:145], -v[4:5]
	v_fmac_f64_e32 v[152:153], v[122:123], v[144:145]
	v_add_f64 v[2:3], v[2:3], v[4:5]
	v_add_f64 v[150:151], v[150:151], v[152:153]
	s_waitcnt vmcnt(2)
	v_add_f64 v[2:3], v[146:147], -v[2:3]
	s_waitcnt vmcnt(0)
	v_add_f64 v[4:5], v[148:149], -v[150:151]
	buffer_store_dword v3, off, s[0:3], 0 offset:644
	buffer_store_dword v2, off, s[0:3], 0 offset:640
	buffer_store_dword v5, off, s[0:3], 0 offset:652
	buffer_store_dword v4, off, s[0:3], 0 offset:648
	s_and_saveexec_b64 s[4:5], vcc
	s_cbranch_execz .LBB57_285
; %bb.284:
	v_accvgpr_read_b32 v1, a135
	buffer_load_dword v2, v1, s[0:3], 0 offen
	buffer_load_dword v3, v1, s[0:3], 0 offen offset:4
	buffer_load_dword v4, v1, s[0:3], 0 offen offset:8
	;; [unrolled: 1-line block ×3, first 2 shown]
	v_mov_b32_e32 v1, 0
	v_accvgpr_read_b32 v6, a173
	buffer_store_dword v1, off, s[0:3], 0 offset:624
	buffer_store_dword v1, off, s[0:3], 0 offset:628
	buffer_store_dword v1, off, s[0:3], 0 offset:632
	buffer_store_dword v1, off, s[0:3], 0 offset:636
	s_waitcnt vmcnt(4)
	ds_write_b128 v6, v[2:5]
.LBB57_285:
	s_or_b64 exec, exec, s[4:5]
	s_waitcnt lgkmcnt(0)
	; wave barrier
	s_waitcnt lgkmcnt(0)
	buffer_load_dword v2, off, s[0:3], 0 offset:640
	buffer_load_dword v3, off, s[0:3], 0 offset:644
	;; [unrolled: 1-line block ×76, first 2 shown]
	v_mov_b32_e32 v1, 0
	ds_read_b128 v[54:57], v1 offset:1552
	buffer_load_dword v154, off, s[0:3], 0 offset:624
	buffer_load_dword v155, off, s[0:3], 0 offset:628
	;; [unrolled: 1-line block ×4, first 2 shown]
	ds_read_b128 v[58:61], v1 offset:1568
	ds_read_b128 v[62:65], v1 offset:1584
	;; [unrolled: 1-line block ×4, first 2 shown]
	v_cmp_lt_u32_e32 vcc, 37, v0
	s_waitcnt vmcnt(62) lgkmcnt(4)
	v_mul_f64 v[70:71], v[54:55], v[8:9]
	v_fmac_f64_e32 v[70:71], v[56:57], v[2:3]
	v_add_f64 v[70:71], v[70:71], 0
	v_mul_f64 v[8:9], v[56:57], v[8:9]
	s_waitcnt lgkmcnt(3)
	v_mul_f64 v[72:73], v[58:59], v[10:11]
	v_fmac_f64_e32 v[72:73], v[60:61], v[4:5]
	v_add_f64 v[70:71], v[70:71], v[72:73]
	v_fma_f64 v[2:3], v[54:55], v[2:3], -v[8:9]
	s_waitcnt lgkmcnt(2)
	v_mul_f64 v[72:73], v[62:63], v[12:13]
	v_fmac_f64_e32 v[72:73], v[64:65], v[6:7]
	v_add_f64 v[74:75], v[70:71], v[72:73]
	ds_read_b128 v[70:73], v1 offset:1616
	s_waitcnt lgkmcnt(2)
	v_mul_f64 v[76:77], v[66:67], v[18:19]
	v_mul_f64 v[8:9], v[60:61], v[10:11]
	v_fmac_f64_e32 v[76:77], v[68:69], v[20:21]
	v_add_f64 v[78:79], v[74:75], v[76:77]
	ds_read_b128 v[74:77], v1 offset:1632
	s_waitcnt vmcnt(61) lgkmcnt(1)
	v_mul_f64 v[80:81], v[70:71], v[14:15]
	s_waitcnt vmcnt(60)
	v_fmac_f64_e32 v[80:81], v[72:73], v[16:17]
	v_add_f64 v[82:83], v[78:79], v[80:81]
	ds_read_b128 v[78:81], v1 offset:1648
	s_waitcnt vmcnt(56) lgkmcnt(1)
	v_mul_f64 v[84:85], v[74:75], v[26:27]
	s_waitcnt vmcnt(54)
	;; [unrolled: 6-line block ×4, first 2 shown]
	v_fmac_f64_e32 v[92:93], v[84:85], v[36:37]
	v_add_f64 v[94:95], v[90:91], v[92:93]
	ds_read_b128 v[90:93], v1 offset:1696
	v_add_f64 v[2:3], v[2:3], 0
	v_fma_f64 v[4:5], v[58:59], v[4:5], -v[8:9]
	s_waitcnt vmcnt(45) lgkmcnt(1)
	v_mul_f64 v[96:97], v[86:87], v[30:31]
	v_add_f64 v[2:3], v[2:3], v[4:5]
	v_mul_f64 v[4:5], v[64:65], v[12:13]
	s_waitcnt vmcnt(44)
	v_fmac_f64_e32 v[96:97], v[88:89], v[32:33]
	v_fma_f64 v[4:5], v[62:63], v[6:7], -v[4:5]
	v_add_f64 v[98:99], v[94:95], v[96:97]
	ds_read_b128 v[94:97], v1 offset:1712
	s_waitcnt vmcnt(40) lgkmcnt(1)
	v_mul_f64 v[100:101], v[90:91], v[42:43]
	v_add_f64 v[2:3], v[2:3], v[4:5]
	v_mul_f64 v[4:5], v[68:69], v[18:19]
	s_waitcnt vmcnt(38)
	v_fmac_f64_e32 v[100:101], v[92:93], v[44:45]
	v_fma_f64 v[4:5], v[66:67], v[20:21], -v[4:5]
	v_add_f64 v[102:103], v[98:99], v[100:101]
	ds_read_b128 v[98:101], v1 offset:1728
	v_add_f64 v[2:3], v[2:3], v[4:5]
	v_mul_f64 v[4:5], v[72:73], v[14:15]
	v_fma_f64 v[4:5], v[70:71], v[16:17], -v[4:5]
	v_add_f64 v[2:3], v[2:3], v[4:5]
	v_mul_f64 v[4:5], v[76:77], v[26:27]
	s_waitcnt vmcnt(37) lgkmcnt(1)
	v_mul_f64 v[104:105], v[94:95], v[38:39]
	v_fma_f64 v[4:5], v[74:75], v[28:29], -v[4:5]
	s_waitcnt vmcnt(36)
	v_fmac_f64_e32 v[104:105], v[96:97], v[40:41]
	v_add_f64 v[2:3], v[2:3], v[4:5]
	v_mul_f64 v[4:5], v[80:81], v[22:23]
	v_add_f64 v[106:107], v[102:103], v[104:105]
	ds_read_b128 v[102:105], v1 offset:1744
	s_waitcnt vmcnt(32) lgkmcnt(1)
	v_mul_f64 v[108:109], v[98:99], v[50:51]
	v_fma_f64 v[4:5], v[78:79], v[24:25], -v[4:5]
	s_waitcnt vmcnt(30)
	v_fmac_f64_e32 v[108:109], v[100:101], v[52:53]
	v_add_f64 v[2:3], v[2:3], v[4:5]
	v_mul_f64 v[4:5], v[84:85], v[34:35]
	v_add_f64 v[110:111], v[106:107], v[108:109]
	ds_read_b128 v[106:109], v1 offset:1760
	v_fma_f64 v[4:5], v[82:83], v[36:37], -v[4:5]
	v_add_f64 v[2:3], v[2:3], v[4:5]
	v_mul_f64 v[4:5], v[88:89], v[30:31]
	v_fma_f64 v[4:5], v[86:87], v[32:33], -v[4:5]
	s_waitcnt vmcnt(29) lgkmcnt(1)
	v_mul_f64 v[112:113], v[102:103], v[46:47]
	v_add_f64 v[2:3], v[2:3], v[4:5]
	v_mul_f64 v[4:5], v[92:93], v[42:43]
	s_waitcnt vmcnt(28)
	v_fmac_f64_e32 v[112:113], v[104:105], v[48:49]
	v_fma_f64 v[4:5], v[90:91], v[44:45], -v[4:5]
	v_add_f64 v[114:115], v[110:111], v[112:113]
	ds_read_b128 v[110:113], v1 offset:1776
	s_waitcnt vmcnt(24) lgkmcnt(1)
	v_mul_f64 v[116:117], v[106:107], v[134:135]
	v_add_f64 v[2:3], v[2:3], v[4:5]
	v_mul_f64 v[4:5], v[96:97], v[38:39]
	s_waitcnt vmcnt(22)
	v_fmac_f64_e32 v[116:117], v[108:109], v[136:137]
	v_fma_f64 v[4:5], v[94:95], v[40:41], -v[4:5]
	v_add_f64 v[118:119], v[114:115], v[116:117]
	ds_read_b128 v[114:117], v1 offset:1792
	v_add_f64 v[2:3], v[2:3], v[4:5]
	v_mul_f64 v[4:5], v[100:101], v[50:51]
	v_fma_f64 v[4:5], v[98:99], v[52:53], -v[4:5]
	v_add_f64 v[2:3], v[2:3], v[4:5]
	v_mul_f64 v[4:5], v[104:105], v[46:47]
	s_waitcnt vmcnt(21) lgkmcnt(1)
	v_mul_f64 v[120:121], v[110:111], v[130:131]
	v_fma_f64 v[4:5], v[102:103], v[48:49], -v[4:5]
	s_waitcnt vmcnt(20)
	v_fmac_f64_e32 v[120:121], v[112:113], v[132:133]
	v_add_f64 v[2:3], v[2:3], v[4:5]
	v_mul_f64 v[4:5], v[108:109], v[134:135]
	v_add_f64 v[122:123], v[118:119], v[120:121]
	ds_read_b128 v[118:121], v1 offset:1808
	s_waitcnt vmcnt(16) lgkmcnt(1)
	v_mul_f64 v[124:125], v[114:115], v[142:143]
	v_fma_f64 v[4:5], v[106:107], v[136:137], -v[4:5]
	s_waitcnt vmcnt(14)
	v_fmac_f64_e32 v[124:125], v[116:117], v[144:145]
	v_add_f64 v[2:3], v[2:3], v[4:5]
	v_mul_f64 v[4:5], v[112:113], v[130:131]
	v_add_f64 v[158:159], v[122:123], v[124:125]
	ds_read_b128 v[122:125], v1 offset:1824
	v_fma_f64 v[4:5], v[110:111], v[132:133], -v[4:5]
	v_add_f64 v[2:3], v[2:3], v[4:5]
	v_mul_f64 v[4:5], v[116:117], v[142:143]
	v_fma_f64 v[4:5], v[114:115], v[144:145], -v[4:5]
	v_add_f64 v[2:3], v[2:3], v[4:5]
	s_waitcnt vmcnt(13) lgkmcnt(1)
	v_mul_f64 v[4:5], v[120:121], v[138:139]
	v_mul_f64 v[160:161], v[118:119], v[138:139]
	s_waitcnt vmcnt(12)
	v_fma_f64 v[4:5], v[118:119], v[140:141], -v[4:5]
	v_fmac_f64_e32 v[160:161], v[120:121], v[140:141]
	v_add_f64 v[2:3], v[2:3], v[4:5]
	s_waitcnt vmcnt(8) lgkmcnt(0)
	v_mul_f64 v[4:5], v[124:125], v[150:151]
	v_add_f64 v[158:159], v[158:159], v[160:161]
	v_mul_f64 v[160:161], v[122:123], v[150:151]
	s_waitcnt vmcnt(6)
	v_fma_f64 v[4:5], v[122:123], v[152:153], -v[4:5]
	v_fmac_f64_e32 v[160:161], v[124:125], v[152:153]
	v_add_f64 v[2:3], v[2:3], v[4:5]
	s_waitcnt vmcnt(5)
	v_mul_f64 v[4:5], v[128:129], v[146:147]
	v_add_f64 v[158:159], v[158:159], v[160:161]
	v_mul_f64 v[160:161], v[126:127], v[146:147]
	s_waitcnt vmcnt(4)
	v_fma_f64 v[4:5], v[126:127], v[148:149], -v[4:5]
	v_fmac_f64_e32 v[160:161], v[128:129], v[148:149]
	v_add_f64 v[2:3], v[2:3], v[4:5]
	v_add_f64 v[158:159], v[158:159], v[160:161]
	s_waitcnt vmcnt(2)
	v_add_f64 v[2:3], v[154:155], -v[2:3]
	s_waitcnt vmcnt(0)
	v_add_f64 v[4:5], v[156:157], -v[158:159]
	buffer_store_dword v3, off, s[0:3], 0 offset:628
	buffer_store_dword v2, off, s[0:3], 0 offset:624
	;; [unrolled: 1-line block ×4, first 2 shown]
	s_and_saveexec_b64 s[4:5], vcc
	s_cbranch_execz .LBB57_287
; %bb.286:
	v_accvgpr_read_b32 v5, a136
	buffer_load_dword v2, v5, s[0:3], 0 offen
	buffer_load_dword v3, v5, s[0:3], 0 offen offset:4
	buffer_load_dword v4, v5, s[0:3], 0 offen offset:8
	s_nop 0
	buffer_load_dword v5, v5, s[0:3], 0 offen offset:12
	v_accvgpr_read_b32 v6, a173
	buffer_store_dword v1, off, s[0:3], 0 offset:608
	buffer_store_dword v1, off, s[0:3], 0 offset:612
	;; [unrolled: 1-line block ×4, first 2 shown]
	s_waitcnt vmcnt(4)
	ds_write_b128 v6, v[2:5]
.LBB57_287:
	s_or_b64 exec, exec, s[4:5]
	s_waitcnt lgkmcnt(0)
	; wave barrier
	s_waitcnt lgkmcnt(0)
	buffer_load_dword v2, off, s[0:3], 0 offset:624
	buffer_load_dword v3, off, s[0:3], 0 offset:628
	;; [unrolled: 1-line block ×76, first 2 shown]
	ds_read_b128 v[54:57], v1 offset:1536
	buffer_load_dword v159, off, s[0:3], 0 offset:940
	buffer_load_dword v158, off, s[0:3], 0 offset:936
	;; [unrolled: 1-line block ×8, first 2 shown]
	ds_read_b128 v[58:61], v1 offset:1552
	ds_read_b128 v[62:65], v1 offset:1568
	;; [unrolled: 1-line block ×3, first 2 shown]
	v_cmp_lt_u32_e32 vcc, 36, v0
	ds_read_b128 v[130:133], v1 offset:1840
	s_waitcnt vmcnt(62) lgkmcnt(4)
	v_mul_f64 v[70:71], v[54:55], v[8:9]
	v_fmac_f64_e32 v[70:71], v[56:57], v[2:3]
	v_add_f64 v[70:71], v[70:71], 0
	v_mul_f64 v[8:9], v[56:57], v[8:9]
	s_waitcnt lgkmcnt(3)
	v_mul_f64 v[72:73], v[58:59], v[10:11]
	v_fmac_f64_e32 v[72:73], v[60:61], v[4:5]
	v_add_f64 v[70:71], v[70:71], v[72:73]
	v_fma_f64 v[2:3], v[54:55], v[2:3], -v[8:9]
	s_waitcnt lgkmcnt(2)
	v_mul_f64 v[72:73], v[62:63], v[12:13]
	v_fmac_f64_e32 v[72:73], v[64:65], v[6:7]
	v_add_f64 v[74:75], v[70:71], v[72:73]
	ds_read_b128 v[70:73], v1 offset:1600
	v_mul_f64 v[8:9], v[60:61], v[10:11]
	v_add_f64 v[2:3], v[2:3], 0
	s_waitcnt lgkmcnt(2)
	v_mul_f64 v[76:77], v[66:67], v[18:19]
	v_fma_f64 v[4:5], v[58:59], v[4:5], -v[8:9]
	v_fmac_f64_e32 v[76:77], v[68:69], v[20:21]
	v_add_f64 v[78:79], v[74:75], v[76:77]
	ds_read_b128 v[74:77], v1 offset:1616
	s_waitcnt lgkmcnt(1)
	v_mul_f64 v[80:81], v[70:71], v[14:15]
	v_fmac_f64_e32 v[80:81], v[72:73], v[16:17]
	v_add_f64 v[82:83], v[78:79], v[80:81]
	ds_read_b128 v[78:81], v1 offset:1632
	s_waitcnt vmcnt(58) lgkmcnt(1)
	v_mul_f64 v[84:85], v[74:75], v[26:27]
	s_waitcnt vmcnt(56)
	v_fmac_f64_e32 v[84:85], v[76:77], v[28:29]
	v_add_f64 v[86:87], v[82:83], v[84:85]
	ds_read_b128 v[82:85], v1 offset:1648
	s_waitcnt lgkmcnt(1)
	v_mul_f64 v[88:89], v[78:79], v[22:23]
	v_fmac_f64_e32 v[88:89], v[80:81], v[24:25]
	v_add_f64 v[90:91], v[86:87], v[88:89]
	ds_read_b128 v[86:89], v1 offset:1664
	s_waitcnt vmcnt(50) lgkmcnt(1)
	v_mul_f64 v[92:93], v[82:83], v[34:35]
	s_waitcnt vmcnt(48)
	v_fmac_f64_e32 v[92:93], v[84:85], v[36:37]
	v_add_f64 v[94:95], v[90:91], v[92:93]
	ds_read_b128 v[90:93], v1 offset:1680
	s_waitcnt lgkmcnt(1)
	v_mul_f64 v[96:97], v[86:87], v[30:31]
	v_fmac_f64_e32 v[96:97], v[88:89], v[32:33]
	v_add_f64 v[98:99], v[94:95], v[96:97]
	ds_read_b128 v[94:97], v1 offset:1696
	v_add_f64 v[2:3], v[2:3], v[4:5]
	v_mul_f64 v[4:5], v[64:65], v[12:13]
	v_fma_f64 v[4:5], v[62:63], v[6:7], -v[4:5]
	s_waitcnt vmcnt(42) lgkmcnt(1)
	v_mul_f64 v[100:101], v[90:91], v[42:43]
	v_add_f64 v[2:3], v[2:3], v[4:5]
	v_mul_f64 v[4:5], v[68:69], v[18:19]
	s_waitcnt vmcnt(40)
	v_fmac_f64_e32 v[100:101], v[92:93], v[44:45]
	v_fma_f64 v[4:5], v[66:67], v[20:21], -v[4:5]
	v_add_f64 v[102:103], v[98:99], v[100:101]
	ds_read_b128 v[98:101], v1 offset:1712
	s_waitcnt lgkmcnt(1)
	v_mul_f64 v[104:105], v[94:95], v[38:39]
	v_add_f64 v[2:3], v[2:3], v[4:5]
	v_mul_f64 v[4:5], v[72:73], v[14:15]
	v_fmac_f64_e32 v[104:105], v[96:97], v[40:41]
	v_fma_f64 v[4:5], v[70:71], v[16:17], -v[4:5]
	v_add_f64 v[106:107], v[102:103], v[104:105]
	ds_read_b128 v[102:105], v1 offset:1728
	v_add_f64 v[2:3], v[2:3], v[4:5]
	v_mul_f64 v[4:5], v[76:77], v[26:27]
	v_fma_f64 v[4:5], v[74:75], v[28:29], -v[4:5]
	v_add_f64 v[2:3], v[2:3], v[4:5]
	v_mul_f64 v[4:5], v[80:81], v[22:23]
	s_waitcnt vmcnt(34) lgkmcnt(1)
	v_mul_f64 v[108:109], v[98:99], v[50:51]
	v_fma_f64 v[4:5], v[78:79], v[24:25], -v[4:5]
	s_waitcnt vmcnt(32)
	v_fmac_f64_e32 v[108:109], v[100:101], v[52:53]
	v_add_f64 v[2:3], v[2:3], v[4:5]
	v_mul_f64 v[4:5], v[84:85], v[34:35]
	v_add_f64 v[110:111], v[106:107], v[108:109]
	ds_read_b128 v[106:109], v1 offset:1744
	s_waitcnt lgkmcnt(1)
	v_mul_f64 v[112:113], v[102:103], v[46:47]
	v_fma_f64 v[4:5], v[82:83], v[36:37], -v[4:5]
	v_fmac_f64_e32 v[112:113], v[104:105], v[48:49]
	v_add_f64 v[2:3], v[2:3], v[4:5]
	v_mul_f64 v[4:5], v[88:89], v[30:31]
	v_add_f64 v[114:115], v[110:111], v[112:113]
	ds_read_b128 v[110:113], v1 offset:1760
	v_fma_f64 v[4:5], v[86:87], v[32:33], -v[4:5]
	v_add_f64 v[2:3], v[2:3], v[4:5]
	v_mul_f64 v[4:5], v[92:93], v[42:43]
	v_fma_f64 v[4:5], v[90:91], v[44:45], -v[4:5]
	s_waitcnt vmcnt(26) lgkmcnt(1)
	v_mul_f64 v[116:117], v[106:107], v[138:139]
	v_add_f64 v[2:3], v[2:3], v[4:5]
	v_mul_f64 v[4:5], v[96:97], v[38:39]
	s_waitcnt vmcnt(24)
	v_fmac_f64_e32 v[116:117], v[108:109], v[140:141]
	v_fma_f64 v[4:5], v[94:95], v[40:41], -v[4:5]
	v_add_f64 v[118:119], v[114:115], v[116:117]
	ds_read_b128 v[114:117], v1 offset:1776
	s_waitcnt lgkmcnt(1)
	v_mul_f64 v[120:121], v[110:111], v[134:135]
	v_add_f64 v[2:3], v[2:3], v[4:5]
	v_mul_f64 v[4:5], v[100:101], v[50:51]
	v_fmac_f64_e32 v[120:121], v[112:113], v[136:137]
	v_fma_f64 v[4:5], v[98:99], v[52:53], -v[4:5]
	v_add_f64 v[122:123], v[118:119], v[120:121]
	ds_read_b128 v[118:121], v1 offset:1792
	v_add_f64 v[2:3], v[2:3], v[4:5]
	v_mul_f64 v[4:5], v[104:105], v[46:47]
	v_fma_f64 v[4:5], v[102:103], v[48:49], -v[4:5]
	v_add_f64 v[2:3], v[2:3], v[4:5]
	v_mul_f64 v[4:5], v[108:109], v[138:139]
	s_waitcnt vmcnt(18) lgkmcnt(1)
	v_mul_f64 v[124:125], v[114:115], v[146:147]
	v_fma_f64 v[4:5], v[106:107], v[140:141], -v[4:5]
	s_waitcnt vmcnt(16)
	v_fmac_f64_e32 v[124:125], v[116:117], v[148:149]
	v_add_f64 v[2:3], v[2:3], v[4:5]
	v_mul_f64 v[4:5], v[112:113], v[134:135]
	v_add_f64 v[126:127], v[122:123], v[124:125]
	ds_read_b128 v[122:125], v1 offset:1808
	s_waitcnt lgkmcnt(1)
	v_mul_f64 v[128:129], v[118:119], v[142:143]
	v_fma_f64 v[4:5], v[110:111], v[136:137], -v[4:5]
	v_fmac_f64_e32 v[128:129], v[120:121], v[144:145]
	v_add_f64 v[2:3], v[2:3], v[4:5]
	v_mul_f64 v[4:5], v[116:117], v[146:147]
	v_add_f64 v[166:167], v[126:127], v[128:129]
	ds_read_b128 v[126:129], v1 offset:1824
	v_fma_f64 v[4:5], v[114:115], v[148:149], -v[4:5]
	v_add_f64 v[2:3], v[2:3], v[4:5]
	v_mul_f64 v[4:5], v[120:121], v[142:143]
	v_fma_f64 v[4:5], v[118:119], v[144:145], -v[4:5]
	v_add_f64 v[2:3], v[2:3], v[4:5]
	s_waitcnt vmcnt(10) lgkmcnt(1)
	v_mul_f64 v[4:5], v[124:125], v[154:155]
	v_mul_f64 v[168:169], v[122:123], v[154:155]
	s_waitcnt vmcnt(8)
	v_fma_f64 v[4:5], v[122:123], v[156:157], -v[4:5]
	v_fmac_f64_e32 v[168:169], v[124:125], v[156:157]
	v_add_f64 v[2:3], v[2:3], v[4:5]
	s_waitcnt lgkmcnt(0)
	v_mul_f64 v[4:5], v[128:129], v[150:151]
	v_add_f64 v[166:167], v[166:167], v[168:169]
	v_mul_f64 v[168:169], v[126:127], v[150:151]
	v_fma_f64 v[4:5], v[126:127], v[152:153], -v[4:5]
	v_fmac_f64_e32 v[168:169], v[128:129], v[152:153]
	v_add_f64 v[2:3], v[2:3], v[4:5]
	s_waitcnt vmcnt(6)
	v_mul_f64 v[4:5], v[132:133], v[158:159]
	v_add_f64 v[166:167], v[166:167], v[168:169]
	v_mul_f64 v[168:169], v[130:131], v[158:159]
	s_waitcnt vmcnt(4)
	v_fma_f64 v[4:5], v[130:131], v[160:161], -v[4:5]
	v_fmac_f64_e32 v[168:169], v[132:133], v[160:161]
	v_add_f64 v[2:3], v[2:3], v[4:5]
	v_add_f64 v[166:167], v[166:167], v[168:169]
	s_waitcnt vmcnt(2)
	v_add_f64 v[2:3], v[162:163], -v[2:3]
	s_waitcnt vmcnt(0)
	v_add_f64 v[4:5], v[164:165], -v[166:167]
	buffer_store_dword v3, off, s[0:3], 0 offset:612
	buffer_store_dword v2, off, s[0:3], 0 offset:608
	;; [unrolled: 1-line block ×4, first 2 shown]
	s_and_saveexec_b64 s[4:5], vcc
	s_cbranch_execz .LBB57_289
; %bb.288:
	v_accvgpr_read_b32 v1, a137
	buffer_load_dword v2, v1, s[0:3], 0 offen
	buffer_load_dword v3, v1, s[0:3], 0 offen offset:4
	buffer_load_dword v4, v1, s[0:3], 0 offen offset:8
	;; [unrolled: 1-line block ×3, first 2 shown]
	v_mov_b32_e32 v1, 0
	v_accvgpr_read_b32 v6, a173
	buffer_store_dword v1, off, s[0:3], 0 offset:592
	buffer_store_dword v1, off, s[0:3], 0 offset:596
	;; [unrolled: 1-line block ×4, first 2 shown]
	s_waitcnt vmcnt(4)
	ds_write_b128 v6, v[2:5]
.LBB57_289:
	s_or_b64 exec, exec, s[4:5]
	s_waitcnt lgkmcnt(0)
	; wave barrier
	s_waitcnt lgkmcnt(0)
	buffer_load_dword v4, off, s[0:3], 0 offset:592
	buffer_load_dword v5, off, s[0:3], 0 offset:596
	;; [unrolled: 1-line block ×84, first 2 shown]
	v_mov_b32_e32 v1, 0
	ds_read_b128 v[66:69], v1 offset:1520
	buffer_load_dword v171, off, s[0:3], 0 offset:940
	buffer_load_dword v170, off, s[0:3], 0 offset:936
	;; [unrolled: 1-line block ×4, first 2 shown]
	ds_read_b128 v[70:73], v1 offset:1536
	ds_read_b128 v[74:77], v1 offset:1552
	;; [unrolled: 1-line block ×4, first 2 shown]
	v_cmp_lt_u32_e32 vcc, 35, v0
	s_waitcnt vmcnt(62) lgkmcnt(4)
	v_mul_f64 v[82:83], v[66:67], v[12:13]
	v_fmac_f64_e32 v[82:83], v[68:69], v[6:7]
	s_waitcnt lgkmcnt(3)
	v_mul_f64 v[84:85], v[70:71], v[14:15]
	v_add_f64 v[82:83], v[82:83], 0
	v_fmac_f64_e32 v[84:85], v[72:73], v[8:9]
	v_add_f64 v[82:83], v[82:83], v[84:85]
	s_waitcnt lgkmcnt(2)
	v_mul_f64 v[84:85], v[74:75], v[16:17]
	v_fmac_f64_e32 v[84:85], v[76:77], v[10:11]
	v_add_f64 v[86:87], v[82:83], v[84:85]
	ds_read_b128 v[82:85], v1 offset:1584
	v_mul_f64 v[12:13], v[68:69], v[12:13]
	s_waitcnt lgkmcnt(2)
	v_mul_f64 v[88:89], v[78:79], v[22:23]
	v_fma_f64 v[6:7], v[66:67], v[6:7], -v[12:13]
	v_fmac_f64_e32 v[88:89], v[80:81], v[24:25]
	v_add_f64 v[90:91], v[86:87], v[88:89]
	ds_read_b128 v[86:89], v1 offset:1600
	s_waitcnt lgkmcnt(1)
	v_mul_f64 v[92:93], v[82:83], v[18:19]
	v_fmac_f64_e32 v[92:93], v[84:85], v[20:21]
	v_add_f64 v[94:95], v[90:91], v[92:93]
	ds_read_b128 v[90:93], v1 offset:1616
	s_waitcnt vmcnt(58) lgkmcnt(1)
	v_mul_f64 v[96:97], v[86:87], v[30:31]
	s_waitcnt vmcnt(56)
	v_fmac_f64_e32 v[96:97], v[88:89], v[32:33]
	v_add_f64 v[98:99], v[94:95], v[96:97]
	ds_read_b128 v[94:97], v1 offset:1632
	s_waitcnt lgkmcnt(1)
	v_mul_f64 v[100:101], v[90:91], v[26:27]
	v_fmac_f64_e32 v[100:101], v[92:93], v[28:29]
	v_add_f64 v[102:103], v[98:99], v[100:101]
	ds_read_b128 v[98:101], v1 offset:1648
	s_waitcnt vmcnt(50) lgkmcnt(1)
	v_mul_f64 v[104:105], v[94:95], v[38:39]
	s_waitcnt vmcnt(48)
	v_fmac_f64_e32 v[104:105], v[96:97], v[40:41]
	v_add_f64 v[106:107], v[102:103], v[104:105]
	ds_read_b128 v[102:105], v1 offset:1664
	s_waitcnt lgkmcnt(1)
	v_mul_f64 v[108:109], v[98:99], v[34:35]
	v_fmac_f64_e32 v[108:109], v[100:101], v[36:37]
	v_mul_f64 v[12:13], v[72:73], v[14:15]
	v_add_f64 v[110:111], v[106:107], v[108:109]
	ds_read_b128 v[106:109], v1 offset:1680
	s_waitcnt vmcnt(42) lgkmcnt(1)
	v_mul_f64 v[112:113], v[102:103], v[46:47]
	v_add_f64 v[6:7], v[6:7], 0
	v_fma_f64 v[8:9], v[70:71], v[8:9], -v[12:13]
	s_waitcnt vmcnt(40)
	v_fmac_f64_e32 v[112:113], v[104:105], v[48:49]
	v_add_f64 v[6:7], v[6:7], v[8:9]
	v_mul_f64 v[8:9], v[76:77], v[16:17]
	v_add_f64 v[114:115], v[110:111], v[112:113]
	ds_read_b128 v[110:113], v1 offset:1696
	v_fma_f64 v[8:9], v[74:75], v[10:11], -v[8:9]
	v_add_f64 v[6:7], v[6:7], v[8:9]
	v_mul_f64 v[8:9], v[80:81], v[22:23]
	v_fma_f64 v[8:9], v[78:79], v[24:25], -v[8:9]
	s_waitcnt lgkmcnt(1)
	v_mul_f64 v[116:117], v[106:107], v[42:43]
	v_add_f64 v[6:7], v[6:7], v[8:9]
	v_mul_f64 v[8:9], v[84:85], v[18:19]
	v_fmac_f64_e32 v[116:117], v[108:109], v[44:45]
	v_fma_f64 v[8:9], v[82:83], v[20:21], -v[8:9]
	v_add_f64 v[118:119], v[114:115], v[116:117]
	ds_read_b128 v[114:117], v1 offset:1712
	s_waitcnt vmcnt(34) lgkmcnt(1)
	v_mul_f64 v[120:121], v[110:111], v[54:55]
	v_add_f64 v[6:7], v[6:7], v[8:9]
	v_mul_f64 v[8:9], v[88:89], v[30:31]
	s_waitcnt vmcnt(32)
	v_fmac_f64_e32 v[120:121], v[112:113], v[56:57]
	v_fma_f64 v[8:9], v[86:87], v[32:33], -v[8:9]
	v_add_f64 v[122:123], v[118:119], v[120:121]
	ds_read_b128 v[118:121], v1 offset:1728
	v_add_f64 v[6:7], v[6:7], v[8:9]
	v_mul_f64 v[8:9], v[92:93], v[26:27]
	v_fma_f64 v[8:9], v[90:91], v[28:29], -v[8:9]
	v_add_f64 v[6:7], v[6:7], v[8:9]
	v_mul_f64 v[8:9], v[96:97], v[38:39]
	s_waitcnt lgkmcnt(1)
	v_mul_f64 v[124:125], v[114:115], v[50:51]
	v_fma_f64 v[8:9], v[94:95], v[40:41], -v[8:9]
	v_fmac_f64_e32 v[124:125], v[116:117], v[52:53]
	v_add_f64 v[6:7], v[6:7], v[8:9]
	v_mul_f64 v[8:9], v[100:101], v[34:35]
	v_add_f64 v[126:127], v[122:123], v[124:125]
	ds_read_b128 v[122:125], v1 offset:1744
	s_waitcnt vmcnt(26) lgkmcnt(1)
	v_mul_f64 v[128:129], v[118:119], v[62:63]
	v_fma_f64 v[8:9], v[98:99], v[36:37], -v[8:9]
	s_waitcnt vmcnt(24)
	v_fmac_f64_e32 v[128:129], v[120:121], v[64:65]
	v_add_f64 v[6:7], v[6:7], v[8:9]
	v_mul_f64 v[8:9], v[104:105], v[46:47]
	v_add_f64 v[130:131], v[126:127], v[128:129]
	ds_read_b128 v[126:129], v1 offset:1760
	v_fma_f64 v[8:9], v[102:103], v[48:49], -v[8:9]
	v_add_f64 v[6:7], v[6:7], v[8:9]
	v_mul_f64 v[8:9], v[108:109], v[42:43]
	v_fma_f64 v[8:9], v[106:107], v[44:45], -v[8:9]
	s_waitcnt lgkmcnt(1)
	v_mul_f64 v[132:133], v[122:123], v[58:59]
	v_add_f64 v[6:7], v[6:7], v[8:9]
	v_mul_f64 v[8:9], v[112:113], v[54:55]
	v_fmac_f64_e32 v[132:133], v[124:125], v[60:61]
	v_fma_f64 v[8:9], v[110:111], v[56:57], -v[8:9]
	v_add_f64 v[134:135], v[130:131], v[132:133]
	ds_read_b128 v[130:133], v1 offset:1776
	s_waitcnt vmcnt(18) lgkmcnt(1)
	v_mul_f64 v[136:137], v[126:127], v[154:155]
	v_add_f64 v[6:7], v[6:7], v[8:9]
	v_mul_f64 v[8:9], v[116:117], v[50:51]
	s_waitcnt vmcnt(16)
	v_fmac_f64_e32 v[136:137], v[128:129], v[156:157]
	v_fma_f64 v[8:9], v[114:115], v[52:53], -v[8:9]
	v_add_f64 v[138:139], v[134:135], v[136:137]
	ds_read_b128 v[134:137], v1 offset:1792
	v_add_f64 v[6:7], v[6:7], v[8:9]
	v_mul_f64 v[8:9], v[120:121], v[62:63]
	v_fma_f64 v[8:9], v[118:119], v[64:65], -v[8:9]
	v_add_f64 v[6:7], v[6:7], v[8:9]
	v_mul_f64 v[8:9], v[124:125], v[58:59]
	s_waitcnt lgkmcnt(1)
	v_mul_f64 v[140:141], v[130:131], v[150:151]
	v_fma_f64 v[8:9], v[122:123], v[60:61], -v[8:9]
	v_fmac_f64_e32 v[140:141], v[132:133], v[152:153]
	v_add_f64 v[6:7], v[6:7], v[8:9]
	v_mul_f64 v[8:9], v[128:129], v[154:155]
	v_add_f64 v[142:143], v[138:139], v[140:141]
	ds_read_b128 v[138:141], v1 offset:1808
	s_waitcnt vmcnt(10) lgkmcnt(1)
	v_mul_f64 v[144:145], v[134:135], v[162:163]
	v_fma_f64 v[8:9], v[126:127], v[156:157], -v[8:9]
	s_waitcnt vmcnt(8)
	v_fmac_f64_e32 v[144:145], v[136:137], v[164:165]
	v_add_f64 v[6:7], v[6:7], v[8:9]
	v_mul_f64 v[8:9], v[132:133], v[150:151]
	v_add_f64 v[174:175], v[142:143], v[144:145]
	ds_read_b128 v[142:145], v1 offset:1824
	v_fma_f64 v[8:9], v[130:131], v[152:153], -v[8:9]
	v_add_f64 v[6:7], v[6:7], v[8:9]
	v_mul_f64 v[8:9], v[136:137], v[162:163]
	v_fma_f64 v[8:9], v[134:135], v[164:165], -v[8:9]
	v_add_f64 v[6:7], v[6:7], v[8:9]
	s_waitcnt lgkmcnt(1)
	v_mul_f64 v[8:9], v[140:141], v[158:159]
	v_mul_f64 v[176:177], v[138:139], v[158:159]
	v_fma_f64 v[8:9], v[138:139], v[160:161], -v[8:9]
	v_fmac_f64_e32 v[176:177], v[140:141], v[160:161]
	v_add_f64 v[6:7], v[6:7], v[8:9]
	s_waitcnt vmcnt(6) lgkmcnt(0)
	v_mul_f64 v[8:9], v[144:145], v[166:167]
	v_add_f64 v[174:175], v[174:175], v[176:177]
	v_mul_f64 v[176:177], v[142:143], v[166:167]
	s_waitcnt vmcnt(4)
	v_fma_f64 v[8:9], v[142:143], v[168:169], -v[8:9]
	v_fmac_f64_e32 v[176:177], v[144:145], v[168:169]
	v_add_f64 v[6:7], v[6:7], v[8:9]
	s_waitcnt vmcnt(2)
	v_mul_f64 v[8:9], v[148:149], v[170:171]
	v_add_f64 v[174:175], v[174:175], v[176:177]
	v_mul_f64 v[176:177], v[146:147], v[170:171]
	s_waitcnt vmcnt(0)
	v_fma_f64 v[8:9], v[146:147], v[172:173], -v[8:9]
	v_fmac_f64_e32 v[176:177], v[148:149], v[172:173]
	v_add_f64 v[6:7], v[6:7], v[8:9]
	v_add_f64 v[174:175], v[174:175], v[176:177]
	v_add_f64 v[4:5], v[4:5], -v[6:7]
	v_add_f64 v[2:3], v[2:3], -v[174:175]
	buffer_store_dword v5, off, s[0:3], 0 offset:596
	buffer_store_dword v4, off, s[0:3], 0 offset:592
	;; [unrolled: 1-line block ×4, first 2 shown]
	s_and_saveexec_b64 s[4:5], vcc
	s_cbranch_execz .LBB57_291
; %bb.290:
	v_accvgpr_read_b32 v5, a138
	buffer_load_dword v2, v5, s[0:3], 0 offen
	buffer_load_dword v3, v5, s[0:3], 0 offen offset:4
	buffer_load_dword v4, v5, s[0:3], 0 offen offset:8
	s_nop 0
	buffer_load_dword v5, v5, s[0:3], 0 offen offset:12
	v_accvgpr_read_b32 v6, a173
	buffer_store_dword v1, off, s[0:3], 0 offset:576
	buffer_store_dword v1, off, s[0:3], 0 offset:580
	;; [unrolled: 1-line block ×4, first 2 shown]
	s_waitcnt vmcnt(4)
	ds_write_b128 v6, v[2:5]
.LBB57_291:
	s_or_b64 exec, exec, s[4:5]
	s_waitcnt lgkmcnt(0)
	; wave barrier
	s_waitcnt lgkmcnt(0)
	ds_read_b128 v[14:17], v1 offset:1504
	ds_read_b128 v[10:13], v1 offset:1520
	ds_read_b128 v[6:9], v1 offset:1536
	ds_read_b128 v[2:5], v1 offset:1552
	buffer_load_dword v20, off, s[0:3], 0 offset:576
	buffer_load_dword v21, off, s[0:3], 0 offset:580
	;; [unrolled: 1-line block ×92, first 2 shown]
	s_waitcnt vmcnt(62) lgkmcnt(3)
	v_mul_f64 v[86:87], v[14:15], v[28:29]
	v_fmac_f64_e32 v[86:87], v[16:17], v[22:23]
	s_waitcnt lgkmcnt(2)
	v_mul_f64 v[88:89], v[10:11], v[30:31]
	v_add_f64 v[86:87], v[86:87], 0
	v_fmac_f64_e32 v[88:89], v[12:13], v[24:25]
	v_add_f64 v[86:87], v[86:87], v[88:89]
	s_waitcnt lgkmcnt(1)
	v_mul_f64 v[88:89], v[6:7], v[32:33]
	v_fmac_f64_e32 v[88:89], v[8:9], v[26:27]
	v_add_f64 v[90:91], v[86:87], v[88:89]
	ds_read_b128 v[86:89], v1 offset:1568
	v_mul_f64 v[16:17], v[16:17], v[28:29]
	v_fma_f64 v[14:15], v[14:15], v[22:23], -v[16:17]
	s_waitcnt lgkmcnt(1)
	v_mul_f64 v[92:93], v[2:3], v[38:39]
	v_mul_f64 v[12:13], v[12:13], v[30:31]
	v_fmac_f64_e32 v[92:93], v[4:5], v[40:41]
	v_add_f64 v[94:95], v[90:91], v[92:93]
	ds_read_b128 v[90:93], v1 offset:1584
	s_waitcnt lgkmcnt(1)
	v_mul_f64 v[96:97], v[86:87], v[34:35]
	v_fmac_f64_e32 v[96:97], v[88:89], v[36:37]
	v_add_f64 v[98:99], v[94:95], v[96:97]
	ds_read_b128 v[94:97], v1 offset:1600
	s_waitcnt lgkmcnt(1)
	v_mul_f64 v[100:101], v[90:91], v[46:47]
	s_waitcnt vmcnt(60)
	v_fmac_f64_e32 v[100:101], v[92:93], v[48:49]
	v_add_f64 v[102:103], v[98:99], v[100:101]
	ds_read_b128 v[98:101], v1 offset:1616
	s_waitcnt lgkmcnt(1)
	v_mul_f64 v[104:105], v[94:95], v[42:43]
	v_fmac_f64_e32 v[104:105], v[96:97], v[44:45]
	v_add_f64 v[106:107], v[102:103], v[104:105]
	ds_read_b128 v[102:105], v1 offset:1632
	s_waitcnt vmcnt(54) lgkmcnt(1)
	v_mul_f64 v[108:109], v[98:99], v[54:55]
	s_waitcnt vmcnt(52)
	v_fmac_f64_e32 v[108:109], v[100:101], v[56:57]
	v_add_f64 v[110:111], v[106:107], v[108:109]
	ds_read_b128 v[106:109], v1 offset:1648
	s_waitcnt lgkmcnt(1)
	v_mul_f64 v[112:113], v[102:103], v[50:51]
	v_fmac_f64_e32 v[112:113], v[104:105], v[52:53]
	v_add_f64 v[114:115], v[110:111], v[112:113]
	ds_read_b128 v[110:113], v1 offset:1664
	s_waitcnt vmcnt(46) lgkmcnt(1)
	v_mul_f64 v[116:117], v[106:107], v[62:63]
	s_waitcnt vmcnt(44)
	v_fmac_f64_e32 v[116:117], v[108:109], v[64:65]
	v_add_f64 v[118:119], v[114:115], v[116:117]
	ds_read_b128 v[114:117], v1 offset:1680
	s_waitcnt lgkmcnt(1)
	v_mul_f64 v[120:121], v[110:111], v[58:59]
	v_fmac_f64_e32 v[120:121], v[112:113], v[60:61]
	v_add_f64 v[14:15], v[14:15], 0
	v_fma_f64 v[10:11], v[10:11], v[24:25], -v[12:13]
	v_mul_f64 v[8:9], v[8:9], v[32:33]
	v_add_f64 v[122:123], v[118:119], v[120:121]
	ds_read_b128 v[118:121], v1 offset:1696
	v_add_f64 v[10:11], v[14:15], v[10:11]
	v_fma_f64 v[6:7], v[6:7], v[26:27], -v[8:9]
	v_mul_f64 v[4:5], v[4:5], v[38:39]
	v_add_f64 v[6:7], v[10:11], v[6:7]
	v_fma_f64 v[2:3], v[2:3], v[40:41], -v[4:5]
	v_mul_f64 v[4:5], v[88:89], v[34:35]
	v_add_f64 v[2:3], v[6:7], v[2:3]
	v_fma_f64 v[4:5], v[86:87], v[36:37], -v[4:5]
	s_waitcnt vmcnt(38) lgkmcnt(1)
	v_mul_f64 v[124:125], v[114:115], v[70:71]
	v_add_f64 v[2:3], v[2:3], v[4:5]
	v_mul_f64 v[4:5], v[92:93], v[46:47]
	s_waitcnt vmcnt(36)
	v_fmac_f64_e32 v[124:125], v[116:117], v[72:73]
	v_fma_f64 v[4:5], v[90:91], v[48:49], -v[4:5]
	v_add_f64 v[126:127], v[122:123], v[124:125]
	ds_read_b128 v[122:125], v1 offset:1712
	s_waitcnt lgkmcnt(1)
	v_mul_f64 v[128:129], v[118:119], v[66:67]
	v_add_f64 v[2:3], v[2:3], v[4:5]
	v_mul_f64 v[4:5], v[96:97], v[42:43]
	v_fmac_f64_e32 v[128:129], v[120:121], v[68:69]
	v_fma_f64 v[4:5], v[94:95], v[44:45], -v[4:5]
	v_add_f64 v[130:131], v[126:127], v[128:129]
	ds_read_b128 v[126:129], v1 offset:1728
	v_add_f64 v[2:3], v[2:3], v[4:5]
	v_mul_f64 v[4:5], v[100:101], v[54:55]
	v_fma_f64 v[4:5], v[98:99], v[56:57], -v[4:5]
	v_add_f64 v[2:3], v[2:3], v[4:5]
	v_mul_f64 v[4:5], v[104:105], v[50:51]
	s_waitcnt vmcnt(30) lgkmcnt(1)
	v_mul_f64 v[132:133], v[122:123], v[78:79]
	v_fma_f64 v[4:5], v[102:103], v[52:53], -v[4:5]
	s_waitcnt vmcnt(28)
	v_fmac_f64_e32 v[132:133], v[124:125], v[80:81]
	v_add_f64 v[2:3], v[2:3], v[4:5]
	v_mul_f64 v[4:5], v[108:109], v[62:63]
	v_add_f64 v[134:135], v[130:131], v[132:133]
	ds_read_b128 v[130:133], v1 offset:1744
	s_waitcnt lgkmcnt(1)
	v_mul_f64 v[136:137], v[126:127], v[74:75]
	v_fma_f64 v[4:5], v[106:107], v[64:65], -v[4:5]
	v_fmac_f64_e32 v[136:137], v[128:129], v[76:77]
	v_add_f64 v[2:3], v[2:3], v[4:5]
	v_mul_f64 v[4:5], v[112:113], v[58:59]
	v_add_f64 v[138:139], v[134:135], v[136:137]
	ds_read_b128 v[134:137], v1 offset:1760
	v_fma_f64 v[4:5], v[110:111], v[60:61], -v[4:5]
	v_add_f64 v[2:3], v[2:3], v[4:5]
	v_mul_f64 v[4:5], v[116:117], v[70:71]
	v_fma_f64 v[4:5], v[114:115], v[72:73], -v[4:5]
	s_waitcnt vmcnt(22) lgkmcnt(1)
	v_mul_f64 v[140:141], v[130:131], v[158:159]
	v_add_f64 v[2:3], v[2:3], v[4:5]
	v_mul_f64 v[4:5], v[120:121], v[66:67]
	s_waitcnt vmcnt(20)
	v_fmac_f64_e32 v[140:141], v[132:133], v[160:161]
	v_fma_f64 v[4:5], v[118:119], v[68:69], -v[4:5]
	v_add_f64 v[142:143], v[138:139], v[140:141]
	ds_read_b128 v[138:141], v1 offset:1776
	s_waitcnt lgkmcnt(1)
	v_mul_f64 v[144:145], v[134:135], v[82:83]
	v_add_f64 v[2:3], v[2:3], v[4:5]
	v_mul_f64 v[4:5], v[124:125], v[78:79]
	v_fmac_f64_e32 v[144:145], v[136:137], v[84:85]
	v_fma_f64 v[4:5], v[122:123], v[80:81], -v[4:5]
	v_add_f64 v[146:147], v[142:143], v[144:145]
	ds_read_b128 v[142:145], v1 offset:1792
	v_add_f64 v[2:3], v[2:3], v[4:5]
	v_mul_f64 v[4:5], v[128:129], v[74:75]
	v_fma_f64 v[4:5], v[126:127], v[76:77], -v[4:5]
	v_add_f64 v[2:3], v[2:3], v[4:5]
	v_mul_f64 v[4:5], v[132:133], v[158:159]
	s_waitcnt vmcnt(14) lgkmcnt(1)
	v_mul_f64 v[148:149], v[138:139], v[166:167]
	v_fma_f64 v[4:5], v[130:131], v[160:161], -v[4:5]
	s_waitcnt vmcnt(12)
	v_fmac_f64_e32 v[148:149], v[140:141], v[168:169]
	v_add_f64 v[2:3], v[2:3], v[4:5]
	v_mul_f64 v[4:5], v[136:137], v[82:83]
	v_add_f64 v[150:151], v[146:147], v[148:149]
	ds_read_b128 v[146:149], v1 offset:1808
	s_waitcnt lgkmcnt(1)
	v_mul_f64 v[152:153], v[142:143], v[162:163]
	v_fma_f64 v[4:5], v[134:135], v[84:85], -v[4:5]
	v_fmac_f64_e32 v[152:153], v[144:145], v[164:165]
	v_add_f64 v[2:3], v[2:3], v[4:5]
	v_mul_f64 v[4:5], v[140:141], v[166:167]
	v_add_f64 v[182:183], v[150:151], v[152:153]
	ds_read_b128 v[150:153], v1 offset:1824
	ds_read_b128 v[154:157], v1 offset:1840
	v_fma_f64 v[4:5], v[138:139], v[168:169], -v[4:5]
	v_add_f64 v[2:3], v[2:3], v[4:5]
	v_mul_f64 v[4:5], v[144:145], v[162:163]
	v_fma_f64 v[4:5], v[142:143], v[164:165], -v[4:5]
	v_add_f64 v[2:3], v[2:3], v[4:5]
	s_waitcnt vmcnt(6) lgkmcnt(2)
	v_mul_f64 v[4:5], v[148:149], v[174:175]
	v_mul_f64 v[184:185], v[146:147], v[174:175]
	s_waitcnt vmcnt(4)
	v_fma_f64 v[4:5], v[146:147], v[176:177], -v[4:5]
	v_fmac_f64_e32 v[184:185], v[148:149], v[176:177]
	v_add_f64 v[2:3], v[2:3], v[4:5]
	s_waitcnt lgkmcnt(1)
	v_mul_f64 v[4:5], v[152:153], v[170:171]
	v_add_f64 v[182:183], v[182:183], v[184:185]
	v_mul_f64 v[184:185], v[150:151], v[170:171]
	v_fma_f64 v[4:5], v[150:151], v[172:173], -v[4:5]
	v_fmac_f64_e32 v[184:185], v[152:153], v[172:173]
	v_add_f64 v[2:3], v[2:3], v[4:5]
	s_waitcnt vmcnt(2) lgkmcnt(0)
	v_mul_f64 v[4:5], v[156:157], v[178:179]
	v_add_f64 v[182:183], v[182:183], v[184:185]
	v_mul_f64 v[184:185], v[154:155], v[178:179]
	s_waitcnt vmcnt(0)
	v_fma_f64 v[4:5], v[154:155], v[180:181], -v[4:5]
	v_fmac_f64_e32 v[184:185], v[156:157], v[180:181]
	v_add_f64 v[2:3], v[2:3], v[4:5]
	v_add_f64 v[182:183], v[182:183], v[184:185]
	v_add_f64 v[2:3], v[20:21], -v[2:3]
	v_cmp_lt_u32_e32 vcc, 34, v0
	v_add_f64 v[4:5], v[18:19], -v[182:183]
	buffer_store_dword v3, off, s[0:3], 0 offset:580
	buffer_store_dword v2, off, s[0:3], 0 offset:576
	;; [unrolled: 1-line block ×4, first 2 shown]
	s_and_saveexec_b64 s[4:5], vcc
	s_cbranch_execz .LBB57_293
; %bb.292:
	v_accvgpr_read_b32 v1, a139
	buffer_load_dword v2, v1, s[0:3], 0 offen
	buffer_load_dword v3, v1, s[0:3], 0 offen offset:4
	buffer_load_dword v4, v1, s[0:3], 0 offen offset:8
	;; [unrolled: 1-line block ×3, first 2 shown]
	v_mov_b32_e32 v1, 0
	v_accvgpr_read_b32 v6, a173
	buffer_store_dword v1, off, s[0:3], 0 offset:560
	buffer_store_dword v1, off, s[0:3], 0 offset:564
	;; [unrolled: 1-line block ×4, first 2 shown]
	s_waitcnt vmcnt(4)
	ds_write_b128 v6, v[2:5]
.LBB57_293:
	s_or_b64 exec, exec, s[4:5]
	s_waitcnt lgkmcnt(0)
	; wave barrier
	s_waitcnt lgkmcnt(0)
	buffer_load_dword v9, off, s[0:3], 0 offset:588
	buffer_load_dword v6, off, s[0:3], 0 offset:600
	;; [unrolled: 1-line block ×64, first 2 shown]
	v_mov_b32_e32 v1, 0
	ds_read_b128 v[74:77], v1 offset:1488
	ds_read_b128 v[78:81], v1 offset:1504
	buffer_load_dword v67, off, s[0:3], 0 offset:844
	buffer_load_dword v66, off, s[0:3], 0 offset:840
	;; [unrolled: 1-line block ×8, first 2 shown]
	ds_read_b128 v[82:85], v1 offset:1520
	ds_read_b128 v[86:89], v1 offset:1536
	buffer_load_dword v167, off, s[0:3], 0 offset:876
	buffer_load_dword v166, off, s[0:3], 0 offset:872
	;; [unrolled: 1-line block ×24, first 2 shown]
	ds_read_b128 v[162:165], v1 offset:1840
	v_cmp_lt_u32_e32 vcc, 33, v0
	s_waitcnt vmcnt(62) lgkmcnt(1)
	v_mul_f64 v[96:97], v[86:87], v[22:23]
	v_fmac_f64_e32 v[96:97], v[88:89], v[24:25]
	v_mul_f64 v[92:93], v[78:79], v[6:7]
	v_mul_f64 v[90:91], v[74:75], v[8:9]
	;; [unrolled: 1-line block ×3, first 2 shown]
	v_fmac_f64_e32 v[90:91], v[76:77], v[10:11]
	v_add_f64 v[90:91], v[90:91], 0
	v_fma_f64 v[8:9], v[74:75], v[10:11], -v[8:9]
	v_mul_f64 v[6:7], v[80:81], v[6:7]
	v_add_f64 v[8:9], v[8:9], 0
	v_fmac_f64_e32 v[92:93], v[80:81], v[14:15]
	v_add_f64 v[90:91], v[90:91], v[92:93]
	v_mul_f64 v[92:93], v[82:83], v[16:17]
	v_fmac_f64_e32 v[92:93], v[84:85], v[12:13]
	v_add_f64 v[94:95], v[90:91], v[92:93]
	ds_read_b128 v[90:93], v1 offset:1552
	v_add_f64 v[98:99], v[94:95], v[96:97]
	ds_read_b128 v[94:97], v1 offset:1568
	v_fma_f64 v[6:7], v[78:79], v[14:15], -v[6:7]
	v_add_f64 v[6:7], v[8:9], v[6:7]
	s_waitcnt lgkmcnt(1)
	v_mul_f64 v[100:101], v[90:91], v[18:19]
	v_fmac_f64_e32 v[100:101], v[92:93], v[20:21]
	v_add_f64 v[102:103], v[98:99], v[100:101]
	ds_read_b128 v[98:101], v1 offset:1584
	s_waitcnt lgkmcnt(1)
	v_mul_f64 v[104:105], v[94:95], v[30:31]
	v_fmac_f64_e32 v[104:105], v[96:97], v[32:33]
	v_add_f64 v[106:107], v[102:103], v[104:105]
	ds_read_b128 v[102:105], v1 offset:1600
	s_waitcnt lgkmcnt(1)
	v_mul_f64 v[108:109], v[98:99], v[26:27]
	v_fmac_f64_e32 v[108:109], v[100:101], v[28:29]
	v_add_f64 v[110:111], v[106:107], v[108:109]
	ds_read_b128 v[106:109], v1 offset:1616
	s_waitcnt vmcnt(58) lgkmcnt(1)
	v_mul_f64 v[112:113], v[102:103], v[38:39]
	s_waitcnt vmcnt(56)
	v_fmac_f64_e32 v[112:113], v[104:105], v[40:41]
	v_add_f64 v[114:115], v[110:111], v[112:113]
	ds_read_b128 v[110:113], v1 offset:1632
	s_waitcnt lgkmcnt(1)
	v_mul_f64 v[116:117], v[106:107], v[34:35]
	v_fmac_f64_e32 v[116:117], v[108:109], v[36:37]
	v_add_f64 v[118:119], v[114:115], v[116:117]
	ds_read_b128 v[114:117], v1 offset:1648
	s_waitcnt vmcnt(50) lgkmcnt(1)
	v_mul_f64 v[120:121], v[110:111], v[46:47]
	s_waitcnt vmcnt(48)
	v_fmac_f64_e32 v[120:121], v[112:113], v[48:49]
	v_add_f64 v[122:123], v[118:119], v[120:121]
	ds_read_b128 v[118:121], v1 offset:1664
	v_mul_f64 v[8:9], v[84:85], v[16:17]
	s_waitcnt lgkmcnt(1)
	v_mul_f64 v[124:125], v[114:115], v[42:43]
	v_fma_f64 v[8:9], v[82:83], v[12:13], -v[8:9]
	v_fmac_f64_e32 v[124:125], v[116:117], v[44:45]
	v_add_f64 v[6:7], v[6:7], v[8:9]
	v_mul_f64 v[8:9], v[88:89], v[22:23]
	v_add_f64 v[126:127], v[122:123], v[124:125]
	ds_read_b128 v[122:125], v1 offset:1680
	s_waitcnt vmcnt(42) lgkmcnt(1)
	v_mul_f64 v[128:129], v[118:119], v[54:55]
	v_fma_f64 v[8:9], v[86:87], v[24:25], -v[8:9]
	s_waitcnt vmcnt(40)
	v_fmac_f64_e32 v[128:129], v[120:121], v[56:57]
	v_add_f64 v[6:7], v[6:7], v[8:9]
	v_mul_f64 v[8:9], v[92:93], v[18:19]
	v_add_f64 v[130:131], v[126:127], v[128:129]
	ds_read_b128 v[126:129], v1 offset:1696
	v_fma_f64 v[8:9], v[90:91], v[20:21], -v[8:9]
	v_add_f64 v[6:7], v[6:7], v[8:9]
	v_mul_f64 v[8:9], v[96:97], v[30:31]
	v_fma_f64 v[8:9], v[94:95], v[32:33], -v[8:9]
	s_waitcnt lgkmcnt(1)
	v_mul_f64 v[132:133], v[122:123], v[50:51]
	v_add_f64 v[6:7], v[6:7], v[8:9]
	v_mul_f64 v[8:9], v[100:101], v[26:27]
	v_fmac_f64_e32 v[132:133], v[124:125], v[52:53]
	v_fma_f64 v[8:9], v[98:99], v[28:29], -v[8:9]
	v_add_f64 v[134:135], v[130:131], v[132:133]
	ds_read_b128 v[130:133], v1 offset:1712
	s_waitcnt vmcnt(34) lgkmcnt(1)
	v_mul_f64 v[136:137], v[126:127], v[62:63]
	v_add_f64 v[6:7], v[6:7], v[8:9]
	v_mul_f64 v[8:9], v[104:105], v[38:39]
	s_waitcnt vmcnt(32)
	v_fmac_f64_e32 v[136:137], v[128:129], v[64:65]
	v_fma_f64 v[8:9], v[102:103], v[40:41], -v[8:9]
	v_add_f64 v[138:139], v[134:135], v[136:137]
	ds_read_b128 v[134:137], v1 offset:1728
	v_add_f64 v[6:7], v[6:7], v[8:9]
	v_mul_f64 v[8:9], v[108:109], v[34:35]
	v_fma_f64 v[8:9], v[106:107], v[36:37], -v[8:9]
	v_add_f64 v[6:7], v[6:7], v[8:9]
	v_mul_f64 v[8:9], v[112:113], v[46:47]
	s_waitcnt lgkmcnt(1)
	v_mul_f64 v[140:141], v[130:131], v[58:59]
	v_fma_f64 v[8:9], v[110:111], v[48:49], -v[8:9]
	v_fmac_f64_e32 v[140:141], v[132:133], v[60:61]
	v_add_f64 v[6:7], v[6:7], v[8:9]
	v_mul_f64 v[8:9], v[116:117], v[42:43]
	v_add_f64 v[142:143], v[138:139], v[140:141]
	ds_read_b128 v[138:141], v1 offset:1744
	s_waitcnt vmcnt(26) lgkmcnt(1)
	v_mul_f64 v[144:145], v[134:135], v[70:71]
	v_fma_f64 v[8:9], v[114:115], v[44:45], -v[8:9]
	s_waitcnt vmcnt(24)
	v_fmac_f64_e32 v[144:145], v[136:137], v[72:73]
	v_add_f64 v[6:7], v[6:7], v[8:9]
	v_mul_f64 v[8:9], v[120:121], v[54:55]
	v_add_f64 v[146:147], v[142:143], v[144:145]
	ds_read_b128 v[142:145], v1 offset:1760
	v_fma_f64 v[8:9], v[118:119], v[56:57], -v[8:9]
	v_add_f64 v[6:7], v[6:7], v[8:9]
	v_mul_f64 v[8:9], v[124:125], v[50:51]
	v_fma_f64 v[8:9], v[122:123], v[52:53], -v[8:9]
	s_waitcnt lgkmcnt(1)
	v_mul_f64 v[148:149], v[138:139], v[66:67]
	v_add_f64 v[6:7], v[6:7], v[8:9]
	v_mul_f64 v[8:9], v[128:129], v[62:63]
	v_fmac_f64_e32 v[148:149], v[140:141], v[68:69]
	v_fma_f64 v[8:9], v[126:127], v[64:65], -v[8:9]
	v_add_f64 v[150:151], v[146:147], v[148:149]
	ds_read_b128 v[146:149], v1 offset:1776
	s_waitcnt vmcnt(18) lgkmcnt(1)
	v_mul_f64 v[152:153], v[142:143], v[170:171]
	v_add_f64 v[6:7], v[6:7], v[8:9]
	v_mul_f64 v[8:9], v[132:133], v[58:59]
	s_waitcnt vmcnt(16)
	v_fmac_f64_e32 v[152:153], v[144:145], v[172:173]
	v_fma_f64 v[8:9], v[130:131], v[60:61], -v[8:9]
	v_add_f64 v[154:155], v[150:151], v[152:153]
	ds_read_b128 v[150:153], v1 offset:1792
	v_add_f64 v[6:7], v[6:7], v[8:9]
	v_mul_f64 v[8:9], v[136:137], v[70:71]
	v_fma_f64 v[8:9], v[134:135], v[72:73], -v[8:9]
	v_add_f64 v[6:7], v[6:7], v[8:9]
	v_mul_f64 v[8:9], v[140:141], v[66:67]
	s_waitcnt lgkmcnt(1)
	v_mul_f64 v[156:157], v[146:147], v[166:167]
	v_fma_f64 v[8:9], v[138:139], v[68:69], -v[8:9]
	v_fmac_f64_e32 v[156:157], v[148:149], v[168:169]
	v_add_f64 v[6:7], v[6:7], v[8:9]
	v_mul_f64 v[8:9], v[144:145], v[170:171]
	v_add_f64 v[158:159], v[154:155], v[156:157]
	ds_read_b128 v[154:157], v1 offset:1808
	s_waitcnt vmcnt(10) lgkmcnt(1)
	v_mul_f64 v[160:161], v[150:151], v[178:179]
	v_fma_f64 v[8:9], v[142:143], v[172:173], -v[8:9]
	s_waitcnt vmcnt(8)
	v_fmac_f64_e32 v[160:161], v[152:153], v[180:181]
	v_add_f64 v[6:7], v[6:7], v[8:9]
	v_mul_f64 v[8:9], v[148:149], v[166:167]
	v_add_f64 v[190:191], v[158:159], v[160:161]
	ds_read_b128 v[158:161], v1 offset:1824
	v_fma_f64 v[8:9], v[146:147], v[168:169], -v[8:9]
	v_add_f64 v[6:7], v[6:7], v[8:9]
	v_mul_f64 v[8:9], v[152:153], v[178:179]
	v_fma_f64 v[8:9], v[150:151], v[180:181], -v[8:9]
	v_add_f64 v[6:7], v[6:7], v[8:9]
	s_waitcnt lgkmcnt(1)
	v_mul_f64 v[8:9], v[156:157], v[174:175]
	v_mul_f64 v[192:193], v[154:155], v[174:175]
	v_fma_f64 v[8:9], v[154:155], v[176:177], -v[8:9]
	v_fmac_f64_e32 v[192:193], v[156:157], v[176:177]
	v_add_f64 v[6:7], v[6:7], v[8:9]
	s_waitcnt vmcnt(2) lgkmcnt(0)
	v_mul_f64 v[8:9], v[160:161], v[186:187]
	v_add_f64 v[190:191], v[190:191], v[192:193]
	v_mul_f64 v[192:193], v[158:159], v[186:187]
	s_waitcnt vmcnt(0)
	v_fma_f64 v[8:9], v[158:159], v[188:189], -v[8:9]
	v_fmac_f64_e32 v[192:193], v[160:161], v[188:189]
	v_add_f64 v[6:7], v[6:7], v[8:9]
	v_mul_f64 v[8:9], v[164:165], v[182:183]
	v_add_f64 v[190:191], v[190:191], v[192:193]
	v_mul_f64 v[192:193], v[162:163], v[182:183]
	v_fma_f64 v[8:9], v[162:163], v[184:185], -v[8:9]
	v_fmac_f64_e32 v[192:193], v[164:165], v[184:185]
	v_add_f64 v[6:7], v[6:7], v[8:9]
	v_add_f64 v[190:191], v[190:191], v[192:193]
	v_add_f64 v[4:5], v[4:5], -v[6:7]
	v_add_f64 v[2:3], v[2:3], -v[190:191]
	buffer_store_dword v5, off, s[0:3], 0 offset:564
	buffer_store_dword v4, off, s[0:3], 0 offset:560
	;; [unrolled: 1-line block ×4, first 2 shown]
	s_and_saveexec_b64 s[4:5], vcc
	s_cbranch_execz .LBB57_295
; %bb.294:
	v_accvgpr_read_b32 v5, a140
	buffer_load_dword v2, v5, s[0:3], 0 offen
	buffer_load_dword v3, v5, s[0:3], 0 offen offset:4
	buffer_load_dword v4, v5, s[0:3], 0 offen offset:8
	s_nop 0
	buffer_load_dword v5, v5, s[0:3], 0 offen offset:12
	v_accvgpr_read_b32 v6, a173
	buffer_store_dword v1, off, s[0:3], 0 offset:544
	buffer_store_dword v1, off, s[0:3], 0 offset:548
	;; [unrolled: 1-line block ×4, first 2 shown]
	s_waitcnt vmcnt(4)
	ds_write_b128 v6, v[2:5]
.LBB57_295:
	s_or_b64 exec, exec, s[4:5]
	s_waitcnt lgkmcnt(0)
	; wave barrier
	s_waitcnt lgkmcnt(0)
	buffer_load_dword v22, off, s[0:3], 0 offset:560
	buffer_load_dword v23, off, s[0:3], 0 offset:564
	;; [unrolled: 1-line block ×16, first 2 shown]
	ds_read_b128 v[2:5], v1 offset:1472
	ds_read_b128 v[6:9], v1 offset:1488
	;; [unrolled: 1-line block ×4, first 2 shown]
	buffer_load_dword v35, off, s[0:3], 0 offset:636
	buffer_load_dword v34, off, s[0:3], 0 offset:632
	;; [unrolled: 1-line block ×48, first 2 shown]
	v_cmp_lt_u32_e32 vcc, 32, v0
	s_waitcnt vmcnt(42) lgkmcnt(0)
	v_mul_f64 v[104:105], v[14:15], v[38:39]
	s_waitcnt vmcnt(40)
	v_fmac_f64_e32 v[104:105], v[16:17], v[40:41]
	v_mul_f64 v[82:83], v[2:3], v[24:25]
	v_fmac_f64_e32 v[82:83], v[4:5], v[22:23]
	v_add_f64 v[82:83], v[82:83], 0
	v_mul_f64 v[4:5], v[4:5], v[24:25]
	v_mul_f64 v[84:85], v[6:7], v[32:33]
	v_fma_f64 v[2:3], v[2:3], v[22:23], -v[4:5]
	v_mul_f64 v[98:99], v[10:11], v[26:27]
	v_fmac_f64_e32 v[98:99], v[12:13], v[30:31]
	v_fmac_f64_e32 v[84:85], v[8:9], v[28:29]
	v_add_f64 v[100:101], v[82:83], v[84:85]
	buffer_load_dword v83, off, s[0:3], 0 offset:828
	buffer_load_dword v82, off, s[0:3], 0 offset:824
	;; [unrolled: 1-line block ×32, first 2 shown]
	v_add_f64 v[102:103], v[100:101], v[98:99]
	ds_read_b128 v[98:101], v1 offset:1536
	buffer_load_dword v195, off, s[0:3], 0 offset:940
	buffer_load_dword v194, off, s[0:3], 0 offset:936
	buffer_load_dword v197, off, s[0:3], 0 offset:932
	buffer_load_dword v196, off, s[0:3], 0 offset:928
	v_add_f64 v[106:107], v[102:103], v[104:105]
	ds_read_b128 v[102:105], v1 offset:1552
	v_mul_f64 v[4:5], v[8:9], v[32:33]
	s_waitcnt lgkmcnt(1)
	v_mul_f64 v[108:109], v[98:99], v[34:35]
	v_fmac_f64_e32 v[108:109], v[100:101], v[36:37]
	v_add_f64 v[110:111], v[106:107], v[108:109]
	ds_read_b128 v[106:109], v1 offset:1568
	s_waitcnt vmcnt(62) lgkmcnt(1)
	v_mul_f64 v[112:113], v[102:103], v[46:47]
	v_fmac_f64_e32 v[112:113], v[104:105], v[48:49]
	v_add_f64 v[114:115], v[110:111], v[112:113]
	ds_read_b128 v[110:113], v1 offset:1584
	s_waitcnt lgkmcnt(1)
	v_mul_f64 v[116:117], v[106:107], v[42:43]
	v_fmac_f64_e32 v[116:117], v[108:109], v[44:45]
	v_add_f64 v[118:119], v[114:115], v[116:117]
	ds_read_b128 v[114:117], v1 offset:1600
	s_waitcnt lgkmcnt(1)
	v_mul_f64 v[120:121], v[110:111], v[54:55]
	s_waitcnt vmcnt(60)
	v_fmac_f64_e32 v[120:121], v[112:113], v[56:57]
	v_add_f64 v[122:123], v[118:119], v[120:121]
	ds_read_b128 v[118:121], v1 offset:1616
	s_waitcnt lgkmcnt(1)
	v_mul_f64 v[124:125], v[114:115], v[50:51]
	v_fmac_f64_e32 v[124:125], v[116:117], v[52:53]
	v_add_f64 v[126:127], v[122:123], v[124:125]
	ds_read_b128 v[122:125], v1 offset:1632
	s_waitcnt vmcnt(54) lgkmcnt(1)
	v_mul_f64 v[128:129], v[118:119], v[62:63]
	s_waitcnt vmcnt(52)
	v_fmac_f64_e32 v[128:129], v[120:121], v[64:65]
	v_add_f64 v[130:131], v[126:127], v[128:129]
	ds_read_b128 v[126:129], v1 offset:1648
	s_waitcnt lgkmcnt(1)
	v_mul_f64 v[132:133], v[122:123], v[58:59]
	v_fmac_f64_e32 v[132:133], v[124:125], v[60:61]
	v_add_f64 v[2:3], v[2:3], 0
	v_fma_f64 v[4:5], v[6:7], v[28:29], -v[4:5]
	v_add_f64 v[134:135], v[130:131], v[132:133]
	ds_read_b128 v[130:133], v1 offset:1664
	v_add_f64 v[2:3], v[2:3], v[4:5]
	v_mul_f64 v[4:5], v[12:13], v[26:27]
	v_fma_f64 v[4:5], v[10:11], v[30:31], -v[4:5]
	v_add_f64 v[2:3], v[2:3], v[4:5]
	v_mul_f64 v[4:5], v[16:17], v[38:39]
	s_waitcnt vmcnt(46) lgkmcnt(1)
	v_mul_f64 v[136:137], v[126:127], v[70:71]
	v_fma_f64 v[4:5], v[14:15], v[40:41], -v[4:5]
	s_waitcnt vmcnt(44)
	v_fmac_f64_e32 v[136:137], v[128:129], v[72:73]
	v_add_f64 v[2:3], v[2:3], v[4:5]
	v_mul_f64 v[4:5], v[100:101], v[34:35]
	v_add_f64 v[138:139], v[134:135], v[136:137]
	ds_read_b128 v[134:137], v1 offset:1680
	s_waitcnt lgkmcnt(1)
	v_mul_f64 v[140:141], v[130:131], v[66:67]
	v_fma_f64 v[4:5], v[98:99], v[36:37], -v[4:5]
	v_fmac_f64_e32 v[140:141], v[132:133], v[68:69]
	v_add_f64 v[2:3], v[2:3], v[4:5]
	v_mul_f64 v[4:5], v[104:105], v[46:47]
	v_add_f64 v[142:143], v[138:139], v[140:141]
	ds_read_b128 v[138:141], v1 offset:1696
	v_fma_f64 v[4:5], v[102:103], v[48:49], -v[4:5]
	v_add_f64 v[2:3], v[2:3], v[4:5]
	v_mul_f64 v[4:5], v[108:109], v[42:43]
	v_fma_f64 v[4:5], v[106:107], v[44:45], -v[4:5]
	s_waitcnt vmcnt(38) lgkmcnt(1)
	v_mul_f64 v[144:145], v[134:135], v[78:79]
	v_add_f64 v[2:3], v[2:3], v[4:5]
	v_mul_f64 v[4:5], v[112:113], v[54:55]
	s_waitcnt vmcnt(36)
	v_fmac_f64_e32 v[144:145], v[136:137], v[80:81]
	v_fma_f64 v[4:5], v[110:111], v[56:57], -v[4:5]
	v_add_f64 v[146:147], v[142:143], v[144:145]
	ds_read_b128 v[142:145], v1 offset:1712
	s_waitcnt lgkmcnt(1)
	v_mul_f64 v[148:149], v[138:139], v[74:75]
	v_add_f64 v[2:3], v[2:3], v[4:5]
	v_mul_f64 v[4:5], v[116:117], v[50:51]
	v_fmac_f64_e32 v[148:149], v[140:141], v[76:77]
	v_fma_f64 v[4:5], v[114:115], v[52:53], -v[4:5]
	v_add_f64 v[150:151], v[146:147], v[148:149]
	ds_read_b128 v[146:149], v1 offset:1728
	v_add_f64 v[2:3], v[2:3], v[4:5]
	v_mul_f64 v[4:5], v[120:121], v[62:63]
	v_fma_f64 v[4:5], v[118:119], v[64:65], -v[4:5]
	v_add_f64 v[2:3], v[2:3], v[4:5]
	v_mul_f64 v[4:5], v[124:125], v[58:59]
	s_waitcnt vmcnt(30) lgkmcnt(1)
	v_mul_f64 v[152:153], v[142:143], v[86:87]
	v_fma_f64 v[4:5], v[122:123], v[60:61], -v[4:5]
	s_waitcnt vmcnt(28)
	v_fmac_f64_e32 v[152:153], v[144:145], v[88:89]
	v_add_f64 v[2:3], v[2:3], v[4:5]
	v_mul_f64 v[4:5], v[128:129], v[70:71]
	v_add_f64 v[154:155], v[150:151], v[152:153]
	ds_read_b128 v[150:153], v1 offset:1744
	s_waitcnt lgkmcnt(1)
	v_mul_f64 v[156:157], v[146:147], v[82:83]
	v_fma_f64 v[4:5], v[126:127], v[72:73], -v[4:5]
	v_fmac_f64_e32 v[156:157], v[148:149], v[84:85]
	v_add_f64 v[2:3], v[2:3], v[4:5]
	v_mul_f64 v[4:5], v[132:133], v[66:67]
	v_add_f64 v[158:159], v[154:155], v[156:157]
	ds_read_b128 v[154:157], v1 offset:1760
	v_fma_f64 v[4:5], v[130:131], v[68:69], -v[4:5]
	v_add_f64 v[2:3], v[2:3], v[4:5]
	v_mul_f64 v[4:5], v[136:137], v[78:79]
	v_fma_f64 v[4:5], v[134:135], v[80:81], -v[4:5]
	s_waitcnt vmcnt(22) lgkmcnt(1)
	v_mul_f64 v[160:161], v[150:151], v[94:95]
	v_add_f64 v[2:3], v[2:3], v[4:5]
	v_mul_f64 v[4:5], v[140:141], v[74:75]
	s_waitcnt vmcnt(20)
	v_fmac_f64_e32 v[160:161], v[152:153], v[96:97]
	v_fma_f64 v[4:5], v[138:139], v[76:77], -v[4:5]
	v_add_f64 v[162:163], v[158:159], v[160:161]
	ds_read_b128 v[158:161], v1 offset:1776
	s_waitcnt lgkmcnt(1)
	v_mul_f64 v[164:165], v[154:155], v[90:91]
	v_add_f64 v[2:3], v[2:3], v[4:5]
	v_mul_f64 v[4:5], v[144:145], v[86:87]
	v_fmac_f64_e32 v[164:165], v[156:157], v[92:93]
	v_fma_f64 v[4:5], v[142:143], v[88:89], -v[4:5]
	v_add_f64 v[166:167], v[162:163], v[164:165]
	ds_read_b128 v[162:165], v1 offset:1792
	v_add_f64 v[2:3], v[2:3], v[4:5]
	v_mul_f64 v[4:5], v[148:149], v[82:83]
	v_fma_f64 v[4:5], v[146:147], v[84:85], -v[4:5]
	v_add_f64 v[2:3], v[2:3], v[4:5]
	v_mul_f64 v[4:5], v[152:153], v[94:95]
	s_waitcnt vmcnt(14) lgkmcnt(1)
	v_mul_f64 v[168:169], v[158:159], v[182:183]
	v_fma_f64 v[4:5], v[150:151], v[96:97], -v[4:5]
	s_waitcnt vmcnt(12)
	v_fmac_f64_e32 v[168:169], v[160:161], v[184:185]
	v_add_f64 v[2:3], v[2:3], v[4:5]
	v_mul_f64 v[4:5], v[156:157], v[90:91]
	v_add_f64 v[170:171], v[166:167], v[168:169]
	ds_read_b128 v[166:169], v1 offset:1808
	s_waitcnt lgkmcnt(1)
	v_mul_f64 v[172:173], v[162:163], v[178:179]
	v_fma_f64 v[4:5], v[154:155], v[92:93], -v[4:5]
	v_fmac_f64_e32 v[172:173], v[164:165], v[180:181]
	v_add_f64 v[2:3], v[2:3], v[4:5]
	v_mul_f64 v[4:5], v[160:161], v[182:183]
	v_add_f64 v[198:199], v[170:171], v[172:173]
	ds_read_b128 v[170:173], v1 offset:1824
	v_fma_f64 v[4:5], v[158:159], v[184:185], -v[4:5]
	v_add_f64 v[2:3], v[2:3], v[4:5]
	v_mul_f64 v[4:5], v[164:165], v[178:179]
	ds_read_b128 v[174:177], v1 offset:1840
	v_fma_f64 v[4:5], v[162:163], v[180:181], -v[4:5]
	v_add_f64 v[2:3], v[2:3], v[4:5]
	s_waitcnt vmcnt(6) lgkmcnt(2)
	v_mul_f64 v[4:5], v[168:169], v[190:191]
	v_mul_f64 v[200:201], v[166:167], v[190:191]
	s_waitcnt vmcnt(4)
	v_fma_f64 v[4:5], v[166:167], v[192:193], -v[4:5]
	v_fmac_f64_e32 v[200:201], v[168:169], v[192:193]
	v_add_f64 v[2:3], v[2:3], v[4:5]
	s_waitcnt lgkmcnt(1)
	v_mul_f64 v[4:5], v[172:173], v[186:187]
	v_add_f64 v[198:199], v[198:199], v[200:201]
	v_mul_f64 v[200:201], v[170:171], v[186:187]
	v_fma_f64 v[4:5], v[170:171], v[188:189], -v[4:5]
	v_fmac_f64_e32 v[200:201], v[172:173], v[188:189]
	v_add_f64 v[2:3], v[2:3], v[4:5]
	s_waitcnt vmcnt(2) lgkmcnt(0)
	v_mul_f64 v[4:5], v[176:177], v[194:195]
	v_add_f64 v[198:199], v[198:199], v[200:201]
	v_mul_f64 v[200:201], v[174:175], v[194:195]
	s_waitcnt vmcnt(0)
	v_fma_f64 v[4:5], v[174:175], v[196:197], -v[4:5]
	v_fmac_f64_e32 v[200:201], v[176:177], v[196:197]
	v_add_f64 v[2:3], v[2:3], v[4:5]
	v_add_f64 v[198:199], v[198:199], v[200:201]
	v_add_f64 v[2:3], v[20:21], -v[2:3]
	v_add_f64 v[4:5], v[18:19], -v[198:199]
	buffer_store_dword v3, off, s[0:3], 0 offset:548
	buffer_store_dword v2, off, s[0:3], 0 offset:544
	;; [unrolled: 1-line block ×4, first 2 shown]
	s_and_saveexec_b64 s[4:5], vcc
	s_cbranch_execz .LBB57_297
; %bb.296:
	v_accvgpr_read_b32 v1, a141
	buffer_load_dword v2, v1, s[0:3], 0 offen
	buffer_load_dword v3, v1, s[0:3], 0 offen offset:4
	buffer_load_dword v4, v1, s[0:3], 0 offen offset:8
	buffer_load_dword v5, v1, s[0:3], 0 offen offset:12
	v_mov_b32_e32 v1, 0
	v_accvgpr_read_b32 v6, a173
	buffer_store_dword v1, off, s[0:3], 0 offset:528
	buffer_store_dword v1, off, s[0:3], 0 offset:532
	;; [unrolled: 1-line block ×4, first 2 shown]
	s_waitcnt vmcnt(4)
	ds_write_b128 v6, v[2:5]
.LBB57_297:
	s_or_b64 exec, exec, s[4:5]
	s_waitcnt lgkmcnt(0)
	; wave barrier
	s_waitcnt lgkmcnt(0)
	buffer_load_dword v22, off, s[0:3], 0 offset:544
	buffer_load_dword v23, off, s[0:3], 0 offset:548
	;; [unrolled: 1-line block ×64, first 2 shown]
	v_mov_b32_e32 v1, 0
	ds_read_b128 v[18:21], v1 offset:1456
	ds_read_b128 v[14:17], v1 offset:1472
	ds_read_b128 v[10:13], v1 offset:1488
	ds_read_b128 v[6:9], v1 offset:1504
	ds_read_b128 v[2:5], v1 offset:1520
	v_cmp_lt_u32_e32 vcc, 31, v0
	s_waitcnt vmcnt(60) lgkmcnt(4)
	v_mul_f64 v[86:87], v[18:19], v[26:27]
	v_fmac_f64_e32 v[86:87], v[20:21], v[22:23]
	v_add_f64 v[86:87], v[86:87], 0
	v_mul_f64 v[20:21], v[20:21], v[26:27]
	s_waitcnt vmcnt(56) lgkmcnt(3)
	v_mul_f64 v[88:89], v[14:15], v[28:29]
	v_fmac_f64_e32 v[88:89], v[16:17], v[24:25]
	s_waitcnt vmcnt(54) lgkmcnt(2)
	v_mul_f64 v[90:91], v[10:11], v[30:31]
	v_add_f64 v[86:87], v[86:87], v[88:89]
	v_fma_f64 v[18:19], v[18:19], v[22:23], -v[20:21]
	v_mul_f64 v[16:17], v[16:17], v[28:29]
	s_waitcnt vmcnt(50) lgkmcnt(1)
	v_mul_f64 v[102:103], v[6:7], v[40:41]
	v_add_f64 v[18:19], v[18:19], 0
	s_waitcnt vmcnt(48)
	v_fmac_f64_e32 v[90:91], v[12:13], v[44:45]
	v_add_f64 v[104:105], v[86:87], v[90:91]
	buffer_load_dword v87, off, s[0:3], 0 offset:812
	buffer_load_dword v86, off, s[0:3], 0 offset:808
	;; [unrolled: 1-line block ×40, first 2 shown]
	s_waitcnt vmcnt(62)
	v_fmac_f64_e32 v[102:103], v[8:9], v[42:43]
	v_add_f64 v[106:107], v[104:105], v[102:103]
	ds_read_b128 v[102:105], v1 offset:1536
	s_waitcnt lgkmcnt(1)
	v_mul_f64 v[108:109], v[2:3], v[36:37]
	v_fmac_f64_e32 v[108:109], v[4:5], v[38:39]
	v_add_f64 v[110:111], v[106:107], v[108:109]
	ds_read_b128 v[106:109], v1 offset:1552
	s_waitcnt lgkmcnt(1)
	v_mul_f64 v[112:113], v[102:103], v[50:51]
	;; [unrolled: 5-line block ×5, first 2 shown]
	v_fmac_f64_e32 v[124:125], v[116:117], v[56:57]
	v_add_f64 v[126:127], v[122:123], v[124:125]
	ds_read_b128 v[122:125], v1 offset:1616
	s_waitcnt vmcnt(58) lgkmcnt(1)
	v_mul_f64 v[128:129], v[118:119], v[66:67]
	s_waitcnt vmcnt(56)
	v_fmac_f64_e32 v[128:129], v[120:121], v[68:69]
	v_add_f64 v[130:131], v[126:127], v[128:129]
	ds_read_b128 v[126:129], v1 offset:1632
	s_waitcnt lgkmcnt(1)
	v_mul_f64 v[132:133], v[122:123], v[62:63]
	v_fmac_f64_e32 v[132:133], v[124:125], v[64:65]
	v_add_f64 v[134:135], v[130:131], v[132:133]
	ds_read_b128 v[130:133], v1 offset:1648
	s_waitcnt vmcnt(50) lgkmcnt(1)
	v_mul_f64 v[136:137], v[126:127], v[74:75]
	s_waitcnt vmcnt(48)
	v_fmac_f64_e32 v[136:137], v[128:129], v[76:77]
	v_add_f64 v[138:139], v[134:135], v[136:137]
	ds_read_b128 v[134:137], v1 offset:1664
	v_fma_f64 v[14:15], v[14:15], v[24:25], -v[16:17]
	v_mul_f64 v[12:13], v[12:13], v[30:31]
	v_add_f64 v[14:15], v[18:19], v[14:15]
	v_fma_f64 v[10:11], v[10:11], v[44:45], -v[12:13]
	v_mul_f64 v[8:9], v[8:9], v[40:41]
	s_waitcnt lgkmcnt(1)
	v_mul_f64 v[140:141], v[130:131], v[70:71]
	v_add_f64 v[10:11], v[14:15], v[10:11]
	v_fma_f64 v[6:7], v[6:7], v[42:43], -v[8:9]
	v_mul_f64 v[4:5], v[4:5], v[36:37]
	v_fmac_f64_e32 v[140:141], v[132:133], v[72:73]
	v_add_f64 v[6:7], v[10:11], v[6:7]
	v_fma_f64 v[2:3], v[2:3], v[38:39], -v[4:5]
	v_mul_f64 v[4:5], v[104:105], v[50:51]
	v_add_f64 v[142:143], v[138:139], v[140:141]
	ds_read_b128 v[138:141], v1 offset:1680
	s_waitcnt vmcnt(42) lgkmcnt(1)
	v_mul_f64 v[144:145], v[134:135], v[82:83]
	v_add_f64 v[2:3], v[6:7], v[2:3]
	v_fma_f64 v[4:5], v[102:103], v[52:53], -v[4:5]
	s_waitcnt vmcnt(40)
	v_fmac_f64_e32 v[144:145], v[136:137], v[84:85]
	v_add_f64 v[2:3], v[2:3], v[4:5]
	v_mul_f64 v[4:5], v[108:109], v[46:47]
	v_add_f64 v[146:147], v[142:143], v[144:145]
	ds_read_b128 v[142:145], v1 offset:1696
	v_fma_f64 v[4:5], v[106:107], v[48:49], -v[4:5]
	v_add_f64 v[2:3], v[2:3], v[4:5]
	v_mul_f64 v[4:5], v[112:113], v[58:59]
	v_fma_f64 v[4:5], v[110:111], v[60:61], -v[4:5]
	s_waitcnt lgkmcnt(1)
	v_mul_f64 v[148:149], v[138:139], v[78:79]
	v_add_f64 v[2:3], v[2:3], v[4:5]
	v_mul_f64 v[4:5], v[116:117], v[54:55]
	v_fmac_f64_e32 v[148:149], v[140:141], v[80:81]
	v_fma_f64 v[4:5], v[114:115], v[56:57], -v[4:5]
	v_add_f64 v[150:151], v[146:147], v[148:149]
	ds_read_b128 v[146:149], v1 offset:1712
	s_waitcnt vmcnt(34) lgkmcnt(1)
	v_mul_f64 v[152:153], v[142:143], v[90:91]
	v_add_f64 v[2:3], v[2:3], v[4:5]
	v_mul_f64 v[4:5], v[120:121], v[66:67]
	s_waitcnt vmcnt(32)
	v_fmac_f64_e32 v[152:153], v[144:145], v[92:93]
	v_fma_f64 v[4:5], v[118:119], v[68:69], -v[4:5]
	v_add_f64 v[154:155], v[150:151], v[152:153]
	ds_read_b128 v[150:153], v1 offset:1728
	v_add_f64 v[2:3], v[2:3], v[4:5]
	v_mul_f64 v[4:5], v[124:125], v[62:63]
	v_fma_f64 v[4:5], v[122:123], v[64:65], -v[4:5]
	v_add_f64 v[2:3], v[2:3], v[4:5]
	v_mul_f64 v[4:5], v[128:129], v[74:75]
	s_waitcnt lgkmcnt(1)
	v_mul_f64 v[156:157], v[146:147], v[86:87]
	v_fma_f64 v[4:5], v[126:127], v[76:77], -v[4:5]
	v_fmac_f64_e32 v[156:157], v[148:149], v[88:89]
	v_add_f64 v[2:3], v[2:3], v[4:5]
	v_mul_f64 v[4:5], v[132:133], v[70:71]
	v_add_f64 v[158:159], v[154:155], v[156:157]
	ds_read_b128 v[154:157], v1 offset:1744
	s_waitcnt vmcnt(26) lgkmcnt(1)
	v_mul_f64 v[160:161], v[150:151], v[98:99]
	v_fma_f64 v[4:5], v[130:131], v[72:73], -v[4:5]
	s_waitcnt vmcnt(24)
	v_fmac_f64_e32 v[160:161], v[152:153], v[100:101]
	v_add_f64 v[2:3], v[2:3], v[4:5]
	v_mul_f64 v[4:5], v[136:137], v[82:83]
	v_add_f64 v[162:163], v[158:159], v[160:161]
	ds_read_b128 v[158:161], v1 offset:1760
	v_fma_f64 v[4:5], v[134:135], v[84:85], -v[4:5]
	v_add_f64 v[2:3], v[2:3], v[4:5]
	v_mul_f64 v[4:5], v[140:141], v[78:79]
	v_fma_f64 v[4:5], v[138:139], v[80:81], -v[4:5]
	s_waitcnt lgkmcnt(1)
	v_mul_f64 v[164:165], v[154:155], v[94:95]
	v_add_f64 v[2:3], v[2:3], v[4:5]
	v_mul_f64 v[4:5], v[144:145], v[90:91]
	v_fmac_f64_e32 v[164:165], v[156:157], v[96:97]
	v_fma_f64 v[4:5], v[142:143], v[92:93], -v[4:5]
	v_add_f64 v[166:167], v[162:163], v[164:165]
	ds_read_b128 v[162:165], v1 offset:1776
	s_waitcnt vmcnt(18) lgkmcnt(1)
	v_mul_f64 v[168:169], v[158:159], v[186:187]
	v_add_f64 v[2:3], v[2:3], v[4:5]
	v_mul_f64 v[4:5], v[148:149], v[86:87]
	s_waitcnt vmcnt(16)
	v_fmac_f64_e32 v[168:169], v[160:161], v[188:189]
	v_fma_f64 v[4:5], v[146:147], v[88:89], -v[4:5]
	v_add_f64 v[170:171], v[166:167], v[168:169]
	ds_read_b128 v[166:169], v1 offset:1792
	v_add_f64 v[2:3], v[2:3], v[4:5]
	v_mul_f64 v[4:5], v[152:153], v[98:99]
	v_fma_f64 v[4:5], v[150:151], v[100:101], -v[4:5]
	v_add_f64 v[2:3], v[2:3], v[4:5]
	v_mul_f64 v[4:5], v[156:157], v[94:95]
	s_waitcnt lgkmcnt(1)
	v_mul_f64 v[172:173], v[162:163], v[182:183]
	v_fma_f64 v[4:5], v[154:155], v[96:97], -v[4:5]
	v_fmac_f64_e32 v[172:173], v[164:165], v[184:185]
	v_add_f64 v[2:3], v[2:3], v[4:5]
	v_mul_f64 v[4:5], v[160:161], v[186:187]
	v_add_f64 v[174:175], v[170:171], v[172:173]
	ds_read_b128 v[170:173], v1 offset:1808
	s_waitcnt vmcnt(10) lgkmcnt(1)
	v_mul_f64 v[176:177], v[166:167], v[194:195]
	v_fma_f64 v[4:5], v[158:159], v[188:189], -v[4:5]
	s_waitcnt vmcnt(8)
	v_fmac_f64_e32 v[176:177], v[168:169], v[196:197]
	v_add_f64 v[2:3], v[2:3], v[4:5]
	v_mul_f64 v[4:5], v[164:165], v[182:183]
	v_add_f64 v[206:207], v[174:175], v[176:177]
	ds_read_b128 v[174:177], v1 offset:1824
	ds_read_b128 v[178:181], v1 offset:1840
	v_fma_f64 v[4:5], v[162:163], v[184:185], -v[4:5]
	v_add_f64 v[2:3], v[2:3], v[4:5]
	v_mul_f64 v[4:5], v[168:169], v[194:195]
	v_fma_f64 v[4:5], v[166:167], v[196:197], -v[4:5]
	v_add_f64 v[2:3], v[2:3], v[4:5]
	s_waitcnt lgkmcnt(2)
	v_mul_f64 v[4:5], v[172:173], v[190:191]
	v_mul_f64 v[208:209], v[170:171], v[190:191]
	v_fma_f64 v[4:5], v[170:171], v[192:193], -v[4:5]
	v_fmac_f64_e32 v[208:209], v[172:173], v[192:193]
	v_add_f64 v[2:3], v[2:3], v[4:5]
	s_waitcnt vmcnt(2) lgkmcnt(1)
	v_mul_f64 v[4:5], v[176:177], v[202:203]
	v_add_f64 v[206:207], v[206:207], v[208:209]
	v_mul_f64 v[208:209], v[174:175], v[202:203]
	s_waitcnt vmcnt(0)
	v_fma_f64 v[4:5], v[174:175], v[204:205], -v[4:5]
	v_fmac_f64_e32 v[208:209], v[176:177], v[204:205]
	v_add_f64 v[2:3], v[2:3], v[4:5]
	s_waitcnt lgkmcnt(0)
	v_mul_f64 v[4:5], v[180:181], v[198:199]
	v_add_f64 v[206:207], v[206:207], v[208:209]
	v_mul_f64 v[208:209], v[178:179], v[198:199]
	v_fma_f64 v[4:5], v[178:179], v[200:201], -v[4:5]
	v_fmac_f64_e32 v[208:209], v[180:181], v[200:201]
	v_add_f64 v[2:3], v[2:3], v[4:5]
	v_add_f64 v[206:207], v[206:207], v[208:209]
	v_add_f64 v[2:3], v[34:35], -v[2:3]
	v_add_f64 v[4:5], v[32:33], -v[206:207]
	buffer_store_dword v3, off, s[0:3], 0 offset:532
	buffer_store_dword v2, off, s[0:3], 0 offset:528
	;; [unrolled: 1-line block ×4, first 2 shown]
	s_and_saveexec_b64 s[4:5], vcc
	s_cbranch_execz .LBB57_299
; %bb.298:
	v_accvgpr_read_b32 v5, a142
	buffer_load_dword v2, v5, s[0:3], 0 offen
	buffer_load_dword v3, v5, s[0:3], 0 offen offset:4
	buffer_load_dword v4, v5, s[0:3], 0 offen offset:8
	s_nop 0
	buffer_load_dword v5, v5, s[0:3], 0 offen offset:12
	v_accvgpr_read_b32 v6, a173
	buffer_store_dword v1, off, s[0:3], 0 offset:512
	buffer_store_dword v1, off, s[0:3], 0 offset:516
	;; [unrolled: 1-line block ×4, first 2 shown]
	s_waitcnt vmcnt(4)
	ds_write_b128 v6, v[2:5]
.LBB57_299:
	s_or_b64 exec, exec, s[4:5]
	s_waitcnt lgkmcnt(0)
	; wave barrier
	s_waitcnt lgkmcnt(0)
	buffer_load_dword v26, off, s[0:3], 0 offset:528
	buffer_load_dword v27, off, s[0:3], 0 offset:532
	;; [unrolled: 1-line block ×24, first 2 shown]
	ds_read_b128 v[22:25], v1 offset:1440
	ds_read_b128 v[18:21], v1 offset:1456
	;; [unrolled: 1-line block ×6, first 2 shown]
	buffer_load_dword v51, off, s[0:3], 0 offset:636
	buffer_load_dword v50, off, s[0:3], 0 offset:632
	;; [unrolled: 1-line block ×40, first 2 shown]
	v_cmp_lt_u32_e32 vcc, 30, v0
	s_waitcnt vmcnt(34) lgkmcnt(0)
	v_mul_f64 v[120:121], v[14:15], v[54:55]
	s_waitcnt vmcnt(32)
	v_fmac_f64_e32 v[120:121], v[16:17], v[56:57]
	v_mul_f64 v[90:91], v[22:23], v[28:29]
	v_fmac_f64_e32 v[90:91], v[24:25], v[26:27]
	v_mul_f64 v[92:93], v[18:19], v[30:31]
	v_add_f64 v[90:91], v[90:91], 0
	v_mul_f64 v[94:95], v[10:11], v[32:33]
	v_mul_f64 v[24:25], v[24:25], v[28:29]
	;; [unrolled: 1-line block ×3, first 2 shown]
	v_fma_f64 v[22:23], v[22:23], v[26:27], -v[24:25]
	v_add_f64 v[22:23], v[22:23], 0
	v_mul_f64 v[96:97], v[6:7], v[42:43]
	v_fmac_f64_e32 v[92:93], v[20:21], v[48:49]
	v_add_f64 v[90:91], v[90:91], v[92:93]
	v_fmac_f64_e32 v[94:95], v[12:13], v[46:47]
	v_add_f64 v[90:91], v[90:91], v[94:95]
	;; [unrolled: 2-line block ×3, first 2 shown]
	buffer_load_dword v91, off, s[0:3], 0 offset:796
	buffer_load_dword v90, off, s[0:3], 0 offset:792
	;; [unrolled: 1-line block ×40, first 2 shown]
	v_fmac_f64_e32 v[114:115], v[4:5], v[40:41]
	v_add_f64 v[118:119], v[116:117], v[114:115]
	ds_read_b128 v[114:117], v1 offset:1536
	buffer_load_dword v211, off, s[0:3], 0 offset:940
	buffer_load_dword v210, off, s[0:3], 0 offset:936
	;; [unrolled: 1-line block ×4, first 2 shown]
	v_add_f64 v[122:123], v[118:119], v[120:121]
	ds_read_b128 v[118:121], v1 offset:1552
	v_mul_f64 v[20:21], v[20:21], v[30:31]
	s_waitcnt lgkmcnt(1)
	v_mul_f64 v[124:125], v[114:115], v[50:51]
	v_fmac_f64_e32 v[124:125], v[116:117], v[52:53]
	v_add_f64 v[126:127], v[122:123], v[124:125]
	ds_read_b128 v[122:125], v1 offset:1568
	s_waitcnt vmcnt(62) lgkmcnt(1)
	v_mul_f64 v[128:129], v[118:119], v[62:63]
	v_fmac_f64_e32 v[128:129], v[120:121], v[64:65]
	v_add_f64 v[130:131], v[126:127], v[128:129]
	ds_read_b128 v[126:129], v1 offset:1584
	s_waitcnt lgkmcnt(1)
	v_mul_f64 v[132:133], v[122:123], v[58:59]
	v_fmac_f64_e32 v[132:133], v[124:125], v[60:61]
	v_add_f64 v[134:135], v[130:131], v[132:133]
	ds_read_b128 v[130:133], v1 offset:1600
	s_waitcnt lgkmcnt(1)
	v_mul_f64 v[136:137], v[126:127], v[70:71]
	s_waitcnt vmcnt(60)
	v_fmac_f64_e32 v[136:137], v[128:129], v[72:73]
	v_add_f64 v[138:139], v[134:135], v[136:137]
	ds_read_b128 v[134:137], v1 offset:1616
	s_waitcnt lgkmcnt(1)
	v_mul_f64 v[140:141], v[130:131], v[66:67]
	v_fmac_f64_e32 v[140:141], v[132:133], v[68:69]
	v_add_f64 v[142:143], v[138:139], v[140:141]
	ds_read_b128 v[138:141], v1 offset:1632
	s_waitcnt vmcnt(54) lgkmcnt(1)
	v_mul_f64 v[144:145], v[134:135], v[78:79]
	s_waitcnt vmcnt(52)
	v_fmac_f64_e32 v[144:145], v[136:137], v[80:81]
	v_add_f64 v[146:147], v[142:143], v[144:145]
	ds_read_b128 v[142:145], v1 offset:1648
	s_waitcnt lgkmcnt(1)
	v_mul_f64 v[148:149], v[138:139], v[74:75]
	v_fmac_f64_e32 v[148:149], v[140:141], v[76:77]
	v_fma_f64 v[18:19], v[18:19], v[48:49], -v[20:21]
	v_mul_f64 v[12:13], v[12:13], v[32:33]
	v_add_f64 v[150:151], v[146:147], v[148:149]
	ds_read_b128 v[146:149], v1 offset:1664
	v_add_f64 v[18:19], v[22:23], v[18:19]
	v_fma_f64 v[10:11], v[10:11], v[46:47], -v[12:13]
	v_mul_f64 v[8:9], v[8:9], v[42:43]
	v_add_f64 v[10:11], v[18:19], v[10:11]
	v_fma_f64 v[6:7], v[6:7], v[44:45], -v[8:9]
	v_mul_f64 v[4:5], v[4:5], v[38:39]
	;; [unrolled: 3-line block ×3, first 2 shown]
	s_waitcnt vmcnt(46) lgkmcnt(1)
	v_mul_f64 v[152:153], v[142:143], v[86:87]
	v_add_f64 v[2:3], v[6:7], v[2:3]
	v_fma_f64 v[4:5], v[14:15], v[56:57], -v[4:5]
	s_waitcnt vmcnt(44)
	v_fmac_f64_e32 v[152:153], v[144:145], v[88:89]
	v_add_f64 v[2:3], v[2:3], v[4:5]
	v_mul_f64 v[4:5], v[116:117], v[50:51]
	v_add_f64 v[154:155], v[150:151], v[152:153]
	ds_read_b128 v[150:153], v1 offset:1680
	s_waitcnt lgkmcnt(1)
	v_mul_f64 v[156:157], v[146:147], v[82:83]
	v_fma_f64 v[4:5], v[114:115], v[52:53], -v[4:5]
	v_fmac_f64_e32 v[156:157], v[148:149], v[84:85]
	v_add_f64 v[2:3], v[2:3], v[4:5]
	v_mul_f64 v[4:5], v[120:121], v[62:63]
	v_add_f64 v[158:159], v[154:155], v[156:157]
	ds_read_b128 v[154:157], v1 offset:1696
	v_fma_f64 v[4:5], v[118:119], v[64:65], -v[4:5]
	v_add_f64 v[2:3], v[2:3], v[4:5]
	v_mul_f64 v[4:5], v[124:125], v[58:59]
	v_fma_f64 v[4:5], v[122:123], v[60:61], -v[4:5]
	s_waitcnt vmcnt(38) lgkmcnt(1)
	v_mul_f64 v[160:161], v[150:151], v[94:95]
	v_add_f64 v[2:3], v[2:3], v[4:5]
	v_mul_f64 v[4:5], v[128:129], v[70:71]
	s_waitcnt vmcnt(36)
	v_fmac_f64_e32 v[160:161], v[152:153], v[96:97]
	v_fma_f64 v[4:5], v[126:127], v[72:73], -v[4:5]
	v_add_f64 v[162:163], v[158:159], v[160:161]
	ds_read_b128 v[158:161], v1 offset:1712
	s_waitcnt lgkmcnt(1)
	v_mul_f64 v[164:165], v[154:155], v[90:91]
	v_add_f64 v[2:3], v[2:3], v[4:5]
	v_mul_f64 v[4:5], v[132:133], v[66:67]
	v_fmac_f64_e32 v[164:165], v[156:157], v[92:93]
	v_fma_f64 v[4:5], v[130:131], v[68:69], -v[4:5]
	v_add_f64 v[166:167], v[162:163], v[164:165]
	ds_read_b128 v[162:165], v1 offset:1728
	v_add_f64 v[2:3], v[2:3], v[4:5]
	v_mul_f64 v[4:5], v[136:137], v[78:79]
	v_fma_f64 v[4:5], v[134:135], v[80:81], -v[4:5]
	v_add_f64 v[2:3], v[2:3], v[4:5]
	v_mul_f64 v[4:5], v[140:141], v[74:75]
	s_waitcnt vmcnt(30) lgkmcnt(1)
	v_mul_f64 v[168:169], v[158:159], v[102:103]
	v_fma_f64 v[4:5], v[138:139], v[76:77], -v[4:5]
	s_waitcnt vmcnt(28)
	v_fmac_f64_e32 v[168:169], v[160:161], v[104:105]
	v_add_f64 v[2:3], v[2:3], v[4:5]
	v_mul_f64 v[4:5], v[144:145], v[86:87]
	v_add_f64 v[170:171], v[166:167], v[168:169]
	ds_read_b128 v[166:169], v1 offset:1744
	s_waitcnt lgkmcnt(1)
	v_mul_f64 v[172:173], v[162:163], v[98:99]
	v_fma_f64 v[4:5], v[142:143], v[88:89], -v[4:5]
	v_fmac_f64_e32 v[172:173], v[164:165], v[100:101]
	v_add_f64 v[2:3], v[2:3], v[4:5]
	v_mul_f64 v[4:5], v[148:149], v[82:83]
	v_add_f64 v[174:175], v[170:171], v[172:173]
	ds_read_b128 v[170:173], v1 offset:1760
	v_fma_f64 v[4:5], v[146:147], v[84:85], -v[4:5]
	v_add_f64 v[2:3], v[2:3], v[4:5]
	v_mul_f64 v[4:5], v[152:153], v[94:95]
	v_fma_f64 v[4:5], v[150:151], v[96:97], -v[4:5]
	s_waitcnt vmcnt(22) lgkmcnt(1)
	v_mul_f64 v[176:177], v[166:167], v[110:111]
	v_add_f64 v[2:3], v[2:3], v[4:5]
	v_mul_f64 v[4:5], v[156:157], v[90:91]
	s_waitcnt vmcnt(20)
	v_fmac_f64_e32 v[176:177], v[168:169], v[112:113]
	v_fma_f64 v[4:5], v[154:155], v[92:93], -v[4:5]
	v_add_f64 v[178:179], v[174:175], v[176:177]
	ds_read_b128 v[174:177], v1 offset:1776
	s_waitcnt lgkmcnt(1)
	v_mul_f64 v[180:181], v[170:171], v[106:107]
	v_add_f64 v[2:3], v[2:3], v[4:5]
	v_mul_f64 v[4:5], v[160:161], v[102:103]
	v_fmac_f64_e32 v[180:181], v[172:173], v[108:109]
	v_fma_f64 v[4:5], v[158:159], v[104:105], -v[4:5]
	v_add_f64 v[182:183], v[178:179], v[180:181]
	ds_read_b128 v[178:181], v1 offset:1792
	v_add_f64 v[2:3], v[2:3], v[4:5]
	v_mul_f64 v[4:5], v[164:165], v[98:99]
	v_fma_f64 v[4:5], v[162:163], v[100:101], -v[4:5]
	v_add_f64 v[2:3], v[2:3], v[4:5]
	v_mul_f64 v[4:5], v[168:169], v[110:111]
	s_waitcnt vmcnt(14) lgkmcnt(1)
	v_mul_f64 v[184:185], v[174:175], v[198:199]
	v_fma_f64 v[4:5], v[166:167], v[112:113], -v[4:5]
	s_waitcnt vmcnt(12)
	v_fmac_f64_e32 v[184:185], v[176:177], v[200:201]
	v_add_f64 v[2:3], v[2:3], v[4:5]
	v_mul_f64 v[4:5], v[172:173], v[106:107]
	v_add_f64 v[186:187], v[182:183], v[184:185]
	ds_read_b128 v[182:185], v1 offset:1808
	s_waitcnt lgkmcnt(1)
	v_mul_f64 v[188:189], v[178:179], v[194:195]
	v_fma_f64 v[4:5], v[170:171], v[108:109], -v[4:5]
	v_fmac_f64_e32 v[188:189], v[180:181], v[196:197]
	v_add_f64 v[2:3], v[2:3], v[4:5]
	v_mul_f64 v[4:5], v[176:177], v[198:199]
	v_add_f64 v[214:215], v[186:187], v[188:189]
	ds_read_b128 v[186:189], v1 offset:1824
	v_fma_f64 v[4:5], v[174:175], v[200:201], -v[4:5]
	v_add_f64 v[2:3], v[2:3], v[4:5]
	v_mul_f64 v[4:5], v[180:181], v[194:195]
	ds_read_b128 v[190:193], v1 offset:1840
	v_fma_f64 v[4:5], v[178:179], v[196:197], -v[4:5]
	v_add_f64 v[2:3], v[2:3], v[4:5]
	s_waitcnt vmcnt(6) lgkmcnt(2)
	v_mul_f64 v[4:5], v[184:185], v[206:207]
	v_mul_f64 v[216:217], v[182:183], v[206:207]
	s_waitcnt vmcnt(4)
	v_fma_f64 v[4:5], v[182:183], v[208:209], -v[4:5]
	v_fmac_f64_e32 v[216:217], v[184:185], v[208:209]
	v_add_f64 v[2:3], v[2:3], v[4:5]
	s_waitcnt lgkmcnt(1)
	v_mul_f64 v[4:5], v[188:189], v[202:203]
	v_add_f64 v[214:215], v[214:215], v[216:217]
	v_mul_f64 v[216:217], v[186:187], v[202:203]
	v_fma_f64 v[4:5], v[186:187], v[204:205], -v[4:5]
	v_fmac_f64_e32 v[216:217], v[188:189], v[204:205]
	v_add_f64 v[2:3], v[2:3], v[4:5]
	s_waitcnt vmcnt(2) lgkmcnt(0)
	v_mul_f64 v[4:5], v[192:193], v[210:211]
	v_add_f64 v[214:215], v[214:215], v[216:217]
	v_mul_f64 v[216:217], v[190:191], v[210:211]
	s_waitcnt vmcnt(0)
	v_fma_f64 v[4:5], v[190:191], v[212:213], -v[4:5]
	v_fmac_f64_e32 v[216:217], v[192:193], v[212:213]
	v_add_f64 v[2:3], v[2:3], v[4:5]
	v_add_f64 v[214:215], v[214:215], v[216:217]
	v_add_f64 v[2:3], v[36:37], -v[2:3]
	v_add_f64 v[4:5], v[34:35], -v[214:215]
	buffer_store_dword v3, off, s[0:3], 0 offset:516
	buffer_store_dword v2, off, s[0:3], 0 offset:512
	;; [unrolled: 1-line block ×4, first 2 shown]
	s_and_saveexec_b64 s[4:5], vcc
	s_cbranch_execz .LBB57_301
; %bb.300:
	v_accvgpr_read_b32 v1, a143
	buffer_load_dword v2, v1, s[0:3], 0 offen
	buffer_load_dword v3, v1, s[0:3], 0 offen offset:4
	buffer_load_dword v4, v1, s[0:3], 0 offen offset:8
	;; [unrolled: 1-line block ×3, first 2 shown]
	v_mov_b32_e32 v1, 0
	v_accvgpr_read_b32 v6, a173
	buffer_store_dword v1, off, s[0:3], 0 offset:496
	buffer_store_dword v1, off, s[0:3], 0 offset:500
	;; [unrolled: 1-line block ×4, first 2 shown]
	s_waitcnt vmcnt(4)
	ds_write_b128 v6, v[2:5]
.LBB57_301:
	s_or_b64 exec, exec, s[4:5]
	s_waitcnt lgkmcnt(0)
	; wave barrier
	s_waitcnt lgkmcnt(0)
	buffer_load_dword v30, off, s[0:3], 0 offset:512
	buffer_load_dword v31, off, s[0:3], 0 offset:516
	;; [unrolled: 1-line block ×56, first 2 shown]
	v_mov_b32_e32 v1, 0
	ds_read_b128 v[26:29], v1 offset:1424
	ds_read_b128 v[22:25], v1 offset:1440
	;; [unrolled: 1-line block ×7, first 2 shown]
	v_cmp_lt_u32_e32 vcc, 29, v0
	s_waitcnt vmcnt(52) lgkmcnt(6)
	v_mul_f64 v[86:87], v[26:27], v[34:35]
	v_fmac_f64_e32 v[86:87], v[28:29], v[30:31]
	v_add_f64 v[86:87], v[86:87], 0
	v_mul_f64 v[28:29], v[28:29], v[34:35]
	s_waitcnt vmcnt(48) lgkmcnt(5)
	v_mul_f64 v[88:89], v[22:23], v[36:37]
	v_fmac_f64_e32 v[88:89], v[24:25], v[32:33]
	s_waitcnt vmcnt(46) lgkmcnt(4)
	v_mul_f64 v[90:91], v[18:19], v[38:39]
	v_add_f64 v[86:87], v[86:87], v[88:89]
	s_waitcnt vmcnt(44) lgkmcnt(2)
	v_mul_f64 v[94:95], v[10:11], v[40:41]
	v_fma_f64 v[26:27], v[26:27], v[30:31], -v[28:29]
	s_waitcnt vmcnt(42)
	v_fmac_f64_e32 v[94:95], v[12:13], v[42:43]
	v_mul_f64 v[24:25], v[24:25], v[36:37]
	s_waitcnt vmcnt(40)
	v_mul_f64 v[92:93], v[14:15], v[48:49]
	v_add_f64 v[26:27], v[26:27], 0
	v_fma_f64 v[22:23], v[22:23], v[32:33], -v[24:25]
	v_add_f64 v[22:23], v[26:27], v[22:23]
	s_waitcnt vmcnt(36) lgkmcnt(1)
	v_mul_f64 v[110:111], v[6:7], v[54:55]
	v_mul_f64 v[12:13], v[12:13], v[40:41]
	s_waitcnt vmcnt(34)
	v_fmac_f64_e32 v[90:91], v[20:21], v[60:61]
	v_add_f64 v[86:87], v[86:87], v[90:91]
	s_waitcnt vmcnt(32)
	v_fmac_f64_e32 v[92:93], v[16:17], v[58:59]
	v_add_f64 v[86:87], v[86:87], v[92:93]
	v_add_f64 v[116:117], v[86:87], v[94:95]
	buffer_load_dword v87, off, s[0:3], 0 offset:748
	buffer_load_dword v86, off, s[0:3], 0 offset:744
	;; [unrolled: 1-line block ×56, first 2 shown]
	ds_read_b128 v[124:127], v1 offset:1536
	ds_read_b128 v[128:131], v1 offset:1552
	v_mul_f64 v[20:21], v[20:21], v[38:39]
	v_fma_f64 v[18:19], v[18:19], v[60:61], -v[20:21]
	v_mul_f64 v[16:17], v[16:17], v[48:49]
	s_waitcnt vmcnt(62)
	v_fmac_f64_e32 v[110:111], v[8:9], v[56:57]
	v_add_f64 v[18:19], v[22:23], v[18:19]
	v_fma_f64 v[14:15], v[14:15], v[58:59], -v[16:17]
	v_add_f64 v[110:111], v[116:117], v[110:111]
	s_waitcnt lgkmcnt(2)
	v_mul_f64 v[116:117], v[2:3], v[50:51]
	v_add_f64 v[14:15], v[18:19], v[14:15]
	v_fma_f64 v[10:11], v[10:11], v[42:43], -v[12:13]
	v_mul_f64 v[8:9], v[8:9], v[54:55]
	v_fmac_f64_e32 v[116:117], v[4:5], v[52:53]
	ds_read_b128 v[132:135], v1 offset:1568
	ds_read_b128 v[136:139], v1 offset:1584
	v_add_f64 v[10:11], v[14:15], v[10:11]
	v_fma_f64 v[6:7], v[6:7], v[56:57], -v[8:9]
	v_mul_f64 v[4:5], v[4:5], v[50:51]
	v_add_f64 v[6:7], v[10:11], v[6:7]
	v_fma_f64 v[2:3], v[2:3], v[52:53], -v[4:5]
	s_waitcnt lgkmcnt(3)
	v_mul_f64 v[4:5], v[126:127], v[66:67]
	v_add_f64 v[110:111], v[110:111], v[116:117]
	v_mul_f64 v[116:117], v[124:125], v[66:67]
	v_add_f64 v[2:3], v[6:7], v[2:3]
	v_fma_f64 v[4:5], v[124:125], v[68:69], -v[4:5]
	v_fmac_f64_e32 v[116:117], v[126:127], v[68:69]
	v_add_f64 v[2:3], v[2:3], v[4:5]
	s_waitcnt lgkmcnt(2)
	v_mul_f64 v[4:5], v[130:131], v[62:63]
	v_add_f64 v[110:111], v[110:111], v[116:117]
	v_mul_f64 v[116:117], v[128:129], v[62:63]
	ds_read_b128 v[140:143], v1 offset:1600
	ds_read_b128 v[144:147], v1 offset:1616
	v_fma_f64 v[4:5], v[128:129], v[64:65], -v[4:5]
	v_fmac_f64_e32 v[116:117], v[130:131], v[64:65]
	v_add_f64 v[2:3], v[2:3], v[4:5]
	s_waitcnt lgkmcnt(3)
	v_mul_f64 v[4:5], v[134:135], v[74:75]
	v_add_f64 v[110:111], v[110:111], v[116:117]
	v_mul_f64 v[116:117], v[132:133], v[74:75]
	v_fma_f64 v[4:5], v[132:133], v[76:77], -v[4:5]
	v_fmac_f64_e32 v[116:117], v[134:135], v[76:77]
	v_add_f64 v[2:3], v[2:3], v[4:5]
	s_waitcnt lgkmcnt(2)
	v_mul_f64 v[4:5], v[138:139], v[70:71]
	v_add_f64 v[110:111], v[110:111], v[116:117]
	v_mul_f64 v[116:117], v[136:137], v[70:71]
	ds_read_b128 v[148:151], v1 offset:1632
	ds_read_b128 v[152:155], v1 offset:1648
	v_fma_f64 v[4:5], v[136:137], v[72:73], -v[4:5]
	v_fmac_f64_e32 v[116:117], v[138:139], v[72:73]
	v_add_f64 v[2:3], v[2:3], v[4:5]
	s_waitcnt vmcnt(58) lgkmcnt(3)
	v_mul_f64 v[4:5], v[142:143], v[82:83]
	v_add_f64 v[110:111], v[110:111], v[116:117]
	v_mul_f64 v[116:117], v[140:141], v[82:83]
	s_waitcnt vmcnt(56)
	v_fma_f64 v[4:5], v[140:141], v[84:85], -v[4:5]
	v_fmac_f64_e32 v[116:117], v[142:143], v[84:85]
	v_add_f64 v[2:3], v[2:3], v[4:5]
	s_waitcnt lgkmcnt(2)
	v_mul_f64 v[4:5], v[146:147], v[78:79]
	v_add_f64 v[110:111], v[110:111], v[116:117]
	v_mul_f64 v[116:117], v[144:145], v[78:79]
	ds_read_b128 v[156:159], v1 offset:1664
	ds_read_b128 v[160:163], v1 offset:1680
	v_fma_f64 v[4:5], v[144:145], v[80:81], -v[4:5]
	v_fmac_f64_e32 v[116:117], v[146:147], v[80:81]
	v_add_f64 v[2:3], v[2:3], v[4:5]
	s_waitcnt vmcnt(50) lgkmcnt(3)
	v_mul_f64 v[4:5], v[150:151], v[90:91]
	v_add_f64 v[110:111], v[110:111], v[116:117]
	v_mul_f64 v[116:117], v[148:149], v[90:91]
	s_waitcnt vmcnt(48)
	;; [unrolled: 17-line block ×7, first 2 shown]
	v_fma_f64 v[4:5], v[188:189], v[216:217], -v[4:5]
	v_fmac_f64_e32 v[116:117], v[190:191], v[216:217]
	v_add_f64 v[2:3], v[2:3], v[4:5]
	s_waitcnt lgkmcnt(2)
	v_mul_f64 v[4:5], v[194:195], v[210:211]
	v_add_f64 v[110:111], v[110:111], v[116:117]
	v_mul_f64 v[116:117], v[192:193], v[210:211]
	v_fma_f64 v[4:5], v[192:193], v[212:213], -v[4:5]
	v_fmac_f64_e32 v[116:117], v[194:195], v[212:213]
	v_add_f64 v[2:3], v[2:3], v[4:5]
	s_waitcnt vmcnt(2) lgkmcnt(1)
	v_mul_f64 v[4:5], v[198:199], v[222:223]
	v_add_f64 v[110:111], v[110:111], v[116:117]
	v_mul_f64 v[116:117], v[196:197], v[222:223]
	s_waitcnt vmcnt(0)
	v_fma_f64 v[4:5], v[196:197], v[224:225], -v[4:5]
	v_fmac_f64_e32 v[116:117], v[198:199], v[224:225]
	v_add_f64 v[2:3], v[2:3], v[4:5]
	s_waitcnt lgkmcnt(0)
	v_mul_f64 v[4:5], v[202:203], v[218:219]
	v_add_f64 v[110:111], v[110:111], v[116:117]
	v_mul_f64 v[116:117], v[200:201], v[218:219]
	v_fma_f64 v[4:5], v[200:201], v[220:221], -v[4:5]
	v_fmac_f64_e32 v[116:117], v[202:203], v[220:221]
	v_add_f64 v[2:3], v[2:3], v[4:5]
	v_add_f64 v[110:111], v[110:111], v[116:117]
	v_add_f64 v[2:3], v[46:47], -v[2:3]
	v_add_f64 v[4:5], v[44:45], -v[110:111]
	buffer_store_dword v3, off, s[0:3], 0 offset:500
	buffer_store_dword v2, off, s[0:3], 0 offset:496
	;; [unrolled: 1-line block ×4, first 2 shown]
	s_and_saveexec_b64 s[4:5], vcc
	s_cbranch_execz .LBB57_303
; %bb.302:
	v_accvgpr_read_b32 v5, a144
	buffer_load_dword v2, v5, s[0:3], 0 offen
	buffer_load_dword v3, v5, s[0:3], 0 offen offset:4
	buffer_load_dword v4, v5, s[0:3], 0 offen offset:8
	s_nop 0
	buffer_load_dword v5, v5, s[0:3], 0 offen offset:12
	v_accvgpr_read_b32 v6, a173
	buffer_store_dword v1, off, s[0:3], 0 offset:480
	buffer_store_dword v1, off, s[0:3], 0 offset:484
	;; [unrolled: 1-line block ×4, first 2 shown]
	s_waitcnt vmcnt(4)
	ds_write_b128 v6, v[2:5]
.LBB57_303:
	s_or_b64 exec, exec, s[4:5]
	s_waitcnt lgkmcnt(0)
	; wave barrier
	s_waitcnt lgkmcnt(0)
	buffer_load_dword v34, off, s[0:3], 0 offset:496
	buffer_load_dword v35, off, s[0:3], 0 offset:500
	;; [unrolled: 1-line block ×32, first 2 shown]
	ds_read_b128 v[30:33], v1 offset:1408
	ds_read_b128 v[26:29], v1 offset:1424
	;; [unrolled: 1-line block ×8, first 2 shown]
	buffer_load_dword v67, off, s[0:3], 0 offset:636
	buffer_load_dword v66, off, s[0:3], 0 offset:632
	;; [unrolled: 1-line block ×24, first 2 shown]
	v_cmp_lt_u32_e32 vcc, 28, v0
	s_waitcnt vmcnt(52) lgkmcnt(7)
	v_mul_f64 v[90:91], v[30:31], v[38:39]
	v_fmac_f64_e32 v[90:91], v[32:33], v[34:35]
	v_add_f64 v[90:91], v[90:91], 0
	v_mul_f64 v[32:33], v[32:33], v[38:39]
	s_waitcnt vmcnt(48) lgkmcnt(6)
	v_mul_f64 v[92:93], v[26:27], v[40:41]
	v_fmac_f64_e32 v[92:93], v[28:29], v[36:37]
	s_waitcnt vmcnt(46) lgkmcnt(5)
	v_mul_f64 v[94:95], v[22:23], v[42:43]
	v_add_f64 v[90:91], v[90:91], v[92:93]
	s_waitcnt vmcnt(44) lgkmcnt(4)
	v_mul_f64 v[96:97], v[18:19], v[48:49]
	v_fma_f64 v[30:31], v[30:31], v[34:35], -v[32:33]
	s_waitcnt vmcnt(42) lgkmcnt(1)
	v_mul_f64 v[122:123], v[2:3], v[50:51]
	v_mul_f64 v[28:29], v[28:29], v[40:41]
	s_waitcnt vmcnt(18) lgkmcnt(0)
	v_mul_f64 v[136:137], v[14:15], v[70:71]
	v_mul_f64 v[100:101], v[6:7], v[54:55]
	s_waitcnt vmcnt(16)
	v_fmac_f64_e32 v[136:137], v[16:17], v[72:73]
	v_mul_f64 v[98:99], v[10:11], v[56:57]
	v_add_f64 v[30:31], v[30:31], 0
	v_fmac_f64_e32 v[98:99], v[12:13], v[58:59]
	v_fma_f64 v[26:27], v[26:27], v[36:37], -v[28:29]
	v_fmac_f64_e32 v[94:95], v[24:25], v[64:65]
	v_add_f64 v[90:91], v[90:91], v[94:95]
	v_fmac_f64_e32 v[96:97], v[20:21], v[62:63]
	v_add_f64 v[90:91], v[90:91], v[96:97]
	;; [unrolled: 2-line block ×3, first 2 shown]
	v_add_f64 v[124:125], v[90:91], v[100:101]
	buffer_load_dword v91, off, s[0:3], 0 offset:732
	buffer_load_dword v90, off, s[0:3], 0 offset:728
	;; [unrolled: 1-line block ×56, first 2 shown]
	v_fmac_f64_e32 v[122:123], v[4:5], v[52:53]
	v_add_f64 v[134:135], v[124:125], v[122:123]
	ds_read_b128 v[122:125], v1 offset:1536
	buffer_load_dword v227, off, s[0:3], 0 offset:940
	buffer_load_dword v226, off, s[0:3], 0 offset:936
	;; [unrolled: 1-line block ×4, first 2 shown]
	v_add_f64 v[138:139], v[134:135], v[136:137]
	ds_read_b128 v[134:137], v1 offset:1552
	v_mul_f64 v[24:25], v[24:25], v[42:43]
	s_waitcnt lgkmcnt(1)
	v_mul_f64 v[140:141], v[122:123], v[66:67]
	v_fmac_f64_e32 v[140:141], v[124:125], v[68:69]
	v_add_f64 v[142:143], v[138:139], v[140:141]
	ds_read_b128 v[138:141], v1 offset:1568
	s_waitcnt vmcnt(62) lgkmcnt(1)
	v_mul_f64 v[144:145], v[134:135], v[78:79]
	v_fmac_f64_e32 v[144:145], v[136:137], v[80:81]
	v_add_f64 v[146:147], v[142:143], v[144:145]
	ds_read_b128 v[142:145], v1 offset:1584
	s_waitcnt lgkmcnt(1)
	v_mul_f64 v[148:149], v[138:139], v[74:75]
	v_fmac_f64_e32 v[148:149], v[140:141], v[76:77]
	v_add_f64 v[150:151], v[146:147], v[148:149]
	ds_read_b128 v[146:149], v1 offset:1600
	s_waitcnt lgkmcnt(1)
	v_mul_f64 v[152:153], v[142:143], v[86:87]
	s_waitcnt vmcnt(60)
	v_fmac_f64_e32 v[152:153], v[144:145], v[88:89]
	v_add_f64 v[154:155], v[150:151], v[152:153]
	ds_read_b128 v[150:153], v1 offset:1616
	s_waitcnt lgkmcnt(1)
	v_mul_f64 v[156:157], v[146:147], v[82:83]
	v_fmac_f64_e32 v[156:157], v[148:149], v[84:85]
	v_add_f64 v[158:159], v[154:155], v[156:157]
	ds_read_b128 v[154:157], v1 offset:1632
	v_add_f64 v[26:27], v[30:31], v[26:27]
	v_fma_f64 v[22:23], v[22:23], v[64:65], -v[24:25]
	s_waitcnt vmcnt(54) lgkmcnt(1)
	v_mul_f64 v[160:161], v[150:151], v[94:95]
	v_mul_f64 v[20:21], v[20:21], v[48:49]
	s_waitcnt vmcnt(52)
	v_fmac_f64_e32 v[160:161], v[152:153], v[96:97]
	v_add_f64 v[162:163], v[158:159], v[160:161]
	ds_read_b128 v[158:161], v1 offset:1648
	s_waitcnt lgkmcnt(1)
	v_mul_f64 v[164:165], v[154:155], v[90:91]
	v_fmac_f64_e32 v[164:165], v[156:157], v[92:93]
	v_add_f64 v[22:23], v[26:27], v[22:23]
	v_fma_f64 v[18:19], v[18:19], v[62:63], -v[20:21]
	v_mul_f64 v[12:13], v[12:13], v[56:57]
	v_add_f64 v[166:167], v[162:163], v[164:165]
	ds_read_b128 v[162:165], v1 offset:1664
	v_add_f64 v[18:19], v[22:23], v[18:19]
	v_fma_f64 v[10:11], v[10:11], v[58:59], -v[12:13]
	v_mul_f64 v[8:9], v[8:9], v[54:55]
	v_add_f64 v[10:11], v[18:19], v[10:11]
	v_fma_f64 v[6:7], v[6:7], v[60:61], -v[8:9]
	v_mul_f64 v[4:5], v[4:5], v[50:51]
	;; [unrolled: 3-line block ×3, first 2 shown]
	s_waitcnt vmcnt(46) lgkmcnt(1)
	v_mul_f64 v[168:169], v[158:159], v[102:103]
	v_add_f64 v[2:3], v[6:7], v[2:3]
	v_fma_f64 v[4:5], v[14:15], v[72:73], -v[4:5]
	s_waitcnt vmcnt(44)
	v_fmac_f64_e32 v[168:169], v[160:161], v[104:105]
	v_add_f64 v[2:3], v[2:3], v[4:5]
	v_mul_f64 v[4:5], v[124:125], v[66:67]
	v_add_f64 v[170:171], v[166:167], v[168:169]
	ds_read_b128 v[166:169], v1 offset:1680
	s_waitcnt lgkmcnt(1)
	v_mul_f64 v[172:173], v[162:163], v[98:99]
	v_fma_f64 v[4:5], v[122:123], v[68:69], -v[4:5]
	v_fmac_f64_e32 v[172:173], v[164:165], v[100:101]
	v_add_f64 v[2:3], v[2:3], v[4:5]
	v_mul_f64 v[4:5], v[136:137], v[78:79]
	v_add_f64 v[174:175], v[170:171], v[172:173]
	ds_read_b128 v[170:173], v1 offset:1696
	v_fma_f64 v[4:5], v[134:135], v[80:81], -v[4:5]
	v_add_f64 v[2:3], v[2:3], v[4:5]
	v_mul_f64 v[4:5], v[140:141], v[74:75]
	v_fma_f64 v[4:5], v[138:139], v[76:77], -v[4:5]
	s_waitcnt vmcnt(38) lgkmcnt(1)
	v_mul_f64 v[176:177], v[166:167], v[110:111]
	v_add_f64 v[2:3], v[2:3], v[4:5]
	v_mul_f64 v[4:5], v[144:145], v[86:87]
	s_waitcnt vmcnt(36)
	v_fmac_f64_e32 v[176:177], v[168:169], v[112:113]
	v_fma_f64 v[4:5], v[142:143], v[88:89], -v[4:5]
	v_add_f64 v[178:179], v[174:175], v[176:177]
	ds_read_b128 v[174:177], v1 offset:1712
	s_waitcnt lgkmcnt(1)
	v_mul_f64 v[180:181], v[170:171], v[106:107]
	v_add_f64 v[2:3], v[2:3], v[4:5]
	v_mul_f64 v[4:5], v[148:149], v[82:83]
	v_fmac_f64_e32 v[180:181], v[172:173], v[108:109]
	v_fma_f64 v[4:5], v[146:147], v[84:85], -v[4:5]
	v_add_f64 v[182:183], v[178:179], v[180:181]
	ds_read_b128 v[178:181], v1 offset:1728
	v_add_f64 v[2:3], v[2:3], v[4:5]
	v_mul_f64 v[4:5], v[152:153], v[94:95]
	v_fma_f64 v[4:5], v[150:151], v[96:97], -v[4:5]
	v_add_f64 v[2:3], v[2:3], v[4:5]
	v_mul_f64 v[4:5], v[156:157], v[90:91]
	s_waitcnt vmcnt(30) lgkmcnt(1)
	v_mul_f64 v[184:185], v[174:175], v[118:119]
	v_fma_f64 v[4:5], v[154:155], v[92:93], -v[4:5]
	s_waitcnt vmcnt(28)
	v_fmac_f64_e32 v[184:185], v[176:177], v[120:121]
	v_add_f64 v[2:3], v[2:3], v[4:5]
	v_mul_f64 v[4:5], v[160:161], v[102:103]
	v_add_f64 v[186:187], v[182:183], v[184:185]
	ds_read_b128 v[182:185], v1 offset:1744
	s_waitcnt lgkmcnt(1)
	v_mul_f64 v[188:189], v[178:179], v[114:115]
	v_fma_f64 v[4:5], v[158:159], v[104:105], -v[4:5]
	v_fmac_f64_e32 v[188:189], v[180:181], v[116:117]
	v_add_f64 v[2:3], v[2:3], v[4:5]
	v_mul_f64 v[4:5], v[164:165], v[98:99]
	v_add_f64 v[190:191], v[186:187], v[188:189]
	ds_read_b128 v[186:189], v1 offset:1760
	v_fma_f64 v[4:5], v[162:163], v[100:101], -v[4:5]
	v_add_f64 v[2:3], v[2:3], v[4:5]
	v_mul_f64 v[4:5], v[168:169], v[110:111]
	v_fma_f64 v[4:5], v[166:167], v[112:113], -v[4:5]
	s_waitcnt vmcnt(22) lgkmcnt(1)
	v_mul_f64 v[192:193], v[182:183], v[130:131]
	v_add_f64 v[2:3], v[2:3], v[4:5]
	v_mul_f64 v[4:5], v[172:173], v[106:107]
	s_waitcnt vmcnt(20)
	v_fmac_f64_e32 v[192:193], v[184:185], v[132:133]
	v_fma_f64 v[4:5], v[170:171], v[108:109], -v[4:5]
	v_add_f64 v[194:195], v[190:191], v[192:193]
	ds_read_b128 v[190:193], v1 offset:1776
	s_waitcnt lgkmcnt(1)
	v_mul_f64 v[196:197], v[186:187], v[126:127]
	v_add_f64 v[2:3], v[2:3], v[4:5]
	v_mul_f64 v[4:5], v[176:177], v[118:119]
	v_fmac_f64_e32 v[196:197], v[188:189], v[128:129]
	v_fma_f64 v[4:5], v[174:175], v[120:121], -v[4:5]
	v_add_f64 v[198:199], v[194:195], v[196:197]
	ds_read_b128 v[194:197], v1 offset:1792
	v_add_f64 v[2:3], v[2:3], v[4:5]
	v_mul_f64 v[4:5], v[180:181], v[114:115]
	v_fma_f64 v[4:5], v[178:179], v[116:117], -v[4:5]
	v_add_f64 v[2:3], v[2:3], v[4:5]
	v_mul_f64 v[4:5], v[184:185], v[130:131]
	s_waitcnt vmcnt(14) lgkmcnt(1)
	v_mul_f64 v[200:201], v[190:191], v[214:215]
	v_fma_f64 v[4:5], v[182:183], v[132:133], -v[4:5]
	s_waitcnt vmcnt(12)
	v_fmac_f64_e32 v[200:201], v[192:193], v[216:217]
	v_add_f64 v[2:3], v[2:3], v[4:5]
	v_mul_f64 v[4:5], v[188:189], v[126:127]
	v_add_f64 v[202:203], v[198:199], v[200:201]
	ds_read_b128 v[198:201], v1 offset:1808
	s_waitcnt lgkmcnt(1)
	v_mul_f64 v[204:205], v[194:195], v[210:211]
	v_fma_f64 v[4:5], v[186:187], v[128:129], -v[4:5]
	v_fmac_f64_e32 v[204:205], v[196:197], v[212:213]
	v_add_f64 v[2:3], v[2:3], v[4:5]
	v_mul_f64 v[4:5], v[192:193], v[214:215]
	v_add_f64 v[230:231], v[202:203], v[204:205]
	ds_read_b128 v[202:205], v1 offset:1824
	v_fma_f64 v[4:5], v[190:191], v[216:217], -v[4:5]
	v_add_f64 v[2:3], v[2:3], v[4:5]
	v_mul_f64 v[4:5], v[196:197], v[210:211]
	ds_read_b128 v[206:209], v1 offset:1840
	v_fma_f64 v[4:5], v[194:195], v[212:213], -v[4:5]
	v_add_f64 v[2:3], v[2:3], v[4:5]
	s_waitcnt vmcnt(6) lgkmcnt(2)
	v_mul_f64 v[4:5], v[200:201], v[222:223]
	v_mul_f64 v[232:233], v[198:199], v[222:223]
	s_waitcnt vmcnt(4)
	v_fma_f64 v[4:5], v[198:199], v[224:225], -v[4:5]
	v_fmac_f64_e32 v[232:233], v[200:201], v[224:225]
	v_add_f64 v[2:3], v[2:3], v[4:5]
	s_waitcnt lgkmcnt(1)
	v_mul_f64 v[4:5], v[204:205], v[218:219]
	v_add_f64 v[230:231], v[230:231], v[232:233]
	v_mul_f64 v[232:233], v[202:203], v[218:219]
	v_fma_f64 v[4:5], v[202:203], v[220:221], -v[4:5]
	v_fmac_f64_e32 v[232:233], v[204:205], v[220:221]
	v_add_f64 v[2:3], v[2:3], v[4:5]
	s_waitcnt vmcnt(2) lgkmcnt(0)
	v_mul_f64 v[4:5], v[208:209], v[226:227]
	v_add_f64 v[230:231], v[230:231], v[232:233]
	v_mul_f64 v[232:233], v[206:207], v[226:227]
	s_waitcnt vmcnt(0)
	v_fma_f64 v[4:5], v[206:207], v[228:229], -v[4:5]
	v_fmac_f64_e32 v[232:233], v[208:209], v[228:229]
	v_add_f64 v[2:3], v[2:3], v[4:5]
	v_add_f64 v[230:231], v[230:231], v[232:233]
	v_add_f64 v[2:3], v[46:47], -v[2:3]
	v_add_f64 v[4:5], v[44:45], -v[230:231]
	buffer_store_dword v3, off, s[0:3], 0 offset:484
	buffer_store_dword v2, off, s[0:3], 0 offset:480
	;; [unrolled: 1-line block ×4, first 2 shown]
	s_and_saveexec_b64 s[4:5], vcc
	s_cbranch_execz .LBB57_305
; %bb.304:
	v_accvgpr_read_b32 v1, a145
	buffer_load_dword v2, v1, s[0:3], 0 offen
	buffer_load_dword v3, v1, s[0:3], 0 offen offset:4
	buffer_load_dword v4, v1, s[0:3], 0 offen offset:8
	;; [unrolled: 1-line block ×3, first 2 shown]
	v_mov_b32_e32 v1, 0
	v_accvgpr_read_b32 v6, a173
	buffer_store_dword v1, off, s[0:3], 0 offset:464
	buffer_store_dword v1, off, s[0:3], 0 offset:468
	;; [unrolled: 1-line block ×4, first 2 shown]
	s_waitcnt vmcnt(4)
	ds_write_b128 v6, v[2:5]
.LBB57_305:
	s_or_b64 exec, exec, s[4:5]
	s_waitcnt lgkmcnt(0)
	; wave barrier
	s_waitcnt lgkmcnt(0)
	buffer_load_dword v38, off, s[0:3], 0 offset:480
	buffer_load_dword v39, off, s[0:3], 0 offset:484
	;; [unrolled: 1-line block ×48, first 2 shown]
	v_mov_b32_e32 v1, 0
	ds_read_b128 v[34:37], v1 offset:1392
	ds_read_b128 v[30:33], v1 offset:1408
	;; [unrolled: 1-line block ×9, first 2 shown]
	v_cmp_lt_u32_e32 vcc, 27, v0
	s_waitcnt vmcnt(44) lgkmcnt(8)
	v_mul_f64 v[86:87], v[34:35], v[42:43]
	v_fmac_f64_e32 v[86:87], v[36:37], v[38:39]
	v_add_f64 v[86:87], v[86:87], 0
	v_mul_f64 v[36:37], v[36:37], v[42:43]
	s_waitcnt vmcnt(40) lgkmcnt(7)
	v_mul_f64 v[88:89], v[30:31], v[44:45]
	v_fmac_f64_e32 v[88:89], v[32:33], v[40:41]
	s_waitcnt vmcnt(38) lgkmcnt(6)
	v_mul_f64 v[90:91], v[26:27], v[46:47]
	v_add_f64 v[86:87], v[86:87], v[88:89]
	s_waitcnt vmcnt(36) lgkmcnt(4)
	v_mul_f64 v[94:95], v[18:19], v[48:49]
	v_fma_f64 v[34:35], v[34:35], v[38:39], -v[36:37]
	s_waitcnt vmcnt(34)
	v_fmac_f64_e32 v[94:95], v[20:21], v[50:51]
	v_mul_f64 v[32:33], v[32:33], v[44:45]
	s_waitcnt vmcnt(32)
	v_mul_f64 v[92:93], v[22:23], v[52:53]
	v_add_f64 v[34:35], v[34:35], 0
	s_waitcnt vmcnt(30) lgkmcnt(2)
	v_mul_f64 v[98:99], v[10:11], v[54:55]
	v_fma_f64 v[30:31], v[30:31], v[40:41], -v[32:33]
	s_waitcnt vmcnt(28)
	v_fmac_f64_e32 v[98:99], v[12:13], v[56:57]
	v_add_f64 v[30:31], v[34:35], v[30:31]
	s_waitcnt vmcnt(26)
	v_mul_f64 v[96:97], v[14:15], v[58:59]
	v_mul_f64 v[20:21], v[20:21], v[48:49]
	v_fma_f64 v[18:19], v[18:19], v[50:51], -v[20:21]
	v_mul_f64 v[12:13], v[12:13], v[54:55]
	s_waitcnt vmcnt(22) lgkmcnt(1)
	v_mul_f64 v[110:111], v[6:7], v[68:69]
	v_fma_f64 v[10:11], v[10:11], v[56:57], -v[12:13]
	s_waitcnt vmcnt(20)
	v_fmac_f64_e32 v[90:91], v[28:29], v[76:77]
	v_add_f64 v[86:87], v[86:87], v[90:91]
	s_waitcnt vmcnt(18)
	v_fmac_f64_e32 v[92:93], v[24:25], v[74:75]
	v_add_f64 v[86:87], v[86:87], v[92:93]
	;; [unrolled: 3-line block ×3, first 2 shown]
	v_add_f64 v[86:87], v[86:87], v[96:97]
	v_add_f64 v[112:113], v[86:87], v[98:99]
	buffer_load_dword v87, off, s[0:3], 0 offset:684
	buffer_load_dword v86, off, s[0:3], 0 offset:680
	;; [unrolled: 1-line block ×72, first 2 shown]
	s_waitcnt vmcnt(62)
	v_fmac_f64_e32 v[110:111], v[8:9], v[70:71]
	v_add_f64 v[142:143], v[112:113], v[110:111]
	ds_read_b128 v[110:113], v1 offset:1536
	s_waitcnt lgkmcnt(1)
	v_mul_f64 v[144:145], v[2:3], v[64:65]
	v_fmac_f64_e32 v[144:145], v[4:5], v[66:67]
	v_add_f64 v[146:147], v[142:143], v[144:145]
	ds_read_b128 v[142:145], v1 offset:1552
	s_waitcnt lgkmcnt(1)
	v_mul_f64 v[148:149], v[110:111], v[82:83]
	v_fmac_f64_e32 v[148:149], v[112:113], v[84:85]
	v_add_f64 v[150:151], v[146:147], v[148:149]
	ds_read_b128 v[146:149], v1 offset:1568
	s_waitcnt lgkmcnt(1)
	v_mul_f64 v[152:153], v[142:143], v[78:79]
	v_fmac_f64_e32 v[152:153], v[144:145], v[80:81]
	v_add_f64 v[154:155], v[150:151], v[152:153]
	ds_read_b128 v[150:153], v1 offset:1584
	s_waitcnt lgkmcnt(1)
	v_mul_f64 v[156:157], v[146:147], v[90:91]
	v_fmac_f64_e32 v[156:157], v[148:149], v[92:93]
	v_add_f64 v[158:159], v[154:155], v[156:157]
	ds_read_b128 v[154:157], v1 offset:1600
	s_waitcnt lgkmcnt(1)
	v_mul_f64 v[160:161], v[150:151], v[86:87]
	v_fmac_f64_e32 v[160:161], v[152:153], v[88:89]
	v_add_f64 v[162:163], v[158:159], v[160:161]
	ds_read_b128 v[158:161], v1 offset:1616
	s_waitcnt vmcnt(58) lgkmcnt(1)
	v_mul_f64 v[164:165], v[154:155], v[98:99]
	s_waitcnt vmcnt(56)
	v_fmac_f64_e32 v[164:165], v[156:157], v[100:101]
	v_add_f64 v[166:167], v[162:163], v[164:165]
	ds_read_b128 v[162:165], v1 offset:1632
	s_waitcnt lgkmcnt(1)
	v_mul_f64 v[168:169], v[158:159], v[94:95]
	v_fmac_f64_e32 v[168:169], v[160:161], v[96:97]
	v_mul_f64 v[28:29], v[28:29], v[46:47]
	v_add_f64 v[170:171], v[166:167], v[168:169]
	ds_read_b128 v[166:169], v1 offset:1648
	s_waitcnt vmcnt(50) lgkmcnt(1)
	v_mul_f64 v[172:173], v[162:163], v[106:107]
	v_fma_f64 v[26:27], v[26:27], v[76:77], -v[28:29]
	v_mul_f64 v[24:25], v[24:25], v[52:53]
	s_waitcnt vmcnt(48)
	v_fmac_f64_e32 v[172:173], v[164:165], v[108:109]
	v_add_f64 v[26:27], v[30:31], v[26:27]
	v_fma_f64 v[22:23], v[22:23], v[74:75], -v[24:25]
	v_add_f64 v[174:175], v[170:171], v[172:173]
	ds_read_b128 v[170:173], v1 offset:1664
	v_add_f64 v[22:23], v[26:27], v[22:23]
	v_mul_f64 v[16:17], v[16:17], v[58:59]
	v_add_f64 v[18:19], v[22:23], v[18:19]
	v_fma_f64 v[14:15], v[14:15], v[72:73], -v[16:17]
	v_add_f64 v[14:15], v[18:19], v[14:15]
	v_mul_f64 v[8:9], v[8:9], v[68:69]
	s_waitcnt lgkmcnt(1)
	v_mul_f64 v[176:177], v[166:167], v[102:103]
	v_add_f64 v[10:11], v[14:15], v[10:11]
	v_fma_f64 v[6:7], v[6:7], v[70:71], -v[8:9]
	v_mul_f64 v[4:5], v[4:5], v[64:65]
	v_fmac_f64_e32 v[176:177], v[168:169], v[104:105]
	v_add_f64 v[6:7], v[10:11], v[6:7]
	v_fma_f64 v[2:3], v[2:3], v[66:67], -v[4:5]
	v_mul_f64 v[4:5], v[112:113], v[82:83]
	v_add_f64 v[178:179], v[174:175], v[176:177]
	ds_read_b128 v[174:177], v1 offset:1680
	s_waitcnt vmcnt(42) lgkmcnt(1)
	v_mul_f64 v[180:181], v[170:171], v[118:119]
	v_add_f64 v[2:3], v[6:7], v[2:3]
	v_fma_f64 v[4:5], v[110:111], v[84:85], -v[4:5]
	s_waitcnt vmcnt(40)
	v_fmac_f64_e32 v[180:181], v[172:173], v[120:121]
	v_add_f64 v[2:3], v[2:3], v[4:5]
	v_mul_f64 v[4:5], v[144:145], v[78:79]
	v_add_f64 v[182:183], v[178:179], v[180:181]
	ds_read_b128 v[178:181], v1 offset:1696
	v_fma_f64 v[4:5], v[142:143], v[80:81], -v[4:5]
	v_add_f64 v[2:3], v[2:3], v[4:5]
	v_mul_f64 v[4:5], v[148:149], v[90:91]
	v_fma_f64 v[4:5], v[146:147], v[92:93], -v[4:5]
	s_waitcnt lgkmcnt(1)
	v_mul_f64 v[184:185], v[174:175], v[114:115]
	v_add_f64 v[2:3], v[2:3], v[4:5]
	v_mul_f64 v[4:5], v[152:153], v[86:87]
	v_fmac_f64_e32 v[184:185], v[176:177], v[116:117]
	v_fma_f64 v[4:5], v[150:151], v[88:89], -v[4:5]
	v_add_f64 v[186:187], v[182:183], v[184:185]
	ds_read_b128 v[182:185], v1 offset:1712
	s_waitcnt vmcnt(34) lgkmcnt(1)
	v_mul_f64 v[188:189], v[178:179], v[126:127]
	v_add_f64 v[2:3], v[2:3], v[4:5]
	v_mul_f64 v[4:5], v[156:157], v[98:99]
	s_waitcnt vmcnt(32)
	v_fmac_f64_e32 v[188:189], v[180:181], v[128:129]
	v_fma_f64 v[4:5], v[154:155], v[100:101], -v[4:5]
	v_add_f64 v[190:191], v[186:187], v[188:189]
	ds_read_b128 v[186:189], v1 offset:1728
	v_add_f64 v[2:3], v[2:3], v[4:5]
	v_mul_f64 v[4:5], v[160:161], v[94:95]
	v_fma_f64 v[4:5], v[158:159], v[96:97], -v[4:5]
	v_add_f64 v[2:3], v[2:3], v[4:5]
	v_mul_f64 v[4:5], v[164:165], v[106:107]
	s_waitcnt lgkmcnt(1)
	v_mul_f64 v[192:193], v[182:183], v[122:123]
	v_fma_f64 v[4:5], v[162:163], v[108:109], -v[4:5]
	v_fmac_f64_e32 v[192:193], v[184:185], v[124:125]
	v_add_f64 v[2:3], v[2:3], v[4:5]
	v_mul_f64 v[4:5], v[168:169], v[102:103]
	v_add_f64 v[194:195], v[190:191], v[192:193]
	ds_read_b128 v[190:193], v1 offset:1744
	s_waitcnt vmcnt(26) lgkmcnt(1)
	v_mul_f64 v[196:197], v[186:187], v[134:135]
	v_fma_f64 v[4:5], v[166:167], v[104:105], -v[4:5]
	s_waitcnt vmcnt(24)
	v_fmac_f64_e32 v[196:197], v[188:189], v[136:137]
	v_add_f64 v[2:3], v[2:3], v[4:5]
	v_mul_f64 v[4:5], v[172:173], v[118:119]
	v_add_f64 v[198:199], v[194:195], v[196:197]
	ds_read_b128 v[194:197], v1 offset:1760
	v_fma_f64 v[4:5], v[170:171], v[120:121], -v[4:5]
	v_add_f64 v[2:3], v[2:3], v[4:5]
	v_mul_f64 v[4:5], v[176:177], v[114:115]
	v_fma_f64 v[4:5], v[174:175], v[116:117], -v[4:5]
	s_waitcnt lgkmcnt(1)
	v_mul_f64 v[200:201], v[190:191], v[130:131]
	v_add_f64 v[2:3], v[2:3], v[4:5]
	v_mul_f64 v[4:5], v[180:181], v[126:127]
	v_fmac_f64_e32 v[200:201], v[192:193], v[132:133]
	v_fma_f64 v[4:5], v[178:179], v[128:129], -v[4:5]
	v_add_f64 v[202:203], v[198:199], v[200:201]
	ds_read_b128 v[198:201], v1 offset:1776
	s_waitcnt vmcnt(18) lgkmcnt(1)
	v_mul_f64 v[204:205], v[194:195], v[218:219]
	v_add_f64 v[2:3], v[2:3], v[4:5]
	v_mul_f64 v[4:5], v[184:185], v[122:123]
	s_waitcnt vmcnt(16)
	v_fmac_f64_e32 v[204:205], v[196:197], v[220:221]
	v_fma_f64 v[4:5], v[182:183], v[124:125], -v[4:5]
	v_add_f64 v[206:207], v[202:203], v[204:205]
	ds_read_b128 v[202:205], v1 offset:1792
	v_add_f64 v[2:3], v[2:3], v[4:5]
	v_mul_f64 v[4:5], v[188:189], v[134:135]
	v_fma_f64 v[4:5], v[186:187], v[136:137], -v[4:5]
	v_add_f64 v[2:3], v[2:3], v[4:5]
	v_mul_f64 v[4:5], v[192:193], v[130:131]
	s_waitcnt lgkmcnt(1)
	v_mul_f64 v[208:209], v[198:199], v[138:139]
	v_fma_f64 v[4:5], v[190:191], v[132:133], -v[4:5]
	v_fmac_f64_e32 v[208:209], v[200:201], v[140:141]
	v_add_f64 v[2:3], v[2:3], v[4:5]
	v_mul_f64 v[4:5], v[196:197], v[218:219]
	v_add_f64 v[210:211], v[206:207], v[208:209]
	ds_read_b128 v[206:209], v1 offset:1808
	s_waitcnt vmcnt(10) lgkmcnt(1)
	v_mul_f64 v[212:213], v[202:203], v[226:227]
	v_fma_f64 v[4:5], v[194:195], v[220:221], -v[4:5]
	s_waitcnt vmcnt(8)
	v_fmac_f64_e32 v[212:213], v[204:205], v[228:229]
	v_add_f64 v[2:3], v[2:3], v[4:5]
	v_mul_f64 v[4:5], v[200:201], v[138:139]
	v_add_f64 v[238:239], v[210:211], v[212:213]
	ds_read_b128 v[210:213], v1 offset:1824
	ds_read_b128 v[214:217], v1 offset:1840
	v_fma_f64 v[4:5], v[198:199], v[140:141], -v[4:5]
	v_add_f64 v[2:3], v[2:3], v[4:5]
	v_mul_f64 v[4:5], v[204:205], v[226:227]
	v_fma_f64 v[4:5], v[202:203], v[228:229], -v[4:5]
	v_add_f64 v[2:3], v[2:3], v[4:5]
	s_waitcnt lgkmcnt(2)
	v_mul_f64 v[4:5], v[208:209], v[222:223]
	v_mul_f64 v[240:241], v[206:207], v[222:223]
	v_fma_f64 v[4:5], v[206:207], v[224:225], -v[4:5]
	v_fmac_f64_e32 v[240:241], v[208:209], v[224:225]
	v_add_f64 v[2:3], v[2:3], v[4:5]
	s_waitcnt vmcnt(2) lgkmcnt(1)
	v_mul_f64 v[4:5], v[212:213], v[234:235]
	v_add_f64 v[238:239], v[238:239], v[240:241]
	v_mul_f64 v[240:241], v[210:211], v[234:235]
	s_waitcnt vmcnt(0)
	v_fma_f64 v[4:5], v[210:211], v[236:237], -v[4:5]
	v_fmac_f64_e32 v[240:241], v[212:213], v[236:237]
	v_add_f64 v[2:3], v[2:3], v[4:5]
	s_waitcnt lgkmcnt(0)
	v_mul_f64 v[4:5], v[216:217], v[230:231]
	v_add_f64 v[238:239], v[238:239], v[240:241]
	v_mul_f64 v[240:241], v[214:215], v[230:231]
	v_fma_f64 v[4:5], v[214:215], v[232:233], -v[4:5]
	v_fmac_f64_e32 v[240:241], v[216:217], v[232:233]
	v_add_f64 v[2:3], v[2:3], v[4:5]
	v_add_f64 v[238:239], v[238:239], v[240:241]
	v_add_f64 v[2:3], v[62:63], -v[2:3]
	v_add_f64 v[4:5], v[60:61], -v[238:239]
	buffer_store_dword v3, off, s[0:3], 0 offset:468
	buffer_store_dword v2, off, s[0:3], 0 offset:464
	;; [unrolled: 1-line block ×4, first 2 shown]
	s_and_saveexec_b64 s[4:5], vcc
	s_cbranch_execz .LBB57_307
; %bb.306:
	v_accvgpr_read_b32 v5, a146
	buffer_load_dword v2, v5, s[0:3], 0 offen
	buffer_load_dword v3, v5, s[0:3], 0 offen offset:4
	buffer_load_dword v4, v5, s[0:3], 0 offen offset:8
	s_nop 0
	buffer_load_dword v5, v5, s[0:3], 0 offen offset:12
	v_accvgpr_read_b32 v6, a173
	buffer_store_dword v1, off, s[0:3], 0 offset:448
	buffer_store_dword v1, off, s[0:3], 0 offset:452
	;; [unrolled: 1-line block ×4, first 2 shown]
	s_waitcnt vmcnt(4)
	ds_write_b128 v6, v[2:5]
.LBB57_307:
	s_or_b64 exec, exec, s[4:5]
	s_waitcnt lgkmcnt(0)
	; wave barrier
	s_waitcnt lgkmcnt(0)
	buffer_load_dword v48, off, s[0:3], 0 offset:464
	buffer_load_dword v49, off, s[0:3], 0 offset:468
	;; [unrolled: 1-line block ×40, first 2 shown]
	ds_read_b128 v[38:41], v1 offset:1376
	ds_read_b128 v[34:37], v1 offset:1392
	;; [unrolled: 1-line block ×10, first 2 shown]
	buffer_load_dword v83, off, s[0:3], 0 offset:636
	buffer_load_dword v82, off, s[0:3], 0 offset:632
	;; [unrolled: 1-line block ×8, first 2 shown]
	v_cmp_lt_u32_e32 vcc, 26, v0
	s_waitcnt vmcnt(44) lgkmcnt(9)
	v_mul_f64 v[90:91], v[38:39], v[50:51]
	v_fmac_f64_e32 v[90:91], v[40:41], v[48:49]
	v_add_f64 v[90:91], v[90:91], 0
	v_mul_f64 v[40:41], v[40:41], v[50:51]
	s_waitcnt vmcnt(40) lgkmcnt(8)
	v_mul_f64 v[92:93], v[34:35], v[44:45]
	v_fmac_f64_e32 v[92:93], v[36:37], v[42:43]
	s_waitcnt vmcnt(38) lgkmcnt(7)
	v_mul_f64 v[94:95], v[30:31], v[46:47]
	v_add_f64 v[90:91], v[90:91], v[92:93]
	s_waitcnt vmcnt(36) lgkmcnt(5)
	v_mul_f64 v[98:99], v[22:23], v[52:53]
	v_mul_f64 v[36:37], v[36:37], v[44:45]
	s_waitcnt vmcnt(34)
	v_fmac_f64_e32 v[98:99], v[24:25], v[54:55]
	v_fma_f64 v[34:35], v[34:35], v[42:43], -v[36:37]
	s_waitcnt vmcnt(32)
	v_mul_f64 v[96:97], v[26:27], v[56:57]
	v_mul_f64 v[24:25], v[24:25], v[52:53]
	s_waitcnt vmcnt(30) lgkmcnt(4)
	v_mul_f64 v[100:101], v[18:19], v[62:63]
	v_fma_f64 v[22:23], v[22:23], v[54:55], -v[24:25]
	s_waitcnt vmcnt(28) lgkmcnt(1)
	v_mul_f64 v[122:123], v[2:3], v[64:65]
	s_waitcnt vmcnt(25)
	v_mul_f64 v[104:105], v[6:7], v[68:69]
	s_waitcnt vmcnt(23)
	;; [unrolled: 2-line block ×3, first 2 shown]
	v_fmac_f64_e32 v[102:103], v[12:13], v[72:73]
	v_mul_f64 v[12:13], v[12:13], v[70:71]
	s_waitcnt vmcnt(19)
	v_fmac_f64_e32 v[94:95], v[32:33], v[80:81]
	v_add_f64 v[90:91], v[90:91], v[94:95]
	s_waitcnt vmcnt(17)
	v_fmac_f64_e32 v[96:97], v[28:29], v[78:79]
	v_add_f64 v[90:91], v[90:91], v[96:97]
	;; [unrolled: 3-line block ×3, first 2 shown]
	v_add_f64 v[90:91], v[90:91], v[100:101]
	s_waitcnt vmcnt(13)
	v_fmac_f64_e32 v[104:105], v[8:9], v[74:75]
	v_add_f64 v[90:91], v[90:91], v[102:103]
	v_add_f64 v[124:125], v[90:91], v[104:105]
	buffer_load_dword v91, off, s[0:3], 0 offset:668
	buffer_load_dword v90, off, s[0:3], 0 offset:664
	;; [unrolled: 1-line block ×72, first 2 shown]
	s_waitcnt vmcnt(62)
	v_fmac_f64_e32 v[122:123], v[4:5], v[66:67]
	v_add_f64 v[150:151], v[124:125], v[122:123]
	ds_read_b128 v[122:125], v1 offset:1536
	s_waitcnt lgkmcnt(1)
	v_mul_f64 v[152:153], v[14:15], v[86:87]
	v_fmac_f64_e32 v[152:153], v[16:17], v[88:89]
	buffer_load_dword v235, off, s[0:3], 0 offset:940
	buffer_load_dword v234, off, s[0:3], 0 offset:936
	;; [unrolled: 1-line block ×4, first 2 shown]
	v_add_f64 v[154:155], v[150:151], v[152:153]
	s_waitcnt lgkmcnt(0)
	v_mul_f64 v[156:157], v[122:123], v[82:83]
	ds_read_b128 v[150:153], v1 offset:1552
	v_fmac_f64_e32 v[156:157], v[124:125], v[84:85]
	v_add_f64 v[158:159], v[154:155], v[156:157]
	ds_read_b128 v[154:157], v1 offset:1568
	v_mul_f64 v[32:33], v[32:33], v[46:47]
	s_waitcnt lgkmcnt(1)
	v_mul_f64 v[160:161], v[150:151], v[94:95]
	v_fma_f64 v[30:31], v[30:31], v[80:81], -v[32:33]
	v_fmac_f64_e32 v[160:161], v[152:153], v[96:97]
	s_waitcnt lgkmcnt(0)
	v_mul_f64 v[164:165], v[154:155], v[90:91]
	v_add_f64 v[162:163], v[158:159], v[160:161]
	ds_read_b128 v[158:161], v1 offset:1584
	v_fmac_f64_e32 v[164:165], v[156:157], v[92:93]
	v_add_f64 v[166:167], v[162:163], v[164:165]
	ds_read_b128 v[162:165], v1 offset:1600
	v_mul_f64 v[28:29], v[28:29], v[56:57]
	s_waitcnt vmcnt(62) lgkmcnt(1)
	v_mul_f64 v[168:169], v[158:159], v[102:103]
	s_waitcnt vmcnt(60)
	v_fmac_f64_e32 v[168:169], v[160:161], v[104:105]
	v_add_f64 v[170:171], v[166:167], v[168:169]
	s_waitcnt lgkmcnt(0)
	v_mul_f64 v[172:173], v[162:163], v[98:99]
	ds_read_b128 v[166:169], v1 offset:1616
	v_fmac_f64_e32 v[172:173], v[164:165], v[100:101]
	v_add_f64 v[174:175], v[170:171], v[172:173]
	ds_read_b128 v[170:173], v1 offset:1632
	v_fma_f64 v[26:27], v[26:27], v[78:79], -v[28:29]
	s_waitcnt vmcnt(54) lgkmcnt(1)
	v_mul_f64 v[176:177], v[166:167], v[110:111]
	s_waitcnt vmcnt(52)
	v_fmac_f64_e32 v[176:177], v[168:169], v[112:113]
	v_add_f64 v[178:179], v[174:175], v[176:177]
	s_waitcnt lgkmcnt(0)
	v_mul_f64 v[180:181], v[170:171], v[106:107]
	ds_read_b128 v[174:177], v1 offset:1648
	v_fmac_f64_e32 v[180:181], v[172:173], v[108:109]
	v_add_f64 v[182:183], v[178:179], v[180:181]
	ds_read_b128 v[178:181], v1 offset:1664
	v_mul_f64 v[20:21], v[20:21], v[62:63]
	s_waitcnt vmcnt(46) lgkmcnt(1)
	v_mul_f64 v[184:185], v[174:175], v[118:119]
	s_waitcnt vmcnt(44)
	v_fmac_f64_e32 v[184:185], v[176:177], v[120:121]
	v_add_f64 v[186:187], v[182:183], v[184:185]
	s_waitcnt lgkmcnt(0)
	v_mul_f64 v[188:189], v[178:179], v[114:115]
	ds_read_b128 v[182:185], v1 offset:1680
	v_fmac_f64_e32 v[188:189], v[180:181], v[116:117]
	v_add_f64 v[190:191], v[186:187], v[188:189]
	ds_read_b128 v[186:189], v1 offset:1696
	v_fma_f64 v[18:19], v[18:19], v[76:77], -v[20:21]
	s_waitcnt vmcnt(38) lgkmcnt(1)
	v_mul_f64 v[192:193], v[182:183], v[130:131]
	s_waitcnt vmcnt(36)
	v_fmac_f64_e32 v[192:193], v[184:185], v[132:133]
	v_add_f64 v[194:195], v[190:191], v[192:193]
	s_waitcnt lgkmcnt(0)
	v_mul_f64 v[196:197], v[186:187], v[126:127]
	ds_read_b128 v[190:193], v1 offset:1712
	v_fmac_f64_e32 v[196:197], v[188:189], v[128:129]
	v_add_f64 v[198:199], v[194:195], v[196:197]
	ds_read_b128 v[194:197], v1 offset:1728
	v_fma_f64 v[10:11], v[10:11], v[72:73], -v[12:13]
	s_waitcnt vmcnt(30) lgkmcnt(1)
	v_mul_f64 v[200:201], v[190:191], v[138:139]
	s_waitcnt vmcnt(28)
	v_fmac_f64_e32 v[200:201], v[192:193], v[140:141]
	v_add_f64 v[202:203], v[198:199], v[200:201]
	s_waitcnt lgkmcnt(0)
	v_mul_f64 v[204:205], v[194:195], v[134:135]
	ds_read_b128 v[198:201], v1 offset:1744
	v_fmac_f64_e32 v[204:205], v[196:197], v[136:137]
	v_add_f64 v[206:207], v[202:203], v[204:205]
	ds_read_b128 v[202:205], v1 offset:1760
	v_mul_f64 v[8:9], v[8:9], v[68:69]
	s_waitcnt vmcnt(22) lgkmcnt(1)
	v_mul_f64 v[208:209], v[198:199], v[146:147]
	s_waitcnt vmcnt(20)
	v_fmac_f64_e32 v[208:209], v[200:201], v[148:149]
	v_add_f64 v[210:211], v[206:207], v[208:209]
	s_waitcnt lgkmcnt(0)
	v_mul_f64 v[212:213], v[202:203], v[142:143]
	ds_read_b128 v[206:209], v1 offset:1776
	v_fmac_f64_e32 v[212:213], v[204:205], v[144:145]
	v_add_f64 v[214:215], v[210:211], v[212:213]
	ds_read_b128 v[210:213], v1 offset:1792
	v_fma_f64 v[6:7], v[6:7], v[74:75], -v[8:9]
	s_waitcnt vmcnt(14) lgkmcnt(1)
	v_mul_f64 v[216:217], v[206:207], v[222:223]
	s_waitcnt vmcnt(12)
	v_fmac_f64_e32 v[216:217], v[208:209], v[224:225]
	v_add_f64 v[238:239], v[214:215], v[216:217]
	s_waitcnt lgkmcnt(0)
	v_mul_f64 v[240:241], v[210:211], v[218:219]
	v_fmac_f64_e32 v[240:241], v[212:213], v[220:221]
	v_add_f64 v[238:239], v[238:239], v[240:241]
	v_fma_f64 v[240:241], v[38:39], v[48:49], -v[40:41]
	v_add_f64 v[240:241], v[240:241], 0
	v_add_f64 v[34:35], v[240:241], v[34:35]
	;; [unrolled: 1-line block ×7, first 2 shown]
	v_mul_f64 v[4:5], v[4:5], v[64:65]
	v_add_f64 v[6:7], v[10:11], v[6:7]
	v_fma_f64 v[2:3], v[2:3], v[66:67], -v[4:5]
	v_mul_f64 v[4:5], v[16:17], v[86:87]
	v_add_f64 v[2:3], v[6:7], v[2:3]
	v_fma_f64 v[4:5], v[14:15], v[88:89], -v[4:5]
	v_add_f64 v[2:3], v[2:3], v[4:5]
	v_mul_f64 v[4:5], v[124:125], v[82:83]
	v_fma_f64 v[4:5], v[122:123], v[84:85], -v[4:5]
	v_add_f64 v[2:3], v[2:3], v[4:5]
	v_mul_f64 v[4:5], v[152:153], v[94:95]
	;; [unrolled: 3-line block ×15, first 2 shown]
	ds_read_b128 v[214:217], v1 offset:1808
	ds_read_b128 v[38:41], v1 offset:1824
	v_fma_f64 v[4:5], v[202:203], v[144:145], -v[4:5]
	v_add_f64 v[2:3], v[2:3], v[4:5]
	v_mul_f64 v[4:5], v[208:209], v[222:223]
	v_fma_f64 v[4:5], v[206:207], v[224:225], -v[4:5]
	v_add_f64 v[2:3], v[2:3], v[4:5]
	v_mul_f64 v[4:5], v[212:213], v[218:219]
	ds_read_b128 v[48:51], v1 offset:1840
	v_fma_f64 v[4:5], v[210:211], v[220:221], -v[4:5]
	v_add_f64 v[2:3], v[2:3], v[4:5]
	s_waitcnt vmcnt(6) lgkmcnt(2)
	v_mul_f64 v[4:5], v[216:217], v[230:231]
	v_mul_f64 v[242:243], v[214:215], v[230:231]
	s_waitcnt vmcnt(4)
	v_fma_f64 v[4:5], v[214:215], v[232:233], -v[4:5]
	v_fmac_f64_e32 v[242:243], v[216:217], v[232:233]
	v_add_f64 v[2:3], v[2:3], v[4:5]
	s_waitcnt lgkmcnt(1)
	v_mul_f64 v[4:5], v[40:41], v[226:227]
	v_add_f64 v[238:239], v[238:239], v[242:243]
	v_mul_f64 v[242:243], v[38:39], v[226:227]
	v_fma_f64 v[4:5], v[38:39], v[228:229], -v[4:5]
	v_fmac_f64_e32 v[242:243], v[40:41], v[228:229]
	v_add_f64 v[2:3], v[2:3], v[4:5]
	s_waitcnt vmcnt(2) lgkmcnt(0)
	v_mul_f64 v[4:5], v[50:51], v[234:235]
	v_add_f64 v[238:239], v[238:239], v[242:243]
	v_mul_f64 v[242:243], v[48:49], v[234:235]
	s_waitcnt vmcnt(0)
	v_fma_f64 v[4:5], v[48:49], v[236:237], -v[4:5]
	v_fmac_f64_e32 v[242:243], v[50:51], v[236:237]
	v_add_f64 v[2:3], v[2:3], v[4:5]
	v_add_f64 v[238:239], v[238:239], v[242:243]
	v_add_f64 v[2:3], v[60:61], -v[2:3]
	v_add_f64 v[4:5], v[58:59], -v[238:239]
	buffer_store_dword v3, off, s[0:3], 0 offset:452
	buffer_store_dword v2, off, s[0:3], 0 offset:448
	;; [unrolled: 1-line block ×4, first 2 shown]
	s_and_saveexec_b64 s[4:5], vcc
	s_cbranch_execz .LBB57_309
; %bb.308:
	v_accvgpr_read_b32 v1, a147
	buffer_load_dword v2, v1, s[0:3], 0 offen
	buffer_load_dword v3, v1, s[0:3], 0 offen offset:4
	buffer_load_dword v4, v1, s[0:3], 0 offen offset:8
	;; [unrolled: 1-line block ×3, first 2 shown]
	v_mov_b32_e32 v1, 0
	v_accvgpr_read_b32 v6, a173
	buffer_store_dword v1, off, s[0:3], 0 offset:432
	buffer_store_dword v1, off, s[0:3], 0 offset:436
	;; [unrolled: 1-line block ×4, first 2 shown]
	s_waitcnt vmcnt(4)
	ds_write_b128 v6, v[2:5]
.LBB57_309:
	s_or_b64 exec, exec, s[4:5]
	s_waitcnt lgkmcnt(0)
	; wave barrier
	s_waitcnt lgkmcnt(0)
	buffer_load_dword v106, off, s[0:3], 0 offset:448
	buffer_load_dword v107, off, s[0:3], 0 offset:452
	;; [unrolled: 1-line block ×49, first 2 shown]
	v_mov_b32_e32 v1, 0
	ds_read_b128 v[110:113], v1 offset:1360
	ds_read_b128 v[250:253], v1 offset:1376
	;; [unrolled: 1-line block ×10, first 2 shown]
	buffer_load_dword v158, off, s[0:3], 0 offset:640
	buffer_load_dword v173, off, s[0:3], 0 offset:636
	;; [unrolled: 1-line block ×69, first 2 shown]
	v_cmp_lt_u32_e32 vcc, 25, v0
	s_waitcnt vmcnt(62) lgkmcnt(9)
	v_mul_f64 v[34:35], v[110:111], v[108:109]
	v_fmac_f64_e32 v[34:35], v[112:113], v[106:107]
	v_add_f64 v[34:35], v[34:35], 0
	v_mul_f64 v[108:109], v[112:113], v[108:109]
	s_waitcnt lgkmcnt(8)
	v_mul_f64 v[36:37], v[250:251], v[116:117]
	v_fmac_f64_e32 v[36:37], v[252:253], v[114:115]
	s_waitcnt lgkmcnt(7)
	v_mul_f64 v[38:39], v[30:31], v[118:119]
	v_add_f64 v[34:35], v[34:35], v[36:37]
	s_waitcnt lgkmcnt(5)
	v_mul_f64 v[42:43], v[22:23], v[120:121]
	v_mul_f64 v[116:117], v[252:253], v[116:117]
	v_fmac_f64_e32 v[42:43], v[24:25], v[122:123]
	v_fma_f64 v[248:249], v[110:111], v[106:107], -v[108:109]
	v_mul_f64 v[40:41], v[26:27], v[124:125]
	v_fma_f64 v[250:251], v[250:251], v[114:115], -v[116:117]
	s_waitcnt lgkmcnt(3)
	v_mul_f64 v[46:47], v[14:15], v[126:127]
	v_mul_f64 v[24:25], v[24:25], v[120:121]
	v_fmac_f64_e32 v[46:47], v[16:17], v[128:129]
	v_fma_f64 v[22:23], v[22:23], v[122:123], -v[24:25]
	v_mul_f64 v[44:45], v[18:19], v[130:131]
	v_mul_f64 v[16:17], v[16:17], v[126:127]
	s_waitcnt lgkmcnt(1)
	v_mul_f64 v[50:51], v[6:7], v[132:133]
	v_fma_f64 v[14:15], v[14:15], v[128:129], -v[16:17]
	v_fmac_f64_e32 v[50:51], v[8:9], v[134:135]
	v_mul_f64 v[8:9], v[8:9], v[132:133]
	v_mul_f64 v[48:49], v[10:11], v[140:141]
	v_fma_f64 v[6:7], v[6:7], v[134:135], -v[8:9]
	s_waitcnt lgkmcnt(0)
	v_mul_f64 v[52:53], v[2:3], v[136:137]
	v_fmac_f64_e32 v[38:39], v[32:33], v[152:153]
	v_add_f64 v[34:35], v[34:35], v[38:39]
	v_fmac_f64_e32 v[40:41], v[28:29], v[150:151]
	v_add_f64 v[34:35], v[34:35], v[40:41]
	;; [unrolled: 2-line block ×3, first 2 shown]
	v_add_f64 v[34:35], v[34:35], v[44:45]
	v_fmac_f64_e32 v[48:49], v[12:13], v[146:147]
	v_add_f64 v[34:35], v[34:35], v[46:47]
	v_add_f64 v[34:35], v[34:35], v[48:49]
	v_fmac_f64_e32 v[52:53], v[4:5], v[144:145]
	v_add_f64 v[34:35], v[34:35], v[50:51]
	v_add_f64 v[42:43], v[34:35], v[52:53]
	ds_read_b128 v[38:41], v1 offset:1520
	ds_read_b128 v[34:37], v1 offset:1536
	buffer_load_dword v221, off, s[0:3], 0 offset:940
	buffer_load_dword v220, off, s[0:3], 0 offset:936
	;; [unrolled: 1-line block ×8, first 2 shown]
	ds_read_b128 v[110:113], v1 offset:1808
	ds_read_b128 v[106:109], v1 offset:1824
	s_waitcnt lgkmcnt(3)
	v_mul_f64 v[44:45], v[38:39], v[142:143]
	v_fmac_f64_e32 v[44:45], v[40:41], v[154:155]
	v_add_f64 v[46:47], v[42:43], v[44:45]
	ds_read_b128 v[42:45], v1 offset:1552
	s_waitcnt lgkmcnt(3)
	v_mul_f64 v[48:49], v[34:35], v[172:173]
	v_fmac_f64_e32 v[48:49], v[36:37], v[176:177]
	v_add_f64 v[50:51], v[46:47], v[48:49]
	;; [unrolled: 5-line block ×3, first 2 shown]
	ds_read_b128 v[50:53], v1 offset:1584
	s_waitcnt vmcnt(62) lgkmcnt(1)
	v_mul_f64 v[56:57], v[46:47], v[180:181]
	v_fmac_f64_e32 v[56:57], v[48:49], v[184:185]
	v_add_f64 v[58:59], v[54:55], v[56:57]
	ds_read_b128 v[54:57], v1 offset:1600
	s_waitcnt lgkmcnt(1)
	v_mul_f64 v[60:61], v[50:51], v[160:161]
	v_fmac_f64_e32 v[60:61], v[52:53], v[162:163]
	v_add_f64 v[62:63], v[58:59], v[60:61]
	ds_read_b128 v[58:61], v1 offset:1616
	s_waitcnt vmcnt(58) lgkmcnt(1)
	v_mul_f64 v[64:65], v[54:55], v[188:189]
	s_waitcnt vmcnt(56)
	v_fmac_f64_e32 v[64:65], v[56:57], v[192:193]
	v_add_f64 v[66:67], v[62:63], v[64:65]
	ds_read_b128 v[62:65], v1 offset:1632
	s_waitcnt lgkmcnt(1)
	v_mul_f64 v[68:69], v[58:59], v[164:165]
	v_fmac_f64_e32 v[68:69], v[60:61], v[166:167]
	v_add_f64 v[70:71], v[66:67], v[68:69]
	ds_read_b128 v[66:69], v1 offset:1648
	s_waitcnt vmcnt(50) lgkmcnt(1)
	v_mul_f64 v[72:73], v[62:63], v[196:197]
	s_waitcnt vmcnt(48)
	;; [unrolled: 11-line block ×5, first 2 shown]
	v_fmac_f64_e32 v[96:97], v[88:89], v[218:219]
	v_add_f64 v[98:99], v[94:95], v[96:97]
	ds_read_b128 v[94:97], v1 offset:1760
	s_waitcnt lgkmcnt(1)
	v_mul_f64 v[100:101], v[90:91], v[190:191]
	v_fmac_f64_e32 v[100:101], v[92:93], v[194:195]
	v_add_f64 v[224:225], v[98:99], v[100:101]
	ds_read_b128 v[98:101], v1 offset:1776
	ds_read_b128 v[102:105], v1 offset:1792
	;; [unrolled: 1-line block ×3, first 2 shown]
	buffer_load_dword v252, off, s[0:3], 0 offset:440
	buffer_load_dword v253, off, s[0:3], 0 offset:444
	s_waitcnt vmcnt(20) lgkmcnt(3)
	v_mul_f64 v[226:227], v[94:95], v[222:223]
	s_waitcnt vmcnt(18)
	v_fmac_f64_e32 v[226:227], v[96:97], v[236:237]
	v_add_f64 v[224:225], v[224:225], v[226:227]
	s_waitcnt lgkmcnt(2)
	v_mul_f64 v[226:227], v[98:99], v[198:199]
	v_fmac_f64_e32 v[226:227], v[100:101], v[202:203]
	v_add_f64 v[224:225], v[224:225], v[226:227]
	s_waitcnt vmcnt(12) lgkmcnt(1)
	v_mul_f64 v[226:227], v[102:103], v[238:239]
	s_waitcnt vmcnt(10)
	v_fmac_f64_e32 v[226:227], v[104:105], v[240:241]
	v_add_f64 v[224:225], v[224:225], v[226:227]
	v_mul_f64 v[226:227], v[110:111], v[206:207]
	v_fmac_f64_e32 v[226:227], v[112:113], v[210:211]
	v_add_f64 v[224:225], v[224:225], v[226:227]
	s_waitcnt vmcnt(4)
	v_mul_f64 v[226:227], v[106:107], v[242:243]
	v_mul_f64 v[32:33], v[32:33], v[118:119]
	s_waitcnt vmcnt(2)
	v_fmac_f64_e32 v[226:227], v[108:109], v[244:245]
	v_add_f64 v[224:225], v[224:225], v[226:227]
	s_waitcnt lgkmcnt(0)
	v_mul_f64 v[226:227], v[114:115], v[220:221]
	v_fmac_f64_e32 v[226:227], v[116:117], v[234:235]
	v_add_f64 v[246:247], v[224:225], v[226:227]
	v_add_f64 v[224:225], v[248:249], 0
	;; [unrolled: 1-line block ×3, first 2 shown]
	v_fma_f64 v[30:31], v[30:31], v[152:153], -v[32:33]
	v_mul_f64 v[28:29], v[28:29], v[124:125]
	v_add_f64 v[30:31], v[224:225], v[30:31]
	v_fma_f64 v[26:27], v[26:27], v[150:151], -v[28:29]
	v_add_f64 v[26:27], v[30:31], v[26:27]
	v_mul_f64 v[20:21], v[20:21], v[130:131]
	v_add_f64 v[22:23], v[26:27], v[22:23]
	v_fma_f64 v[18:19], v[18:19], v[148:149], -v[20:21]
	v_add_f64 v[18:19], v[22:23], v[18:19]
	;; [unrolled: 4-line block ×3, first 2 shown]
	v_mul_f64 v[4:5], v[4:5], v[136:137]
	v_add_f64 v[6:7], v[10:11], v[6:7]
	v_fma_f64 v[2:3], v[2:3], v[144:145], -v[4:5]
	v_mul_f64 v[4:5], v[40:41], v[142:143]
	v_add_f64 v[2:3], v[6:7], v[2:3]
	v_fma_f64 v[4:5], v[38:39], v[154:155], -v[4:5]
	v_add_f64 v[2:3], v[2:3], v[4:5]
	v_mul_f64 v[4:5], v[36:37], v[172:173]
	v_fma_f64 v[4:5], v[34:35], v[176:177], -v[4:5]
	v_add_f64 v[2:3], v[2:3], v[4:5]
	v_mul_f64 v[4:5], v[44:45], v[156:157]
	;; [unrolled: 3-line block ×20, first 2 shown]
	v_fma_f64 v[4:5], v[114:115], v[234:235], -v[4:5]
	v_add_f64 v[2:3], v[2:3], v[4:5]
	v_add_f64 v[2:3], v[138:139], -v[2:3]
	s_waitcnt vmcnt(0)
	v_add_f64 v[4:5], v[252:253], -v[246:247]
	buffer_store_dword v3, off, s[0:3], 0 offset:436
	buffer_store_dword v2, off, s[0:3], 0 offset:432
	;; [unrolled: 1-line block ×4, first 2 shown]
	s_and_saveexec_b64 s[4:5], vcc
	s_cbranch_execz .LBB57_311
; %bb.310:
	v_accvgpr_read_b32 v5, a148
	buffer_load_dword v2, v5, s[0:3], 0 offen
	buffer_load_dword v3, v5, s[0:3], 0 offen offset:4
	buffer_load_dword v4, v5, s[0:3], 0 offen offset:8
	s_nop 0
	buffer_load_dword v5, v5, s[0:3], 0 offen offset:12
	v_accvgpr_read_b32 v6, a173
	buffer_store_dword v1, off, s[0:3], 0 offset:416
	buffer_store_dword v1, off, s[0:3], 0 offset:420
	;; [unrolled: 1-line block ×4, first 2 shown]
	s_waitcnt vmcnt(4)
	ds_write_b128 v6, v[2:5]
.LBB57_311:
	s_or_b64 exec, exec, s[4:5]
	s_waitcnt lgkmcnt(0)
	; wave barrier
	s_waitcnt lgkmcnt(0)
	buffer_load_dword v112, off, s[0:3], 0 offset:432
	buffer_load_dword v113, off, s[0:3], 0 offset:436
	;; [unrolled: 1-line block ×36, first 2 shown]
	ds_read_b128 v[102:105], v1 offset:1344
	ds_read_b128 v[106:109], v1 offset:1360
	;; [unrolled: 1-line block ×9, first 2 shown]
	buffer_load_dword v143, off, s[0:3], 0 offset:604
	buffer_load_dword v142, off, s[0:3], 0 offset:600
	;; [unrolled: 1-line block ×78, first 2 shown]
	v_cmp_lt_u32_e32 vcc, 24, v0
	s_waitcnt vmcnt(62) lgkmcnt(8)
	v_mul_f64 v[26:27], v[102:103], v[246:247]
	v_fmac_f64_e32 v[26:27], v[104:105], v[112:113]
	v_add_f64 v[26:27], v[26:27], 0
	v_mul_f64 v[104:105], v[104:105], v[246:247]
	s_waitcnt lgkmcnt(7)
	v_mul_f64 v[28:29], v[106:107], v[248:249]
	v_fmac_f64_e32 v[28:29], v[108:109], v[110:111]
	s_waitcnt lgkmcnt(6)
	v_mul_f64 v[30:31], v[114:115], v[244:245]
	v_add_f64 v[26:27], v[26:27], v[28:29]
	s_waitcnt lgkmcnt(4)
	v_mul_f64 v[34:35], v[18:19], v[118:119]
	v_fma_f64 v[246:247], v[102:103], v[112:113], -v[104:105]
	v_fmac_f64_e32 v[34:35], v[20:21], v[120:121]
	v_mul_f64 v[108:109], v[108:109], v[248:249]
	v_mul_f64 v[32:33], v[22:23], v[122:123]
	v_fma_f64 v[248:249], v[106:107], v[110:111], -v[108:109]
	s_waitcnt lgkmcnt(2)
	v_mul_f64 v[38:39], v[10:11], v[124:125]
	v_mul_f64 v[20:21], v[20:21], v[118:119]
	v_fmac_f64_e32 v[38:39], v[12:13], v[126:127]
	v_fma_f64 v[18:19], v[18:19], v[120:121], -v[20:21]
	v_mul_f64 v[36:37], v[14:15], v[130:131]
	v_mul_f64 v[12:13], v[12:13], v[124:125]
	s_waitcnt lgkmcnt(1)
	v_mul_f64 v[40:41], v[6:7], v[128:129]
	v_fma_f64 v[10:11], v[10:11], v[126:127], -v[12:13]
	v_fmac_f64_e32 v[30:31], v[116:117], v[250:251]
	v_add_f64 v[26:27], v[26:27], v[30:31]
	v_fmac_f64_e32 v[32:33], v[24:25], v[138:139]
	v_add_f64 v[26:27], v[26:27], v[32:33]
	;; [unrolled: 2-line block ×3, first 2 shown]
	v_add_f64 v[26:27], v[26:27], v[36:37]
	v_fmac_f64_e32 v[40:41], v[8:9], v[134:135]
	v_add_f64 v[30:31], v[26:27], v[38:39]
	v_add_f64 v[30:31], v[30:31], v[40:41]
	s_waitcnt lgkmcnt(0)
	v_mul_f64 v[32:33], v[2:3], v[132:133]
	v_fmac_f64_e32 v[32:33], v[4:5], v[140:141]
	ds_read_b128 v[26:29], v1 offset:1488
	v_add_f64 v[34:35], v[30:31], v[32:33]
	ds_read_b128 v[30:33], v1 offset:1504
	buffer_load_dword v221, off, s[0:3], 0 offset:868
	buffer_load_dword v220, off, s[0:3], 0 offset:864
	v_mul_f64 v[116:117], v[116:117], v[244:245]
	s_waitcnt lgkmcnt(1)
	v_mul_f64 v[36:37], v[26:27], v[146:147]
	v_fmac_f64_e32 v[36:37], v[28:29], v[148:149]
	v_add_f64 v[38:39], v[34:35], v[36:37]
	ds_read_b128 v[34:37], v1 offset:1520
	s_waitcnt lgkmcnt(1)
	v_mul_f64 v[40:41], v[30:31], v[142:143]
	v_fmac_f64_e32 v[40:41], v[32:33], v[144:145]
	v_add_f64 v[42:43], v[38:39], v[40:41]
	ds_read_b128 v[38:41], v1 offset:1536
	;; [unrolled: 5-line block ×4, first 2 shown]
	buffer_load_dword v223, off, s[0:3], 0 offset:924
	buffer_load_dword v235, off, s[0:3], 0 offset:908
	;; [unrolled: 1-line block ×12, first 2 shown]
	s_waitcnt vmcnt(62) lgkmcnt(1)
	v_mul_f64 v[52:53], v[42:43], v[174:175]
	v_fmac_f64_e32 v[52:53], v[44:45], v[178:179]
	v_add_f64 v[54:55], v[50:51], v[52:53]
	ds_read_b128 v[50:53], v1 offset:1584
	s_waitcnt lgkmcnt(1)
	v_mul_f64 v[56:57], v[46:47], v[154:155]
	v_fmac_f64_e32 v[56:57], v[48:49], v[156:157]
	v_add_f64 v[58:59], v[54:55], v[56:57]
	ds_read_b128 v[54:57], v1 offset:1600
	s_waitcnt lgkmcnt(1)
	v_mul_f64 v[60:61], v[50:51], v[182:183]
	s_waitcnt vmcnt(60)
	v_fmac_f64_e32 v[60:61], v[52:53], v[186:187]
	v_add_f64 v[62:63], v[58:59], v[60:61]
	ds_read_b128 v[58:61], v1 offset:1616
	s_waitcnt lgkmcnt(1)
	v_mul_f64 v[64:65], v[54:55], v[162:163]
	v_fmac_f64_e32 v[64:65], v[56:57], v[164:165]
	v_add_f64 v[66:67], v[62:63], v[64:65]
	ds_read_b128 v[62:65], v1 offset:1632
	s_waitcnt vmcnt(54) lgkmcnt(1)
	v_mul_f64 v[68:69], v[58:59], v[190:191]
	s_waitcnt vmcnt(52)
	v_fmac_f64_e32 v[68:69], v[60:61], v[194:195]
	v_add_f64 v[70:71], v[66:67], v[68:69]
	ds_read_b128 v[66:69], v1 offset:1648
	s_waitcnt lgkmcnt(1)
	v_mul_f64 v[72:73], v[62:63], v[166:167]
	v_fmac_f64_e32 v[72:73], v[64:65], v[168:169]
	v_add_f64 v[74:75], v[70:71], v[72:73]
	ds_read_b128 v[70:73], v1 offset:1664
	s_waitcnt vmcnt(46) lgkmcnt(1)
	;; [unrolled: 11-line block ×4, first 2 shown]
	v_mul_f64 v[92:93], v[82:83], v[210:211]
	s_waitcnt vmcnt(28)
	v_fmac_f64_e32 v[92:93], v[84:85], v[212:213]
	v_add_f64 v[98:99], v[90:91], v[92:93]
	ds_read_b128 v[90:93], v1 offset:1744
	ds_read_b128 v[94:97], v1 offset:1760
	s_waitcnt lgkmcnt(2)
	v_mul_f64 v[100:101], v[86:87], v[184:185]
	v_fmac_f64_e32 v[100:101], v[88:89], v[188:189]
	v_add_f64 v[98:99], v[98:99], v[100:101]
	s_waitcnt vmcnt(22) lgkmcnt(1)
	v_mul_f64 v[100:101], v[90:91], v[214:215]
	s_waitcnt vmcnt(20)
	v_fmac_f64_e32 v[100:101], v[92:93], v[216:217]
	v_add_f64 v[98:99], v[98:99], v[100:101]
	s_waitcnt lgkmcnt(0)
	v_mul_f64 v[100:101], v[94:95], v[192:193]
	v_fmac_f64_e32 v[100:101], v[96:97], v[196:197]
	v_add_f64 v[224:225], v[98:99], v[100:101]
	ds_read_b128 v[98:101], v1 offset:1776
	ds_read_b128 v[102:105], v1 offset:1792
	;; [unrolled: 1-line block ×3, first 2 shown]
	v_fma_f64 v[250:251], v[114:115], v[250:251], -v[116:117]
	ds_read_b128 v[114:117], v1 offset:1840
	s_waitcnt vmcnt(14) lgkmcnt(3)
	v_mul_f64 v[112:113], v[98:99], v[218:219]
	s_waitcnt lgkmcnt(2)
	v_mul_f64 v[110:111], v[102:103], v[200:201]
	s_waitcnt vmcnt(12)
	v_fmac_f64_e32 v[112:113], v[100:101], v[220:221]
	v_add_f64 v[112:113], v[224:225], v[112:113]
	v_fmac_f64_e32 v[110:111], v[104:105], v[204:205]
	v_add_f64 v[224:225], v[112:113], v[110:111]
	ds_read_b128 v[110:113], v1 offset:1824
	buffer_load_dword v254, off, s[0:3], 0 offset:416
	buffer_load_dword v255, off, s[0:3], 0 offset:420
	;; [unrolled: 1-line block ×4, first 2 shown]
	v_mul_f64 v[24:25], v[24:25], v[122:123]
	v_fma_f64 v[22:23], v[22:23], v[138:139], -v[24:25]
	v_mul_f64 v[16:17], v[16:17], v[130:131]
	s_waitcnt vmcnt(13) lgkmcnt(2)
	v_mul_f64 v[226:227], v[106:107], v[234:235]
	v_fma_f64 v[14:15], v[14:15], v[136:137], -v[16:17]
	s_waitcnt vmcnt(11)
	v_fmac_f64_e32 v[226:227], v[108:109], v[240:241]
	v_add_f64 v[224:225], v[224:225], v[226:227]
	s_waitcnt vmcnt(10) lgkmcnt(0)
	v_mul_f64 v[226:227], v[110:111], v[222:223]
	s_waitcnt vmcnt(8)
	v_fmac_f64_e32 v[226:227], v[112:113], v[238:239]
	v_add_f64 v[224:225], v[224:225], v[226:227]
	s_waitcnt vmcnt(6)
	v_mul_f64 v[226:227], v[114:115], v[236:237]
	v_mul_f64 v[8:9], v[8:9], v[128:129]
	s_waitcnt vmcnt(4)
	v_fmac_f64_e32 v[226:227], v[116:117], v[242:243]
	v_add_f64 v[244:245], v[224:225], v[226:227]
	v_add_f64 v[224:225], v[246:247], 0
	;; [unrolled: 1-line block ×8, first 2 shown]
	v_fma_f64 v[6:7], v[6:7], v[134:135], -v[8:9]
	v_mul_f64 v[4:5], v[4:5], v[132:133]
	v_add_f64 v[6:7], v[10:11], v[6:7]
	v_fma_f64 v[2:3], v[2:3], v[140:141], -v[4:5]
	v_mul_f64 v[4:5], v[28:29], v[146:147]
	v_add_f64 v[2:3], v[6:7], v[2:3]
	v_fma_f64 v[4:5], v[26:27], v[148:149], -v[4:5]
	v_add_f64 v[2:3], v[2:3], v[4:5]
	v_mul_f64 v[4:5], v[32:33], v[142:143]
	v_fma_f64 v[4:5], v[30:31], v[144:145], -v[4:5]
	v_add_f64 v[2:3], v[2:3], v[4:5]
	v_mul_f64 v[4:5], v[36:37], v[158:159]
	;; [unrolled: 3-line block ×22, first 2 shown]
	v_fma_f64 v[4:5], v[114:115], v[242:243], -v[4:5]
	v_add_f64 v[2:3], v[2:3], v[4:5]
	s_waitcnt vmcnt(2)
	v_add_f64 v[2:3], v[254:255], -v[2:3]
	s_waitcnt vmcnt(0)
	v_add_f64 v[4:5], v[252:253], -v[244:245]
	buffer_store_dword v3, off, s[0:3], 0 offset:420
	buffer_store_dword v2, off, s[0:3], 0 offset:416
	;; [unrolled: 1-line block ×4, first 2 shown]
	s_and_saveexec_b64 s[4:5], vcc
	s_cbranch_execz .LBB57_313
; %bb.312:
	v_accvgpr_read_b32 v1, a149
	buffer_load_dword v2, v1, s[0:3], 0 offen
	buffer_load_dword v3, v1, s[0:3], 0 offen offset:4
	buffer_load_dword v4, v1, s[0:3], 0 offen offset:8
	;; [unrolled: 1-line block ×3, first 2 shown]
	v_mov_b32_e32 v1, 0
	v_accvgpr_read_b32 v6, a173
	buffer_store_dword v1, off, s[0:3], 0 offset:400
	buffer_store_dword v1, off, s[0:3], 0 offset:404
	;; [unrolled: 1-line block ×4, first 2 shown]
	s_waitcnt vmcnt(4)
	ds_write_b128 v6, v[2:5]
.LBB57_313:
	s_or_b64 exec, exec, s[4:5]
	s_waitcnt lgkmcnt(0)
	; wave barrier
	s_waitcnt lgkmcnt(0)
	buffer_load_dword v94, off, s[0:3], 0 offset:416
	buffer_load_dword v95, off, s[0:3], 0 offset:420
	;; [unrolled: 1-line block ×52, first 2 shown]
	v_mov_b32_e32 v1, 0
	ds_read_b128 v[102:105], v1 offset:1328
	ds_read_b128 v[114:117], v1 offset:1344
	;; [unrolled: 1-line block ×10, first 2 shown]
	v_cmp_lt_u32_e32 vcc, 23, v0
	s_waitcnt vmcnt(48) lgkmcnt(9)
	v_mul_f64 v[26:27], v[102:103], v[96:97]
	v_fmac_f64_e32 v[26:27], v[104:105], v[94:95]
	v_add_f64 v[26:27], v[26:27], 0
	v_mul_f64 v[96:97], v[104:105], v[96:97]
	s_waitcnt vmcnt(44) lgkmcnt(8)
	v_mul_f64 v[28:29], v[114:115], v[100:101]
	v_fmac_f64_e32 v[28:29], v[116:117], v[98:99]
	s_waitcnt vmcnt(42) lgkmcnt(7)
	v_mul_f64 v[30:31], v[244:245], v[106:107]
	v_add_f64 v[26:27], v[26:27], v[28:29]
	s_waitcnt vmcnt(40) lgkmcnt(5)
	v_mul_f64 v[34:35], v[22:23], v[120:121]
	v_fma_f64 v[226:227], v[102:103], v[94:95], -v[96:97]
	s_waitcnt vmcnt(38)
	v_fmac_f64_e32 v[34:35], v[24:25], v[124:125]
	v_mul_f64 v[100:101], v[116:117], v[100:101]
	s_waitcnt vmcnt(36)
	v_mul_f64 v[32:33], v[250:251], v[110:111]
	v_fma_f64 v[228:229], v[114:115], v[98:99], -v[100:101]
	s_waitcnt vmcnt(34) lgkmcnt(3)
	v_mul_f64 v[38:39], v[14:15], v[118:119]
	v_mul_f64 v[106:107], v[246:247], v[106:107]
	s_waitcnt vmcnt(32)
	v_fmac_f64_e32 v[38:39], v[16:17], v[122:123]
	v_mul_f64 v[110:111], v[252:253], v[110:111]
	s_waitcnt vmcnt(30)
	v_mul_f64 v[36:37], v[18:19], v[130:131]
	v_mul_f64 v[24:25], v[24:25], v[120:121]
	v_fma_f64 v[22:23], v[22:23], v[124:125], -v[24:25]
	s_waitcnt vmcnt(27) lgkmcnt(2)
	v_mul_f64 v[40:41], v[10:11], v[128:129]
	s_waitcnt vmcnt(26) lgkmcnt(1)
	v_mul_f64 v[42:43], v[6:7], v[126:127]
	v_mul_f64 v[16:17], v[16:17], v[118:119]
	s_waitcnt vmcnt(24)
	v_fmac_f64_e32 v[30:31], v[246:247], v[108:109]
	v_add_f64 v[26:27], v[26:27], v[30:31]
	s_waitcnt vmcnt(22)
	v_fmac_f64_e32 v[32:33], v[252:253], v[112:113]
	v_add_f64 v[26:27], v[26:27], v[32:33]
	;; [unrolled: 3-line block ×3, first 2 shown]
	v_add_f64 v[26:27], v[26:27], v[36:37]
	s_waitcnt vmcnt(18)
	v_fmac_f64_e32 v[40:41], v[12:13], v[132:133]
	v_add_f64 v[26:27], v[26:27], v[38:39]
	v_add_f64 v[26:27], v[26:27], v[40:41]
	s_waitcnt vmcnt(16)
	v_fmac_f64_e32 v[42:43], v[8:9], v[138:139]
	v_add_f64 v[34:35], v[26:27], v[42:43]
	ds_read_b128 v[26:29], v1 offset:1488
	ds_read_b128 v[30:33], v1 offset:1504
	buffer_load_dword v155, off, s[0:3], 0 offset:652
	buffer_load_dword v154, off, s[0:3], 0 offset:648
	;; [unrolled: 1-line block ×56, first 2 shown]
	s_waitcnt vmcnt(62) lgkmcnt(2)
	v_mul_f64 v[36:37], v[2:3], v[142:143]
	v_fmac_f64_e32 v[36:37], v[4:5], v[144:145]
	v_add_f64 v[34:35], v[34:35], v[36:37]
	s_waitcnt lgkmcnt(1)
	v_mul_f64 v[36:37], v[26:27], v[136:137]
	v_fmac_f64_e32 v[36:37], v[28:29], v[140:141]
	v_add_f64 v[34:35], v[34:35], v[36:37]
	s_waitcnt lgkmcnt(0)
	v_mul_f64 v[36:37], v[30:31], v[146:147]
	s_waitcnt vmcnt(60)
	v_fmac_f64_e32 v[36:37], v[32:33], v[150:151]
	v_add_f64 v[42:43], v[34:35], v[36:37]
	ds_read_b128 v[34:37], v1 offset:1520
	buffer_load_dword v199, off, s[0:3], 0 offset:876
	buffer_load_dword v198, off, s[0:3], 0 offset:872
	;; [unrolled: 1-line block ×16, first 2 shown]
	ds_read_b128 v[38:41], v1 offset:1536
	buffer_load_dword v221, off, s[0:3], 0 offset:940
	buffer_load_dword v220, off, s[0:3], 0 offset:936
	;; [unrolled: 1-line block ×8, first 2 shown]
	ds_read_b128 v[98:101], v1 offset:1776
	s_waitcnt vmcnt(62) lgkmcnt(2)
	v_mul_f64 v[44:45], v[34:35], v[148:149]
	v_fmac_f64_e32 v[44:45], v[36:37], v[152:153]
	v_add_f64 v[46:47], v[42:43], v[44:45]
	ds_read_b128 v[42:45], v1 offset:1552
	v_fma_f64 v[248:249], v[244:245], v[108:109], -v[106:107]
	ds_read_b128 v[106:109], v1 offset:1808
	v_fma_f64 v[246:247], v[250:251], v[112:113], -v[110:111]
	v_mul_f64 v[20:21], v[20:21], v[130:131]
	v_fma_f64 v[18:19], v[18:19], v[134:135], -v[20:21]
	v_fma_f64 v[14:15], v[14:15], v[122:123], -v[16:17]
	v_mul_f64 v[12:13], v[12:13], v[128:129]
	v_fma_f64 v[10:11], v[10:11], v[132:133], -v[12:13]
	v_mul_f64 v[8:9], v[8:9], v[126:127]
	;; [unrolled: 2-line block ×3, first 2 shown]
	s_waitcnt lgkmcnt(3)
	v_mul_f64 v[48:49], v[38:39], v[170:171]
	v_fma_f64 v[2:3], v[2:3], v[144:145], -v[4:5]
	v_fmac_f64_e32 v[48:49], v[40:41], v[174:175]
	v_add_f64 v[50:51], v[46:47], v[48:49]
	ds_read_b128 v[46:49], v1 offset:1568
	s_waitcnt lgkmcnt(2)
	v_mul_f64 v[52:53], v[42:43], v[154:155]
	v_fmac_f64_e32 v[52:53], v[44:45], v[156:157]
	v_add_f64 v[54:55], v[50:51], v[52:53]
	ds_read_b128 v[50:53], v1 offset:1584
	s_waitcnt lgkmcnt(1)
	v_mul_f64 v[56:57], v[46:47], v[178:179]
	;; [unrolled: 5-line block ×3, first 2 shown]
	v_fmac_f64_e32 v[60:61], v[52:53], v[160:161]
	v_add_f64 v[62:63], v[58:59], v[60:61]
	ds_read_b128 v[58:61], v1 offset:1616
	s_waitcnt vmcnt(58) lgkmcnt(1)
	v_mul_f64 v[64:65], v[54:55], v[186:187]
	s_waitcnt vmcnt(56)
	v_fmac_f64_e32 v[64:65], v[56:57], v[190:191]
	v_add_f64 v[66:67], v[62:63], v[64:65]
	ds_read_b128 v[62:65], v1 offset:1632
	s_waitcnt lgkmcnt(1)
	v_mul_f64 v[68:69], v[58:59], v[162:163]
	v_fmac_f64_e32 v[68:69], v[60:61], v[164:165]
	v_add_f64 v[70:71], v[66:67], v[68:69]
	ds_read_b128 v[66:69], v1 offset:1648
	s_waitcnt vmcnt(50) lgkmcnt(1)
	v_mul_f64 v[72:73], v[62:63], v[194:195]
	s_waitcnt vmcnt(48)
	v_fmac_f64_e32 v[72:73], v[64:65], v[196:197]
	v_add_f64 v[74:75], v[70:71], v[72:73]
	ds_read_b128 v[70:73], v1 offset:1664
	s_waitcnt lgkmcnt(1)
	v_mul_f64 v[76:77], v[66:67], v[166:167]
	;; [unrolled: 11-line block ×3, first 2 shown]
	v_fmac_f64_e32 v[84:85], v[76:77], v[176:177]
	v_add_f64 v[90:91], v[82:83], v[84:85]
	ds_read_b128 v[82:85], v1 offset:1712
	ds_read_b128 v[86:89], v1 offset:1728
	s_waitcnt vmcnt(34) lgkmcnt(2)
	v_mul_f64 v[92:93], v[78:79], v[208:209]
	s_waitcnt vmcnt(32)
	v_fmac_f64_e32 v[92:93], v[80:81], v[214:215]
	v_add_f64 v[90:91], v[90:91], v[92:93]
	s_waitcnt lgkmcnt(1)
	v_mul_f64 v[92:93], v[82:83], v[180:181]
	v_fmac_f64_e32 v[92:93], v[84:85], v[184:185]
	v_add_f64 v[90:91], v[90:91], v[92:93]
	s_waitcnt vmcnt(27) lgkmcnt(0)
	v_mul_f64 v[92:93], v[86:87], v[212:213]
	s_waitcnt vmcnt(25)
	v_fmac_f64_e32 v[92:93], v[88:89], v[216:217]
	v_add_f64 v[224:225], v[90:91], v[92:93]
	ds_read_b128 v[90:93], v1 offset:1744
	ds_read_b128 v[94:97], v1 offset:1760
	;; [unrolled: 1-line block ×3, first 2 shown]
	v_mul_f64 v[4:5], v[28:29], v[136:137]
	v_fma_f64 v[4:5], v[26:27], v[140:141], -v[4:5]
	s_waitcnt lgkmcnt(2)
	v_mul_f64 v[102:103], v[90:91], v[188:189]
	s_waitcnt vmcnt(24)
	v_fmac_f64_e32 v[102:103], v[92:93], v[192:193]
	s_waitcnt vmcnt(18) lgkmcnt(1)
	v_mul_f64 v[104:105], v[94:95], v[218:219]
	v_add_f64 v[102:103], v[224:225], v[102:103]
	s_waitcnt vmcnt(16)
	v_fmac_f64_e32 v[104:105], v[96:97], v[222:223]
	v_add_f64 v[102:103], v[102:103], v[104:105]
	v_mul_f64 v[104:105], v[98:99], v[198:199]
	v_fmac_f64_e32 v[104:105], v[100:101], v[202:203]
	v_add_f64 v[114:115], v[102:103], v[104:105]
	ds_read_b128 v[102:105], v1 offset:1792
	s_waitcnt vmcnt(10) lgkmcnt(0)
	v_mul_f64 v[116:117], v[102:103], v[236:237]
	s_waitcnt vmcnt(8)
	v_fmac_f64_e32 v[116:117], v[104:105], v[238:239]
	v_add_f64 v[114:115], v[114:115], v[116:117]
	v_mul_f64 v[116:117], v[106:107], v[206:207]
	v_fmac_f64_e32 v[116:117], v[108:109], v[210:211]
	v_add_f64 v[114:115], v[114:115], v[116:117]
	s_waitcnt vmcnt(2)
	v_mul_f64 v[116:117], v[110:111], v[240:241]
	s_waitcnt vmcnt(0)
	v_fmac_f64_e32 v[116:117], v[112:113], v[242:243]
	v_add_f64 v[224:225], v[114:115], v[116:117]
	ds_read_b128 v[114:117], v1 offset:1840
	buffer_load_dword v252, off, s[0:3], 0 offset:400
	buffer_load_dword v253, off, s[0:3], 0 offset:404
	s_waitcnt lgkmcnt(0)
	v_mul_f64 v[230:231], v[114:115], v[220:221]
	v_fmac_f64_e32 v[230:231], v[116:117], v[234:235]
	v_add_f64 v[244:245], v[224:225], v[230:231]
	v_add_f64 v[224:225], v[226:227], 0
	;; [unrolled: 1-line block ×4, first 2 shown]
	buffer_load_dword v248, off, s[0:3], 0 offset:408
	buffer_load_dword v249, off, s[0:3], 0 offset:412
	v_add_f64 v[224:225], v[224:225], v[246:247]
	v_add_f64 v[22:23], v[224:225], v[22:23]
	;; [unrolled: 1-line block ×8, first 2 shown]
	v_mul_f64 v[4:5], v[32:33], v[146:147]
	v_fma_f64 v[4:5], v[30:31], v[150:151], -v[4:5]
	v_add_f64 v[2:3], v[2:3], v[4:5]
	v_mul_f64 v[4:5], v[36:37], v[148:149]
	v_fma_f64 v[4:5], v[34:35], v[152:153], -v[4:5]
	v_add_f64 v[2:3], v[2:3], v[4:5]
	;; [unrolled: 3-line block ×22, first 2 shown]
	s_waitcnt vmcnt(2)
	v_add_f64 v[2:3], v[252:253], -v[2:3]
	s_waitcnt vmcnt(0)
	v_add_f64 v[4:5], v[248:249], -v[244:245]
	buffer_store_dword v3, off, s[0:3], 0 offset:404
	buffer_store_dword v2, off, s[0:3], 0 offset:400
	;; [unrolled: 1-line block ×4, first 2 shown]
	s_and_saveexec_b64 s[4:5], vcc
	s_cbranch_execz .LBB57_315
; %bb.314:
	v_accvgpr_read_b32 v5, a150
	buffer_load_dword v2, v5, s[0:3], 0 offen
	buffer_load_dword v3, v5, s[0:3], 0 offen offset:4
	buffer_load_dword v4, v5, s[0:3], 0 offen offset:8
	s_nop 0
	buffer_load_dword v5, v5, s[0:3], 0 offen offset:12
	v_accvgpr_read_b32 v6, a173
	buffer_store_dword v1, off, s[0:3], 0 offset:384
	buffer_store_dword v1, off, s[0:3], 0 offset:388
	;; [unrolled: 1-line block ×4, first 2 shown]
	s_waitcnt vmcnt(4)
	ds_write_b128 v6, v[2:5]
.LBB57_315:
	s_or_b64 exec, exec, s[4:5]
	s_waitcnt lgkmcnt(0)
	; wave barrier
	s_waitcnt lgkmcnt(0)
	buffer_load_dword v86, off, s[0:3], 0 offset:400
	buffer_load_dword v87, off, s[0:3], 0 offset:404
	;; [unrolled: 1-line block ×42, first 2 shown]
	ds_read_b128 v[94:97], v1 offset:1312
	ds_read_b128 v[106:109], v1 offset:1328
	;; [unrolled: 1-line block ×10, first 2 shown]
	buffer_load_dword v145, off, s[0:3], 0 offset:548
	buffer_load_dword v144, off, s[0:3], 0 offset:544
	ds_read_b128 v[6:9], v1 offset:1472
	buffer_load_dword v141, off, s[0:3], 0 offset:604
	buffer_load_dword v140, off, s[0:3], 0 offset:600
	;; [unrolled: 1-line block ×80, first 2 shown]
	v_cmp_lt_u32_e32 vcc, 22, v0
	s_waitcnt vmcnt(62) lgkmcnt(10)
	v_mul_f64 v[26:27], v[94:95], v[88:89]
	v_fmac_f64_e32 v[26:27], v[96:97], v[86:87]
	v_add_f64 v[26:27], v[26:27], 0
	v_mul_f64 v[88:89], v[96:97], v[88:89]
	s_waitcnt lgkmcnt(9)
	v_mul_f64 v[28:29], v[106:107], v[92:93]
	v_fmac_f64_e32 v[28:29], v[108:109], v[90:91]
	s_waitcnt lgkmcnt(8)
	v_mul_f64 v[30:31], v[114:115], v[98:99]
	v_add_f64 v[26:27], v[26:27], v[28:29]
	s_waitcnt lgkmcnt(6)
	v_mul_f64 v[34:35], v[248:249], v[110:111]
	v_fma_f64 v[226:227], v[94:95], v[86:87], -v[88:89]
	v_fmac_f64_e32 v[34:35], v[250:251], v[112:113]
	v_mul_f64 v[92:93], v[108:109], v[92:93]
	v_mul_f64 v[32:33], v[244:245], v[102:103]
	;; [unrolled: 1-line block ×3, first 2 shown]
	s_waitcnt lgkmcnt(4)
	v_mul_f64 v[38:39], v[18:19], v[118:119]
	v_mul_f64 v[102:103], v[246:247], v[102:103]
	v_fmac_f64_e32 v[38:39], v[20:21], v[120:121]
	v_mul_f64 v[110:111], v[250:251], v[110:111]
	v_mul_f64 v[36:37], v[22:23], v[122:123]
	v_fma_f64 v[248:249], v[248:249], v[112:113], -v[110:111]
	s_waitcnt lgkmcnt(2)
	v_mul_f64 v[42:43], v[10:11], v[124:125]
	v_add_f64 v[226:227], v[226:227], 0
	v_mul_f64 v[20:21], v[20:21], v[118:119]
	v_mul_f64 v[40:41], v[14:15], v[130:131]
	v_fma_f64 v[18:19], v[18:19], v[120:121], -v[20:21]
	s_waitcnt lgkmcnt(1)
	v_mul_f64 v[44:45], v[2:3], v[128:129]
	v_fmac_f64_e32 v[30:31], v[116:117], v[100:101]
	v_add_f64 v[26:27], v[26:27], v[30:31]
	v_fmac_f64_e32 v[32:33], v[246:247], v[104:105]
	v_add_f64 v[26:27], v[26:27], v[32:33]
	v_fmac_f64_e32 v[36:37], v[24:25], v[134:135]
	v_add_f64 v[26:27], v[26:27], v[34:35]
	v_add_f64 v[26:27], v[26:27], v[36:37]
	v_fmac_f64_e32 v[40:41], v[16:17], v[132:133]
	v_add_f64 v[26:27], v[26:27], v[38:39]
	v_fmac_f64_e32 v[42:43], v[12:13], v[126:127]
	v_add_f64 v[26:27], v[26:27], v[40:41]
	v_add_f64 v[26:27], v[26:27], v[42:43]
	s_waitcnt lgkmcnt(0)
	v_mul_f64 v[32:33], v[6:7], v[136:137]
	v_fmac_f64_e32 v[44:45], v[4:5], v[144:145]
	v_add_f64 v[30:31], v[26:27], v[44:45]
	ds_read_b128 v[26:29], v1 offset:1488
	v_fmac_f64_e32 v[32:33], v[8:9], v[138:139]
	v_add_f64 v[34:35], v[30:31], v[32:33]
	ds_read_b128 v[30:33], v1 offset:1504
	v_fma_f64 v[228:229], v[114:115], v[100:101], -v[98:99]
	s_waitcnt lgkmcnt(1)
	v_mul_f64 v[36:37], v[26:27], v[146:147]
	v_fmac_f64_e32 v[36:37], v[28:29], v[162:163]
	v_add_f64 v[38:39], v[34:35], v[36:37]
	ds_read_b128 v[34:37], v1 offset:1520
	s_waitcnt lgkmcnt(1)
	v_mul_f64 v[40:41], v[30:31], v[140:141]
	v_fmac_f64_e32 v[40:41], v[32:33], v[142:143]
	v_add_f64 v[42:43], v[38:39], v[40:41]
	ds_read_b128 v[38:41], v1 offset:1536
	;; [unrolled: 5-line block ×4, first 2 shown]
	s_waitcnt vmcnt(58) lgkmcnt(1)
	v_mul_f64 v[52:53], v[42:43], v[174:175]
	s_waitcnt vmcnt(56)
	v_fmac_f64_e32 v[52:53], v[44:45], v[178:179]
	v_add_f64 v[54:55], v[50:51], v[52:53]
	ds_read_b128 v[50:53], v1 offset:1584
	buffer_load_dword v222, off, s[0:3], 0 offset:920
	buffer_load_dword v237, off, s[0:3], 0 offset:908
	;; [unrolled: 1-line block ×8, first 2 shown]
	s_waitcnt lgkmcnt(1)
	v_mul_f64 v[56:57], v[46:47], v[152:153]
	v_fmac_f64_e32 v[56:57], v[48:49], v[154:155]
	v_add_f64 v[58:59], v[54:55], v[56:57]
	ds_read_b128 v[54:57], v1 offset:1600
	s_waitcnt vmcnt(58) lgkmcnt(1)
	v_mul_f64 v[60:61], v[50:51], v[182:183]
	s_waitcnt vmcnt(56)
	v_fmac_f64_e32 v[60:61], v[52:53], v[186:187]
	buffer_load_dword v241, off, s[0:3], 0 offset:940
	buffer_load_dword v240, off, s[0:3], 0 offset:936
	;; [unrolled: 1-line block ×4, first 2 shown]
	v_add_f64 v[62:63], v[58:59], v[60:61]
	ds_read_b128 v[58:61], v1 offset:1616
	s_waitcnt lgkmcnt(1)
	v_mul_f64 v[64:65], v[54:55], v[156:157]
	v_fmac_f64_e32 v[64:65], v[56:57], v[158:159]
	v_add_f64 v[66:67], v[62:63], v[64:65]
	ds_read_b128 v[62:65], v1 offset:1632
	s_waitcnt vmcnt(54) lgkmcnt(1)
	v_mul_f64 v[68:69], v[58:59], v[190:191]
	s_waitcnt vmcnt(52)
	v_fmac_f64_e32 v[68:69], v[60:61], v[194:195]
	v_add_f64 v[70:71], v[66:67], v[68:69]
	ds_read_b128 v[66:69], v1 offset:1648
	s_waitcnt lgkmcnt(1)
	v_mul_f64 v[72:73], v[62:63], v[160:161]
	v_fmac_f64_e32 v[72:73], v[64:65], v[164:165]
	v_add_f64 v[74:75], v[70:71], v[72:73]
	ds_read_b128 v[70:73], v1 offset:1664
	s_waitcnt vmcnt(46) lgkmcnt(1)
	v_mul_f64 v[76:77], v[66:67], v[198:199]
	s_waitcnt vmcnt(44)
	v_fmac_f64_e32 v[76:77], v[68:69], v[202:203]
	v_add_f64 v[82:83], v[74:75], v[76:77]
	ds_read_b128 v[74:77], v1 offset:1680
	ds_read_b128 v[78:81], v1 offset:1696
	s_waitcnt lgkmcnt(2)
	v_mul_f64 v[84:85], v[70:71], v[168:169]
	v_fmac_f64_e32 v[84:85], v[72:73], v[172:173]
	v_add_f64 v[82:83], v[82:83], v[84:85]
	s_waitcnt vmcnt(38) lgkmcnt(1)
	v_mul_f64 v[84:85], v[74:75], v[206:207]
	s_waitcnt vmcnt(36)
	v_fmac_f64_e32 v[84:85], v[76:77], v[208:209]
	v_add_f64 v[82:83], v[82:83], v[84:85]
	s_waitcnt lgkmcnt(0)
	v_mul_f64 v[84:85], v[78:79], v[176:177]
	v_fmac_f64_e32 v[84:85], v[80:81], v[180:181]
	v_add_f64 v[224:225], v[82:83], v[84:85]
	ds_read_b128 v[82:85], v1 offset:1712
	ds_read_b128 v[86:89], v1 offset:1728
	;; [unrolled: 1-line block ×3, first 2 shown]
	v_fma_f64 v[246:247], v[244:245], v[104:105], -v[102:103]
	ds_read_b128 v[102:105], v1 offset:1808
	ds_read_b128 v[110:113], v1 offset:1824
	s_waitcnt vmcnt(30) lgkmcnt(4)
	v_mul_f64 v[94:95], v[82:83], v[210:211]
	s_waitcnt vmcnt(28)
	v_fmac_f64_e32 v[94:95], v[84:85], v[212:213]
	v_add_f64 v[94:95], v[224:225], v[94:95]
	v_fma_f64 v[224:225], v[106:107], v[90:91], -v[92:93]
	ds_read_b128 v[90:93], v1 offset:1744
	s_waitcnt lgkmcnt(4)
	v_mul_f64 v[96:97], v[86:87], v[184:185]
	v_fmac_f64_e32 v[96:97], v[88:89], v[188:189]
	v_add_f64 v[106:107], v[94:95], v[96:97]
	ds_read_b128 v[94:97], v1 offset:1760
	s_waitcnt vmcnt(22) lgkmcnt(1)
	v_mul_f64 v[108:109], v[90:91], v[214:215]
	s_waitcnt vmcnt(20)
	v_fmac_f64_e32 v[108:109], v[92:93], v[216:217]
	v_add_f64 v[106:107], v[106:107], v[108:109]
	v_add_f64 v[224:225], v[226:227], v[224:225]
	s_waitcnt lgkmcnt(0)
	v_mul_f64 v[108:109], v[94:95], v[192:193]
	v_fmac_f64_e32 v[108:109], v[96:97], v[196:197]
	v_add_f64 v[114:115], v[106:107], v[108:109]
	ds_read_b128 v[106:109], v1 offset:1792
	s_waitcnt vmcnt(14)
	v_mul_f64 v[116:117], v[98:99], v[218:219]
	s_waitcnt vmcnt(12)
	v_fmac_f64_e32 v[116:117], v[100:101], v[220:221]
	v_add_f64 v[114:115], v[114:115], v[116:117]
	v_add_f64 v[250:251], v[224:225], v[228:229]
	s_waitcnt lgkmcnt(0)
	v_mul_f64 v[116:117], v[106:107], v[200:201]
	v_fmac_f64_e32 v[116:117], v[108:109], v[204:205]
	v_add_f64 v[114:115], v[114:115], v[116:117]
	v_add_f64 v[224:225], v[250:251], v[246:247]
	v_mul_f64 v[24:25], v[24:25], v[122:123]
	v_add_f64 v[224:225], v[224:225], v[248:249]
	v_fma_f64 v[22:23], v[22:23], v[134:135], -v[24:25]
	v_add_f64 v[22:23], v[224:225], v[22:23]
	v_mul_f64 v[16:17], v[16:17], v[130:131]
	v_add_f64 v[18:19], v[22:23], v[18:19]
	v_fma_f64 v[14:15], v[14:15], v[132:133], -v[16:17]
	v_mul_f64 v[12:13], v[12:13], v[124:125]
	s_waitcnt vmcnt(9)
	v_mul_f64 v[116:117], v[102:103], v[236:237]
	v_add_f64 v[14:15], v[18:19], v[14:15]
	s_waitcnt vmcnt(7)
	v_fmac_f64_e32 v[116:117], v[104:105], v[238:239]
	v_add_f64 v[114:115], v[114:115], v[116:117]
	s_waitcnt vmcnt(5)
	v_mul_f64 v[116:117], v[110:111], v[222:223]
	s_waitcnt vmcnt(4)
	v_fmac_f64_e32 v[116:117], v[112:113], v[234:235]
	v_add_f64 v[230:231], v[114:115], v[116:117]
	ds_read_b128 v[114:117], v1 offset:1840
	buffer_load_dword v254, off, s[0:3], 0 offset:384
	buffer_load_dword v255, off, s[0:3], 0 offset:388
	;; [unrolled: 1-line block ×4, first 2 shown]
	v_fma_f64 v[10:11], v[10:11], v[126:127], -v[12:13]
	v_mul_f64 v[4:5], v[4:5], v[128:129]
	v_add_f64 v[10:11], v[14:15], v[10:11]
	v_fma_f64 v[2:3], v[2:3], v[144:145], -v[4:5]
	v_mul_f64 v[4:5], v[8:9], v[136:137]
	v_add_f64 v[2:3], v[10:11], v[2:3]
	v_fma_f64 v[4:5], v[6:7], v[138:139], -v[4:5]
	v_add_f64 v[2:3], v[2:3], v[4:5]
	v_mul_f64 v[4:5], v[28:29], v[146:147]
	v_fma_f64 v[4:5], v[26:27], v[162:163], -v[4:5]
	v_add_f64 v[2:3], v[2:3], v[4:5]
	v_mul_f64 v[4:5], v[32:33], v[140:141]
	;; [unrolled: 3-line block ×22, first 2 shown]
	v_fma_f64 v[4:5], v[110:111], v[234:235], -v[4:5]
	v_add_f64 v[2:3], v[2:3], v[4:5]
	s_waitcnt vmcnt(6) lgkmcnt(0)
	v_mul_f64 v[4:5], v[116:117], v[240:241]
	v_mul_f64 v[232:233], v[114:115], v[240:241]
	s_waitcnt vmcnt(4)
	v_fma_f64 v[4:5], v[114:115], v[242:243], -v[4:5]
	v_fmac_f64_e32 v[232:233], v[116:117], v[242:243]
	v_add_f64 v[2:3], v[2:3], v[4:5]
	v_add_f64 v[244:245], v[230:231], v[232:233]
	s_waitcnt vmcnt(2)
	v_add_f64 v[2:3], v[254:255], -v[2:3]
	s_waitcnt vmcnt(0)
	v_add_f64 v[4:5], v[252:253], -v[244:245]
	buffer_store_dword v3, off, s[0:3], 0 offset:388
	buffer_store_dword v2, off, s[0:3], 0 offset:384
	;; [unrolled: 1-line block ×4, first 2 shown]
	s_and_saveexec_b64 s[4:5], vcc
	s_cbranch_execz .LBB57_317
; %bb.316:
	v_accvgpr_read_b32 v1, a151
	buffer_load_dword v2, v1, s[0:3], 0 offen
	buffer_load_dword v3, v1, s[0:3], 0 offen offset:4
	buffer_load_dword v4, v1, s[0:3], 0 offen offset:8
	;; [unrolled: 1-line block ×3, first 2 shown]
	v_mov_b32_e32 v1, 0
	v_accvgpr_read_b32 v6, a173
	buffer_store_dword v1, off, s[0:3], 0 offset:368
	buffer_store_dword v1, off, s[0:3], 0 offset:372
	;; [unrolled: 1-line block ×4, first 2 shown]
	s_waitcnt vmcnt(4)
	ds_write_b128 v6, v[2:5]
.LBB57_317:
	s_or_b64 exec, exec, s[4:5]
	s_waitcnt lgkmcnt(0)
	; wave barrier
	s_waitcnt lgkmcnt(0)
	buffer_load_dword v82, off, s[0:3], 0 offset:384
	buffer_load_dword v83, off, s[0:3], 0 offset:388
	;; [unrolled: 1-line block ×54, first 2 shown]
	v_mov_b32_e32 v1, 0
	ds_read_b128 v[90:93], v1 offset:1296
	ds_read_b128 v[106:109], v1 offset:1312
	;; [unrolled: 1-line block ×9, first 2 shown]
	buffer_load_dword v149, off, s[0:3], 0 offset:612
	buffer_load_dword v148, off, s[0:3], 0 offset:608
	;; [unrolled: 1-line block ×62, first 2 shown]
	v_cmp_lt_u32_e32 vcc, 21, v0
	s_waitcnt vmcnt(62) lgkmcnt(8)
	v_mul_f64 v[14:15], v[90:91], v[84:85]
	v_fmac_f64_e32 v[14:15], v[92:93], v[82:83]
	v_add_f64 v[14:15], v[14:15], 0
	v_mul_f64 v[84:85], v[92:93], v[84:85]
	s_waitcnt lgkmcnt(7)
	v_mul_f64 v[16:17], v[106:107], v[88:89]
	v_fmac_f64_e32 v[16:17], v[108:109], v[86:87]
	s_waitcnt lgkmcnt(6)
	v_mul_f64 v[18:19], v[114:115], v[94:95]
	v_add_f64 v[14:15], v[14:15], v[16:17]
	s_waitcnt lgkmcnt(4)
	v_mul_f64 v[22:23], v[246:247], v[102:103]
	v_fma_f64 v[226:227], v[90:91], v[82:83], -v[84:85]
	v_fmac_f64_e32 v[22:23], v[248:249], v[104:105]
	v_mul_f64 v[88:89], v[108:109], v[88:89]
	v_mul_f64 v[20:21], v[242:243], v[98:99]
	v_fma_f64 v[228:229], v[106:107], v[86:87], -v[88:89]
	s_waitcnt lgkmcnt(2)
	v_mul_f64 v[26:27], v[10:11], v[118:119]
	v_mul_f64 v[94:95], v[116:117], v[94:95]
	v_fmac_f64_e32 v[26:27], v[12:13], v[120:121]
	v_mul_f64 v[98:99], v[244:245], v[98:99]
	v_mul_f64 v[24:25], v[250:251], v[110:111]
	;; [unrolled: 1-line block ×3, first 2 shown]
	s_waitcnt lgkmcnt(1)
	v_mul_f64 v[28:29], v[6:7], v[122:123]
	v_mul_f64 v[110:111], v[252:253], v[110:111]
	v_fmac_f64_e32 v[18:19], v[116:117], v[96:97]
	v_add_f64 v[14:15], v[14:15], v[18:19]
	v_fmac_f64_e32 v[20:21], v[244:245], v[100:101]
	v_add_f64 v[14:15], v[14:15], v[20:21]
	;; [unrolled: 2-line block ×3, first 2 shown]
	v_add_f64 v[14:15], v[14:15], v[24:25]
	v_fmac_f64_e32 v[28:29], v[8:9], v[126:127]
	v_add_f64 v[14:15], v[14:15], v[26:27]
	v_add_f64 v[18:19], v[14:15], v[28:29]
	ds_read_b128 v[14:17], v1 offset:1440
	s_waitcnt lgkmcnt(1)
	v_mul_f64 v[20:21], v[2:3], v[124:125]
	v_fmac_f64_e32 v[20:21], v[4:5], v[128:129]
	v_add_f64 v[22:23], v[18:19], v[20:21]
	ds_read_b128 v[18:21], v1 offset:1456
	s_waitcnt lgkmcnt(1)
	v_mul_f64 v[24:25], v[14:15], v[134:135]
	v_fmac_f64_e32 v[24:25], v[16:17], v[136:137]
	;; [unrolled: 5-line block ×5, first 2 shown]
	v_add_f64 v[38:39], v[34:35], v[36:37]
	ds_read_b128 v[34:37], v1 offset:1520
	s_waitcnt vmcnt(58) lgkmcnt(1)
	v_mul_f64 v[40:41], v[30:31], v[162:163]
	s_waitcnt vmcnt(56)
	v_fmac_f64_e32 v[40:41], v[32:33], v[166:167]
	v_add_f64 v[42:43], v[38:39], v[40:41]
	ds_read_b128 v[38:41], v1 offset:1536
	s_waitcnt lgkmcnt(1)
	v_mul_f64 v[44:45], v[34:35], v[142:143]
	v_fmac_f64_e32 v[44:45], v[36:37], v[148:149]
	v_add_f64 v[46:47], v[42:43], v[44:45]
	ds_read_b128 v[42:45], v1 offset:1552
	s_waitcnt vmcnt(50) lgkmcnt(1)
	v_mul_f64 v[48:49], v[38:39], v[170:171]
	s_waitcnt vmcnt(48)
	v_fmac_f64_e32 v[48:49], v[40:41], v[174:175]
	v_add_f64 v[50:51], v[46:47], v[48:49]
	ds_read_b128 v[46:49], v1 offset:1568
	buffer_load_dword v211, off, s[0:3], 0 offset:860
	buffer_load_dword v210, off, s[0:3], 0 offset:856
	;; [unrolled: 1-line block ×8, first 2 shown]
	s_waitcnt lgkmcnt(1)
	v_mul_f64 v[52:53], v[42:43], v[150:151]
	v_fmac_f64_e32 v[52:53], v[44:45], v[152:153]
	v_add_f64 v[54:55], v[50:51], v[52:53]
	ds_read_b128 v[50:53], v1 offset:1584
	s_waitcnt vmcnt(50) lgkmcnt(1)
	v_mul_f64 v[56:57], v[46:47], v[178:179]
	s_waitcnt vmcnt(48)
	v_fmac_f64_e32 v[56:57], v[48:49], v[182:183]
	buffer_load_dword v215, off, s[0:3], 0 offset:908
	buffer_load_dword v221, off, s[0:3], 0 offset:892
	;; [unrolled: 1-line block ×12, first 2 shown]
	v_add_f64 v[58:59], v[54:55], v[56:57]
	ds_read_b128 v[54:57], v1 offset:1600
	s_waitcnt lgkmcnt(1)
	v_mul_f64 v[60:61], v[50:51], v[154:155]
	v_fmac_f64_e32 v[60:61], v[52:53], v[156:157]
	v_add_f64 v[62:63], v[58:59], v[60:61]
	ds_read_b128 v[58:61], v1 offset:1616
	s_waitcnt vmcnt(54) lgkmcnt(1)
	v_mul_f64 v[64:65], v[54:55], v[186:187]
	s_waitcnt vmcnt(52)
	v_fmac_f64_e32 v[64:65], v[56:57], v[190:191]
	v_add_f64 v[66:67], v[62:63], v[64:65]
	ds_read_b128 v[62:65], v1 offset:1632
	s_waitcnt lgkmcnt(1)
	v_mul_f64 v[68:69], v[58:59], v[158:159]
	v_fmac_f64_e32 v[68:69], v[60:61], v[160:161]
	v_add_f64 v[70:71], v[66:67], v[68:69]
	ds_read_b128 v[66:69], v1 offset:1648
	s_waitcnt vmcnt(46) lgkmcnt(1)
	v_mul_f64 v[72:73], v[62:63], v[194:195]
	s_waitcnt vmcnt(44)
	v_fmac_f64_e32 v[72:73], v[64:65], v[196:197]
	v_add_f64 v[78:79], v[70:71], v[72:73]
	ds_read_b128 v[70:73], v1 offset:1664
	ds_read_b128 v[74:77], v1 offset:1680
	s_waitcnt lgkmcnt(2)
	v_mul_f64 v[80:81], v[66:67], v[164:165]
	v_fmac_f64_e32 v[80:81], v[68:69], v[168:169]
	v_add_f64 v[78:79], v[78:79], v[80:81]
	s_waitcnt vmcnt(38) lgkmcnt(1)
	v_mul_f64 v[80:81], v[70:71], v[198:199]
	s_waitcnt vmcnt(36)
	v_fmac_f64_e32 v[80:81], v[72:73], v[200:201]
	v_add_f64 v[78:79], v[78:79], v[80:81]
	s_waitcnt lgkmcnt(0)
	v_mul_f64 v[80:81], v[74:75], v[172:173]
	v_fmac_f64_e32 v[80:81], v[76:77], v[176:177]
	v_add_f64 v[224:225], v[78:79], v[80:81]
	ds_read_b128 v[78:81], v1 offset:1696
	ds_read_b128 v[82:85], v1 offset:1712
	;; [unrolled: 1-line block ×3, first 2 shown]
	v_fma_f64 v[230:231], v[242:243], v[100:101], -v[98:99]
	ds_read_b128 v[98:101], v1 offset:1776
	s_waitcnt vmcnt(30) lgkmcnt(3)
	v_mul_f64 v[90:91], v[78:79], v[202:203]
	s_waitcnt vmcnt(28)
	v_fmac_f64_e32 v[90:91], v[80:81], v[204:205]
	s_waitcnt lgkmcnt(2)
	v_mul_f64 v[92:93], v[82:83], v[180:181]
	v_add_f64 v[90:91], v[224:225], v[90:91]
	v_fmac_f64_e32 v[92:93], v[84:85], v[184:185]
	v_add_f64 v[90:91], v[90:91], v[92:93]
	v_fma_f64 v[224:225], v[114:115], v[96:97], -v[94:95]
	ds_read_b128 v[94:97], v1 offset:1760
	s_waitcnt vmcnt(22) lgkmcnt(2)
	v_mul_f64 v[92:93], v[86:87], v[206:207]
	s_waitcnt vmcnt(20)
	v_fmac_f64_e32 v[92:93], v[88:89], v[208:209]
	v_add_f64 v[106:107], v[90:91], v[92:93]
	ds_read_b128 v[90:93], v1 offset:1744
	buffer_load_dword v240, off, s[0:3], 0 offset:936
	v_fma_f64 v[232:233], v[246:247], v[104:105], -v[102:103]
	ds_read_b128 v[102:105], v1 offset:1792
	v_fma_f64 v[250:251], v[250:251], v[112:113], -v[110:111]
	s_waitcnt lgkmcnt(1)
	v_mul_f64 v[108:109], v[90:91], v[188:189]
	v_fmac_f64_e32 v[108:109], v[92:93], v[192:193]
	v_add_f64 v[106:107], v[106:107], v[108:109]
	ds_read_b128 v[110:113], v1 offset:1824
	v_add_f64 v[226:227], v[226:227], 0
	v_add_f64 v[226:227], v[226:227], v[228:229]
	;; [unrolled: 1-line block ×5, first 2 shown]
	v_mul_f64 v[12:13], v[12:13], v[118:119]
	v_add_f64 v[224:225], v[252:253], v[250:251]
	v_fma_f64 v[10:11], v[10:11], v[120:121], -v[12:13]
	v_mul_f64 v[8:9], v[8:9], v[122:123]
	v_add_f64 v[10:11], v[224:225], v[10:11]
	v_fma_f64 v[6:7], v[6:7], v[126:127], -v[8:9]
	;; [unrolled: 3-line block ×3, first 2 shown]
	v_mul_f64 v[4:5], v[16:17], v[134:135]
	v_add_f64 v[2:3], v[6:7], v[2:3]
	s_waitcnt vmcnt(19)
	v_mul_f64 v[108:109], v[94:95], v[210:211]
	v_fma_f64 v[4:5], v[14:15], v[136:137], -v[4:5]
	s_waitcnt vmcnt(17)
	v_fmac_f64_e32 v[108:109], v[96:97], v[212:213]
	v_add_f64 v[106:107], v[106:107], v[108:109]
	s_waitcnt vmcnt(15)
	v_mul_f64 v[108:109], v[98:99], v[216:217]
	s_waitcnt vmcnt(13)
	v_fmac_f64_e32 v[108:109], v[100:101], v[218:219]
	v_add_f64 v[114:115], v[106:107], v[108:109]
	ds_read_b128 v[106:109], v1 offset:1808
	buffer_load_dword v244, off, s[0:3], 0 offset:928
	buffer_load_dword v241, off, s[0:3], 0 offset:940
	;; [unrolled: 1-line block ×3, first 2 shown]
	s_waitcnt vmcnt(13) lgkmcnt(2)
	v_mul_f64 v[116:117], v[102:103], v[220:221]
	s_waitcnt vmcnt(11)
	v_fmac_f64_e32 v[116:117], v[104:105], v[236:237]
	v_add_f64 v[114:115], v[114:115], v[116:117]
	s_waitcnt vmcnt(10) lgkmcnt(0)
	v_mul_f64 v[116:117], v[106:107], v[214:215]
	s_waitcnt vmcnt(8)
	v_fmac_f64_e32 v[116:117], v[108:109], v[234:235]
	v_add_f64 v[114:115], v[114:115], v[116:117]
	s_waitcnt vmcnt(6)
	v_mul_f64 v[116:117], v[110:111], v[222:223]
	s_waitcnt vmcnt(4)
	v_fmac_f64_e32 v[116:117], v[112:113], v[238:239]
	v_add_f64 v[242:243], v[114:115], v[116:117]
	ds_read_b128 v[114:117], v1 offset:1840
	buffer_load_dword v248, off, s[0:3], 0 offset:368
	buffer_load_dword v249, off, s[0:3], 0 offset:372
	v_add_f64 v[2:3], v[2:3], v[4:5]
	v_mul_f64 v[4:5], v[20:21], v[130:131]
	v_fma_f64 v[4:5], v[18:19], v[132:133], -v[4:5]
	v_add_f64 v[2:3], v[2:3], v[4:5]
	v_mul_f64 v[4:5], v[24:25], v[144:145]
	v_fma_f64 v[4:5], v[22:23], v[146:147], -v[4:5]
	;; [unrolled: 3-line block ×22, first 2 shown]
	v_add_f64 v[2:3], v[2:3], v[4:5]
	s_waitcnt vmcnt(3) lgkmcnt(0)
	v_mul_f64 v[246:247], v[114:115], v[240:241]
	s_waitcnt vmcnt(2)
	v_fmac_f64_e32 v[246:247], v[116:117], v[244:245]
	v_add_f64 v[242:243], v[242:243], v[246:247]
	buffer_load_dword v246, off, s[0:3], 0 offset:376
	buffer_load_dword v247, off, s[0:3], 0 offset:380
	v_mul_f64 v[4:5], v[108:109], v[214:215]
	v_fma_f64 v[4:5], v[106:107], v[234:235], -v[4:5]
	v_add_f64 v[2:3], v[2:3], v[4:5]
	v_mul_f64 v[4:5], v[112:113], v[222:223]
	v_fma_f64 v[4:5], v[110:111], v[238:239], -v[4:5]
	v_add_f64 v[2:3], v[2:3], v[4:5]
	;; [unrolled: 3-line block ×3, first 2 shown]
	s_waitcnt vmcnt(2)
	v_add_f64 v[2:3], v[248:249], -v[2:3]
	s_waitcnt vmcnt(0)
	v_add_f64 v[4:5], v[246:247], -v[242:243]
	buffer_store_dword v3, off, s[0:3], 0 offset:372
	buffer_store_dword v2, off, s[0:3], 0 offset:368
	;; [unrolled: 1-line block ×4, first 2 shown]
	s_and_saveexec_b64 s[4:5], vcc
	s_cbranch_execz .LBB57_319
; %bb.318:
	v_accvgpr_read_b32 v5, a152
	buffer_load_dword v2, v5, s[0:3], 0 offen
	buffer_load_dword v3, v5, s[0:3], 0 offen offset:4
	buffer_load_dword v4, v5, s[0:3], 0 offen offset:8
	s_nop 0
	buffer_load_dword v5, v5, s[0:3], 0 offen offset:12
	v_accvgpr_read_b32 v6, a173
	buffer_store_dword v1, off, s[0:3], 0 offset:352
	buffer_store_dword v1, off, s[0:3], 0 offset:356
	;; [unrolled: 1-line block ×4, first 2 shown]
	s_waitcnt vmcnt(4)
	ds_write_b128 v6, v[2:5]
.LBB57_319:
	s_or_b64 exec, exec, s[4:5]
	s_waitcnt lgkmcnt(0)
	; wave barrier
	s_waitcnt lgkmcnt(0)
	buffer_load_dword v84, off, s[0:3], 0 offset:368
	buffer_load_dword v85, off, s[0:3], 0 offset:372
	;; [unrolled: 1-line block ×34, first 2 shown]
	ds_read_b128 v[74:77], v1 offset:1280
	ds_read_b128 v[78:81], v1 offset:1296
	;; [unrolled: 1-line block ×8, first 2 shown]
	buffer_load_dword v125, off, s[0:3], 0 offset:484
	buffer_load_dword v124, off, s[0:3], 0 offset:480
	ds_read_b128 v[6:9], v1 offset:1408
	buffer_load_dword v127, off, s[0:3], 0 offset:540
	buffer_load_dword v126, off, s[0:3], 0 offset:536
	buffer_load_dword v129, off, s[0:3], 0 offset:532
	buffer_load_dword v128, off, s[0:3], 0 offset:528
	buffer_load_dword v131, off, s[0:3], 0 offset:524
	buffer_load_dword v130, off, s[0:3], 0 offset:520
	buffer_load_dword v133, off, s[0:3], 0 offset:516
	buffer_load_dword v132, off, s[0:3], 0 offset:512
	buffer_load_dword v135, off, s[0:3], 0 offset:572
	buffer_load_dword v134, off, s[0:3], 0 offset:568
	buffer_load_dword v137, off, s[0:3], 0 offset:564
	buffer_load_dword v136, off, s[0:3], 0 offset:560
	buffer_load_dword v143, off, s[0:3], 0 offset:556
	buffer_load_dword v142, off, s[0:3], 0 offset:552
	buffer_load_dword v145, off, s[0:3], 0 offset:548
	buffer_load_dword v144, off, s[0:3], 0 offset:544
	buffer_load_dword v139, off, s[0:3], 0 offset:604
	buffer_load_dword v138, off, s[0:3], 0 offset:600
	buffer_load_dword v141, off, s[0:3], 0 offset:596
	buffer_load_dword v140, off, s[0:3], 0 offset:592
	buffer_load_dword v159, off, s[0:3], 0 offset:588
	buffer_load_dword v158, off, s[0:3], 0 offset:584
	buffer_load_dword v163, off, s[0:3], 0 offset:580
	buffer_load_dword v162, off, s[0:3], 0 offset:576
	buffer_load_dword v147, off, s[0:3], 0 offset:636
	buffer_load_dword v146, off, s[0:3], 0 offset:632
	buffer_load_dword v149, off, s[0:3], 0 offset:628
	buffer_load_dword v148, off, s[0:3], 0 offset:624
	buffer_load_dword v167, off, s[0:3], 0 offset:620
	buffer_load_dword v166, off, s[0:3], 0 offset:616
	buffer_load_dword v171, off, s[0:3], 0 offset:612
	buffer_load_dword v170, off, s[0:3], 0 offset:608
	buffer_load_dword v151, off, s[0:3], 0 offset:668
	buffer_load_dword v150, off, s[0:3], 0 offset:664
	buffer_load_dword v153, off, s[0:3], 0 offset:660
	buffer_load_dword v152, off, s[0:3], 0 offset:656
	buffer_load_dword v175, off, s[0:3], 0 offset:652
	buffer_load_dword v174, off, s[0:3], 0 offset:648
	buffer_load_dword v179, off, s[0:3], 0 offset:644
	buffer_load_dword v178, off, s[0:3], 0 offset:640
	buffer_load_dword v155, off, s[0:3], 0 offset:700
	buffer_load_dword v154, off, s[0:3], 0 offset:696
	buffer_load_dword v157, off, s[0:3], 0 offset:692
	buffer_load_dword v156, off, s[0:3], 0 offset:688
	buffer_load_dword v183, off, s[0:3], 0 offset:684
	buffer_load_dword v182, off, s[0:3], 0 offset:680
	buffer_load_dword v187, off, s[0:3], 0 offset:676
	buffer_load_dword v186, off, s[0:3], 0 offset:672
	buffer_load_dword v161, off, s[0:3], 0 offset:732
	buffer_load_dword v160, off, s[0:3], 0 offset:728
	buffer_load_dword v165, off, s[0:3], 0 offset:724
	buffer_load_dword v164, off, s[0:3], 0 offset:720
	buffer_load_dword v191, off, s[0:3], 0 offset:716
	buffer_load_dword v190, off, s[0:3], 0 offset:712
	buffer_load_dword v193, off, s[0:3], 0 offset:708
	buffer_load_dword v192, off, s[0:3], 0 offset:704
	buffer_load_dword v169, off, s[0:3], 0 offset:764
	buffer_load_dword v168, off, s[0:3], 0 offset:760
	buffer_load_dword v173, off, s[0:3], 0 offset:756
	buffer_load_dword v172, off, s[0:3], 0 offset:752
	buffer_load_dword v195, off, s[0:3], 0 offset:748
	buffer_load_dword v194, off, s[0:3], 0 offset:744
	buffer_load_dword v197, off, s[0:3], 0 offset:740
	buffer_load_dword v196, off, s[0:3], 0 offset:736
	buffer_load_dword v177, off, s[0:3], 0 offset:796
	buffer_load_dword v176, off, s[0:3], 0 offset:792
	buffer_load_dword v181, off, s[0:3], 0 offset:788
	buffer_load_dword v180, off, s[0:3], 0 offset:784
	buffer_load_dword v199, off, s[0:3], 0 offset:780
	buffer_load_dword v198, off, s[0:3], 0 offset:776
	buffer_load_dword v201, off, s[0:3], 0 offset:772
	buffer_load_dword v200, off, s[0:3], 0 offset:768
	buffer_load_dword v185, off, s[0:3], 0 offset:828
	buffer_load_dword v184, off, s[0:3], 0 offset:824
	buffer_load_dword v189, off, s[0:3], 0 offset:820
	buffer_load_dword v188, off, s[0:3], 0 offset:816
	buffer_load_dword v203, off, s[0:3], 0 offset:812
	buffer_load_dword v202, off, s[0:3], 0 offset:808
	buffer_load_dword v205, off, s[0:3], 0 offset:804
	buffer_load_dword v204, off, s[0:3], 0 offset:800
	v_cmp_lt_u32_e32 vcc, 20, v0
	s_waitcnt vmcnt(62) lgkmcnt(8)
	v_mul_f64 v[10:11], v[74:75], v[106:107]
	v_fmac_f64_e32 v[10:11], v[76:77], v[84:85]
	v_add_f64 v[10:11], v[10:11], 0
	v_mul_f64 v[76:77], v[76:77], v[106:107]
	s_waitcnt lgkmcnt(7)
	v_mul_f64 v[12:13], v[78:79], v[96:97]
	v_fmac_f64_e32 v[12:13], v[80:81], v[82:83]
	s_waitcnt lgkmcnt(6)
	v_mul_f64 v[14:15], v[86:87], v[94:95]
	v_add_f64 v[10:11], v[10:11], v[12:13]
	s_waitcnt lgkmcnt(4)
	v_mul_f64 v[18:19], v[98:99], v[108:109]
	v_fma_f64 v[226:227], v[74:75], v[84:85], -v[76:77]
	v_fmac_f64_e32 v[18:19], v[100:101], v[114:115]
	v_mul_f64 v[80:81], v[80:81], v[96:97]
	v_mul_f64 v[16:17], v[90:91], v[116:117]
	v_fma_f64 v[228:229], v[78:79], v[82:83], -v[80:81]
	s_waitcnt lgkmcnt(2)
	v_mul_f64 v[22:23], v[110:111], v[240:241]
	v_mul_f64 v[100:101], v[100:101], v[108:109]
	v_fma_f64 v[232:233], v[98:99], v[114:115], -v[100:101]
	v_mul_f64 v[20:21], v[102:103], v[244:245]
	v_add_f64 v[226:227], v[226:227], 0
	s_waitcnt lgkmcnt(1)
	v_mul_f64 v[24:25], v[2:3], v[118:119]
	v_add_f64 v[226:227], v[226:227], v[228:229]
	v_fmac_f64_e32 v[14:15], v[88:89], v[250:251]
	v_add_f64 v[10:11], v[10:11], v[14:15]
	v_fmac_f64_e32 v[16:17], v[92:93], v[248:249]
	;; [unrolled: 2-line block ×4, first 2 shown]
	v_add_f64 v[10:11], v[10:11], v[20:21]
	v_add_f64 v[10:11], v[10:11], v[22:23]
	s_waitcnt lgkmcnt(0)
	v_mul_f64 v[16:17], v[6:7], v[120:121]
	v_fmac_f64_e32 v[16:17], v[8:9], v[122:123]
	v_fmac_f64_e32 v[24:25], v[4:5], v[124:125]
	v_add_f64 v[14:15], v[10:11], v[24:25]
	ds_read_b128 v[10:13], v1 offset:1424
	v_add_f64 v[18:19], v[14:15], v[16:17]
	ds_read_b128 v[14:17], v1 offset:1440
	v_mul_f64 v[88:89], v[88:89], v[94:95]
	v_mul_f64 v[92:93], v[92:93], v[116:117]
	s_waitcnt lgkmcnt(1)
	v_mul_f64 v[20:21], v[10:11], v[130:131]
	v_fmac_f64_e32 v[20:21], v[12:13], v[132:133]
	s_waitcnt lgkmcnt(0)
	v_mul_f64 v[24:25], v[14:15], v[126:127]
	v_add_f64 v[22:23], v[18:19], v[20:21]
	ds_read_b128 v[18:21], v1 offset:1456
	v_fmac_f64_e32 v[24:25], v[16:17], v[128:129]
	v_add_f64 v[26:27], v[22:23], v[24:25]
	ds_read_b128 v[22:25], v1 offset:1472
	v_fma_f64 v[230:231], v[90:91], v[248:249], -v[92:93]
	s_waitcnt lgkmcnt(1)
	v_mul_f64 v[28:29], v[18:19], v[142:143]
	v_fmac_f64_e32 v[28:29], v[20:21], v[144:145]
	v_add_f64 v[30:31], v[26:27], v[28:29]
	s_waitcnt lgkmcnt(0)
	v_mul_f64 v[32:33], v[22:23], v[134:135]
	ds_read_b128 v[26:29], v1 offset:1488
	v_fmac_f64_e32 v[32:33], v[24:25], v[136:137]
	v_add_f64 v[34:35], v[30:31], v[32:33]
	ds_read_b128 v[30:33], v1 offset:1504
	v_mul_f64 v[104:105], v[104:105], v[244:245]
	s_waitcnt vmcnt(58) lgkmcnt(1)
	v_mul_f64 v[36:37], v[26:27], v[158:159]
	s_waitcnt vmcnt(56)
	v_fmac_f64_e32 v[36:37], v[28:29], v[162:163]
	v_add_f64 v[38:39], v[34:35], v[36:37]
	s_waitcnt lgkmcnt(0)
	v_mul_f64 v[40:41], v[30:31], v[138:139]
	ds_read_b128 v[34:37], v1 offset:1520
	v_fmac_f64_e32 v[40:41], v[32:33], v[140:141]
	v_add_f64 v[42:43], v[38:39], v[40:41]
	ds_read_b128 v[38:41], v1 offset:1536
	v_mul_f64 v[112:113], v[112:113], v[240:241]
	s_waitcnt vmcnt(50) lgkmcnt(1)
	v_mul_f64 v[44:45], v[34:35], v[166:167]
	s_waitcnt vmcnt(48)
	v_fmac_f64_e32 v[44:45], v[36:37], v[170:171]
	v_add_f64 v[46:47], v[42:43], v[44:45]
	s_waitcnt lgkmcnt(0)
	v_mul_f64 v[48:49], v[38:39], v[146:147]
	v_fmac_f64_e32 v[48:49], v[40:41], v[148:149]
	ds_read_b128 v[42:45], v1 offset:1552
	v_add_f64 v[50:51], v[46:47], v[48:49]
	ds_read_b128 v[46:49], v1 offset:1568
	buffer_load_dword v207, off, s[0:3], 0 offset:860
	buffer_load_dword v209, off, s[0:3], 0 offset:844
	;; [unrolled: 1-line block ×12, first 2 shown]
	v_fma_f64 v[252:253], v[110:111], v[242:243], -v[112:113]
	s_waitcnt vmcnt(54) lgkmcnt(1)
	v_mul_f64 v[52:53], v[42:43], v[174:175]
	s_waitcnt vmcnt(52)
	v_fmac_f64_e32 v[52:53], v[44:45], v[178:179]
	v_add_f64 v[54:55], v[50:51], v[52:53]
	ds_read_b128 v[50:53], v1 offset:1584
	s_waitcnt lgkmcnt(1)
	v_mul_f64 v[56:57], v[46:47], v[150:151]
	v_fmac_f64_e32 v[56:57], v[48:49], v[152:153]
	buffer_load_dword v221, off, s[0:3], 0 offset:892
	buffer_load_dword v220, off, s[0:3], 0 offset:888
	;; [unrolled: 1-line block ×12, first 2 shown]
	v_add_f64 v[58:59], v[54:55], v[56:57]
	ds_read_b128 v[54:57], v1 offset:1600
	s_waitcnt vmcnt(58) lgkmcnt(1)
	v_mul_f64 v[60:61], v[50:51], v[182:183]
	s_waitcnt vmcnt(56)
	v_fmac_f64_e32 v[60:61], v[52:53], v[186:187]
	v_add_f64 v[62:63], v[58:59], v[60:61]
	ds_read_b128 v[58:61], v1 offset:1616
	s_waitcnt lgkmcnt(1)
	v_mul_f64 v[64:65], v[54:55], v[154:155]
	v_fmac_f64_e32 v[64:65], v[56:57], v[156:157]
	v_add_f64 v[70:71], v[62:63], v[64:65]
	ds_read_b128 v[62:65], v1 offset:1632
	ds_read_b128 v[66:69], v1 offset:1648
	s_waitcnt vmcnt(50) lgkmcnt(2)
	v_mul_f64 v[72:73], v[58:59], v[190:191]
	s_waitcnt vmcnt(48)
	v_fmac_f64_e32 v[72:73], v[60:61], v[192:193]
	v_add_f64 v[70:71], v[70:71], v[72:73]
	s_waitcnt lgkmcnt(1)
	v_mul_f64 v[72:73], v[62:63], v[160:161]
	v_fmac_f64_e32 v[72:73], v[64:65], v[164:165]
	v_add_f64 v[70:71], v[70:71], v[72:73]
	s_waitcnt vmcnt(42) lgkmcnt(0)
	v_mul_f64 v[72:73], v[66:67], v[194:195]
	s_waitcnt vmcnt(40)
	v_fmac_f64_e32 v[72:73], v[68:69], v[196:197]
	v_add_f64 v[224:225], v[70:71], v[72:73]
	ds_read_b128 v[70:73], v1 offset:1664
	ds_read_b128 v[74:77], v1 offset:1680
	;; [unrolled: 1-line block ×5, first 2 shown]
	s_waitcnt lgkmcnt(4)
	v_mul_f64 v[84:85], v[70:71], v[168:169]
	v_fmac_f64_e32 v[84:85], v[72:73], v[172:173]
	v_add_f64 v[82:83], v[224:225], v[84:85]
	s_waitcnt vmcnt(34) lgkmcnt(3)
	v_mul_f64 v[84:85], v[74:75], v[198:199]
	s_waitcnt vmcnt(32)
	v_fmac_f64_e32 v[84:85], v[76:77], v[200:201]
	v_add_f64 v[82:83], v[82:83], v[84:85]
	v_fma_f64 v[224:225], v[86:87], v[250:251], -v[88:89]
	ds_read_b128 v[86:89], v1 offset:1728
	s_waitcnt lgkmcnt(3)
	v_mul_f64 v[84:85], v[78:79], v[176:177]
	v_fmac_f64_e32 v[84:85], v[80:81], v[180:181]
	v_add_f64 v[96:97], v[82:83], v[84:85]
	ds_read_b128 v[82:85], v1 offset:1712
	v_fma_f64 v[250:251], v[102:103], v[246:247], -v[104:105]
	ds_read_b128 v[110:113], v1 offset:1824
	v_add_f64 v[224:225], v[226:227], v[224:225]
	v_add_f64 v[224:225], v[224:225], v[230:231]
	s_waitcnt vmcnt(26) lgkmcnt(1)
	v_mul_f64 v[94:95], v[82:83], v[202:203]
	s_waitcnt vmcnt(24)
	v_fmac_f64_e32 v[94:95], v[84:85], v[204:205]
	v_add_f64 v[94:95], v[96:97], v[94:95]
	v_mul_f64 v[96:97], v[86:87], v[184:185]
	v_fmac_f64_e32 v[96:97], v[88:89], v[188:189]
	v_add_f64 v[106:107], v[94:95], v[96:97]
	ds_read_b128 v[94:97], v1 offset:1760
	v_add_f64 v[254:255], v[224:225], v[232:233]
	v_add_f64 v[224:225], v[254:255], v[250:251]
	v_mul_f64 v[4:5], v[4:5], v[118:119]
	v_add_f64 v[224:225], v[224:225], v[252:253]
	ds_read_b128 v[102:105], v1 offset:1808
	v_fma_f64 v[2:3], v[2:3], v[124:125], -v[4:5]
	v_mul_f64 v[4:5], v[8:9], v[120:121]
	v_add_f64 v[2:3], v[224:225], v[2:3]
	v_fma_f64 v[4:5], v[6:7], v[122:123], -v[4:5]
	v_add_f64 v[2:3], v[2:3], v[4:5]
	v_mul_f64 v[4:5], v[12:13], v[130:131]
	v_fma_f64 v[4:5], v[10:11], v[132:133], -v[4:5]
	v_add_f64 v[2:3], v[2:3], v[4:5]
	v_mul_f64 v[4:5], v[16:17], v[126:127]
	s_waitcnt vmcnt(21)
	v_mul_f64 v[108:109], v[90:91], v[208:209]
	v_fma_f64 v[4:5], v[14:15], v[128:129], -v[4:5]
	s_waitcnt vmcnt(19)
	v_fmac_f64_e32 v[108:109], v[92:93], v[214:215]
	v_add_f64 v[106:107], v[106:107], v[108:109]
	s_waitcnt vmcnt(18) lgkmcnt(1)
	v_mul_f64 v[108:109], v[94:95], v[206:207]
	s_waitcnt vmcnt(16)
	v_fmac_f64_e32 v[108:109], v[96:97], v[212:213]
	v_add_f64 v[114:115], v[106:107], v[108:109]
	ds_read_b128 v[106:109], v1 offset:1792
	buffer_load_dword v243, off, s[0:3], 0 offset:940
	buffer_load_dword v242, off, s[0:3], 0 offset:936
	;; [unrolled: 1-line block ×4, first 2 shown]
	s_waitcnt vmcnt(18)
	v_mul_f64 v[116:117], v[98:99], v[210:211]
	s_waitcnt vmcnt(16)
	v_fmac_f64_e32 v[116:117], v[100:101], v[216:217]
	v_add_f64 v[114:115], v[114:115], v[116:117]
	s_waitcnt vmcnt(14) lgkmcnt(0)
	v_mul_f64 v[116:117], v[106:107], v[220:221]
	s_waitcnt vmcnt(12)
	v_fmac_f64_e32 v[116:117], v[108:109], v[222:223]
	v_add_f64 v[114:115], v[114:115], v[116:117]
	s_waitcnt vmcnt(9)
	v_mul_f64 v[116:117], v[102:103], v[236:237]
	s_waitcnt vmcnt(7)
	v_fmac_f64_e32 v[116:117], v[104:105], v[238:239]
	v_add_f64 v[114:115], v[114:115], v[116:117]
	s_waitcnt vmcnt(5)
	v_mul_f64 v[116:117], v[110:111], v[218:219]
	s_waitcnt vmcnt(4)
	v_fmac_f64_e32 v[116:117], v[112:113], v[234:235]
	v_add_f64 v[240:241], v[114:115], v[116:117]
	ds_read_b128 v[114:117], v1 offset:1840
	v_add_f64 v[2:3], v[2:3], v[4:5]
	v_mul_f64 v[4:5], v[20:21], v[142:143]
	v_fma_f64 v[4:5], v[18:19], v[144:145], -v[4:5]
	v_add_f64 v[2:3], v[2:3], v[4:5]
	v_mul_f64 v[4:5], v[24:25], v[134:135]
	v_fma_f64 v[4:5], v[22:23], v[136:137], -v[4:5]
	;; [unrolled: 3-line block ×21, first 2 shown]
	v_add_f64 v[2:3], v[2:3], v[4:5]
	s_waitcnt vmcnt(2) lgkmcnt(0)
	v_mul_f64 v[246:247], v[114:115], v[242:243]
	v_mul_f64 v[4:5], v[108:109], v[220:221]
	s_waitcnt vmcnt(0)
	v_fmac_f64_e32 v[246:247], v[116:117], v[244:245]
	v_add_f64 v[240:241], v[240:241], v[246:247]
	buffer_load_dword v248, off, s[0:3], 0 offset:352
	buffer_load_dword v249, off, s[0:3], 0 offset:356
	;; [unrolled: 1-line block ×4, first 2 shown]
	v_fma_f64 v[4:5], v[106:107], v[222:223], -v[4:5]
	v_add_f64 v[2:3], v[2:3], v[4:5]
	v_mul_f64 v[4:5], v[104:105], v[236:237]
	v_fma_f64 v[4:5], v[102:103], v[238:239], -v[4:5]
	v_add_f64 v[2:3], v[2:3], v[4:5]
	v_mul_f64 v[4:5], v[112:113], v[218:219]
	;; [unrolled: 3-line block ×3, first 2 shown]
	v_fma_f64 v[4:5], v[114:115], v[244:245], -v[4:5]
	v_add_f64 v[2:3], v[2:3], v[4:5]
	s_waitcnt vmcnt(2)
	v_add_f64 v[2:3], v[248:249], -v[2:3]
	s_waitcnt vmcnt(0)
	v_add_f64 v[4:5], v[246:247], -v[240:241]
	buffer_store_dword v3, off, s[0:3], 0 offset:356
	buffer_store_dword v2, off, s[0:3], 0 offset:352
	;; [unrolled: 1-line block ×4, first 2 shown]
	s_and_saveexec_b64 s[4:5], vcc
	s_cbranch_execz .LBB57_321
; %bb.320:
	v_accvgpr_read_b32 v1, a153
	buffer_load_dword v2, v1, s[0:3], 0 offen
	buffer_load_dword v3, v1, s[0:3], 0 offen offset:4
	buffer_load_dword v4, v1, s[0:3], 0 offen offset:8
	;; [unrolled: 1-line block ×3, first 2 shown]
	v_mov_b32_e32 v1, 0
	v_accvgpr_read_b32 v6, a173
	buffer_store_dword v1, off, s[0:3], 0 offset:336
	buffer_store_dword v1, off, s[0:3], 0 offset:340
	;; [unrolled: 1-line block ×4, first 2 shown]
	s_waitcnt vmcnt(4)
	ds_write_b128 v6, v[2:5]
.LBB57_321:
	s_or_b64 exec, exec, s[4:5]
	s_waitcnt lgkmcnt(0)
	; wave barrier
	s_waitcnt lgkmcnt(0)
	buffer_load_dword v66, off, s[0:3], 0 offset:352
	buffer_load_dword v67, off, s[0:3], 0 offset:356
	;; [unrolled: 1-line block ×55, first 2 shown]
	v_mov_b32_e32 v1, 0
	ds_read_b128 v[74:77], v1 offset:1264
	ds_read_b128 v[86:89], v1 offset:1280
	;; [unrolled: 1-line block ×9, first 2 shown]
	buffer_load_dword v136, off, s[0:3], 0 offset:576
	buffer_load_dword v155, off, s[0:3], 0 offset:572
	buffer_load_dword v154, off, s[0:3], 0 offset:568
	buffer_load_dword v159, off, s[0:3], 0 offset:564
	buffer_load_dword v158, off, s[0:3], 0 offset:560
	buffer_load_dword v143, off, s[0:3], 0 offset:620
	buffer_load_dword v142, off, s[0:3], 0 offset:616
	buffer_load_dword v145, off, s[0:3], 0 offset:612
	buffer_load_dword v144, off, s[0:3], 0 offset:608
	buffer_load_dword v163, off, s[0:3], 0 offset:604
	buffer_load_dword v162, off, s[0:3], 0 offset:600
	buffer_load_dword v167, off, s[0:3], 0 offset:596
	buffer_load_dword v166, off, s[0:3], 0 offset:592
	buffer_load_dword v147, off, s[0:3], 0 offset:652
	buffer_load_dword v146, off, s[0:3], 0 offset:648
	buffer_load_dword v149, off, s[0:3], 0 offset:644
	buffer_load_dword v148, off, s[0:3], 0 offset:640
	buffer_load_dword v171, off, s[0:3], 0 offset:636
	buffer_load_dword v170, off, s[0:3], 0 offset:632
	buffer_load_dword v175, off, s[0:3], 0 offset:628
	buffer_load_dword v174, off, s[0:3], 0 offset:624
	buffer_load_dword v151, off, s[0:3], 0 offset:684
	buffer_load_dword v150, off, s[0:3], 0 offset:680
	buffer_load_dword v153, off, s[0:3], 0 offset:676
	buffer_load_dword v152, off, s[0:3], 0 offset:672
	buffer_load_dword v179, off, s[0:3], 0 offset:668
	buffer_load_dword v178, off, s[0:3], 0 offset:664
	buffer_load_dword v183, off, s[0:3], 0 offset:660
	buffer_load_dword v182, off, s[0:3], 0 offset:656
	buffer_load_dword v157, off, s[0:3], 0 offset:716
	buffer_load_dword v156, off, s[0:3], 0 offset:712
	buffer_load_dword v161, off, s[0:3], 0 offset:708
	buffer_load_dword v160, off, s[0:3], 0 offset:704
	buffer_load_dword v187, off, s[0:3], 0 offset:700
	buffer_load_dword v186, off, s[0:3], 0 offset:696
	buffer_load_dword v189, off, s[0:3], 0 offset:692
	buffer_load_dword v188, off, s[0:3], 0 offset:688
	buffer_load_dword v165, off, s[0:3], 0 offset:748
	buffer_load_dword v164, off, s[0:3], 0 offset:744
	buffer_load_dword v169, off, s[0:3], 0 offset:740
	buffer_load_dword v168, off, s[0:3], 0 offset:736
	buffer_load_dword v191, off, s[0:3], 0 offset:732
	buffer_load_dword v190, off, s[0:3], 0 offset:728
	buffer_load_dword v193, off, s[0:3], 0 offset:724
	buffer_load_dword v192, off, s[0:3], 0 offset:720
	buffer_load_dword v173, off, s[0:3], 0 offset:780
	buffer_load_dword v172, off, s[0:3], 0 offset:776
	buffer_load_dword v177, off, s[0:3], 0 offset:772
	buffer_load_dword v176, off, s[0:3], 0 offset:768
	buffer_load_dword v195, off, s[0:3], 0 offset:764
	buffer_load_dword v194, off, s[0:3], 0 offset:760
	buffer_load_dword v197, off, s[0:3], 0 offset:756
	buffer_load_dword v196, off, s[0:3], 0 offset:752
	buffer_load_dword v181, off, s[0:3], 0 offset:812
	buffer_load_dword v180, off, s[0:3], 0 offset:808
	buffer_load_dword v185, off, s[0:3], 0 offset:804
	buffer_load_dword v184, off, s[0:3], 0 offset:800
	buffer_load_dword v199, off, s[0:3], 0 offset:796
	buffer_load_dword v198, off, s[0:3], 0 offset:792
	buffer_load_dword v201, off, s[0:3], 0 offset:788
	buffer_load_dword v200, off, s[0:3], 0 offset:784
	v_cmp_lt_u32_e32 vcc, 19, v0
	s_waitcnt vmcnt(62) lgkmcnt(8)
	v_mul_f64 v[6:7], v[74:75], v[68:69]
	v_fmac_f64_e32 v[6:7], v[76:77], v[66:67]
	v_add_f64 v[6:7], v[6:7], 0
	v_mul_f64 v[68:69], v[76:77], v[68:69]
	s_waitcnt lgkmcnt(7)
	v_mul_f64 v[8:9], v[86:87], v[72:73]
	v_fmac_f64_e32 v[8:9], v[88:89], v[70:71]
	s_waitcnt lgkmcnt(6)
	v_mul_f64 v[10:11], v[98:99], v[78:79]
	v_add_f64 v[6:7], v[6:7], v[8:9]
	s_waitcnt lgkmcnt(4)
	v_mul_f64 v[14:15], v[114:115], v[90:91]
	v_fma_f64 v[226:227], v[74:75], v[66:67], -v[68:69]
	v_fmac_f64_e32 v[14:15], v[116:117], v[92:93]
	v_mul_f64 v[72:73], v[88:89], v[72:73]
	v_mul_f64 v[12:13], v[110:111], v[82:83]
	;; [unrolled: 1-line block ×3, first 2 shown]
	s_waitcnt lgkmcnt(2)
	v_mul_f64 v[18:19], v[244:245], v[102:103]
	v_mul_f64 v[82:83], v[112:113], v[82:83]
	;; [unrolled: 1-line block ×4, first 2 shown]
	v_fma_f64 v[232:233], v[114:115], v[92:93], -v[90:91]
	s_waitcnt lgkmcnt(1)
	v_mul_f64 v[20:21], v[248:249], v[106:107]
	v_fmac_f64_e32 v[20:21], v[250:251], v[108:109]
	v_fmac_f64_e32 v[10:11], v[100:101], v[80:81]
	v_add_f64 v[6:7], v[6:7], v[10:11]
	v_fmac_f64_e32 v[12:13], v[112:113], v[84:85]
	v_add_f64 v[6:7], v[6:7], v[12:13]
	;; [unrolled: 2-line block ×4, first 2 shown]
	v_add_f64 v[6:7], v[6:7], v[18:19]
	v_add_f64 v[10:11], v[6:7], v[20:21]
	ds_read_b128 v[6:9], v1 offset:1408
	s_waitcnt lgkmcnt(1)
	v_mul_f64 v[12:13], v[2:3], v[118:119]
	v_fmac_f64_e32 v[12:13], v[4:5], v[120:121]
	v_add_f64 v[14:15], v[10:11], v[12:13]
	ds_read_b128 v[10:13], v1 offset:1424
	s_waitcnt lgkmcnt(1)
	v_mul_f64 v[16:17], v[6:7], v[126:127]
	v_fmac_f64_e32 v[16:17], v[8:9], v[128:129]
	;; [unrolled: 5-line block ×5, first 2 shown]
	v_add_f64 v[30:31], v[26:27], v[28:29]
	ds_read_b128 v[26:29], v1 offset:1488
	s_waitcnt vmcnt(58) lgkmcnt(1)
	v_mul_f64 v[32:33], v[22:23], v[154:155]
	s_waitcnt vmcnt(56)
	v_fmac_f64_e32 v[32:33], v[24:25], v[158:159]
	v_add_f64 v[34:35], v[30:31], v[32:33]
	ds_read_b128 v[30:33], v1 offset:1504
	s_waitcnt lgkmcnt(1)
	v_mul_f64 v[36:37], v[26:27], v[134:135]
	v_fmac_f64_e32 v[36:37], v[28:29], v[136:137]
	v_add_f64 v[38:39], v[34:35], v[36:37]
	ds_read_b128 v[34:37], v1 offset:1520
	s_waitcnt vmcnt(50) lgkmcnt(1)
	v_mul_f64 v[40:41], v[30:31], v[162:163]
	s_waitcnt vmcnt(48)
	v_fmac_f64_e32 v[40:41], v[32:33], v[166:167]
	v_add_f64 v[42:43], v[38:39], v[40:41]
	ds_read_b128 v[38:41], v1 offset:1536
	s_waitcnt lgkmcnt(1)
	v_mul_f64 v[44:45], v[34:35], v[142:143]
	v_fmac_f64_e32 v[44:45], v[36:37], v[144:145]
	v_add_f64 v[46:47], v[42:43], v[44:45]
	ds_read_b128 v[42:45], v1 offset:1552
	s_waitcnt vmcnt(42) lgkmcnt(1)
	v_mul_f64 v[48:49], v[38:39], v[170:171]
	s_waitcnt vmcnt(40)
	v_fmac_f64_e32 v[48:49], v[40:41], v[174:175]
	v_add_f64 v[50:51], v[46:47], v[48:49]
	ds_read_b128 v[46:49], v1 offset:1568
	buffer_load_dword v203, off, s[0:3], 0 offset:828
	buffer_load_dword v202, off, s[0:3], 0 offset:824
	;; [unrolled: 1-line block ×4, first 2 shown]
	s_waitcnt lgkmcnt(1)
	v_mul_f64 v[52:53], v[42:43], v[146:147]
	v_fmac_f64_e32 v[52:53], v[44:45], v[148:149]
	v_add_f64 v[54:55], v[50:51], v[52:53]
	ds_read_b128 v[50:53], v1 offset:1584
	buffer_load_dword v207, off, s[0:3], 0 offset:844
	buffer_load_dword v206, off, s[0:3], 0 offset:840
	;; [unrolled: 1-line block ×8, first 2 shown]
	s_waitcnt vmcnt(46) lgkmcnt(1)
	v_mul_f64 v[56:57], v[46:47], v[178:179]
	s_waitcnt vmcnt(44)
	v_fmac_f64_e32 v[56:57], v[48:49], v[182:183]
	v_add_f64 v[58:59], v[54:55], v[56:57]
	ds_read_b128 v[54:57], v1 offset:1600
	buffer_load_dword v217, off, s[0:3], 0 offset:876
	buffer_load_dword v216, off, s[0:3], 0 offset:872
	;; [unrolled: 1-line block ×12, first 2 shown]
	s_waitcnt lgkmcnt(1)
	v_mul_f64 v[60:61], v[50:51], v[150:151]
	v_fmac_f64_e32 v[60:61], v[52:53], v[152:153]
	v_add_f64 v[62:63], v[58:59], v[60:61]
	ds_read_b128 v[58:61], v1 offset:1616
	s_waitcnt vmcnt(50) lgkmcnt(1)
	v_mul_f64 v[64:65], v[54:55], v[186:187]
	s_waitcnt vmcnt(48)
	v_fmac_f64_e32 v[64:65], v[56:57], v[188:189]
	v_add_f64 v[62:63], v[62:63], v[64:65]
	buffer_load_dword v237, off, s[0:3], 0 offset:924
	buffer_load_dword v236, off, s[0:3], 0 offset:920
	buffer_load_dword v239, off, s[0:3], 0 offset:916
	buffer_load_dword v238, off, s[0:3], 0 offset:912
	s_waitcnt lgkmcnt(0)
	v_mul_f64 v[64:65], v[58:59], v[156:157]
	v_fmac_f64_e32 v[64:65], v[60:61], v[160:161]
	v_add_f64 v[224:225], v[62:63], v[64:65]
	ds_read_b128 v[62:65], v1 offset:1632
	ds_read_b128 v[66:69], v1 offset:1648
	v_fma_f64 v[228:229], v[98:99], v[80:81], -v[78:79]
	ds_read_b128 v[78:81], v1 offset:1696
	v_fma_f64 v[230:231], v[110:111], v[84:85], -v[82:83]
	ds_read_b128 v[82:85], v1 offset:1712
	s_waitcnt vmcnt(46) lgkmcnt(3)
	v_mul_f64 v[74:75], v[62:63], v[190:191]
	s_waitcnt vmcnt(44)
	v_fmac_f64_e32 v[74:75], v[64:65], v[192:193]
	v_add_f64 v[74:75], v[224:225], v[74:75]
	v_fma_f64 v[224:225], v[86:87], v[70:71], -v[72:73]
	ds_read_b128 v[70:73], v1 offset:1664
	s_waitcnt lgkmcnt(3)
	v_mul_f64 v[76:77], v[66:67], v[164:165]
	v_fmac_f64_e32 v[76:77], v[68:69], v[168:169]
	v_add_f64 v[86:87], v[74:75], v[76:77]
	ds_read_b128 v[74:77], v1 offset:1680
	s_waitcnt vmcnt(38) lgkmcnt(1)
	v_mul_f64 v[88:89], v[70:71], v[194:195]
	s_waitcnt vmcnt(36)
	v_fmac_f64_e32 v[88:89], v[72:73], v[196:197]
	v_add_f64 v[86:87], v[86:87], v[88:89]
	ds_read_b128 v[90:93], v1 offset:1744
	s_waitcnt lgkmcnt(1)
	v_mul_f64 v[88:89], v[74:75], v[172:173]
	v_fmac_f64_e32 v[88:89], v[76:77], v[176:177]
	v_add_f64 v[86:87], v[86:87], v[88:89]
	s_waitcnt vmcnt(30)
	v_mul_f64 v[88:89], v[78:79], v[198:199]
	s_waitcnt vmcnt(28)
	v_fmac_f64_e32 v[88:89], v[80:81], v[200:201]
	v_add_f64 v[86:87], v[86:87], v[88:89]
	v_mul_f64 v[88:89], v[82:83], v[180:181]
	v_fmac_f64_e32 v[88:89], v[84:85], v[184:185]
	v_add_f64 v[98:99], v[86:87], v[88:89]
	ds_read_b128 v[86:89], v1 offset:1728
	v_mul_f64 v[94:95], v[242:243], v[94:95]
	v_fma_f64 v[252:253], v[240:241], v[96:97], -v[94:95]
	ds_read_b128 v[94:97], v1 offset:1760
	v_mul_f64 v[102:103], v[246:247], v[102:103]
	v_fma_f64 v[246:247], v[244:245], v[104:105], -v[102:103]
	;; [unrolled: 3-line block ×3, first 2 shown]
	v_add_f64 v[226:227], v[226:227], 0
	v_add_f64 v[224:225], v[226:227], v[224:225]
	;; [unrolled: 1-line block ×7, first 2 shown]
	v_mul_f64 v[4:5], v[4:5], v[118:119]
	v_add_f64 v[224:225], v[252:253], v[250:251]
	v_fma_f64 v[2:3], v[2:3], v[120:121], -v[4:5]
	v_mul_f64 v[4:5], v[8:9], v[126:127]
	v_add_f64 v[2:3], v[224:225], v[2:3]
	v_fma_f64 v[4:5], v[6:7], v[128:129], -v[4:5]
	v_add_f64 v[2:3], v[2:3], v[4:5]
	ds_read_b128 v[106:109], v1 offset:1808
	v_mul_f64 v[4:5], v[12:13], v[122:123]
	v_fma_f64 v[4:5], v[10:11], v[124:125], -v[4:5]
	v_add_f64 v[2:3], v[2:3], v[4:5]
	s_waitcnt vmcnt(26) lgkmcnt(3)
	v_mul_f64 v[100:101], v[86:87], v[202:203]
	v_mul_f64 v[4:5], v[16:17], v[138:139]
	s_waitcnt vmcnt(24)
	v_fmac_f64_e32 v[100:101], v[88:89], v[204:205]
	v_add_f64 v[98:99], v[98:99], v[100:101]
	s_waitcnt vmcnt(22)
	v_mul_f64 v[100:101], v[90:91], v[206:207]
	s_waitcnt vmcnt(20)
	v_fmac_f64_e32 v[100:101], v[92:93], v[210:211]
	v_add_f64 v[98:99], v[98:99], v[100:101]
	s_waitcnt vmcnt(18) lgkmcnt(2)
	v_mul_f64 v[100:101], v[94:95], v[208:209]
	s_waitcnt vmcnt(16)
	v_fmac_f64_e32 v[100:101], v[96:97], v[212:213]
	v_add_f64 v[110:111], v[98:99], v[100:101]
	ds_read_b128 v[98:101], v1 offset:1776
	v_fma_f64 v[4:5], v[14:15], v[140:141], -v[4:5]
	v_add_f64 v[2:3], v[2:3], v[4:5]
	v_mul_f64 v[4:5], v[20:21], v[130:131]
	v_fma_f64 v[4:5], v[18:19], v[132:133], -v[4:5]
	s_waitcnt vmcnt(14) lgkmcnt(0)
	v_mul_f64 v[112:113], v[98:99], v[216:217]
	s_waitcnt vmcnt(12)
	v_fmac_f64_e32 v[112:113], v[100:101], v[218:219]
	v_add_f64 v[110:111], v[110:111], v[112:113]
	s_waitcnt vmcnt(9)
	v_mul_f64 v[112:113], v[102:103], v[222:223]
	s_waitcnt vmcnt(7)
	v_fmac_f64_e32 v[112:113], v[104:105], v[234:235]
	v_add_f64 v[110:111], v[110:111], v[112:113]
	s_waitcnt vmcnt(5)
	v_mul_f64 v[112:113], v[106:107], v[214:215]
	s_waitcnt vmcnt(4)
	v_fmac_f64_e32 v[112:113], v[108:109], v[220:221]
	v_add_f64 v[114:115], v[110:111], v[112:113]
	ds_read_b128 v[110:113], v1 offset:1824
	buffer_load_dword v242, off, s[0:3], 0 offset:936
	buffer_load_dword v243, off, s[0:3], 0 offset:940
	buffer_load_dword v244, off, s[0:3], 0 offset:928
	buffer_load_dword v245, off, s[0:3], 0 offset:932
	v_add_f64 v[2:3], v[2:3], v[4:5]
	v_mul_f64 v[4:5], v[24:25], v[154:155]
	v_fma_f64 v[4:5], v[22:23], v[158:159], -v[4:5]
	s_waitcnt vmcnt(6) lgkmcnt(0)
	v_mul_f64 v[116:117], v[110:111], v[236:237]
	s_waitcnt vmcnt(4)
	v_fmac_f64_e32 v[116:117], v[112:113], v[238:239]
	v_add_f64 v[240:241], v[114:115], v[116:117]
	ds_read_b128 v[114:117], v1 offset:1840
	v_add_f64 v[2:3], v[2:3], v[4:5]
	v_mul_f64 v[4:5], v[28:29], v[134:135]
	v_fma_f64 v[4:5], v[26:27], v[136:137], -v[4:5]
	v_add_f64 v[2:3], v[2:3], v[4:5]
	v_mul_f64 v[4:5], v[32:33], v[162:163]
	v_fma_f64 v[4:5], v[30:31], v[166:167], -v[4:5]
	;; [unrolled: 3-line block ×22, first 2 shown]
	v_add_f64 v[2:3], v[2:3], v[4:5]
	s_waitcnt vmcnt(2) lgkmcnt(0)
	v_mul_f64 v[248:249], v[114:115], v[242:243]
	v_mul_f64 v[4:5], v[116:117], v[242:243]
	s_waitcnt vmcnt(0)
	v_fmac_f64_e32 v[248:249], v[116:117], v[244:245]
	v_add_f64 v[240:241], v[240:241], v[248:249]
	buffer_load_dword v248, off, s[0:3], 0 offset:336
	buffer_load_dword v249, off, s[0:3], 0 offset:340
	;; [unrolled: 1-line block ×4, first 2 shown]
	v_fma_f64 v[4:5], v[114:115], v[244:245], -v[4:5]
	v_add_f64 v[2:3], v[2:3], v[4:5]
	s_waitcnt vmcnt(2)
	v_add_f64 v[2:3], v[248:249], -v[2:3]
	s_waitcnt vmcnt(0)
	v_add_f64 v[4:5], v[246:247], -v[240:241]
	buffer_store_dword v3, off, s[0:3], 0 offset:340
	buffer_store_dword v2, off, s[0:3], 0 offset:336
	;; [unrolled: 1-line block ×4, first 2 shown]
	s_and_saveexec_b64 s[4:5], vcc
	s_cbranch_execz .LBB57_323
; %bb.322:
	v_accvgpr_read_b32 v5, a154
	buffer_load_dword v2, v5, s[0:3], 0 offen
	buffer_load_dword v3, v5, s[0:3], 0 offen offset:4
	buffer_load_dword v4, v5, s[0:3], 0 offen offset:8
	s_nop 0
	buffer_load_dword v5, v5, s[0:3], 0 offen offset:12
	v_accvgpr_read_b32 v6, a173
	buffer_store_dword v1, off, s[0:3], 0 offset:320
	buffer_store_dword v1, off, s[0:3], 0 offset:324
	;; [unrolled: 1-line block ×4, first 2 shown]
	s_waitcnt vmcnt(4)
	ds_write_b128 v6, v[2:5]
.LBB57_323:
	s_or_b64 exec, exec, s[4:5]
	s_waitcnt lgkmcnt(0)
	; wave barrier
	s_waitcnt lgkmcnt(0)
	buffer_load_dword v66, off, s[0:3], 0 offset:336
	buffer_load_dword v67, off, s[0:3], 0 offset:340
	;; [unrolled: 1-line block ×42, first 2 shown]
	ds_read_b128 v[78:81], v1 offset:1248
	ds_read_b128 v[90:93], v1 offset:1264
	;; [unrolled: 1-line block ×10, first 2 shown]
	buffer_load_dword v129, off, s[0:3], 0 offset:484
	buffer_load_dword v128, off, s[0:3], 0 offset:480
	ds_read_b128 v[6:9], v1 offset:1408
	buffer_load_dword v125, off, s[0:3], 0 offset:540
	buffer_load_dword v124, off, s[0:3], 0 offset:536
	buffer_load_dword v127, off, s[0:3], 0 offset:532
	buffer_load_dword v126, off, s[0:3], 0 offset:528
	buffer_load_dword v131, off, s[0:3], 0 offset:524
	buffer_load_dword v130, off, s[0:3], 0 offset:520
	buffer_load_dword v147, off, s[0:3], 0 offset:516
	buffer_load_dword v146, off, s[0:3], 0 offset:512
	buffer_load_dword v133, off, s[0:3], 0 offset:572
	buffer_load_dword v132, off, s[0:3], 0 offset:568
	buffer_load_dword v135, off, s[0:3], 0 offset:564
	buffer_load_dword v134, off, s[0:3], 0 offset:560
	buffer_load_dword v151, off, s[0:3], 0 offset:556
	buffer_load_dword v150, off, s[0:3], 0 offset:552
	buffer_load_dword v155, off, s[0:3], 0 offset:548
	buffer_load_dword v154, off, s[0:3], 0 offset:544
	buffer_load_dword v137, off, s[0:3], 0 offset:604
	buffer_load_dword v136, off, s[0:3], 0 offset:600
	buffer_load_dword v139, off, s[0:3], 0 offset:596
	buffer_load_dword v138, off, s[0:3], 0 offset:592
	buffer_load_dword v159, off, s[0:3], 0 offset:588
	buffer_load_dword v158, off, s[0:3], 0 offset:584
	buffer_load_dword v163, off, s[0:3], 0 offset:580
	buffer_load_dword v162, off, s[0:3], 0 offset:576
	buffer_load_dword v141, off, s[0:3], 0 offset:636
	buffer_load_dword v140, off, s[0:3], 0 offset:632
	buffer_load_dword v143, off, s[0:3], 0 offset:628
	buffer_load_dword v142, off, s[0:3], 0 offset:624
	buffer_load_dword v167, off, s[0:3], 0 offset:620
	buffer_load_dword v166, off, s[0:3], 0 offset:616
	buffer_load_dword v171, off, s[0:3], 0 offset:612
	buffer_load_dword v170, off, s[0:3], 0 offset:608
	buffer_load_dword v145, off, s[0:3], 0 offset:668
	buffer_load_dword v144, off, s[0:3], 0 offset:664
	buffer_load_dword v149, off, s[0:3], 0 offset:660
	buffer_load_dword v148, off, s[0:3], 0 offset:656
	buffer_load_dword v175, off, s[0:3], 0 offset:652
	buffer_load_dword v174, off, s[0:3], 0 offset:648
	buffer_load_dword v179, off, s[0:3], 0 offset:644
	buffer_load_dword v178, off, s[0:3], 0 offset:640
	buffer_load_dword v153, off, s[0:3], 0 offset:700
	buffer_load_dword v152, off, s[0:3], 0 offset:696
	buffer_load_dword v157, off, s[0:3], 0 offset:692
	buffer_load_dword v156, off, s[0:3], 0 offset:688
	buffer_load_dword v183, off, s[0:3], 0 offset:684
	buffer_load_dword v182, off, s[0:3], 0 offset:680
	buffer_load_dword v187, off, s[0:3], 0 offset:676
	buffer_load_dword v186, off, s[0:3], 0 offset:672
	buffer_load_dword v161, off, s[0:3], 0 offset:732
	buffer_load_dword v160, off, s[0:3], 0 offset:728
	buffer_load_dword v165, off, s[0:3], 0 offset:724
	buffer_load_dword v164, off, s[0:3], 0 offset:720
	buffer_load_dword v191, off, s[0:3], 0 offset:716
	buffer_load_dword v190, off, s[0:3], 0 offset:712
	buffer_load_dword v193, off, s[0:3], 0 offset:708
	buffer_load_dword v192, off, s[0:3], 0 offset:704
	buffer_load_dword v169, off, s[0:3], 0 offset:764
	buffer_load_dword v168, off, s[0:3], 0 offset:760
	buffer_load_dword v173, off, s[0:3], 0 offset:756
	buffer_load_dword v172, off, s[0:3], 0 offset:752
	buffer_load_dword v195, off, s[0:3], 0 offset:748
	buffer_load_dword v194, off, s[0:3], 0 offset:744
	buffer_load_dword v197, off, s[0:3], 0 offset:740
	buffer_load_dword v196, off, s[0:3], 0 offset:736
	buffer_load_dword v177, off, s[0:3], 0 offset:796
	buffer_load_dword v176, off, s[0:3], 0 offset:792
	buffer_load_dword v181, off, s[0:3], 0 offset:788
	buffer_load_dword v180, off, s[0:3], 0 offset:784
	buffer_load_dword v199, off, s[0:3], 0 offset:780
	buffer_load_dword v198, off, s[0:3], 0 offset:776
	buffer_load_dword v201, off, s[0:3], 0 offset:772
	buffer_load_dword v200, off, s[0:3], 0 offset:768
	buffer_load_dword v185, off, s[0:3], 0 offset:828
	buffer_load_dword v184, off, s[0:3], 0 offset:824
	buffer_load_dword v189, off, s[0:3], 0 offset:820
	buffer_load_dword v188, off, s[0:3], 0 offset:816
	buffer_load_dword v203, off, s[0:3], 0 offset:812
	buffer_load_dword v202, off, s[0:3], 0 offset:808
	buffer_load_dword v205, off, s[0:3], 0 offset:804
	buffer_load_dword v204, off, s[0:3], 0 offset:800
	v_cmp_lt_u32_e32 vcc, 18, v0
	s_waitcnt vmcnt(62) lgkmcnt(10)
	v_mul_f64 v[10:11], v[78:79], v[68:69]
	v_fmac_f64_e32 v[10:11], v[80:81], v[66:67]
	v_add_f64 v[10:11], v[10:11], 0
	v_mul_f64 v[68:69], v[80:81], v[68:69]
	s_waitcnt lgkmcnt(9)
	v_mul_f64 v[12:13], v[90:91], v[64:65]
	v_fmac_f64_e32 v[12:13], v[92:93], v[62:63]
	s_waitcnt lgkmcnt(8)
	v_mul_f64 v[14:15], v[102:103], v[70:71]
	v_add_f64 v[10:11], v[10:11], v[12:13]
	s_waitcnt lgkmcnt(6)
	v_mul_f64 v[18:19], v[114:115], v[82:83]
	v_mul_f64 v[64:65], v[92:93], v[64:65]
	v_fmac_f64_e32 v[18:19], v[116:117], v[84:85]
	v_fma_f64 v[228:229], v[90:91], v[62:63], -v[64:65]
	v_mul_f64 v[16:17], v[110:111], v[74:75]
	v_fma_f64 v[226:227], v[78:79], v[66:67], -v[68:69]
	s_waitcnt lgkmcnt(4)
	v_mul_f64 v[22:23], v[244:245], v[94:95]
	v_mul_f64 v[70:71], v[104:105], v[70:71]
	v_fmac_f64_e32 v[22:23], v[246:247], v[96:97]
	v_mul_f64 v[74:75], v[112:113], v[74:75]
	v_mul_f64 v[20:21], v[240:241], v[86:87]
	;; [unrolled: 1-line block ×3, first 2 shown]
	s_waitcnt lgkmcnt(2)
	v_mul_f64 v[26:27], v[252:253], v[106:107]
	v_fma_f64 v[232:233], v[114:115], v[84:85], -v[82:83]
	v_mul_f64 v[86:87], v[242:243], v[86:87]
	v_mul_f64 v[24:25], v[248:249], v[98:99]
	v_mul_f64 v[94:95], v[246:247], v[94:95]
	s_waitcnt lgkmcnt(1)
	v_mul_f64 v[28:29], v[118:119], v[4:5]
	v_fma_f64 v[246:247], v[244:245], v[96:97], -v[94:95]
	v_fmac_f64_e32 v[14:15], v[104:105], v[72:73]
	v_add_f64 v[10:11], v[10:11], v[14:15]
	v_fmac_f64_e32 v[16:17], v[112:113], v[76:77]
	v_add_f64 v[10:11], v[10:11], v[16:17]
	;; [unrolled: 2-line block ×3, first 2 shown]
	v_add_f64 v[10:11], v[10:11], v[20:21]
	v_fmac_f64_e32 v[24:25], v[250:251], v[100:101]
	v_add_f64 v[10:11], v[10:11], v[22:23]
	v_fmac_f64_e32 v[26:27], v[254:255], v[108:109]
	v_add_f64 v[10:11], v[10:11], v[24:25]
	v_add_f64 v[10:11], v[10:11], v[26:27]
	s_waitcnt lgkmcnt(0)
	v_mul_f64 v[16:17], v[6:7], v[2:3]
	v_fmac_f64_e32 v[28:29], v[120:121], v[128:129]
	v_add_f64 v[14:15], v[10:11], v[28:29]
	ds_read_b128 v[10:13], v1 offset:1424
	v_fmac_f64_e32 v[16:17], v[8:9], v[122:123]
	v_add_f64 v[18:19], v[14:15], v[16:17]
	ds_read_b128 v[14:17], v1 offset:1440
	v_fma_f64 v[230:231], v[110:111], v[76:77], -v[74:75]
	s_waitcnt lgkmcnt(1)
	v_mul_f64 v[20:21], v[10:11], v[130:131]
	v_fmac_f64_e32 v[20:21], v[12:13], v[146:147]
	v_add_f64 v[22:23], v[18:19], v[20:21]
	ds_read_b128 v[18:21], v1 offset:1456
	s_waitcnt lgkmcnt(1)
	v_mul_f64 v[24:25], v[14:15], v[124:125]
	v_fmac_f64_e32 v[24:25], v[16:17], v[126:127]
	v_add_f64 v[26:27], v[22:23], v[24:25]
	ds_read_b128 v[22:25], v1 offset:1472
	;; [unrolled: 5-line block ×4, first 2 shown]
	s_waitcnt vmcnt(58) lgkmcnt(1)
	v_mul_f64 v[36:37], v[26:27], v[158:159]
	s_waitcnt vmcnt(56)
	v_fmac_f64_e32 v[36:37], v[28:29], v[162:163]
	v_add_f64 v[38:39], v[34:35], v[36:37]
	ds_read_b128 v[34:37], v1 offset:1520
	s_waitcnt lgkmcnt(1)
	v_mul_f64 v[40:41], v[30:31], v[136:137]
	v_fmac_f64_e32 v[40:41], v[32:33], v[138:139]
	v_add_f64 v[42:43], v[38:39], v[40:41]
	ds_read_b128 v[38:41], v1 offset:1536
	s_waitcnt vmcnt(50) lgkmcnt(1)
	v_mul_f64 v[44:45], v[34:35], v[166:167]
	s_waitcnt vmcnt(48)
	v_fmac_f64_e32 v[44:45], v[36:37], v[170:171]
	v_add_f64 v[46:47], v[42:43], v[44:45]
	ds_read_b128 v[42:45], v1 offset:1552
	s_waitcnt lgkmcnt(1)
	v_mul_f64 v[48:49], v[38:39], v[140:141]
	v_fmac_f64_e32 v[48:49], v[40:41], v[142:143]
	v_add_f64 v[50:51], v[46:47], v[48:49]
	ds_read_b128 v[46:49], v1 offset:1568
	s_waitcnt vmcnt(42) lgkmcnt(1)
	v_mul_f64 v[52:53], v[42:43], v[174:175]
	s_waitcnt vmcnt(40)
	v_fmac_f64_e32 v[52:53], v[44:45], v[178:179]
	v_add_f64 v[54:55], v[50:51], v[52:53]
	ds_read_b128 v[50:53], v1 offset:1584
	s_waitcnt lgkmcnt(1)
	v_mul_f64 v[56:57], v[46:47], v[144:145]
	buffer_load_dword v207, off, s[0:3], 0 offset:844
	buffer_load_dword v206, off, s[0:3], 0 offset:840
	;; [unrolled: 1-line block ×4, first 2 shown]
	v_fmac_f64_e32 v[56:57], v[48:49], v[148:149]
	v_add_f64 v[58:59], v[54:55], v[56:57]
	ds_read_b128 v[54:57], v1 offset:1600
	buffer_load_dword v212, off, s[0:3], 0 offset:856
	buffer_load_dword v214, off, s[0:3], 0 offset:848
	;; [unrolled: 1-line block ×16, first 2 shown]
	s_waitcnt vmcnt(54) lgkmcnt(1)
	v_mul_f64 v[60:61], v[50:51], v[182:183]
	s_waitcnt vmcnt(52)
	v_fmac_f64_e32 v[60:61], v[52:53], v[186:187]
	v_add_f64 v[224:225], v[58:59], v[60:61]
	ds_read_b128 v[58:61], v1 offset:1616
	buffer_load_dword v236, off, s[0:3], 0 offset:920
	buffer_load_dword v238, off, s[0:3], 0 offset:912
	;; [unrolled: 1-line block ×4, first 2 shown]
	ds_read_b128 v[62:65], v1 offset:1632
	s_waitcnt lgkmcnt(2)
	v_mul_f64 v[66:67], v[54:55], v[152:153]
	v_fmac_f64_e32 v[66:67], v[56:57], v[156:157]
	s_waitcnt vmcnt(50) lgkmcnt(1)
	v_mul_f64 v[68:69], v[58:59], v[190:191]
	v_add_f64 v[66:67], v[224:225], v[66:67]
	s_waitcnt vmcnt(48)
	v_fmac_f64_e32 v[68:69], v[60:61], v[192:193]
	v_add_f64 v[66:67], v[66:67], v[68:69]
	v_fma_f64 v[224:225], v[102:103], v[72:73], -v[70:71]
	ds_read_b128 v[70:73], v1 offset:1664
	s_waitcnt lgkmcnt(1)
	v_mul_f64 v[68:69], v[62:63], v[160:161]
	v_fmac_f64_e32 v[68:69], v[64:65], v[164:165]
	v_add_f64 v[78:79], v[66:67], v[68:69]
	ds_read_b128 v[66:69], v1 offset:1648
	ds_read_b128 v[74:77], v1 offset:1680
	;; [unrolled: 1-line block ×3, first 2 shown]
	v_accvgpr_write_b32 a175, v3
	v_accvgpr_write_b32 a174, v2
	s_waitcnt vmcnt(42) lgkmcnt(2)
	v_mul_f64 v[80:81], v[66:67], v[194:195]
	s_waitcnt vmcnt(40)
	v_fmac_f64_e32 v[80:81], v[68:69], v[196:197]
	v_add_f64 v[78:79], v[78:79], v[80:81]
	v_mul_f64 v[80:81], v[70:71], v[168:169]
	v_fmac_f64_e32 v[80:81], v[72:73], v[172:173]
	v_add_f64 v[90:91], v[78:79], v[80:81]
	ds_read_b128 v[78:81], v1 offset:1696
	s_waitcnt vmcnt(34) lgkmcnt(2)
	v_mul_f64 v[92:93], v[74:75], v[198:199]
	s_waitcnt vmcnt(32)
	v_fmac_f64_e32 v[92:93], v[76:77], v[200:201]
	v_fma_f64 v[2:3], v[240:241], v[88:89], -v[86:87]
	ds_read_b128 v[86:89], v1 offset:1728
	ds_read_b128 v[94:97], v1 offset:1760
	v_add_f64 v[90:91], v[90:91], v[92:93]
	s_waitcnt lgkmcnt(2)
	v_mul_f64 v[92:93], v[78:79], v[176:177]
	v_fmac_f64_e32 v[92:93], v[80:81], v[180:181]
	v_add_f64 v[90:91], v[90:91], v[92:93]
	s_waitcnt vmcnt(26)
	v_mul_f64 v[92:93], v[82:83], v[202:203]
	s_waitcnt vmcnt(24)
	v_fmac_f64_e32 v[92:93], v[84:85], v[204:205]
	v_add_f64 v[90:91], v[90:91], v[92:93]
	s_waitcnt lgkmcnt(1)
	v_mul_f64 v[92:93], v[86:87], v[184:185]
	v_fmac_f64_e32 v[92:93], v[88:89], v[188:189]
	v_add_f64 v[102:103], v[90:91], v[92:93]
	ds_read_b128 v[90:93], v1 offset:1744
	v_mul_f64 v[98:99], v[250:251], v[98:99]
	v_fma_f64 v[250:251], v[248:249], v[100:101], -v[98:99]
	ds_read_b128 v[98:101], v1 offset:1776
	v_mul_f64 v[106:107], v[254:255], v[106:107]
	v_fma_f64 v[252:253], v[252:253], v[108:109], -v[106:107]
	v_add_f64 v[226:227], v[226:227], 0
	v_add_f64 v[226:227], v[226:227], v[228:229]
	;; [unrolled: 1-line block ×8, first 2 shown]
	v_mul_f64 v[4:5], v[120:121], v[4:5]
	v_add_f64 v[2:3], v[2:3], v[252:253]
	v_fma_f64 v[4:5], v[118:119], v[128:129], -v[4:5]
	v_add_f64 v[2:3], v[2:3], v[4:5]
	v_accvgpr_read_b32 v4, a174
	v_accvgpr_read_b32 v5, a175
	v_mul_f64 v[4:5], v[8:9], v[4:5]
	ds_read_b128 v[106:109], v1 offset:1808
	v_fma_f64 v[4:5], v[6:7], v[122:123], -v[4:5]
	v_add_f64 v[2:3], v[2:3], v[4:5]
	v_mul_f64 v[4:5], v[12:13], v[130:131]
	v_fma_f64 v[4:5], v[10:11], v[146:147], -v[4:5]
	s_waitcnt vmcnt(13) lgkmcnt(1)
	v_mul_f64 v[112:113], v[98:99], v[216:217]
	v_add_f64 v[2:3], v[2:3], v[4:5]
	v_mul_f64 v[104:105], v[90:91], v[206:207]
	s_waitcnt vmcnt(11)
	v_fmac_f64_e32 v[112:113], v[100:101], v[222:223]
	v_fmac_f64_e32 v[104:105], v[92:93], v[208:209]
	v_add_f64 v[102:103], v[102:103], v[104:105]
	v_mul_f64 v[4:5], v[16:17], v[124:125]
	v_mul_f64 v[104:105], v[94:95], v[212:213]
	v_fmac_f64_e32 v[104:105], v[96:97], v[214:215]
	v_add_f64 v[110:111], v[102:103], v[104:105]
	ds_read_b128 v[102:105], v1 offset:1792
	v_add_f64 v[110:111], v[110:111], v[112:113]
	v_fma_f64 v[4:5], v[14:15], v[126:127], -v[4:5]
	v_add_f64 v[2:3], v[2:3], v[4:5]
	v_mul_f64 v[4:5], v[20:21], v[150:151]
	s_waitcnt vmcnt(10) lgkmcnt(0)
	v_mul_f64 v[112:113], v[102:103], v[210:211]
	s_waitcnt vmcnt(8)
	v_fmac_f64_e32 v[112:113], v[104:105], v[220:221]
	v_add_f64 v[110:111], v[110:111], v[112:113]
	s_waitcnt vmcnt(6)
	v_mul_f64 v[112:113], v[106:107], v[218:219]
	s_waitcnt vmcnt(4)
	v_fmac_f64_e32 v[112:113], v[108:109], v[234:235]
	v_add_f64 v[114:115], v[110:111], v[112:113]
	ds_read_b128 v[110:113], v1 offset:1824
	buffer_load_dword v243, off, s[0:3], 0 offset:940
	buffer_load_dword v242, off, s[0:3], 0 offset:936
	;; [unrolled: 1-line block ×4, first 2 shown]
	v_fma_f64 v[4:5], v[18:19], v[154:155], -v[4:5]
	v_add_f64 v[2:3], v[2:3], v[4:5]
	v_mul_f64 v[4:5], v[24:25], v[132:133]
	s_waitcnt vmcnt(5) lgkmcnt(0)
	v_mul_f64 v[116:117], v[110:111], v[236:237]
	s_waitcnt vmcnt(4)
	v_fmac_f64_e32 v[116:117], v[112:113], v[238:239]
	v_add_f64 v[240:241], v[114:115], v[116:117]
	ds_read_b128 v[114:117], v1 offset:1840
	v_fma_f64 v[4:5], v[22:23], v[134:135], -v[4:5]
	v_add_f64 v[2:3], v[2:3], v[4:5]
	v_mul_f64 v[4:5], v[28:29], v[158:159]
	v_fma_f64 v[4:5], v[26:27], v[162:163], -v[4:5]
	v_add_f64 v[2:3], v[2:3], v[4:5]
	v_mul_f64 v[4:5], v[32:33], v[136:137]
	;; [unrolled: 3-line block ×22, first 2 shown]
	v_fma_f64 v[4:5], v[110:111], v[238:239], -v[4:5]
	v_add_f64 v[2:3], v[2:3], v[4:5]
	s_waitcnt vmcnt(2) lgkmcnt(0)
	v_mul_f64 v[248:249], v[114:115], v[242:243]
	v_mul_f64 v[4:5], v[116:117], v[242:243]
	s_waitcnt vmcnt(0)
	v_fmac_f64_e32 v[248:249], v[116:117], v[244:245]
	v_add_f64 v[240:241], v[240:241], v[248:249]
	buffer_load_dword v248, off, s[0:3], 0 offset:320
	buffer_load_dword v249, off, s[0:3], 0 offset:324
	;; [unrolled: 1-line block ×4, first 2 shown]
	v_fma_f64 v[4:5], v[114:115], v[244:245], -v[4:5]
	v_add_f64 v[2:3], v[2:3], v[4:5]
	s_waitcnt vmcnt(2)
	v_add_f64 v[2:3], v[248:249], -v[2:3]
	s_waitcnt vmcnt(0)
	v_add_f64 v[4:5], v[246:247], -v[240:241]
	buffer_store_dword v3, off, s[0:3], 0 offset:324
	buffer_store_dword v2, off, s[0:3], 0 offset:320
	;; [unrolled: 1-line block ×4, first 2 shown]
	s_and_saveexec_b64 s[4:5], vcc
	s_cbranch_execz .LBB57_325
; %bb.324:
	v_accvgpr_read_b32 v1, a155
	buffer_load_dword v2, v1, s[0:3], 0 offen
	buffer_load_dword v3, v1, s[0:3], 0 offen offset:4
	buffer_load_dword v4, v1, s[0:3], 0 offen offset:8
	;; [unrolled: 1-line block ×3, first 2 shown]
	v_mov_b32_e32 v1, 0
	v_accvgpr_read_b32 v6, a173
	buffer_store_dword v1, off, s[0:3], 0 offset:304
	buffer_store_dword v1, off, s[0:3], 0 offset:308
	;; [unrolled: 1-line block ×4, first 2 shown]
	s_waitcnt vmcnt(4)
	ds_write_b128 v6, v[2:5]
.LBB57_325:
	s_or_b64 exec, exec, s[4:5]
	s_waitcnt lgkmcnt(0)
	; wave barrier
	s_waitcnt lgkmcnt(0)
	buffer_load_dword v54, off, s[0:3], 0 offset:320
	buffer_load_dword v55, off, s[0:3], 0 offset:324
	buffer_load_dword v56, off, s[0:3], 0 offset:328
	buffer_load_dword v57, off, s[0:3], 0 offset:332
	buffer_load_dword v58, off, s[0:3], 0 offset:336
	buffer_load_dword v59, off, s[0:3], 0 offset:340
	buffer_load_dword v60, off, s[0:3], 0 offset:344
	buffer_load_dword v61, off, s[0:3], 0 offset:348
	buffer_load_dword v66, off, s[0:3], 0 offset:360
	buffer_load_dword v67, off, s[0:3], 0 offset:364
	buffer_load_dword v79, off, s[0:3], 0 offset:396
	buffer_load_dword v78, off, s[0:3], 0 offset:392
	buffer_load_dword v81, off, s[0:3], 0 offset:388
	buffer_load_dword v80, off, s[0:3], 0 offset:384
	buffer_load_dword v71, off, s[0:3], 0 offset:380
	buffer_load_dword v70, off, s[0:3], 0 offset:376
	buffer_load_dword v91, off, s[0:3], 0 offset:428
	buffer_load_dword v90, off, s[0:3], 0 offset:424
	buffer_load_dword v93, off, s[0:3], 0 offset:420
	buffer_load_dword v92, off, s[0:3], 0 offset:416
	buffer_load_dword v83, off, s[0:3], 0 offset:412
	buffer_load_dword v82, off, s[0:3], 0 offset:408
	buffer_load_dword v103, off, s[0:3], 0 offset:460
	buffer_load_dword v102, off, s[0:3], 0 offset:456
	buffer_load_dword v104, off, s[0:3], 0 offset:448
	buffer_load_dword v95, off, s[0:3], 0 offset:444
	buffer_load_dword v94, off, s[0:3], 0 offset:440
	buffer_load_dword v107, off, s[0:3], 0 offset:476
	buffer_load_dword v106, off, s[0:3], 0 offset:472
	buffer_load_dword v68, off, s[0:3], 0 offset:352
	buffer_load_dword v69, off, s[0:3], 0 offset:356
	buffer_load_dword v73, off, s[0:3], 0 offset:372
	buffer_load_dword v72, off, s[0:3], 0 offset:368
	buffer_load_dword v85, off, s[0:3], 0 offset:404
	buffer_load_dword v84, off, s[0:3], 0 offset:400
	buffer_load_dword v97, off, s[0:3], 0 offset:436
	buffer_load_dword v96, off, s[0:3], 0 offset:432
	buffer_load_dword v105, off, s[0:3], 0 offset:452
	buffer_load_dword v4, off, s[0:3], 0 offset:488
	buffer_load_dword v2, off, s[0:3], 0 offset:480
	buffer_load_dword v3, off, s[0:3], 0 offset:484
	buffer_load_dword v5, off, s[0:3], 0 offset:492
	buffer_load_dword v109, off, s[0:3], 0 offset:468
	buffer_load_dword v108, off, s[0:3], 0 offset:464
	buffer_load_dword v123, off, s[0:3], 0 offset:524
	buffer_load_dword v122, off, s[0:3], 0 offset:520
	buffer_load_dword v125, off, s[0:3], 0 offset:516
	buffer_load_dword v124, off, s[0:3], 0 offset:512
	buffer_load_dword v127, off, s[0:3], 0 offset:508
	v_mov_b32_e32 v1, 0
	ds_read_b128 v[62:65], v1 offset:1232
	ds_read_b128 v[74:77], v1 offset:1248
	;; [unrolled: 1-line block ×11, first 2 shown]
	buffer_load_dword v126, off, s[0:3], 0 offset:504
	buffer_load_dword v143, off, s[0:3], 0 offset:500
	;; [unrolled: 1-line block ×75, first 2 shown]
	v_cmp_lt_u32_e32 vcc, 17, v0
	s_waitcnt vmcnt(62) lgkmcnt(10)
	v_mul_f64 v[6:7], v[62:63], v[56:57]
	v_fmac_f64_e32 v[6:7], v[64:65], v[54:55]
	v_add_f64 v[6:7], v[6:7], 0
	v_mul_f64 v[56:57], v[64:65], v[56:57]
	s_waitcnt lgkmcnt(9)
	v_mul_f64 v[8:9], v[74:75], v[60:61]
	v_fmac_f64_e32 v[8:9], v[76:77], v[58:59]
	s_waitcnt lgkmcnt(8)
	v_mul_f64 v[10:11], v[86:87], v[66:67]
	v_add_f64 v[6:7], v[6:7], v[8:9]
	s_waitcnt lgkmcnt(6)
	v_mul_f64 v[14:15], v[110:111], v[78:79]
	v_fma_f64 v[226:227], v[62:63], v[54:55], -v[56:57]
	v_fmac_f64_e32 v[14:15], v[112:113], v[80:81]
	v_mul_f64 v[60:61], v[76:77], v[60:61]
	v_mul_f64 v[12:13], v[98:99], v[70:71]
	v_fma_f64 v[228:229], v[74:75], v[58:59], -v[60:61]
	s_waitcnt lgkmcnt(4)
	v_mul_f64 v[18:19], v[236:237], v[90:91]
	v_mul_f64 v[66:67], v[88:89], v[66:67]
	v_fmac_f64_e32 v[18:19], v[238:239], v[92:93]
	v_mul_f64 v[70:71], v[100:101], v[70:71]
	v_mul_f64 v[16:17], v[114:115], v[82:83]
	;; [unrolled: 1-line block ×3, first 2 shown]
	s_waitcnt lgkmcnt(2)
	v_mul_f64 v[22:23], v[244:245], v[102:103]
	v_fma_f64 v[232:233], v[110:111], v[80:81], -v[78:79]
	v_mul_f64 v[82:83], v[116:117], v[82:83]
	v_mul_f64 v[20:21], v[240:241], v[94:95]
	;; [unrolled: 1-line block ×3, first 2 shown]
	s_waitcnt lgkmcnt(1)
	v_mul_f64 v[24:25], v[248:249], v[106:107]
	v_fma_f64 v[254:255], v[236:237], v[92:93], -v[90:91]
	v_fmac_f64_e32 v[10:11], v[88:89], v[68:69]
	v_add_f64 v[6:7], v[6:7], v[10:11]
	v_fmac_f64_e32 v[12:13], v[100:101], v[72:73]
	v_add_f64 v[6:7], v[6:7], v[12:13]
	;; [unrolled: 2-line block ×3, first 2 shown]
	v_add_f64 v[6:7], v[6:7], v[16:17]
	v_fmac_f64_e32 v[20:21], v[242:243], v[96:97]
	v_add_f64 v[6:7], v[6:7], v[18:19]
	v_fmac_f64_e32 v[22:23], v[246:247], v[104:105]
	v_add_f64 v[6:7], v[6:7], v[20:21]
	v_add_f64 v[6:7], v[6:7], v[22:23]
	v_fmac_f64_e32 v[24:25], v[250:251], v[108:109]
	v_add_f64 v[10:11], v[6:7], v[24:25]
	ds_read_b128 v[6:9], v1 offset:1408
	s_waitcnt lgkmcnt(1)
	v_mul_f64 v[12:13], v[118:119], v[4:5]
	v_fmac_f64_e32 v[12:13], v[120:121], v[2:3]
	v_add_f64 v[14:15], v[10:11], v[12:13]
	ds_read_b128 v[10:13], v1 offset:1424
	s_waitcnt lgkmcnt(1)
	v_mul_f64 v[16:17], v[6:7], v[126:127]
	;; [unrolled: 5-line block ×5, first 2 shown]
	v_fmac_f64_e32 v[28:29], v[20:21], v[130:131]
	v_add_f64 v[30:31], v[26:27], v[28:29]
	ds_read_b128 v[26:29], v1 offset:1488
	s_waitcnt vmcnt(58) lgkmcnt(1)
	v_mul_f64 v[32:33], v[22:23], v[154:155]
	s_waitcnt vmcnt(56)
	v_fmac_f64_e32 v[32:33], v[24:25], v[158:159]
	v_add_f64 v[34:35], v[30:31], v[32:33]
	ds_read_b128 v[30:33], v1 offset:1504
	s_waitcnt lgkmcnt(1)
	v_mul_f64 v[36:37], v[26:27], v[132:133]
	v_fmac_f64_e32 v[36:37], v[28:29], v[134:135]
	v_add_f64 v[38:39], v[34:35], v[36:37]
	ds_read_b128 v[34:37], v1 offset:1520
	s_waitcnt vmcnt(50) lgkmcnt(1)
	v_mul_f64 v[40:41], v[30:31], v[162:163]
	s_waitcnt vmcnt(48)
	v_fmac_f64_e32 v[40:41], v[32:33], v[166:167]
	v_add_f64 v[42:43], v[38:39], v[40:41]
	ds_read_b128 v[38:41], v1 offset:1536
	s_waitcnt lgkmcnt(1)
	v_mul_f64 v[44:45], v[34:35], v[136:137]
	;; [unrolled: 11-line block ×3, first 2 shown]
	buffer_load_dword v203, off, s[0:3], 0 offset:828
	buffer_load_dword v202, off, s[0:3], 0 offset:824
	;; [unrolled: 1-line block ×4, first 2 shown]
	v_fmac_f64_e32 v[52:53], v[44:45], v[144:145]
	v_add_f64 v[210:211], v[50:51], v[52:53]
	ds_read_b128 v[50:53], v1 offset:1584
	buffer_load_dword v206, off, s[0:3], 0 offset:840
	buffer_load_dword v208, off, s[0:3], 0 offset:832
	;; [unrolled: 1-line block ×4, first 2 shown]
	s_waitcnt vmcnt(42) lgkmcnt(1)
	v_mul_f64 v[212:213], v[46:47], v[178:179]
	s_waitcnt vmcnt(40)
	v_fmac_f64_e32 v[212:213], v[48:49], v[182:183]
	v_add_f64 v[224:225], v[210:211], v[212:213]
	buffer_load_dword v213, off, s[0:3], 0 offset:860
	buffer_load_dword v212, off, s[0:3], 0 offset:856
	;; [unrolled: 1-line block ×16, first 2 shown]
	ds_read_b128 v[54:57], v1 offset:1600
	ds_read_b128 v[58:61], v1 offset:1616
	s_waitcnt lgkmcnt(2)
	v_mul_f64 v[62:63], v[50:51], v[148:149]
	v_fmac_f64_e32 v[62:63], v[52:53], v[152:153]
	v_add_f64 v[62:63], v[224:225], v[62:63]
	s_waitcnt vmcnt(50) lgkmcnt(1)
	v_mul_f64 v[64:65], v[54:55], v[186:187]
	s_waitcnt vmcnt(48)
	v_fmac_f64_e32 v[64:65], v[56:57], v[188:189]
	v_add_f64 v[62:63], v[62:63], v[64:65]
	s_waitcnt lgkmcnt(0)
	v_mul_f64 v[64:65], v[58:59], v[156:157]
	v_fmac_f64_e32 v[64:65], v[60:61], v[160:161]
	v_add_f64 v[74:75], v[62:63], v[64:65]
	ds_read_b128 v[62:65], v1 offset:1632
	v_fma_f64 v[224:225], v[86:87], v[68:69], -v[66:67]
	ds_read_b128 v[66:69], v1 offset:1648
	v_fma_f64 v[230:231], v[98:99], v[72:73], -v[70:71]
	ds_read_b128 v[70:73], v1 offset:1664
	s_waitcnt vmcnt(42) lgkmcnt(2)
	v_mul_f64 v[76:77], v[62:63], v[190:191]
	s_waitcnt vmcnt(40)
	v_fmac_f64_e32 v[76:77], v[64:65], v[192:193]
	v_add_f64 v[74:75], v[74:75], v[76:77]
	s_waitcnt lgkmcnt(1)
	v_mul_f64 v[76:77], v[66:67], v[164:165]
	v_fmac_f64_e32 v[76:77], v[68:69], v[168:169]
	v_add_f64 v[86:87], v[74:75], v[76:77]
	ds_read_b128 v[74:77], v1 offset:1680
	ds_read_b128 v[78:81], v1 offset:1696
	s_waitcnt vmcnt(34) lgkmcnt(2)
	v_mul_f64 v[88:89], v[70:71], v[194:195]
	s_waitcnt vmcnt(32)
	v_fmac_f64_e32 v[88:89], v[72:73], v[196:197]
	v_fma_f64 v[252:253], v[114:115], v[84:85], -v[82:83]
	ds_read_b128 v[82:85], v1 offset:1712
	v_add_f64 v[86:87], v[86:87], v[88:89]
	s_waitcnt lgkmcnt(2)
	v_mul_f64 v[88:89], v[74:75], v[172:173]
	v_fmac_f64_e32 v[88:89], v[76:77], v[176:177]
	v_add_f64 v[86:87], v[86:87], v[88:89]
	s_waitcnt vmcnt(26) lgkmcnt(1)
	v_mul_f64 v[88:89], v[78:79], v[198:199]
	s_waitcnt vmcnt(24)
	v_fmac_f64_e32 v[88:89], v[80:81], v[200:201]
	v_add_f64 v[86:87], v[86:87], v[88:89]
	s_waitcnt lgkmcnt(0)
	v_mul_f64 v[88:89], v[82:83], v[180:181]
	v_fmac_f64_e32 v[88:89], v[84:85], v[184:185]
	v_add_f64 v[98:99], v[86:87], v[88:89]
	ds_read_b128 v[86:89], v1 offset:1728
	ds_read_b128 v[90:93], v1 offset:1744
	v_accvgpr_write_b32 a175, v3
	v_mul_f64 v[94:95], v[242:243], v[94:95]
	v_accvgpr_write_b32 a174, v2
	v_fma_f64 v[2:3], v[240:241], v[96:97], -v[94:95]
	ds_read_b128 v[94:97], v1 offset:1760
	v_mul_f64 v[102:103], v[246:247], v[102:103]
	v_fma_f64 v[246:247], v[244:245], v[104:105], -v[102:103]
	ds_read_b128 v[102:105], v1 offset:1792
	v_mul_f64 v[106:107], v[250:251], v[106:107]
	v_fma_f64 v[250:251], v[248:249], v[108:109], -v[106:107]
	ds_read_b128 v[106:109], v1 offset:1808
	v_add_f64 v[226:227], v[226:227], 0
	v_add_f64 v[226:227], v[226:227], v[228:229]
	;; [unrolled: 1-line block ×9, first 2 shown]
	v_mul_f64 v[4:5], v[120:121], v[4:5]
	v_accvgpr_read_b32 v120, a174
	v_accvgpr_read_b32 v121, a175
	v_add_f64 v[2:3], v[252:253], v[250:251]
	v_fma_f64 v[4:5], v[118:119], v[120:121], -v[4:5]
	v_add_f64 v[2:3], v[2:3], v[4:5]
	v_mul_f64 v[4:5], v[8:9], v[126:127]
	v_fma_f64 v[4:5], v[6:7], v[142:143], -v[4:5]
	s_waitcnt vmcnt(22) lgkmcnt(4)
	v_mul_f64 v[100:101], v[86:87], v[202:203]
	v_add_f64 v[2:3], v[2:3], v[4:5]
	s_waitcnt vmcnt(20)
	v_fmac_f64_e32 v[100:101], v[88:89], v[204:205]
	v_add_f64 v[98:99], v[98:99], v[100:101]
	v_mul_f64 v[4:5], v[12:13], v[122:123]
	s_waitcnt vmcnt(17) lgkmcnt(3)
	v_mul_f64 v[100:101], v[90:91], v[206:207]
	s_waitcnt vmcnt(16)
	v_fmac_f64_e32 v[100:101], v[92:93], v[208:209]
	v_add_f64 v[110:111], v[98:99], v[100:101]
	ds_read_b128 v[98:101], v1 offset:1776
	s_waitcnt vmcnt(14) lgkmcnt(3)
	v_mul_f64 v[112:113], v[94:95], v[212:213]
	s_waitcnt vmcnt(12)
	v_fmac_f64_e32 v[112:113], v[96:97], v[216:217]
	buffer_load_dword v237, off, s[0:3], 0 offset:924
	buffer_load_dword v236, off, s[0:3], 0 offset:920
	;; [unrolled: 1-line block ×4, first 2 shown]
	v_add_f64 v[110:111], v[110:111], v[112:113]
	s_waitcnt vmcnt(14) lgkmcnt(0)
	v_mul_f64 v[112:113], v[98:99], v[214:215]
	s_waitcnt vmcnt(12)
	v_fmac_f64_e32 v[112:113], v[100:101], v[218:219]
	v_add_f64 v[110:111], v[110:111], v[112:113]
	s_waitcnt vmcnt(9)
	v_mul_f64 v[112:113], v[102:103], v[222:223]
	s_waitcnt vmcnt(7)
	v_fmac_f64_e32 v[112:113], v[104:105], v[234:235]
	v_add_f64 v[110:111], v[110:111], v[112:113]
	s_waitcnt vmcnt(5)
	v_mul_f64 v[112:113], v[106:107], v[210:211]
	s_waitcnt vmcnt(4)
	v_fmac_f64_e32 v[112:113], v[108:109], v[220:221]
	v_add_f64 v[114:115], v[110:111], v[112:113]
	ds_read_b128 v[110:113], v1 offset:1824
	buffer_load_dword v242, off, s[0:3], 0 offset:936
	buffer_load_dword v243, off, s[0:3], 0 offset:940
	;; [unrolled: 1-line block ×4, first 2 shown]
	v_fma_f64 v[4:5], v[10:11], v[124:125], -v[4:5]
	v_add_f64 v[2:3], v[2:3], v[4:5]
	v_mul_f64 v[4:5], v[16:17], v[146:147]
	v_fma_f64 v[4:5], v[14:15], v[150:151], -v[4:5]
	v_add_f64 v[2:3], v[2:3], v[4:5]
	v_mul_f64 v[4:5], v[20:21], v[128:129]
	;; [unrolled: 3-line block ×21, first 2 shown]
	v_fma_f64 v[4:5], v[94:95], v[216:217], -v[4:5]
	v_add_f64 v[2:3], v[2:3], v[4:5]
	s_waitcnt vmcnt(6) lgkmcnt(0)
	v_mul_f64 v[116:117], v[110:111], v[236:237]
	v_mul_f64 v[4:5], v[100:101], v[214:215]
	s_waitcnt vmcnt(4)
	v_fmac_f64_e32 v[116:117], v[112:113], v[238:239]
	v_add_f64 v[240:241], v[114:115], v[116:117]
	ds_read_b128 v[114:117], v1 offset:1840
	v_fma_f64 v[4:5], v[98:99], v[218:219], -v[4:5]
	v_add_f64 v[2:3], v[2:3], v[4:5]
	v_mul_f64 v[4:5], v[104:105], v[222:223]
	v_fma_f64 v[4:5], v[102:103], v[234:235], -v[4:5]
	v_add_f64 v[2:3], v[2:3], v[4:5]
	v_mul_f64 v[4:5], v[108:109], v[210:211]
	v_fma_f64 v[4:5], v[106:107], v[220:221], -v[4:5]
	s_waitcnt vmcnt(2) lgkmcnt(0)
	v_mul_f64 v[248:249], v[114:115], v[242:243]
	v_add_f64 v[2:3], v[2:3], v[4:5]
	s_waitcnt vmcnt(0)
	v_fmac_f64_e32 v[248:249], v[116:117], v[244:245]
	v_add_f64 v[240:241], v[240:241], v[248:249]
	buffer_load_dword v248, off, s[0:3], 0 offset:304
	buffer_load_dword v249, off, s[0:3], 0 offset:308
	;; [unrolled: 1-line block ×4, first 2 shown]
	v_mul_f64 v[4:5], v[112:113], v[236:237]
	v_fma_f64 v[4:5], v[110:111], v[238:239], -v[4:5]
	v_add_f64 v[2:3], v[2:3], v[4:5]
	v_mul_f64 v[4:5], v[116:117], v[242:243]
	v_fma_f64 v[4:5], v[114:115], v[244:245], -v[4:5]
	v_add_f64 v[2:3], v[2:3], v[4:5]
	s_waitcnt vmcnt(2)
	v_add_f64 v[2:3], v[248:249], -v[2:3]
	s_waitcnt vmcnt(0)
	v_add_f64 v[4:5], v[246:247], -v[240:241]
	buffer_store_dword v3, off, s[0:3], 0 offset:308
	buffer_store_dword v2, off, s[0:3], 0 offset:304
	;; [unrolled: 1-line block ×4, first 2 shown]
	s_and_saveexec_b64 s[4:5], vcc
	s_cbranch_execz .LBB57_327
; %bb.326:
	v_accvgpr_read_b32 v5, a156
	buffer_load_dword v2, v5, s[0:3], 0 offen
	buffer_load_dword v3, v5, s[0:3], 0 offen offset:4
	buffer_load_dword v4, v5, s[0:3], 0 offen offset:8
	s_nop 0
	buffer_load_dword v5, v5, s[0:3], 0 offen offset:12
	v_accvgpr_read_b32 v6, a173
	buffer_store_dword v1, off, s[0:3], 0 offset:288
	buffer_store_dword v1, off, s[0:3], 0 offset:292
	;; [unrolled: 1-line block ×4, first 2 shown]
	s_waitcnt vmcnt(4)
	ds_write_b128 v6, v[2:5]
.LBB57_327:
	s_or_b64 exec, exec, s[4:5]
	s_waitcnt lgkmcnt(0)
	; wave barrier
	s_waitcnt lgkmcnt(0)
	buffer_load_dword v56, off, s[0:3], 0 offset:304
	buffer_load_dword v57, off, s[0:3], 0 offset:308
	;; [unrolled: 1-line block ×42, first 2 shown]
	ds_read_b128 v[78:81], v1 offset:1216
	ds_read_b128 v[90:93], v1 offset:1232
	;; [unrolled: 1-line block ×10, first 2 shown]
	buffer_load_dword v105, off, s[0:3], 0 offset:452
	buffer_load_dword v104, off, s[0:3], 0 offset:448
	ds_read_b128 v[106:109], v1 offset:1376
	buffer_load_dword v3, off, s[0:3], 0 offset:508
	buffer_load_dword v2, off, s[0:3], 0 offset:504
	v_cmp_lt_u32_e32 vcc, 16, v0
	s_waitcnt vmcnt(38) lgkmcnt(9)
	v_mul_f64 v[4:5], v[90:91], v[62:63]
	v_fmac_f64_e32 v[4:5], v[92:93], v[54:55]
	s_waitcnt vmcnt(36) lgkmcnt(8)
	v_mul_f64 v[6:7], v[114:115], v[58:59]
	v_mul_f64 v[58:59], v[116:117], v[58:59]
	s_waitcnt vmcnt(34) lgkmcnt(6)
	v_mul_f64 v[10:11], v[240:241], v[70:71]
	v_mul_f64 v[70:71], v[242:243], v[70:71]
	s_waitcnt vmcnt(32)
	v_fmac_f64_e32 v[10:11], v[242:243], v[72:73]
	v_fma_f64 v[240:241], v[240:241], v[72:73], -v[70:71]
	s_waitcnt vmcnt(30)
	v_mul_f64 v[8:9], v[236:237], v[64:65]
	s_waitcnt vmcnt(28) lgkmcnt(4)
	v_mul_f64 v[14:15], v[248:249], v[82:83]
	v_mul_f64 v[82:83], v[250:251], v[82:83]
	s_waitcnt vmcnt(26)
	v_fmac_f64_e32 v[14:15], v[250:251], v[84:85]
	v_fma_f64 v[248:249], v[248:249], v[84:85], -v[82:83]
	s_waitcnt vmcnt(24)
	v_mul_f64 v[12:13], v[244:245], v[74:75]
	v_mul_f64 v[74:75], v[246:247], v[74:75]
	s_waitcnt vmcnt(22) lgkmcnt(2)
	v_mul_f64 v[18:19], v[224:225], v[94:95]
	v_mul_f64 v[94:95], v[226:227], v[94:95]
	s_waitcnt vmcnt(19)
	v_mul_f64 v[16:17], v[252:253], v[86:87]
	v_mul_f64 v[86:87], v[254:255], v[86:87]
	s_waitcnt vmcnt(17) lgkmcnt(1)
	v_mul_f64 v[20:21], v[98:99], v[102:103]
	s_waitcnt vmcnt(15)
	v_fmac_f64_e32 v[6:7], v[116:117], v[68:69]
	s_waitcnt vmcnt(13)
	v_fmac_f64_e32 v[8:9], v[238:239], v[66:67]
	;; [unrolled: 2-line block ×3, first 2 shown]
	v_fma_f64 v[246:247], v[244:245], v[76:77], -v[74:75]
	s_waitcnt vmcnt(9)
	v_fmac_f64_e32 v[16:17], v[254:255], v[88:89]
	s_waitcnt vmcnt(8)
	v_fmac_f64_e32 v[18:19], v[226:227], v[96:97]
	v_fma_f64 v[254:255], v[252:253], v[88:89], -v[86:87]
	v_fma_f64 v[224:225], v[224:225], v[96:97], -v[94:95]
	s_waitcnt vmcnt(2)
	v_fmac_f64_e32 v[20:21], v[100:101], v[104:105]
	v_mul_f64 v[100:101], v[100:101], v[102:103]
	s_waitcnt vmcnt(0)
	v_pk_mov_b32 v[22:23], v[2:3], v[2:3] op_sel:[0,1]
	buffer_load_dword v3, off, s[0:3], 0 offset:500
	buffer_load_dword v2, off, s[0:3], 0 offset:496
	;; [unrolled: 1-line block ×78, first 2 shown]
	ds_read_b128 v[118:121], v1 offset:1392
	v_accvgpr_write_b32 a175, v23
	v_accvgpr_write_b32 a174, v22
	v_fma_f64 v[250:251], v[98:99], v[104:105], -v[100:101]
	s_waitcnt vmcnt(62)
	v_pk_mov_b32 v[24:25], v[2:3], v[2:3] op_sel:[0,1]
	v_mul_f64 v[2:3], v[78:79], v[60:61]
	v_fmac_f64_e32 v[2:3], v[80:81], v[56:57]
	v_add_f64 v[2:3], v[2:3], 0
	v_add_f64 v[2:3], v[2:3], v[4:5]
	;; [unrolled: 1-line block ×9, first 2 shown]
	s_waitcnt lgkmcnt(1)
	v_mul_f64 v[8:9], v[106:107], v[110:111]
	v_add_f64 v[6:7], v[2:3], v[20:21]
	v_fmac_f64_e32 v[8:9], v[108:109], v[112:113]
	v_add_f64 v[10:11], v[6:7], v[8:9]
	ds_read_b128 v[6:9], v1 offset:1408
	s_waitcnt lgkmcnt(1)
	v_mul_f64 v[12:13], v[118:119], v[122:123]
	v_fmac_f64_e32 v[12:13], v[120:121], v[138:139]
	v_add_f64 v[14:15], v[10:11], v[12:13]
	ds_read_b128 v[10:13], v1 offset:1424
	s_waitcnt lgkmcnt(1)
	v_mul_f64 v[16:17], v[6:7], v[22:23]
	v_fmac_f64_e32 v[16:17], v[8:9], v[24:25]
	v_add_f64 v[18:19], v[14:15], v[16:17]
	ds_read_b128 v[14:17], v1 offset:1440
	s_waitcnt lgkmcnt(1)
	v_mul_f64 v[20:21], v[10:11], v[142:143]
	v_fmac_f64_e32 v[20:21], v[12:13], v[146:147]
	v_add_f64 v[22:23], v[18:19], v[20:21]
	ds_read_b128 v[18:21], v1 offset:1456
	v_accvgpr_write_b32 a177, v25
	v_accvgpr_write_b32 a176, v24
	s_waitcnt lgkmcnt(1)
	v_mul_f64 v[24:25], v[14:15], v[124:125]
	v_fmac_f64_e32 v[24:25], v[16:17], v[126:127]
	v_add_f64 v[26:27], v[22:23], v[24:25]
	ds_read_b128 v[22:25], v1 offset:1472
	s_waitcnt vmcnt(58) lgkmcnt(1)
	v_mul_f64 v[28:29], v[18:19], v[150:151]
	s_waitcnt vmcnt(56)
	v_fmac_f64_e32 v[28:29], v[20:21], v[154:155]
	v_add_f64 v[30:31], v[26:27], v[28:29]
	ds_read_b128 v[26:29], v1 offset:1488
	s_waitcnt lgkmcnt(1)
	v_mul_f64 v[32:33], v[22:23], v[128:129]
	v_fmac_f64_e32 v[32:33], v[24:25], v[130:131]
	v_add_f64 v[34:35], v[30:31], v[32:33]
	ds_read_b128 v[30:33], v1 offset:1504
	s_waitcnt vmcnt(50) lgkmcnt(1)
	v_mul_f64 v[36:37], v[26:27], v[158:159]
	s_waitcnt vmcnt(48)
	v_fmac_f64_e32 v[36:37], v[28:29], v[162:163]
	v_add_f64 v[38:39], v[34:35], v[36:37]
	ds_read_b128 v[34:37], v1 offset:1520
	s_waitcnt lgkmcnt(1)
	v_mul_f64 v[40:41], v[30:31], v[132:133]
	v_fmac_f64_e32 v[40:41], v[32:33], v[134:135]
	v_add_f64 v[42:43], v[38:39], v[40:41]
	ds_read_b128 v[38:41], v1 offset:1536
	s_waitcnt vmcnt(42) lgkmcnt(1)
	v_mul_f64 v[44:45], v[34:35], v[166:167]
	s_waitcnt vmcnt(40)
	v_fmac_f64_e32 v[44:45], v[36:37], v[170:171]
	v_add_f64 v[46:47], v[42:43], v[44:45]
	ds_read_b128 v[42:45], v1 offset:1552
	s_waitcnt lgkmcnt(1)
	v_mul_f64 v[48:49], v[38:39], v[136:137]
	v_fmac_f64_e32 v[48:49], v[40:41], v[140:141]
	v_add_f64 v[50:51], v[46:47], v[48:49]
	ds_read_b128 v[46:49], v1 offset:1568
	s_waitcnt vmcnt(34) lgkmcnt(1)
	v_mul_f64 v[52:53], v[42:43], v[174:175]
	s_waitcnt vmcnt(32)
	v_fmac_f64_e32 v[52:53], v[44:45], v[178:179]
	v_add_f64 v[206:207], v[50:51], v[52:53]
	ds_read_b128 v[50:53], v1 offset:1584
	buffer_load_dword v198, off, s[0:3], 0 offset:824
	buffer_load_dword v203, off, s[0:3], 0 offset:812
	;; [unrolled: 1-line block ×8, first 2 shown]
	s_waitcnt lgkmcnt(1)
	v_mul_f64 v[208:209], v[46:47], v[144:145]
	v_fmac_f64_e32 v[208:209], v[48:49], v[148:149]
	v_add_f64 v[228:229], v[206:207], v[208:209]
	buffer_load_dword v207, off, s[0:3], 0 offset:844
	buffer_load_dword v206, off, s[0:3], 0 offset:840
	;; [unrolled: 1-line block ×20, first 2 shown]
	v_mul_f64 v[60:61], v[80:81], v[60:61]
	s_waitcnt vmcnt(54) lgkmcnt(0)
	v_mul_f64 v[230:231], v[50:51], v[182:183]
	v_fma_f64 v[232:233], v[78:79], v[56:57], -v[60:61]
	v_mul_f64 v[56:57], v[92:93], v[62:63]
	v_fma_f64 v[2:3], v[90:91], v[54:55], -v[56:57]
	s_waitcnt vmcnt(52)
	v_fmac_f64_e32 v[230:231], v[52:53], v[184:185]
	ds_read_b128 v[54:57], v1 offset:1600
	v_add_f64 v[4:5], v[228:229], v[230:231]
	v_fma_f64 v[228:229], v[114:115], v[68:69], -v[58:59]
	ds_read_b128 v[58:61], v1 offset:1616
	v_mul_f64 v[62:63], v[238:239], v[64:65]
	v_fma_f64 v[230:231], v[236:237], v[66:67], -v[62:63]
	ds_read_b128 v[62:65], v1 offset:1632
	ds_read_b128 v[70:73], v1 offset:1664
	s_waitcnt lgkmcnt(3)
	v_mul_f64 v[68:69], v[54:55], v[152:153]
	v_fmac_f64_e32 v[68:69], v[56:57], v[156:157]
	s_waitcnt vmcnt(46) lgkmcnt(2)
	v_mul_f64 v[66:67], v[58:59], v[186:187]
	v_add_f64 v[4:5], v[4:5], v[68:69]
	s_waitcnt vmcnt(44)
	v_fmac_f64_e32 v[66:67], v[60:61], v[188:189]
	v_add_f64 v[4:5], v[4:5], v[66:67]
	s_waitcnt lgkmcnt(1)
	v_mul_f64 v[66:67], v[62:63], v[160:161]
	v_fmac_f64_e32 v[66:67], v[64:65], v[164:165]
	v_add_f64 v[4:5], v[4:5], v[66:67]
	ds_read_b128 v[66:69], v1 offset:1648
	ds_read_b128 v[74:77], v1 offset:1680
	;; [unrolled: 1-line block ×5, first 2 shown]
	s_waitcnt vmcnt(38) lgkmcnt(4)
	v_mul_f64 v[78:79], v[66:67], v[190:191]
	s_waitcnt vmcnt(36)
	v_fmac_f64_e32 v[78:79], v[68:69], v[192:193]
	v_add_f64 v[4:5], v[4:5], v[78:79]
	v_mul_f64 v[78:79], v[70:71], v[168:169]
	v_fmac_f64_e32 v[78:79], v[72:73], v[172:173]
	v_add_f64 v[4:5], v[4:5], v[78:79]
	s_waitcnt vmcnt(30) lgkmcnt(3)
	v_mul_f64 v[78:79], v[74:75], v[194:195]
	s_waitcnt vmcnt(28)
	v_fmac_f64_e32 v[78:79], v[76:77], v[196:197]
	v_add_f64 v[4:5], v[4:5], v[78:79]
	ds_read_b128 v[78:81], v1 offset:1696
	v_mul_f64 v[108:109], v[108:109], v[110:111]
	v_fma_f64 v[252:253], v[106:107], v[112:113], -v[108:109]
	v_mul_f64 v[120:121], v[120:121], v[122:123]
	v_fma_f64 v[118:119], v[118:119], v[138:139], -v[120:121]
	s_waitcnt lgkmcnt(0)
	v_mul_f64 v[90:91], v[78:79], v[176:177]
	v_fmac_f64_e32 v[90:91], v[80:81], v[180:181]
	v_add_f64 v[4:5], v[4:5], v[90:91]
	ds_read_b128 v[98:101], v1 offset:1776
	ds_read_b128 v[106:109], v1 offset:1808
	s_waitcnt vmcnt(25)
	v_mul_f64 v[90:91], v[82:83], v[202:203]
	s_waitcnt vmcnt(23)
	v_fmac_f64_e32 v[90:91], v[84:85], v[204:205]
	v_add_f64 v[4:5], v[4:5], v[90:91]
	s_waitcnt vmcnt(21)
	v_mul_f64 v[90:91], v[86:87], v[198:199]
	s_waitcnt vmcnt(20)
	v_fmac_f64_e32 v[90:91], v[88:89], v[200:201]
	v_add_f64 v[4:5], v[4:5], v[90:91]
	ds_read_b128 v[90:93], v1 offset:1744
	s_waitcnt vmcnt(14)
	v_mul_f64 v[102:103], v[94:95], v[212:213]
	s_waitcnt vmcnt(9) lgkmcnt(2)
	v_mul_f64 v[110:111], v[98:99], v[218:219]
	v_fmac_f64_e32 v[102:103], v[96:97], v[214:215]
	s_waitcnt vmcnt(7)
	v_fmac_f64_e32 v[110:111], v[100:101], v[222:223]
	s_waitcnt lgkmcnt(0)
	v_mul_f64 v[114:115], v[90:91], v[206:207]
	v_fmac_f64_e32 v[114:115], v[92:93], v[208:209]
	v_add_f64 v[4:5], v[4:5], v[114:115]
	v_add_f64 v[4:5], v[4:5], v[102:103]
	ds_read_b128 v[102:105], v1 offset:1792
	buffer_load_dword v236, off, s[0:3], 0 offset:920
	buffer_load_dword v237, off, s[0:3], 0 offset:924
	;; [unrolled: 1-line block ×4, first 2 shown]
	v_add_f64 v[4:5], v[4:5], v[110:111]
	s_waitcnt vmcnt(9) lgkmcnt(0)
	v_mul_f64 v[110:111], v[102:103], v[210:211]
	s_waitcnt vmcnt(8)
	v_fmac_f64_e32 v[110:111], v[104:105], v[216:217]
	v_add_f64 v[4:5], v[4:5], v[110:111]
	s_waitcnt vmcnt(6)
	v_mul_f64 v[110:111], v[106:107], v[220:221]
	s_waitcnt vmcnt(4)
	v_fmac_f64_e32 v[110:111], v[108:109], v[234:235]
	v_add_f64 v[4:5], v[4:5], v[110:111]
	ds_read_b128 v[110:113], v1 offset:1824
	buffer_load_dword v243, off, s[0:3], 0 offset:940
	buffer_load_dword v242, off, s[0:3], 0 offset:936
	;; [unrolled: 1-line block ×4, first 2 shown]
	s_waitcnt vmcnt(6) lgkmcnt(0)
	v_mul_f64 v[114:115], v[110:111], v[236:237]
	s_waitcnt vmcnt(4)
	v_fmac_f64_e32 v[114:115], v[112:113], v[238:239]
	v_add_f64 v[4:5], v[4:5], v[114:115]
	ds_read_b128 v[114:117], v1 offset:1840
	s_waitcnt vmcnt(2) lgkmcnt(0)
	v_mul_f64 v[226:227], v[114:115], v[242:243]
	s_waitcnt vmcnt(0)
	v_fmac_f64_e32 v[226:227], v[116:117], v[244:245]
	v_add_f64 v[4:5], v[4:5], v[226:227]
	v_add_f64 v[226:227], v[232:233], 0
	;; [unrolled: 1-line block ×8, first 2 shown]
	buffer_load_dword v248, off, s[0:3], 0 offset:288
	buffer_load_dword v249, off, s[0:3], 0 offset:292
	;; [unrolled: 1-line block ×4, first 2 shown]
	v_add_f64 v[2:3], v[2:3], v[254:255]
	v_add_f64 v[254:255], v[2:3], v[224:225]
	;; [unrolled: 1-line block ×5, first 2 shown]
	v_accvgpr_read_b32 v118, a174
	v_accvgpr_read_b32 v119, a175
	v_mul_f64 v[8:9], v[8:9], v[118:119]
	v_accvgpr_read_b32 v118, a176
	v_accvgpr_read_b32 v119, a177
	v_fma_f64 v[6:7], v[6:7], v[118:119], -v[8:9]
	v_add_f64 v[2:3], v[2:3], v[6:7]
	v_mul_f64 v[6:7], v[12:13], v[142:143]
	v_fma_f64 v[6:7], v[10:11], v[146:147], -v[6:7]
	v_add_f64 v[2:3], v[2:3], v[6:7]
	v_mul_f64 v[6:7], v[16:17], v[124:125]
	;; [unrolled: 3-line block ×27, first 2 shown]
	v_fma_f64 v[6:7], v[114:115], v[244:245], -v[6:7]
	v_add_f64 v[2:3], v[2:3], v[6:7]
	s_waitcnt vmcnt(2)
	v_add_f64 v[2:3], v[248:249], -v[2:3]
	s_waitcnt vmcnt(0)
	v_add_f64 v[4:5], v[246:247], -v[4:5]
	buffer_store_dword v3, off, s[0:3], 0 offset:292
	buffer_store_dword v2, off, s[0:3], 0 offset:288
	;; [unrolled: 1-line block ×4, first 2 shown]
	s_and_saveexec_b64 s[4:5], vcc
	s_cbranch_execz .LBB57_329
; %bb.328:
	v_accvgpr_read_b32 v1, a157
	buffer_load_dword v2, v1, s[0:3], 0 offen
	buffer_load_dword v3, v1, s[0:3], 0 offen offset:4
	buffer_load_dword v4, v1, s[0:3], 0 offen offset:8
	;; [unrolled: 1-line block ×3, first 2 shown]
	v_mov_b32_e32 v1, 0
	v_accvgpr_read_b32 v6, a173
	buffer_store_dword v1, off, s[0:3], 0 offset:272
	buffer_store_dword v1, off, s[0:3], 0 offset:276
	;; [unrolled: 1-line block ×4, first 2 shown]
	s_waitcnt vmcnt(4)
	ds_write_b128 v6, v[2:5]
.LBB57_329:
	s_or_b64 exec, exec, s[4:5]
	s_waitcnt lgkmcnt(0)
	; wave barrier
	s_waitcnt lgkmcnt(0)
	buffer_load_dword v54, off, s[0:3], 0 offset:288
	buffer_load_dword v55, off, s[0:3], 0 offset:292
	;; [unrolled: 1-line block ×46, first 2 shown]
	v_mov_b32_e32 v1, 0
	v_cmp_lt_u32_e32 vcc, 15, v0
	s_waitcnt vmcnt(0)
	v_pk_mov_b32 v[22:23], v[2:3], v[2:3] op_sel:[0,1]
	buffer_load_dword v3, off, s[0:3], 0 offset:484
	buffer_load_dword v2, off, s[0:3], 0 offset:480
	;; [unrolled: 1-line block ×3, first 2 shown]
	ds_read_b128 v[94:97], v1 offset:1200
	ds_read_b128 v[108:111], v1 offset:1216
	ds_read_b128 v[112:115], v1 offset:1232
	ds_read_b128 v[222:225], v1 offset:1248
	ds_read_b128 v[236:239], v1 offset:1264
	ds_read_b128 v[240:243], v1 offset:1280
	ds_read_b128 v[244:247], v1 offset:1296
	ds_read_b128 v[248:251], v1 offset:1312
	ds_read_b128 v[252:255], v1 offset:1328
	ds_read_b128 v[226:229], v1 offset:1344
	ds_read_b128 v[98:101], v1 offset:1360
	buffer_load_dword v106, off, s[0:3], 0 offset:472
	buffer_load_dword v117, off, s[0:3], 0 offset:468
	;; [unrolled: 1-line block ×75, first 2 shown]
	s_waitcnt lgkmcnt(9)
	v_mul_f64 v[4:5], v[108:109], v[62:63]
	s_waitcnt lgkmcnt(8)
	v_mul_f64 v[6:7], v[112:113], v[60:61]
	v_fmac_f64_e32 v[4:5], v[110:111], v[58:59]
	s_waitcnt lgkmcnt(7)
	v_mul_f64 v[8:9], v[222:223], v[68:69]
	v_fmac_f64_e32 v[6:7], v[114:115], v[84:85]
	;; [unrolled: 3-line block ×5, first 2 shown]
	ds_read_b128 v[230:233], v1 offset:1376
	ds_read_b128 v[118:121], v1 offset:1392
	s_waitcnt lgkmcnt(5)
	v_mul_f64 v[16:17], v[248:249], v[78:79]
	v_fmac_f64_e32 v[14:15], v[246:247], v[76:77]
	s_waitcnt lgkmcnt(4)
	v_mul_f64 v[18:19], v[252:253], v[86:87]
	v_fmac_f64_e32 v[16:17], v[250:251], v[80:81]
	;; [unrolled: 3-line block ×3, first 2 shown]
	v_fmac_f64_e32 v[20:21], v[228:229], v[92:93]
	v_accvgpr_write_b32 a175, v23
	v_accvgpr_write_b32 a174, v22
	v_mul_f64 v[62:63], v[110:111], v[62:63]
	v_mul_f64 v[74:75], v[246:247], v[74:75]
	v_fma_f64 v[246:247], v[244:245], v[76:77], -v[74:75]
	v_mul_f64 v[78:79], v[250:251], v[78:79]
	v_fma_f64 v[248:249], v[248:249], v[80:81], -v[78:79]
	;; [unrolled: 2-line block ×4, first 2 shown]
	s_waitcnt vmcnt(62)
	v_pk_mov_b32 v[24:25], v[2:3], v[2:3] op_sel:[0,1]
	v_mul_f64 v[2:3], v[94:95], v[56:57]
	v_fmac_f64_e32 v[2:3], v[96:97], v[54:55]
	v_add_f64 v[2:3], v[2:3], 0
	v_add_f64 v[2:3], v[2:3], v[4:5]
	;; [unrolled: 1-line block ×9, first 2 shown]
	s_waitcnt lgkmcnt(2)
	v_mul_f64 v[4:5], v[98:99], v[102:103]
	v_add_f64 v[2:3], v[2:3], v[20:21]
	v_fmac_f64_e32 v[4:5], v[100:101], v[104:105]
	s_waitcnt lgkmcnt(1)
	v_mul_f64 v[8:9], v[230:231], v[106:107]
	v_add_f64 v[6:7], v[2:3], v[4:5]
	v_fmac_f64_e32 v[8:9], v[232:233], v[116:117]
	s_waitcnt lgkmcnt(0)
	v_mul_f64 v[12:13], v[118:119], v[22:23]
	v_add_f64 v[10:11], v[6:7], v[8:9]
	ds_read_b128 v[6:9], v1 offset:1408
	v_fmac_f64_e32 v[12:13], v[120:121], v[24:25]
	v_add_f64 v[14:15], v[10:11], v[12:13]
	ds_read_b128 v[10:13], v1 offset:1424
	v_accvgpr_write_b32 a177, v25
	s_waitcnt lgkmcnt(1)
	v_mul_f64 v[16:17], v[6:7], v[138:139]
	v_fmac_f64_e32 v[16:17], v[8:9], v[142:143]
	v_add_f64 v[18:19], v[14:15], v[16:17]
	s_waitcnt lgkmcnt(0)
	v_mul_f64 v[20:21], v[10:11], v[122:123]
	ds_read_b128 v[14:17], v1 offset:1440
	v_fmac_f64_e32 v[20:21], v[12:13], v[124:125]
	v_add_f64 v[22:23], v[18:19], v[20:21]
	ds_read_b128 v[18:21], v1 offset:1456
	v_accvgpr_write_b32 a176, v24
	s_waitcnt vmcnt(58) lgkmcnt(1)
	v_mul_f64 v[24:25], v[14:15], v[146:147]
	s_waitcnt vmcnt(56)
	v_fmac_f64_e32 v[24:25], v[16:17], v[150:151]
	v_add_f64 v[26:27], v[22:23], v[24:25]
	s_waitcnt lgkmcnt(0)
	v_mul_f64 v[28:29], v[18:19], v[126:127]
	ds_read_b128 v[22:25], v1 offset:1472
	v_fmac_f64_e32 v[28:29], v[20:21], v[128:129]
	v_add_f64 v[30:31], v[26:27], v[28:29]
	ds_read_b128 v[26:29], v1 offset:1488
	v_mul_f64 v[56:57], v[96:97], v[56:57]
	s_waitcnt vmcnt(50) lgkmcnt(1)
	v_mul_f64 v[32:33], v[22:23], v[154:155]
	s_waitcnt vmcnt(48)
	v_fmac_f64_e32 v[32:33], v[24:25], v[158:159]
	v_add_f64 v[34:35], v[30:31], v[32:33]
	s_waitcnt lgkmcnt(0)
	v_mul_f64 v[36:37], v[26:27], v[130:131]
	ds_read_b128 v[30:33], v1 offset:1504
	v_fmac_f64_e32 v[36:37], v[28:29], v[132:133]
	v_add_f64 v[38:39], v[34:35], v[36:37]
	ds_read_b128 v[34:37], v1 offset:1520
	v_fma_f64 v[2:3], v[94:95], v[54:55], -v[56:57]
	s_waitcnt vmcnt(42) lgkmcnt(1)
	v_mul_f64 v[40:41], v[30:31], v[162:163]
	s_waitcnt vmcnt(40)
	v_fmac_f64_e32 v[40:41], v[32:33], v[166:167]
	v_add_f64 v[42:43], v[38:39], v[40:41]
	s_waitcnt lgkmcnt(0)
	v_mul_f64 v[44:45], v[34:35], v[134:135]
	ds_read_b128 v[38:41], v1 offset:1536
	v_fmac_f64_e32 v[44:45], v[36:37], v[136:137]
	v_add_f64 v[46:47], v[42:43], v[44:45]
	ds_read_b128 v[42:45], v1 offset:1552
	v_fma_f64 v[94:95], v[108:109], v[58:59], -v[62:63]
	s_waitcnt vmcnt(34) lgkmcnt(1)
	v_mul_f64 v[48:49], v[38:39], v[170:171]
	s_waitcnt vmcnt(32)
	v_fmac_f64_e32 v[48:49], v[40:41], v[174:175]
	v_add_f64 v[50:51], v[46:47], v[48:49]
	s_waitcnt lgkmcnt(0)
	v_mul_f64 v[52:53], v[42:43], v[140:141]
	v_fmac_f64_e32 v[52:53], v[44:45], v[144:145]
	ds_read_b128 v[46:49], v1 offset:1568
	v_add_f64 v[198:199], v[50:51], v[52:53]
	ds_read_b128 v[50:53], v1 offset:1584
	buffer_load_dword v195, off, s[0:3], 0 offset:796
	buffer_load_dword v194, off, s[0:3], 0 offset:792
	;; [unrolled: 1-line block ×4, first 2 shown]
	v_mul_f64 v[58:59], v[114:115], v[60:61]
	s_waitcnt vmcnt(30) lgkmcnt(1)
	v_mul_f64 v[200:201], v[46:47], v[178:179]
	s_waitcnt vmcnt(28)
	v_fmac_f64_e32 v[200:201], v[48:49], v[180:181]
	v_add_f64 v[234:235], v[198:199], v[200:201]
	buffer_load_dword v200, off, s[0:3], 0 offset:808
	buffer_load_dword v202, off, s[0:3], 0 offset:800
	;; [unrolled: 1-line block ×12, first 2 shown]
	ds_read_b128 v[54:57], v1 offset:1600
	buffer_load_dword v211, off, s[0:3], 0 offset:860
	buffer_load_dword v210, off, s[0:3], 0 offset:856
	;; [unrolled: 1-line block ×4, first 2 shown]
	s_waitcnt lgkmcnt(1)
	v_mul_f64 v[4:5], v[50:51], v[148:149]
	buffer_load_dword v214, off, s[0:3], 0 offset:872
	buffer_load_dword v216, off, s[0:3], 0 offset:864
	;; [unrolled: 1-line block ×8, first 2 shown]
	v_fma_f64 v[96:97], v[112:113], v[84:85], -v[58:59]
	v_fmac_f64_e32 v[4:5], v[52:53], v[152:153]
	v_mul_f64 v[58:59], v[224:225], v[68:69]
	v_add_f64 v[4:5], v[234:235], v[4:5]
	v_fma_f64 v[108:109], v[222:223], v[82:83], -v[58:59]
	buffer_load_dword v222, off, s[0:3], 0 offset:904
	buffer_load_dword v234, off, s[0:3], 0 offset:896
	;; [unrolled: 1-line block ×4, first 2 shown]
	s_waitcnt vmcnt(50) lgkmcnt(0)
	v_mul_f64 v[58:59], v[54:55], v[182:183]
	s_waitcnt vmcnt(48)
	v_fmac_f64_e32 v[58:59], v[56:57], v[184:185]
	v_add_f64 v[4:5], v[4:5], v[58:59]
	ds_read_b128 v[58:61], v1 offset:1616
	v_mul_f64 v[62:63], v[238:239], v[64:65]
	v_fma_f64 v[236:237], v[236:237], v[66:67], -v[62:63]
	ds_read_b128 v[62:65], v1 offset:1632
	v_mul_f64 v[66:67], v[242:243], v[70:71]
	v_fma_f64 v[240:241], v[240:241], v[72:73], -v[66:67]
	ds_read_b128 v[66:69], v1 offset:1648
	ds_read_b128 v[74:77], v1 offset:1680
	s_waitcnt lgkmcnt(3)
	v_mul_f64 v[82:83], v[58:59], v[156:157]
	v_fmac_f64_e32 v[82:83], v[60:61], v[160:161]
	s_waitcnt vmcnt(42) lgkmcnt(2)
	v_mul_f64 v[70:71], v[62:63], v[186:187]
	v_add_f64 v[4:5], v[4:5], v[82:83]
	s_waitcnt vmcnt(40)
	v_fmac_f64_e32 v[70:71], v[64:65], v[188:189]
	v_add_f64 v[4:5], v[4:5], v[70:71]
	s_waitcnt lgkmcnt(1)
	v_mul_f64 v[70:71], v[66:67], v[164:165]
	v_fmac_f64_e32 v[70:71], v[68:69], v[168:169]
	v_add_f64 v[4:5], v[4:5], v[70:71]
	ds_read_b128 v[70:73], v1 offset:1664
	ds_read_b128 v[78:81], v1 offset:1696
	;; [unrolled: 1-line block ×4, first 2 shown]
	v_mul_f64 v[100:101], v[100:101], v[102:103]
	s_waitcnt vmcnt(34) lgkmcnt(3)
	v_mul_f64 v[82:83], v[70:71], v[190:191]
	s_waitcnt vmcnt(32)
	v_fmac_f64_e32 v[82:83], v[72:73], v[192:193]
	v_add_f64 v[4:5], v[4:5], v[82:83]
	v_mul_f64 v[82:83], v[74:75], v[172:173]
	v_fmac_f64_e32 v[82:83], v[76:77], v[176:177]
	v_add_f64 v[4:5], v[4:5], v[82:83]
	v_mul_f64 v[102:103], v[232:233], v[106:107]
	v_fma_f64 v[250:251], v[98:99], v[104:105], -v[100:101]
	ds_read_b128 v[98:101], v1 offset:1776
	v_fma_f64 v[102:103], v[230:231], v[116:117], -v[102:103]
	v_accvgpr_write_b32 a179, v103
	v_accvgpr_write_b32 a178, v102
	ds_read_b128 v[102:105], v1 offset:1792
	ds_read_b128 v[228:231], v1 offset:1808
	v_add_f64 v[2:3], v[2:3], 0
	ds_read_b128 v[86:89], v1 offset:1728
	v_add_f64 v[2:3], v[2:3], v[94:95]
	v_add_f64 v[2:3], v[2:3], v[96:97]
	;; [unrolled: 1-line block ×9, first 2 shown]
	v_accvgpr_read_b32 v94, a174
	v_add_f64 v[252:253], v[2:3], v[250:251]
	v_accvgpr_read_b32 v2, a178
	v_accvgpr_read_b32 v95, a175
	;; [unrolled: 1-line block ×4, first 2 shown]
	v_mul_f64 v[94:95], v[120:121], v[94:95]
	v_accvgpr_read_b32 v97, a177
	v_add_f64 v[2:3], v[252:253], v[2:3]
	v_fma_f64 v[94:95], v[118:119], v[96:97], -v[94:95]
	v_mul_f64 v[8:9], v[8:9], v[138:139]
	s_waitcnt vmcnt(30) lgkmcnt(6)
	v_mul_f64 v[82:83], v[78:79], v[194:195]
	v_add_f64 v[2:3], v[2:3], v[94:95]
	s_waitcnt vmcnt(28)
	v_fmac_f64_e32 v[82:83], v[80:81], v[196:197]
	v_add_f64 v[4:5], v[4:5], v[82:83]
	ds_read_b128 v[82:85], v1 offset:1712
	v_fma_f64 v[6:7], v[6:7], v[142:143], -v[8:9]
	v_add_f64 v[2:3], v[2:3], v[6:7]
	s_waitcnt vmcnt(9) lgkmcnt(4)
	v_mul_f64 v[106:107], v[98:99], v[214:215]
	s_waitcnt vmcnt(8)
	v_fmac_f64_e32 v[106:107], v[100:101], v[216:217]
	s_waitcnt lgkmcnt(0)
	v_mul_f64 v[110:111], v[82:83], v[200:201]
	v_fmac_f64_e32 v[110:111], v[84:85], v[202:203]
	v_add_f64 v[4:5], v[4:5], v[110:111]
	v_mul_f64 v[110:111], v[86:87], v[204:205]
	v_fmac_f64_e32 v[110:111], v[88:89], v[208:209]
	v_add_f64 v[4:5], v[4:5], v[110:111]
	;; [unrolled: 3-line block ×4, first 2 shown]
	v_add_f64 v[4:5], v[4:5], v[106:107]
	s_waitcnt vmcnt(6)
	v_mul_f64 v[106:107], v[102:103], v[218:219]
	s_waitcnt vmcnt(4)
	v_fmac_f64_e32 v[106:107], v[104:105], v[220:221]
	v_add_f64 v[4:5], v[4:5], v[106:107]
	s_waitcnt vmcnt(1)
	v_mul_f64 v[106:107], v[228:229], v[222:223]
	s_waitcnt vmcnt(0)
	v_fmac_f64_e32 v[106:107], v[230:231], v[234:235]
	v_add_f64 v[106:107], v[4:5], v[106:107]
	buffer_load_dword v5, off, s[0:3], 0 offset:924
	buffer_load_dword v4, off, s[0:3], 0 offset:920
	buffer_load_dword v239, off, s[0:3], 0 offset:916
	buffer_load_dword v238, off, s[0:3], 0 offset:912
	ds_read_b128 v[110:113], v1 offset:1824
	buffer_load_dword v242, off, s[0:3], 0 offset:936
	buffer_load_dword v243, off, s[0:3], 0 offset:940
	buffer_load_dword v244, off, s[0:3], 0 offset:928
	buffer_load_dword v245, off, s[0:3], 0 offset:932
	v_mul_f64 v[6:7], v[12:13], v[122:123]
	v_fma_f64 v[6:7], v[10:11], v[124:125], -v[6:7]
	v_add_f64 v[2:3], v[2:3], v[6:7]
	v_mul_f64 v[6:7], v[16:17], v[146:147]
	v_fma_f64 v[6:7], v[14:15], v[150:151], -v[6:7]
	v_add_f64 v[2:3], v[2:3], v[6:7]
	;; [unrolled: 3-line block ×25, first 2 shown]
	s_waitcnt vmcnt(6) lgkmcnt(0)
	v_mul_f64 v[114:115], v[110:111], v[4:5]
	v_mul_f64 v[4:5], v[112:113], v[4:5]
	s_waitcnt vmcnt(4)
	v_fmac_f64_e32 v[114:115], v[112:113], v[238:239]
	v_add_f64 v[106:107], v[106:107], v[114:115]
	ds_read_b128 v[114:117], v1 offset:1840
	buffer_load_dword v248, off, s[0:3], 0 offset:272
	buffer_load_dword v249, off, s[0:3], 0 offset:276
	buffer_load_dword v246, off, s[0:3], 0 offset:280
	buffer_load_dword v247, off, s[0:3], 0 offset:284
	v_fma_f64 v[4:5], v[110:111], v[238:239], -v[4:5]
	v_add_f64 v[2:3], v[2:3], v[4:5]
	s_waitcnt vmcnt(6) lgkmcnt(0)
	v_mul_f64 v[4:5], v[116:117], v[242:243]
	v_mul_f64 v[232:233], v[114:115], v[242:243]
	s_waitcnt vmcnt(4)
	v_fma_f64 v[4:5], v[114:115], v[244:245], -v[4:5]
	v_fmac_f64_e32 v[232:233], v[116:117], v[244:245]
	v_add_f64 v[2:3], v[2:3], v[4:5]
	v_add_f64 v[106:107], v[106:107], v[232:233]
	s_waitcnt vmcnt(2)
	v_add_f64 v[2:3], v[248:249], -v[2:3]
	s_waitcnt vmcnt(0)
	v_add_f64 v[4:5], v[246:247], -v[106:107]
	buffer_store_dword v3, off, s[0:3], 0 offset:276
	buffer_store_dword v2, off, s[0:3], 0 offset:272
	buffer_store_dword v5, off, s[0:3], 0 offset:284
	buffer_store_dword v4, off, s[0:3], 0 offset:280
	s_and_saveexec_b64 s[4:5], vcc
	s_cbranch_execz .LBB57_331
; %bb.330:
	v_accvgpr_read_b32 v5, a158
	buffer_load_dword v2, v5, s[0:3], 0 offen
	buffer_load_dword v3, v5, s[0:3], 0 offen offset:4
	buffer_load_dword v4, v5, s[0:3], 0 offen offset:8
	s_nop 0
	buffer_load_dword v5, v5, s[0:3], 0 offen offset:12
	v_accvgpr_read_b32 v6, a173
	buffer_store_dword v1, off, s[0:3], 0 offset:256
	buffer_store_dword v1, off, s[0:3], 0 offset:260
	;; [unrolled: 1-line block ×4, first 2 shown]
	s_waitcnt vmcnt(4)
	ds_write_b128 v6, v[2:5]
.LBB57_331:
	s_or_b64 exec, exec, s[4:5]
	s_waitcnt lgkmcnt(0)
	; wave barrier
	s_waitcnt lgkmcnt(0)
	buffer_load_dword v58, off, s[0:3], 0 offset:272
	buffer_load_dword v59, off, s[0:3], 0 offset:276
	buffer_load_dword v60, off, s[0:3], 0 offset:280
	buffer_load_dword v61, off, s[0:3], 0 offset:284
	buffer_load_dword v56, off, s[0:3], 0 offset:288
	buffer_load_dword v57, off, s[0:3], 0 offset:292
	buffer_load_dword v62, off, s[0:3], 0 offset:296
	buffer_load_dword v63, off, s[0:3], 0 offset:300
	buffer_load_dword v218, off, s[0:3], 0 offset:312
	buffer_load_dword v219, off, s[0:3], 0 offset:316
	buffer_load_dword v65, off, s[0:3], 0 offset:348
	buffer_load_dword v64, off, s[0:3], 0 offset:344
	buffer_load_dword v67, off, s[0:3], 0 offset:340
	buffer_load_dword v66, off, s[0:3], 0 offset:336
	buffer_load_dword v69, off, s[0:3], 0 offset:332
	buffer_load_dword v68, off, s[0:3], 0 offset:328
	buffer_load_dword v71, off, s[0:3], 0 offset:380
	buffer_load_dword v70, off, s[0:3], 0 offset:376
	buffer_load_dword v73, off, s[0:3], 0 offset:372
	buffer_load_dword v72, off, s[0:3], 0 offset:368
	buffer_load_dword v75, off, s[0:3], 0 offset:364
	buffer_load_dword v74, off, s[0:3], 0 offset:360
	buffer_load_dword v79, off, s[0:3], 0 offset:412
	buffer_load_dword v78, off, s[0:3], 0 offset:408
	buffer_load_dword v80, off, s[0:3], 0 offset:400
	buffer_load_dword v77, off, s[0:3], 0 offset:396
	buffer_load_dword v76, off, s[0:3], 0 offset:392
	buffer_load_dword v87, off, s[0:3], 0 offset:428
	buffer_load_dword v86, off, s[0:3], 0 offset:424
	buffer_load_dword v100, off, s[0:3], 0 offset:304
	buffer_load_dword v101, off, s[0:3], 0 offset:308
	buffer_load_dword v99, off, s[0:3], 0 offset:324
	buffer_load_dword v98, off, s[0:3], 0 offset:320
	buffer_load_dword v95, off, s[0:3], 0 offset:356
	buffer_load_dword v94, off, s[0:3], 0 offset:352
	buffer_load_dword v89, off, s[0:3], 0 offset:388
	buffer_load_dword v88, off, s[0:3], 0 offset:384
	buffer_load_dword v81, off, s[0:3], 0 offset:404
	buffer_load_dword v96, off, s[0:3], 0 offset:440
	buffer_load_dword v102, off, s[0:3], 0 offset:432
	buffer_load_dword v103, off, s[0:3], 0 offset:436
	buffer_load_dword v97, off, s[0:3], 0 offset:444
	ds_read_b128 v[110:113], v1 offset:1184
	ds_read_b128 v[114:117], v1 offset:1200
	;; [unrolled: 1-line block ×10, first 2 shown]
	buffer_load_dword v249, off, s[0:3], 0 offset:420
	buffer_load_dword v248, off, s[0:3], 0 offset:416
	ds_read_b128 v[90:93], v1 offset:1344
	buffer_load_dword v105, off, s[0:3], 0 offset:476
	buffer_load_dword v104, off, s[0:3], 0 offset:472
	;; [unrolled: 1-line block ×6, first 2 shown]
	v_cmp_lt_u32_e32 vcc, 14, v0
	s_waitcnt vmcnt(46) lgkmcnt(10)
	v_mul_f64 v[2:3], v[110:111], v[60:61]
	v_fmac_f64_e32 v[2:3], v[112:113], v[58:59]
	v_add_f64 v[2:3], v[2:3], 0
	v_mul_f64 v[60:61], v[112:113], v[60:61]
	s_waitcnt vmcnt(42) lgkmcnt(9)
	v_mul_f64 v[4:5], v[114:115], v[62:63]
	v_fmac_f64_e32 v[4:5], v[116:117], v[56:57]
	v_add_f64 v[2:3], v[2:3], v[4:5]
	buffer_load_dword v251, off, s[0:3], 0 offset:452
	buffer_load_dword v250, off, s[0:3], 0 offset:448
	;; [unrolled: 1-line block ×4, first 2 shown]
	s_waitcnt vmcnt(44) lgkmcnt(8)
	v_mul_f64 v[6:7], v[210:211], v[218:219]
	s_waitcnt vmcnt(42) lgkmcnt(6)
	v_mul_f64 v[10:11], v[222:223], v[64:65]
	s_waitcnt vmcnt(40)
	v_fmac_f64_e32 v[10:11], v[224:225], v[66:67]
	s_waitcnt vmcnt(38)
	v_mul_f64 v[8:9], v[214:215], v[68:69]
	s_waitcnt vmcnt(36) lgkmcnt(4)
	v_mul_f64 v[14:15], v[230:231], v[70:71]
	v_mul_f64 v[70:71], v[232:233], v[70:71]
	s_waitcnt vmcnt(34)
	v_fmac_f64_e32 v[14:15], v[232:233], v[72:73]
	v_fma_f64 v[232:233], v[230:231], v[72:73], -v[70:71]
	s_waitcnt vmcnt(32)
	v_mul_f64 v[12:13], v[226:227], v[74:75]
	s_waitcnt vmcnt(30) lgkmcnt(2)
	v_mul_f64 v[18:19], v[240:241], v[78:79]
	v_mul_f64 v[78:79], v[242:243], v[78:79]
	s_waitcnt vmcnt(27)
	v_mul_f64 v[16:17], v[236:237], v[76:77]
	s_waitcnt vmcnt(25) lgkmcnt(1)
	v_mul_f64 v[20:21], v[82:83], v[86:87]
	s_waitcnt vmcnt(23)
	v_fmac_f64_e32 v[6:7], v[212:213], v[100:101]
	v_add_f64 v[2:3], v[2:3], v[6:7]
	s_waitcnt vmcnt(21)
	v_fmac_f64_e32 v[8:9], v[216:217], v[98:99]
	v_add_f64 v[2:3], v[2:3], v[8:9]
	;; [unrolled: 3-line block ×3, first 2 shown]
	v_add_f64 v[2:3], v[2:3], v[12:13]
	s_waitcnt vmcnt(17)
	v_fmac_f64_e32 v[16:17], v[238:239], v[88:89]
	v_add_f64 v[2:3], v[2:3], v[14:15]
	s_waitcnt vmcnt(16)
	v_fmac_f64_e32 v[18:19], v[242:243], v[80:81]
	v_add_f64 v[2:3], v[2:3], v[16:17]
	v_add_f64 v[2:3], v[2:3], v[18:19]
	s_waitcnt vmcnt(10)
	v_fmac_f64_e32 v[20:21], v[84:85], v[248:249]
	v_add_f64 v[2:3], v[2:3], v[20:21]
	v_mul_f64 v[84:85], v[84:85], v[86:87]
	v_fma_f64 v[248:249], v[82:83], v[248:249], -v[84:85]
	s_waitcnt vmcnt(0)
	v_pk_mov_b32 v[18:19], v[4:5], v[4:5] op_sel:[0,1]
	buffer_load_dword v5, off, s[0:3], 0 offset:500
	buffer_load_dword v4, off, s[0:3], 0 offset:496
	v_accvgpr_write_b32 a175, v19
	v_accvgpr_write_b32 a174, v18
	s_waitcnt vmcnt(0)
	v_pk_mov_b32 v[22:23], v[4:5], v[4:5] op_sel:[0,1]
	buffer_load_dword v135, off, s[0:3], 0 offset:492
	buffer_load_dword v134, off, s[0:3], 0 offset:488
	buffer_load_dword v139, off, s[0:3], 0 offset:484
	buffer_load_dword v138, off, s[0:3], 0 offset:480
	buffer_load_dword v5, off, s[0:3], 0 offset:540
	buffer_load_dword v4, off, s[0:3], 0 offset:536
	v_accvgpr_write_b32 a177, v23
	v_accvgpr_write_b32 a176, v22
	s_waitcnt vmcnt(0)
	v_pk_mov_b32 v[26:27], v[4:5], v[4:5] op_sel:[0,1]
	buffer_load_dword v5, off, s[0:3], 0 offset:532
	buffer_load_dword v4, off, s[0:3], 0 offset:528
	v_accvgpr_write_b32 a179, v27
	v_accvgpr_write_b32 a178, v26
	s_waitcnt vmcnt(0)
	v_pk_mov_b32 v[28:29], v[4:5], v[4:5] op_sel:[0,1]
	buffer_load_dword v143, off, s[0:3], 0 offset:524
	buffer_load_dword v142, off, s[0:3], 0 offset:520
	;; [unrolled: 1-line block ×60, first 2 shown]
	ds_read_b128 v[244:247], v1 offset:1360
	ds_read_b128 v[252:255], v1 offset:1376
	;; [unrolled: 1-line block ×5, first 2 shown]
	v_accvgpr_write_b32 a181, v29
	s_waitcnt lgkmcnt(3)
	v_mul_f64 v[8:9], v[252:253], v[104:105]
	v_fmac_f64_e32 v[8:9], v[254:255], v[106:107]
	s_waitcnt lgkmcnt(2)
	v_mul_f64 v[12:13], v[118:119], v[134:135]
	v_fmac_f64_e32 v[12:13], v[120:121], v[138:139]
	;; [unrolled: 3-line block ×3, first 2 shown]
	v_accvgpr_write_b32 a180, v28
	s_waitcnt vmcnt(54)
	v_pk_mov_b32 v[34:35], v[4:5], v[4:5] op_sel:[0,1]
	v_mul_f64 v[4:5], v[90:91], v[96:97]
	v_fmac_f64_e32 v[4:5], v[92:93], v[102:103]
	v_add_f64 v[2:3], v[2:3], v[4:5]
	v_mul_f64 v[4:5], v[244:245], v[108:109]
	v_fmac_f64_e32 v[4:5], v[246:247], v[250:251]
	v_add_f64 v[6:7], v[2:3], v[4:5]
	v_add_f64 v[10:11], v[6:7], v[8:9]
	v_add_f64 v[14:15], v[10:11], v[12:13]
	v_add_f64 v[18:19], v[14:15], v[16:17]
	ds_read_b128 v[14:17], v1 offset:1440
	s_waitcnt lgkmcnt(1)
	v_mul_f64 v[20:21], v[122:123], v[142:143]
	v_fmac_f64_e32 v[20:21], v[124:125], v[146:147]
	v_add_f64 v[22:23], v[18:19], v[20:21]
	ds_read_b128 v[18:21], v1 offset:1456
	s_waitcnt lgkmcnt(1)
	v_mul_f64 v[24:25], v[14:15], v[26:27]
	v_fmac_f64_e32 v[24:25], v[16:17], v[28:29]
	v_add_f64 v[26:27], v[22:23], v[24:25]
	ds_read_b128 v[22:25], v1 offset:1472
	s_waitcnt vmcnt(50) lgkmcnt(1)
	v_mul_f64 v[28:29], v[18:19], v[150:151]
	s_waitcnt vmcnt(48)
	v_fmac_f64_e32 v[28:29], v[20:21], v[154:155]
	v_add_f64 v[30:31], v[26:27], v[28:29]
	ds_read_b128 v[26:29], v1 offset:1488
	s_waitcnt lgkmcnt(1)
	v_mul_f64 v[32:33], v[22:23], v[34:35]
	v_accvgpr_write_b32 a183, v35
	v_fmac_f64_e32 v[32:33], v[24:25], v[128:129]
	v_accvgpr_write_b32 a182, v34
	v_add_f64 v[34:35], v[30:31], v[32:33]
	ds_read_b128 v[30:33], v1 offset:1504
	s_waitcnt vmcnt(42) lgkmcnt(1)
	v_mul_f64 v[36:37], v[26:27], v[158:159]
	s_waitcnt vmcnt(40)
	v_fmac_f64_e32 v[36:37], v[28:29], v[162:163]
	v_add_f64 v[38:39], v[34:35], v[36:37]
	ds_read_b128 v[34:37], v1 offset:1520
	s_waitcnt lgkmcnt(1)
	v_mul_f64 v[40:41], v[30:31], v[130:131]
	v_fmac_f64_e32 v[40:41], v[32:33], v[132:133]
	v_add_f64 v[42:43], v[38:39], v[40:41]
	ds_read_b128 v[38:41], v1 offset:1536
	s_waitcnt vmcnt(34) lgkmcnt(1)
	v_mul_f64 v[44:45], v[34:35], v[166:167]
	s_waitcnt vmcnt(32)
	v_fmac_f64_e32 v[44:45], v[36:37], v[170:171]
	v_add_f64 v[46:47], v[42:43], v[44:45]
	ds_read_b128 v[42:45], v1 offset:1552
	s_waitcnt lgkmcnt(1)
	v_mul_f64 v[48:49], v[38:39], v[136:137]
	v_fmac_f64_e32 v[48:49], v[40:41], v[140:141]
	v_add_f64 v[50:51], v[46:47], v[48:49]
	ds_read_b128 v[46:49], v1 offset:1568
	s_waitcnt vmcnt(26) lgkmcnt(1)
	v_mul_f64 v[52:53], v[42:43], v[174:175]
	s_waitcnt vmcnt(24)
	v_fmac_f64_e32 v[52:53], v[44:45], v[176:177]
	v_add_f64 v[234:235], v[50:51], v[52:53]
	ds_read_b128 v[50:53], v1 offset:1584
	buffer_load_dword v13, off, s[0:3], 0 offset:780
	buffer_load_dword v12, off, s[0:3], 0 offset:776
	;; [unrolled: 1-line block ×20, first 2 shown]
	v_mul_f64 v[4:5], v[116:117], v[62:63]
	v_fma_f64 v[8:9], v[114:115], v[56:57], -v[4:5]
	v_mul_f64 v[56:57], v[212:213], v[218:219]
	v_fma_f64 v[10:11], v[110:111], v[58:59], -v[60:61]
	v_fma_f64 v[58:59], v[210:211], v[100:101], -v[56:57]
	v_mul_f64 v[56:57], v[216:217], v[68:69]
	v_fma_f64 v[60:61], v[214:215], v[98:99], -v[56:57]
	buffer_load_dword v212, off, s[0:3], 0 offset:856
	buffer_load_dword v214, off, s[0:3], 0 offset:848
	;; [unrolled: 1-line block ×12, first 2 shown]
	s_waitcnt lgkmcnt(1)
	v_mul_f64 v[54:55], v[46:47], v[144:145]
	v_fmac_f64_e32 v[54:55], v[48:49], v[148:149]
	v_add_f64 v[62:63], v[234:235], v[54:55]
	v_mul_f64 v[54:55], v[224:225], v[64:65]
	v_fma_f64 v[66:67], v[222:223], v[66:67], -v[54:55]
	buffer_load_dword v223, off, s[0:3], 0 offset:908
	buffer_load_dword v222, off, s[0:3], 0 offset:904
	;; [unrolled: 1-line block ×4, first 2 shown]
	s_waitcnt vmcnt(54) lgkmcnt(0)
	v_mul_f64 v[64:65], v[50:51], v[178:179]
	ds_read_b128 v[54:57], v1 offset:1600
	s_waitcnt vmcnt(52)
	v_fmac_f64_e32 v[64:65], v[52:53], v[180:181]
	v_add_f64 v[62:63], v[62:63], v[64:65]
	v_mul_f64 v[64:65], v[228:229], v[74:75]
	v_fma_f64 v[68:69], v[226:227], v[94:95], -v[64:65]
	ds_read_b128 v[224:227], v1 offset:1616
	s_waitcnt lgkmcnt(1)
	v_mul_f64 v[64:65], v[54:55], v[152:153]
	v_fmac_f64_e32 v[64:65], v[56:57], v[156:157]
	v_add_f64 v[74:75], v[62:63], v[64:65]
	ds_read_b128 v[62:65], v1 offset:1632
	ds_read_b128 v[228:231], v1 offset:1648
	s_waitcnt vmcnt(46) lgkmcnt(2)
	v_mul_f64 v[70:71], v[224:225], v[182:183]
	s_waitcnt vmcnt(44)
	v_fmac_f64_e32 v[70:71], v[226:227], v[184:185]
	v_add_f64 v[74:75], v[74:75], v[70:71]
	v_mul_f64 v[70:71], v[238:239], v[76:77]
	v_fma_f64 v[6:7], v[236:237], v[88:89], -v[70:71]
	ds_read_b128 v[70:73], v1 offset:1664
	s_waitcnt lgkmcnt(2)
	v_mul_f64 v[94:95], v[62:63], v[160:161]
	v_fmac_f64_e32 v[94:95], v[64:65], v[164:165]
	s_waitcnt vmcnt(38) lgkmcnt(1)
	v_mul_f64 v[76:77], v[228:229], v[186:187]
	v_add_f64 v[74:75], v[74:75], v[94:95]
	s_waitcnt vmcnt(36)
	v_fmac_f64_e32 v[76:77], v[230:231], v[188:189]
	v_add_f64 v[74:75], v[74:75], v[76:77]
	v_fma_f64 v[4:5], v[240:241], v[80:81], -v[78:79]
	ds_read_b128 v[78:81], v1 offset:1696
	s_waitcnt lgkmcnt(1)
	v_mul_f64 v[76:77], v[70:71], v[168:169]
	v_fmac_f64_e32 v[76:77], v[72:73], v[172:173]
	v_add_f64 v[88:89], v[74:75], v[76:77]
	ds_read_b128 v[74:77], v1 offset:1680
	ds_read_b128 v[82:85], v1 offset:1712
	v_mul_f64 v[92:93], v[92:93], v[96:97]
	v_fma_f64 v[2:3], v[90:91], v[102:103], -v[92:93]
	v_mul_f64 v[98:99], v[246:247], v[108:109]
	v_fma_f64 v[250:251], v[244:245], v[250:251], -v[98:99]
	ds_read_b128 v[98:101], v1 offset:1760
	v_mul_f64 v[102:103], v[254:255], v[104:105]
	v_fma_f64 v[252:253], v[252:253], v[106:107], -v[102:103]
	ds_read_b128 v[102:105], v1 offset:1792
	v_add_f64 v[10:11], v[10:11], 0
	v_add_f64 v[8:9], v[10:11], v[8:9]
	;; [unrolled: 1-line block ×6, first 2 shown]
	ds_read_b128 v[90:93], v1 offset:1744
	v_add_f64 v[8:9], v[8:9], v[232:233]
	v_add_f64 v[6:7], v[8:9], v[6:7]
	;; [unrolled: 1-line block ×6, first 2 shown]
	v_mul_f64 v[4:5], v[120:121], v[134:135]
	v_add_f64 v[2:3], v[2:3], v[252:253]
	v_fma_f64 v[4:5], v[118:119], v[138:139], -v[4:5]
	v_add_f64 v[2:3], v[2:3], v[4:5]
	s_waitcnt vmcnt(25) lgkmcnt(3)
	v_mul_f64 v[96:97], v[82:83], v[200:201]
	v_accvgpr_read_b32 v4, a174
	s_waitcnt vmcnt(23)
	v_fmac_f64_e32 v[96:97], v[84:85], v[206:207]
	v_accvgpr_read_b32 v5, a175
	v_mul_f64 v[94:95], v[74:75], v[12:13]
	v_accvgpr_read_b32 v6, a176
	v_fmac_f64_e32 v[94:95], v[76:77], v[126:127]
	v_mul_f64 v[86:87], v[78:79], v[196:197]
	v_add_f64 v[88:89], v[88:89], v[94:95]
	v_fmac_f64_e32 v[86:87], v[80:81], v[198:199]
	v_add_f64 v[94:95], v[88:89], v[86:87]
	ds_read_b128 v[86:89], v1 offset:1728
	v_add_f64 v[94:95], v[94:95], v[96:97]
	v_mul_f64 v[4:5], v[192:193], v[4:5]
	v_accvgpr_read_b32 v7, a177
	v_fma_f64 v[4:5], v[190:191], v[6:7], -v[4:5]
	s_waitcnt vmcnt(22) lgkmcnt(0)
	v_mul_f64 v[96:97], v[86:87], v[194:195]
	s_waitcnt vmcnt(20)
	v_fmac_f64_e32 v[96:97], v[88:89], v[204:205]
	v_add_f64 v[94:95], v[94:95], v[96:97]
	s_waitcnt vmcnt(18)
	v_mul_f64 v[96:97], v[90:91], v[202:203]
	s_waitcnt vmcnt(16)
	v_fmac_f64_e32 v[96:97], v[92:93], v[208:209]
	v_add_f64 v[108:109], v[94:95], v[96:97]
	ds_read_b128 v[94:97], v1 offset:1776
	s_waitcnt vmcnt(13)
	v_mul_f64 v[106:107], v[98:99], v[212:213]
	s_waitcnt vmcnt(12)
	v_fmac_f64_e32 v[106:107], v[100:101], v[214:215]
	v_add_f64 v[106:107], v[108:109], v[106:107]
	v_add_f64 v[2:3], v[2:3], v[4:5]
	s_waitcnt vmcnt(9) lgkmcnt(0)
	v_mul_f64 v[108:109], v[94:95], v[218:219]
	s_waitcnt vmcnt(7)
	v_fmac_f64_e32 v[108:109], v[96:97], v[220:221]
	v_add_f64 v[106:107], v[106:107], v[108:109]
	s_waitcnt vmcnt(5)
	v_mul_f64 v[108:109], v[102:103], v[210:211]
	s_waitcnt vmcnt(4)
	v_fmac_f64_e32 v[108:109], v[104:105], v[216:217]
	v_add_f64 v[110:111], v[106:107], v[108:109]
	ds_read_b128 v[106:109], v1 offset:1808
	buffer_load_dword v236, off, s[0:3], 0 offset:920
	buffer_load_dword v237, off, s[0:3], 0 offset:924
	;; [unrolled: 1-line block ×4, first 2 shown]
	v_mul_f64 v[4:5], v[124:125], v[142:143]
	v_fma_f64 v[4:5], v[122:123], v[146:147], -v[4:5]
	v_add_f64 v[2:3], v[2:3], v[4:5]
	s_waitcnt vmcnt(6) lgkmcnt(0)
	v_mul_f64 v[112:113], v[106:107], v[222:223]
	s_waitcnt vmcnt(4)
	v_fmac_f64_e32 v[112:113], v[108:109], v[234:235]
	v_add_f64 v[114:115], v[110:111], v[112:113]
	ds_read_b128 v[110:113], v1 offset:1824
	buffer_load_dword v243, off, s[0:3], 0 offset:940
	buffer_load_dword v242, off, s[0:3], 0 offset:936
	;; [unrolled: 1-line block ×4, first 2 shown]
	v_accvgpr_read_b32 v4, a178
	v_accvgpr_read_b32 v5, a179
	;; [unrolled: 1-line block ×3, first 2 shown]
	v_mul_f64 v[4:5], v[16:17], v[4:5]
	v_accvgpr_read_b32 v7, a181
	v_fma_f64 v[4:5], v[14:15], v[6:7], -v[4:5]
	v_add_f64 v[2:3], v[2:3], v[4:5]
	v_mul_f64 v[4:5], v[20:21], v[150:151]
	v_fma_f64 v[4:5], v[18:19], v[154:155], -v[4:5]
	v_add_f64 v[2:3], v[2:3], v[4:5]
	v_accvgpr_read_b32 v4, a182
	v_accvgpr_read_b32 v5, a183
	v_mul_f64 v[4:5], v[24:25], v[4:5]
	v_fma_f64 v[4:5], v[22:23], v[128:129], -v[4:5]
	v_add_f64 v[2:3], v[2:3], v[4:5]
	v_mul_f64 v[4:5], v[28:29], v[158:159]
	v_fma_f64 v[4:5], v[26:27], v[162:163], -v[4:5]
	v_add_f64 v[2:3], v[2:3], v[4:5]
	;; [unrolled: 3-line block ×19, first 2 shown]
	s_waitcnt vmcnt(6) lgkmcnt(0)
	v_mul_f64 v[116:117], v[110:111], v[236:237]
	v_mul_f64 v[4:5], v[96:97], v[218:219]
	s_waitcnt vmcnt(4)
	v_fmac_f64_e32 v[116:117], v[112:113], v[238:239]
	v_add_f64 v[240:241], v[114:115], v[116:117]
	ds_read_b128 v[114:117], v1 offset:1840
	v_fma_f64 v[4:5], v[94:95], v[220:221], -v[4:5]
	v_add_f64 v[2:3], v[2:3], v[4:5]
	v_mul_f64 v[4:5], v[104:105], v[210:211]
	v_fma_f64 v[4:5], v[102:103], v[216:217], -v[4:5]
	s_waitcnt vmcnt(2) lgkmcnt(0)
	v_mul_f64 v[246:247], v[114:115], v[242:243]
	s_waitcnt vmcnt(0)
	v_fmac_f64_e32 v[246:247], v[116:117], v[244:245]
	v_add_f64 v[240:241], v[240:241], v[246:247]
	buffer_load_dword v248, off, s[0:3], 0 offset:256
	buffer_load_dword v249, off, s[0:3], 0 offset:260
	;; [unrolled: 1-line block ×4, first 2 shown]
	v_add_f64 v[2:3], v[2:3], v[4:5]
	v_mul_f64 v[4:5], v[108:109], v[222:223]
	v_fma_f64 v[4:5], v[106:107], v[234:235], -v[4:5]
	v_add_f64 v[2:3], v[2:3], v[4:5]
	v_mul_f64 v[4:5], v[112:113], v[236:237]
	v_fma_f64 v[4:5], v[110:111], v[238:239], -v[4:5]
	;; [unrolled: 3-line block ×3, first 2 shown]
	v_add_f64 v[2:3], v[2:3], v[4:5]
	s_waitcnt vmcnt(2)
	v_add_f64 v[2:3], v[248:249], -v[2:3]
	s_waitcnt vmcnt(0)
	v_add_f64 v[4:5], v[246:247], -v[240:241]
	buffer_store_dword v3, off, s[0:3], 0 offset:260
	buffer_store_dword v2, off, s[0:3], 0 offset:256
	buffer_store_dword v5, off, s[0:3], 0 offset:268
	buffer_store_dword v4, off, s[0:3], 0 offset:264
	s_and_saveexec_b64 s[4:5], vcc
	s_cbranch_execz .LBB57_333
; %bb.332:
	v_accvgpr_read_b32 v1, a159
	buffer_load_dword v2, v1, s[0:3], 0 offen
	buffer_load_dword v3, v1, s[0:3], 0 offen offset:4
	buffer_load_dword v4, v1, s[0:3], 0 offen offset:8
	;; [unrolled: 1-line block ×3, first 2 shown]
	v_mov_b32_e32 v1, 0
	v_accvgpr_read_b32 v6, a173
	buffer_store_dword v1, off, s[0:3], 0 offset:240
	buffer_store_dword v1, off, s[0:3], 0 offset:244
	;; [unrolled: 1-line block ×4, first 2 shown]
	s_waitcnt vmcnt(4)
	ds_write_b128 v6, v[2:5]
.LBB57_333:
	s_or_b64 exec, exec, s[4:5]
	s_waitcnt lgkmcnt(0)
	; wave barrier
	s_waitcnt lgkmcnt(0)
	buffer_load_dword v50, off, s[0:3], 0 offset:256
	buffer_load_dword v51, off, s[0:3], 0 offset:260
	;; [unrolled: 1-line block ×54, first 2 shown]
	v_mov_b32_e32 v1, 0
	ds_read_b128 v[102:105], v1 offset:1168
	ds_read_b128 v[106:109], v1 offset:1184
	;; [unrolled: 1-line block ×9, first 2 shown]
	v_cmp_lt_u32_e32 vcc, 13, v0
	s_waitcnt vmcnt(46) lgkmcnt(7)
	v_mul_f64 v[4:5], v[106:107], v[58:59]
	v_fmac_f64_e32 v[4:5], v[108:109], v[52:53]
	s_waitcnt vmcnt(44) lgkmcnt(6)
	v_mul_f64 v[6:7], v[110:111], v[54:55]
	s_waitcnt vmcnt(42) lgkmcnt(4)
	v_mul_f64 v[10:11], v[206:207], v[210:211]
	s_waitcnt vmcnt(40)
	v_fmac_f64_e32 v[10:11], v[208:209], v[60:61]
	s_waitcnt vmcnt(38)
	v_mul_f64 v[8:9], v[114:115], v[64:65]
	s_waitcnt vmcnt(36) lgkmcnt(2)
	v_mul_f64 v[14:15], v[226:227], v[66:67]
	s_waitcnt vmcnt(34)
	v_fmac_f64_e32 v[14:15], v[228:229], v[70:71]
	s_waitcnt vmcnt(32)
	;; [unrolled: 6-line block ×3, first 2 shown]
	v_fmac_f64_e32 v[8:9], v[116:117], v[80:81]
	s_waitcnt vmcnt(24)
	v_fmac_f64_e32 v[12:13], v[224:225], v[78:79]
	s_waitcnt vmcnt(22)
	;; [unrolled: 2-line block ×3, first 2 shown]
	v_pk_mov_b32 v[18:19], v[2:3], v[2:3] op_sel:[0,1]
	v_mul_f64 v[2:3], v[102:103], v[56:57]
	v_fmac_f64_e32 v[2:3], v[104:105], v[50:51]
	v_add_f64 v[2:3], v[2:3], 0
	v_add_f64 v[2:3], v[2:3], v[4:5]
	buffer_load_dword v5, off, s[0:3], 0 offset:484
	buffer_load_dword v4, off, s[0:3], 0 offset:480
	v_add_f64 v[2:3], v[2:3], v[6:7]
	v_add_f64 v[2:3], v[2:3], v[8:9]
	;; [unrolled: 1-line block ×6, first 2 shown]
	v_accvgpr_write_b32 a175, v19
	v_accvgpr_write_b32 a174, v18
	s_waitcnt vmcnt(0)
	v_pk_mov_b32 v[14:15], v[4:5], v[4:5] op_sel:[0,1]
	buffer_load_dword v63, off, s[0:3], 0 offset:476
	buffer_load_dword v62, off, s[0:3], 0 offset:472
	;; [unrolled: 1-line block ×6, first 2 shown]
	v_accvgpr_write_b32 a177, v15
	v_accvgpr_write_b32 a176, v14
	s_waitcnt vmcnt(0)
	v_pk_mov_b32 v[22:23], v[4:5], v[4:5] op_sel:[0,1]
	buffer_load_dword v5, off, s[0:3], 0 offset:516
	buffer_load_dword v4, off, s[0:3], 0 offset:512
	v_accvgpr_write_b32 a179, v23
	v_accvgpr_write_b32 a178, v22
	s_waitcnt vmcnt(0)
	v_pk_mov_b32 v[24:25], v[4:5], v[4:5] op_sel:[0,1]
	buffer_load_dword v139, off, s[0:3], 0 offset:508
	buffer_load_dword v138, off, s[0:3], 0 offset:504
	;; [unrolled: 1-line block ×52, first 2 shown]
	ds_read_b128 v[238:241], v1 offset:1312
	ds_read_b128 v[242:245], v1 offset:1328
	;; [unrolled: 1-line block ×7, first 2 shown]
	v_accvgpr_write_b32 a181, v25
	v_accvgpr_write_b32 a180, v24
	s_waitcnt lgkmcnt(2)
	v_mul_f64 v[8:9], v[118:119], v[62:63]
	v_fmac_f64_e32 v[8:9], v[120:121], v[212:213]
	s_waitcnt lgkmcnt(1)
	v_mul_f64 v[12:13], v[126:127], v[18:19]
	v_fmac_f64_e32 v[12:13], v[128:129], v[14:15]
	v_mul_f64 v[62:63], v[120:121], v[62:63]
	s_waitcnt vmcnt(44)
	v_pk_mov_b32 v[30:31], v[4:5], v[4:5] op_sel:[0,1]
	v_mul_f64 v[4:5], v[234:235], v[74:75]
	v_fmac_f64_e32 v[4:5], v[236:237], v[84:85]
	v_add_f64 v[2:3], v[2:3], v[4:5]
	v_mul_f64 v[4:5], v[238:239], v[90:91]
	v_fmac_f64_e32 v[4:5], v[240:241], v[92:93]
	v_add_f64 v[2:3], v[2:3], v[4:5]
	;; [unrolled: 3-line block ×5, first 2 shown]
	v_add_f64 v[10:11], v[6:7], v[8:9]
	v_add_f64 v[14:15], v[10:11], v[12:13]
	ds_read_b128 v[10:13], v1 offset:1424
	s_waitcnt lgkmcnt(1)
	v_mul_f64 v[16:17], v[122:123], v[138:139]
	v_fmac_f64_e32 v[16:17], v[124:125], v[142:143]
	v_add_f64 v[18:19], v[14:15], v[16:17]
	ds_read_b128 v[14:17], v1 offset:1440
	s_waitcnt lgkmcnt(1)
	v_mul_f64 v[20:21], v[10:11], v[22:23]
	v_fmac_f64_e32 v[20:21], v[12:13], v[24:25]
	v_add_f64 v[22:23], v[18:19], v[20:21]
	ds_read_b128 v[18:21], v1 offset:1456
	s_waitcnt vmcnt(42) lgkmcnt(1)
	v_mul_f64 v[24:25], v[14:15], v[146:147]
	s_waitcnt vmcnt(40)
	v_fmac_f64_e32 v[24:25], v[16:17], v[150:151]
	v_add_f64 v[26:27], v[22:23], v[24:25]
	ds_read_b128 v[22:25], v1 offset:1472
	s_waitcnt lgkmcnt(1)
	v_mul_f64 v[28:29], v[18:19], v[254:255]
	v_fmac_f64_e32 v[28:29], v[20:21], v[30:31]
	v_accvgpr_write_b32 a183, v31
	v_accvgpr_write_b32 a182, v30
	v_add_f64 v[30:31], v[26:27], v[28:29]
	ds_read_b128 v[26:29], v1 offset:1488
	s_waitcnt vmcnt(34) lgkmcnt(1)
	v_mul_f64 v[32:33], v[22:23], v[154:155]
	s_waitcnt vmcnt(32)
	v_fmac_f64_e32 v[32:33], v[24:25], v[158:159]
	v_add_f64 v[34:35], v[30:31], v[32:33]
	ds_read_b128 v[30:33], v1 offset:1504
	s_waitcnt lgkmcnt(1)
	v_mul_f64 v[36:37], v[26:27], v[130:131]
	v_fmac_f64_e32 v[36:37], v[28:29], v[132:133]
	v_add_f64 v[38:39], v[34:35], v[36:37]
	ds_read_b128 v[34:37], v1 offset:1520
	s_waitcnt vmcnt(26) lgkmcnt(1)
	v_mul_f64 v[40:41], v[30:31], v[162:163]
	s_waitcnt vmcnt(24)
	v_fmac_f64_e32 v[40:41], v[32:33], v[164:165]
	v_add_f64 v[42:43], v[38:39], v[40:41]
	ds_read_b128 v[38:41], v1 offset:1536
	s_waitcnt lgkmcnt(1)
	v_mul_f64 v[44:45], v[34:35], v[134:135]
	v_fmac_f64_e32 v[44:45], v[36:37], v[136:137]
	v_add_f64 v[46:47], v[42:43], v[44:45]
	ds_read_b128 v[42:45], v1 offset:1552
	buffer_load_dword v179, off, s[0:3], 0 offset:748
	buffer_load_dword v181, off, s[0:3], 0 offset:732
	;; [unrolled: 1-line block ×8, first 2 shown]
	s_waitcnt vmcnt(26) lgkmcnt(1)
	v_mul_f64 v[48:49], v[38:39], v[166:167]
	s_waitcnt vmcnt(24)
	v_fmac_f64_e32 v[48:49], v[40:41], v[168:169]
	v_add_f64 v[190:191], v[46:47], v[48:49]
	ds_read_b128 v[46:49], v1 offset:1568
	buffer_load_dword v187, off, s[0:3], 0 offset:764
	buffer_load_dword v186, off, s[0:3], 0 offset:760
	;; [unrolled: 1-line block ×4, first 2 shown]
	s_waitcnt lgkmcnt(1)
	v_mul_f64 v[192:193], v[42:43], v[140:141]
	v_fmac_f64_e32 v[192:193], v[44:45], v[144:145]
	v_add_f64 v[2:3], v[190:191], v[192:193]
	buffer_load_dword v191, off, s[0:3], 0 offset:780
	buffer_load_dword v190, off, s[0:3], 0 offset:776
	buffer_load_dword v195, off, s[0:3], 0 offset:772
	buffer_load_dword v194, off, s[0:3], 0 offset:768
	buffer_load_dword v193, off, s[0:3], 0 offset:796
	buffer_load_dword v192, off, s[0:3], 0 offset:792
	buffer_load_dword v197, off, s[0:3], 0 offset:788
	buffer_load_dword v196, off, s[0:3], 0 offset:784
	buffer_load_dword v198, off, s[0:3], 0 offset:808
	buffer_load_dword v200, off, s[0:3], 0 offset:800
	buffer_load_dword v199, off, s[0:3], 0 offset:812
	buffer_load_dword v201, off, s[0:3], 0 offset:804
	v_mul_f64 v[4:5], v[104:105], v[56:57]
	v_fma_f64 v[6:7], v[102:103], v[50:51], -v[4:5]
	v_mul_f64 v[50:51], v[108:109], v[58:59]
	v_fma_f64 v[102:103], v[106:107], v[52:53], -v[50:51]
	;; [unrolled: 2-line block ×3, first 2 shown]
	buffer_load_dword v203, off, s[0:3], 0 offset:828
	buffer_load_dword v202, off, s[0:3], 0 offset:824
	;; [unrolled: 1-line block ×4, first 2 shown]
	v_mul_f64 v[50:51], v[116:117], v[64:65]
	v_fma_f64 v[80:81], v[114:115], v[80:81], -v[50:51]
	v_mul_f64 v[50:51], v[208:209], v[210:211]
	buffer_load_dword v209, off, s[0:3], 0 offset:844
	buffer_load_dword v208, off, s[0:3], 0 offset:840
	;; [unrolled: 1-line block ×4, first 2 shown]
	v_fma_f64 v[4:5], v[206:207], v[60:61], -v[50:51]
	buffer_load_dword v207, off, s[0:3], 0 offset:876
	buffer_load_dword v65, off, s[0:3], 0 offset:860
	;; [unrolled: 1-line block ×12, first 2 shown]
	ds_read_b128 v[50:53], v1 offset:1584
	v_mul_f64 v[54:55], v[224:225], v[76:77]
	v_fma_f64 v[78:79], v[222:223], v[78:79], -v[54:55]
	ds_read_b128 v[54:57], v1 offset:1600
	s_waitcnt vmcnt(54) lgkmcnt(2)
	v_mul_f64 v[8:9], v[46:47], v[170:171]
	s_waitcnt vmcnt(52)
	v_fmac_f64_e32 v[8:9], v[48:49], v[172:173]
	v_add_f64 v[2:3], v[2:3], v[8:9]
	s_waitcnt lgkmcnt(1)
	v_mul_f64 v[8:9], v[50:51], v[148:149]
	v_fmac_f64_e32 v[8:9], v[52:53], v[152:153]
	v_add_f64 v[2:3], v[2:3], v[8:9]
	s_waitcnt vmcnt(46) lgkmcnt(0)
	v_mul_f64 v[8:9], v[54:55], v[174:175]
	s_waitcnt vmcnt(44)
	v_fmac_f64_e32 v[8:9], v[56:57], v[176:177]
	ds_read_b128 v[58:61], v1 offset:1616
	v_add_f64 v[2:3], v[2:3], v[8:9]
	v_mul_f64 v[8:9], v[228:229], v[66:67]
	v_fma_f64 v[8:9], v[226:227], v[70:71], -v[8:9]
	ds_read_b128 v[224:227], v1 offset:1632
	v_mul_f64 v[66:67], v[232:233], v[68:69]
	v_fma_f64 v[232:233], v[230:231], v[72:73], -v[66:67]
	ds_read_b128 v[66:69], v1 offset:1648
	s_waitcnt lgkmcnt(2)
	v_mul_f64 v[70:71], v[58:59], v[156:157]
	v_fmac_f64_e32 v[70:71], v[60:61], v[160:161]
	v_add_f64 v[2:3], v[2:3], v[70:71]
	v_mul_f64 v[74:75], v[236:237], v[74:75]
	v_fma_f64 v[222:223], v[234:235], v[84:85], -v[74:75]
	ds_read_b128 v[74:77], v1 offset:1680
	v_mul_f64 v[84:85], v[240:241], v[90:91]
	v_fma_f64 v[240:241], v[238:239], v[92:93], -v[84:85]
	v_mul_f64 v[86:87], v[244:245], v[86:87]
	v_fma_f64 v[234:235], v[242:243], v[88:89], -v[86:87]
	;; [unrolled: 2-line block ×3, first 2 shown]
	v_fma_f64 v[250:251], v[118:119], v[212:213], -v[62:63]
	v_add_f64 v[6:7], v[6:7], 0
	v_add_f64 v[6:7], v[6:7], v[102:103]
	ds_read_b128 v[228:231], v1 offset:1696
	v_add_f64 v[6:7], v[6:7], v[104:105]
	v_add_f64 v[6:7], v[6:7], v[80:81]
	;; [unrolled: 1-line block ×9, first 2 shown]
	v_accvgpr_read_b32 v6, a174
	ds_read_b128 v[86:89], v1 offset:1728
	v_accvgpr_read_b32 v7, a175
	v_accvgpr_read_b32 v8, a176
	v_mul_f64 v[6:7], v[128:129], v[6:7]
	s_waitcnt vmcnt(41) lgkmcnt(4)
	v_mul_f64 v[70:71], v[224:225], v[180:181]
	v_accvgpr_read_b32 v9, a177
	s_waitcnt vmcnt(39)
	v_fmac_f64_e32 v[70:71], v[226:227], v[184:185]
	v_add_f64 v[2:3], v[2:3], v[70:71]
	s_waitcnt vmcnt(38) lgkmcnt(3)
	v_mul_f64 v[70:71], v[66:67], v[178:179]
	s_waitcnt vmcnt(36)
	v_fmac_f64_e32 v[70:71], v[68:69], v[182:183]
	v_add_f64 v[2:3], v[2:3], v[70:71]
	ds_read_b128 v[70:73], v1 offset:1664
	ds_read_b128 v[94:97], v1 offset:1760
	v_fma_f64 v[6:7], v[126:127], v[8:9], -v[6:7]
	v_accvgpr_read_b32 v8, a180
	ds_read_b128 v[118:121], v1 offset:1792
	s_waitcnt vmcnt(34) lgkmcnt(2)
	v_mul_f64 v[82:83], v[70:71], v[186:187]
	s_waitcnt vmcnt(32)
	v_fmac_f64_e32 v[82:83], v[72:73], v[188:189]
	v_add_f64 v[2:3], v[2:3], v[82:83]
	s_waitcnt vmcnt(30)
	v_mul_f64 v[82:83], v[74:75], v[190:191]
	s_waitcnt vmcnt(28)
	v_fmac_f64_e32 v[82:83], v[76:77], v[194:195]
	v_add_f64 v[2:3], v[2:3], v[82:83]
	s_waitcnt vmcnt(26)
	v_mul_f64 v[82:83], v[228:229], v[192:193]
	s_waitcnt vmcnt(24)
	v_fmac_f64_e32 v[82:83], v[230:231], v[196:197]
	v_add_f64 v[2:3], v[2:3], v[82:83]
	ds_read_b128 v[82:85], v1 offset:1712
	s_waitcnt vmcnt(9) lgkmcnt(2)
	v_mul_f64 v[62:63], v[94:95], v[64:65]
	s_waitcnt vmcnt(7)
	v_fmac_f64_e32 v[62:63], v[96:97], v[218:219]
	v_accvgpr_read_b32 v9, a181
	s_waitcnt lgkmcnt(0)
	v_mul_f64 v[90:91], v[82:83], v[198:199]
	v_fmac_f64_e32 v[90:91], v[84:85], v[200:201]
	v_add_f64 v[106:107], v[2:3], v[90:91]
	v_mul_f64 v[90:91], v[248:249], v[98:99]
	v_fma_f64 v[246:247], v[246:247], v[100:101], -v[90:91]
	ds_read_b128 v[90:93], v1 offset:1744
	v_mul_f64 v[98:99], v[86:87], v[202:203]
	v_fmac_f64_e32 v[98:99], v[88:89], v[204:205]
	buffer_load_dword v2, off, s[0:3], 0 offset:904
	v_add_f64 v[98:99], v[106:107], v[98:99]
	s_waitcnt lgkmcnt(0)
	v_mul_f64 v[100:101], v[90:91], v[208:209]
	v_fmac_f64_e32 v[100:101], v[92:93], v[210:211]
	v_add_f64 v[106:107], v[98:99], v[100:101]
	ds_read_b128 v[98:101], v1 offset:1776
	buffer_load_dword v212, off, s[0:3], 0 offset:896
	buffer_load_dword v3, off, s[0:3], 0 offset:908
	;; [unrolled: 1-line block ×3, first 2 shown]
	v_add_f64 v[62:63], v[106:107], v[62:63]
	v_add_f64 v[4:5], v[4:5], v[246:247]
	;; [unrolled: 1-line block ×3, first 2 shown]
	s_waitcnt vmcnt(10) lgkmcnt(0)
	v_mul_f64 v[106:107], v[98:99], v[206:207]
	s_waitcnt vmcnt(8)
	v_fmac_f64_e32 v[106:107], v[100:101], v[216:217]
	v_add_f64 v[62:63], v[62:63], v[106:107]
	s_waitcnt vmcnt(6)
	v_mul_f64 v[106:107], v[118:119], v[214:215]
	s_waitcnt vmcnt(4)
	v_fmac_f64_e32 v[106:107], v[120:121], v[220:221]
	v_add_f64 v[62:63], v[62:63], v[106:107]
	ds_read_b128 v[106:109], v1 offset:1808
	buffer_load_dword v237, off, s[0:3], 0 offset:924
	buffer_load_dword v236, off, s[0:3], 0 offset:920
	;; [unrolled: 1-line block ×4, first 2 shown]
	v_add_f64 v[4:5], v[252:253], v[250:251]
	v_add_f64 v[4:5], v[4:5], v[6:7]
	v_mul_f64 v[6:7], v[124:125], v[138:139]
	v_fma_f64 v[6:7], v[122:123], v[142:143], -v[6:7]
	v_add_f64 v[4:5], v[4:5], v[6:7]
	v_accvgpr_read_b32 v6, a178
	v_accvgpr_read_b32 v7, a179
	v_mul_f64 v[6:7], v[12:13], v[6:7]
	v_fma_f64 v[6:7], v[10:11], v[8:9], -v[6:7]
	v_add_f64 v[4:5], v[4:5], v[6:7]
	v_mul_f64 v[6:7], v[16:17], v[146:147]
	v_fma_f64 v[6:7], v[14:15], v[150:151], -v[6:7]
	v_accvgpr_read_b32 v8, a182
	v_add_f64 v[4:5], v[4:5], v[6:7]
	v_mul_f64 v[6:7], v[20:21], v[254:255]
	v_accvgpr_read_b32 v9, a183
	v_fma_f64 v[6:7], v[18:19], v[8:9], -v[6:7]
	v_add_f64 v[4:5], v[4:5], v[6:7]
	v_mul_f64 v[6:7], v[24:25], v[154:155]
	v_fma_f64 v[6:7], v[22:23], v[158:159], -v[6:7]
	v_add_f64 v[4:5], v[4:5], v[6:7]
	v_mul_f64 v[6:7], v[28:29], v[130:131]
	;; [unrolled: 3-line block ×17, first 2 shown]
	s_waitcnt vmcnt(5) lgkmcnt(0)
	v_mul_f64 v[110:111], v[106:107], v[2:3]
	s_waitcnt vmcnt(4)
	v_fmac_f64_e32 v[110:111], v[108:109], v[212:213]
	v_add_f64 v[62:63], v[62:63], v[110:111]
	ds_read_b128 v[110:113], v1 offset:1824
	buffer_load_dword v242, off, s[0:3], 0 offset:936
	buffer_load_dword v243, off, s[0:3], 0 offset:940
	;; [unrolled: 1-line block ×4, first 2 shown]
	v_fma_f64 v[6:7], v[86:87], v[204:205], -v[6:7]
	v_add_f64 v[4:5], v[4:5], v[6:7]
	v_mul_f64 v[6:7], v[92:93], v[208:209]
	v_fma_f64 v[6:7], v[90:91], v[210:211], -v[6:7]
	v_add_f64 v[4:5], v[4:5], v[6:7]
	s_waitcnt vmcnt(6) lgkmcnt(0)
	v_mul_f64 v[114:115], v[110:111], v[236:237]
	v_mul_f64 v[6:7], v[96:97], v[64:65]
	s_waitcnt vmcnt(4)
	v_fmac_f64_e32 v[114:115], v[112:113], v[238:239]
	v_add_f64 v[62:63], v[62:63], v[114:115]
	ds_read_b128 v[114:117], v1 offset:1840
	v_fma_f64 v[6:7], v[94:95], v[218:219], -v[6:7]
	v_add_f64 v[4:5], v[4:5], v[6:7]
	v_mul_f64 v[6:7], v[100:101], v[206:207]
	v_fma_f64 v[6:7], v[98:99], v[216:217], -v[6:7]
	v_add_f64 v[4:5], v[4:5], v[6:7]
	v_mul_f64 v[6:7], v[120:121], v[214:215]
	v_fma_f64 v[6:7], v[118:119], v[220:221], -v[6:7]
	v_mul_f64 v[2:3], v[108:109], v[2:3]
	v_add_f64 v[4:5], v[4:5], v[6:7]
	v_fma_f64 v[2:3], v[106:107], v[212:213], -v[2:3]
	v_add_f64 v[2:3], v[4:5], v[2:3]
	v_mul_f64 v[4:5], v[112:113], v[236:237]
	v_fma_f64 v[4:5], v[110:111], v[238:239], -v[4:5]
	v_add_f64 v[2:3], v[2:3], v[4:5]
	s_waitcnt vmcnt(2) lgkmcnt(0)
	v_mul_f64 v[248:249], v[114:115], v[242:243]
	v_mul_f64 v[4:5], v[116:117], v[242:243]
	s_waitcnt vmcnt(0)
	v_fmac_f64_e32 v[248:249], v[116:117], v[244:245]
	v_add_f64 v[62:63], v[62:63], v[248:249]
	buffer_load_dword v248, off, s[0:3], 0 offset:240
	buffer_load_dword v249, off, s[0:3], 0 offset:244
	;; [unrolled: 1-line block ×4, first 2 shown]
	v_fma_f64 v[4:5], v[114:115], v[244:245], -v[4:5]
	v_add_f64 v[2:3], v[2:3], v[4:5]
	s_waitcnt vmcnt(2)
	v_add_f64 v[2:3], v[248:249], -v[2:3]
	s_waitcnt vmcnt(0)
	v_add_f64 v[4:5], v[246:247], -v[62:63]
	buffer_store_dword v3, off, s[0:3], 0 offset:244
	buffer_store_dword v2, off, s[0:3], 0 offset:240
	buffer_store_dword v5, off, s[0:3], 0 offset:252
	buffer_store_dword v4, off, s[0:3], 0 offset:248
	s_and_saveexec_b64 s[4:5], vcc
	s_cbranch_execz .LBB57_335
; %bb.334:
	v_accvgpr_read_b32 v5, a160
	buffer_load_dword v2, v5, s[0:3], 0 offen
	buffer_load_dword v3, v5, s[0:3], 0 offen offset:4
	buffer_load_dword v4, v5, s[0:3], 0 offen offset:8
	s_nop 0
	buffer_load_dword v5, v5, s[0:3], 0 offen offset:12
	v_accvgpr_read_b32 v6, a173
	buffer_store_dword v1, off, s[0:3], 0 offset:224
	buffer_store_dword v1, off, s[0:3], 0 offset:228
	;; [unrolled: 1-line block ×4, first 2 shown]
	s_waitcnt vmcnt(4)
	ds_write_b128 v6, v[2:5]
.LBB57_335:
	s_or_b64 exec, exec, s[4:5]
	s_waitcnt lgkmcnt(0)
	; wave barrier
	s_waitcnt lgkmcnt(0)
	buffer_load_dword v184, off, s[0:3], 0 offset:240
	buffer_load_dword v185, off, s[0:3], 0 offset:244
	;; [unrolled: 1-line block ×36, first 2 shown]
	ds_read_b128 v[82:85], v1 offset:1152
	ds_read_b128 v[78:81], v1 offset:1168
	;; [unrolled: 1-line block ×9, first 2 shown]
	buffer_load_dword v235, off, s[0:3], 0 offset:412
	buffer_load_dword v234, off, s[0:3], 0 offset:408
	;; [unrolled: 1-line block ×19, first 2 shown]
	v_cmp_lt_u32_e32 vcc, 12, v0
	s_waitcnt vmcnt(51) lgkmcnt(8)
	v_mul_f64 v[2:3], v[82:83], v[192:193]
	v_fmac_f64_e32 v[2:3], v[84:85], v[184:185]
	v_add_f64 v[2:3], v[2:3], 0
	s_waitcnt vmcnt(47) lgkmcnt(7)
	v_mul_f64 v[4:5], v[78:79], v[196:197]
	v_fmac_f64_e32 v[4:5], v[80:81], v[194:195]
	v_add_f64 v[2:3], v[2:3], v[4:5]
	buffer_load_dword v244, off, s[0:3], 0 offset:464
	buffer_load_dword v99, off, s[0:3], 0 offset:460
	;; [unrolled: 1-line block ×7, first 2 shown]
	s_waitcnt vmcnt(52) lgkmcnt(6)
	v_mul_f64 v[6:7], v[74:75], v[200:201]
	s_waitcnt vmcnt(50) lgkmcnt(4)
	v_mul_f64 v[10:11], v[62:63], v[210:211]
	s_waitcnt vmcnt(48)
	v_fmac_f64_e32 v[10:11], v[64:65], v[212:213]
	v_mul_f64 v[80:81], v[80:81], v[196:197]
	s_waitcnt vmcnt(46)
	v_mul_f64 v[8:9], v[70:71], v[202:203]
	v_fma_f64 v[78:79], v[78:79], v[194:195], -v[80:81]
	s_waitcnt vmcnt(44) lgkmcnt(2)
	v_mul_f64 v[14:15], v[54:55], v[104:105]
	v_mul_f64 v[64:65], v[64:65], v[210:211]
	s_waitcnt vmcnt(42)
	v_fmac_f64_e32 v[14:15], v[56:57], v[108:109]
	v_fma_f64 v[210:211], v[62:63], v[212:213], -v[64:65]
	s_waitcnt vmcnt(40)
	v_mul_f64 v[12:13], v[50:51], v[112:113]
	s_waitcnt vmcnt(38) lgkmcnt(1)
	v_mul_f64 v[16:17], v[58:59], v[106:107]
	s_waitcnt vmcnt(36)
	v_fmac_f64_e32 v[6:7], v[76:77], v[198:199]
	v_add_f64 v[2:3], v[2:3], v[6:7]
	s_waitcnt vmcnt(34)
	v_fmac_f64_e32 v[8:9], v[72:73], v[116:117]
	v_add_f64 v[2:3], v[2:3], v[8:9]
	;; [unrolled: 3-line block ×3, first 2 shown]
	v_add_f64 v[2:3], v[2:3], v[12:13]
	s_waitcnt vmcnt(30)
	v_fmac_f64_e32 v[16:17], v[60:61], v[110:111]
	v_add_f64 v[2:3], v[2:3], v[14:15]
	v_add_f64 v[2:3], v[2:3], v[16:17]
	v_mul_f64 v[76:77], v[76:77], v[200:201]
	v_fma_f64 v[80:81], v[74:75], v[198:199], -v[76:77]
	v_mul_f64 v[72:73], v[72:73], v[202:203]
	v_mul_f64 v[52:53], v[52:53], v[112:113]
	;; [unrolled: 1-line block ×3, first 2 shown]
	v_fma_f64 v[116:117], v[70:71], v[116:117], -v[72:73]
	s_waitcnt vmcnt(0)
	v_pk_mov_b32 v[18:19], v[4:5], v[4:5] op_sel:[0,1]
	buffer_load_dword v5, off, s[0:3], 0 offset:500
	buffer_load_dword v4, off, s[0:3], 0 offset:496
	v_accvgpr_write_b32 a175, v19
	v_accvgpr_write_b32 a174, v18
	s_waitcnt vmcnt(0)
	v_pk_mov_b32 v[20:21], v[4:5], v[4:5] op_sel:[0,1]
	buffer_load_dword v135, off, s[0:3], 0 offset:492
	buffer_load_dword v134, off, s[0:3], 0 offset:488
	;; [unrolled: 1-line block ×6, first 2 shown]
	v_accvgpr_write_b32 a177, v21
	v_accvgpr_write_b32 a176, v20
	s_waitcnt vmcnt(0)
	v_pk_mov_b32 v[26:27], v[4:5], v[4:5] op_sel:[0,1]
	buffer_load_dword v5, off, s[0:3], 0 offset:532
	buffer_load_dword v4, off, s[0:3], 0 offset:528
	v_accvgpr_write_b32 a179, v27
	v_accvgpr_write_b32 a178, v26
	s_waitcnt vmcnt(0)
	v_pk_mov_b32 v[28:29], v[4:5], v[4:5] op_sel:[0,1]
	buffer_load_dword v143, off, s[0:3], 0 offset:524
	buffer_load_dword v142, off, s[0:3], 0 offset:520
	;; [unrolled: 1-line block ×6, first 2 shown]
	v_accvgpr_write_b32 a181, v29
	v_accvgpr_write_b32 a180, v28
	s_waitcnt vmcnt(0)
	v_pk_mov_b32 v[34:35], v[4:5], v[4:5] op_sel:[0,1]
	buffer_load_dword v5, off, s[0:3], 0 offset:564
	buffer_load_dword v4, off, s[0:3], 0 offset:560
	;; [unrolled: 1-line block ×38, first 2 shown]
	ds_read_b128 v[224:227], v1 offset:1296
	ds_read_b128 v[228:231], v1 offset:1312
	;; [unrolled: 1-line block ×9, first 2 shown]
	v_accvgpr_write_b32 a183, v35
	s_waitcnt lgkmcnt(3)
	v_mul_f64 v[8:9], v[94:95], v[242:243]
	v_fmac_f64_e32 v[8:9], v[96:97], v[244:245]
	s_waitcnt lgkmcnt(2)
	v_mul_f64 v[12:13], v[130:131], v[134:135]
	v_fmac_f64_e32 v[12:13], v[132:133], v[138:139]
	s_waitcnt lgkmcnt(1)
	v_mul_f64 v[16:17], v[126:127], v[18:19]
	v_fmac_f64_e32 v[16:17], v[128:129], v[20:21]
	v_accvgpr_write_b32 a182, v34
	v_mul_f64 v[70:71], v[226:227], v[238:239]
	v_mul_f64 v[96:97], v[96:97], v[242:243]
	s_waitcnt vmcnt(36)
	v_pk_mov_b32 v[36:37], v[4:5], v[4:5] op_sel:[0,1]
	v_mul_f64 v[4:5], v[66:67], v[102:103]
	v_fmac_f64_e32 v[4:5], v[68:69], v[222:223]
	v_add_f64 v[2:3], v[2:3], v[4:5]
	v_mul_f64 v[4:5], v[224:225], v[238:239]
	v_fmac_f64_e32 v[4:5], v[226:227], v[240:241]
	v_add_f64 v[2:3], v[2:3], v[4:5]
	;; [unrolled: 3-line block ×6, first 2 shown]
	v_add_f64 v[10:11], v[6:7], v[8:9]
	v_add_f64 v[14:15], v[10:11], v[12:13]
	;; [unrolled: 1-line block ×3, first 2 shown]
	ds_read_b128 v[14:17], v1 offset:1440
	s_waitcnt lgkmcnt(1)
	v_mul_f64 v[20:21], v[122:123], v[142:143]
	v_fmac_f64_e32 v[20:21], v[124:125], v[146:147]
	v_add_f64 v[22:23], v[18:19], v[20:21]
	ds_read_b128 v[18:21], v1 offset:1456
	s_waitcnt lgkmcnt(1)
	v_mul_f64 v[24:25], v[14:15], v[26:27]
	v_fmac_f64_e32 v[24:25], v[16:17], v[28:29]
	v_add_f64 v[26:27], v[22:23], v[24:25]
	ds_read_b128 v[22:25], v1 offset:1472
	s_waitcnt vmcnt(34) lgkmcnt(1)
	v_mul_f64 v[28:29], v[18:19], v[150:151]
	s_waitcnt vmcnt(32)
	v_fmac_f64_e32 v[28:29], v[20:21], v[154:155]
	v_add_f64 v[30:31], v[26:27], v[28:29]
	ds_read_b128 v[26:29], v1 offset:1488
	s_waitcnt lgkmcnt(1)
	v_mul_f64 v[32:33], v[22:23], v[34:35]
	v_fmac_f64_e32 v[32:33], v[24:25], v[36:37]
	v_accvgpr_write_b32 a185, v37
	v_accvgpr_write_b32 a184, v36
	v_add_f64 v[34:35], v[30:31], v[32:33]
	ds_read_b128 v[30:33], v1 offset:1504
	s_waitcnt vmcnt(26) lgkmcnt(1)
	v_mul_f64 v[36:37], v[26:27], v[158:159]
	s_waitcnt vmcnt(24)
	v_fmac_f64_e32 v[36:37], v[28:29], v[160:161]
	v_add_f64 v[38:39], v[34:35], v[36:37]
	ds_read_b128 v[34:37], v1 offset:1520
	s_waitcnt lgkmcnt(1)
	v_mul_f64 v[40:41], v[30:31], v[232:233]
	v_fmac_f64_e32 v[40:41], v[32:33], v[254:255]
	v_add_f64 v[42:43], v[38:39], v[40:41]
	ds_read_b128 v[38:41], v1 offset:1536
	s_waitcnt vmcnt(18) lgkmcnt(1)
	v_mul_f64 v[44:45], v[34:35], v[162:163]
	s_waitcnt vmcnt(16)
	v_fmac_f64_e32 v[44:45], v[36:37], v[164:165]
	v_add_f64 v[46:47], v[42:43], v[44:45]
	ds_read_b128 v[42:45], v1 offset:1552
	buffer_load_dword v175, off, s[0:3], 0 offset:716
	buffer_load_dword v174, off, s[0:3], 0 offset:712
	;; [unrolled: 1-line block ×4, first 2 shown]
	s_waitcnt lgkmcnt(1)
	v_mul_f64 v[48:49], v[38:39], v[136:137]
	v_fmac_f64_e32 v[48:49], v[40:41], v[140:141]
	v_add_f64 v[178:179], v[46:47], v[48:49]
	ds_read_b128 v[46:49], v1 offset:1568
	buffer_load_dword v181, off, s[0:3], 0 offset:732
	buffer_load_dword v180, off, s[0:3], 0 offset:728
	;; [unrolled: 1-line block ×4, first 2 shown]
	s_waitcnt vmcnt(18) lgkmcnt(1)
	v_mul_f64 v[186:187], v[42:43], v[166:167]
	s_waitcnt vmcnt(16)
	v_fmac_f64_e32 v[186:187], v[44:45], v[168:169]
	v_add_f64 v[2:3], v[178:179], v[186:187]
	buffer_load_dword v179, off, s[0:3], 0 offset:764
	buffer_load_dword v187, off, s[0:3], 0 offset:748
	;; [unrolled: 1-line block ×8, first 2 shown]
	v_mul_f64 v[4:5], v[84:85], v[192:193]
	v_fma_f64 v[10:11], v[82:83], v[184:185], -v[4:5]
	buffer_load_dword v184, off, s[0:3], 0 offset:792
	buffer_load_dword v193, off, s[0:3], 0 offset:780
	;; [unrolled: 1-line block ×20, first 2 shown]
	s_waitcnt lgkmcnt(0)
	v_mul_f64 v[8:9], v[46:47], v[144:145]
	v_fmac_f64_e32 v[8:9], v[48:49], v[148:149]
	v_fma_f64 v[6:7], v[50:51], v[114:115], -v[52:53]
	buffer_load_dword v213, off, s[0:3], 0 offset:860
	buffer_load_dword v212, off, s[0:3], 0 offset:856
	;; [unrolled: 1-line block ×12, first 2 shown]
	v_add_f64 v[2:3], v[2:3], v[8:9]
	ds_read_b128 v[50:53], v1 offset:1584
	v_mul_f64 v[8:9], v[56:57], v[104:105]
	v_fma_f64 v[8:9], v[54:55], v[108:109], -v[8:9]
	ds_read_b128 v[54:57], v1 offset:1600
	v_fma_f64 v[4:5], v[58:59], v[110:111], -v[60:61]
	ds_read_b128 v[58:61], v1 offset:1616
	s_waitcnt vmcnt(50) lgkmcnt(2)
	v_mul_f64 v[62:63], v[50:51], v[170:171]
	s_waitcnt vmcnt(48)
	v_fmac_f64_e32 v[62:63], v[52:53], v[172:173]
	s_waitcnt lgkmcnt(1)
	v_mul_f64 v[12:13], v[54:55], v[152:153]
	v_add_f64 v[2:3], v[2:3], v[62:63]
	ds_read_b128 v[62:65], v1 offset:1632
	v_fmac_f64_e32 v[12:13], v[56:57], v[156:157]
	v_add_f64 v[2:3], v[2:3], v[12:13]
	v_fma_f64 v[240:241], v[224:225], v[240:241], -v[70:71]
	v_mul_f64 v[82:83], v[230:231], v[234:235]
	v_mul_f64 v[88:89], v[88:89], v[246:247]
	v_fma_f64 v[246:247], v[86:87], v[248:249], -v[88:89]
	ds_read_b128 v[86:89], v1 offset:1744
	v_mul_f64 v[92:93], v[92:93], v[98:99]
	v_add_f64 v[10:11], v[10:11], 0
	v_add_f64 v[10:11], v[10:11], v[78:79]
	;; [unrolled: 1-line block ×8, first 2 shown]
	v_mul_f64 v[6:7], v[132:133], v[134:135]
	v_fma_f64 v[6:7], v[130:131], v[138:139], -v[6:7]
	v_accvgpr_read_b32 v8, a176
	v_accvgpr_read_b32 v9, a177
	ds_read_b128 v[70:73], v1 offset:1664
	ds_read_b128 v[224:227], v1 offset:1728
	s_waitcnt vmcnt(46) lgkmcnt(4)
	v_mul_f64 v[12:13], v[58:59], v[174:175]
	s_waitcnt vmcnt(44)
	v_fmac_f64_e32 v[12:13], v[60:61], v[176:177]
	v_add_f64 v[2:3], v[2:3], v[12:13]
	v_mul_f64 v[12:13], v[68:69], v[102:103]
	v_fma_f64 v[12:13], v[66:67], v[222:223], -v[12:13]
	ds_read_b128 v[66:69], v1 offset:1648
	s_waitcnt vmcnt(42) lgkmcnt(4)
	v_mul_f64 v[74:75], v[62:63], v[180:181]
	s_waitcnt vmcnt(40)
	v_fmac_f64_e32 v[74:75], v[64:65], v[182:183]
	v_add_f64 v[2:3], v[2:3], v[74:75]
	v_fma_f64 v[222:223], v[228:229], v[236:237], -v[82:83]
	s_waitcnt vmcnt(37) lgkmcnt(0)
	v_mul_f64 v[74:75], v[66:67], v[186:187]
	s_waitcnt vmcnt(35)
	v_fmac_f64_e32 v[74:75], v[68:69], v[190:191]
	v_add_f64 v[2:3], v[2:3], v[74:75]
	s_waitcnt vmcnt(34)
	v_mul_f64 v[74:75], v[70:71], v[178:179]
	s_waitcnt vmcnt(32)
	v_fmac_f64_e32 v[74:75], v[72:73], v[188:189]
	v_add_f64 v[2:3], v[2:3], v[74:75]
	ds_read_b128 v[74:77], v1 offset:1680
	ds_read_b128 v[228:231], v1 offset:1696
	v_add_f64 v[4:5], v[4:5], v[12:13]
	v_add_f64 v[4:5], v[4:5], v[240:241]
	;; [unrolled: 1-line block ×3, first 2 shown]
	s_waitcnt vmcnt(29) lgkmcnt(1)
	v_mul_f64 v[82:83], v[74:75], v[192:193]
	s_waitcnt vmcnt(27)
	v_fmac_f64_e32 v[82:83], v[76:77], v[196:197]
	v_add_f64 v[2:3], v[2:3], v[82:83]
	v_mul_f64 v[82:83], v[120:121], v[250:251]
	v_fma_f64 v[118:119], v[118:119], v[252:253], -v[82:83]
	ds_read_b128 v[82:85], v1 offset:1712
	s_waitcnt vmcnt(25) lgkmcnt(1)
	v_mul_f64 v[102:103], v[228:229], v[184:185]
	s_waitcnt vmcnt(24)
	v_fmac_f64_e32 v[102:103], v[230:231], v[194:195]
	v_add_f64 v[2:3], v[2:3], v[102:103]
	v_fma_f64 v[250:251], v[90:91], v[100:101], -v[92:93]
	s_waitcnt vmcnt(21) lgkmcnt(0)
	v_mul_f64 v[102:103], v[82:83], v[200:201]
	s_waitcnt vmcnt(19)
	v_fmac_f64_e32 v[102:103], v[84:85], v[206:207]
	v_add_f64 v[2:3], v[2:3], v[102:103]
	s_waitcnt vmcnt(18)
	v_mul_f64 v[102:103], v[224:225], v[198:199]
	s_waitcnt vmcnt(16)
	v_fmac_f64_e32 v[102:103], v[226:227], v[204:205]
	v_add_f64 v[2:3], v[2:3], v[102:103]
	ds_read_b128 v[98:101], v1 offset:1760
	s_waitcnt vmcnt(14)
	v_mul_f64 v[102:103], v[86:87], v[202:203]
	s_waitcnt vmcnt(12)
	v_fmac_f64_e32 v[102:103], v[88:89], v[208:209]
	v_add_f64 v[2:3], v[2:3], v[102:103]
	ds_read_b128 v[90:93], v1 offset:1776
	ds_read_b128 v[102:105], v1 offset:1792
	buffer_load_dword v121, off, s[0:3], 0 offset:908
	buffer_load_dword v120, off, s[0:3], 0 offset:904
	;; [unrolled: 1-line block ×4, first 2 shown]
	ds_read_b128 v[106:109], v1 offset:1808
	buffer_load_dword v236, off, s[0:3], 0 offset:920
	buffer_load_dword v237, off, s[0:3], 0 offset:924
	;; [unrolled: 1-line block ×4, first 2 shown]
	v_fma_f64 v[252:253], v[94:95], v[244:245], -v[96:97]
	ds_read_b128 v[110:113], v1 offset:1824
	buffer_load_dword v243, off, s[0:3], 0 offset:940
	buffer_load_dword v242, off, s[0:3], 0 offset:936
	;; [unrolled: 1-line block ×4, first 2 shown]
	s_waitcnt vmcnt(22) lgkmcnt(4)
	v_mul_f64 v[94:95], v[98:99], v[212:213]
	s_waitcnt vmcnt(20)
	v_fmac_f64_e32 v[94:95], v[100:101], v[214:215]
	v_add_f64 v[2:3], v[2:3], v[94:95]
	s_waitcnt vmcnt(17) lgkmcnt(3)
	v_mul_f64 v[94:95], v[90:91], v[218:219]
	s_waitcnt vmcnt(15)
	v_fmac_f64_e32 v[94:95], v[92:93], v[220:221]
	v_add_f64 v[2:3], v[2:3], v[94:95]
	;; [unrolled: 5-line block ×3, first 2 shown]
	v_add_f64 v[4:5], v[4:5], v[118:119]
	v_add_f64 v[118:119], v[4:5], v[246:247]
	;; [unrolled: 1-line block ×5, first 2 shown]
	v_accvgpr_read_b32 v6, a174
	v_accvgpr_read_b32 v7, a175
	v_mul_f64 v[6:7], v[128:129], v[6:7]
	v_fma_f64 v[6:7], v[126:127], v[8:9], -v[6:7]
	v_add_f64 v[4:5], v[4:5], v[6:7]
	v_mul_f64 v[6:7], v[124:125], v[142:143]
	v_fma_f64 v[6:7], v[122:123], v[146:147], -v[6:7]
	v_add_f64 v[4:5], v[4:5], v[6:7]
	v_accvgpr_read_b32 v6, a178
	v_accvgpr_read_b32 v7, a179
	;; [unrolled: 1-line block ×3, first 2 shown]
	v_mul_f64 v[6:7], v[16:17], v[6:7]
	v_accvgpr_read_b32 v9, a181
	v_fma_f64 v[6:7], v[14:15], v[8:9], -v[6:7]
	v_add_f64 v[4:5], v[4:5], v[6:7]
	v_mul_f64 v[6:7], v[20:21], v[150:151]
	v_fma_f64 v[6:7], v[18:19], v[154:155], -v[6:7]
	v_add_f64 v[4:5], v[4:5], v[6:7]
	v_accvgpr_read_b32 v6, a182
	v_accvgpr_read_b32 v7, a183
	;; [unrolled: 1-line block ×3, first 2 shown]
	v_mul_f64 v[6:7], v[24:25], v[6:7]
	v_accvgpr_read_b32 v9, a185
	v_fma_f64 v[6:7], v[22:23], v[8:9], -v[6:7]
	v_add_f64 v[4:5], v[4:5], v[6:7]
	v_mul_f64 v[6:7], v[28:29], v[158:159]
	v_fma_f64 v[6:7], v[26:27], v[160:161], -v[6:7]
	v_add_f64 v[4:5], v[4:5], v[6:7]
	v_mul_f64 v[6:7], v[32:33], v[232:233]
	;; [unrolled: 3-line block ×11, first 2 shown]
	v_fma_f64 v[6:7], v[66:67], v[190:191], -v[6:7]
	v_add_f64 v[4:5], v[4:5], v[6:7]
	s_waitcnt vmcnt(10) lgkmcnt(1)
	v_mul_f64 v[94:95], v[106:107], v[120:121]
	v_mul_f64 v[6:7], v[72:73], v[178:179]
	s_waitcnt vmcnt(8)
	v_fmac_f64_e32 v[94:95], v[108:109], v[234:235]
	v_add_f64 v[2:3], v[2:3], v[94:95]
	s_waitcnt vmcnt(6) lgkmcnt(0)
	v_mul_f64 v[94:95], v[110:111], v[236:237]
	s_waitcnt vmcnt(4)
	v_fmac_f64_e32 v[94:95], v[112:113], v[238:239]
	v_add_f64 v[2:3], v[2:3], v[94:95]
	ds_read_b128 v[94:97], v1 offset:1840
	v_fma_f64 v[6:7], v[70:71], v[188:189], -v[6:7]
	v_add_f64 v[4:5], v[4:5], v[6:7]
	v_mul_f64 v[6:7], v[76:77], v[192:193]
	v_fma_f64 v[6:7], v[74:75], v[196:197], -v[6:7]
	s_waitcnt vmcnt(2) lgkmcnt(0)
	v_mul_f64 v[248:249], v[94:95], v[242:243]
	s_waitcnt vmcnt(0)
	v_fmac_f64_e32 v[248:249], v[96:97], v[244:245]
	v_add_f64 v[2:3], v[2:3], v[248:249]
	buffer_load_dword v248, off, s[0:3], 0 offset:224
	buffer_load_dword v249, off, s[0:3], 0 offset:228
	;; [unrolled: 1-line block ×4, first 2 shown]
	v_add_f64 v[4:5], v[4:5], v[6:7]
	v_mul_f64 v[6:7], v[230:231], v[184:185]
	v_fma_f64 v[6:7], v[228:229], v[194:195], -v[6:7]
	v_add_f64 v[4:5], v[4:5], v[6:7]
	v_mul_f64 v[6:7], v[84:85], v[200:201]
	v_fma_f64 v[6:7], v[82:83], v[206:207], -v[6:7]
	;; [unrolled: 3-line block ×10, first 2 shown]
	v_add_f64 v[4:5], v[4:5], v[6:7]
	s_waitcnt vmcnt(2)
	v_add_f64 v[4:5], v[248:249], -v[4:5]
	s_waitcnt vmcnt(0)
	v_add_f64 v[2:3], v[246:247], -v[2:3]
	buffer_store_dword v5, off, s[0:3], 0 offset:228
	buffer_store_dword v4, off, s[0:3], 0 offset:224
	;; [unrolled: 1-line block ×4, first 2 shown]
	s_and_saveexec_b64 s[4:5], vcc
	s_cbranch_execz .LBB57_337
; %bb.336:
	v_accvgpr_read_b32 v1, a161
	buffer_load_dword v2, v1, s[0:3], 0 offen
	buffer_load_dword v3, v1, s[0:3], 0 offen offset:4
	buffer_load_dword v4, v1, s[0:3], 0 offen offset:8
	;; [unrolled: 1-line block ×3, first 2 shown]
	v_mov_b32_e32 v1, 0
	v_accvgpr_read_b32 v6, a173
	buffer_store_dword v1, off, s[0:3], 0 offset:208
	buffer_store_dword v1, off, s[0:3], 0 offset:212
	;; [unrolled: 1-line block ×4, first 2 shown]
	s_waitcnt vmcnt(4)
	ds_write_b128 v6, v[2:5]
.LBB57_337:
	s_or_b64 exec, exec, s[4:5]
	s_waitcnt lgkmcnt(0)
	; wave barrier
	s_waitcnt lgkmcnt(0)
	buffer_load_dword v56, off, s[0:3], 0 offset:224
	buffer_load_dword v57, off, s[0:3], 0 offset:228
	;; [unrolled: 1-line block ×36, first 2 shown]
	v_mov_b32_e32 v1, 0
	buffer_load_dword v87, off, s[0:3], 0 offset:396
	buffer_load_dword v86, off, s[0:3], 0 offset:392
	;; [unrolled: 1-line block ×18, first 2 shown]
	ds_read_b128 v[110:113], v1 offset:1136
	ds_read_b128 v[114:117], v1 offset:1152
	;; [unrolled: 1-line block ×9, first 2 shown]
	v_cmp_lt_u32_e32 vcc, 11, v0
	s_waitcnt vmcnt(50) lgkmcnt(8)
	v_mul_f64 v[2:3], v[110:111], v[58:59]
	v_fmac_f64_e32 v[2:3], v[112:113], v[56:57]
	v_add_f64 v[2:3], v[2:3], 0
	s_waitcnt vmcnt(46) lgkmcnt(7)
	v_mul_f64 v[4:5], v[114:115], v[54:55]
	v_fmac_f64_e32 v[4:5], v[116:117], v[52:53]
	v_add_f64 v[2:3], v[2:3], v[4:5]
	buffer_load_dword v105, off, s[0:3], 0 offset:452
	buffer_load_dword v104, off, s[0:3], 0 offset:448
	;; [unrolled: 1-line block ×8, first 2 shown]
	s_waitcnt vmcnt(52) lgkmcnt(6)
	v_mul_f64 v[6:7], v[194:195], v[50:51]
	s_waitcnt vmcnt(50) lgkmcnt(4)
	v_mul_f64 v[10:11], v[202:203], v[60:61]
	s_waitcnt vmcnt(48)
	v_fmac_f64_e32 v[10:11], v[204:205], v[210:211]
	v_mul_f64 v[50:51], v[196:197], v[50:51]
	s_waitcnt vmcnt(46)
	v_mul_f64 v[8:9], v[198:199], v[64:65]
	v_mul_f64 v[54:55], v[116:117], v[54:55]
	s_waitcnt vmcnt(44) lgkmcnt(2)
	v_mul_f64 v[14:15], v[212:213], v[74:75]
	v_fma_f64 v[216:217], v[114:115], v[52:53], -v[54:55]
	s_waitcnt vmcnt(42)
	v_fmac_f64_e32 v[14:15], v[214:215], v[72:73]
	s_waitcnt vmcnt(40)
	v_mul_f64 v[12:13], v[206:207], v[76:77]
	v_mul_f64 v[54:55], v[208:209], v[76:77]
	s_waitcnt vmcnt(38) lgkmcnt(1)
	v_mul_f64 v[16:17], v[218:219], v[68:69]
	s_waitcnt vmcnt(36)
	v_fmac_f64_e32 v[6:7], v[196:197], v[82:83]
	v_add_f64 v[2:3], v[2:3], v[6:7]
	s_waitcnt vmcnt(34)
	v_fmac_f64_e32 v[8:9], v[200:201], v[80:81]
	v_add_f64 v[2:3], v[2:3], v[8:9]
	;; [unrolled: 3-line block ×3, first 2 shown]
	v_add_f64 v[2:3], v[2:3], v[12:13]
	v_add_f64 v[2:3], v[2:3], v[14:15]
	s_waitcnt vmcnt(30)
	v_fmac_f64_e32 v[16:17], v[220:221], v[70:71]
	v_add_f64 v[2:3], v[2:3], v[16:17]
	v_fma_f64 v[82:83], v[194:195], v[82:83], -v[50:51]
	v_mul_f64 v[50:51], v[200:201], v[64:65]
	s_waitcnt vmcnt(0)
	v_pk_mov_b32 v[14:15], v[4:5], v[4:5] op_sel:[0,1]
	buffer_load_dword v5, off, s[0:3], 0 offset:484
	buffer_load_dword v4, off, s[0:3], 0 offset:480
	v_accvgpr_write_b32 a175, v15
	v_accvgpr_write_b32 a174, v14
	s_waitcnt vmcnt(0)
	v_pk_mov_b32 v[18:19], v[4:5], v[4:5] op_sel:[0,1]
	buffer_load_dword v107, off, s[0:3], 0 offset:476
	buffer_load_dword v106, off, s[0:3], 0 offset:472
	buffer_load_dword v109, off, s[0:3], 0 offset:468
	buffer_load_dword v108, off, s[0:3], 0 offset:464
	buffer_load_dword v5, off, s[0:3], 0 offset:524
	buffer_load_dword v4, off, s[0:3], 0 offset:520
	v_accvgpr_write_b32 a177, v19
	v_accvgpr_write_b32 a176, v18
	s_waitcnt vmcnt(0)
	v_pk_mov_b32 v[22:23], v[4:5], v[4:5] op_sel:[0,1]
	buffer_load_dword v5, off, s[0:3], 0 offset:516
	buffer_load_dword v4, off, s[0:3], 0 offset:512
	v_accvgpr_write_b32 a179, v23
	v_accvgpr_write_b32 a178, v22
	s_waitcnt vmcnt(0)
	v_pk_mov_b32 v[24:25], v[4:5], v[4:5] op_sel:[0,1]
	buffer_load_dword v139, off, s[0:3], 0 offset:508
	buffer_load_dword v138, off, s[0:3], 0 offset:504
	buffer_load_dword v143, off, s[0:3], 0 offset:500
	buffer_load_dword v142, off, s[0:3], 0 offset:496
	buffer_load_dword v5, off, s[0:3], 0 offset:556
	buffer_load_dword v4, off, s[0:3], 0 offset:552
	v_accvgpr_write_b32 a181, v25
	v_accvgpr_write_b32 a180, v24
	;; [unrolled: 16-line block ×3, first 2 shown]
	s_waitcnt vmcnt(0)
	v_pk_mov_b32 v[38:39], v[4:5], v[4:5] op_sel:[0,1]
	buffer_load_dword v5, off, s[0:3], 0 offset:580
	buffer_load_dword v4, off, s[0:3], 0 offset:576
	;; [unrolled: 1-line block ×30, first 2 shown]
	ds_read_b128 v[226:229], v1 offset:1280
	ds_read_b128 v[230:233], v1 offset:1296
	;; [unrolled: 1-line block ×11, first 2 shown]
	s_waitcnt lgkmcnt(4)
	v_mul_f64 v[8:9], v[250:251], v[106:107]
	v_fmac_f64_e32 v[8:9], v[252:253], v[108:109]
	s_waitcnt lgkmcnt(3)
	v_mul_f64 v[12:13], v[130:131], v[14:15]
	v_fmac_f64_e32 v[12:13], v[132:133], v[18:19]
	;; [unrolled: 3-line block ×4, first 2 shown]
	v_accvgpr_write_b32 a187, v39
	v_accvgpr_write_b32 a186, v38
	s_waitcnt vmcnt(28)
	v_pk_mov_b32 v[40:41], v[4:5], v[4:5] op_sel:[0,1]
	v_mul_f64 v[4:5], v[222:223], v[66:67]
	v_fmac_f64_e32 v[4:5], v[224:225], v[84:85]
	v_add_f64 v[2:3], v[2:3], v[4:5]
	v_mul_f64 v[4:5], v[226:227], v[90:91]
	v_fmac_f64_e32 v[4:5], v[228:229], v[92:93]
	v_add_f64 v[2:3], v[2:3], v[4:5]
	;; [unrolled: 3-line block ×7, first 2 shown]
	v_add_f64 v[10:11], v[6:7], v[8:9]
	v_add_f64 v[14:15], v[10:11], v[12:13]
	;; [unrolled: 1-line block ×4, first 2 shown]
	ds_read_b128 v[18:21], v1 offset:1456
	s_waitcnt lgkmcnt(1)
	v_mul_f64 v[24:25], v[118:119], v[146:147]
	v_fmac_f64_e32 v[24:25], v[120:121], v[150:151]
	v_add_f64 v[26:27], v[22:23], v[24:25]
	ds_read_b128 v[22:25], v1 offset:1472
	s_waitcnt lgkmcnt(1)
	v_mul_f64 v[28:29], v[18:19], v[30:31]
	v_fmac_f64_e32 v[28:29], v[20:21], v[32:33]
	v_add_f64 v[30:31], v[26:27], v[28:29]
	ds_read_b128 v[26:29], v1 offset:1488
	s_waitcnt vmcnt(26) lgkmcnt(1)
	v_mul_f64 v[32:33], v[22:23], v[154:155]
	s_waitcnt vmcnt(24)
	v_fmac_f64_e32 v[32:33], v[24:25], v[156:157]
	v_add_f64 v[34:35], v[30:31], v[32:33]
	ds_read_b128 v[30:33], v1 offset:1504
	s_waitcnt lgkmcnt(1)
	v_mul_f64 v[36:37], v[26:27], v[38:39]
	v_fmac_f64_e32 v[36:37], v[28:29], v[40:41]
	v_accvgpr_write_b32 a189, v41
	v_accvgpr_write_b32 a188, v40
	v_add_f64 v[38:39], v[34:35], v[36:37]
	ds_read_b128 v[34:37], v1 offset:1520
	s_waitcnt vmcnt(18) lgkmcnt(1)
	v_mul_f64 v[40:41], v[30:31], v[158:159]
	s_waitcnt vmcnt(16)
	v_fmac_f64_e32 v[40:41], v[32:33], v[160:161]
	v_add_f64 v[42:43], v[38:39], v[40:41]
	ds_read_b128 v[38:41], v1 offset:1536
	s_waitcnt lgkmcnt(1)
	v_mul_f64 v[44:45], v[34:35], v[134:135]
	v_fmac_f64_e32 v[44:45], v[36:37], v[136:137]
	v_add_f64 v[46:47], v[42:43], v[44:45]
	ds_read_b128 v[42:45], v1 offset:1552
	s_waitcnt vmcnt(10) lgkmcnt(1)
	v_mul_f64 v[48:49], v[38:39], v[162:163]
	s_waitcnt vmcnt(8)
	v_fmac_f64_e32 v[48:49], v[40:41], v[164:165]
	v_add_f64 v[172:173], v[46:47], v[48:49]
	ds_read_b128 v[46:49], v1 offset:1568
	buffer_load_dword v171, off, s[0:3], 0 offset:700
	buffer_load_dword v170, off, s[0:3], 0 offset:696
	;; [unrolled: 1-line block ×4, first 2 shown]
	s_waitcnt lgkmcnt(1)
	v_mul_f64 v[176:177], v[42:43], v[140:141]
	v_fmac_f64_e32 v[176:177], v[44:45], v[144:145]
	v_add_f64 v[2:3], v[172:173], v[176:177]
	buffer_load_dword v177, off, s[0:3], 0 offset:716
	buffer_load_dword v176, off, s[0:3], 0 offset:712
	;; [unrolled: 1-line block ×24, first 2 shown]
	v_mul_f64 v[8:9], v[204:205], v[60:61]
	v_fma_f64 v[10:11], v[198:199], v[80:81], -v[50:51]
	v_fma_f64 v[8:9], v[202:203], v[210:211], -v[8:9]
	buffer_load_dword v199, off, s[0:3], 0 offset:812
	buffer_load_dword v198, off, s[0:3], 0 offset:808
	;; [unrolled: 1-line block ×8, first 2 shown]
	ds_read_b128 v[50:53], v1 offset:1584
	buffer_load_dword v209, off, s[0:3], 0 offset:844
	buffer_load_dword v208, off, s[0:3], 0 offset:840
	;; [unrolled: 1-line block ×4, first 2 shown]
	v_mul_f64 v[12:13], v[214:215], v[74:75]
	v_mul_f64 v[4:5], v[112:113], v[58:59]
	v_fma_f64 v[6:7], v[206:207], v[78:79], -v[54:55]
	v_fma_f64 v[12:13], v[212:213], v[72:73], -v[12:13]
	buffer_load_dword v206, off, s[0:3], 0 offset:872
	buffer_load_dword v215, off, s[0:3], 0 offset:860
	;; [unrolled: 1-line block ×8, first 2 shown]
	v_fma_f64 v[14:15], v[110:111], v[56:57], -v[4:5]
	v_mul_f64 v[56:57], v[220:221], v[68:69]
	v_fma_f64 v[4:5], v[218:219], v[70:71], -v[56:57]
	buffer_load_dword v219, off, s[0:3], 0 offset:892
	buffer_load_dword v218, off, s[0:3], 0 offset:888
	buffer_load_dword v221, off, s[0:3], 0 offset:884
	buffer_load_dword v220, off, s[0:3], 0 offset:880
	s_waitcnt vmcnt(54) lgkmcnt(1)
	v_mul_f64 v[54:55], v[46:47], v[166:167]
	s_waitcnt vmcnt(52)
	v_fmac_f64_e32 v[54:55], v[48:49], v[168:169]
	v_add_f64 v[2:3], v[2:3], v[54:55]
	ds_read_b128 v[54:57], v1 offset:1600
	ds_read_b128 v[58:61], v1 offset:1616
	s_waitcnt lgkmcnt(2)
	v_mul_f64 v[16:17], v[50:51], v[148:149]
	v_fmac_f64_e32 v[16:17], v[52:53], v[152:153]
	v_add_f64 v[2:3], v[2:3], v[16:17]
	v_mul_f64 v[16:17], v[224:225], v[66:67]
	v_fma_f64 v[16:17], v[222:223], v[84:85], -v[16:17]
	v_mul_f64 v[70:71], v[232:233], v[86:87]
	v_fma_f64 v[232:233], v[230:231], v[88:89], -v[70:71]
	ds_read_b128 v[70:73], v1 offset:1664
	v_mul_f64 v[86:87], v[240:241], v[96:97]
	v_fma_f64 v[240:241], v[238:239], v[98:99], -v[86:87]
	v_mul_f64 v[86:87], v[244:245], v[254:255]
	v_fma_f64 v[254:255], v[242:243], v[62:63], -v[86:87]
	ds_read_b128 v[86:89], v1 offset:1728
	v_mul_f64 v[98:99], v[252:253], v[106:107]
	v_fma_f64 v[250:251], v[250:251], v[108:109], -v[98:99]
	v_add_f64 v[14:15], v[14:15], 0
	v_add_f64 v[14:15], v[14:15], v[216:217]
	;; [unrolled: 1-line block ×9, first 2 shown]
	v_accvgpr_read_b32 v6, a174
	v_accvgpr_read_b32 v7, a175
	;; [unrolled: 1-line block ×3, first 2 shown]
	v_mul_f64 v[6:7], v[132:133], v[6:7]
	v_accvgpr_read_b32 v9, a177
	v_fma_f64 v[6:7], v[130:131], v[8:9], -v[6:7]
	v_accvgpr_read_b32 v8, a180
	v_accvgpr_read_b32 v9, a181
	s_waitcnt vmcnt(50) lgkmcnt(3)
	v_mul_f64 v[66:67], v[54:55], v[170:171]
	s_waitcnt vmcnt(48)
	v_fmac_f64_e32 v[66:67], v[56:57], v[174:175]
	v_add_f64 v[2:3], v[2:3], v[66:67]
	v_mul_f64 v[66:67], v[228:229], v[90:91]
	v_fma_f64 v[84:85], v[226:227], v[92:93], -v[66:67]
	ds_read_b128 v[224:227], v1 offset:1632
	s_waitcnt vmcnt(46) lgkmcnt(3)
	v_mul_f64 v[66:67], v[58:59], v[176:177]
	s_waitcnt vmcnt(44)
	v_fmac_f64_e32 v[66:67], v[60:61], v[178:179]
	v_add_f64 v[2:3], v[2:3], v[66:67]
	ds_read_b128 v[66:69], v1 offset:1648
	s_waitcnt vmcnt(41) lgkmcnt(1)
	v_mul_f64 v[74:75], v[224:225], v[182:183]
	s_waitcnt vmcnt(39)
	v_fmac_f64_e32 v[74:75], v[226:227], v[186:187]
	v_add_f64 v[2:3], v[2:3], v[74:75]
	v_mul_f64 v[74:75], v[236:237], v[100:101]
	v_fma_f64 v[222:223], v[234:235], v[102:103], -v[74:75]
	ds_read_b128 v[74:77], v1 offset:1680
	s_waitcnt vmcnt(38) lgkmcnt(1)
	v_mul_f64 v[78:79], v[66:67], v[172:173]
	s_waitcnt vmcnt(36)
	v_fmac_f64_e32 v[78:79], v[68:69], v[184:185]
	v_add_f64 v[2:3], v[2:3], v[78:79]
	s_waitcnt vmcnt(33)
	v_mul_f64 v[78:79], v[70:71], v[190:191]
	s_waitcnt vmcnt(31)
	v_fmac_f64_e32 v[78:79], v[72:73], v[192:193]
	v_add_f64 v[2:3], v[2:3], v[78:79]
	s_waitcnt vmcnt(29) lgkmcnt(0)
	v_mul_f64 v[78:79], v[74:75], v[180:181]
	s_waitcnt vmcnt(28)
	v_fmac_f64_e32 v[78:79], v[76:77], v[188:189]
	v_add_f64 v[2:3], v[2:3], v[78:79]
	ds_read_b128 v[78:81], v1 offset:1696
	ds_read_b128 v[228:231], v1 offset:1712
	;; [unrolled: 1-line block ×3, first 2 shown]
	v_add_f64 v[4:5], v[4:5], v[84:85]
	v_add_f64 v[4:5], v[4:5], v[232:233]
	s_waitcnt vmcnt(26) lgkmcnt(2)
	v_mul_f64 v[90:91], v[78:79], v[194:195]
	s_waitcnt vmcnt(24)
	v_fmac_f64_e32 v[90:91], v[80:81], v[196:197]
	s_waitcnt vmcnt(22) lgkmcnt(1)
	v_mul_f64 v[62:63], v[228:229], v[198:199]
	v_add_f64 v[2:3], v[2:3], v[90:91]
	s_waitcnt vmcnt(20)
	v_fmac_f64_e32 v[62:63], v[230:231], v[202:203]
	v_add_f64 v[2:3], v[2:3], v[62:63]
	ds_read_b128 v[90:93], v1 offset:1744
	s_waitcnt vmcnt(18)
	v_mul_f64 v[62:63], v[86:87], v[200:201]
	s_waitcnt vmcnt(16)
	v_fmac_f64_e32 v[62:63], v[88:89], v[204:205]
	v_add_f64 v[2:3], v[2:3], v[62:63]
	v_mul_f64 v[62:63], v[248:249], v[94:95]
	ds_read_b128 v[94:97], v1 offset:1760
	v_fma_f64 v[246:247], v[246:247], v[104:105], -v[62:63]
	s_waitcnt vmcnt(14) lgkmcnt(1)
	v_mul_f64 v[62:63], v[90:91], v[208:209]
	s_waitcnt vmcnt(12)
	v_fmac_f64_e32 v[62:63], v[92:93], v[210:211]
	ds_read_b128 v[102:105], v1 offset:1792
	v_add_f64 v[2:3], v[2:3], v[62:63]
	s_waitcnt vmcnt(9) lgkmcnt(1)
	v_mul_f64 v[62:63], v[94:95], v[214:215]
	s_waitcnt vmcnt(7)
	v_fmac_f64_e32 v[62:63], v[96:97], v[64:65]
	v_add_f64 v[2:3], v[2:3], v[62:63]
	s_waitcnt vmcnt(5)
	v_mul_f64 v[62:63], v[98:99], v[206:207]
	s_waitcnt vmcnt(4)
	v_fmac_f64_e32 v[62:63], v[100:101], v[212:213]
	v_add_f64 v[2:3], v[2:3], v[62:63]
	s_waitcnt vmcnt(2) lgkmcnt(0)
	v_mul_f64 v[62:63], v[102:103], v[218:219]
	s_waitcnt vmcnt(0)
	v_fmac_f64_e32 v[62:63], v[104:105], v[220:221]
	v_add_f64 v[62:63], v[2:3], v[62:63]
	buffer_load_dword v2, off, s[0:3], 0 offset:904
	buffer_load_dword v3, off, s[0:3], 0 offset:908
	;; [unrolled: 1-line block ×4, first 2 shown]
	ds_read_b128 v[106:109], v1 offset:1808
	buffer_load_dword v237, off, s[0:3], 0 offset:924
	buffer_load_dword v236, off, s[0:3], 0 offset:920
	;; [unrolled: 1-line block ×4, first 2 shown]
	v_add_f64 v[4:5], v[4:5], v[222:223]
	v_add_f64 v[4:5], v[4:5], v[240:241]
	;; [unrolled: 1-line block ×6, first 2 shown]
	v_mul_f64 v[6:7], v[128:129], v[138:139]
	v_fma_f64 v[6:7], v[126:127], v[142:143], -v[6:7]
	v_add_f64 v[4:5], v[4:5], v[6:7]
	v_accvgpr_read_b32 v6, a178
	v_accvgpr_read_b32 v7, a179
	v_mul_f64 v[6:7], v[124:125], v[6:7]
	v_fma_f64 v[6:7], v[122:123], v[8:9], -v[6:7]
	v_add_f64 v[4:5], v[4:5], v[6:7]
	v_mul_f64 v[6:7], v[120:121], v[146:147]
	v_fma_f64 v[6:7], v[118:119], v[150:151], -v[6:7]
	v_add_f64 v[4:5], v[4:5], v[6:7]
	v_accvgpr_read_b32 v6, a182
	v_accvgpr_read_b32 v7, a183
	v_accvgpr_read_b32 v8, a184
	v_mul_f64 v[6:7], v[20:21], v[6:7]
	v_accvgpr_read_b32 v9, a185
	v_fma_f64 v[6:7], v[18:19], v[8:9], -v[6:7]
	v_add_f64 v[4:5], v[4:5], v[6:7]
	v_mul_f64 v[6:7], v[24:25], v[154:155]
	v_fma_f64 v[6:7], v[22:23], v[156:157], -v[6:7]
	v_add_f64 v[4:5], v[4:5], v[6:7]
	v_accvgpr_read_b32 v6, a186
	v_accvgpr_read_b32 v7, a187
	;; [unrolled: 1-line block ×3, first 2 shown]
	v_mul_f64 v[6:7], v[28:29], v[6:7]
	v_accvgpr_read_b32 v9, a189
	v_fma_f64 v[6:7], v[26:27], v[8:9], -v[6:7]
	v_add_f64 v[4:5], v[4:5], v[6:7]
	v_mul_f64 v[6:7], v[32:33], v[158:159]
	v_fma_f64 v[6:7], v[30:31], v[160:161], -v[6:7]
	v_add_f64 v[4:5], v[4:5], v[6:7]
	v_mul_f64 v[6:7], v[36:37], v[134:135]
	;; [unrolled: 3-line block ×14, first 2 shown]
	v_fma_f64 v[6:7], v[228:229], v[202:203], -v[6:7]
	s_waitcnt vmcnt(6) lgkmcnt(0)
	v_mul_f64 v[110:111], v[106:107], v[2:3]
	v_add_f64 v[4:5], v[4:5], v[6:7]
	s_waitcnt vmcnt(4)
	v_fmac_f64_e32 v[110:111], v[108:109], v[234:235]
	v_add_f64 v[62:63], v[62:63], v[110:111]
	ds_read_b128 v[110:113], v1 offset:1824
	buffer_load_dword v242, off, s[0:3], 0 offset:936
	buffer_load_dword v243, off, s[0:3], 0 offset:940
	;; [unrolled: 1-line block ×4, first 2 shown]
	v_mul_f64 v[6:7], v[88:89], v[200:201]
	v_fma_f64 v[6:7], v[86:87], v[204:205], -v[6:7]
	v_add_f64 v[4:5], v[4:5], v[6:7]
	s_waitcnt vmcnt(6) lgkmcnt(0)
	v_mul_f64 v[114:115], v[110:111], v[236:237]
	s_waitcnt vmcnt(4)
	v_fmac_f64_e32 v[114:115], v[112:113], v[238:239]
	v_add_f64 v[62:63], v[62:63], v[114:115]
	ds_read_b128 v[114:117], v1 offset:1840
	v_mul_f64 v[6:7], v[92:93], v[208:209]
	v_fma_f64 v[6:7], v[90:91], v[210:211], -v[6:7]
	v_add_f64 v[4:5], v[4:5], v[6:7]
	v_mul_f64 v[6:7], v[96:97], v[214:215]
	v_fma_f64 v[6:7], v[94:95], v[64:65], -v[6:7]
	v_add_f64 v[4:5], v[4:5], v[6:7]
	;; [unrolled: 3-line block ×3, first 2 shown]
	v_mul_f64 v[6:7], v[104:105], v[218:219]
	v_fma_f64 v[6:7], v[102:103], v[220:221], -v[6:7]
	v_mul_f64 v[2:3], v[108:109], v[2:3]
	v_add_f64 v[4:5], v[4:5], v[6:7]
	v_fma_f64 v[2:3], v[106:107], v[234:235], -v[2:3]
	v_add_f64 v[2:3], v[4:5], v[2:3]
	v_mul_f64 v[4:5], v[112:113], v[236:237]
	v_fma_f64 v[4:5], v[110:111], v[238:239], -v[4:5]
	v_add_f64 v[2:3], v[2:3], v[4:5]
	s_waitcnt vmcnt(2) lgkmcnt(0)
	v_mul_f64 v[248:249], v[114:115], v[242:243]
	v_mul_f64 v[4:5], v[116:117], v[242:243]
	s_waitcnt vmcnt(0)
	v_fmac_f64_e32 v[248:249], v[116:117], v[244:245]
	v_add_f64 v[62:63], v[62:63], v[248:249]
	buffer_load_dword v248, off, s[0:3], 0 offset:208
	buffer_load_dword v249, off, s[0:3], 0 offset:212
	;; [unrolled: 1-line block ×4, first 2 shown]
	v_fma_f64 v[4:5], v[114:115], v[244:245], -v[4:5]
	v_add_f64 v[2:3], v[2:3], v[4:5]
	s_waitcnt vmcnt(2)
	v_add_f64 v[2:3], v[248:249], -v[2:3]
	s_waitcnt vmcnt(0)
	v_add_f64 v[4:5], v[246:247], -v[62:63]
	buffer_store_dword v3, off, s[0:3], 0 offset:212
	buffer_store_dword v2, off, s[0:3], 0 offset:208
	buffer_store_dword v5, off, s[0:3], 0 offset:220
	buffer_store_dword v4, off, s[0:3], 0 offset:216
	s_and_saveexec_b64 s[4:5], vcc
	s_cbranch_execz .LBB57_339
; %bb.338:
	v_accvgpr_read_b32 v5, a162
	buffer_load_dword v2, v5, s[0:3], 0 offen
	buffer_load_dword v3, v5, s[0:3], 0 offen offset:4
	buffer_load_dword v4, v5, s[0:3], 0 offen offset:8
	s_nop 0
	buffer_load_dword v5, v5, s[0:3], 0 offen offset:12
	v_accvgpr_read_b32 v6, a173
	buffer_store_dword v1, off, s[0:3], 0 offset:192
	buffer_store_dword v1, off, s[0:3], 0 offset:196
	;; [unrolled: 1-line block ×4, first 2 shown]
	s_waitcnt vmcnt(4)
	ds_write_b128 v6, v[2:5]
.LBB57_339:
	s_or_b64 exec, exec, s[4:5]
	s_waitcnt lgkmcnt(0)
	; wave barrier
	s_waitcnt lgkmcnt(0)
	buffer_load_dword v60, off, s[0:3], 0 offset:208
	buffer_load_dword v61, off, s[0:3], 0 offset:212
	;; [unrolled: 1-line block ×42, first 2 shown]
	ds_read_b128 v[114:117], v1 offset:1120
	ds_read_b128 v[180:183], v1 offset:1136
	;; [unrolled: 1-line block ×10, first 2 shown]
	buffer_load_dword v247, off, s[0:3], 0 offset:356
	buffer_load_dword v246, off, s[0:3], 0 offset:352
	ds_read_b128 v[62:65], v1 offset:1280
	buffer_load_dword v101, off, s[0:3], 0 offset:412
	buffer_load_dword v100, off, s[0:3], 0 offset:408
	;; [unrolled: 1-line block ×6, first 2 shown]
	v_cmp_lt_u32_e32 vcc, 10, v0
	s_waitcnt vmcnt(46) lgkmcnt(10)
	v_mul_f64 v[2:3], v[114:115], v[66:67]
	v_fmac_f64_e32 v[2:3], v[116:117], v[60:61]
	v_add_f64 v[2:3], v[2:3], 0
	s_waitcnt vmcnt(42) lgkmcnt(9)
	v_mul_f64 v[4:5], v[180:181], v[58:59]
	v_fmac_f64_e32 v[4:5], v[182:183], v[50:51]
	v_add_f64 v[2:3], v[2:3], v[4:5]
	buffer_load_dword v249, off, s[0:3], 0 offset:388
	buffer_load_dword v248, off, s[0:3], 0 offset:384
	;; [unrolled: 1-line block ×20, first 2 shown]
	s_waitcnt vmcnt(60) lgkmcnt(8)
	v_mul_f64 v[6:7], v[184:185], v[52:53]
	s_waitcnt vmcnt(58) lgkmcnt(6)
	v_mul_f64 v[10:11], v[198:199], v[68:69]
	s_waitcnt vmcnt(56)
	v_fmac_f64_e32 v[10:11], v[200:201], v[70:71]
	v_mul_f64 v[58:59], v[182:183], v[58:59]
	s_waitcnt vmcnt(54)
	v_mul_f64 v[8:9], v[192:193], v[72:73]
	v_fma_f64 v[216:217], v[180:181], v[50:51], -v[58:59]
	s_waitcnt vmcnt(52) lgkmcnt(4)
	v_mul_f64 v[14:15], v[206:207], v[214:215]
	v_mul_f64 v[50:51], v[186:187], v[52:53]
	s_waitcnt vmcnt(50)
	v_fmac_f64_e32 v[14:15], v[208:209], v[76:77]
	s_waitcnt vmcnt(48)
	v_mul_f64 v[12:13], v[202:203], v[78:79]
	s_waitcnt vmcnt(46) lgkmcnt(2)
	v_mul_f64 v[18:19], v[218:219], v[82:83]
	s_waitcnt vmcnt(43)
	v_mul_f64 v[16:17], v[210:211], v[86:87]
	s_waitcnt vmcnt(41) lgkmcnt(1)
	v_mul_f64 v[20:21], v[54:55], v[80:81]
	s_waitcnt vmcnt(39)
	v_fmac_f64_e32 v[6:7], v[186:187], v[96:97]
	v_add_f64 v[2:3], v[2:3], v[6:7]
	s_waitcnt vmcnt(37)
	v_fmac_f64_e32 v[8:9], v[194:195], v[92:93]
	v_add_f64 v[2:3], v[2:3], v[8:9]
	;; [unrolled: 3-line block ×3, first 2 shown]
	v_add_f64 v[2:3], v[2:3], v[12:13]
	s_waitcnt vmcnt(33)
	v_fmac_f64_e32 v[16:17], v[212:213], v[88:89]
	v_add_f64 v[2:3], v[2:3], v[14:15]
	s_waitcnt vmcnt(32)
	v_fmac_f64_e32 v[18:19], v[220:221], v[84:85]
	v_add_f64 v[2:3], v[2:3], v[16:17]
	v_add_f64 v[2:3], v[2:3], v[18:19]
	v_fma_f64 v[96:97], v[184:185], v[96:97], -v[50:51]
	s_waitcnt vmcnt(26)
	v_fmac_f64_e32 v[20:21], v[56:57], v[246:247]
	v_add_f64 v[2:3], v[2:3], v[20:21]
	v_mul_f64 v[50:51], v[194:195], v[72:73]
	v_mul_f64 v[56:57], v[56:57], v[80:81]
	v_fma_f64 v[246:247], v[54:55], v[246:247], -v[56:57]
	s_waitcnt vmcnt(0)
	v_pk_mov_b32 v[18:19], v[4:5], v[4:5] op_sel:[0,1]
	buffer_load_dword v5, off, s[0:3], 0 offset:500
	buffer_load_dword v4, off, s[0:3], 0 offset:496
	v_accvgpr_write_b32 a175, v19
	v_accvgpr_write_b32 a174, v18
	s_waitcnt vmcnt(0)
	v_pk_mov_b32 v[22:23], v[4:5], v[4:5] op_sel:[0,1]
	buffer_load_dword v135, off, s[0:3], 0 offset:492
	buffer_load_dword v134, off, s[0:3], 0 offset:488
	buffer_load_dword v139, off, s[0:3], 0 offset:484
	buffer_load_dword v138, off, s[0:3], 0 offset:480
	buffer_load_dword v5, off, s[0:3], 0 offset:540
	buffer_load_dword v4, off, s[0:3], 0 offset:536
	v_accvgpr_write_b32 a177, v23
	v_accvgpr_write_b32 a176, v22
	s_waitcnt vmcnt(0)
	v_pk_mov_b32 v[26:27], v[4:5], v[4:5] op_sel:[0,1]
	buffer_load_dword v5, off, s[0:3], 0 offset:532
	buffer_load_dword v4, off, s[0:3], 0 offset:528
	v_accvgpr_write_b32 a179, v27
	v_accvgpr_write_b32 a178, v26
	s_waitcnt vmcnt(0)
	v_pk_mov_b32 v[28:29], v[4:5], v[4:5] op_sel:[0,1]
	buffer_load_dword v143, off, s[0:3], 0 offset:524
	buffer_load_dword v142, off, s[0:3], 0 offset:520
	buffer_load_dword v147, off, s[0:3], 0 offset:516
	buffer_load_dword v146, off, s[0:3], 0 offset:512
	buffer_load_dword v5, off, s[0:3], 0 offset:572
	buffer_load_dword v4, off, s[0:3], 0 offset:568
	v_accvgpr_write_b32 a181, v29
	v_accvgpr_write_b32 a180, v28
	;; [unrolled: 16-line block ×3, first 2 shown]
	s_waitcnt vmcnt(0)
	v_pk_mov_b32 v[42:43], v[4:5], v[4:5] op_sel:[0,1]
	buffer_load_dword v5, off, s[0:3], 0 offset:596
	buffer_load_dword v4, off, s[0:3], 0 offset:592
	;; [unrolled: 1-line block ×30, first 2 shown]
	ds_read_b128 v[222:225], v1 offset:1296
	ds_read_b128 v[226:229], v1 offset:1312
	;; [unrolled: 1-line block ×10, first 2 shown]
	s_waitcnt lgkmcnt(4)
	v_mul_f64 v[8:9], v[242:243], v[106:107]
	v_fmac_f64_e32 v[8:9], v[244:245], v[108:109]
	s_waitcnt lgkmcnt(3)
	v_mul_f64 v[12:13], v[130:131], v[134:135]
	v_fmac_f64_e32 v[12:13], v[132:133], v[138:139]
	;; [unrolled: 3-line block ×5, first 2 shown]
	v_accvgpr_write_b32 a187, v43
	v_accvgpr_write_b32 a186, v42
	s_waitcnt vmcnt(28)
	v_pk_mov_b32 v[44:45], v[4:5], v[4:5] op_sel:[0,1]
	v_mul_f64 v[4:5], v[62:63], v[94:95]
	v_fmac_f64_e32 v[4:5], v[64:65], v[98:99]
	v_add_f64 v[2:3], v[2:3], v[4:5]
	v_mul_f64 v[4:5], v[222:223], v[104:105]
	v_fmac_f64_e32 v[4:5], v[224:225], v[248:249]
	v_add_f64 v[2:3], v[2:3], v[4:5]
	;; [unrolled: 3-line block ×6, first 2 shown]
	v_add_f64 v[10:11], v[6:7], v[8:9]
	v_add_f64 v[14:15], v[10:11], v[12:13]
	;; [unrolled: 1-line block ×4, first 2 shown]
	ds_read_b128 v[18:21], v1 offset:1456
	v_add_f64 v[26:27], v[22:23], v[24:25]
	ds_read_b128 v[22:25], v1 offset:1472
	v_accvgpr_write_b32 a189, v45
	v_accvgpr_write_b32 a188, v44
	s_waitcnt lgkmcnt(1)
	v_mul_f64 v[28:29], v[18:19], v[150:151]
	v_fmac_f64_e32 v[28:29], v[20:21], v[154:155]
	v_add_f64 v[30:31], v[26:27], v[28:29]
	ds_read_b128 v[26:29], v1 offset:1488
	s_waitcnt lgkmcnt(1)
	v_mul_f64 v[32:33], v[22:23], v[34:35]
	v_fmac_f64_e32 v[32:33], v[24:25], v[36:37]
	v_add_f64 v[34:35], v[30:31], v[32:33]
	ds_read_b128 v[30:33], v1 offset:1504
	s_waitcnt vmcnt(26) lgkmcnt(1)
	v_mul_f64 v[36:37], v[26:27], v[158:159]
	s_waitcnt vmcnt(24)
	v_fmac_f64_e32 v[36:37], v[28:29], v[160:161]
	v_add_f64 v[38:39], v[34:35], v[36:37]
	ds_read_b128 v[34:37], v1 offset:1520
	s_waitcnt lgkmcnt(1)
	v_mul_f64 v[40:41], v[30:31], v[42:43]
	v_fmac_f64_e32 v[40:41], v[32:33], v[44:45]
	v_add_f64 v[46:47], v[38:39], v[40:41]
	ds_read_b128 v[38:41], v1 offset:1536
	ds_read_b128 v[42:45], v1 offset:1552
	s_waitcnt vmcnt(18) lgkmcnt(2)
	v_mul_f64 v[48:49], v[34:35], v[162:163]
	s_waitcnt vmcnt(16)
	v_fmac_f64_e32 v[48:49], v[36:37], v[164:165]
	v_add_f64 v[46:47], v[46:47], v[48:49]
	s_waitcnt lgkmcnt(1)
	v_mul_f64 v[48:49], v[38:39], v[136:137]
	v_fmac_f64_e32 v[48:49], v[40:41], v[140:141]
	v_add_f64 v[46:47], v[46:47], v[48:49]
	s_waitcnt vmcnt(10) lgkmcnt(0)
	v_mul_f64 v[48:49], v[42:43], v[166:167]
	s_waitcnt vmcnt(8)
	v_fmac_f64_e32 v[48:49], v[44:45], v[168:169]
	v_add_f64 v[2:3], v[46:47], v[48:49]
	ds_read_b128 v[46:49], v1 offset:1568
	buffer_load_dword v175, off, s[0:3], 0 offset:716
	buffer_load_dword v174, off, s[0:3], 0 offset:712
	;; [unrolled: 1-line block ×16, first 2 shown]
	v_fma_f64 v[10:11], v[192:193], v[92:93], -v[50:51]
	buffer_load_dword v182, off, s[0:3], 0 offset:792
	buffer_load_dword v195, off, s[0:3], 0 offset:780
	;; [unrolled: 1-line block ×8, first 2 shown]
	v_mul_f64 v[8:9], v[200:201], v[68:69]
	v_fma_f64 v[8:9], v[198:199], v[70:71], -v[8:9]
	buffer_load_dword v199, off, s[0:3], 0 offset:812
	buffer_load_dword v198, off, s[0:3], 0 offset:808
	;; [unrolled: 1-line block ×4, first 2 shown]
	v_mul_f64 v[12:13], v[208:209], v[214:215]
	v_mul_f64 v[50:51], v[204:205], v[78:79]
	v_fma_f64 v[12:13], v[206:207], v[76:77], -v[12:13]
	buffer_load_dword v204, off, s[0:3], 0 offset:824
	buffer_load_dword v206, off, s[0:3], 0 offset:816
	;; [unrolled: 1-line block ×4, first 2 shown]
	v_mul_f64 v[4:5], v[116:117], v[66:67]
	v_fma_f64 v[6:7], v[202:203], v[90:91], -v[50:51]
	v_mul_f64 v[50:51], v[212:213], v[86:87]
	v_fma_f64 v[14:15], v[114:115], v[60:61], -v[4:5]
	v_fma_f64 v[4:5], v[210:211], v[88:89], -v[50:51]
	buffer_load_dword v203, off, s[0:3], 0 offset:860
	buffer_load_dword v209, off, s[0:3], 0 offset:844
	;; [unrolled: 1-line block ×12, first 2 shown]
	v_mul_f64 v[16:17], v[220:221], v[82:83]
	ds_read_b128 v[50:53], v1 offset:1584
	v_fma_f64 v[16:17], v[218:219], v[84:85], -v[16:17]
	buffer_load_dword v218, off, s[0:3], 0 offset:888
	buffer_load_dword v220, off, s[0:3], 0 offset:880
	;; [unrolled: 1-line block ×4, first 2 shown]
	ds_read_b128 v[54:57], v1 offset:1600
	s_waitcnt lgkmcnt(2)
	v_mul_f64 v[58:59], v[46:47], v[144:145]
	v_fmac_f64_e32 v[58:59], v[48:49], v[148:149]
	v_add_f64 v[2:3], v[2:3], v[58:59]
	s_waitcnt vmcnt(50) lgkmcnt(1)
	v_mul_f64 v[58:59], v[50:51], v[170:171]
	s_waitcnt vmcnt(48)
	v_fmac_f64_e32 v[58:59], v[52:53], v[172:173]
	v_mul_f64 v[64:65], v[64:65], v[94:95]
	v_add_f64 v[2:3], v[2:3], v[58:59]
	v_fma_f64 v[94:95], v[62:63], v[98:99], -v[64:65]
	ds_read_b128 v[62:65], v1 offset:1632
	s_waitcnt lgkmcnt(1)
	v_mul_f64 v[58:59], v[54:55], v[152:153]
	v_fmac_f64_e32 v[58:59], v[56:57], v[156:157]
	v_add_f64 v[2:3], v[2:3], v[58:59]
	ds_read_b128 v[58:61], v1 offset:1616
	v_mul_f64 v[78:79], v[228:229], v[100:101]
	v_mul_f64 v[86:87], v[236:237], v[110:111]
	v_add_f64 v[14:15], v[14:15], 0
	v_add_f64 v[14:15], v[14:15], v[216:217]
	;; [unrolled: 1-line block ×11, first 2 shown]
	v_mul_f64 v[6:7], v[132:133], v[134:135]
	v_fma_f64 v[6:7], v[130:131], v[138:139], -v[6:7]
	v_accvgpr_read_b32 v8, a176
	v_accvgpr_read_b32 v9, a177
	s_waitcnt vmcnt(46) lgkmcnt(0)
	v_mul_f64 v[66:67], v[58:59], v[174:175]
	s_waitcnt vmcnt(44)
	v_fmac_f64_e32 v[66:67], v[60:61], v[178:179]
	v_add_f64 v[2:3], v[2:3], v[66:67]
	v_mul_f64 v[66:67], v[224:225], v[104:105]
	v_fma_f64 v[248:249], v[222:223], v[248:249], -v[66:67]
	ds_read_b128 v[66:69], v1 offset:1648
	s_waitcnt vmcnt(41)
	v_mul_f64 v[70:71], v[62:63], v[176:177]
	s_waitcnt vmcnt(40)
	v_fmac_f64_e32 v[70:71], v[64:65], v[180:181]
	v_add_f64 v[2:3], v[2:3], v[70:71]
	ds_read_b128 v[70:73], v1 offset:1664
	v_fma_f64 v[222:223], v[226:227], v[102:103], -v[78:79]
	s_waitcnt vmcnt(38) lgkmcnt(1)
	v_mul_f64 v[78:79], v[66:67], v[184:185]
	s_waitcnt vmcnt(36)
	v_fmac_f64_e32 v[78:79], v[68:69], v[188:189]
	ds_read_b128 v[224:227], v1 offset:1680
	v_add_f64 v[2:3], v[2:3], v[78:79]
	v_mul_f64 v[78:79], v[232:233], v[250:251]
	v_fma_f64 v[232:233], v[230:231], v[252:253], -v[78:79]
	ds_read_b128 v[78:81], v1 offset:1696
	s_waitcnt vmcnt(34) lgkmcnt(2)
	v_mul_f64 v[82:83], v[70:71], v[186:187]
	s_waitcnt vmcnt(32)
	v_fmac_f64_e32 v[82:83], v[72:73], v[190:191]
	v_add_f64 v[2:3], v[2:3], v[82:83]
	s_waitcnt vmcnt(29) lgkmcnt(1)
	v_mul_f64 v[82:83], v[224:225], v[194:195]
	s_waitcnt vmcnt(27)
	v_fmac_f64_e32 v[82:83], v[226:227], v[196:197]
	v_add_f64 v[2:3], v[2:3], v[82:83]
	;; [unrolled: 5-line block ×3, first 2 shown]
	ds_read_b128 v[82:85], v1 offset:1712
	v_fma_f64 v[250:251], v[234:235], v[112:113], -v[86:87]
	ds_read_b128 v[86:89], v1 offset:1728
	ds_read_b128 v[228:231], v1 offset:1760
	v_add_f64 v[4:5], v[4:5], v[248:249]
	s_waitcnt vmcnt(22) lgkmcnt(2)
	v_mul_f64 v[90:91], v[82:83], v[198:199]
	s_waitcnt vmcnt(20)
	v_fmac_f64_e32 v[90:91], v[84:85], v[200:201]
	v_add_f64 v[2:3], v[2:3], v[90:91]
	v_mul_f64 v[90:91], v[240:241], v[254:255]
	v_fma_f64 v[74:75], v[238:239], v[74:75], -v[90:91]
	ds_read_b128 v[90:93], v1 offset:1744
	s_waitcnt vmcnt(17) lgkmcnt(2)
	v_mul_f64 v[98:99], v[86:87], v[204:205]
	s_waitcnt vmcnt(16)
	v_fmac_f64_e32 v[98:99], v[88:89], v[206:207]
	v_add_f64 v[2:3], v[2:3], v[98:99]
	v_mul_f64 v[98:99], v[244:245], v[106:107]
	v_fma_f64 v[252:253], v[242:243], v[108:109], -v[98:99]
	ds_read_b128 v[98:101], v1 offset:1776
	s_waitcnt vmcnt(13) lgkmcnt(1)
	v_mul_f64 v[102:103], v[90:91], v[208:209]
	s_waitcnt vmcnt(11)
	v_fmac_f64_e32 v[102:103], v[92:93], v[214:215]
	v_add_f64 v[2:3], v[2:3], v[102:103]
	s_waitcnt vmcnt(10)
	v_mul_f64 v[102:103], v[228:229], v[202:203]
	s_waitcnt vmcnt(8)
	v_fmac_f64_e32 v[102:103], v[230:231], v[212:213]
	v_add_f64 v[2:3], v[2:3], v[102:103]
	s_waitcnt vmcnt(6) lgkmcnt(0)
	v_mul_f64 v[102:103], v[98:99], v[210:211]
	s_waitcnt vmcnt(4)
	v_fmac_f64_e32 v[102:103], v[100:101], v[76:77]
	v_add_f64 v[2:3], v[2:3], v[102:103]
	ds_read_b128 v[102:105], v1 offset:1792
	v_add_f64 v[4:5], v[4:5], v[222:223]
	v_add_f64 v[4:5], v[4:5], v[232:233]
	s_waitcnt vmcnt(1) lgkmcnt(0)
	v_mul_f64 v[106:107], v[102:103], v[218:219]
	s_waitcnt vmcnt(0)
	v_fmac_f64_e32 v[106:107], v[104:105], v[220:221]
	v_add_f64 v[110:111], v[2:3], v[106:107]
	buffer_load_dword v3, off, s[0:3], 0 offset:908
	buffer_load_dword v2, off, s[0:3], 0 offset:904
	;; [unrolled: 1-line block ×4, first 2 shown]
	ds_read_b128 v[106:109], v1 offset:1808
	buffer_load_dword v236, off, s[0:3], 0 offset:920
	buffer_load_dword v237, off, s[0:3], 0 offset:924
	;; [unrolled: 1-line block ×4, first 2 shown]
	s_waitcnt vmcnt(6) lgkmcnt(0)
	v_mul_f64 v[112:113], v[106:107], v[2:3]
	v_mul_f64 v[2:3], v[108:109], v[2:3]
	s_waitcnt vmcnt(4)
	v_fmac_f64_e32 v[112:113], v[108:109], v[234:235]
	v_add_f64 v[114:115], v[110:111], v[112:113]
	ds_read_b128 v[110:113], v1 offset:1824
	buffer_load_dword v243, off, s[0:3], 0 offset:940
	buffer_load_dword v242, off, s[0:3], 0 offset:936
	;; [unrolled: 1-line block ×4, first 2 shown]
	v_fma_f64 v[2:3], v[106:107], v[234:235], -v[2:3]
	s_waitcnt vmcnt(6) lgkmcnt(0)
	v_mul_f64 v[116:117], v[110:111], v[236:237]
	s_waitcnt vmcnt(4)
	v_fmac_f64_e32 v[116:117], v[112:113], v[238:239]
	v_add_f64 v[240:241], v[114:115], v[116:117]
	ds_read_b128 v[114:117], v1 offset:1840
	buffer_load_dword v248, off, s[0:3], 0 offset:192
	buffer_load_dword v249, off, s[0:3], 0 offset:196
	;; [unrolled: 1-line block ×4, first 2 shown]
	s_waitcnt vmcnt(6) lgkmcnt(0)
	v_mul_f64 v[254:255], v[114:115], v[242:243]
	s_waitcnt vmcnt(4)
	v_fmac_f64_e32 v[254:255], v[116:117], v[244:245]
	v_add_f64 v[240:241], v[240:241], v[254:255]
	v_add_f64 v[254:255], v[4:5], v[250:251]
	v_add_f64 v[4:5], v[254:255], v[74:75]
	v_add_f64 v[4:5], v[4:5], v[252:253]
	v_add_f64 v[4:5], v[4:5], v[6:7]
	v_accvgpr_read_b32 v6, a174
	v_accvgpr_read_b32 v7, a175
	v_mul_f64 v[6:7], v[128:129], v[6:7]
	v_fma_f64 v[6:7], v[126:127], v[8:9], -v[6:7]
	v_add_f64 v[4:5], v[4:5], v[6:7]
	v_mul_f64 v[6:7], v[124:125], v[142:143]
	v_fma_f64 v[6:7], v[122:123], v[146:147], -v[6:7]
	v_add_f64 v[4:5], v[4:5], v[6:7]
	v_accvgpr_read_b32 v6, a178
	v_accvgpr_read_b32 v7, a179
	v_accvgpr_read_b32 v8, a180
	v_mul_f64 v[6:7], v[120:121], v[6:7]
	v_accvgpr_read_b32 v9, a181
	v_fma_f64 v[6:7], v[118:119], v[8:9], -v[6:7]
	v_add_f64 v[4:5], v[4:5], v[6:7]
	v_mul_f64 v[6:7], v[20:21], v[150:151]
	v_fma_f64 v[6:7], v[18:19], v[154:155], -v[6:7]
	v_add_f64 v[4:5], v[4:5], v[6:7]
	v_accvgpr_read_b32 v6, a182
	v_accvgpr_read_b32 v7, a183
	v_accvgpr_read_b32 v8, a184
	v_mul_f64 v[6:7], v[24:25], v[6:7]
	v_accvgpr_read_b32 v9, a185
	;; [unrolled: 10-line block ×3, first 2 shown]
	v_fma_f64 v[6:7], v[30:31], v[8:9], -v[6:7]
	v_add_f64 v[4:5], v[4:5], v[6:7]
	v_mul_f64 v[6:7], v[36:37], v[162:163]
	v_fma_f64 v[6:7], v[34:35], v[164:165], -v[6:7]
	v_add_f64 v[4:5], v[4:5], v[6:7]
	v_mul_f64 v[6:7], v[40:41], v[136:137]
	;; [unrolled: 3-line block ×18, first 2 shown]
	v_fma_f64 v[6:7], v[102:103], v[220:221], -v[6:7]
	v_add_f64 v[4:5], v[4:5], v[6:7]
	v_add_f64 v[2:3], v[4:5], v[2:3]
	v_mul_f64 v[4:5], v[112:113], v[236:237]
	v_fma_f64 v[4:5], v[110:111], v[238:239], -v[4:5]
	v_add_f64 v[2:3], v[2:3], v[4:5]
	v_mul_f64 v[4:5], v[116:117], v[242:243]
	v_fma_f64 v[4:5], v[114:115], v[244:245], -v[4:5]
	v_add_f64 v[2:3], v[2:3], v[4:5]
	s_waitcnt vmcnt(2)
	v_add_f64 v[2:3], v[248:249], -v[2:3]
	s_waitcnt vmcnt(0)
	v_add_f64 v[4:5], v[246:247], -v[240:241]
	buffer_store_dword v3, off, s[0:3], 0 offset:196
	buffer_store_dword v2, off, s[0:3], 0 offset:192
	;; [unrolled: 1-line block ×4, first 2 shown]
	s_and_saveexec_b64 s[4:5], vcc
	s_cbranch_execz .LBB57_341
; %bb.340:
	v_accvgpr_read_b32 v1, a163
	buffer_load_dword v2, v1, s[0:3], 0 offen
	buffer_load_dword v3, v1, s[0:3], 0 offen offset:4
	buffer_load_dword v4, v1, s[0:3], 0 offen offset:8
	;; [unrolled: 1-line block ×3, first 2 shown]
	v_mov_b32_e32 v1, 0
	v_accvgpr_read_b32 v6, a173
	buffer_store_dword v1, off, s[0:3], 0 offset:176
	buffer_store_dword v1, off, s[0:3], 0 offset:180
	;; [unrolled: 1-line block ×4, first 2 shown]
	s_waitcnt vmcnt(4)
	ds_write_b128 v6, v[2:5]
.LBB57_341:
	s_or_b64 exec, exec, s[4:5]
	s_waitcnt lgkmcnt(0)
	; wave barrier
	s_waitcnt lgkmcnt(0)
	buffer_load_dword v48, off, s[0:3], 0 offset:192
	buffer_load_dword v49, off, s[0:3], 0 offset:196
	;; [unrolled: 1-line block ×42, first 2 shown]
	v_mov_b32_e32 v1, 0
	buffer_load_dword v99, off, s[0:3], 0 offset:340
	buffer_load_dword v98, off, s[0:3], 0 offset:336
	;; [unrolled: 1-line block ×7, first 2 shown]
	ds_read_b128 v[112:115], v1 offset:1104
	ds_read_b128 v[170:173], v1 offset:1120
	;; [unrolled: 1-line block ×11, first 2 shown]
	v_cmp_lt_u32_e32 vcc, 9, v0
	s_waitcnt vmcnt(45) lgkmcnt(10)
	v_mul_f64 v[2:3], v[112:113], v[52:53]
	v_fmac_f64_e32 v[2:3], v[114:115], v[48:49]
	v_add_f64 v[2:3], v[2:3], 0
	s_waitcnt vmcnt(41) lgkmcnt(9)
	v_mul_f64 v[4:5], v[170:171], v[54:55]
	v_fmac_f64_e32 v[4:5], v[172:173], v[50:51]
	v_add_f64 v[2:3], v[2:3], v[4:5]
	buffer_load_dword v96, off, s[0:3], 0 offset:376
	buffer_load_dword v117, off, s[0:3], 0 offset:372
	buffer_load_dword v116, off, s[0:3], 0 offset:368
	buffer_load_dword v109, off, s[0:3], 0 offset:428
	buffer_load_dword v108, off, s[0:3], 0 offset:424
	buffer_load_dword v111, off, s[0:3], 0 offset:420
	buffer_load_dword v110, off, s[0:3], 0 offset:416
	buffer_load_dword v251, off, s[0:3], 0 offset:412
	buffer_load_dword v250, off, s[0:3], 0 offset:408
	buffer_load_dword v253, off, s[0:3], 0 offset:404
	buffer_load_dword v252, off, s[0:3], 0 offset:400
	buffer_load_dword v101, off, s[0:3], 0 offset:460
	buffer_load_dword v100, off, s[0:3], 0 offset:456
	buffer_load_dword v103, off, s[0:3], 0 offset:452
	buffer_load_dword v102, off, s[0:3], 0 offset:448
	buffer_load_dword v255, off, s[0:3], 0 offset:444
	buffer_load_dword v254, off, s[0:3], 0 offset:440
	buffer_load_dword v71, off, s[0:3], 0 offset:436
	buffer_load_dword v70, off, s[0:3], 0 offset:432
	buffer_load_dword v5, off, s[0:3], 0 offset:492
	buffer_load_dword v4, off, s[0:3], 0 offset:488
	s_waitcnt vmcnt(60) lgkmcnt(8)
	v_mul_f64 v[6:7], v[178:179], v[46:47]
	s_waitcnt vmcnt(58) lgkmcnt(6)
	v_mul_f64 v[10:11], v[188:189], v[62:63]
	s_waitcnt vmcnt(56)
	v_fmac_f64_e32 v[10:11], v[190:191], v[56:57]
	v_mul_f64 v[46:47], v[180:181], v[46:47]
	s_waitcnt vmcnt(54)
	v_mul_f64 v[8:9], v[182:183], v[64:65]
	s_waitcnt vmcnt(52) lgkmcnt(4)
	v_mul_f64 v[14:15], v[198:199], v[66:67]
	s_waitcnt vmcnt(50)
	v_fmac_f64_e32 v[14:15], v[200:201], v[68:69]
	s_waitcnt vmcnt(48)
	v_mul_f64 v[12:13], v[194:195], v[206:207]
	s_waitcnt vmcnt(46) lgkmcnt(2)
	v_mul_f64 v[18:19], v[212:213], v[76:77]
	s_waitcnt vmcnt(43)
	v_mul_f64 v[16:17], v[202:203], v[78:79]
	s_waitcnt vmcnt(41) lgkmcnt(1)
	v_mul_f64 v[20:21], v[218:219], v[72:73]
	s_waitcnt vmcnt(39)
	v_fmac_f64_e32 v[6:7], v[180:181], v[90:91]
	v_add_f64 v[2:3], v[2:3], v[6:7]
	s_waitcnt vmcnt(37)
	v_fmac_f64_e32 v[8:9], v[184:185], v[88:89]
	v_add_f64 v[2:3], v[2:3], v[8:9]
	;; [unrolled: 3-line block ×3, first 2 shown]
	v_add_f64 v[2:3], v[2:3], v[12:13]
	v_add_f64 v[2:3], v[2:3], v[14:15]
	s_waitcnt vmcnt(33)
	v_fmac_f64_e32 v[16:17], v[204:205], v[80:81]
	v_add_f64 v[2:3], v[2:3], v[16:17]
	s_waitcnt vmcnt(32)
	v_fmac_f64_e32 v[18:19], v[214:215], v[74:75]
	;; [unrolled: 3-line block ×3, first 2 shown]
	v_add_f64 v[2:3], v[2:3], v[20:21]
	v_fma_f64 v[90:91], v[178:179], v[90:91], -v[46:47]
	v_mul_f64 v[46:47], v[184:185], v[64:65]
	s_waitcnt vmcnt(0)
	v_pk_mov_b32 v[14:15], v[4:5], v[4:5] op_sel:[0,1]
	buffer_load_dword v5, off, s[0:3], 0 offset:484
	buffer_load_dword v4, off, s[0:3], 0 offset:480
	v_accvgpr_write_b32 a175, v15
	v_accvgpr_write_b32 a174, v14
	s_waitcnt vmcnt(0)
	v_pk_mov_b32 v[16:17], v[4:5], v[4:5] op_sel:[0,1]
	buffer_load_dword v105, off, s[0:3], 0 offset:476
	buffer_load_dword v104, off, s[0:3], 0 offset:472
	buffer_load_dword v107, off, s[0:3], 0 offset:468
	buffer_load_dword v106, off, s[0:3], 0 offset:464
	buffer_load_dword v5, off, s[0:3], 0 offset:524
	buffer_load_dword v4, off, s[0:3], 0 offset:520
	v_accvgpr_write_b32 a177, v17
	v_accvgpr_write_b32 a176, v16
	s_waitcnt vmcnt(0)
	v_pk_mov_b32 v[22:23], v[4:5], v[4:5] op_sel:[0,1]
	buffer_load_dword v5, off, s[0:3], 0 offset:516
	buffer_load_dword v4, off, s[0:3], 0 offset:512
	v_accvgpr_write_b32 a179, v23
	v_accvgpr_write_b32 a178, v22
	s_waitcnt vmcnt(0)
	v_pk_mov_b32 v[24:25], v[4:5], v[4:5] op_sel:[0,1]
	buffer_load_dword v139, off, s[0:3], 0 offset:508
	buffer_load_dword v138, off, s[0:3], 0 offset:504
	buffer_load_dword v143, off, s[0:3], 0 offset:500
	buffer_load_dword v142, off, s[0:3], 0 offset:496
	buffer_load_dword v5, off, s[0:3], 0 offset:556
	buffer_load_dword v4, off, s[0:3], 0 offset:552
	v_accvgpr_write_b32 a181, v25
	v_accvgpr_write_b32 a180, v24
	;; [unrolled: 16-line block ×4, first 2 shown]
	s_waitcnt vmcnt(0)
	v_pk_mov_b32 v[174:175], v[4:5], v[4:5] op_sel:[0,1]
	buffer_load_dword v5, off, s[0:3], 0 offset:612
	buffer_load_dword v4, off, s[0:3], 0 offset:608
	;; [unrolled: 1-line block ×22, first 2 shown]
	ds_read_b128 v[222:225], v1 offset:1280
	ds_read_b128 v[226:229], v1 offset:1296
	ds_read_b128 v[230:233], v1 offset:1312
	ds_read_b128 v[234:237], v1 offset:1328
	ds_read_b128 v[238:241], v1 offset:1344
	ds_read_b128 v[242:245], v1 offset:1360
	ds_read_b128 v[246:249], v1 offset:1376
	ds_read_b128 v[134:137], v1 offset:1392
	ds_read_b128 v[130:133], v1 offset:1408
	ds_read_b128 v[126:129], v1 offset:1424
	ds_read_b128 v[122:125], v1 offset:1440
	ds_read_b128 v[118:121], v1 offset:1456
	s_waitcnt lgkmcnt(5)
	v_mul_f64 v[8:9], v[246:247], v[104:105]
	v_fmac_f64_e32 v[8:9], v[248:249], v[106:107]
	s_waitcnt lgkmcnt(4)
	v_mul_f64 v[12:13], v[134:135], v[14:15]
	v_fmac_f64_e32 v[12:13], v[136:137], v[16:17]
	;; [unrolled: 3-line block ×6, first 2 shown]
	v_accvgpr_write_b32 a191, v175
	v_accvgpr_write_b32 a190, v174
	s_waitcnt vmcnt(20)
	v_pk_mov_b32 v[176:177], v[4:5], v[4:5] op_sel:[0,1]
	v_mul_f64 v[4:5], v[58:59], v[84:85]
	v_fmac_f64_e32 v[4:5], v[60:61], v[86:87]
	v_add_f64 v[2:3], v[2:3], v[4:5]
	v_mul_f64 v[4:5], v[222:223], v[96:97]
	v_fmac_f64_e32 v[4:5], v[224:225], v[116:117]
	v_add_f64 v[2:3], v[2:3], v[4:5]
	;; [unrolled: 3-line block ×7, first 2 shown]
	v_add_f64 v[10:11], v[6:7], v[8:9]
	v_add_f64 v[14:15], v[10:11], v[12:13]
	;; [unrolled: 1-line block ×5, first 2 shown]
	ds_read_b128 v[22:25], v1 offset:1472
	v_add_f64 v[30:31], v[26:27], v[28:29]
	ds_read_b128 v[26:29], v1 offset:1488
	v_mul_f64 v[4:5], v[114:115], v[52:53]
	v_accvgpr_write_b32 a193, v177
	s_waitcnt lgkmcnt(1)
	v_mul_f64 v[32:33], v[22:23], v[154:155]
	v_fmac_f64_e32 v[32:33], v[24:25], v[156:157]
	s_waitcnt lgkmcnt(0)
	v_mul_f64 v[36:37], v[26:27], v[38:39]
	v_add_f64 v[34:35], v[30:31], v[32:33]
	ds_read_b128 v[30:33], v1 offset:1504
	v_fmac_f64_e32 v[36:37], v[28:29], v[40:41]
	v_add_f64 v[38:39], v[34:35], v[36:37]
	ds_read_b128 v[34:37], v1 offset:1520
	v_fma_f64 v[18:19], v[112:113], v[48:49], -v[4:5]
	s_waitcnt vmcnt(18) lgkmcnt(1)
	v_mul_f64 v[40:41], v[30:31], v[158:159]
	s_waitcnt vmcnt(16)
	v_fmac_f64_e32 v[40:41], v[32:33], v[160:161]
	v_add_f64 v[42:43], v[38:39], v[40:41]
	s_waitcnt lgkmcnt(0)
	v_mul_f64 v[44:45], v[34:35], v[174:175]
	v_fmac_f64_e32 v[44:45], v[36:37], v[176:177]
	v_mul_f64 v[48:49], v[172:173], v[54:55]
	ds_read_b128 v[38:41], v1 offset:1536
	v_accvgpr_write_b32 a192, v176
	v_add_f64 v[2:3], v[42:43], v[44:45]
	ds_read_b128 v[42:45], v1 offset:1552
	v_fma_f64 v[112:113], v[170:171], v[50:51], -v[48:49]
	buffer_load_dword v171, off, s[0:3], 0 offset:700
	buffer_load_dword v170, off, s[0:3], 0 offset:696
	;; [unrolled: 1-line block ×8, first 2 shown]
	v_fma_f64 v[14:15], v[182:183], v[88:89], -v[46:47]
	buffer_load_dword v179, off, s[0:3], 0 offset:748
	buffer_load_dword v183, off, s[0:3], 0 offset:732
	;; [unrolled: 1-line block ×8, first 2 shown]
	v_mul_f64 v[8:9], v[190:191], v[62:63]
	v_fma_f64 v[10:11], v[188:189], v[56:57], -v[8:9]
	buffer_load_dword v180, off, s[0:3], 0 offset:776
	buffer_load_dword v191, off, s[0:3], 0 offset:764
	;; [unrolled: 1-line block ×8, first 2 shown]
	v_mul_f64 v[50:51], v[196:197], v[206:207]
	ds_read_b128 v[46:49], v1 offset:1568
	v_fma_f64 v[8:9], v[194:195], v[82:83], -v[50:51]
	buffer_load_dword v195, off, s[0:3], 0 offset:796
	buffer_load_dword v194, off, s[0:3], 0 offset:792
	;; [unrolled: 1-line block ×4, first 2 shown]
	v_mul_f64 v[12:13], v[200:201], v[66:67]
	v_fma_f64 v[12:13], v[198:199], v[68:69], -v[12:13]
	buffer_load_dword v198, off, s[0:3], 0 offset:808
	buffer_load_dword v200, off, s[0:3], 0 offset:800
	;; [unrolled: 1-line block ×4, first 2 shown]
	v_mul_f64 v[50:51], v[204:205], v[78:79]
	buffer_load_dword v205, off, s[0:3], 0 offset:828
	buffer_load_dword v204, off, s[0:3], 0 offset:824
	;; [unrolled: 1-line block ×8, first 2 shown]
	v_mul_f64 v[16:17], v[214:215], v[76:77]
	v_fma_f64 v[6:7], v[202:203], v[80:81], -v[50:51]
	v_fma_f64 v[16:17], v[212:213], v[74:75], -v[16:17]
	buffer_load_dword v202, off, s[0:3], 0 offset:872
	buffer_load_dword v215, off, s[0:3], 0 offset:860
	;; [unrolled: 1-line block ×8, first 2 shown]
	s_waitcnt vmcnt(58) lgkmcnt(2)
	v_mul_f64 v[52:53], v[38:39], v[162:163]
	s_waitcnt vmcnt(56)
	v_fmac_f64_e32 v[52:53], v[40:41], v[164:165]
	v_mul_f64 v[50:51], v[220:221], v[72:73]
	v_add_f64 v[2:3], v[2:3], v[52:53]
	v_fma_f64 v[218:219], v[218:219], v[98:99], -v[50:51]
	ds_read_b128 v[50:53], v1 offset:1584
	s_waitcnt lgkmcnt(2)
	v_mul_f64 v[54:55], v[42:43], v[140:141]
	v_fmac_f64_e32 v[54:55], v[44:45], v[144:145]
	v_add_f64 v[2:3], v[2:3], v[54:55]
	s_waitcnt vmcnt(50) lgkmcnt(1)
	v_mul_f64 v[54:55], v[46:47], v[166:167]
	s_waitcnt vmcnt(48)
	v_fmac_f64_e32 v[54:55], v[48:49], v[168:169]
	v_mul_f64 v[60:61], v[60:61], v[84:85]
	v_add_f64 v[2:3], v[2:3], v[54:55]
	v_fma_f64 v[220:221], v[58:59], v[86:87], -v[60:61]
	ds_read_b128 v[58:61], v1 offset:1616
	s_waitcnt lgkmcnt(1)
	v_mul_f64 v[54:55], v[50:51], v[148:149]
	v_fmac_f64_e32 v[54:55], v[52:53], v[152:153]
	v_add_f64 v[2:3], v[2:3], v[54:55]
	ds_read_b128 v[54:57], v1 offset:1600
	v_mul_f64 v[74:75], v[232:233], v[250:251]
	v_fma_f64 v[252:253], v[230:231], v[252:253], -v[74:75]
	ds_read_b128 v[74:77], v1 offset:1680
	v_mul_f64 v[72:73], v[228:229], v[92:93]
	v_fma_f64 v[92:93], v[226:227], v[94:95], -v[72:73]
	ds_read_b128 v[82:85], v1 offset:1712
	ds_read_b128 v[86:89], v1 offset:1728
	;; [unrolled: 1-line block ×4, first 2 shown]
	v_add_f64 v[18:19], v[18:19], 0
	v_add_f64 v[18:19], v[18:19], v[112:113]
	;; [unrolled: 1-line block ×11, first 2 shown]
	v_accvgpr_read_b32 v8, a176
	v_accvgpr_read_b32 v9, a177
	s_waitcnt vmcnt(46) lgkmcnt(5)
	v_mul_f64 v[62:63], v[54:55], v[170:171]
	s_waitcnt vmcnt(44)
	v_fmac_f64_e32 v[62:63], v[56:57], v[176:177]
	v_add_f64 v[2:3], v[2:3], v[62:63]
	v_mul_f64 v[62:63], v[224:225], v[96:97]
	ds_read_b128 v[94:97], v1 offset:1760
	v_fma_f64 v[222:223], v[222:223], v[116:117], -v[62:63]
	ds_read_b128 v[62:65], v1 offset:1632
	s_waitcnt vmcnt(41)
	v_mul_f64 v[66:67], v[58:59], v[172:173]
	s_waitcnt vmcnt(40)
	v_fmac_f64_e32 v[66:67], v[60:61], v[174:175]
	v_add_f64 v[2:3], v[2:3], v[66:67]
	ds_read_b128 v[66:69], v1 offset:1648
	ds_read_b128 v[224:227], v1 offset:1664
	s_waitcnt vmcnt(37) lgkmcnt(2)
	v_mul_f64 v[72:73], v[62:63], v[182:183]
	s_waitcnt vmcnt(35)
	v_fmac_f64_e32 v[72:73], v[64:65], v[184:185]
	v_add_f64 v[2:3], v[2:3], v[72:73]
	s_waitcnt vmcnt(34) lgkmcnt(1)
	v_mul_f64 v[72:73], v[66:67], v[178:179]
	s_waitcnt vmcnt(32)
	v_fmac_f64_e32 v[72:73], v[68:69], v[186:187]
	v_add_f64 v[2:3], v[2:3], v[72:73]
	;; [unrolled: 5-line block ×3, first 2 shown]
	s_waitcnt vmcnt(25)
	v_mul_f64 v[72:73], v[74:75], v[180:181]
	s_waitcnt vmcnt(24)
	v_fmac_f64_e32 v[72:73], v[76:77], v[188:189]
	v_add_f64 v[2:3], v[2:3], v[72:73]
	v_mul_f64 v[72:73], v[236:237], v[108:109]
	v_fma_f64 v[250:251], v[234:235], v[110:111], -v[72:73]
	s_waitcnt vmcnt(22)
	v_mul_f64 v[72:73], v[78:79], v[194:195]
	s_waitcnt vmcnt(20)
	v_fmac_f64_e32 v[72:73], v[80:81], v[196:197]
	v_add_f64 v[2:3], v[2:3], v[72:73]
	v_mul_f64 v[72:73], v[240:241], v[254:255]
	s_waitcnt vmcnt(17)
	v_mul_f64 v[20:21], v[82:83], v[198:199]
	v_fma_f64 v[4:5], v[238:239], v[70:71], -v[72:73]
	s_waitcnt vmcnt(16)
	v_fmac_f64_e32 v[20:21], v[84:85], v[200:201]
	s_waitcnt vmcnt(14)
	v_mul_f64 v[70:71], v[86:87], v[204:205]
	v_add_f64 v[2:3], v[2:3], v[20:21]
	v_mul_f64 v[20:21], v[244:245], v[100:101]
	s_waitcnt vmcnt(12)
	v_fmac_f64_e32 v[70:71], v[88:89], v[208:209]
	ds_read_b128 v[98:101], v1 offset:1776
	v_add_f64 v[2:3], v[2:3], v[70:71]
	s_waitcnt vmcnt(10)
	v_mul_f64 v[70:71], v[228:229], v[206:207]
	s_waitcnt vmcnt(8)
	v_fmac_f64_e32 v[70:71], v[230:231], v[210:211]
	v_add_f64 v[2:3], v[2:3], v[70:71]
	s_waitcnt vmcnt(5)
	v_mul_f64 v[70:71], v[94:95], v[214:215]
	s_waitcnt vmcnt(3)
	v_fmac_f64_e32 v[70:71], v[96:97], v[216:217]
	v_add_f64 v[2:3], v[2:3], v[70:71]
	s_waitcnt vmcnt(1) lgkmcnt(0)
	v_mul_f64 v[70:71], v[98:99], v[202:203]
	s_waitcnt vmcnt(0)
	v_fmac_f64_e32 v[70:71], v[100:101], v[212:213]
	v_add_f64 v[70:71], v[2:3], v[70:71]
	buffer_load_dword v3, off, s[0:3], 0 offset:892
	buffer_load_dword v2, off, s[0:3], 0 offset:888
	;; [unrolled: 1-line block ×4, first 2 shown]
	v_fma_f64 v[20:21], v[242:243], v[102:103], -v[20:21]
	v_mul_f64 v[72:73], v[248:249], v[104:105]
	ds_read_b128 v[102:105], v1 offset:1792
	buffer_load_dword v110, off, s[0:3], 0 offset:904
	buffer_load_dword v111, off, s[0:3], 0 offset:908
	;; [unrolled: 1-line block ×4, first 2 shown]
	v_fma_f64 v[254:255], v[246:247], v[106:107], -v[72:73]
	ds_read_b128 v[106:109], v1 offset:1808
	buffer_load_dword v237, off, s[0:3], 0 offset:924
	buffer_load_dword v236, off, s[0:3], 0 offset:920
	;; [unrolled: 1-line block ×4, first 2 shown]
	v_add_f64 v[6:7], v[6:7], v[222:223]
	v_add_f64 v[6:7], v[6:7], v[92:93]
	;; [unrolled: 1-line block ×5, first 2 shown]
	v_accvgpr_read_b32 v6, a174
	v_accvgpr_read_b32 v7, a175
	v_add_f64 v[252:253], v[4:5], v[20:21]
	v_mul_f64 v[6:7], v[136:137], v[6:7]
	v_add_f64 v[4:5], v[252:253], v[254:255]
	v_fma_f64 v[6:7], v[134:135], v[8:9], -v[6:7]
	v_add_f64 v[4:5], v[4:5], v[6:7]
	v_mul_f64 v[6:7], v[132:133], v[138:139]
	v_fma_f64 v[6:7], v[130:131], v[142:143], -v[6:7]
	v_add_f64 v[4:5], v[4:5], v[6:7]
	v_accvgpr_read_b32 v6, a178
	v_accvgpr_read_b32 v7, a179
	v_accvgpr_read_b32 v8, a180
	v_mul_f64 v[6:7], v[128:129], v[6:7]
	v_accvgpr_read_b32 v9, a181
	v_fma_f64 v[6:7], v[126:127], v[8:9], -v[6:7]
	v_add_f64 v[4:5], v[4:5], v[6:7]
	v_mul_f64 v[6:7], v[124:125], v[146:147]
	v_fma_f64 v[6:7], v[122:123], v[150:151], -v[6:7]
	v_add_f64 v[4:5], v[4:5], v[6:7]
	v_accvgpr_read_b32 v6, a182
	v_accvgpr_read_b32 v7, a183
	v_accvgpr_read_b32 v8, a184
	v_mul_f64 v[6:7], v[120:121], v[6:7]
	v_accvgpr_read_b32 v9, a185
	;; [unrolled: 10-line block ×4, first 2 shown]
	v_fma_f64 v[6:7], v[34:35], v[8:9], -v[6:7]
	v_add_f64 v[4:5], v[4:5], v[6:7]
	v_mul_f64 v[6:7], v[40:41], v[162:163]
	v_fma_f64 v[6:7], v[38:39], v[164:165], -v[6:7]
	v_add_f64 v[4:5], v[4:5], v[6:7]
	v_mul_f64 v[6:7], v[44:45], v[140:141]
	;; [unrolled: 3-line block ×6, first 2 shown]
	v_fma_f64 v[6:7], v[58:59], v[174:175], -v[6:7]
	v_add_f64 v[4:5], v[4:5], v[6:7]
	s_waitcnt vmcnt(10) lgkmcnt(1)
	v_mul_f64 v[72:73], v[102:103], v[2:3]
	v_mul_f64 v[6:7], v[64:65], v[182:183]
	s_waitcnt vmcnt(8)
	v_fmac_f64_e32 v[72:73], v[104:105], v[232:233]
	v_add_f64 v[70:71], v[70:71], v[72:73]
	s_waitcnt vmcnt(6) lgkmcnt(0)
	v_mul_f64 v[72:73], v[106:107], v[110:111]
	v_fma_f64 v[6:7], v[62:63], v[184:185], -v[6:7]
	s_waitcnt vmcnt(4)
	v_fmac_f64_e32 v[72:73], v[108:109], v[234:235]
	v_add_f64 v[114:115], v[70:71], v[72:73]
	ds_read_b128 v[70:73], v1 offset:1824
	buffer_load_dword v242, off, s[0:3], 0 offset:936
	buffer_load_dword v243, off, s[0:3], 0 offset:940
	buffer_load_dword v244, off, s[0:3], 0 offset:928
	buffer_load_dword v245, off, s[0:3], 0 offset:932
	v_add_f64 v[4:5], v[4:5], v[6:7]
	v_mul_f64 v[6:7], v[68:69], v[178:179]
	v_fma_f64 v[6:7], v[66:67], v[186:187], -v[6:7]
	s_waitcnt vmcnt(6) lgkmcnt(0)
	v_mul_f64 v[116:117], v[70:71], v[236:237]
	s_waitcnt vmcnt(4)
	v_fmac_f64_e32 v[116:117], v[72:73], v[238:239]
	v_add_f64 v[240:241], v[114:115], v[116:117]
	ds_read_b128 v[114:117], v1 offset:1840
	buffer_load_dword v248, off, s[0:3], 0 offset:176
	buffer_load_dword v249, off, s[0:3], 0 offset:180
	v_add_f64 v[4:5], v[4:5], v[6:7]
	v_mul_f64 v[6:7], v[226:227], v[190:191]
	v_fma_f64 v[6:7], v[224:225], v[192:193], -v[6:7]
	v_add_f64 v[4:5], v[4:5], v[6:7]
	v_mul_f64 v[6:7], v[76:77], v[180:181]
	v_fma_f64 v[6:7], v[74:75], v[188:189], -v[6:7]
	;; [unrolled: 3-line block ×8, first 2 shown]
	v_mul_f64 v[2:3], v[104:105], v[2:3]
	v_add_f64 v[4:5], v[4:5], v[6:7]
	v_fma_f64 v[2:3], v[102:103], v[232:233], -v[2:3]
	v_add_f64 v[2:3], v[4:5], v[2:3]
	v_mul_f64 v[4:5], v[108:109], v[110:111]
	v_fma_f64 v[4:5], v[106:107], v[234:235], -v[4:5]
	v_add_f64 v[2:3], v[2:3], v[4:5]
	v_mul_f64 v[4:5], v[72:73], v[236:237]
	v_fma_f64 v[4:5], v[70:71], v[238:239], -v[4:5]
	v_add_f64 v[2:3], v[2:3], v[4:5]
	s_waitcnt vmcnt(4) lgkmcnt(0)
	v_mul_f64 v[246:247], v[114:115], v[242:243]
	v_mul_f64 v[4:5], v[116:117], v[242:243]
	s_waitcnt vmcnt(2)
	v_fmac_f64_e32 v[246:247], v[116:117], v[244:245]
	v_add_f64 v[240:241], v[240:241], v[246:247]
	buffer_load_dword v246, off, s[0:3], 0 offset:184
	buffer_load_dword v247, off, s[0:3], 0 offset:188
	v_fma_f64 v[4:5], v[114:115], v[244:245], -v[4:5]
	v_add_f64 v[2:3], v[2:3], v[4:5]
	s_waitcnt vmcnt(2)
	v_add_f64 v[2:3], v[248:249], -v[2:3]
	s_waitcnt vmcnt(0)
	v_add_f64 v[4:5], v[246:247], -v[240:241]
	buffer_store_dword v3, off, s[0:3], 0 offset:180
	buffer_store_dword v2, off, s[0:3], 0 offset:176
	;; [unrolled: 1-line block ×4, first 2 shown]
	s_and_saveexec_b64 s[4:5], vcc
	s_cbranch_execz .LBB57_343
; %bb.342:
	v_accvgpr_read_b32 v5, a164
	buffer_load_dword v2, v5, s[0:3], 0 offen
	buffer_load_dword v3, v5, s[0:3], 0 offen offset:4
	buffer_load_dword v4, v5, s[0:3], 0 offen offset:8
	s_nop 0
	buffer_load_dword v5, v5, s[0:3], 0 offen offset:12
	v_accvgpr_read_b32 v6, a173
	buffer_store_dword v1, off, s[0:3], 0 offset:160
	buffer_store_dword v1, off, s[0:3], 0 offset:164
	;; [unrolled: 1-line block ×4, first 2 shown]
	s_waitcnt vmcnt(4)
	ds_write_b128 v6, v[2:5]
.LBB57_343:
	s_or_b64 exec, exec, s[4:5]
	s_waitcnt lgkmcnt(0)
	; wave barrier
	s_waitcnt lgkmcnt(0)
	buffer_load_dword v42, off, s[0:3], 0 offset:176
	buffer_load_dword v43, off, s[0:3], 0 offset:180
	;; [unrolled: 1-line block ×42, first 2 shown]
	ds_read_b128 v[110:113], v1 offset:1088
	ds_read_b128 v[114:117], v1 offset:1104
	;; [unrolled: 1-line block ×10, first 2 shown]
	buffer_load_dword v213, off, s[0:3], 0 offset:324
	buffer_load_dword v212, off, s[0:3], 0 offset:320
	ds_read_b128 v[50:53], v1 offset:1248
	buffer_load_dword v89, off, s[0:3], 0 offset:380
	buffer_load_dword v88, off, s[0:3], 0 offset:376
	;; [unrolled: 1-line block ×8, first 2 shown]
	v_cmp_lt_u32_e32 vcc, 8, v0
	s_waitcnt vmcnt(48) lgkmcnt(10)
	v_mul_f64 v[2:3], v[110:111], v[48:49]
	v_fmac_f64_e32 v[2:3], v[112:113], v[42:43]
	v_add_f64 v[2:3], v[2:3], 0
	s_waitcnt vmcnt(44) lgkmcnt(9)
	v_mul_f64 v[4:5], v[114:115], v[54:55]
	v_fmac_f64_e32 v[4:5], v[116:117], v[44:45]
	v_add_f64 v[2:3], v[2:3], v[4:5]
	buffer_load_dword v107, off, s[0:3], 0 offset:412
	buffer_load_dword v106, off, s[0:3], 0 offset:408
	;; [unrolled: 1-line block ×26, first 2 shown]
	s_waitcnt vmcnt(62) lgkmcnt(8)
	v_mul_f64 v[6:7], v[174:175], v[46:47]
	s_waitcnt lgkmcnt(6)
	v_mul_f64 v[10:11], v[186:187], v[58:59]
	v_fmac_f64_e32 v[10:11], v[188:189], v[56:57]
	v_mul_f64 v[46:47], v[176:177], v[46:47]
	v_mul_f64 v[8:9], v[178:179], v[60:61]
	s_waitcnt vmcnt(60) lgkmcnt(4)
	v_mul_f64 v[14:15], v[194:195], v[62:63]
	s_waitcnt vmcnt(58)
	v_fmac_f64_e32 v[14:15], v[196:197], v[64:65]
	s_waitcnt vmcnt(56)
	v_mul_f64 v[12:13], v[190:191], v[206:207]
	s_waitcnt vmcnt(54) lgkmcnt(2)
	v_mul_f64 v[18:19], v[202:203], v[68:69]
	s_waitcnt vmcnt(51)
	v_mul_f64 v[16:17], v[198:199], v[74:75]
	s_waitcnt vmcnt(49) lgkmcnt(1)
	v_mul_f64 v[20:21], v[208:209], v[72:73]
	s_waitcnt vmcnt(47)
	v_fmac_f64_e32 v[6:7], v[176:177], v[82:83]
	v_add_f64 v[2:3], v[2:3], v[6:7]
	s_waitcnt vmcnt(45)
	v_fmac_f64_e32 v[8:9], v[180:181], v[80:81]
	v_add_f64 v[2:3], v[2:3], v[8:9]
	;; [unrolled: 3-line block ×3, first 2 shown]
	v_add_f64 v[2:3], v[2:3], v[12:13]
	s_waitcnt vmcnt(41)
	v_fmac_f64_e32 v[16:17], v[200:201], v[76:77]
	v_add_f64 v[2:3], v[2:3], v[14:15]
	s_waitcnt vmcnt(40)
	v_fmac_f64_e32 v[18:19], v[204:205], v[70:71]
	v_add_f64 v[2:3], v[2:3], v[16:17]
	v_add_f64 v[2:3], v[2:3], v[18:19]
	s_waitcnt vmcnt(34)
	v_fmac_f64_e32 v[20:21], v[210:211], v[212:213]
	v_add_f64 v[2:3], v[2:3], v[20:21]
	s_waitcnt vmcnt(0)
	v_pk_mov_b32 v[18:19], v[4:5], v[4:5] op_sel:[0,1]
	buffer_load_dword v5, off, s[0:3], 0 offset:500
	buffer_load_dword v7, off, s[0:3], 0 offset:492
	;; [unrolled: 1-line block ×3, first 2 shown]
	v_accvgpr_write_b32 a179, v19
	v_accvgpr_write_b32 a178, v18
	s_waitcnt vmcnt(0)
	v_pk_mov_b32 v[14:15], v[6:7], v[6:7] op_sel:[0,1]
	buffer_load_dword v7, off, s[0:3], 0 offset:484
	buffer_load_dword v6, off, s[0:3], 0 offset:480
	;; [unrolled: 1-line block ×3, first 2 shown]
	v_accvgpr_write_b32 a175, v15
	v_accvgpr_write_b32 a174, v14
	s_waitcnt vmcnt(1)
	v_pk_mov_b32 v[16:17], v[6:7], v[6:7] op_sel:[0,1]
	s_waitcnt vmcnt(0)
	v_pk_mov_b32 v[22:23], v[4:5], v[4:5] op_sel:[0,1]
	buffer_load_dword v5, off, s[0:3], 0 offset:540
	buffer_load_dword v4, off, s[0:3], 0 offset:536
	v_accvgpr_write_b32 a177, v17
	v_accvgpr_write_b32 a176, v16
	;; [unrolled: 1-line block ×4, first 2 shown]
	s_waitcnt vmcnt(0)
	v_pk_mov_b32 v[26:27], v[4:5], v[4:5] op_sel:[0,1]
	buffer_load_dword v5, off, s[0:3], 0 offset:532
	buffer_load_dword v141, off, s[0:3], 0 offset:524
	buffer_load_dword v140, off, s[0:3], 0 offset:520
	buffer_load_dword v145, off, s[0:3], 0 offset:516
	buffer_load_dword v144, off, s[0:3], 0 offset:512
	buffer_load_dword v4, off, s[0:3], 0 offset:528
	v_accvgpr_write_b32 a183, v27
	v_accvgpr_write_b32 a182, v26
	s_waitcnt vmcnt(0)
	v_pk_mov_b32 v[28:29], v[4:5], v[4:5] op_sel:[0,1]
	buffer_load_dword v5, off, s[0:3], 0 offset:572
	buffer_load_dword v4, off, s[0:3], 0 offset:568
	v_accvgpr_write_b32 a185, v29
	v_accvgpr_write_b32 a184, v28
	s_waitcnt vmcnt(0)
	v_pk_mov_b32 v[34:35], v[4:5], v[4:5] op_sel:[0,1]
	buffer_load_dword v5, off, s[0:3], 0 offset:564
	buffer_load_dword v149, off, s[0:3], 0 offset:556
	;; [unrolled: 1-line block ×6, first 2 shown]
	v_accvgpr_write_b32 a187, v35
	v_accvgpr_write_b32 a186, v34
	s_waitcnt vmcnt(0)
	v_pk_mov_b32 v[36:37], v[4:5], v[4:5] op_sel:[0,1]
	buffer_load_dword v5, off, s[0:3], 0 offset:604
	buffer_load_dword v4, off, s[0:3], 0 offset:600
	v_accvgpr_write_b32 a189, v37
	v_accvgpr_write_b32 a188, v36
	s_waitcnt vmcnt(0)
	v_pk_mov_b32 v[38:39], v[4:5], v[4:5] op_sel:[0,1]
	buffer_load_dword v5, off, s[0:3], 0 offset:596
	buffer_load_dword v153, off, s[0:3], 0 offset:588
	;; [unrolled: 1-line block ×20, first 2 shown]
	ds_read_b128 v[218:221], v1 offset:1264
	ds_read_b128 v[222:225], v1 offset:1280
	;; [unrolled: 1-line block ×12, first 2 shown]
	s_waitcnt lgkmcnt(4)
	v_mul_f64 v[8:9], v[246:247], v[98:99]
	v_fmac_f64_e32 v[8:9], v[248:249], v[100:101]
	s_waitcnt lgkmcnt(3)
	v_mul_f64 v[12:13], v[134:135], v[14:15]
	v_fmac_f64_e32 v[12:13], v[136:137], v[16:17]
	;; [unrolled: 3-line block ×3, first 2 shown]
	s_waitcnt lgkmcnt(1)
	v_mul_f64 v[20:21], v[126:127], v[140:141]
	ds_read_b128 v[118:121], v1 offset:1456
	v_fmac_f64_e32 v[20:21], v[128:129], v[144:145]
	s_waitcnt lgkmcnt(1)
	v_mul_f64 v[24:25], v[122:123], v[26:27]
	v_fmac_f64_e32 v[24:25], v[124:125], v[28:29]
	v_accvgpr_write_b32 a191, v39
	v_accvgpr_write_b32 a190, v38
	v_mul_f64 v[98:99], v[248:249], v[98:99]
	s_waitcnt vmcnt(14)
	v_pk_mov_b32 v[40:41], v[4:5], v[4:5] op_sel:[0,1]
	v_mul_f64 v[4:5], v[50:51], v[84:85]
	v_fmac_f64_e32 v[4:5], v[52:53], v[86:87]
	v_add_f64 v[2:3], v[2:3], v[4:5]
	v_mul_f64 v[4:5], v[218:219], v[96:97]
	v_fmac_f64_e32 v[4:5], v[220:221], v[250:251]
	v_add_f64 v[2:3], v[2:3], v[4:5]
	;; [unrolled: 3-line block ×8, first 2 shown]
	v_add_f64 v[10:11], v[6:7], v[8:9]
	v_add_f64 v[14:15], v[10:11], v[12:13]
	;; [unrolled: 1-line block ×5, first 2 shown]
	ds_read_b128 v[22:25], v1 offset:1472
	s_waitcnt lgkmcnt(1)
	v_mul_f64 v[28:29], v[118:119], v[148:149]
	v_fmac_f64_e32 v[28:29], v[120:121], v[150:151]
	v_add_f64 v[30:31], v[26:27], v[28:29]
	ds_read_b128 v[26:29], v1 offset:1488
	s_waitcnt lgkmcnt(1)
	v_mul_f64 v[32:33], v[22:23], v[34:35]
	v_fmac_f64_e32 v[32:33], v[24:25], v[36:37]
	v_add_f64 v[34:35], v[30:31], v[32:33]
	;; [unrolled: 5-line block ×3, first 2 shown]
	ds_read_b128 v[34:37], v1 offset:1520
	s_waitcnt lgkmcnt(1)
	v_mul_f64 v[166:167], v[30:31], v[38:39]
	v_accvgpr_write_b32 a193, v41
	v_fmac_f64_e32 v[166:167], v[32:33], v[40:41]
	v_accvgpr_write_b32 a192, v40
	ds_read_b128 v[38:41], v1 offset:1536
	v_add_f64 v[164:165], v[164:165], v[166:167]
	s_waitcnt vmcnt(9) lgkmcnt(1)
	v_mul_f64 v[166:167], v[34:35], v[156:157]
	s_waitcnt vmcnt(7)
	v_fmac_f64_e32 v[166:167], v[36:37], v[160:161]
	v_add_f64 v[164:165], v[164:165], v[166:167]
	s_waitcnt lgkmcnt(0)
	v_mul_f64 v[166:167], v[38:39], v[138:139]
	s_waitcnt vmcnt(6)
	v_fmac_f64_e32 v[166:167], v[40:41], v[142:143]
	v_add_f64 v[2:3], v[164:165], v[166:167]
	buffer_load_dword v167, off, s[0:3], 0 offset:660
	buffer_load_dword v166, off, s[0:3], 0 offset:656
	;; [unrolled: 1-line block ×10, first 2 shown]
	v_mul_f64 v[4:5], v[112:113], v[48:49]
	v_fma_f64 v[18:19], v[110:111], v[42:43], -v[4:5]
	v_mul_f64 v[42:43], v[116:117], v[54:55]
	v_fma_f64 v[110:111], v[114:115], v[44:45], -v[42:43]
	ds_read_b128 v[42:45], v1 offset:1552
	v_fma_f64 v[112:113], v[174:175], v[82:83], -v[46:47]
	v_mul_f64 v[46:47], v[180:181], v[60:61]
	buffer_load_dword v175, off, s[0:3], 0 offset:716
	buffer_load_dword v174, off, s[0:3], 0 offset:712
	;; [unrolled: 1-line block ×4, first 2 shown]
	v_fma_f64 v[14:15], v[178:179], v[80:81], -v[46:47]
	buffer_load_dword v179, off, s[0:3], 0 offset:732
	buffer_load_dword v178, off, s[0:3], 0 offset:728
	;; [unrolled: 1-line block ×8, first 2 shown]
	v_mul_f64 v[8:9], v[188:189], v[58:59]
	v_fma_f64 v[10:11], v[186:187], v[56:57], -v[8:9]
	buffer_load_dword v186, off, s[0:3], 0 offset:760
	v_mul_f64 v[46:47], v[192:193], v[206:207]
	v_fma_f64 v[8:9], v[190:191], v[78:79], -v[46:47]
	buffer_load_dword v190, off, s[0:3], 0 offset:752
	buffer_load_dword v187, off, s[0:3], 0 offset:764
	;; [unrolled: 1-line block ×3, first 2 shown]
	v_mul_f64 v[12:13], v[196:197], v[62:63]
	v_fma_f64 v[12:13], v[194:195], v[64:65], -v[12:13]
	buffer_load_dword v188, off, s[0:3], 0 offset:792
	buffer_load_dword v195, off, s[0:3], 0 offset:780
	;; [unrolled: 1-line block ×8, first 2 shown]
	v_mul_f64 v[48:49], v[200:201], v[74:75]
	v_fma_f64 v[6:7], v[198:199], v[76:77], -v[48:49]
	buffer_load_dword v199, off, s[0:3], 0 offset:812
	buffer_load_dword v198, off, s[0:3], 0 offset:808
	;; [unrolled: 1-line block ×4, first 2 shown]
	v_mul_f64 v[16:17], v[204:205], v[68:69]
	buffer_load_dword v205, off, s[0:3], 0 offset:828
	buffer_load_dword v204, off, s[0:3], 0 offset:824
	;; [unrolled: 1-line block ×4, first 2 shown]
	v_mul_f64 v[48:49], v[210:211], v[72:73]
	v_fma_f64 v[16:17], v[202:203], v[70:71], -v[16:17]
	v_fma_f64 v[4:5], v[208:209], v[212:213], -v[48:49]
	buffer_load_dword v202, off, s[0:3], 0 offset:856
	buffer_load_dword v211, off, s[0:3], 0 offset:844
	;; [unrolled: 1-line block ×12, first 2 shown]
	s_waitcnt vmcnt(56) lgkmcnt(0)
	v_mul_f64 v[46:47], v[42:43], v[158:159]
	s_waitcnt vmcnt(54)
	v_fmac_f64_e32 v[46:47], v[44:45], v[162:163]
	v_add_f64 v[2:3], v[2:3], v[46:47]
	ds_read_b128 v[46:49], v1 offset:1568
	v_mul_f64 v[20:21], v[52:53], v[84:85]
	v_fma_f64 v[20:21], v[50:51], v[86:87], -v[20:21]
	ds_read_b128 v[50:53], v1 offset:1584
	v_mul_f64 v[54:55], v[220:221], v[96:97]
	v_fma_f64 v[250:251], v[218:219], v[250:251], -v[54:55]
	ds_read_b128 v[54:57], v1 offset:1600
	s_waitcnt lgkmcnt(2)
	v_mul_f64 v[58:59], v[46:47], v[146:147]
	v_mul_f64 v[62:63], v[224:225], v[88:89]
	v_fma_f64 v[218:219], v[222:223], v[90:91], -v[62:63]
	ds_read_b128 v[62:65], v1 offset:1632
	v_mul_f64 v[72:73], v[228:229], v[252:253]
	v_fma_f64 v[254:255], v[226:227], v[254:255], -v[72:73]
	v_mul_f64 v[74:75], v[232:233], v[106:107]
	v_fma_f64 v[232:233], v[230:231], v[108:109], -v[74:75]
	ds_read_b128 v[78:81], v1 offset:1696
	v_mul_f64 v[66:67], v[236:237], v[66:67]
	v_fma_f64 v[214:215], v[234:235], v[214:215], -v[66:67]
	ds_read_b128 v[86:89], v1 offset:1728
	v_mul_f64 v[90:91], v[244:245], v[102:103]
	v_fma_f64 v[252:253], v[246:247], v[100:101], -v[98:99]
	v_add_f64 v[18:19], v[18:19], 0
	v_add_f64 v[18:19], v[18:19], v[110:111]
	v_add_f64 v[18:19], v[18:19], v[112:113]
	ds_read_b128 v[224:227], v1 offset:1648
	v_add_f64 v[14:15], v[18:19], v[14:15]
	v_add_f64 v[10:11], v[14:15], v[10:11]
	v_add_f64 v[8:9], v[10:11], v[8:9]
	v_add_f64 v[8:9], v[8:9], v[12:13]
	v_add_f64 v[6:7], v[8:9], v[6:7]
	v_add_f64 v[6:7], v[6:7], v[16:17]
	v_add_f64 v[4:5], v[6:7], v[4:5]
	v_add_f64 v[4:5], v[4:5], v[20:21]
	v_add_f64 v[4:5], v[4:5], v[250:251]
	v_add_f64 v[4:5], v[4:5], v[218:219]
	ds_read_b128 v[74:77], v1 offset:1680
	v_add_f64 v[4:5], v[4:5], v[254:255]
	v_add_f64 v[4:5], v[4:5], v[232:233]
	;; [unrolled: 1-line block ×3, first 2 shown]
	v_accvgpr_read_b32 v6, a176
	v_accvgpr_read_b32 v7, a177
	ds_read_b128 v[98:101], v1 offset:1776
	s_waitcnt vmcnt(52)
	v_fmac_f64_e32 v[58:59], v[48:49], v[166:167]
	v_add_f64 v[2:3], v[2:3], v[58:59]
	s_waitcnt vmcnt(49) lgkmcnt(7)
	v_mul_f64 v[58:59], v[50:51], v[170:171]
	s_waitcnt vmcnt(47)
	v_fmac_f64_e32 v[58:59], v[52:53], v[172:173]
	v_add_f64 v[2:3], v[2:3], v[58:59]
	s_waitcnt vmcnt(45) lgkmcnt(6)
	v_mul_f64 v[58:59], v[54:55], v[164:165]
	s_waitcnt vmcnt(44)
	v_fmac_f64_e32 v[58:59], v[56:57], v[168:169]
	v_add_f64 v[2:3], v[2:3], v[58:59]
	ds_read_b128 v[58:61], v1 offset:1616
	s_waitcnt vmcnt(42) lgkmcnt(0)
	v_mul_f64 v[70:71], v[58:59], v[174:175]
	s_waitcnt vmcnt(40)
	v_fmac_f64_e32 v[70:71], v[60:61], v[176:177]
	v_add_f64 v[2:3], v[2:3], v[70:71]
	s_waitcnt vmcnt(38)
	v_mul_f64 v[70:71], v[62:63], v[178:179]
	s_waitcnt vmcnt(36)
	v_fmac_f64_e32 v[70:71], v[64:65], v[182:183]
	v_add_f64 v[2:3], v[2:3], v[70:71]
	s_waitcnt vmcnt(34)
	v_mul_f64 v[70:71], v[224:225], v[180:181]
	s_waitcnt vmcnt(32)
	v_fmac_f64_e32 v[70:71], v[226:227], v[184:185]
	v_add_f64 v[2:3], v[2:3], v[70:71]
	ds_read_b128 v[70:73], v1 offset:1664
	s_waitcnt vmcnt(25)
	v_mul_f64 v[66:67], v[74:75], v[194:195]
	s_waitcnt vmcnt(23)
	v_fmac_f64_e32 v[66:67], v[76:77], v[196:197]
	s_waitcnt lgkmcnt(0)
	v_mul_f64 v[82:83], v[70:71], v[186:187]
	v_fmac_f64_e32 v[82:83], v[72:73], v[190:191]
	v_add_f64 v[2:3], v[2:3], v[82:83]
	ds_read_b128 v[82:85], v1 offset:1712
	v_add_f64 v[2:3], v[2:3], v[66:67]
	s_waitcnt vmcnt(21)
	v_mul_f64 v[66:67], v[78:79], v[188:189]
	s_waitcnt vmcnt(20)
	v_fmac_f64_e32 v[66:67], v[80:81], v[192:193]
	v_add_f64 v[66:67], v[2:3], v[66:67]
	v_mul_f64 v[2:3], v[240:241], v[92:93]
	v_fma_f64 v[2:3], v[238:239], v[94:95], -v[2:3]
	s_waitcnt vmcnt(18) lgkmcnt(0)
	v_mul_f64 v[94:95], v[82:83], v[198:199]
	s_waitcnt vmcnt(16)
	v_fmac_f64_e32 v[94:95], v[84:85], v[200:201]
	v_fma_f64 v[240:241], v[242:243], v[104:105], -v[90:91]
	ds_read_b128 v[90:93], v1 offset:1744
	v_add_f64 v[66:67], v[66:67], v[94:95]
	s_waitcnt vmcnt(14)
	v_mul_f64 v[94:95], v[86:87], v[204:205]
	s_waitcnt vmcnt(12)
	v_fmac_f64_e32 v[94:95], v[88:89], v[206:207]
	v_add_f64 v[66:67], v[66:67], v[94:95]
	ds_read_b128 v[94:97], v1 offset:1760
	s_waitcnt vmcnt(9) lgkmcnt(1)
	v_mul_f64 v[102:103], v[90:91], v[210:211]
	s_waitcnt vmcnt(7)
	v_fmac_f64_e32 v[102:103], v[92:93], v[68:69]
	v_add_f64 v[66:67], v[66:67], v[102:103]
	v_add_f64 v[254:255], v[4:5], v[2:3]
	s_waitcnt vmcnt(5) lgkmcnt(0)
	v_mul_f64 v[102:103], v[94:95], v[202:203]
	s_waitcnt vmcnt(4)
	v_fmac_f64_e32 v[102:103], v[96:97], v[208:209]
	v_add_f64 v[66:67], v[66:67], v[102:103]
	s_waitcnt vmcnt(2)
	v_mul_f64 v[102:103], v[98:99], v[212:213]
	s_waitcnt vmcnt(0)
	v_fmac_f64_e32 v[102:103], v[100:101], v[216:217]
	v_add_f64 v[106:107], v[66:67], v[102:103]
	buffer_load_dword v66, off, s[0:3], 0 offset:888
	buffer_load_dword v67, off, s[0:3], 0 offset:892
	;; [unrolled: 1-line block ×4, first 2 shown]
	ds_read_b128 v[102:105], v1 offset:1792
	buffer_load_dword v223, off, s[0:3], 0 offset:908
	buffer_load_dword v222, off, s[0:3], 0 offset:904
	;; [unrolled: 1-line block ×4, first 2 shown]
	v_accvgpr_read_b32 v4, a174
	v_accvgpr_read_b32 v5, a175
	v_add_f64 v[2:3], v[254:255], v[240:241]
	v_mul_f64 v[4:5], v[136:137], v[4:5]
	v_add_f64 v[2:3], v[2:3], v[252:253]
	v_fma_f64 v[4:5], v[134:135], v[6:7], -v[4:5]
	v_add_f64 v[2:3], v[2:3], v[4:5]
	v_accvgpr_read_b32 v4, a178
	v_accvgpr_read_b32 v5, a179
	v_accvgpr_read_b32 v6, a180
	v_mul_f64 v[4:5], v[132:133], v[4:5]
	v_accvgpr_read_b32 v7, a181
	v_fma_f64 v[4:5], v[130:131], v[6:7], -v[4:5]
	v_add_f64 v[2:3], v[2:3], v[4:5]
	v_mul_f64 v[4:5], v[128:129], v[140:141]
	v_fma_f64 v[4:5], v[126:127], v[144:145], -v[4:5]
	v_add_f64 v[2:3], v[2:3], v[4:5]
	v_accvgpr_read_b32 v4, a182
	v_accvgpr_read_b32 v5, a183
	v_accvgpr_read_b32 v6, a184
	v_mul_f64 v[4:5], v[124:125], v[4:5]
	v_accvgpr_read_b32 v7, a185
	v_fma_f64 v[4:5], v[122:123], v[6:7], -v[4:5]
	v_add_f64 v[2:3], v[2:3], v[4:5]
	v_mul_f64 v[4:5], v[120:121], v[148:149]
	;; [unrolled: 10-line block ×4, first 2 shown]
	v_fma_f64 v[4:5], v[34:35], v[160:161], -v[4:5]
	v_add_f64 v[2:3], v[2:3], v[4:5]
	v_mul_f64 v[4:5], v[40:41], v[138:139]
	v_fma_f64 v[4:5], v[38:39], v[142:143], -v[4:5]
	v_add_f64 v[2:3], v[2:3], v[4:5]
	v_mul_f64 v[4:5], v[44:45], v[158:159]
	;; [unrolled: 3-line block ×10, first 2 shown]
	s_waitcnt vmcnt(6) lgkmcnt(0)
	v_mul_f64 v[108:109], v[102:103], v[66:67]
	v_fma_f64 v[4:5], v[74:75], v[196:197], -v[4:5]
	s_waitcnt vmcnt(4)
	v_fmac_f64_e32 v[108:109], v[104:105], v[220:221]
	v_add_f64 v[114:115], v[106:107], v[108:109]
	ds_read_b128 v[106:109], v1 offset:1808
	buffer_load_dword v236, off, s[0:3], 0 offset:920
	buffer_load_dword v237, off, s[0:3], 0 offset:924
	;; [unrolled: 1-line block ×4, first 2 shown]
	ds_read_b128 v[228:231], v1 offset:1824
	buffer_load_dword v243, off, s[0:3], 0 offset:940
	buffer_load_dword v242, off, s[0:3], 0 offset:936
	;; [unrolled: 1-line block ×4, first 2 shown]
	v_add_f64 v[2:3], v[2:3], v[4:5]
	s_waitcnt vmcnt(10) lgkmcnt(1)
	v_mul_f64 v[116:117], v[106:107], v[222:223]
	s_waitcnt vmcnt(8)
	v_fmac_f64_e32 v[116:117], v[108:109], v[234:235]
	v_add_f64 v[114:115], v[114:115], v[116:117]
	v_mul_f64 v[4:5], v[80:81], v[188:189]
	v_fma_f64 v[4:5], v[78:79], v[192:193], -v[4:5]
	v_add_f64 v[2:3], v[2:3], v[4:5]
	v_mul_f64 v[4:5], v[84:85], v[198:199]
	v_fma_f64 v[4:5], v[82:83], v[200:201], -v[4:5]
	;; [unrolled: 3-line block ×8, first 2 shown]
	v_add_f64 v[2:3], v[2:3], v[4:5]
	s_waitcnt vmcnt(6) lgkmcnt(0)
	v_mul_f64 v[116:117], v[228:229], v[236:237]
	v_mul_f64 v[4:5], v[230:231], v[236:237]
	s_waitcnt vmcnt(4)
	v_fmac_f64_e32 v[116:117], v[230:231], v[238:239]
	v_add_f64 v[246:247], v[114:115], v[116:117]
	ds_read_b128 v[114:117], v1 offset:1840
	v_fma_f64 v[4:5], v[228:229], v[238:239], -v[4:5]
	v_add_f64 v[2:3], v[2:3], v[4:5]
	s_waitcnt vmcnt(2) lgkmcnt(0)
	v_mul_f64 v[248:249], v[114:115], v[242:243]
	s_waitcnt vmcnt(0)
	v_fmac_f64_e32 v[248:249], v[116:117], v[244:245]
	v_add_f64 v[246:247], v[246:247], v[248:249]
	v_accvgpr_write_b32 a194, v246
	v_accvgpr_write_b32 a195, v247
	buffer_load_dword v248, off, s[0:3], 0 offset:160
	buffer_load_dword v249, off, s[0:3], 0 offset:164
	;; [unrolled: 1-line block ×4, first 2 shown]
	v_mul_f64 v[4:5], v[116:117], v[242:243]
	v_fma_f64 v[4:5], v[114:115], v[244:245], -v[4:5]
	v_add_f64 v[2:3], v[2:3], v[4:5]
	v_accvgpr_read_b32 v4, a194
	v_accvgpr_read_b32 v5, a195
	s_waitcnt vmcnt(2)
	v_add_f64 v[2:3], v[248:249], -v[2:3]
	s_waitcnt vmcnt(0)
	v_add_f64 v[4:5], v[246:247], -v[4:5]
	buffer_store_dword v3, off, s[0:3], 0 offset:164
	buffer_store_dword v2, off, s[0:3], 0 offset:160
	;; [unrolled: 1-line block ×4, first 2 shown]
	s_and_saveexec_b64 s[4:5], vcc
	s_cbranch_execz .LBB57_345
; %bb.344:
	v_accvgpr_read_b32 v1, a165
	buffer_load_dword v2, v1, s[0:3], 0 offen
	buffer_load_dword v3, v1, s[0:3], 0 offen offset:4
	buffer_load_dword v4, v1, s[0:3], 0 offen offset:8
	;; [unrolled: 1-line block ×3, first 2 shown]
	v_mov_b32_e32 v1, 0
	v_accvgpr_read_b32 v6, a173
	buffer_store_dword v1, off, s[0:3], 0 offset:144
	buffer_store_dword v1, off, s[0:3], 0 offset:148
	;; [unrolled: 1-line block ×4, first 2 shown]
	s_waitcnt vmcnt(4)
	ds_write_b128 v6, v[2:5]
.LBB57_345:
	s_or_b64 exec, exec, s[4:5]
	s_waitcnt lgkmcnt(0)
	; wave barrier
	s_waitcnt lgkmcnt(0)
	buffer_load_dword v38, off, s[0:3], 0 offset:160
	buffer_load_dword v39, off, s[0:3], 0 offset:164
	;; [unrolled: 1-line block ×42, first 2 shown]
	v_mov_b32_e32 v1, 0
	buffer_load_dword v99, off, s[0:3], 0 offset:308
	buffer_load_dword v98, off, s[0:3], 0 offset:304
	;; [unrolled: 1-line block ×7, first 2 shown]
	ds_read_b128 v[108:111], v1 offset:1072
	ds_read_b128 v[112:115], v1 offset:1088
	;; [unrolled: 1-line block ×11, first 2 shown]
	v_cmp_lt_u32_e32 vcc, 7, v0
	s_waitcnt vmcnt(45) lgkmcnt(10)
	v_mul_f64 v[2:3], v[108:109], v[40:41]
	v_fmac_f64_e32 v[2:3], v[110:111], v[38:39]
	v_add_f64 v[2:3], v[2:3], 0
	v_mul_f64 v[40:41], v[110:111], v[40:41]
	s_waitcnt vmcnt(41) lgkmcnt(9)
	v_mul_f64 v[4:5], v[112:113], v[46:47]
	v_fmac_f64_e32 v[4:5], v[114:115], v[44:45]
	v_add_f64 v[2:3], v[2:3], v[4:5]
	buffer_load_dword v84, off, s[0:3], 0 offset:344
	buffer_load_dword v117, off, s[0:3], 0 offset:340
	;; [unrolled: 1-line block ×29, first 2 shown]
	s_waitcnt vmcnt(62) lgkmcnt(8)
	v_mul_f64 v[6:7], v[170:171], v[42:43]
	s_waitcnt lgkmcnt(6)
	v_mul_f64 v[10:11], v[180:181], v[48:49]
	v_fmac_f64_e32 v[10:11], v[182:183], v[50:51]
	v_mul_f64 v[42:43], v[172:173], v[42:43]
	v_mul_f64 v[8:9], v[174:175], v[178:179]
	;; [unrolled: 1-line block ×3, first 2 shown]
	s_waitcnt vmcnt(60) lgkmcnt(4)
	v_mul_f64 v[14:15], v[190:191], v[56:57]
	s_waitcnt vmcnt(58)
	v_fmac_f64_e32 v[14:15], v[192:193], v[54:55]
	s_waitcnt vmcnt(56)
	v_mul_f64 v[12:13], v[184:185], v[58:59]
	s_waitcnt vmcnt(54) lgkmcnt(2)
	v_mul_f64 v[18:19], v[198:199], v[64:65]
	s_waitcnt vmcnt(51)
	v_mul_f64 v[16:17], v[194:195], v[210:211]
	s_waitcnt vmcnt(49) lgkmcnt(1)
	v_mul_f64 v[20:21], v[202:203], v[60:61]
	s_waitcnt vmcnt(47)
	v_fmac_f64_e32 v[6:7], v[172:173], v[74:75]
	v_add_f64 v[2:3], v[2:3], v[6:7]
	s_waitcnt vmcnt(45)
	v_fmac_f64_e32 v[8:9], v[176:177], v[72:73]
	v_add_f64 v[2:3], v[2:3], v[8:9]
	;; [unrolled: 3-line block ×3, first 2 shown]
	v_add_f64 v[2:3], v[2:3], v[12:13]
	v_add_f64 v[2:3], v[2:3], v[14:15]
	s_waitcnt vmcnt(41)
	v_fmac_f64_e32 v[16:17], v[196:197], v[68:69]
	v_add_f64 v[2:3], v[2:3], v[16:17]
	s_waitcnt vmcnt(40)
	v_fmac_f64_e32 v[18:19], v[200:201], v[62:63]
	;; [unrolled: 3-line block ×3, first 2 shown]
	v_add_f64 v[2:3], v[2:3], v[20:21]
	v_fma_f64 v[212:213], v[170:171], v[74:75], -v[42:43]
	v_mul_f64 v[42:43], v[176:177], v[178:179]
	v_fma_f64 v[72:73], v[174:175], v[72:73], -v[42:43]
	s_waitcnt vmcnt(0)
	v_pk_mov_b32 v[14:15], v[4:5], v[4:5] op_sel:[0,1]
	buffer_load_dword v5, off, s[0:3], 0 offset:484
	buffer_load_dword v4, off, s[0:3], 0 offset:480
	v_accvgpr_write_b32 a175, v15
	v_accvgpr_write_b32 a174, v14
	s_waitcnt vmcnt(0)
	v_pk_mov_b32 v[16:17], v[4:5], v[4:5] op_sel:[0,1]
	buffer_load_dword v95, off, s[0:3], 0 offset:476
	buffer_load_dword v94, off, s[0:3], 0 offset:472
	;; [unrolled: 1-line block ×6, first 2 shown]
	v_accvgpr_write_b32 a177, v17
	v_accvgpr_write_b32 a176, v16
	s_waitcnt vmcnt(0)
	v_pk_mov_b32 v[22:23], v[4:5], v[4:5] op_sel:[0,1]
	buffer_load_dword v5, off, s[0:3], 0 offset:516
	buffer_load_dword v4, off, s[0:3], 0 offset:512
	v_accvgpr_write_b32 a181, v23
	v_accvgpr_write_b32 a180, v22
	s_waitcnt vmcnt(0)
	v_pk_mov_b32 v[24:25], v[4:5], v[4:5] op_sel:[0,1]
	buffer_load_dword v5, off, s[0:3], 0 offset:508
	buffer_load_dword v4, off, s[0:3], 0 offset:504
	v_accvgpr_write_b32 a183, v25
	v_accvgpr_write_b32 a182, v24
	s_waitcnt vmcnt(0)
	v_pk_mov_b32 v[18:19], v[4:5], v[4:5] op_sel:[0,1]
	buffer_load_dword v143, off, s[0:3], 0 offset:500
	buffer_load_dword v142, off, s[0:3], 0 offset:496
	buffer_load_dword v5, off, s[0:3], 0 offset:556
	buffer_load_dword v4, off, s[0:3], 0 offset:552
	v_accvgpr_write_b32 a179, v19
	v_accvgpr_write_b32 a178, v18
	s_waitcnt vmcnt(0)
	v_pk_mov_b32 v[30:31], v[4:5], v[4:5] op_sel:[0,1]
	buffer_load_dword v5, off, s[0:3], 0 offset:548
	buffer_load_dword v4, off, s[0:3], 0 offset:544
	v_accvgpr_write_b32 a185, v31
	v_accvgpr_write_b32 a184, v30
	s_waitcnt vmcnt(0)
	v_pk_mov_b32 v[32:33], v[4:5], v[4:5] op_sel:[0,1]
	buffer_load_dword v147, off, s[0:3], 0 offset:540
	buffer_load_dword v146, off, s[0:3], 0 offset:536
	;; [unrolled: 1-line block ×6, first 2 shown]
	v_accvgpr_write_b32 a187, v33
	v_accvgpr_write_b32 a186, v32
	s_waitcnt vmcnt(0)
	v_pk_mov_b32 v[162:163], v[4:5], v[4:5] op_sel:[0,1]
	buffer_load_dword v5, off, s[0:3], 0 offset:580
	buffer_load_dword v4, off, s[0:3], 0 offset:576
	v_accvgpr_write_b32 a189, v163
	v_accvgpr_write_b32 a188, v162
	s_waitcnt vmcnt(0)
	v_pk_mov_b32 v[164:165], v[4:5], v[4:5] op_sel:[0,1]
	buffer_load_dword v151, off, s[0:3], 0 offset:572
	buffer_load_dword v150, off, s[0:3], 0 offset:568
	;; [unrolled: 1-line block ×6, first 2 shown]
	v_accvgpr_write_b32 a191, v165
	v_accvgpr_write_b32 a190, v164
	s_waitcnt vmcnt(0)
	v_pk_mov_b32 v[166:167], v[4:5], v[4:5] op_sel:[0,1]
	buffer_load_dword v5, off, s[0:3], 0 offset:612
	buffer_load_dword v4, off, s[0:3], 0 offset:608
	;; [unrolled: 1-line block ×14, first 2 shown]
	ds_read_b128 v[214:217], v1 offset:1248
	ds_read_b128 v[218:221], v1 offset:1264
	;; [unrolled: 1-line block ×14, first 2 shown]
	s_waitcnt lgkmcnt(5)
	v_mul_f64 v[8:9], v[246:247], v[94:95]
	v_fmac_f64_e32 v[8:9], v[248:249], v[96:97]
	s_waitcnt lgkmcnt(4)
	v_mul_f64 v[12:13], v[138:139], v[14:15]
	v_fmac_f64_e32 v[12:13], v[140:141], v[16:17]
	s_waitcnt lgkmcnt(3)
	v_mul_f64 v[16:17], v[134:135], v[18:19]
	ds_read_b128 v[118:121], v1 offset:1472
	v_fmac_f64_e32 v[16:17], v[136:137], v[142:143]
	s_waitcnt lgkmcnt(3)
	v_mul_f64 v[20:21], v[130:131], v[22:23]
	v_fmac_f64_e32 v[20:21], v[132:133], v[24:25]
	s_waitcnt lgkmcnt(2)
	v_mul_f64 v[24:25], v[126:127], v[146:147]
	;; [unrolled: 3-line block ×3, first 2 shown]
	v_fmac_f64_e32 v[28:29], v[124:125], v[32:33]
	v_accvgpr_write_b32 a193, v167
	v_accvgpr_write_b32 a192, v166
	v_mul_f64 v[74:75], v[228:229], v[104:105]
	s_waitcnt vmcnt(6)
	v_accvgpr_write_b32 a197, v53
	v_accvgpr_write_b32 a196, v52
	v_pk_mov_b32 v[168:169], v[4:5], v[4:5] op_sel:[0,1]
	v_mul_f64 v[4:5], v[206:207], v[76:77]
	v_fmac_f64_e32 v[4:5], v[208:209], v[82:83]
	v_add_f64 v[2:3], v[2:3], v[4:5]
	v_mul_f64 v[4:5], v[214:215], v[84:85]
	v_fmac_f64_e32 v[4:5], v[216:217], v[116:117]
	v_add_f64 v[2:3], v[2:3], v[4:5]
	;; [unrolled: 3-line block ×9, first 2 shown]
	v_add_f64 v[10:11], v[6:7], v[8:9]
	v_add_f64 v[14:15], v[10:11], v[12:13]
	;; [unrolled: 1-line block ×6, first 2 shown]
	ds_read_b128 v[26:29], v1 offset:1488
	s_waitcnt lgkmcnt(1)
	v_mul_f64 v[32:33], v[118:119], v[150:151]
	v_fmac_f64_e32 v[32:33], v[120:121], v[152:153]
	v_add_f64 v[34:35], v[30:31], v[32:33]
	ds_read_b128 v[30:33], v1 offset:1504
	s_waitcnt lgkmcnt(1)
	v_mul_f64 v[36:37], v[26:27], v[162:163]
	v_fmac_f64_e32 v[36:37], v[28:29], v[164:165]
	v_add_f64 v[162:163], v[34:35], v[36:37]
	ds_read_b128 v[34:37], v1 offset:1520
	s_waitcnt lgkmcnt(1)
	v_mul_f64 v[4:5], v[30:31], v[154:155]
	v_fmac_f64_e32 v[4:5], v[32:33], v[156:157]
	v_fma_f64 v[18:19], v[108:109], v[38:39], -v[40:41]
	ds_read_b128 v[38:41], v1 offset:1536
	v_add_f64 v[4:5], v[162:163], v[4:5]
	buffer_load_dword v163, off, s[0:3], 0 offset:668
	buffer_load_dword v162, off, s[0:3], 0 offset:664
	;; [unrolled: 1-line block ×4, first 2 shown]
	s_waitcnt lgkmcnt(1)
	v_mul_f64 v[108:109], v[34:35], v[166:167]
	v_accvgpr_write_b32 a195, v169
	v_fmac_f64_e32 v[108:109], v[36:37], v[168:169]
	v_accvgpr_write_b32 a194, v168
	buffer_load_dword v22, off, s[0:3], 0 offset:680
	buffer_load_dword v168, off, s[0:3], 0 offset:672
	;; [unrolled: 1-line block ×12, first 2 shown]
	v_fma_f64 v[166:167], v[112:113], v[44:45], -v[46:47]
	v_mul_f64 v[46:47], v[182:183], v[48:49]
	ds_read_b128 v[42:45], v1 offset:1552
	v_fma_f64 v[188:189], v[180:181], v[50:51], -v[46:47]
	buffer_load_dword v174, off, s[0:3], 0 offset:744
	buffer_load_dword v181, off, s[0:3], 0 offset:732
	;; [unrolled: 1-line block ×5, first 2 shown]
	v_mul_f64 v[46:47], v[186:187], v[58:59]
	v_fma_f64 v[14:15], v[184:185], v[70:71], -v[46:47]
	buffer_load_dword v184, off, s[0:3], 0 offset:736
	buffer_load_dword v175, off, s[0:3], 0 offset:748
	;; [unrolled: 1-line block ×7, first 2 shown]
	v_mul_f64 v[8:9], v[192:193], v[56:57]
	v_mul_f64 v[46:47], v[196:197], v[210:211]
	v_fma_f64 v[10:11], v[190:191], v[54:55], -v[8:9]
	v_fma_f64 v[8:9], v[194:195], v[68:69], -v[46:47]
	buffer_load_dword v192, off, s[0:3], 0 offset:776
	buffer_load_dword v194, off, s[0:3], 0 offset:768
	;; [unrolled: 1-line block ×4, first 2 shown]
	v_mul_f64 v[12:13], v[200:201], v[64:65]
	v_fma_f64 v[12:13], v[198:199], v[62:63], -v[12:13]
	buffer_load_dword v191, off, s[0:3], 0 offset:812
	buffer_load_dword v197, off, s[0:3], 0 offset:796
	;; [unrolled: 1-line block ×8, first 2 shown]
	s_waitcnt lgkmcnt(0)
	v_mul_f64 v[50:51], v[42:43], v[52:53]
	v_mul_f64 v[52:53], v[204:205], v[60:61]
	ds_read_b128 v[46:49], v1 offset:1568
	v_fma_f64 v[6:7], v[202:203], v[98:99], -v[52:53]
	buffer_load_dword v203, off, s[0:3], 0 offset:828
	buffer_load_dword v202, off, s[0:3], 0 offset:824
	;; [unrolled: 1-line block ×4, first 2 shown]
	v_mul_f64 v[16:17], v[208:209], v[76:77]
	v_fma_f64 v[16:17], v[206:207], v[82:83], -v[16:17]
	buffer_load_dword v206, off, s[0:3], 0 offset:840
	buffer_load_dword v208, off, s[0:3], 0 offset:832
	;; [unrolled: 1-line block ×8, first 2 shown]
	v_add_f64 v[4:5], v[4:5], v[108:109]
	s_waitcnt vmcnt(54)
	v_mul_f64 v[108:109], v[38:39], v[158:159]
	s_waitcnt vmcnt(52)
	v_fmac_f64_e32 v[108:109], v[40:41], v[160:161]
	v_mul_f64 v[52:53], v[216:217], v[84:85]
	v_add_f64 v[108:109], v[4:5], v[108:109]
	v_fma_f64 v[4:5], v[214:215], v[116:117], -v[52:53]
	buffer_load_dword v214, off, s[0:3], 0 offset:872
	buffer_load_dword v216, off, s[0:3], 0 offset:864
	;; [unrolled: 1-line block ×4, first 2 shown]
	v_fmac_f64_e32 v[50:51], v[44:45], v[144:145]
	v_add_f64 v[50:51], v[108:109], v[50:51]
	v_mul_f64 v[54:55], v[220:221], v[78:79]
	v_fma_f64 v[218:219], v[218:219], v[80:81], -v[54:55]
	v_mul_f64 v[58:59], v[224:225], v[250:251]
	v_fma_f64 v[252:253], v[222:223], v[252:253], -v[58:59]
	ds_read_b128 v[58:61], v1 offset:1616
	v_fma_f64 v[250:251], v[226:227], v[106:107], -v[74:75]
	ds_read_b128 v[224:227], v1 offset:1648
	v_mul_f64 v[76:77], v[232:233], v[254:255]
	v_fma_f64 v[232:233], v[230:231], v[66:67], -v[76:77]
	v_mul_f64 v[82:83], v[240:241], v[100:101]
	v_fma_f64 v[2:3], v[238:239], v[102:103], -v[82:83]
	ds_read_b128 v[82:85], v1 offset:1712
	ds_read_b128 v[54:57], v1 offset:1600
	v_add_f64 v[18:19], v[18:19], 0
	v_add_f64 v[18:19], v[18:19], v[166:167]
	;; [unrolled: 1-line block ×10, first 2 shown]
	ds_read_b128 v[228:231], v1 offset:1664
	v_add_f64 v[6:7], v[6:7], v[16:17]
	v_add_f64 v[4:5], v[6:7], v[4:5]
	;; [unrolled: 1-line block ×6, first 2 shown]
	ds_read_b128 v[78:81], v1 offset:1696
	v_accvgpr_read_b32 v6, a176
	v_accvgpr_read_b32 v7, a177
	s_waitcnt vmcnt(54) lgkmcnt(6)
	v_mul_f64 v[20:21], v[46:47], v[162:163]
	s_waitcnt vmcnt(52)
	v_fmac_f64_e32 v[20:21], v[48:49], v[164:165]
	v_add_f64 v[20:21], v[50:51], v[20:21]
	ds_read_b128 v[50:53], v1 offset:1584
	s_waitcnt vmcnt(49) lgkmcnt(0)
	v_mul_f64 v[62:63], v[50:51], v[22:23]
	s_waitcnt vmcnt(48)
	v_fmac_f64_e32 v[62:63], v[52:53], v[168:169]
	v_add_f64 v[20:21], v[20:21], v[62:63]
	s_waitcnt vmcnt(45)
	v_mul_f64 v[62:63], v[54:55], v[172:173]
	s_waitcnt vmcnt(43)
	v_fmac_f64_e32 v[62:63], v[56:57], v[178:179]
	v_add_f64 v[20:21], v[20:21], v[62:63]
	s_waitcnt vmcnt(42)
	v_mul_f64 v[62:63], v[58:59], v[170:171]
	s_waitcnt vmcnt(40)
	v_fmac_f64_e32 v[62:63], v[60:61], v[176:177]
	v_add_f64 v[20:21], v[20:21], v[62:63]
	ds_read_b128 v[62:65], v1 offset:1632
	s_waitcnt vmcnt(33)
	v_mul_f64 v[66:67], v[224:225], v[174:175]
	s_waitcnt vmcnt(32)
	v_fmac_f64_e32 v[66:67], v[226:227], v[184:185]
	s_waitcnt vmcnt(21)
	v_mul_f64 v[24:25], v[78:79], v[196:197]
	s_waitcnt vmcnt(19)
	v_fmac_f64_e32 v[24:25], v[80:81], v[200:201]
	s_waitcnt lgkmcnt(0)
	v_mul_f64 v[74:75], v[62:63], v[180:181]
	v_fmac_f64_e32 v[74:75], v[64:65], v[182:183]
	v_add_f64 v[20:21], v[20:21], v[74:75]
	ds_read_b128 v[74:77], v1 offset:1680
	v_add_f64 v[20:21], v[20:21], v[66:67]
	v_mul_f64 v[66:67], v[228:229], v[186:187]
	v_fmac_f64_e32 v[66:67], v[230:231], v[70:71]
	v_add_f64 v[20:21], v[20:21], v[66:67]
	v_mul_f64 v[66:67], v[236:237], v[86:87]
	v_fma_f64 v[254:255], v[234:235], v[88:89], -v[66:67]
	s_waitcnt lgkmcnt(0)
	v_mul_f64 v[66:67], v[74:75], v[192:193]
	v_fmac_f64_e32 v[66:67], v[76:77], v[194:195]
	v_add_f64 v[20:21], v[20:21], v[66:67]
	v_add_f64 v[20:21], v[20:21], v[24:25]
	ds_read_b128 v[86:89], v1 offset:1728
	s_waitcnt vmcnt(18)
	v_mul_f64 v[24:25], v[82:83], v[190:191]
	s_waitcnt vmcnt(16)
	v_fmac_f64_e32 v[24:25], v[84:85], v[198:199]
	v_add_f64 v[20:21], v[20:21], v[24:25]
	v_mul_f64 v[24:25], v[244:245], v[90:91]
	v_fma_f64 v[24:25], v[242:243], v[92:93], -v[24:25]
	ds_read_b128 v[90:93], v1 offset:1744
	v_mul_f64 v[66:67], v[248:249], v[94:95]
	v_fma_f64 v[66:67], v[246:247], v[96:97], -v[66:67]
	ds_read_b128 v[94:97], v1 offset:1760
	s_waitcnt vmcnt(14) lgkmcnt(2)
	v_mul_f64 v[98:99], v[86:87], v[202:203]
	s_waitcnt vmcnt(12)
	v_fmac_f64_e32 v[98:99], v[88:89], v[204:205]
	v_add_f64 v[20:21], v[20:21], v[98:99]
	s_waitcnt vmcnt(9) lgkmcnt(1)
	v_mul_f64 v[98:99], v[90:91], v[206:207]
	s_waitcnt vmcnt(8)
	v_fmac_f64_e32 v[98:99], v[92:93], v[208:209]
	v_add_f64 v[20:21], v[20:21], v[98:99]
	;; [unrolled: 5-line block ×3, first 2 shown]
	ds_read_b128 v[98:101], v1 offset:1776
	v_add_f64 v[4:5], v[4:5], v[254:255]
	v_add_f64 v[2:3], v[4:5], v[2:3]
	v_accvgpr_read_b32 v4, a174
	v_accvgpr_read_b32 v5, a175
	s_waitcnt vmcnt(1) lgkmcnt(0)
	v_mul_f64 v[102:103], v[98:99], v[214:215]
	s_waitcnt vmcnt(0)
	v_fmac_f64_e32 v[102:103], v[100:101], v[216:217]
	v_add_f64 v[106:107], v[20:21], v[102:103]
	buffer_load_dword v21, off, s[0:3], 0 offset:892
	buffer_load_dword v20, off, s[0:3], 0 offset:888
	;; [unrolled: 1-line block ×4, first 2 shown]
	ds_read_b128 v[102:105], v1 offset:1792
	buffer_load_dword v222, off, s[0:3], 0 offset:904
	buffer_load_dword v223, off, s[0:3], 0 offset:908
	;; [unrolled: 1-line block ×4, first 2 shown]
	v_add_f64 v[252:253], v[2:3], v[24:25]
	v_mul_f64 v[4:5], v[140:141], v[4:5]
	v_add_f64 v[2:3], v[252:253], v[66:67]
	v_fma_f64 v[4:5], v[138:139], v[6:7], -v[4:5]
	v_add_f64 v[2:3], v[2:3], v[4:5]
	v_accvgpr_read_b32 v4, a178
	v_accvgpr_read_b32 v5, a179
	v_mul_f64 v[4:5], v[136:137], v[4:5]
	v_fma_f64 v[4:5], v[134:135], v[142:143], -v[4:5]
	v_add_f64 v[2:3], v[2:3], v[4:5]
	v_accvgpr_read_b32 v4, a180
	v_accvgpr_read_b32 v5, a181
	v_accvgpr_read_b32 v6, a182
	v_mul_f64 v[4:5], v[132:133], v[4:5]
	v_accvgpr_read_b32 v7, a183
	v_fma_f64 v[4:5], v[130:131], v[6:7], -v[4:5]
	v_add_f64 v[2:3], v[2:3], v[4:5]
	v_mul_f64 v[4:5], v[128:129], v[146:147]
	v_fma_f64 v[4:5], v[126:127], v[148:149], -v[4:5]
	v_add_f64 v[2:3], v[2:3], v[4:5]
	v_accvgpr_read_b32 v4, a184
	v_accvgpr_read_b32 v5, a185
	v_accvgpr_read_b32 v6, a186
	v_mul_f64 v[4:5], v[124:125], v[4:5]
	v_accvgpr_read_b32 v7, a187
	v_fma_f64 v[4:5], v[122:123], v[6:7], -v[4:5]
	v_add_f64 v[2:3], v[2:3], v[4:5]
	;; [unrolled: 10-line block ×4, first 2 shown]
	v_mul_f64 v[4:5], v[40:41], v[158:159]
	v_fma_f64 v[4:5], v[38:39], v[160:161], -v[4:5]
	v_add_f64 v[2:3], v[2:3], v[4:5]
	v_accvgpr_read_b32 v4, a196
	v_accvgpr_read_b32 v5, a197
	v_mul_f64 v[4:5], v[44:45], v[4:5]
	v_fma_f64 v[4:5], v[42:43], v[144:145], -v[4:5]
	v_add_f64 v[2:3], v[2:3], v[4:5]
	v_mul_f64 v[4:5], v[48:49], v[162:163]
	v_fma_f64 v[4:5], v[46:47], v[164:165], -v[4:5]
	v_add_f64 v[2:3], v[2:3], v[4:5]
	;; [unrolled: 3-line block ×7, first 2 shown]
	v_mul_f64 v[4:5], v[230:231], v[186:187]
	v_fma_f64 v[4:5], v[228:229], v[70:71], -v[4:5]
	s_waitcnt vmcnt(6) lgkmcnt(0)
	v_mul_f64 v[108:109], v[102:103], v[20:21]
	v_add_f64 v[2:3], v[2:3], v[4:5]
	s_waitcnt vmcnt(4)
	v_fmac_f64_e32 v[108:109], v[104:105], v[220:221]
	v_add_f64 v[110:111], v[106:107], v[108:109]
	ds_read_b128 v[106:109], v1 offset:1808
	buffer_load_dword v237, off, s[0:3], 0 offset:924
	buffer_load_dword v236, off, s[0:3], 0 offset:920
	;; [unrolled: 1-line block ×4, first 2 shown]
	v_mul_f64 v[4:5], v[76:77], v[192:193]
	v_fma_f64 v[4:5], v[74:75], v[194:195], -v[4:5]
	v_add_f64 v[2:3], v[2:3], v[4:5]
	s_waitcnt vmcnt(6) lgkmcnt(0)
	v_mul_f64 v[112:113], v[106:107], v[222:223]
	s_waitcnt vmcnt(4)
	v_fmac_f64_e32 v[112:113], v[108:109], v[234:235]
	v_add_f64 v[114:115], v[110:111], v[112:113]
	ds_read_b128 v[110:113], v1 offset:1824
	buffer_load_dword v242, off, s[0:3], 0 offset:936
	buffer_load_dword v243, off, s[0:3], 0 offset:940
	;; [unrolled: 1-line block ×4, first 2 shown]
	v_mul_f64 v[4:5], v[80:81], v[196:197]
	v_fma_f64 v[4:5], v[78:79], v[200:201], -v[4:5]
	v_add_f64 v[2:3], v[2:3], v[4:5]
	v_mul_f64 v[4:5], v[84:85], v[190:191]
	v_fma_f64 v[4:5], v[82:83], v[198:199], -v[4:5]
	v_add_f64 v[2:3], v[2:3], v[4:5]
	;; [unrolled: 3-line block ×8, first 2 shown]
	s_waitcnt vmcnt(6) lgkmcnt(0)
	v_mul_f64 v[116:117], v[110:111], v[236:237]
	v_mul_f64 v[4:5], v[112:113], v[236:237]
	s_waitcnt vmcnt(4)
	v_fmac_f64_e32 v[116:117], v[112:113], v[238:239]
	v_add_f64 v[240:241], v[114:115], v[116:117]
	ds_read_b128 v[114:117], v1 offset:1840
	buffer_load_dword v248, off, s[0:3], 0 offset:144
	buffer_load_dword v249, off, s[0:3], 0 offset:148
	v_fma_f64 v[4:5], v[110:111], v[238:239], -v[4:5]
	v_add_f64 v[2:3], v[2:3], v[4:5]
	s_waitcnt vmcnt(4) lgkmcnt(0)
	v_mul_f64 v[246:247], v[114:115], v[242:243]
	s_waitcnt vmcnt(2)
	v_fmac_f64_e32 v[246:247], v[116:117], v[244:245]
	v_add_f64 v[240:241], v[240:241], v[246:247]
	buffer_load_dword v246, off, s[0:3], 0 offset:152
	buffer_load_dword v247, off, s[0:3], 0 offset:156
	v_mul_f64 v[4:5], v[116:117], v[242:243]
	v_fma_f64 v[4:5], v[114:115], v[244:245], -v[4:5]
	v_add_f64 v[2:3], v[2:3], v[4:5]
	s_waitcnt vmcnt(2)
	v_add_f64 v[2:3], v[248:249], -v[2:3]
	s_waitcnt vmcnt(0)
	v_add_f64 v[4:5], v[246:247], -v[240:241]
	buffer_store_dword v3, off, s[0:3], 0 offset:148
	buffer_store_dword v2, off, s[0:3], 0 offset:144
	;; [unrolled: 1-line block ×4, first 2 shown]
	s_and_saveexec_b64 s[4:5], vcc
	s_cbranch_execz .LBB57_347
; %bb.346:
	v_accvgpr_read_b32 v5, a166
	buffer_load_dword v2, v5, s[0:3], 0 offen
	buffer_load_dword v3, v5, s[0:3], 0 offen offset:4
	buffer_load_dword v4, v5, s[0:3], 0 offen offset:8
	s_nop 0
	buffer_load_dword v5, v5, s[0:3], 0 offen offset:12
	v_accvgpr_read_b32 v6, a173
	buffer_store_dword v1, off, s[0:3], 0 offset:128
	buffer_store_dword v1, off, s[0:3], 0 offset:132
	buffer_store_dword v1, off, s[0:3], 0 offset:136
	buffer_store_dword v1, off, s[0:3], 0 offset:140
	s_waitcnt vmcnt(4)
	ds_write_b128 v6, v[2:5]
.LBB57_347:
	s_or_b64 exec, exec, s[4:5]
	s_waitcnt lgkmcnt(0)
	; wave barrier
	s_waitcnt lgkmcnt(0)
	buffer_load_dword v176, off, s[0:3], 0 offset:144
	buffer_load_dword v177, off, s[0:3], 0 offset:148
	;; [unrolled: 1-line block ×42, first 2 shown]
	ds_read_b128 v[42:45], v1 offset:1056
	ds_read_b128 v[108:111], v1 offset:1072
	;; [unrolled: 1-line block ×10, first 2 shown]
	buffer_load_dword v117, off, s[0:3], 0 offset:292
	buffer_load_dword v116, off, s[0:3], 0 offset:288
	ds_read_b128 v[46:49], v1 offset:1216
	buffer_load_dword v85, off, s[0:3], 0 offset:348
	buffer_load_dword v84, off, s[0:3], 0 offset:344
	;; [unrolled: 1-line block ×6, first 2 shown]
	v_cmp_lt_u32_e32 vcc, 6, v0
	s_waitcnt vmcnt(46) lgkmcnt(10)
	v_mul_f64 v[2:3], v[42:43], v[36:37]
	v_fmac_f64_e32 v[2:3], v[44:45], v[176:177]
	v_add_f64 v[2:3], v[2:3], 0
	v_mul_f64 v[36:37], v[44:45], v[36:37]
	s_waitcnt vmcnt(42) lgkmcnt(9)
	v_mul_f64 v[4:5], v[108:109], v[40:41]
	v_fmac_f64_e32 v[4:5], v[110:111], v[38:39]
	v_add_f64 v[2:3], v[2:3], v[4:5]
	buffer_load_dword v209, off, s[0:3], 0 offset:324
	buffer_load_dword v208, off, s[0:3], 0 offset:320
	buffer_load_dword v251, off, s[0:3], 0 offset:380
	buffer_load_dword v250, off, s[0:3], 0 offset:376
	buffer_load_dword v253, off, s[0:3], 0 offset:372
	buffer_load_dword v252, off, s[0:3], 0 offset:368
	buffer_load_dword v255, off, s[0:3], 0 offset:364
	buffer_load_dword v254, off, s[0:3], 0 offset:360
	buffer_load_dword v51, off, s[0:3], 0 offset:356
	buffer_load_dword v50, off, s[0:3], 0 offset:352
	buffer_load_dword v101, off, s[0:3], 0 offset:412
	buffer_load_dword v100, off, s[0:3], 0 offset:408
	buffer_load_dword v103, off, s[0:3], 0 offset:404
	buffer_load_dword v102, off, s[0:3], 0 offset:400
	buffer_load_dword v63, off, s[0:3], 0 offset:396
	buffer_load_dword v62, off, s[0:3], 0 offset:392
	buffer_load_dword v65, off, s[0:3], 0 offset:388
	buffer_load_dword v64, off, s[0:3], 0 offset:384
	buffer_load_dword v89, off, s[0:3], 0 offset:444
	buffer_load_dword v88, off, s[0:3], 0 offset:440
	buffer_load_dword v93, off, s[0:3], 0 offset:436
	buffer_load_dword v92, off, s[0:3], 0 offset:432
	buffer_load_dword v105, off, s[0:3], 0 offset:428
	buffer_load_dword v104, off, s[0:3], 0 offset:424
	buffer_load_dword v107, off, s[0:3], 0 offset:420
	buffer_load_dword v106, off, s[0:3], 0 offset:416
	buffer_load_dword v95, off, s[0:3], 0 offset:476
	buffer_load_dword v94, off, s[0:3], 0 offset:472
	buffer_load_dword v97, off, s[0:3], 0 offset:468
	buffer_load_dword v96, off, s[0:3], 0 offset:464
	buffer_load_dword v91, off, s[0:3], 0 offset:460
	buffer_load_dword v90, off, s[0:3], 0 offset:456
	buffer_load_dword v99, off, s[0:3], 0 offset:452
	buffer_load_dword v98, off, s[0:3], 0 offset:448
	buffer_load_dword v5, off, s[0:3], 0 offset:508
	buffer_load_dword v4, off, s[0:3], 0 offset:504
	s_waitcnt vmcnt(62) lgkmcnt(8)
	v_mul_f64 v[6:7], v[112:113], v[158:159]
	s_waitcnt lgkmcnt(6)
	v_mul_f64 v[10:11], v[170:171], v[52:53]
	v_fmac_f64_e32 v[10:11], v[172:173], v[54:55]
	v_mul_f64 v[40:41], v[110:111], v[40:41]
	v_mul_f64 v[8:9], v[166:167], v[56:57]
	v_fma_f64 v[108:109], v[108:109], v[38:39], -v[40:41]
	s_waitcnt lgkmcnt(4)
	v_mul_f64 v[14:15], v[182:183], v[58:59]
	v_mul_f64 v[110:111], v[114:115], v[158:159]
	v_fmac_f64_e32 v[14:15], v[184:185], v[60:61]
	v_mul_f64 v[56:57], v[168:169], v[56:57]
	v_mul_f64 v[12:13], v[178:179], v[198:199]
	;; [unrolled: 1-line block ×3, first 2 shown]
	s_waitcnt lgkmcnt(2)
	v_mul_f64 v[18:19], v[190:191], v[200:201]
	s_waitcnt vmcnt(59)
	v_mul_f64 v[16:17], v[186:187], v[70:71]
	s_waitcnt vmcnt(57) lgkmcnt(1)
	v_mul_f64 v[20:21], v[194:195], v[68:69]
	s_waitcnt vmcnt(55)
	v_fmac_f64_e32 v[6:7], v[114:115], v[78:79]
	v_add_f64 v[2:3], v[2:3], v[6:7]
	s_waitcnt vmcnt(53)
	v_fmac_f64_e32 v[8:9], v[168:169], v[76:77]
	v_add_f64 v[2:3], v[2:3], v[8:9]
	;; [unrolled: 3-line block ×3, first 2 shown]
	v_add_f64 v[2:3], v[2:3], v[12:13]
	s_waitcnt vmcnt(49)
	v_fmac_f64_e32 v[16:17], v[188:189], v[72:73]
	v_add_f64 v[2:3], v[2:3], v[14:15]
	s_waitcnt vmcnt(48)
	v_fmac_f64_e32 v[18:19], v[192:193], v[66:67]
	v_add_f64 v[2:3], v[2:3], v[16:17]
	v_add_f64 v[2:3], v[2:3], v[18:19]
	v_fma_f64 v[210:211], v[166:167], v[76:77], -v[56:57]
	s_waitcnt vmcnt(42)
	v_fmac_f64_e32 v[20:21], v[196:197], v[116:117]
	v_add_f64 v[2:3], v[2:3], v[20:21]
	v_fma_f64 v[78:79], v[112:113], v[78:79], -v[110:111]
	s_waitcnt vmcnt(0)
	v_pk_mov_b32 v[18:19], v[4:5], v[4:5] op_sel:[0,1]
	buffer_load_dword v5, off, s[0:3], 0 offset:500
	buffer_load_dword v4, off, s[0:3], 0 offset:496
	v_accvgpr_write_b32 a179, v19
	v_accvgpr_write_b32 a178, v18
	s_waitcnt vmcnt(0)
	v_pk_mov_b32 v[22:23], v[4:5], v[4:5] op_sel:[0,1]
	buffer_load_dword v5, off, s[0:3], 0 offset:492
	buffer_load_dword v4, off, s[0:3], 0 offset:488
	v_accvgpr_write_b32 a181, v23
	v_accvgpr_write_b32 a180, v22
	;; [unrolled: 6-line block ×12, first 2 shown]
	s_waitcnt vmcnt(0)
	v_pk_mov_b32 v[164:165], v[4:5], v[4:5] op_sel:[0,1]
	buffer_load_dword v5, off, s[0:3], 0 offset:596
	buffer_load_dword v4, off, s[0:3], 0 offset:592
	s_waitcnt vmcnt(0)
	v_pk_mov_b32 v[174:175], v[4:5], v[4:5] op_sel:[0,1]
	buffer_load_dword v151, off, s[0:3], 0 offset:588
	buffer_load_dword v150, off, s[0:3], 0 offset:584
	;; [unrolled: 1-line block ×12, first 2 shown]
	ds_read_b128 v[202:205], v1 offset:1232
	ds_read_b128 v[214:217], v1 offset:1248
	;; [unrolled: 1-line block ×14, first 2 shown]
	s_waitcnt lgkmcnt(4)
	v_mul_f64 v[8:9], v[246:247], v[94:95]
	ds_read_b128 v[130:133], v1 offset:1456
	ds_read_b128 v[126:129], v1 offset:1472
	v_fmac_f64_e32 v[8:9], v[248:249], v[96:97]
	s_waitcnt lgkmcnt(5)
	v_mul_f64 v[12:13], v[146:147], v[14:15]
	v_fmac_f64_e32 v[12:13], v[148:149], v[16:17]
	s_waitcnt lgkmcnt(4)
	v_mul_f64 v[16:17], v[142:143], v[18:19]
	v_fmac_f64_e32 v[16:17], v[144:145], v[22:23]
	s_waitcnt lgkmcnt(3)
	v_mul_f64 v[20:21], v[138:139], v[24:25]
	v_fmac_f64_e32 v[20:21], v[140:141], v[30:31]
	s_waitcnt lgkmcnt(2)
	v_mul_f64 v[24:25], v[134:135], v[26:27]
	v_fmac_f64_e32 v[24:25], v[136:137], v[28:29]
	s_waitcnt lgkmcnt(1)
	v_mul_f64 v[28:29], v[130:131], v[32:33]
	ds_read_b128 v[122:125], v1 offset:1488
	v_fmac_f64_e32 v[28:29], v[132:133], v[118:119]
	ds_read_b128 v[118:121], v1 offset:1504
	s_waitcnt lgkmcnt(2)
	v_mul_f64 v[32:33], v[126:127], v[160:161]
	v_fmac_f64_e32 v[32:33], v[128:129], v[162:163]
	v_accvgpr_write_b32 a199, v175
	v_accvgpr_write_b32 a198, v174
	v_mul_f64 v[94:95], v[248:249], v[94:95]
	s_waitcnt vmcnt(6)
	v_pk_mov_b32 v[212:213], v[4:5], v[4:5] op_sel:[0,1]
	v_mul_f64 v[4:5], v[46:47], v[80:81]
	v_fmac_f64_e32 v[4:5], v[48:49], v[82:83]
	v_add_f64 v[2:3], v[2:3], v[4:5]
	v_mul_f64 v[4:5], v[202:203], v[206:207]
	v_fmac_f64_e32 v[4:5], v[204:205], v[208:209]
	v_add_f64 v[2:3], v[2:3], v[4:5]
	;; [unrolled: 3-line block ×10, first 2 shown]
	v_add_f64 v[10:11], v[6:7], v[8:9]
	v_add_f64 v[14:15], v[10:11], v[12:13]
	v_add_f64 v[18:19], v[14:15], v[16:17]
	v_add_f64 v[22:23], v[18:19], v[20:21]
	v_add_f64 v[26:27], v[22:23], v[24:25]
	v_add_f64 v[30:31], v[26:27], v[28:29]
	v_add_f64 v[160:161], v[30:31], v[32:33]
	ds_read_b128 v[30:33], v1 offset:1520
	s_waitcnt lgkmcnt(2)
	v_mul_f64 v[4:5], v[122:123], v[150:151]
	v_fma_f64 v[26:27], v[42:43], v[176:177], -v[36:37]
	v_fmac_f64_e32 v[4:5], v[124:125], v[152:153]
	s_waitcnt lgkmcnt(1)
	v_mul_f64 v[42:43], v[118:119], v[164:165]
	v_add_f64 v[4:5], v[160:161], v[4:5]
	v_fmac_f64_e32 v[42:43], v[120:121], v[174:175]
	v_add_f64 v[4:5], v[4:5], v[42:43]
	s_waitcnt vmcnt(2) lgkmcnt(0)
	v_mul_f64 v[42:43], v[30:31], v[154:155]
	s_waitcnt vmcnt(0)
	v_fmac_f64_e32 v[42:43], v[32:33], v[156:157]
	v_pk_mov_b32 v[36:37], v[164:165], v[164:165] op_sel:[0,1]
	v_add_f64 v[4:5], v[4:5], v[42:43]
	ds_read_b128 v[42:45], v1 offset:1536
	ds_read_b128 v[38:41], v1 offset:1552
	buffer_load_dword v158, off, s[0:3], 0 offset:664
	buffer_load_dword v163, off, s[0:3], 0 offset:652
	;; [unrolled: 1-line block ×17, first 2 shown]
	v_mul_f64 v[8:9], v[180:181], v[198:199]
	v_fma_f64 v[22:23], v[170:171], v[54:55], -v[52:53]
	v_fma_f64 v[18:19], v[178:179], v[74:75], -v[8:9]
	buffer_load_dword v170, off, s[0:3], 0 offset:720
	buffer_load_dword v179, off, s[0:3], 0 offset:716
	;; [unrolled: 1-line block ×7, first 2 shown]
	v_mul_f64 v[52:53], v[184:185], v[58:59]
	v_fma_f64 v[14:15], v[182:183], v[60:61], -v[52:53]
	buffer_load_dword v183, off, s[0:3], 0 offset:748
	buffer_load_dword v182, off, s[0:3], 0 offset:744
	;; [unrolled: 1-line block ×4, first 2 shown]
	v_mul_f64 v[52:53], v[188:189], v[70:71]
	v_mul_f64 v[16:17], v[192:193], v[200:201]
	buffer_load_dword v188, off, s[0:3], 0 offset:760
	v_fma_f64 v[16:17], v[190:191], v[66:67], -v[16:17]
	buffer_load_dword v190, off, s[0:3], 0 offset:752
	buffer_load_dword v189, off, s[0:3], 0 offset:764
	;; [unrolled: 1-line block ×3, first 2 shown]
	v_fma_f64 v[10:11], v[186:187], v[72:73], -v[52:53]
	v_mul_f64 v[52:53], v[196:197], v[68:69]
	v_fma_f64 v[8:9], v[194:195], v[116:117], -v[52:53]
	buffer_load_dword v187, off, s[0:3], 0 offset:796
	buffer_load_dword v193, off, s[0:3], 0 offset:780
	buffer_load_dword v192, off, s[0:3], 0 offset:776
	buffer_load_dword v199, off, s[0:3], 0 offset:772
	buffer_load_dword v198, off, s[0:3], 0 offset:768
	buffer_load_dword v186, off, s[0:3], 0 offset:792
	buffer_load_dword v197, off, s[0:3], 0 offset:788
	buffer_load_dword v196, off, s[0:3], 0 offset:784
	buffer_load_dword v195, off, s[0:3], 0 offset:812
	buffer_load_dword v194, off, s[0:3], 0 offset:808
	buffer_load_dword v201, off, s[0:3], 0 offset:804
	buffer_load_dword v200, off, s[0:3], 0 offset:800
	v_mul_f64 v[20:21], v[48:49], v[80:81]
	v_accvgpr_write_b32 a200, v212
	v_fma_f64 v[20:21], v[46:47], v[82:83], -v[20:21]
	v_mul_f64 v[46:47], v[204:205], v[206:207]
	s_waitcnt lgkmcnt(1)
	v_mul_f64 v[12:13], v[42:43], v[212:213]
	v_accvgpr_write_b32 a201, v213
	v_fma_f64 v[6:7], v[202:203], v[208:209], -v[46:47]
	buffer_load_dword v204, off, s[0:3], 0 offset:824
	buffer_load_dword v206, off, s[0:3], 0 offset:816
	;; [unrolled: 1-line block ×12, first 2 shown]
	v_fmac_f64_e32 v[12:13], v[44:45], v[34:35]
	v_add_f64 v[4:5], v[4:5], v[12:13]
	v_mul_f64 v[12:13], v[216:217], v[84:85]
	v_fma_f64 v[12:13], v[214:215], v[86:87], -v[12:13]
	buffer_load_dword v215, off, s[0:3], 0 offset:876
	buffer_load_dword v214, off, s[0:3], 0 offset:872
	;; [unrolled: 1-line block ×4, first 2 shown]
	ds_read_b128 v[46:49], v1 offset:1568
	v_mul_f64 v[58:59], v[224:225], v[250:251]
	v_mul_f64 v[62:63], v[228:229], v[62:63]
	v_fma_f64 v[250:251], v[226:227], v[64:65], -v[62:63]
	ds_read_b128 v[62:65], v1 offset:1632
	v_mul_f64 v[70:71], v[232:233], v[100:101]
	v_fma_f64 v[232:233], v[230:231], v[102:103], -v[70:71]
	ds_read_b128 v[70:73], v1 offset:1664
	v_add_f64 v[26:27], v[26:27], 0
	v_add_f64 v[26:27], v[26:27], v[108:109]
	v_add_f64 v[26:27], v[26:27], v[78:79]
	v_add_f64 v[26:27], v[26:27], v[210:211]
	v_add_f64 v[22:23], v[26:27], v[22:23]
	v_add_f64 v[18:19], v[22:23], v[18:19]
	v_add_f64 v[14:15], v[18:19], v[14:15]
	v_add_f64 v[10:11], v[14:15], v[10:11]
	v_add_f64 v[10:11], v[10:11], v[16:17]
	v_add_f64 v[8:9], v[10:11], v[8:9]
	v_add_f64 v[8:9], v[8:9], v[20:21]
	v_add_f64 v[6:7], v[8:9], v[6:7]
	v_add_f64 v[6:7], v[6:7], v[12:13]
	ds_read_b128 v[228:231], v1 offset:1696
	s_waitcnt vmcnt(57) lgkmcnt(4)
	v_mul_f64 v[24:25], v[38:39], v[162:163]
	s_waitcnt vmcnt(55)
	v_fmac_f64_e32 v[24:25], v[40:41], v[164:165]
	v_add_f64 v[4:5], v[4:5], v[24:25]
	v_mul_f64 v[24:25], v[220:221], v[254:255]
	v_fma_f64 v[24:25], v[218:219], v[50:51], -v[24:25]
	ds_read_b128 v[50:53], v1 offset:1584
	s_waitcnt vmcnt(53) lgkmcnt(4)
	v_mul_f64 v[54:55], v[46:47], v[158:159]
	s_waitcnt vmcnt(52)
	v_fmac_f64_e32 v[54:55], v[48:49], v[166:167]
	v_add_f64 v[4:5], v[4:5], v[54:55]
	ds_read_b128 v[54:57], v1 offset:1600
	v_fma_f64 v[254:255], v[222:223], v[252:253], -v[58:59]
	ds_read_b128 v[58:61], v1 offset:1616
	s_waitcnt vmcnt(48) lgkmcnt(2)
	v_mul_f64 v[66:67], v[50:51], v[174:175]
	s_waitcnt vmcnt(46)
	v_fmac_f64_e32 v[66:67], v[52:53], v[176:177]
	v_add_f64 v[4:5], v[4:5], v[66:67]
	s_waitcnt lgkmcnt(1)
	v_mul_f64 v[66:67], v[54:55], v[160:161]
	s_waitcnt vmcnt(44)
	v_fmac_f64_e32 v[66:67], v[56:57], v[172:173]
	v_add_f64 v[4:5], v[4:5], v[66:67]
	s_waitcnt vmcnt(40) lgkmcnt(0)
	v_mul_f64 v[66:67], v[58:59], v[178:179]
	s_waitcnt vmcnt(38)
	v_fmac_f64_e32 v[66:67], v[60:61], v[180:181]
	v_add_f64 v[4:5], v[4:5], v[66:67]
	s_waitcnt vmcnt(37)
	v_mul_f64 v[66:67], v[62:63], v[168:169]
	s_waitcnt vmcnt(36)
	v_fmac_f64_e32 v[66:67], v[64:65], v[170:171]
	v_add_f64 v[4:5], v[4:5], v[66:67]
	ds_read_b128 v[66:69], v1 offset:1648
	s_waitcnt vmcnt(29)
	v_mul_f64 v[82:83], v[70:71], v[188:189]
	s_waitcnt vmcnt(28)
	v_fmac_f64_e32 v[82:83], v[72:73], v[190:191]
	v_fma_f64 v[252:253], v[246:247], v[96:97], -v[94:95]
	ds_read_b128 v[94:97], v1 offset:1760
	s_waitcnt lgkmcnt(1)
	v_mul_f64 v[74:75], v[66:67], v[182:183]
	v_fmac_f64_e32 v[74:75], v[68:69], v[184:185]
	v_add_f64 v[4:5], v[4:5], v[74:75]
	v_mul_f64 v[74:75], v[236:237], v[104:105]
	v_fma_f64 v[106:107], v[234:235], v[106:107], -v[74:75]
	ds_read_b128 v[74:77], v1 offset:1680
	v_add_f64 v[4:5], v[4:5], v[82:83]
	v_mul_f64 v[82:83], v[240:241], v[88:89]
	v_fma_f64 v[2:3], v[238:239], v[92:93], -v[82:83]
	ds_read_b128 v[82:85], v1 offset:1712
	s_waitcnt vmcnt(25) lgkmcnt(1)
	v_mul_f64 v[28:29], v[74:75], v[192:193]
	s_waitcnt vmcnt(23)
	v_fmac_f64_e32 v[28:29], v[76:77], v[198:199]
	v_add_f64 v[4:5], v[4:5], v[28:29]
	s_waitcnt vmcnt(22)
	v_mul_f64 v[28:29], v[228:229], v[186:187]
	s_waitcnt vmcnt(20)
	v_fmac_f64_e32 v[28:29], v[230:231], v[196:197]
	v_add_f64 v[28:29], v[4:5], v[28:29]
	s_waitcnt vmcnt(18) lgkmcnt(0)
	v_mul_f64 v[86:87], v[82:83], v[194:195]
	v_mul_f64 v[4:5], v[244:245], v[90:91]
	ds_read_b128 v[90:93], v1 offset:1728
	s_waitcnt vmcnt(16)
	v_fmac_f64_e32 v[86:87], v[84:85], v[200:201]
	v_add_f64 v[28:29], v[28:29], v[86:87]
	ds_read_b128 v[86:89], v1 offset:1744
	v_fma_f64 v[4:5], v[242:243], v[98:99], -v[4:5]
	s_waitcnt vmcnt(13) lgkmcnt(1)
	v_mul_f64 v[98:99], v[90:91], v[204:205]
	s_waitcnt vmcnt(12)
	v_fmac_f64_e32 v[98:99], v[92:93], v[206:207]
	v_add_f64 v[28:29], v[28:29], v[98:99]
	s_waitcnt vmcnt(9) lgkmcnt(0)
	v_mul_f64 v[98:99], v[86:87], v[80:81]
	s_waitcnt vmcnt(7)
	v_fmac_f64_e32 v[98:99], v[88:89], v[212:213]
	v_add_f64 v[28:29], v[28:29], v[98:99]
	s_waitcnt vmcnt(5)
	v_mul_f64 v[98:99], v[94:95], v[202:203]
	s_waitcnt vmcnt(4)
	v_fmac_f64_e32 v[98:99], v[96:97], v[208:209]
	v_add_f64 v[28:29], v[28:29], v[98:99]
	ds_read_b128 v[98:101], v1 offset:1776
	buffer_load_dword v218, off, s[0:3], 0 offset:888
	buffer_load_dword v219, off, s[0:3], 0 offset:892
	;; [unrolled: 1-line block ×4, first 2 shown]
	v_add_f64 v[6:7], v[6:7], v[24:25]
	v_add_f64 v[6:7], v[6:7], v[254:255]
	v_add_f64 v[6:7], v[6:7], v[250:251]
	s_waitcnt vmcnt(6) lgkmcnt(0)
	v_mul_f64 v[102:103], v[98:99], v[214:215]
	s_waitcnt vmcnt(4)
	v_fmac_f64_e32 v[102:103], v[100:101], v[216:217]
	v_add_f64 v[28:29], v[28:29], v[102:103]
	ds_read_b128 v[102:105], v1 offset:1792
	buffer_load_dword v223, off, s[0:3], 0 offset:908
	buffer_load_dword v222, off, s[0:3], 0 offset:904
	;; [unrolled: 1-line block ×4, first 2 shown]
	ds_read_b128 v[224:227], v1 offset:1808
	buffer_load_dword v236, off, s[0:3], 0 offset:920
	buffer_load_dword v237, off, s[0:3], 0 offset:924
	;; [unrolled: 1-line block ×4, first 2 shown]
	v_add_f64 v[6:7], v[6:7], v[232:233]
	v_add_f64 v[6:7], v[6:7], v[106:107]
	;; [unrolled: 1-line block ×4, first 2 shown]
	v_accvgpr_read_b32 v4, a174
	v_accvgpr_read_b32 v5, a175
	;; [unrolled: 1-line block ×3, first 2 shown]
	v_mul_f64 v[4:5], v[148:149], v[4:5]
	v_accvgpr_read_b32 v7, a177
	v_add_f64 v[2:3], v[2:3], v[252:253]
	v_fma_f64 v[4:5], v[146:147], v[6:7], -v[4:5]
	v_add_f64 v[2:3], v[2:3], v[4:5]
	v_accvgpr_read_b32 v4, a178
	v_accvgpr_read_b32 v5, a179
	v_accvgpr_read_b32 v6, a180
	v_mul_f64 v[4:5], v[144:145], v[4:5]
	v_accvgpr_read_b32 v7, a181
	v_fma_f64 v[4:5], v[142:143], v[6:7], -v[4:5]
	v_add_f64 v[2:3], v[2:3], v[4:5]
	v_accvgpr_read_b32 v4, a182
	v_accvgpr_read_b32 v5, a183
	v_accvgpr_read_b32 v6, a184
	v_mul_f64 v[4:5], v[140:141], v[4:5]
	v_accvgpr_read_b32 v7, a185
	v_fma_f64 v[4:5], v[138:139], v[6:7], -v[4:5]
	v_add_f64 v[2:3], v[2:3], v[4:5]
	v_accvgpr_read_b32 v4, a186
	v_accvgpr_read_b32 v5, a187
	v_accvgpr_read_b32 v6, a188
	v_mul_f64 v[4:5], v[136:137], v[4:5]
	v_accvgpr_read_b32 v7, a189
	v_fma_f64 v[4:5], v[134:135], v[6:7], -v[4:5]
	v_add_f64 v[2:3], v[2:3], v[4:5]
	v_accvgpr_read_b32 v4, a190
	v_accvgpr_read_b32 v5, a191
	v_accvgpr_read_b32 v6, a192
	v_mul_f64 v[4:5], v[132:133], v[4:5]
	v_accvgpr_read_b32 v7, a193
	v_fma_f64 v[4:5], v[130:131], v[6:7], -v[4:5]
	v_add_f64 v[2:3], v[2:3], v[4:5]
	v_accvgpr_read_b32 v4, a194
	v_accvgpr_read_b32 v5, a195
	v_accvgpr_read_b32 v6, a196
	v_mul_f64 v[4:5], v[128:129], v[4:5]
	v_accvgpr_read_b32 v7, a197
	v_fma_f64 v[4:5], v[126:127], v[6:7], -v[4:5]
	v_add_f64 v[2:3], v[2:3], v[4:5]
	v_mul_f64 v[4:5], v[124:125], v[150:151]
	v_fma_f64 v[4:5], v[122:123], v[152:153], -v[4:5]
	v_accvgpr_read_b32 v6, a198
	v_add_f64 v[2:3], v[2:3], v[4:5]
	v_mul_f64 v[4:5], v[120:121], v[36:37]
	v_accvgpr_read_b32 v7, a199
	v_fma_f64 v[4:5], v[118:119], v[6:7], -v[4:5]
	v_add_f64 v[2:3], v[2:3], v[4:5]
	v_mul_f64 v[4:5], v[32:33], v[154:155]
	v_fma_f64 v[4:5], v[30:31], v[156:157], -v[4:5]
	v_add_f64 v[2:3], v[2:3], v[4:5]
	v_accvgpr_read_b32 v4, a200
	v_accvgpr_read_b32 v5, a201
	v_mul_f64 v[4:5], v[44:45], v[4:5]
	v_fma_f64 v[4:5], v[42:43], v[34:35], -v[4:5]
	v_add_f64 v[2:3], v[2:3], v[4:5]
	v_mul_f64 v[4:5], v[40:41], v[162:163]
	v_fma_f64 v[4:5], v[38:39], v[164:165], -v[4:5]
	v_add_f64 v[2:3], v[2:3], v[4:5]
	v_mul_f64 v[4:5], v[48:49], v[158:159]
	s_waitcnt vmcnt(10) lgkmcnt(1)
	v_mul_f64 v[110:111], v[102:103], v[218:219]
	v_fma_f64 v[4:5], v[46:47], v[166:167], -v[4:5]
	s_waitcnt vmcnt(8)
	v_fmac_f64_e32 v[110:111], v[104:105], v[220:221]
	v_add_f64 v[28:29], v[28:29], v[110:111]
	v_add_f64 v[2:3], v[2:3], v[4:5]
	v_mul_f64 v[4:5], v[52:53], v[174:175]
	v_fma_f64 v[4:5], v[50:51], v[176:177], -v[4:5]
	v_add_f64 v[2:3], v[2:3], v[4:5]
	s_waitcnt vmcnt(6) lgkmcnt(0)
	v_mul_f64 v[110:111], v[224:225], v[222:223]
	v_mul_f64 v[4:5], v[56:57], v[160:161]
	s_waitcnt vmcnt(4)
	v_fmac_f64_e32 v[110:111], v[226:227], v[234:235]
	v_add_f64 v[28:29], v[28:29], v[110:111]
	ds_read_b128 v[110:113], v1 offset:1824
	buffer_load_dword v243, off, s[0:3], 0 offset:940
	buffer_load_dword v242, off, s[0:3], 0 offset:936
	;; [unrolled: 1-line block ×4, first 2 shown]
	v_fma_f64 v[4:5], v[54:55], v[172:173], -v[4:5]
	v_add_f64 v[2:3], v[2:3], v[4:5]
	v_mul_f64 v[4:5], v[60:61], v[178:179]
	s_waitcnt vmcnt(6) lgkmcnt(0)
	v_mul_f64 v[114:115], v[110:111], v[236:237]
	s_waitcnt vmcnt(4)
	v_fmac_f64_e32 v[114:115], v[112:113], v[238:239]
	v_add_f64 v[28:29], v[28:29], v[114:115]
	ds_read_b128 v[114:117], v1 offset:1840
	buffer_load_dword v248, off, s[0:3], 0 offset:128
	buffer_load_dword v249, off, s[0:3], 0 offset:132
	;; [unrolled: 1-line block ×4, first 2 shown]
	v_fma_f64 v[4:5], v[58:59], v[180:181], -v[4:5]
	v_add_f64 v[2:3], v[2:3], v[4:5]
	v_mul_f64 v[4:5], v[64:65], v[168:169]
	v_fma_f64 v[4:5], v[62:63], v[170:171], -v[4:5]
	v_add_f64 v[2:3], v[2:3], v[4:5]
	v_mul_f64 v[4:5], v[68:69], v[182:183]
	;; [unrolled: 3-line block ×13, first 2 shown]
	v_fma_f64 v[4:5], v[110:111], v[238:239], -v[4:5]
	v_add_f64 v[2:3], v[2:3], v[4:5]
	v_accvgpr_write_b32 a174, v0
	s_waitcnt vmcnt(6) lgkmcnt(0)
	v_mul_f64 v[4:5], v[116:117], v[242:243]
	v_mul_f64 v[240:241], v[114:115], v[242:243]
	s_waitcnt vmcnt(4)
	v_fma_f64 v[4:5], v[114:115], v[244:245], -v[4:5]
	v_fmac_f64_e32 v[240:241], v[116:117], v[244:245]
	v_add_f64 v[2:3], v[2:3], v[4:5]
	v_add_f64 v[240:241], v[28:29], v[240:241]
	s_waitcnt vmcnt(2)
	v_add_f64 v[2:3], v[248:249], -v[2:3]
	s_waitcnt vmcnt(0)
	v_add_f64 v[4:5], v[246:247], -v[240:241]
	buffer_store_dword v3, off, s[0:3], 0 offset:132
	buffer_store_dword v2, off, s[0:3], 0 offset:128
	;; [unrolled: 1-line block ×4, first 2 shown]
	s_and_saveexec_b64 s[4:5], vcc
	s_cbranch_execz .LBB57_349
; %bb.348:
	v_accvgpr_read_b32 v1, a167
	buffer_load_dword v2, v1, s[0:3], 0 offen
	buffer_load_dword v3, v1, s[0:3], 0 offen offset:4
	buffer_load_dword v4, v1, s[0:3], 0 offen offset:8
	;; [unrolled: 1-line block ×3, first 2 shown]
	v_mov_b32_e32 v1, 0
	v_accvgpr_read_b32 v6, a173
	buffer_store_dword v1, off, s[0:3], 0 offset:112
	buffer_store_dword v1, off, s[0:3], 0 offset:116
	;; [unrolled: 1-line block ×4, first 2 shown]
	s_waitcnt vmcnt(4)
	ds_write_b128 v6, v[2:5]
.LBB57_349:
	s_or_b64 exec, exec, s[4:5]
	v_mov_b32_e32 v142, 0
	s_waitcnt lgkmcnt(0)
	; wave barrier
	s_waitcnt lgkmcnt(0)
	buffer_load_dword v30, off, s[0:3], 0 offset:128
	buffer_load_dword v31, off, s[0:3], 0 offset:132
	;; [unrolled: 1-line block ×54, first 2 shown]
	ds_read_b128 v[114:117], v142 offset:1040
	ds_read_b128 v[156:159], v142 offset:1056
	;; [unrolled: 1-line block ×9, first 2 shown]
	buffer_load_dword v109, off, s[0:3], 0 offset:356
	buffer_load_dword v108, off, s[0:3], 0 offset:352
	;; [unrolled: 1-line block ×32, first 2 shown]
	s_waitcnt vmcnt(62) lgkmcnt(8)
	v_mul_f64 v[2:3], v[114:115], v[32:33]
	v_fmac_f64_e32 v[2:3], v[116:117], v[30:31]
	v_add_f64 v[2:3], v[2:3], 0
	v_mul_f64 v[32:33], v[116:117], v[32:33]
	s_waitcnt lgkmcnt(7)
	v_mul_f64 v[4:5], v[156:157], v[38:39]
	v_fmac_f64_e32 v[4:5], v[158:159], v[36:37]
	s_waitcnt lgkmcnt(6)
	v_mul_f64 v[6:7], v[166:167], v[34:35]
	v_add_f64 v[2:3], v[2:3], v[4:5]
	s_waitcnt lgkmcnt(4)
	v_mul_f64 v[10:11], v[174:175], v[40:41]
	v_fma_f64 v[254:255], v[114:115], v[30:31], -v[32:33]
	v_fmac_f64_e32 v[10:11], v[176:177], v[42:43]
	v_mul_f64 v[38:39], v[158:159], v[38:39]
	v_mul_f64 v[8:9], v[170:171], v[44:45]
	s_waitcnt lgkmcnt(2)
	v_mul_f64 v[14:15], v[182:183], v[48:49]
	v_fmac_f64_e32 v[14:15], v[184:185], v[50:51]
	v_mul_f64 v[12:13], v[178:179], v[56:57]
	s_waitcnt lgkmcnt(1)
	v_mul_f64 v[16:17], v[186:187], v[52:53]
	s_waitcnt vmcnt(60)
	v_fmac_f64_e32 v[6:7], v[168:169], v[62:63]
	v_add_f64 v[2:3], v[2:3], v[6:7]
	s_waitcnt vmcnt(58)
	v_fmac_f64_e32 v[8:9], v[172:173], v[60:61]
	v_add_f64 v[2:3], v[2:3], v[8:9]
	;; [unrolled: 3-line block ×3, first 2 shown]
	v_add_f64 v[2:3], v[2:3], v[12:13]
	v_add_f64 v[2:3], v[2:3], v[14:15]
	s_waitcnt vmcnt(54)
	v_fmac_f64_e32 v[16:17], v[188:189], v[54:55]
	v_add_f64 v[2:3], v[2:3], v[16:17]
	s_waitcnt vmcnt(50) lgkmcnt(0)
	v_mul_f64 v[4:5], v[190:191], v[46:47]
	v_fmac_f64_e32 v[4:5], v[192:193], v[64:65]
	v_add_f64 v[2:3], v[2:3], v[4:5]
	s_waitcnt vmcnt(0)
	v_pk_mov_b32 v[14:15], v[0:1], v[0:1] op_sel:[0,1]
	buffer_load_dword v1, off, s[0:3], 0 offset:484
	buffer_load_dword v0, off, s[0:3], 0 offset:480
	v_accvgpr_write_b32 a177, v15
	v_accvgpr_write_b32 a176, v14
	s_waitcnt vmcnt(0)
	v_pk_mov_b32 v[18:19], v[0:1], v[0:1] op_sel:[0,1]
	buffer_load_dword v95, off, s[0:3], 0 offset:476
	buffer_load_dword v94, off, s[0:3], 0 offset:472
	;; [unrolled: 1-line block ×6, first 2 shown]
	v_accvgpr_write_b32 a179, v19
	v_accvgpr_write_b32 a178, v18
	s_waitcnt vmcnt(0)
	v_pk_mov_b32 v[22:23], v[0:1], v[0:1] op_sel:[0,1]
	buffer_load_dword v1, off, s[0:3], 0 offset:516
	buffer_load_dword v0, off, s[0:3], 0 offset:512
	v_accvgpr_write_b32 a185, v23
	v_accvgpr_write_b32 a184, v22
	s_waitcnt vmcnt(0)
	v_pk_mov_b32 v[24:25], v[0:1], v[0:1] op_sel:[0,1]
	buffer_load_dword v1, off, s[0:3], 0 offset:508
	buffer_load_dword v0, off, s[0:3], 0 offset:504
	;; [unrolled: 6-line block ×11, first 2 shown]
	ds_read_b128 v[194:197], v142 offset:1184
	ds_read_b128 v[198:201], v142 offset:1200
	;; [unrolled: 1-line block ×8, first 2 shown]
	s_waitcnt lgkmcnt(7)
	v_mul_f64 v[4:5], v[194:195], v[70:71]
	v_fmac_f64_e32 v[4:5], v[196:197], v[72:73]
	v_add_f64 v[2:3], v[2:3], v[4:5]
	s_waitcnt lgkmcnt(6)
	v_mul_f64 v[4:5], v[198:199], v[66:67]
	v_fmac_f64_e32 v[4:5], v[200:201], v[68:69]
	v_add_f64 v[2:3], v[2:3], v[4:5]
	;; [unrolled: 4-line block ×8, first 2 shown]
	v_accvgpr_write_b32 a197, v155
	v_accvgpr_write_b32 a196, v154
	s_waitcnt vmcnt(0)
	v_pk_mov_b32 v[164:165], v[0:1], v[0:1] op_sel:[0,1]
	buffer_load_dword v1, off, s[0:3], 0 offset:620
	buffer_load_dword v153, off, s[0:3], 0 offset:604
	buffer_load_dword v152, off, s[0:3], 0 offset:600
	buffer_load_dword v151, off, s[0:3], 0 offset:596
	buffer_load_dword v150, off, s[0:3], 0 offset:592
	buffer_load_dword v0, off, s[0:3], 0 offset:616
	buffer_load_dword v149, off, s[0:3], 0 offset:612
	buffer_load_dword v148, off, s[0:3], 0 offset:608
	ds_read_b128 v[230:233], v142 offset:1312
	ds_read_b128 v[234:237], v142 offset:1328
	;; [unrolled: 1-line block ×6, first 2 shown]
	s_waitcnt lgkmcnt(5)
	v_mul_f64 v[4:5], v[230:231], v[102:103]
	v_fmac_f64_e32 v[4:5], v[232:233], v[106:107]
	v_add_f64 v[2:3], v[2:3], v[4:5]
	s_waitcnt lgkmcnt(4)
	v_mul_f64 v[4:5], v[234:235], v[78:79]
	v_fmac_f64_e32 v[4:5], v[236:237], v[80:81]
	v_add_f64 v[2:3], v[2:3], v[4:5]
	s_waitcnt lgkmcnt(3)
	v_mul_f64 v[4:5], v[238:239], v[82:83]
	ds_read_b128 v[134:137], v142 offset:1408
	ds_read_b128 v[130:133], v142 offset:1424
	v_fmac_f64_e32 v[4:5], v[240:241], v[84:85]
	v_add_f64 v[2:3], v[2:3], v[4:5]
	s_waitcnt lgkmcnt(4)
	v_mul_f64 v[4:5], v[242:243], v[86:87]
	ds_read_b128 v[126:129], v142 offset:1440
	ds_read_b128 v[122:125], v142 offset:1456
	v_fmac_f64_e32 v[4:5], v[244:245], v[88:89]
	s_waitcnt lgkmcnt(5)
	v_mul_f64 v[8:9], v[246:247], v[94:95]
	v_add_f64 v[6:7], v[2:3], v[4:5]
	v_fmac_f64_e32 v[8:9], v[248:249], v[96:97]
	s_waitcnt lgkmcnt(4)
	v_mul_f64 v[12:13], v[144:145], v[14:15]
	v_add_f64 v[10:11], v[6:7], v[8:9]
	;; [unrolled: 4-line block ×5, first 2 shown]
	v_fmac_f64_e32 v[28:29], v[128:129], v[140:141]
	ds_read_b128 v[138:141], v142 offset:1472
	v_add_f64 v[26:27], v[26:27], v[28:29]
	s_waitcnt lgkmcnt(1)
	v_mul_f64 v[28:29], v[122:123], v[118:119]
	v_fmac_f64_e32 v[28:29], v[124:125], v[120:121]
	ds_read_b128 v[118:121], v142 offset:1488
	v_add_f64 v[26:27], v[26:27], v[28:29]
	s_waitcnt lgkmcnt(1)
	v_mul_f64 v[28:29], v[138:139], v[154:155]
	v_fmac_f64_e32 v[28:29], v[140:141], v[164:165]
	v_accvgpr_write_b32 a199, v165
	s_waitcnt lgkmcnt(0)
	v_mul_f64 v[114:115], v[118:119], v[160:161]
	v_add_f64 v[154:155], v[26:27], v[28:29]
	v_fmac_f64_e32 v[114:115], v[120:121], v[162:163]
	v_accvgpr_write_b32 a198, v164
	ds_read_b128 v[30:33], v142 offset:1504
	v_add_f64 v[114:115], v[154:155], v[114:115]
	buffer_load_dword v155, off, s[0:3], 0 offset:652
	buffer_load_dword v154, off, s[0:3], 0 offset:648
	v_fma_f64 v[26:27], v[156:157], v[36:37], -v[38:39]
	buffer_load_dword v157, off, s[0:3], 0 offset:644
	buffer_load_dword v156, off, s[0:3], 0 offset:640
	;; [unrolled: 1-line block ×6, first 2 shown]
	v_mul_f64 v[4:5], v[168:169], v[34:35]
	v_fma_f64 v[24:25], v[166:167], v[62:63], -v[4:5]
	buffer_load_dword v158, off, s[0:3], 0 offset:680
	buffer_load_dword v163, off, s[0:3], 0 offset:668
	;; [unrolled: 1-line block ×5, first 2 shown]
	v_mul_f64 v[34:35], v[172:173], v[44:45]
	v_fma_f64 v[116:117], v[170:171], v[60:61], -v[34:35]
	ds_read_b128 v[34:37], v142 offset:1520
	buffer_load_dword v168, off, s[0:3], 0 offset:672
	buffer_load_dword v159, off, s[0:3], 0 offset:684
	;; [unrolled: 1-line block ×3, first 2 shown]
	v_mul_f64 v[8:9], v[184:185], v[48:49]
	v_fma_f64 v[18:19], v[182:183], v[50:51], -v[8:9]
	v_mul_f64 v[12:13], v[192:193], v[46:47]
	v_fma_f64 v[12:13], v[190:191], v[64:65], -v[12:13]
	;; [unrolled: 2-line block ×6, first 2 shown]
	s_waitcnt vmcnt(21) lgkmcnt(1)
	v_mul_f64 v[38:39], v[30:31], v[152:153]
	v_mul_f64 v[82:83], v[240:241], v[82:83]
	s_waitcnt vmcnt(19)
	v_fmac_f64_e32 v[38:39], v[32:33], v[150:151]
	s_waitcnt vmcnt(18) lgkmcnt(0)
	v_mul_f64 v[44:45], v[34:35], v[0:1]
	v_add_f64 v[38:39], v[114:115], v[38:39]
	s_waitcnt vmcnt(16)
	v_fmac_f64_e32 v[44:45], v[36:37], v[148:149]
	v_add_f64 v[60:61], v[38:39], v[44:45]
	v_mul_f64 v[38:39], v[176:177], v[40:41]
	v_fma_f64 v[114:115], v[174:175], v[42:43], -v[38:39]
	buffer_load_dword v171, off, s[0:3], 0 offset:716
	buffer_load_dword v173, off, s[0:3], 0 offset:700
	;; [unrolled: 1-line block ×8, first 2 shown]
	v_mul_f64 v[38:39], v[180:181], v[56:57]
	v_fma_f64 v[22:23], v[178:179], v[58:59], -v[38:39]
	ds_read_b128 v[38:41], v142 offset:1536
	buffer_load_dword v179, off, s[0:3], 0 offset:732
	buffer_load_dword v178, off, s[0:3], 0 offset:728
	;; [unrolled: 1-line block ×4, first 2 shown]
	v_mul_f64 v[42:43], v[188:189], v[52:53]
	v_fma_f64 v[14:15], v[186:187], v[54:55], -v[42:43]
	buffer_load_dword v183, off, s[0:3], 0 offset:748
	buffer_load_dword v182, off, s[0:3], 0 offset:744
	;; [unrolled: 1-line block ×9, first 2 shown]
	v_mul_f64 v[42:43], v[196:197], v[70:71]
	buffer_load_dword v192, off, s[0:3], 0 offset:768
	buffer_load_dword v191, off, s[0:3], 0 offset:780
	;; [unrolled: 1-line block ×3, first 2 shown]
	v_fma_f64 v[70:71], v[194:195], v[72:73], -v[42:43]
	v_mul_f64 v[42:43], v[200:201], v[66:67]
	buffer_load_dword v195, off, s[0:3], 0 offset:796
	buffer_load_dword v194, off, s[0:3], 0 offset:792
	;; [unrolled: 1-line block ×4, first 2 shown]
	v_fma_f64 v[72:73], v[198:199], v[68:69], -v[42:43]
	v_mul_f64 v[42:43], v[204:205], v[100:101]
	v_fma_f64 v[10:11], v[202:203], v[104:105], -v[42:43]
	buffer_load_dword v201, off, s[0:3], 0 offset:812
	buffer_load_dword v200, off, s[0:3], 0 offset:808
	;; [unrolled: 1-line block ×16, first 2 shown]
	ds_read_b128 v[42:45], v142 offset:1552
	ds_read_b128 v[46:49], v142 offset:1568
	v_mul_f64 v[54:55], v[220:221], v[74:75]
	v_fma_f64 v[250:251], v[218:219], v[108:109], -v[54:55]
	ds_read_b128 v[54:57], v142 offset:1600
	v_mul_f64 v[58:59], v[224:225], v[110:111]
	v_fma_f64 v[8:9], v[222:223], v[112:113], -v[58:59]
	v_mul_f64 v[66:67], v[228:229], v[90:91]
	v_fma_f64 v[214:215], v[226:227], v[98:99], -v[66:67]
	ds_read_b128 v[66:69], v142 offset:1648
	v_fma_f64 v[2:3], v[238:239], v[84:85], -v[82:83]
	ds_read_b128 v[82:85], v142 offset:1712
	v_mul_f64 v[86:87], v[244:245], v[86:87]
	v_fma_f64 v[240:241], v[242:243], v[88:89], -v[86:87]
	ds_read_b128 v[86:89], v142 offset:1728
	v_mul_f64 v[94:95], v[248:249], v[94:95]
	v_fma_f64 v[232:233], v[246:247], v[96:97], -v[94:95]
	ds_read_b128 v[228:231], v142 offset:1664
	ds_read_b128 v[78:81], v142 offset:1696
	ds_read_b128 v[94:97], v142 offset:1760
	s_waitcnt vmcnt(54) lgkmcnt(9)
	v_mul_f64 v[50:51], v[38:39], v[160:161]
	s_waitcnt lgkmcnt(8)
	v_mul_f64 v[52:53], v[42:43], v[154:155]
	s_waitcnt vmcnt(52)
	v_fmac_f64_e32 v[50:51], v[40:41], v[164:165]
	v_add_f64 v[50:51], v[60:61], v[50:51]
	v_fmac_f64_e32 v[52:53], v[44:45], v[156:157]
	v_add_f64 v[50:51], v[50:51], v[52:53]
	s_waitcnt vmcnt(49) lgkmcnt(7)
	v_mul_f64 v[52:53], v[46:47], v[162:163]
	s_waitcnt vmcnt(47)
	v_fmac_f64_e32 v[52:53], v[48:49], v[166:167]
	v_add_f64 v[62:63], v[50:51], v[52:53]
	ds_read_b128 v[50:53], v142 offset:1584
	ds_read_b128 v[58:61], v142 offset:1616
	s_waitcnt vmcnt(45) lgkmcnt(1)
	v_mul_f64 v[64:65], v[50:51], v[158:159]
	s_waitcnt vmcnt(44)
	v_fmac_f64_e32 v[64:65], v[52:53], v[168:169]
	v_add_f64 v[20:21], v[62:63], v[64:65]
	s_waitcnt vmcnt(41)
	v_mul_f64 v[62:63], v[54:55], v[172:173]
	s_waitcnt vmcnt(39)
	v_fmac_f64_e32 v[62:63], v[56:57], v[176:177]
	v_add_f64 v[20:21], v[20:21], v[62:63]
	s_waitcnt vmcnt(38) lgkmcnt(0)
	v_mul_f64 v[62:63], v[58:59], v[170:171]
	s_waitcnt vmcnt(36)
	v_fmac_f64_e32 v[62:63], v[60:61], v[174:175]
	v_add_f64 v[20:21], v[20:21], v[62:63]
	ds_read_b128 v[62:65], v142 offset:1632
	s_waitcnt vmcnt(34) lgkmcnt(0)
	v_mul_f64 v[74:75], v[62:63], v[178:179]
	s_waitcnt vmcnt(32)
	v_fmac_f64_e32 v[74:75], v[64:65], v[180:181]
	v_add_f64 v[20:21], v[20:21], v[74:75]
	s_waitcnt vmcnt(30)
	v_mul_f64 v[74:75], v[66:67], v[182:183]
	s_waitcnt vmcnt(28)
	v_fmac_f64_e32 v[74:75], v[68:69], v[186:187]
	v_add_f64 v[20:21], v[20:21], v[74:75]
	s_waitcnt vmcnt(26)
	v_mul_f64 v[74:75], v[228:229], v[184:185]
	s_waitcnt vmcnt(24)
	v_fmac_f64_e32 v[74:75], v[230:231], v[188:189]
	v_add_f64 v[20:21], v[20:21], v[74:75]
	ds_read_b128 v[74:77], v142 offset:1680
	s_waitcnt vmcnt(18)
	v_mul_f64 v[28:29], v[78:79], v[194:195]
	s_waitcnt vmcnt(16)
	v_fmac_f64_e32 v[28:29], v[80:81], v[196:197]
	s_waitcnt vmcnt(9)
	v_mul_f64 v[98:99], v[86:87], v[204:205]
	s_waitcnt vmcnt(7)
	v_fmac_f64_e32 v[98:99], v[88:89], v[210:211]
	s_waitcnt lgkmcnt(0)
	v_mul_f64 v[90:91], v[74:75], v[190:191]
	v_fmac_f64_e32 v[90:91], v[76:77], v[192:193]
	v_add_f64 v[90:91], v[20:21], v[90:91]
	v_add_f64 v[28:29], v[90:91], v[28:29]
	v_mul_f64 v[90:91], v[82:83], v[200:201]
	buffer_load_dword v20, off, s[0:3], 0 offset:872
	v_fmac_f64_e32 v[90:91], v[84:85], v[202:203]
	v_add_f64 v[28:29], v[28:29], v[90:91]
	ds_read_b128 v[90:93], v142 offset:1744
	buffer_load_dword v216, off, s[0:3], 0 offset:864
	buffer_load_dword v21, off, s[0:3], 0 offset:876
	;; [unrolled: 1-line block ×3, first 2 shown]
	v_add_f64 v[28:29], v[28:29], v[98:99]
	s_waitcnt vmcnt(10) lgkmcnt(0)
	v_mul_f64 v[98:99], v[90:91], v[198:199]
	s_waitcnt vmcnt(8)
	v_fmac_f64_e32 v[98:99], v[92:93], v[208:209]
	v_add_f64 v[28:29], v[28:29], v[98:99]
	s_waitcnt vmcnt(6)
	v_mul_f64 v[98:99], v[94:95], v[206:207]
	s_waitcnt vmcnt(4)
	v_fmac_f64_e32 v[98:99], v[96:97], v[212:213]
	v_add_f64 v[28:29], v[28:29], v[98:99]
	ds_read_b128 v[98:101], v142 offset:1776
	buffer_load_dword v219, off, s[0:3], 0 offset:892
	buffer_load_dword v218, off, s[0:3], 0 offset:888
	buffer_load_dword v221, off, s[0:3], 0 offset:884
	buffer_load_dword v220, off, s[0:3], 0 offset:880
	s_waitcnt vmcnt(5) lgkmcnt(0)
	v_mul_f64 v[102:103], v[98:99], v[20:21]
	s_waitcnt vmcnt(4)
	v_fmac_f64_e32 v[102:103], v[100:101], v[216:217]
	v_add_f64 v[28:29], v[28:29], v[102:103]
	ds_read_b128 v[102:105], v142 offset:1792
	buffer_load_dword v222, off, s[0:3], 0 offset:904
	buffer_load_dword v223, off, s[0:3], 0 offset:908
	buffer_load_dword v234, off, s[0:3], 0 offset:896
	buffer_load_dword v235, off, s[0:3], 0 offset:900
	s_waitcnt vmcnt(6) lgkmcnt(0)
	;; [unrolled: 10-line block ×4, first 2 shown]
	v_mul_f64 v[224:225], v[110:111], v[236:237]
	s_waitcnt vmcnt(4)
	v_fmac_f64_e32 v[224:225], v[112:113], v[238:239]
	v_add_f64 v[28:29], v[28:29], v[224:225]
	ds_read_b128 v[224:227], v142 offset:1840
	buffer_load_dword v248, off, s[0:3], 0 offset:112
	buffer_load_dword v249, off, s[0:3], 0 offset:116
	s_waitcnt vmcnt(4) lgkmcnt(0)
	v_mul_f64 v[246:247], v[224:225], v[242:243]
	s_waitcnt vmcnt(2)
	v_fmac_f64_e32 v[246:247], v[226:227], v[244:245]
	v_add_f64 v[28:29], v[28:29], v[246:247]
	v_add_f64 v[246:247], v[254:255], 0
	;; [unrolled: 1-line block ×15, first 2 shown]
	buffer_load_dword v246, off, s[0:3], 0 offset:120
	buffer_load_dword v247, off, s[0:3], 0 offset:124
	v_add_f64 v[10:11], v[10:11], v[250:251]
	v_add_f64 v[8:9], v[10:11], v[8:9]
	;; [unrolled: 1-line block ×6, first 2 shown]
	v_accvgpr_read_b32 v4, a176
	v_accvgpr_read_b32 v5, a177
	;; [unrolled: 1-line block ×3, first 2 shown]
	v_add_f64 v[252:253], v[2:3], v[240:241]
	v_mul_f64 v[4:5], v[146:147], v[4:5]
	v_accvgpr_read_b32 v7, a179
	v_add_f64 v[2:3], v[252:253], v[232:233]
	v_fma_f64 v[4:5], v[144:145], v[6:7], -v[4:5]
	v_add_f64 v[2:3], v[2:3], v[4:5]
	v_accvgpr_read_b32 v4, a180
	v_accvgpr_read_b32 v5, a181
	v_accvgpr_read_b32 v6, a182
	v_mul_f64 v[4:5], v[136:137], v[4:5]
	v_accvgpr_read_b32 v7, a183
	v_fma_f64 v[4:5], v[134:135], v[6:7], -v[4:5]
	v_add_f64 v[2:3], v[2:3], v[4:5]
	v_accvgpr_read_b32 v4, a184
	v_accvgpr_read_b32 v5, a185
	v_accvgpr_read_b32 v6, a186
	v_mul_f64 v[4:5], v[132:133], v[4:5]
	v_accvgpr_read_b32 v7, a187
	;; [unrolled: 7-line block ×6, first 2 shown]
	v_fma_f64 v[4:5], v[118:119], v[6:7], -v[4:5]
	v_add_f64 v[2:3], v[2:3], v[4:5]
	v_mul_f64 v[4:5], v[32:33], v[152:153]
	v_fma_f64 v[4:5], v[30:31], v[150:151], -v[4:5]
	v_add_f64 v[2:3], v[2:3], v[4:5]
	v_mul_f64 v[4:5], v[36:37], v[0:1]
	;; [unrolled: 3-line block ×22, first 2 shown]
	v_fma_f64 v[4:5], v[224:225], v[244:245], -v[4:5]
	v_add_f64 v[2:3], v[2:3], v[4:5]
	v_accvgpr_read_b32 v0, a174
	s_waitcnt vmcnt(2)
	v_add_f64 v[2:3], v[248:249], -v[2:3]
	v_cmp_lt_u32_e32 vcc, 5, v0
	s_waitcnt vmcnt(0)
	v_add_f64 v[4:5], v[246:247], -v[28:29]
	buffer_store_dword v3, off, s[0:3], 0 offset:116
	buffer_store_dword v2, off, s[0:3], 0 offset:112
	;; [unrolled: 1-line block ×4, first 2 shown]
	s_and_saveexec_b64 s[4:5], vcc
	s_cbranch_execz .LBB57_351
; %bb.350:
	v_accvgpr_read_b32 v5, a168
	buffer_load_dword v2, v5, s[0:3], 0 offen
	buffer_load_dword v3, v5, s[0:3], 0 offen offset:4
	buffer_load_dword v4, v5, s[0:3], 0 offen offset:8
	s_nop 0
	buffer_load_dword v5, v5, s[0:3], 0 offen offset:12
	v_accvgpr_read_b32 v6, a173
	buffer_store_dword v142, off, s[0:3], 0 offset:96
	buffer_store_dword v142, off, s[0:3], 0 offset:100
	;; [unrolled: 1-line block ×4, first 2 shown]
	s_waitcnt vmcnt(4)
	ds_write_b128 v6, v[2:5]
.LBB57_351:
	s_or_b64 exec, exec, s[4:5]
	s_waitcnt lgkmcnt(0)
	; wave barrier
	s_waitcnt lgkmcnt(0)
	buffer_load_dword v22, off, s[0:3], 0 offset:112
	buffer_load_dword v23, off, s[0:3], 0 offset:116
	;; [unrolled: 1-line block ×36, first 2 shown]
	ds_read_b128 v[18:21], v142 offset:1024
	ds_read_b128 v[26:29], v142 offset:1040
	;; [unrolled: 1-line block ×9, first 2 shown]
	buffer_load_dword v91, off, s[0:3], 0 offset:284
	buffer_load_dword v90, off, s[0:3], 0 offset:280
	;; [unrolled: 1-line block ×19, first 2 shown]
	s_waitcnt vmcnt(51) lgkmcnt(8)
	v_mul_f64 v[2:3], v[18:19], v[24:25]
	v_fmac_f64_e32 v[2:3], v[20:21], v[22:23]
	v_add_f64 v[2:3], v[2:3], 0
	v_mul_f64 v[20:21], v[20:21], v[24:25]
	s_waitcnt vmcnt(47) lgkmcnt(7)
	v_mul_f64 v[4:5], v[26:27], v[160:161]
	v_fmac_f64_e32 v[4:5], v[28:29], v[158:159]
	v_add_f64 v[2:3], v[2:3], v[4:5]
	buffer_load_dword v104, off, s[0:3], 0 offset:336
	buffer_load_dword v67, off, s[0:3], 0 offset:332
	;; [unrolled: 1-line block ×39, first 2 shown]
	s_waitcnt vmcnt(62) lgkmcnt(6)
	v_mul_f64 v[6:7], v[54:55], v[156:157]
	s_waitcnt lgkmcnt(4)
	v_mul_f64 v[10:11], v[34:35], v[166:167]
	v_fmac_f64_e32 v[10:11], v[36:37], v[168:169]
	v_fma_f64 v[24:25], v[18:19], v[22:23], -v[20:21]
	v_mul_f64 v[8:9], v[30:31], v[164:165]
	v_mul_f64 v[28:29], v[28:29], v[160:161]
	s_waitcnt lgkmcnt(2)
	v_mul_f64 v[14:15], v[50:51], v[74:75]
	v_fma_f64 v[158:159], v[26:27], v[158:159], -v[28:29]
	v_fmac_f64_e32 v[14:15], v[52:53], v[76:77]
	v_mul_f64 v[36:37], v[36:37], v[166:167]
	v_mul_f64 v[12:13], v[38:39], v[80:81]
	;; [unrolled: 1-line block ×3, first 2 shown]
	s_waitcnt lgkmcnt(1)
	v_mul_f64 v[16:17], v[46:47], v[72:73]
	v_fma_f64 v[20:21], v[50:51], v[76:77], -v[52:53]
	v_fmac_f64_e32 v[6:7], v[56:57], v[86:87]
	v_add_f64 v[2:3], v[2:3], v[6:7]
	v_fmac_f64_e32 v[8:9], v[32:33], v[84:85]
	v_add_f64 v[2:3], v[2:3], v[8:9]
	;; [unrolled: 2-line block ×3, first 2 shown]
	v_add_f64 v[2:3], v[2:3], v[12:13]
	v_add_f64 v[2:3], v[2:3], v[14:15]
	v_fmac_f64_e32 v[16:17], v[48:49], v[78:79]
	v_add_f64 v[2:3], v[2:3], v[16:17]
	v_mul_f64 v[32:33], v[32:33], v[164:165]
	v_mul_f64 v[40:41], v[40:41], v[80:81]
	v_fma_f64 v[82:83], v[38:39], v[82:83], -v[40:41]
	v_add_f64 v[24:25], v[24:25], 0
	v_add_f64 v[24:25], v[24:25], v[158:159]
	s_waitcnt vmcnt(0)
	v_pk_mov_b32 v[122:123], v[4:5], v[4:5] op_sel:[0,1]
	buffer_load_dword v5, off, s[0:3], 0 offset:500
	buffer_load_dword v4, off, s[0:3], 0 offset:496
	v_accvgpr_write_b32 a183, v123
	v_accvgpr_write_b32 a182, v122
	s_waitcnt vmcnt(0)
	v_pk_mov_b32 v[124:125], v[4:5], v[4:5] op_sel:[0,1]
	buffer_load_dword v5, off, s[0:3], 0 offset:492
	buffer_load_dword v4, off, s[0:3], 0 offset:488
	v_accvgpr_write_b32 a185, v125
	v_accvgpr_write_b32 a184, v124
	s_waitcnt vmcnt(0)
	v_pk_mov_b32 v[14:15], v[4:5], v[4:5] op_sel:[0,1]
	buffer_load_dword v5, off, s[0:3], 0 offset:484
	buffer_load_dword v4, off, s[0:3], 0 offset:480
	v_pk_mov_b32 v[144:145], v[14:15], v[14:15] op_sel:[0,1]
	s_waitcnt vmcnt(0)
	v_pk_mov_b32 v[126:127], v[4:5], v[4:5] op_sel:[0,1]
	buffer_load_dword v5, off, s[0:3], 0 offset:540
	buffer_load_dword v4, off, s[0:3], 0 offset:536
	v_accvgpr_write_b32 a181, v127
	v_accvgpr_write_b32 a180, v126
	s_waitcnt vmcnt(0)
	v_pk_mov_b32 v[172:173], v[4:5], v[4:5] op_sel:[0,1]
	buffer_load_dword v5, off, s[0:3], 0 offset:532
	buffer_load_dword v4, off, s[0:3], 0 offset:528
	v_accvgpr_write_b32 a191, v173
	v_accvgpr_write_b32 a190, v172
	;; [unrolled: 6-line block ×7, first 2 shown]
	s_waitcnt vmcnt(0)
	v_pk_mov_b32 v[186:187], v[4:5], v[4:5] op_sel:[0,1]
	buffer_load_dword v5, off, s[0:3], 0 offset:548
	buffer_load_dword v4, off, s[0:3], 0 offset:544
	ds_read_b128 v[182:185], v142 offset:1168
	ds_read_b128 v[194:197], v142 offset:1184
	;; [unrolled: 1-line block ×9, first 2 shown]
	buffer_load_dword v1, off, s[0:3], 0 offset:588
	buffer_load_dword v0, off, s[0:3], 0 offset:584
	;; [unrolled: 1-line block ×4, first 2 shown]
	ds_read_b128 v[248:251], v142 offset:1312
	buffer_load_dword v149, off, s[0:3], 0 offset:604
	buffer_load_dword v148, off, s[0:3], 0 offset:600
	;; [unrolled: 1-line block ×8, first 2 shown]
	ds_read_b128 v[252:255], v142 offset:1328
	ds_read_b128 v[118:121], v142 offset:1344
	;; [unrolled: 1-line block ×4, first 2 shown]
	v_accvgpr_write_b32 a195, v187
	v_accvgpr_write_b32 a194, v186
	s_waitcnt lgkmcnt(7)
	v_mul_f64 v[50:51], v[230:231], v[236:237]
	ds_read_b128 v[134:137], v142 offset:1408
	s_waitcnt lgkmcnt(1)
	v_mul_f64 v[8:9], v[62:63], v[96:97]
	v_fmac_f64_e32 v[8:9], v[64:65], v[100:101]
	v_mul_f64 v[64:65], v[64:65], v[96:97]
	s_waitcnt lgkmcnt(0)
	v_mul_f64 v[16:17], v[134:135], v[122:123]
	v_fmac_f64_e32 v[16:17], v[136:137], v[124:125]
	s_waitcnt vmcnt(12)
	v_pk_mov_b32 v[188:189], v[4:5], v[4:5] op_sel:[0,1]
	v_mul_f64 v[4:5], v[42:43], v[70:71]
	v_fmac_f64_e32 v[4:5], v[44:45], v[88:89]
	v_add_f64 v[2:3], v[2:3], v[4:5]
	v_mul_f64 v[4:5], v[182:183], v[94:95]
	v_fmac_f64_e32 v[4:5], v[184:185], v[98:99]
	v_add_f64 v[2:3], v[2:3], v[4:5]
	;; [unrolled: 3-line block ×14, first 2 shown]
	ds_read_b128 v[2:5], v142 offset:1392
	buffer_load_dword v155, off, s[0:3], 0 offset:636
	buffer_load_dword v154, off, s[0:3], 0 offset:632
	ds_read_b128 v[130:133], v142 offset:1424
	ds_read_b128 v[138:141], v142 offset:1440
	v_add_f64 v[10:11], v[6:7], v[8:9]
	s_waitcnt lgkmcnt(2)
	v_mul_f64 v[12:13], v[2:3], v[14:15]
	v_fmac_f64_e32 v[12:13], v[4:5], v[126:127]
	s_waitcnt lgkmcnt(1)
	v_mul_f64 v[170:171], v[130:131], v[128:129]
	ds_read_b128 v[126:129], v142 offset:1456
	ds_read_b128 v[122:125], v142 offset:1472
	v_add_f64 v[14:15], v[10:11], v[12:13]
	v_accvgpr_write_b32 a179, v5
	v_add_f64 v[162:163], v[14:15], v[16:17]
	v_fmac_f64_e32 v[170:171], v[132:133], v[180:181]
	s_waitcnt lgkmcnt(2)
	v_mul_f64 v[22:23], v[138:139], v[172:173]
	v_accvgpr_write_b32 a178, v4
	v_accvgpr_write_b32 a177, v3
	;; [unrolled: 1-line block ×3, first 2 shown]
	v_add_f64 v[4:5], v[162:163], v[170:171]
	v_fmac_f64_e32 v[22:23], v[140:141], v[174:175]
	v_add_f64 v[4:5], v[4:5], v[22:23]
	s_waitcnt lgkmcnt(1)
	v_mul_f64 v[22:23], v[126:127], v[186:187]
	v_fmac_f64_e32 v[22:23], v[128:129], v[188:189]
	s_waitcnt lgkmcnt(0)
	v_mul_f64 v[160:161], v[122:123], v[176:177]
	v_add_f64 v[4:5], v[4:5], v[22:23]
	ds_read_b128 v[26:29], v142 offset:1488
	v_fmac_f64_e32 v[160:161], v[124:125], v[178:179]
	v_add_f64 v[170:171], v[4:5], v[160:161]
	buffer_load_dword v161, off, s[0:3], 0 offset:628
	buffer_load_dword v160, off, s[0:3], 0 offset:624
	v_mul_f64 v[4:5], v[56:57], v[156:157]
	buffer_load_dword v156, off, s[0:3], 0 offset:664
	buffer_load_dword v22, off, s[0:3], 0 offset:656
	;; [unrolled: 1-line block ×7, first 2 shown]
	v_fma_f64 v[186:187], v[30:31], v[84:85], -v[32:33]
	s_waitcnt vmcnt(21) lgkmcnt(0)
	v_mul_f64 v[30:31], v[26:27], v[0:1]
	buffer_load_dword v23, off, s[0:3], 0 offset:660
	s_waitcnt vmcnt(20)
	v_fmac_f64_e32 v[30:31], v[28:29], v[146:147]
	v_fma_f64 v[86:87], v[54:55], v[86:87], -v[4:5]
	v_add_f64 v[54:55], v[170:171], v[30:31]
	ds_read_b128 v[30:33], v142 offset:1504
	v_fma_f64 v[84:85], v[34:35], v[168:169], -v[36:37]
	ds_read_b128 v[34:37], v142 offset:1520
	ds_read_b128 v[38:41], v142 offset:1536
	buffer_load_dword v167, off, s[0:3], 0 offset:684
	buffer_load_dword v166, off, s[0:3], 0 offset:680
	;; [unrolled: 1-line block ×16, first 2 shown]
	v_mul_f64 v[44:45], v[44:45], v[70:71]
	v_accvgpr_write_b32 a197, v189
	v_fma_f64 v[14:15], v[42:43], v[88:89], -v[44:45]
	v_mul_f64 v[42:43], v[184:185], v[94:95]
	v_accvgpr_write_b32 a196, v188
	v_fma_f64 v[94:95], v[182:183], v[98:99], -v[42:43]
	buffer_load_dword v183, off, s[0:3], 0 offset:748
	buffer_load_dword v182, off, s[0:3], 0 offset:744
	;; [unrolled: 1-line block ×8, first 2 shown]
	v_mul_f64 v[42:43], v[196:197], v[90:91]
	v_mul_f64 v[16:17], v[200:201], v[190:191]
	v_fma_f64 v[10:11], v[194:195], v[92:93], -v[42:43]
	v_fma_f64 v[16:17], v[198:199], v[192:193], -v[16:17]
	buffer_load_dword v191, off, s[0:3], 0 offset:796
	buffer_load_dword v193, off, s[0:3], 0 offset:780
	buffer_load_dword v192, off, s[0:3], 0 offset:776
	buffer_load_dword v199, off, s[0:3], 0 offset:772
	buffer_load_dword v198, off, s[0:3], 0 offset:768
	buffer_load_dword v190, off, s[0:3], 0 offset:792
	buffer_load_dword v197, off, s[0:3], 0 offset:788
	buffer_load_dword v196, off, s[0:3], 0 offset:784
	buffer_load_dword v195, off, s[0:3], 0 offset:812
	buffer_load_dword v194, off, s[0:3], 0 offset:808
	buffer_load_dword v201, off, s[0:3], 0 offset:804
	buffer_load_dword v200, off, s[0:3], 0 offset:800
	v_mul_f64 v[8:9], v[48:49], v[72:73]
	v_mul_f64 v[42:43], v[208:209], v[202:203]
	v_fma_f64 v[18:19], v[46:47], v[78:79], -v[8:9]
	v_fma_f64 v[8:9], v[206:207], v[204:205], -v[42:43]
	v_mul_f64 v[42:43], v[212:213], v[66:67]
	s_waitcnt vmcnt(54) lgkmcnt(2)
	v_mul_f64 v[56:57], v[30:31], v[148:149]
	v_fma_f64 v[6:7], v[210:211], v[68:69], -v[42:43]
	buffer_load_dword v205, off, s[0:3], 0 offset:828
	buffer_load_dword v204, off, s[0:3], 0 offset:824
	;; [unrolled: 1-line block ×12, first 2 shown]
	ds_read_b128 v[42:45], v142 offset:1552
	s_waitcnt vmcnt(62)
	v_fmac_f64_e32 v[56:57], v[32:33], v[150:151]
	v_mul_f64 v[46:47], v[226:227], v[102:103]
	v_add_f64 v[54:55], v[54:55], v[56:57]
	s_waitcnt lgkmcnt(2)
	v_mul_f64 v[56:57], v[34:35], v[152:153]
	v_fma_f64 v[4:5], v[224:225], v[104:105], -v[46:47]
	ds_read_b128 v[46:49], v142 offset:1568
	s_waitcnt vmcnt(60)
	v_fmac_f64_e32 v[56:57], v[36:37], v[232:233]
	v_add_f64 v[54:55], v[54:55], v[56:57]
	v_fma_f64 v[236:237], v[228:229], v[238:239], -v[50:51]
	ds_read_b128 v[50:53], v142 offset:1584
	ds_read_b128 v[224:227], v142 offset:1616
	v_mul_f64 v[66:67], v[242:243], v[218:219]
	ds_read_b128 v[228:231], v142 offset:1632
	v_fma_f64 v[240:241], v[240:241], v[220:221], -v[66:67]
	v_mul_f64 v[68:69], v[246:247], v[222:223]
	s_waitcnt vmcnt(58) lgkmcnt(5)
	v_mul_f64 v[12:13], v[38:39], v[154:155]
	v_fma_f64 v[246:247], v[244:245], v[234:235], -v[68:69]
	v_mul_f64 v[70:71], v[250:251], v[114:115]
	v_fma_f64 v[248:249], v[248:249], v[116:117], -v[70:71]
	ds_read_b128 v[70:73], v142 offset:1664
	v_mul_f64 v[90:91], v[120:121], v[106:107]
	v_fma_f64 v[2:3], v[118:119], v[110:111], -v[90:91]
	ds_read_b128 v[118:121], v142 offset:1712
	v_mul_f64 v[60:61], v[60:61], v[108:109]
	v_fma_f64 v[58:59], v[58:59], v[112:113], -v[60:61]
	v_accvgpr_write_b32 a203, v59
	v_accvgpr_write_b32 a202, v58
	ds_read_b128 v[58:61], v142 offset:1744
	v_add_f64 v[24:25], v[24:25], v[86:87]
	v_add_f64 v[24:25], v[24:25], v[186:187]
	v_add_f64 v[24:25], v[24:25], v[84:85]
	v_add_f64 v[24:25], v[24:25], v[82:83]
	v_add_f64 v[20:21], v[24:25], v[20:21]
	v_add_f64 v[18:19], v[20:21], v[18:19]
	v_add_f64 v[14:15], v[18:19], v[14:15]
	v_add_f64 v[14:15], v[14:15], v[94:95]
	v_add_f64 v[10:11], v[14:15], v[10:11]
	v_add_f64 v[10:11], v[10:11], v[16:17]
	v_add_f64 v[8:9], v[10:11], v[8:9]
	v_add_f64 v[6:7], v[8:9], v[6:7]
	v_add_f64 v[4:5], v[6:7], v[4:5]
	v_add_f64 v[4:5], v[4:5], v[236:237]
	s_waitcnt vmcnt(56)
	v_fmac_f64_e32 v[12:13], v[40:41], v[160:161]
	v_add_f64 v[12:13], v[54:55], v[12:13]
	s_waitcnt vmcnt(52) lgkmcnt(7)
	v_mul_f64 v[54:55], v[42:43], v[162:163]
	s_waitcnt vmcnt(50)
	v_fmac_f64_e32 v[54:55], v[44:45], v[164:165]
	v_add_f64 v[12:13], v[12:13], v[54:55]
	s_waitcnt vmcnt(49) lgkmcnt(6)
	v_mul_f64 v[54:55], v[46:47], v[156:157]
	s_waitcnt vmcnt(48)
	v_fmac_f64_e32 v[54:55], v[48:49], v[22:23]
	v_add_f64 v[12:13], v[12:13], v[54:55]
	v_add_f64 v[4:5], v[4:5], v[240:241]
	;; [unrolled: 1-line block ×4, first 2 shown]
	v_accvgpr_read_b32 v6, a176
	s_waitcnt vmcnt(46) lgkmcnt(5)
	v_mul_f64 v[54:55], v[50:51], v[166:167]
	v_accvgpr_read_b32 v8, a178
	s_waitcnt vmcnt(44)
	v_fmac_f64_e32 v[54:55], v[52:53], v[168:169]
	v_add_f64 v[12:13], v[12:13], v[54:55]
	ds_read_b128 v[54:57], v142 offset:1600
	v_accvgpr_read_b32 v9, a179
	v_accvgpr_read_b32 v7, a177
	s_waitcnt vmcnt(42) lgkmcnt(0)
	v_mul_f64 v[66:67], v[54:55], v[172:173]
	s_waitcnt vmcnt(40)
	v_fmac_f64_e32 v[66:67], v[56:57], v[174:175]
	v_add_f64 v[12:13], v[12:13], v[66:67]
	s_waitcnt vmcnt(36)
	v_mul_f64 v[66:67], v[224:225], v[178:179]
	s_waitcnt vmcnt(34)
	v_fmac_f64_e32 v[66:67], v[226:227], v[180:181]
	v_add_f64 v[12:13], v[12:13], v[66:67]
	v_mul_f64 v[66:67], v[228:229], v[170:171]
	s_waitcnt vmcnt(32)
	v_fmac_f64_e32 v[66:67], v[230:231], v[176:177]
	v_add_f64 v[12:13], v[12:13], v[66:67]
	ds_read_b128 v[66:69], v142 offset:1648
	s_waitcnt vmcnt(25)
	v_mul_f64 v[78:79], v[70:71], v[184:185]
	s_waitcnt vmcnt(24)
	v_fmac_f64_e32 v[78:79], v[72:73], v[88:89]
	s_waitcnt lgkmcnt(0)
	v_mul_f64 v[74:75], v[66:67], v[182:183]
	v_fmac_f64_e32 v[74:75], v[68:69], v[188:189]
	v_add_f64 v[12:13], v[12:13], v[74:75]
	v_mul_f64 v[74:75], v[254:255], v[214:215]
	v_fma_f64 v[254:255], v[252:253], v[216:217], -v[74:75]
	ds_read_b128 v[74:77], v142 offset:1680
	v_add_f64 v[12:13], v[12:13], v[78:79]
	ds_read_b128 v[78:81], v142 offset:1696
	v_fma_f64 v[252:253], v[62:63], v[100:101], -v[64:65]
	ds_read_b128 v[62:65], v142 offset:1760
	s_waitcnt vmcnt(21) lgkmcnt(2)
	v_mul_f64 v[90:91], v[74:75], v[192:193]
	s_waitcnt vmcnt(19)
	v_fmac_f64_e32 v[90:91], v[76:77], v[198:199]
	v_add_f64 v[12:13], v[12:13], v[90:91]
	s_waitcnt vmcnt(18) lgkmcnt(1)
	v_mul_f64 v[90:91], v[78:79], v[190:191]
	s_waitcnt vmcnt(16)
	v_fmac_f64_e32 v[90:91], v[80:81], v[196:197]
	v_add_f64 v[12:13], v[12:13], v[90:91]
	ds_read_b128 v[90:93], v142 offset:1728
	s_waitcnt vmcnt(14)
	v_mul_f64 v[98:99], v[118:119], v[194:195]
	buffer_load_dword v215, off, s[0:3], 0 offset:876
	buffer_load_dword v214, off, s[0:3], 0 offset:872
	;; [unrolled: 1-line block ×4, first 2 shown]
	s_waitcnt vmcnt(16)
	v_fmac_f64_e32 v[98:99], v[120:121], v[200:201]
	v_add_f64 v[12:13], v[12:13], v[98:99]
	ds_read_b128 v[98:101], v142 offset:1776
	buffer_load_dword v218, off, s[0:3], 0 offset:888
	buffer_load_dword v219, off, s[0:3], 0 offset:892
	;; [unrolled: 1-line block ×4, first 2 shown]
	ds_read_b128 v[102:105], v142 offset:1792
	buffer_load_dword v223, off, s[0:3], 0 offset:908
	buffer_load_dword v222, off, s[0:3], 0 offset:904
	;; [unrolled: 1-line block ×4, first 2 shown]
	s_waitcnt vmcnt(22) lgkmcnt(2)
	v_mul_f64 v[96:97], v[90:91], v[204:205]
	s_waitcnt vmcnt(20)
	v_fmac_f64_e32 v[96:97], v[92:93], v[206:207]
	v_add_f64 v[12:13], v[12:13], v[96:97]
	s_waitcnt vmcnt(17)
	v_mul_f64 v[96:97], v[58:59], v[210:211]
	s_waitcnt vmcnt(15)
	v_fmac_f64_e32 v[96:97], v[60:61], v[212:213]
	v_add_f64 v[12:13], v[12:13], v[96:97]
	s_waitcnt vmcnt(13)
	v_mul_f64 v[96:97], v[62:63], v[202:203]
	s_waitcnt vmcnt(12)
	v_fmac_f64_e32 v[96:97], v[64:65], v[208:209]
	ds_read_b128 v[106:109], v142 offset:1808
	v_add_f64 v[12:13], v[12:13], v[96:97]
	v_add_f64 v[4:5], v[4:5], v[254:255]
	;; [unrolled: 1-line block ×3, first 2 shown]
	v_accvgpr_read_b32 v2, a202
	v_accvgpr_read_b32 v3, a203
	v_mul_f64 v[4:5], v[8:9], v[144:145]
	v_accvgpr_read_b32 v8, a180
	v_add_f64 v[2:3], v[254:255], v[2:3]
	v_accvgpr_read_b32 v9, a181
	v_add_f64 v[2:3], v[2:3], v[252:253]
	v_fma_f64 v[4:5], v[6:7], v[8:9], -v[4:5]
	v_add_f64 v[2:3], v[2:3], v[4:5]
	v_accvgpr_read_b32 v4, a182
	v_accvgpr_read_b32 v5, a183
	v_accvgpr_read_b32 v6, a184
	v_mul_f64 v[4:5], v[136:137], v[4:5]
	v_accvgpr_read_b32 v7, a185
	v_fma_f64 v[4:5], v[134:135], v[6:7], -v[4:5]
	v_add_f64 v[2:3], v[2:3], v[4:5]
	v_accvgpr_read_b32 v4, a186
	v_accvgpr_read_b32 v5, a187
	v_accvgpr_read_b32 v6, a188
	v_mul_f64 v[4:5], v[132:133], v[4:5]
	v_accvgpr_read_b32 v7, a189
	;; [unrolled: 7-line block ×5, first 2 shown]
	v_fma_f64 v[4:5], v[122:123], v[6:7], -v[4:5]
	v_add_f64 v[2:3], v[2:3], v[4:5]
	v_mul_f64 v[4:5], v[28:29], v[0:1]
	v_fma_f64 v[4:5], v[26:27], v[146:147], -v[4:5]
	v_add_f64 v[2:3], v[2:3], v[4:5]
	v_mul_f64 v[4:5], v[32:33], v[148:149]
	;; [unrolled: 3-line block ×5, first 2 shown]
	v_fma_f64 v[4:5], v[42:43], v[164:165], -v[4:5]
	v_add_f64 v[2:3], v[2:3], v[4:5]
	s_waitcnt vmcnt(10) lgkmcnt(2)
	v_mul_f64 v[96:97], v[98:99], v[214:215]
	v_mul_f64 v[4:5], v[48:49], v[156:157]
	s_waitcnt vmcnt(8)
	v_fmac_f64_e32 v[96:97], v[100:101], v[216:217]
	v_add_f64 v[12:13], v[12:13], v[96:97]
	s_waitcnt vmcnt(6) lgkmcnt(1)
	v_mul_f64 v[96:97], v[102:103], v[218:219]
	v_fma_f64 v[4:5], v[46:47], v[22:23], -v[4:5]
	s_waitcnt vmcnt(4)
	v_fmac_f64_e32 v[96:97], v[104:105], v[220:221]
	v_add_f64 v[12:13], v[12:13], v[96:97]
	s_waitcnt vmcnt(2) lgkmcnt(0)
	v_mul_f64 v[96:97], v[106:107], v[222:223]
	s_waitcnt vmcnt(0)
	v_fmac_f64_e32 v[96:97], v[108:109], v[234:235]
	v_add_f64 v[96:97], v[12:13], v[96:97]
	buffer_load_dword v12, off, s[0:3], 0 offset:920
	buffer_load_dword v13, off, s[0:3], 0 offset:924
	;; [unrolled: 1-line block ×4, first 2 shown]
	ds_read_b128 v[110:113], v142 offset:1824
	buffer_load_dword v243, off, s[0:3], 0 offset:940
	buffer_load_dword v242, off, s[0:3], 0 offset:936
	;; [unrolled: 1-line block ×4, first 2 shown]
	v_add_f64 v[2:3], v[2:3], v[4:5]
	v_mul_f64 v[4:5], v[52:53], v[166:167]
	v_fma_f64 v[4:5], v[50:51], v[168:169], -v[4:5]
	v_add_f64 v[2:3], v[2:3], v[4:5]
	v_mul_f64 v[4:5], v[56:57], v[172:173]
	v_fma_f64 v[4:5], v[54:55], v[174:175], -v[4:5]
	;; [unrolled: 3-line block ×15, first 2 shown]
	v_add_f64 v[2:3], v[2:3], v[4:5]
	v_accvgpr_read_b32 v0, a174
	v_cmp_lt_u32_e32 vcc, 4, v0
	s_waitcnt vmcnt(6) lgkmcnt(0)
	v_mul_f64 v[114:115], v[110:111], v[12:13]
	v_mul_f64 v[4:5], v[112:113], v[12:13]
	s_waitcnt vmcnt(4)
	v_fmac_f64_e32 v[114:115], v[112:113], v[238:239]
	v_add_f64 v[96:97], v[96:97], v[114:115]
	ds_read_b128 v[114:117], v142 offset:1840
	buffer_load_dword v248, off, s[0:3], 0 offset:96
	buffer_load_dword v249, off, s[0:3], 0 offset:100
	;; [unrolled: 1-line block ×4, first 2 shown]
	v_fma_f64 v[4:5], v[110:111], v[238:239], -v[4:5]
	v_add_f64 v[2:3], v[2:3], v[4:5]
	s_waitcnt vmcnt(6) lgkmcnt(0)
	v_mul_f64 v[4:5], v[116:117], v[242:243]
	v_mul_f64 v[250:251], v[114:115], v[242:243]
	s_waitcnt vmcnt(4)
	v_fma_f64 v[4:5], v[114:115], v[244:245], -v[4:5]
	v_fmac_f64_e32 v[250:251], v[116:117], v[244:245]
	v_add_f64 v[2:3], v[2:3], v[4:5]
	v_add_f64 v[96:97], v[96:97], v[250:251]
	s_waitcnt vmcnt(2)
	v_add_f64 v[2:3], v[248:249], -v[2:3]
	s_waitcnt vmcnt(0)
	v_add_f64 v[4:5], v[246:247], -v[96:97]
	buffer_store_dword v3, off, s[0:3], 0 offset:100
	buffer_store_dword v2, off, s[0:3], 0 offset:96
	;; [unrolled: 1-line block ×4, first 2 shown]
	s_and_saveexec_b64 s[4:5], vcc
	s_cbranch_execz .LBB57_353
; %bb.352:
	v_accvgpr_read_b32 v1, a169
	buffer_load_dword v2, v1, s[0:3], 0 offen
	buffer_load_dword v3, v1, s[0:3], 0 offen offset:4
	buffer_load_dword v4, v1, s[0:3], 0 offen offset:8
	;; [unrolled: 1-line block ×3, first 2 shown]
	v_mov_b32_e32 v1, 0
	v_accvgpr_read_b32 v6, a173
	buffer_store_dword v1, off, s[0:3], 0 offset:80
	buffer_store_dword v1, off, s[0:3], 0 offset:84
	;; [unrolled: 1-line block ×4, first 2 shown]
	s_waitcnt vmcnt(4)
	ds_write_b128 v6, v[2:5]
.LBB57_353:
	s_or_b64 exec, exec, s[4:5]
	s_waitcnt lgkmcnt(0)
	; wave barrier
	s_waitcnt lgkmcnt(0)
	buffer_load_dword v248, off, s[0:3], 0 offset:96
	buffer_load_dword v249, off, s[0:3], 0 offset:100
	;; [unrolled: 1-line block ×36, first 2 shown]
	v_mov_b32_e32 v1, 0
	buffer_load_dword v55, off, s[0:3], 0 offset:268
	buffer_load_dword v54, off, s[0:3], 0 offset:264
	;; [unrolled: 1-line block ×18, first 2 shown]
	ds_read_b128 v[22:25], v1 offset:1008
	ds_read_b128 v[110:113], v1 offset:1024
	ds_read_b128 v[114:117], v1 offset:1040
	ds_read_b128 v[160:163], v1 offset:1056
	ds_read_b128 v[164:167], v1 offset:1072
	ds_read_b128 v[168:171], v1 offset:1088
	ds_read_b128 v[172:175], v1 offset:1104
	ds_read_b128 v[176:179], v1 offset:1120
	ds_read_b128 v[180:183], v1 offset:1136
	v_cmp_lt_u32_e32 vcc, 3, v0
	s_waitcnt vmcnt(50) lgkmcnt(8)
	v_mul_f64 v[2:3], v[22:23], v[16:17]
	v_fmac_f64_e32 v[2:3], v[24:25], v[248:249]
	v_add_f64 v[2:3], v[2:3], 0
	v_mul_f64 v[16:17], v[24:25], v[16:17]
	s_waitcnt vmcnt(46) lgkmcnt(7)
	v_mul_f64 v[4:5], v[110:111], v[20:21]
	v_fmac_f64_e32 v[4:5], v[112:113], v[156:157]
	s_waitcnt vmcnt(44) lgkmcnt(6)
	v_mul_f64 v[6:7], v[114:115], v[26:27]
	v_add_f64 v[2:3], v[2:3], v[4:5]
	s_waitcnt vmcnt(42) lgkmcnt(4)
	v_mul_f64 v[10:11], v[164:165], v[30:31]
	v_fma_f64 v[248:249], v[22:23], v[248:249], -v[16:17]
	s_waitcnt vmcnt(40)
	v_fmac_f64_e32 v[10:11], v[166:167], v[32:33]
	v_mul_f64 v[20:21], v[112:113], v[20:21]
	s_waitcnt vmcnt(38)
	v_mul_f64 v[8:9], v[160:161], v[28:29]
	v_fma_f64 v[252:253], v[110:111], v[156:157], -v[20:21]
	s_waitcnt vmcnt(36) lgkmcnt(2)
	v_mul_f64 v[68:69], v[172:173], v[44:45]
	v_mul_f64 v[26:27], v[116:117], v[26:27]
	s_waitcnt vmcnt(34)
	v_fmac_f64_e32 v[68:69], v[174:175], v[46:47]
	v_mul_f64 v[28:29], v[162:163], v[28:29]
	s_waitcnt vmcnt(32)
	v_mul_f64 v[12:13], v[168:169], v[34:35]
	v_mul_f64 v[30:31], v[166:167], v[30:31]
	s_waitcnt vmcnt(30) lgkmcnt(1)
	v_mul_f64 v[138:139], v[176:177], v[42:43]
	v_mul_f64 v[34:35], v[170:171], v[34:35]
	s_waitcnt vmcnt(28)
	v_fmac_f64_e32 v[6:7], v[116:117], v[250:251]
	v_add_f64 v[2:3], v[2:3], v[6:7]
	s_waitcnt vmcnt(26)
	v_fmac_f64_e32 v[8:9], v[162:163], v[38:39]
	v_add_f64 v[2:3], v[2:3], v[8:9]
	;; [unrolled: 3-line block ×3, first 2 shown]
	v_add_f64 v[2:3], v[2:3], v[12:13]
	v_add_f64 v[2:3], v[2:3], v[68:69]
	buffer_load_dword v109, off, s[0:3], 0 offset:324
	buffer_load_dword v108, off, s[0:3], 0 offset:320
	;; [unrolled: 1-line block ×40, first 2 shown]
	s_waitcnt vmcnt(62)
	v_fmac_f64_e32 v[138:139], v[178:179], v[50:51]
	v_add_f64 v[2:3], v[2:3], v[138:139]
	v_fma_f64 v[254:255], v[114:115], v[250:251], -v[26:27]
	v_fma_f64 v[250:251], v[160:161], v[38:39], -v[28:29]
	;; [unrolled: 1-line block ×3, first 2 shown]
	v_mul_f64 v[42:43], v[178:179], v[42:43]
	v_fma_f64 v[114:115], v[176:177], v[50:51], -v[42:43]
	s_waitcnt vmcnt(58) lgkmcnt(0)
	v_mul_f64 v[42:43], v[182:183], v[48:49]
	v_fma_f64 v[116:117], v[180:181], v[52:53], -v[42:43]
	s_waitcnt vmcnt(0)
	v_pk_mov_b32 v[130:131], v[4:5], v[4:5] op_sel:[0,1]
	buffer_load_dword v5, off, s[0:3], 0 offset:484
	buffer_load_dword v4, off, s[0:3], 0 offset:480
	v_accvgpr_write_b32 a175, v131
	v_accvgpr_write_b32 a174, v130
	s_waitcnt vmcnt(0)
	v_pk_mov_b32 v[8:9], v[4:5], v[4:5] op_sel:[0,1]
	buffer_load_dword v91, off, s[0:3], 0 offset:476
	buffer_load_dword v90, off, s[0:3], 0 offset:472
	;; [unrolled: 1-line block ×6, first 2 shown]
	v_accvgpr_write_b32 a177, v9
	v_accvgpr_write_b32 a176, v8
	s_waitcnt vmcnt(0)
	v_pk_mov_b32 v[118:119], v[4:5], v[4:5] op_sel:[0,1]
	buffer_load_dword v5, off, s[0:3], 0 offset:516
	buffer_load_dword v4, off, s[0:3], 0 offset:512
	v_accvgpr_write_b32 a183, v119
	v_accvgpr_write_b32 a182, v118
	s_waitcnt vmcnt(0)
	v_pk_mov_b32 v[120:121], v[4:5], v[4:5] op_sel:[0,1]
	buffer_load_dword v5, off, s[0:3], 0 offset:508
	buffer_load_dword v4, off, s[0:3], 0 offset:504
	;; [unrolled: 6-line block ×7, first 2 shown]
	ds_read_b128 v[184:187], v1 offset:1152
	ds_read_b128 v[188:191], v1 offset:1168
	;; [unrolled: 1-line block ×9, first 2 shown]
	buffer_load_dword v19, off, s[0:3], 0 offset:572
	buffer_load_dword v18, off, s[0:3], 0 offset:568
	buffer_load_dword v15, off, s[0:3], 0 offset:564
	buffer_load_dword v14, off, s[0:3], 0 offset:560
	ds_read_b128 v[222:225], v1 offset:1296
	buffer_load_dword v41, off, s[0:3], 0 offset:588
	buffer_load_dword v40, off, s[0:3], 0 offset:584
	;; [unrolled: 1-line block ×12, first 2 shown]
	ds_read_b128 v[226:229], v1 offset:1312
	ds_read_b128 v[230:233], v1 offset:1328
	;; [unrolled: 1-line block ×7, first 2 shown]
	v_accvgpr_write_b32 a187, v127
	v_accvgpr_write_b32 a186, v126
	s_waitcnt lgkmcnt(2)
	v_mul_f64 v[12:13], v[242:243], v[90:91]
	v_fmac_f64_e32 v[12:13], v[244:245], v[92:93]
	v_mul_f64 v[42:43], v[186:187], v[58:59]
	v_mul_f64 v[16:17], v[212:213], v[104:105]
	v_fma_f64 v[16:17], v[210:211], v[106:107], -v[16:17]
	v_mul_f64 v[50:51], v[216:217], v[84:85]
	v_mul_f64 v[90:91], v[244:245], v[90:91]
	v_fma_f64 v[90:91], v[242:243], v[92:93], -v[90:91]
	v_accvgpr_write_b32 a203, v91
	v_accvgpr_write_b32 a202, v90
	s_waitcnt vmcnt(16)
	v_pk_mov_b32 v[128:129], v[4:5], v[4:5] op_sel:[0,1]
	v_mul_f64 v[4:5], v[180:181], v[48:49]
	v_fmac_f64_e32 v[4:5], v[182:183], v[52:53]
	v_add_f64 v[2:3], v[2:3], v[4:5]
	v_mul_f64 v[4:5], v[184:185], v[58:59]
	v_fmac_f64_e32 v[4:5], v[186:187], v[60:61]
	v_add_f64 v[2:3], v[2:3], v[4:5]
	;; [unrolled: 3-line block ×15, first 2 shown]
	v_add_f64 v[10:11], v[10:11], v[12:13]
	s_waitcnt lgkmcnt(1)
	v_mul_f64 v[12:13], v[142:143], v[130:131]
	ds_read_b128 v[130:133], v1 offset:1424
	v_fmac_f64_e32 v[12:13], v[144:145], v[8:9]
	v_add_f64 v[10:11], v[10:11], v[12:13]
	s_waitcnt lgkmcnt(1)
	v_mul_f64 v[12:13], v[146:147], v[122:123]
	v_fmac_f64_e32 v[12:13], v[148:149], v[124:125]
	s_waitcnt lgkmcnt(0)
	v_mul_f64 v[22:23], v[130:131], v[118:119]
	v_add_f64 v[154:155], v[10:11], v[12:13]
	ds_read_b128 v[122:125], v1 offset:1440
	v_fmac_f64_e32 v[22:23], v[132:133], v[120:121]
	v_add_f64 v[22:23], v[154:155], v[22:23]
	ds_read_b128 v[154:157], v1 offset:1456
	v_accvgpr_write_b32 a189, v129
	s_waitcnt lgkmcnt(1)
	v_mul_f64 v[24:25], v[122:123], v[126:127]
	v_fmac_f64_e32 v[24:25], v[124:125], v[128:129]
	v_accvgpr_write_b32 a188, v128
	ds_read_b128 v[126:129], v1 offset:1472
	s_waitcnt lgkmcnt(1)
	v_mul_f64 v[26:27], v[154:155], v[134:135]
	v_fmac_f64_e32 v[26:27], v[156:157], v[158:159]
	buffer_load_dword v159, off, s[0:3], 0 offset:636
	buffer_load_dword v158, off, s[0:3], 0 offset:632
	;; [unrolled: 1-line block ×7, first 2 shown]
	ds_read_b128 v[118:121], v1 offset:1488
	v_add_f64 v[110:111], v[22:23], v[24:25]
	buffer_load_dword v139, off, s[0:3], 0 offset:644
	v_fma_f64 v[24:25], v[164:165], v[32:33], -v[30:31]
	ds_read_b128 v[30:33], v1 offset:1504
	s_waitcnt vmcnt(22) lgkmcnt(2)
	v_mul_f64 v[28:29], v[126:127], v[18:19]
	ds_read_b128 v[34:37], v1 offset:1520
	v_add_f64 v[26:27], v[110:111], v[26:27]
	s_waitcnt vmcnt(20)
	v_fmac_f64_e32 v[28:29], v[128:129], v[14:15]
	s_waitcnt vmcnt(18) lgkmcnt(2)
	v_mul_f64 v[4:5], v[118:119], v[40:41]
	v_add_f64 v[38:39], v[26:27], v[28:29]
	s_waitcnt vmcnt(16)
	v_fmac_f64_e32 v[4:5], v[120:121], v[140:141]
	v_add_f64 v[4:5], v[38:39], v[4:5]
	s_waitcnt vmcnt(13) lgkmcnt(1)
	v_mul_f64 v[38:39], v[30:31], v[6:7]
	s_waitcnt vmcnt(11)
	v_fmac_f64_e32 v[38:39], v[32:33], v[152:153]
	v_add_f64 v[4:5], v[4:5], v[38:39]
	s_waitcnt vmcnt(10) lgkmcnt(0)
	v_mul_f64 v[38:39], v[34:35], v[136:137]
	v_accvgpr_write_b32 a199, v41
	s_waitcnt vmcnt(8)
	v_fmac_f64_e32 v[38:39], v[36:37], v[150:151]
	v_accvgpr_write_b32 a198, v40
	v_add_f64 v[110:111], v[4:5], v[38:39]
	ds_read_b128 v[38:41], v1 offset:1536
	buffer_load_dword v27, off, s[0:3], 0 offset:668
	buffer_load_dword v26, off, s[0:3], 0 offset:664
	;; [unrolled: 1-line block ×9, first 2 shown]
	v_mul_f64 v[4:5], v[174:175], v[44:45]
	v_fma_f64 v[112:113], v[172:173], v[46:47], -v[4:5]
	buffer_load_dword v175, off, s[0:3], 0 offset:700
	buffer_load_dword v174, off, s[0:3], 0 offset:696
	;; [unrolled: 1-line block ×8, first 2 shown]
	v_fma_f64 v[22:23], v[184:185], v[60:61], -v[42:43]
	buffer_load_dword v183, off, s[0:3], 0 offset:732
	buffer_load_dword v182, off, s[0:3], 0 offset:728
	;; [unrolled: 1-line block ×7, first 2 shown]
	v_mul_f64 v[42:43], v[190:191], v[54:55]
	v_fma_f64 v[20:21], v[188:189], v[56:57], -v[42:43]
	buffer_load_dword v187, off, s[0:3], 0 offset:764
	buffer_load_dword v186, off, s[0:3], 0 offset:760
	;; [unrolled: 1-line block ×4, first 2 shown]
	v_accvgpr_write_b32 a195, v19
	v_accvgpr_write_b32 a197, v15
	v_mul_f64 v[42:43], v[194:195], v[96:97]
	v_mul_f64 v[12:13], v[198:199], v[64:65]
	v_accvgpr_write_b32 a194, v18
	v_accvgpr_write_b32 a196, v14
	v_fma_f64 v[18:19], v[192:193], v[98:99], -v[42:43]
	v_fma_f64 v[14:15], v[196:197], v[66:67], -v[12:13]
	buffer_load_dword v191, off, s[0:3], 0 offset:780
	buffer_load_dword v190, off, s[0:3], 0 offset:776
	buffer_load_dword v195, off, s[0:3], 0 offset:772
	buffer_load_dword v194, off, s[0:3], 0 offset:768
	buffer_load_dword v193, off, s[0:3], 0 offset:796
	buffer_load_dword v192, off, s[0:3], 0 offset:792
	buffer_load_dword v197, off, s[0:3], 0 offset:788
	buffer_load_dword v196, off, s[0:3], 0 offset:784
	v_mul_f64 v[42:43], v[202:203], v[208:209]
	v_fma_f64 v[246:247], v[200:201], v[246:247], -v[42:43]
	buffer_load_dword v201, off, s[0:3], 0 offset:812
	buffer_load_dword v200, off, s[0:3], 0 offset:808
	;; [unrolled: 1-line block ×4, first 2 shown]
	v_mul_f64 v[42:43], v[206:207], v[62:63]
	v_fma_f64 v[12:13], v[204:205], v[108:109], -v[42:43]
	buffer_load_dword v198, off, s[0:3], 0 offset:840
	buffer_load_dword v207, off, s[0:3], 0 offset:828
	;; [unrolled: 1-line block ×8, first 2 shown]
	ds_read_b128 v[42:45], v1 offset:1552
	buffer_load_dword v211, off, s[0:3], 0 offset:860
	buffer_load_dword v210, off, s[0:3], 0 offset:856
	;; [unrolled: 1-line block ×4, first 2 shown]
	v_mul_f64 v[62:63], v[224:225], v[68:69]
	v_fma_f64 v[8:9], v[222:223], v[70:71], -v[62:63]
	ds_read_b128 v[62:65], v1 offset:1632
	v_accvgpr_write_b32 a201, v7
	v_accvgpr_write_b32 a200, v6
	v_mul_f64 v[74:75], v[232:233], v[74:75]
	v_fma_f64 v[4:5], v[230:231], v[76:77], -v[74:75]
	v_mul_f64 v[78:79], v[236:237], v[78:79]
	v_fma_f64 v[2:3], v[234:235], v[80:81], -v[78:79]
	ds_read_b128 v[78:81], v1 offset:1696
	v_mul_f64 v[86:87], v[240:241], v[86:87]
	v_fma_f64 v[240:241], v[238:239], v[88:89], -v[86:87]
	ds_read_b128 v[86:89], v1 offset:1728
	ds_read_b128 v[74:77], v1 offset:1680
	;; [unrolled: 1-line block ×3, first 2 shown]
	s_waitcnt vmcnt(58) lgkmcnt(6)
	v_mul_f64 v[46:47], v[38:39], v[158:159]
	s_waitcnt vmcnt(54)
	v_fmac_f64_e32 v[46:47], v[40:41], v[160:161]
	s_waitcnt vmcnt(53) lgkmcnt(5)
	v_mul_f64 v[48:49], v[42:43], v[134:135]
	v_add_f64 v[46:47], v[110:111], v[46:47]
	v_fma_f64 v[110:111], v[214:215], v[94:95], -v[50:51]
	s_waitcnt vmcnt(52)
	v_fmac_f64_e32 v[48:49], v[44:45], v[138:139]
	v_add_f64 v[54:55], v[46:47], v[48:49]
	ds_read_b128 v[46:49], v1 offset:1568
	ds_read_b128 v[50:53], v1 offset:1584
	s_waitcnt vmcnt(50) lgkmcnt(1)
	v_mul_f64 v[56:57], v[46:47], v[26:27]
	s_waitcnt vmcnt(48)
	v_fmac_f64_e32 v[56:57], v[48:49], v[168:169]
	v_add_f64 v[58:59], v[54:55], v[56:57]
	v_mul_f64 v[54:55], v[220:221], v[100:101]
	v_fma_f64 v[10:11], v[218:219], v[102:103], -v[54:55]
	ds_read_b128 v[54:57], v1 offset:1600
	s_waitcnt vmcnt(46) lgkmcnt(1)
	v_mul_f64 v[60:61], v[50:51], v[166:167]
	s_waitcnt vmcnt(44)
	v_fmac_f64_e32 v[60:61], v[52:53], v[170:171]
	v_add_f64 v[66:67], v[58:59], v[60:61]
	ds_read_b128 v[58:61], v1 offset:1616
	s_waitcnt vmcnt(41) lgkmcnt(1)
	v_mul_f64 v[68:69], v[54:55], v[174:175]
	s_waitcnt vmcnt(39)
	v_fmac_f64_e32 v[68:69], v[56:57], v[178:179]
	v_add_f64 v[70:71], v[66:67], v[68:69]
	v_mul_f64 v[66:67], v[228:229], v[72:73]
	v_fma_f64 v[6:7], v[226:227], v[82:83], -v[66:67]
	ds_read_b128 v[66:69], v1 offset:1648
	s_waitcnt vmcnt(38) lgkmcnt(1)
	v_mul_f64 v[84:85], v[58:59], v[164:165]
	s_waitcnt vmcnt(36)
	v_fmac_f64_e32 v[84:85], v[60:61], v[176:177]
	s_waitcnt vmcnt(33)
	v_mul_f64 v[72:73], v[62:63], v[182:183]
	v_add_f64 v[70:71], v[70:71], v[84:85]
	s_waitcnt vmcnt(31)
	v_fmac_f64_e32 v[72:73], v[64:65], v[184:185]
	v_add_f64 v[70:71], v[70:71], v[72:73]
	s_waitcnt vmcnt(29) lgkmcnt(0)
	v_mul_f64 v[72:73], v[66:67], v[172:173]
	s_waitcnt vmcnt(28)
	v_fmac_f64_e32 v[72:73], v[68:69], v[180:181]
	v_add_f64 v[82:83], v[70:71], v[72:73]
	ds_read_b128 v[70:73], v1 offset:1664
	s_waitcnt vmcnt(26) lgkmcnt(0)
	v_mul_f64 v[84:85], v[70:71], v[186:187]
	s_waitcnt vmcnt(24)
	v_fmac_f64_e32 v[84:85], v[72:73], v[188:189]
	v_add_f64 v[28:29], v[82:83], v[84:85]
	s_waitcnt vmcnt(22)
	v_mul_f64 v[82:83], v[74:75], v[190:191]
	s_waitcnt vmcnt(20)
	v_fmac_f64_e32 v[82:83], v[76:77], v[194:195]
	v_add_f64 v[28:29], v[28:29], v[82:83]
	s_waitcnt vmcnt(18)
	v_mul_f64 v[82:83], v[78:79], v[192:193]
	s_waitcnt vmcnt(16)
	v_fmac_f64_e32 v[82:83], v[80:81], v[196:197]
	v_add_f64 v[28:29], v[28:29], v[82:83]
	ds_read_b128 v[82:85], v1 offset:1712
	s_waitcnt vmcnt(14) lgkmcnt(0)
	v_mul_f64 v[94:95], v[82:83], v[200:201]
	s_waitcnt vmcnt(12)
	v_fmac_f64_e32 v[94:95], v[84:85], v[202:203]
	v_add_f64 v[28:29], v[28:29], v[94:95]
	s_waitcnt vmcnt(9)
	v_mul_f64 v[94:95], v[86:87], v[206:207]
	s_waitcnt vmcnt(7)
	v_fmac_f64_e32 v[94:95], v[88:89], v[208:209]
	v_add_f64 v[28:29], v[28:29], v[94:95]
	s_waitcnt vmcnt(5)
	v_mul_f64 v[94:95], v[90:91], v[198:199]
	s_waitcnt vmcnt(4)
	v_fmac_f64_e32 v[94:95], v[92:93], v[204:205]
	v_add_f64 v[28:29], v[28:29], v[94:95]
	ds_read_b128 v[94:97], v1 offset:1760
	buffer_load_dword v214, off, s[0:3], 0 offset:872
	buffer_load_dword v215, off, s[0:3], 0 offset:876
	buffer_load_dword v216, off, s[0:3], 0 offset:864
	buffer_load_dword v217, off, s[0:3], 0 offset:868
	s_waitcnt vmcnt(6) lgkmcnt(0)
	v_mul_f64 v[98:99], v[94:95], v[210:211]
	s_waitcnt vmcnt(4)
	v_fmac_f64_e32 v[98:99], v[96:97], v[212:213]
	v_add_f64 v[28:29], v[28:29], v[98:99]
	ds_read_b128 v[98:101], v1 offset:1776
	buffer_load_dword v219, off, s[0:3], 0 offset:892
	buffer_load_dword v218, off, s[0:3], 0 offset:888
	buffer_load_dword v221, off, s[0:3], 0 offset:884
	buffer_load_dword v220, off, s[0:3], 0 offset:880
	s_waitcnt vmcnt(6) lgkmcnt(0)
	;; [unrolled: 10-line block ×5, first 2 shown]
	v_mul_f64 v[230:231], v[226:227], v[236:237]
	s_waitcnt vmcnt(4)
	v_fmac_f64_e32 v[230:231], v[228:229], v[238:239]
	v_add_f64 v[28:29], v[28:29], v[230:231]
	ds_read_b128 v[230:233], v1 offset:1840
	s_waitcnt vmcnt(2) lgkmcnt(0)
	v_mul_f64 v[224:225], v[230:231], v[242:243]
	s_waitcnt vmcnt(0)
	v_fmac_f64_e32 v[224:225], v[232:233], v[244:245]
	v_add_f64 v[28:29], v[28:29], v[224:225]
	v_add_f64 v[224:225], v[248:249], 0
	;; [unrolled: 1-line block ×18, first 2 shown]
	buffer_load_dword v248, off, s[0:3], 0 offset:80
	buffer_load_dword v249, off, s[0:3], 0 offset:84
	v_add_f64 v[10:11], v[12:13], v[10:11]
	buffer_load_dword v246, off, s[0:3], 0 offset:88
	buffer_load_dword v247, off, s[0:3], 0 offset:92
	v_add_f64 v[8:9], v[10:11], v[8:9]
	v_add_f64 v[6:7], v[8:9], v[6:7]
	;; [unrolled: 1-line block ×4, first 2 shown]
	v_accvgpr_read_b32 v4, a174
	v_add_f64 v[252:253], v[2:3], v[240:241]
	v_accvgpr_read_b32 v2, a202
	v_accvgpr_read_b32 v5, a175
	;; [unrolled: 1-line block ×4, first 2 shown]
	v_mul_f64 v[4:5], v[144:145], v[4:5]
	v_accvgpr_read_b32 v7, a177
	v_add_f64 v[2:3], v[252:253], v[2:3]
	v_fma_f64 v[4:5], v[142:143], v[6:7], -v[4:5]
	v_add_f64 v[2:3], v[2:3], v[4:5]
	v_accvgpr_read_b32 v4, a178
	v_accvgpr_read_b32 v5, a179
	v_accvgpr_read_b32 v6, a180
	v_mul_f64 v[4:5], v[148:149], v[4:5]
	v_accvgpr_read_b32 v7, a181
	v_fma_f64 v[4:5], v[146:147], v[6:7], -v[4:5]
	v_add_f64 v[2:3], v[2:3], v[4:5]
	v_accvgpr_read_b32 v4, a182
	v_accvgpr_read_b32 v5, a183
	v_accvgpr_read_b32 v6, a184
	v_mul_f64 v[4:5], v[132:133], v[4:5]
	v_accvgpr_read_b32 v7, a185
	;; [unrolled: 7-line block ×5, first 2 shown]
	v_fma_f64 v[4:5], v[126:127], v[6:7], -v[4:5]
	v_add_f64 v[2:3], v[2:3], v[4:5]
	v_accvgpr_read_b32 v4, a198
	v_accvgpr_read_b32 v5, a199
	v_mul_f64 v[4:5], v[120:121], v[4:5]
	v_fma_f64 v[4:5], v[118:119], v[140:141], -v[4:5]
	v_add_f64 v[2:3], v[2:3], v[4:5]
	v_accvgpr_read_b32 v4, a200
	v_accvgpr_read_b32 v5, a201
	v_mul_f64 v[4:5], v[32:33], v[4:5]
	v_fma_f64 v[4:5], v[30:31], v[152:153], -v[4:5]
	v_add_f64 v[2:3], v[2:3], v[4:5]
	v_mul_f64 v[4:5], v[36:37], v[136:137]
	v_fma_f64 v[4:5], v[34:35], v[150:151], -v[4:5]
	v_add_f64 v[2:3], v[2:3], v[4:5]
	;; [unrolled: 3-line block ×22, first 2 shown]
	s_waitcnt vmcnt(2)
	v_add_f64 v[2:3], v[248:249], -v[2:3]
	s_waitcnt vmcnt(0)
	v_add_f64 v[4:5], v[246:247], -v[28:29]
	buffer_store_dword v3, off, s[0:3], 0 offset:84
	buffer_store_dword v2, off, s[0:3], 0 offset:80
	;; [unrolled: 1-line block ×4, first 2 shown]
	s_and_saveexec_b64 s[4:5], vcc
	s_cbranch_execz .LBB57_355
; %bb.354:
	v_accvgpr_read_b32 v5, a170
	buffer_load_dword v2, v5, s[0:3], 0 offen
	buffer_load_dword v3, v5, s[0:3], 0 offen offset:4
	buffer_load_dword v4, v5, s[0:3], 0 offen offset:8
	s_nop 0
	buffer_load_dword v5, v5, s[0:3], 0 offen offset:12
	v_accvgpr_read_b32 v6, a173
	buffer_store_dword v1, off, s[0:3], 0 offset:64
	buffer_store_dword v1, off, s[0:3], 0 offset:68
	;; [unrolled: 1-line block ×4, first 2 shown]
	s_waitcnt vmcnt(4)
	ds_write_b128 v6, v[2:5]
.LBB57_355:
	s_or_b64 exec, exec, s[4:5]
	s_waitcnt lgkmcnt(0)
	; wave barrier
	s_waitcnt lgkmcnt(0)
	buffer_load_dword v140, off, s[0:3], 0 offset:80
	buffer_load_dword v141, off, s[0:3], 0 offset:84
	;; [unrolled: 1-line block ×42, first 2 shown]
	ds_read_b128 v[146:149], v1 offset:992
	ds_read_b128 v[26:29], v1 offset:1008
	;; [unrolled: 1-line block ×10, first 2 shown]
	buffer_load_dword v105, off, s[0:3], 0 offset:228
	buffer_load_dword v104, off, s[0:3], 0 offset:224
	ds_read_b128 v[42:45], v1 offset:1152
	buffer_load_dword v65, off, s[0:3], 0 offset:284
	buffer_load_dword v64, off, s[0:3], 0 offset:280
	buffer_load_dword v71, off, s[0:3], 0 offset:276
	buffer_load_dword v70, off, s[0:3], 0 offset:272
	buffer_load_dword v179, off, s[0:3], 0 offset:268
	buffer_load_dword v178, off, s[0:3], 0 offset:264
	v_cmp_lt_u32_e32 vcc, 2, v0
	s_waitcnt vmcnt(46) lgkmcnt(10)
	v_mul_f64 v[2:3], v[146:147], v[8:9]
	v_fmac_f64_e32 v[2:3], v[148:149], v[140:141]
	v_add_f64 v[2:3], v[2:3], 0
	v_mul_f64 v[8:9], v[148:149], v[8:9]
	s_waitcnt vmcnt(42) lgkmcnt(9)
	v_mul_f64 v[4:5], v[26:27], v[12:13]
	v_fmac_f64_e32 v[4:5], v[28:29], v[138:139]
	s_waitcnt vmcnt(40) lgkmcnt(8)
	v_mul_f64 v[66:67], v[106:107], v[18:19]
	v_add_f64 v[2:3], v[2:3], v[4:5]
	s_waitcnt vmcnt(38) lgkmcnt(6)
	v_mul_f64 v[72:73], v[114:115], v[30:31]
	v_mul_f64 v[12:13], v[28:29], v[12:13]
	s_waitcnt vmcnt(36)
	v_fmac_f64_e32 v[72:73], v[116:117], v[32:33]
	v_fma_f64 v[254:255], v[146:147], v[140:141], -v[8:9]
	s_waitcnt vmcnt(34)
	v_mul_f64 v[68:69], v[110:111], v[22:23]
	v_fma_f64 v[28:29], v[26:27], v[138:139], -v[12:13]
	s_waitcnt vmcnt(32) lgkmcnt(4)
	v_mul_f64 v[76:77], v[162:163], v[38:39]
	v_mul_f64 v[18:19], v[108:109], v[18:19]
	s_waitcnt vmcnt(30)
	v_fmac_f64_e32 v[76:77], v[164:165], v[40:41]
	v_mul_f64 v[22:23], v[112:113], v[22:23]
	s_waitcnt vmcnt(28)
	v_mul_f64 v[74:75], v[154:155], v[34:35]
	v_mul_f64 v[34:35], v[156:157], v[34:35]
	s_waitcnt vmcnt(26) lgkmcnt(2)
	v_mul_f64 v[80:81], v[170:171], v[52:53]
	v_mul_f64 v[30:31], v[116:117], v[30:31]
	;; [unrolled: 1-line block ×3, first 2 shown]
	s_waitcnt vmcnt(23)
	v_mul_f64 v[78:79], v[166:167], v[56:57]
	s_waitcnt vmcnt(21) lgkmcnt(1)
	v_mul_f64 v[142:143], v[46:47], v[50:51]
	v_mul_f64 v[12:13], v[48:49], v[50:51]
	s_waitcnt vmcnt(19)
	v_fmac_f64_e32 v[66:67], v[108:109], v[20:21]
	v_add_f64 v[2:3], v[2:3], v[66:67]
	s_waitcnt vmcnt(17)
	v_fmac_f64_e32 v[68:69], v[112:113], v[24:25]
	v_add_f64 v[2:3], v[2:3], v[68:69]
	;; [unrolled: 3-line block ×3, first 2 shown]
	v_add_f64 v[2:3], v[2:3], v[74:75]
	s_waitcnt vmcnt(13)
	v_fmac_f64_e32 v[78:79], v[168:169], v[58:59]
	v_add_f64 v[2:3], v[2:3], v[76:77]
	s_waitcnt vmcnt(12)
	v_fmac_f64_e32 v[80:81], v[172:173], v[54:55]
	v_add_f64 v[2:3], v[2:3], v[78:79]
	v_add_f64 v[2:3], v[2:3], v[80:81]
	buffer_load_dword v185, off, s[0:3], 0 offset:260
	buffer_load_dword v184, off, s[0:3], 0 offset:256
	buffer_load_dword v207, off, s[0:3], 0 offset:316
	buffer_load_dword v206, off, s[0:3], 0 offset:312
	buffer_load_dword v209, off, s[0:3], 0 offset:308
	buffer_load_dword v208, off, s[0:3], 0 offset:304
	buffer_load_dword v247, off, s[0:3], 0 offset:300
	buffer_load_dword v246, off, s[0:3], 0 offset:296
	buffer_load_dword v249, off, s[0:3], 0 offset:292
	buffer_load_dword v248, off, s[0:3], 0 offset:288
	buffer_load_dword v97, off, s[0:3], 0 offset:348
	buffer_load_dword v96, off, s[0:3], 0 offset:344
	buffer_load_dword v99, off, s[0:3], 0 offset:340
	buffer_load_dword v98, off, s[0:3], 0 offset:336
	buffer_load_dword v251, off, s[0:3], 0 offset:332
	buffer_load_dword v250, off, s[0:3], 0 offset:328
	buffer_load_dword v253, off, s[0:3], 0 offset:324
	buffer_load_dword v252, off, s[0:3], 0 offset:320
	buffer_load_dword v77, off, s[0:3], 0 offset:380
	buffer_load_dword v76, off, s[0:3], 0 offset:376
	buffer_load_dword v87, off, s[0:3], 0 offset:372
	buffer_load_dword v86, off, s[0:3], 0 offset:368
	buffer_load_dword v101, off, s[0:3], 0 offset:364
	buffer_load_dword v100, off, s[0:3], 0 offset:360
	buffer_load_dword v103, off, s[0:3], 0 offset:356
	buffer_load_dword v102, off, s[0:3], 0 offset:352
	buffer_load_dword v67, off, s[0:3], 0 offset:412
	buffer_load_dword v66, off, s[0:3], 0 offset:408
	buffer_load_dword v69, off, s[0:3], 0 offset:404
	buffer_load_dword v68, off, s[0:3], 0 offset:400
	buffer_load_dword v89, off, s[0:3], 0 offset:396
	buffer_load_dword v88, off, s[0:3], 0 offset:392
	buffer_load_dword v95, off, s[0:3], 0 offset:388
	buffer_load_dword v94, off, s[0:3], 0 offset:384
	buffer_load_dword v79, off, s[0:3], 0 offset:444
	buffer_load_dword v78, off, s[0:3], 0 offset:440
	buffer_load_dword v81, off, s[0:3], 0 offset:436
	buffer_load_dword v80, off, s[0:3], 0 offset:432
	buffer_load_dword v73, off, s[0:3], 0 offset:428
	buffer_load_dword v72, off, s[0:3], 0 offset:424
	buffer_load_dword v75, off, s[0:3], 0 offset:420
	buffer_load_dword v74, off, s[0:3], 0 offset:416
	buffer_load_dword v91, off, s[0:3], 0 offset:476
	buffer_load_dword v90, off, s[0:3], 0 offset:472
	buffer_load_dword v93, off, s[0:3], 0 offset:468
	buffer_load_dword v92, off, s[0:3], 0 offset:464
	buffer_load_dword v83, off, s[0:3], 0 offset:460
	buffer_load_dword v82, off, s[0:3], 0 offset:456
	buffer_load_dword v85, off, s[0:3], 0 offset:452
	buffer_load_dword v84, off, s[0:3], 0 offset:448
	buffer_load_dword v5, off, s[0:3], 0 offset:508
	buffer_load_dword v4, off, s[0:3], 0 offset:504
	s_waitcnt vmcnt(58)
	v_fmac_f64_e32 v[142:143], v[48:49], v[104:105]
	v_add_f64 v[2:3], v[2:3], v[142:143]
	v_fma_f64 v[108:109], v[114:115], v[32:33], -v[30:31]
	s_waitcnt vmcnt(0)
	v_pk_mov_b32 v[118:119], v[4:5], v[4:5] op_sel:[0,1]
	buffer_load_dword v5, off, s[0:3], 0 offset:500
	buffer_load_dword v4, off, s[0:3], 0 offset:496
	v_accvgpr_write_b32 a179, v119
	v_accvgpr_write_b32 a178, v118
	s_waitcnt vmcnt(0)
	v_pk_mov_b32 v[120:121], v[4:5], v[4:5] op_sel:[0,1]
	buffer_load_dword v5, off, s[0:3], 0 offset:492
	buffer_load_dword v4, off, s[0:3], 0 offset:488
	v_accvgpr_write_b32 a181, v121
	v_accvgpr_write_b32 a180, v120
	;; [unrolled: 6-line block ×10, first 2 shown]
	s_waitcnt vmcnt(0)
	v_pk_mov_b32 v[182:183], v[4:5], v[4:5] op_sel:[0,1]
	buffer_load_dword v5, off, s[0:3], 0 offset:548
	buffer_load_dword v4, off, s[0:3], 0 offset:544
	ds_read_b128 v[174:177], v1 offset:1168
	ds_read_b128 v[190:193], v1 offset:1184
	;; [unrolled: 1-line block ×7, first 2 shown]
	buffer_load_dword v135, off, s[0:3], 0 offset:588
	buffer_load_dword v134, off, s[0:3], 0 offset:584
	v_accvgpr_write_b32 a195, v183
	v_accvgpr_write_b32 a194, v182
	s_waitcnt vmcnt(2)
	v_pk_mov_b32 v[186:187], v[4:5], v[4:5] op_sel:[0,1]
	s_waitcnt lgkmcnt(7)
	v_mul_f64 v[4:5], v[42:43], v[60:61]
	v_fmac_f64_e32 v[4:5], v[44:45], v[62:63]
	v_add_f64 v[2:3], v[2:3], v[4:5]
	s_waitcnt lgkmcnt(6)
	v_mul_f64 v[4:5], v[174:175], v[178:179]
	v_fmac_f64_e32 v[4:5], v[176:177], v[184:185]
	v_add_f64 v[2:3], v[2:3], v[4:5]
	s_waitcnt lgkmcnt(5)
	v_mul_f64 v[4:5], v[190:191], v[64:65]
	s_waitcnt vmcnt(0)
	v_pk_mov_b32 v[188:189], v[134:135], v[134:135] op_sel:[0,1]
	buffer_load_dword v135, off, s[0:3], 0 offset:580
	buffer_load_dword v134, off, s[0:3], 0 offset:576
	ds_read_b128 v[218:221], v1 offset:1280
	buffer_load_dword v136, off, s[0:3], 0 offset:600
	buffer_load_dword v137, off, s[0:3], 0 offset:604
	;; [unrolled: 1-line block ×4, first 2 shown]
	ds_read_b128 v[222:225], v1 offset:1296
	ds_read_b128 v[226:229], v1 offset:1312
	;; [unrolled: 1-line block ×4, first 2 shown]
	buffer_load_dword v7, off, s[0:3], 0 offset:620
	buffer_load_dword v6, off, s[0:3], 0 offset:616
	;; [unrolled: 1-line block ×4, first 2 shown]
	v_fmac_f64_e32 v[4:5], v[192:193], v[70:71]
	v_add_f64 v[2:3], v[2:3], v[4:5]
	s_waitcnt lgkmcnt(9)
	v_mul_f64 v[4:5], v[194:195], v[246:247]
	v_fmac_f64_e32 v[4:5], v[196:197], v[248:249]
	v_add_f64 v[2:3], v[2:3], v[4:5]
	s_waitcnt lgkmcnt(8)
	v_mul_f64 v[4:5], v[198:199], v[206:207]
	;; [unrolled: 4-line block ×8, first 2 shown]
	v_fmac_f64_e32 v[4:5], v[228:229], v[68:69]
	ds_read_b128 v[238:241], v1 offset:1360
	ds_read_b128 v[242:245], v1 offset:1376
	v_add_f64 v[2:3], v[2:3], v[4:5]
	s_waitcnt lgkmcnt(3)
	v_mul_f64 v[4:5], v[230:231], v[72:73]
	v_fmac_f64_e32 v[4:5], v[232:233], v[74:75]
	v_add_f64 v[2:3], v[2:3], v[4:5]
	s_waitcnt lgkmcnt(2)
	v_mul_f64 v[4:5], v[234:235], v[78:79]
	ds_read_b128 v[142:145], v1 offset:1392
	ds_read_b128 v[146:149], v1 offset:1408
	v_fmac_f64_e32 v[4:5], v[236:237], v[80:81]
	ds_read_b128 v[138:141], v1 offset:1424
	ds_read_b128 v[150:153], v1 offset:1440
	v_add_f64 v[2:3], v[2:3], v[4:5]
	s_waitcnt lgkmcnt(5)
	v_mul_f64 v[4:5], v[238:239], v[82:83]
	v_fmac_f64_e32 v[4:5], v[240:241], v[84:85]
	v_add_f64 v[2:3], v[2:3], v[4:5]
	s_waitcnt lgkmcnt(4)
	v_mul_f64 v[4:5], v[242:243], v[90:91]
	v_fmac_f64_e32 v[4:5], v[244:245], v[92:93]
	s_waitcnt lgkmcnt(3)
	v_mul_f64 v[14:15], v[142:143], v[126:127]
	v_add_f64 v[158:159], v[2:3], v[4:5]
	v_fmac_f64_e32 v[14:15], v[144:145], v[128:129]
	s_waitcnt lgkmcnt(2)
	v_mul_f64 v[4:5], v[146:147], v[118:119]
	s_waitcnt lgkmcnt(1)
	v_mul_f64 v[26:27], v[138:139], v[130:131]
	v_add_f64 v[14:15], v[158:159], v[14:15]
	v_fmac_f64_e32 v[4:5], v[148:149], v[120:121]
	v_fmac_f64_e32 v[26:27], v[140:141], v[132:133]
	ds_read_b128 v[130:133], v1 offset:1456
	ds_read_b128 v[126:129], v1 offset:1472
	v_add_f64 v[4:5], v[14:15], v[4:5]
	v_add_f64 v[4:5], v[4:5], v[26:27]
	s_waitcnt lgkmcnt(2)
	v_mul_f64 v[26:27], v[150:151], v[122:123]
	v_fmac_f64_e32 v[26:27], v[152:153], v[124:125]
	ds_read_b128 v[122:125], v1 offset:1488
	ds_read_b128 v[118:121], v1 offset:1504
	v_add_f64 v[4:5], v[4:5], v[26:27]
	s_waitcnt lgkmcnt(3)
	v_mul_f64 v[26:27], v[130:131], v[182:183]
	v_fmac_f64_e32 v[26:27], v[132:133], v[186:187]
	v_add_f64 v[4:5], v[4:5], v[26:27]
	s_waitcnt lgkmcnt(2)
	v_mul_f64 v[26:27], v[126:127], v[160:161]
	v_fma_f64 v[158:159], v[106:107], v[20:21], -v[18:19]
	v_fma_f64 v[106:107], v[110:111], v[24:25], -v[22:23]
	v_fmac_f64_e32 v[26:27], v[128:129], v[180:181]
	s_waitcnt lgkmcnt(1)
	v_mul_f64 v[110:111], v[122:123], v[188:189]
	v_add_f64 v[4:5], v[4:5], v[26:27]
	v_fma_f64 v[18:19], v[170:171], v[54:55], -v[52:53]
	v_accvgpr_write_b32 a197, v187
	s_waitcnt vmcnt(8)
	v_fmac_f64_e32 v[110:111], v[124:125], v[134:135]
	v_add_f64 v[4:5], v[4:5], v[110:111]
	v_fma_f64 v[110:111], v[154:155], v[36:37], -v[34:35]
	ds_read_b128 v[34:37], v1 offset:1520
	buffer_load_dword v155, off, s[0:3], 0 offset:636
	buffer_load_dword v154, off, s[0:3], 0 offset:632
	s_waitcnt vmcnt(8) lgkmcnt(1)
	v_mul_f64 v[112:113], v[118:119], v[136:137]
	buffer_load_dword v161, off, s[0:3], 0 offset:628
	buffer_load_dword v160, off, s[0:3], 0 offset:624
	s_waitcnt vmcnt(8)
	v_fmac_f64_e32 v[112:113], v[120:121], v[10:11]
	v_add_f64 v[112:113], v[4:5], v[112:113]
	v_mul_f64 v[4:5], v[164:165], v[38:39]
	v_fma_f64 v[180:181], v[162:163], v[40:41], -v[4:5]
	buffer_load_dword v156, off, s[0:3], 0 offset:664
	buffer_load_dword v30, off, s[0:3], 0 offset:656
	buffer_load_dword v163, off, s[0:3], 0 offset:652
	buffer_load_dword v162, off, s[0:3], 0 offset:648
	buffer_load_dword v165, off, s[0:3], 0 offset:644
	buffer_load_dword v164, off, s[0:3], 0 offset:640
	buffer_load_dword v157, off, s[0:3], 0 offset:668
	buffer_load_dword v31, off, s[0:3], 0 offset:660
	v_mul_f64 v[38:39], v[168:169], v[56:57]
	v_fma_f64 v[20:21], v[166:167], v[58:59], -v[38:39]
	ds_read_b128 v[38:41], v1 offset:1536
	buffer_load_dword v167, off, s[0:3], 0 offset:684
	buffer_load_dword v166, off, s[0:3], 0 offset:680
	;; [unrolled: 1-line block ×8, first 2 shown]
	s_waitcnt vmcnt(22) lgkmcnt(1)
	v_mul_f64 v[8:9], v[34:35], v[6:7]
	v_accvgpr_write_b32 a203, v137
	s_waitcnt vmcnt(20)
	v_fmac_f64_e32 v[8:9], v[36:37], v[16:17]
	v_accvgpr_write_b32 a202, v136
	v_pk_mov_b32 v[136:137], v[16:17], v[16:17] op_sel:[0,1]
	v_add_f64 v[8:9], v[112:113], v[8:9]
	v_mul_f64 v[16:17], v[176:177], v[178:179]
	buffer_load_dword v177, off, s[0:3], 0 offset:716
	buffer_load_dword v176, off, s[0:3], 0 offset:712
	;; [unrolled: 1-line block ×8, first 2 shown]
	v_accvgpr_write_b32 a199, v189
	v_accvgpr_write_b32 a196, v186
	;; [unrolled: 1-line block ×3, first 2 shown]
	v_fma_f64 v[16:17], v[174:175], v[184:185], -v[16:17]
	buffer_load_dword v174, off, s[0:3], 0 offset:760
	buffer_load_dword v187, off, s[0:3], 0 offset:748
	;; [unrolled: 1-line block ×8, first 2 shown]
	v_mul_f64 v[44:45], v[44:45], v[60:61]
	v_accvgpr_write_b32 a205, v11
	v_fma_f64 v[14:15], v[46:47], v[104:105], -v[12:13]
	v_fma_f64 v[12:13], v[42:43], v[62:63], -v[44:45]
	v_mul_f64 v[42:43], v[192:193], v[64:65]
	v_accvgpr_write_b32 a204, v10
	v_fma_f64 v[10:11], v[190:191], v[70:71], -v[42:43]
	buffer_load_dword v191, off, s[0:3], 0 offset:780
	buffer_load_dword v190, off, s[0:3], 0 offset:776
	;; [unrolled: 1-line block ×4, first 2 shown]
	v_mul_f64 v[26:27], v[196:197], v[246:247]
	v_mul_f64 v[42:43], v[200:201], v[206:207]
	v_fma_f64 v[26:27], v[194:195], v[248:249], -v[26:27]
	v_fma_f64 v[248:249], v[198:199], v[208:209], -v[42:43]
	buffer_load_dword v196, off, s[0:3], 0 offset:792
	buffer_load_dword v198, off, s[0:3], 0 offset:784
	;; [unrolled: 1-line block ×4, first 2 shown]
	v_mul_f64 v[42:43], v[204:205], v[250:251]
	v_fma_f64 v[250:251], v[202:203], v[252:253], -v[42:43]
	buffer_load_dword v195, off, s[0:3], 0 offset:828
	buffer_load_dword v201, off, s[0:3], 0 offset:812
	;; [unrolled: 1-line block ×12, first 2 shown]
	ds_read_b128 v[42:45], v1 offset:1552
	v_mul_f64 v[46:47], v[212:213], v[96:97]
	v_accvgpr_write_b32 a201, v135
	v_fma_f64 v[252:253], v[210:211], v[98:99], -v[46:47]
	v_mul_f64 v[46:47], v[216:217], v[100:101]
	v_accvgpr_write_b32 a200, v134
	v_pk_mov_b32 v[134:135], v[6:7], v[6:7] op_sel:[0,1]
	buffer_load_dword v210, off, s[0:3], 0 offset:856
	buffer_load_dword v212, off, s[0:3], 0 offset:848
	;; [unrolled: 1-line block ×4, first 2 shown]
	v_fma_f64 v[6:7], v[214:215], v[102:103], -v[46:47]
	ds_read_b128 v[46:49], v1 offset:1568
	ds_read_b128 v[54:57], v1 offset:1600
	v_mul_f64 v[66:67], v[228:229], v[66:67]
	v_fma_f64 v[4:5], v[226:227], v[68:69], -v[66:67]
	v_mul_f64 v[70:71], v[232:233], v[72:73]
	v_fma_f64 v[232:233], v[230:231], v[74:75], -v[70:71]
	ds_read_b128 v[70:73], v1 offset:1664
	ds_read_b128 v[66:69], v1 offset:1648
	s_waitcnt vmcnt(58) lgkmcnt(5)
	v_mul_f64 v[50:51], v[38:39], v[154:155]
	s_waitcnt vmcnt(56)
	v_fmac_f64_e32 v[50:51], v[40:41], v[160:161]
	v_add_f64 v[8:9], v[8:9], v[50:51]
	ds_read_b128 v[50:53], v1 offset:1584
	s_waitcnt vmcnt(52) lgkmcnt(5)
	v_mul_f64 v[24:25], v[42:43], v[162:163]
	s_waitcnt vmcnt(50)
	v_fmac_f64_e32 v[24:25], v[44:45], v[164:165]
	v_add_f64 v[8:9], v[8:9], v[24:25]
	s_waitcnt vmcnt(49) lgkmcnt(4)
	v_mul_f64 v[24:25], v[46:47], v[156:157]
	s_waitcnt vmcnt(48)
	v_fmac_f64_e32 v[24:25], v[48:49], v[30:31]
	s_waitcnt vmcnt(46) lgkmcnt(0)
	v_mul_f64 v[58:59], v[50:51], v[166:167]
	v_add_f64 v[8:9], v[8:9], v[24:25]
	s_waitcnt vmcnt(44)
	v_fmac_f64_e32 v[58:59], v[52:53], v[170:171]
	v_add_f64 v[8:9], v[8:9], v[58:59]
	v_mul_f64 v[58:59], v[224:225], v[88:89]
	v_fma_f64 v[222:223], v[222:223], v[94:95], -v[58:59]
	ds_read_b128 v[58:61], v1 offset:1616
	s_waitcnt vmcnt(41)
	v_mul_f64 v[62:63], v[54:55], v[168:169]
	s_waitcnt vmcnt(40)
	v_fmac_f64_e32 v[62:63], v[56:57], v[172:173]
	v_add_f64 v[8:9], v[8:9], v[62:63]
	ds_read_b128 v[62:65], v1 offset:1632
	s_waitcnt vmcnt(38) lgkmcnt(1)
	v_mul_f64 v[22:23], v[58:59], v[176:177]
	s_waitcnt vmcnt(36)
	v_fmac_f64_e32 v[22:23], v[60:61], v[112:113]
	v_add_f64 v[8:9], v[8:9], v[22:23]
	v_mul_f64 v[24:25], v[220:221], v[76:77]
	s_waitcnt vmcnt(34) lgkmcnt(0)
	v_mul_f64 v[22:23], v[62:63], v[178:179]
	s_waitcnt vmcnt(32)
	v_fmac_f64_e32 v[22:23], v[64:65], v[182:183]
	v_add_f64 v[8:9], v[8:9], v[22:23]
	s_waitcnt vmcnt(29)
	v_mul_f64 v[22:23], v[66:67], v[186:187]
	s_waitcnt vmcnt(27)
	v_fmac_f64_e32 v[22:23], v[68:69], v[188:189]
	ds_read_b128 v[74:77], v1 offset:1680
	v_add_f64 v[8:9], v[8:9], v[22:23]
	s_waitcnt vmcnt(25)
	v_mul_f64 v[22:23], v[70:71], v[174:175]
	s_waitcnt vmcnt(24)
	v_fmac_f64_e32 v[22:23], v[72:73], v[184:185]
	v_add_f64 v[8:9], v[8:9], v[22:23]
	v_mul_f64 v[22:23], v[236:237], v[78:79]
	v_fma_f64 v[2:3], v[234:235], v[80:81], -v[22:23]
	ds_read_b128 v[78:81], v1 offset:1696
	s_waitcnt vmcnt(22) lgkmcnt(1)
	v_mul_f64 v[22:23], v[74:75], v[190:191]
	s_waitcnt vmcnt(20)
	v_fmac_f64_e32 v[22:23], v[76:77], v[192:193]
	v_add_f64 v[22:23], v[8:9], v[22:23]
	v_mul_f64 v[8:9], v[240:241], v[82:83]
	v_fma_f64 v[8:9], v[238:239], v[84:85], -v[8:9]
	ds_read_b128 v[82:85], v1 offset:1712
	s_waitcnt vmcnt(17) lgkmcnt(1)
	v_mul_f64 v[32:33], v[78:79], v[196:197]
	v_fma_f64 v[24:25], v[218:219], v[86:87], -v[24:25]
	s_waitcnt vmcnt(16)
	v_fmac_f64_e32 v[32:33], v[80:81], v[198:199]
	ds_read_b128 v[86:89], v1 offset:1728
	v_add_f64 v[32:33], v[22:23], v[32:33]
	v_mul_f64 v[22:23], v[244:245], v[90:91]
	v_fma_f64 v[22:23], v[242:243], v[92:93], -v[22:23]
	ds_read_b128 v[90:93], v1 offset:1744
	s_waitcnt vmcnt(13) lgkmcnt(2)
	v_mul_f64 v[94:95], v[82:83], v[200:201]
	s_waitcnt vmcnt(11)
	v_fmac_f64_e32 v[94:95], v[84:85], v[206:207]
	v_add_f64 v[32:33], v[32:33], v[94:95]
	s_waitcnt vmcnt(10) lgkmcnt(1)
	v_mul_f64 v[94:95], v[86:87], v[194:195]
	s_waitcnt vmcnt(8)
	v_fmac_f64_e32 v[94:95], v[88:89], v[204:205]
	v_add_f64 v[32:33], v[32:33], v[94:95]
	;; [unrolled: 5-line block ×3, first 2 shown]
	ds_read_b128 v[94:97], v1 offset:1760
	buffer_load_dword v215, off, s[0:3], 0 offset:876
	buffer_load_dword v214, off, s[0:3], 0 offset:872
	;; [unrolled: 1-line block ×4, first 2 shown]
	s_waitcnt vmcnt(5) lgkmcnt(0)
	v_mul_f64 v[98:99], v[94:95], v[210:211]
	s_waitcnt vmcnt(4)
	v_fmac_f64_e32 v[98:99], v[96:97], v[212:213]
	v_add_f64 v[32:33], v[32:33], v[98:99]
	ds_read_b128 v[98:101], v1 offset:1776
	buffer_load_dword v218, off, s[0:3], 0 offset:888
	buffer_load_dword v219, off, s[0:3], 0 offset:892
	;; [unrolled: 1-line block ×4, first 2 shown]
	s_waitcnt vmcnt(6) lgkmcnt(0)
	v_mul_f64 v[102:103], v[98:99], v[214:215]
	s_waitcnt vmcnt(4)
	v_fmac_f64_e32 v[102:103], v[100:101], v[216:217]
	v_add_f64 v[32:33], v[32:33], v[102:103]
	ds_read_b128 v[102:105], v1 offset:1792
	buffer_load_dword v235, off, s[0:3], 0 offset:908
	buffer_load_dword v234, off, s[0:3], 0 offset:904
	buffer_load_dword v237, off, s[0:3], 0 offset:900
	buffer_load_dword v236, off, s[0:3], 0 offset:896
	ds_read_b128 v[224:227], v1 offset:1808
	buffer_load_dword v238, off, s[0:3], 0 offset:920
	buffer_load_dword v239, off, s[0:3], 0 offset:924
	buffer_load_dword v240, off, s[0:3], 0 offset:912
	buffer_load_dword v241, off, s[0:3], 0 offset:916
	;; [unrolled: 5-line block ×3, first 2 shown]
	s_waitcnt vmcnt(14) lgkmcnt(2)
	v_mul_f64 v[114:115], v[102:103], v[218:219]
	s_waitcnt vmcnt(12)
	v_fmac_f64_e32 v[114:115], v[104:105], v[220:221]
	v_add_f64 v[32:33], v[32:33], v[114:115]
	s_waitcnt vmcnt(10) lgkmcnt(1)
	v_mul_f64 v[114:115], v[224:225], v[234:235]
	s_waitcnt vmcnt(8)
	v_fmac_f64_e32 v[114:115], v[226:227], v[236:237]
	v_add_f64 v[32:33], v[32:33], v[114:115]
	;; [unrolled: 5-line block ×3, first 2 shown]
	ds_read_b128 v[114:117], v1 offset:1840
	s_waitcnt vmcnt(2) lgkmcnt(0)
	v_mul_f64 v[242:243], v[114:115], v[244:245]
	s_waitcnt vmcnt(0)
	v_fmac_f64_e32 v[242:243], v[116:117], v[246:247]
	v_add_f64 v[242:243], v[32:33], v[242:243]
	v_add_f64 v[32:33], v[254:255], 0
	;; [unrolled: 1-line block ×21, first 2 shown]
	buffer_load_dword v222, off, s[0:3], 0 offset:64
	buffer_load_dword v223, off, s[0:3], 0 offset:68
	buffer_load_dword v248, off, s[0:3], 0 offset:72
	buffer_load_dword v249, off, s[0:3], 0 offset:76
	v_add_f64 v[4:5], v[6:7], v[4:5]
	v_add_f64 v[4:5], v[4:5], v[232:233]
	v_add_f64 v[254:255], v[4:5], v[2:3]
	v_accvgpr_read_b32 v4, a174
	v_accvgpr_read_b32 v5, a175
	;; [unrolled: 1-line block ×3, first 2 shown]
	v_add_f64 v[2:3], v[254:255], v[8:9]
	v_mul_f64 v[4:5], v[144:145], v[4:5]
	v_accvgpr_read_b32 v7, a177
	v_add_f64 v[2:3], v[2:3], v[22:23]
	v_fma_f64 v[4:5], v[142:143], v[6:7], -v[4:5]
	v_add_f64 v[2:3], v[2:3], v[4:5]
	v_accvgpr_read_b32 v4, a178
	v_accvgpr_read_b32 v5, a179
	v_accvgpr_read_b32 v6, a180
	v_mul_f64 v[4:5], v[148:149], v[4:5]
	v_accvgpr_read_b32 v7, a181
	v_fma_f64 v[4:5], v[146:147], v[6:7], -v[4:5]
	v_add_f64 v[2:3], v[2:3], v[4:5]
	v_accvgpr_read_b32 v4, a182
	v_accvgpr_read_b32 v5, a183
	v_accvgpr_read_b32 v6, a184
	v_mul_f64 v[4:5], v[140:141], v[4:5]
	v_accvgpr_read_b32 v7, a185
	v_fma_f64 v[4:5], v[138:139], v[6:7], -v[4:5]
	v_add_f64 v[2:3], v[2:3], v[4:5]
	v_accvgpr_read_b32 v4, a186
	v_accvgpr_read_b32 v5, a187
	v_accvgpr_read_b32 v6, a188
	v_mul_f64 v[4:5], v[152:153], v[4:5]
	v_accvgpr_read_b32 v7, a189
	v_fma_f64 v[4:5], v[150:151], v[6:7], -v[4:5]
	v_add_f64 v[2:3], v[2:3], v[4:5]
	v_accvgpr_read_b32 v4, a194
	v_accvgpr_read_b32 v5, a195
	v_accvgpr_read_b32 v6, a196
	v_mul_f64 v[4:5], v[132:133], v[4:5]
	v_accvgpr_read_b32 v7, a197
	v_fma_f64 v[4:5], v[130:131], v[6:7], -v[4:5]
	v_add_f64 v[2:3], v[2:3], v[4:5]
	v_accvgpr_read_b32 v4, a190
	v_accvgpr_read_b32 v5, a191
	v_accvgpr_read_b32 v6, a192
	v_mul_f64 v[4:5], v[128:129], v[4:5]
	v_accvgpr_read_b32 v7, a193
	v_fma_f64 v[4:5], v[126:127], v[6:7], -v[4:5]
	v_add_f64 v[2:3], v[2:3], v[4:5]
	v_accvgpr_read_b32 v4, a198
	v_accvgpr_read_b32 v5, a199
	v_accvgpr_read_b32 v6, a200
	v_mul_f64 v[4:5], v[124:125], v[4:5]
	v_accvgpr_read_b32 v7, a201
	v_fma_f64 v[4:5], v[122:123], v[6:7], -v[4:5]
	v_add_f64 v[2:3], v[2:3], v[4:5]
	v_accvgpr_read_b32 v4, a202
	v_accvgpr_read_b32 v5, a203
	v_accvgpr_read_b32 v6, a204
	v_mul_f64 v[4:5], v[120:121], v[4:5]
	v_accvgpr_read_b32 v7, a205
	v_fma_f64 v[4:5], v[118:119], v[6:7], -v[4:5]
	v_add_f64 v[2:3], v[2:3], v[4:5]
	v_mul_f64 v[4:5], v[36:37], v[134:135]
	v_fma_f64 v[4:5], v[34:35], v[136:137], -v[4:5]
	v_add_f64 v[2:3], v[2:3], v[4:5]
	v_mul_f64 v[4:5], v[40:41], v[154:155]
	;; [unrolled: 3-line block ×21, first 2 shown]
	v_fma_f64 v[4:5], v[114:115], v[246:247], -v[4:5]
	v_add_f64 v[2:3], v[2:3], v[4:5]
	s_waitcnt vmcnt(2)
	v_add_f64 v[2:3], v[222:223], -v[2:3]
	s_waitcnt vmcnt(0)
	v_add_f64 v[4:5], v[248:249], -v[242:243]
	buffer_store_dword v3, off, s[0:3], 0 offset:68
	buffer_store_dword v2, off, s[0:3], 0 offset:64
	;; [unrolled: 1-line block ×4, first 2 shown]
	s_and_saveexec_b64 s[4:5], vcc
	s_cbranch_execz .LBB57_357
; %bb.356:
	v_accvgpr_read_b32 v1, a171
	buffer_load_dword v2, v1, s[0:3], 0 offen
	buffer_load_dword v3, v1, s[0:3], 0 offen offset:4
	buffer_load_dword v4, v1, s[0:3], 0 offen offset:8
	;; [unrolled: 1-line block ×3, first 2 shown]
	v_mov_b32_e32 v1, 0
	v_accvgpr_read_b32 v6, a173
	buffer_store_dword v1, off, s[0:3], 0 offset:48
	buffer_store_dword v1, off, s[0:3], 0 offset:52
	;; [unrolled: 1-line block ×4, first 2 shown]
	s_waitcnt vmcnt(4)
	ds_write_b128 v6, v[2:5]
.LBB57_357:
	s_or_b64 exec, exec, s[4:5]
	s_waitcnt lgkmcnt(0)
	; wave barrier
	s_waitcnt lgkmcnt(0)
	buffer_load_dword v2, off, s[0:3], 0 offset:64
	buffer_load_dword v3, off, s[0:3], 0 offset:68
	;; [unrolled: 1-line block ×42, first 2 shown]
	v_mov_b32_e32 v236, 0
	buffer_load_dword v83, off, s[0:3], 0 offset:212
	buffer_load_dword v82, off, s[0:3], 0 offset:208
	;; [unrolled: 1-line block ×7, first 2 shown]
	ds_read_b128 v[10:13], v236 offset:976
	ds_read_b128 v[22:25], v236 offset:992
	;; [unrolled: 1-line block ×11, first 2 shown]
	v_mov_b32_e32 v237, v0
	v_cmp_lt_u32_e32 vcc, 1, v0
	s_waitcnt vmcnt(45) lgkmcnt(10)
	v_mul_f64 v[56:57], v[10:11], v[4:5]
	v_fmac_f64_e32 v[56:57], v[12:13], v[2:3]
	v_add_f64 v[56:57], v[56:57], 0
	v_mul_f64 v[4:5], v[12:13], v[4:5]
	s_waitcnt vmcnt(41) lgkmcnt(9)
	v_mul_f64 v[58:59], v[22:23], v[8:9]
	v_fmac_f64_e32 v[58:59], v[24:25], v[234:235]
	s_waitcnt vmcnt(39) lgkmcnt(8)
	v_mul_f64 v[60:61], v[98:99], v[14:15]
	v_add_f64 v[56:57], v[56:57], v[58:59]
	s_waitcnt vmcnt(37) lgkmcnt(6)
	v_mul_f64 v[64:65], v[106:107], v[26:27]
	v_mul_f64 v[8:9], v[24:25], v[8:9]
	s_waitcnt vmcnt(35)
	v_fmac_f64_e32 v[64:65], v[108:109], v[28:29]
	v_mul_f64 v[14:15], v[100:101], v[14:15]
	s_waitcnt vmcnt(33)
	v_mul_f64 v[62:63], v[102:103], v[18:19]
	v_mul_f64 v[18:19], v[104:105], v[18:19]
	s_waitcnt vmcnt(31) lgkmcnt(4)
	v_mul_f64 v[68:69], v[114:115], v[34:35]
	v_mul_f64 v[26:27], v[108:109], v[26:27]
	s_waitcnt vmcnt(29)
	v_fmac_f64_e32 v[68:69], v[116:117], v[36:37]
	v_mul_f64 v[34:35], v[116:117], v[34:35]
	s_waitcnt vmcnt(27)
	v_mul_f64 v[66:67], v[110:111], v[30:31]
	s_waitcnt vmcnt(25) lgkmcnt(2)
	v_mul_f64 v[74:75], v[152:153], v[38:39]
	s_waitcnt vmcnt(22)
	v_mul_f64 v[70:71], v[148:149], v[44:45]
	s_waitcnt vmcnt(20) lgkmcnt(1)
	v_mul_f64 v[126:127], v[158:159], v[42:43]
	s_waitcnt vmcnt(18)
	v_fmac_f64_e32 v[60:61], v[100:101], v[16:17]
	v_add_f64 v[56:57], v[56:57], v[60:61]
	s_waitcnt vmcnt(16)
	v_fmac_f64_e32 v[62:63], v[104:105], v[20:21]
	v_add_f64 v[56:57], v[56:57], v[62:63]
	;; [unrolled: 3-line block ×3, first 2 shown]
	v_add_f64 v[56:57], v[56:57], v[66:67]
	s_waitcnt vmcnt(12)
	v_fmac_f64_e32 v[70:71], v[150:151], v[46:47]
	v_add_f64 v[56:57], v[56:57], v[68:69]
	s_waitcnt vmcnt(11)
	v_fmac_f64_e32 v[74:75], v[154:155], v[40:41]
	v_add_f64 v[56:57], v[56:57], v[70:71]
	v_add_f64 v[128:129], v[56:57], v[74:75]
	buffer_load_dword v72, off, s[0:3], 0 offset:248
	buffer_load_dword v187, off, s[0:3], 0 offset:244
	;; [unrolled: 1-line block ×53, first 2 shown]
	s_waitcnt vmcnt(58)
	v_fmac_f64_e32 v[126:127], v[160:161], v[82:83]
	v_add_f64 v[126:127], v[128:129], v[126:127]
	s_waitcnt lgkmcnt(0)
	v_mul_f64 v[128:129], v[162:163], v[48:49]
	v_fmac_f64_e32 v[128:129], v[164:165], v[50:51]
	v_add_f64 v[126:127], v[126:127], v[128:129]
	v_fma_f64 v[100:101], v[106:107], v[28:29], -v[26:27]
	s_waitcnt vmcnt(0)
	v_pk_mov_b32 v[120:121], v[90:91], v[90:91] op_sel:[0,1]
	buffer_load_dword v91, off, s[0:3], 0 offset:484
	buffer_load_dword v90, off, s[0:3], 0 offset:480
	s_waitcnt vmcnt(0)
	v_pk_mov_b32 v[122:123], v[90:91], v[90:91] op_sel:[0,1]
	buffer_load_dword v91, off, s[0:3], 0 offset:476
	buffer_load_dword v90, off, s[0:3], 0 offset:472
	;; [unrolled: 1-line block ×6, first 2 shown]
	v_accvgpr_write_b32 a179, v123
	v_accvgpr_write_b32 a178, v122
	s_waitcnt vmcnt(0)
	v_pk_mov_b32 v[124:125], v[118:119], v[118:119] op_sel:[0,1]
	buffer_load_dword v119, off, s[0:3], 0 offset:516
	buffer_load_dword v118, off, s[0:3], 0 offset:512
	v_accvgpr_write_b32 a193, v125
	v_accvgpr_write_b32 a192, v124
	s_waitcnt vmcnt(0)
	v_pk_mov_b32 v[142:143], v[118:119], v[118:119] op_sel:[0,1]
	buffer_load_dword v119, off, s[0:3], 0 offset:508
	buffer_load_dword v118, off, s[0:3], 0 offset:504
	;; [unrolled: 6-line block ×7, first 2 shown]
	ds_read_b128 v[166:169], v236 offset:1152
	ds_read_b128 v[170:173], v236 offset:1168
	;; [unrolled: 1-line block ×6, first 2 shown]
	s_waitcnt lgkmcnt(5)
	v_mul_f64 v[128:129], v[166:167], v[72:73]
	v_fmac_f64_e32 v[128:129], v[168:169], v[186:187]
	v_add_f64 v[126:127], v[126:127], v[128:129]
	s_waitcnt lgkmcnt(4)
	v_mul_f64 v[128:129], v[170:171], v[54:55]
	v_fmac_f64_e32 v[128:129], v[172:173], v[52:53]
	v_add_f64 v[126:127], v[126:127], v[128:129]
	;; [unrolled: 4-line block ×5, first 2 shown]
	ds_read_b128 v[198:201], v236 offset:1248
	buffer_load_dword v255, off, s[0:3], 0 offset:572
	buffer_load_dword v254, off, s[0:3], 0 offset:568
	;; [unrolled: 1-line block ×4, first 2 shown]
	s_waitcnt lgkmcnt(1)
	v_mul_f64 v[132:133], v[192:193], v[248:249]
	v_fmac_f64_e32 v[132:133], v[194:195], v[96:97]
	ds_read_b128 v[202:205], v236 offset:1264
	buffer_load_dword v128, off, s[0:3], 0 offset:584
	buffer_load_dword v129, off, s[0:3], 0 offset:588
	v_add_f64 v[132:133], v[130:131], v[132:133]
	buffer_load_dword v130, off, s[0:3], 0 offset:576
	buffer_load_dword v131, off, s[0:3], 0 offset:580
	ds_read_b128 v[206:209], v236 offset:1280
	ds_read_b128 v[210:213], v236 offset:1296
	s_waitcnt lgkmcnt(3)
	v_mul_f64 v[134:135], v[198:199], v[84:85]
	v_fmac_f64_e32 v[134:135], v[200:201], v[94:95]
	s_waitcnt lgkmcnt(2)
	v_mul_f64 v[136:137], v[202:203], v[56:57]
	ds_read_b128 v[214:217], v236 offset:1312
	ds_read_b128 v[218:221], v236 offset:1328
	v_add_f64 v[134:135], v[132:133], v[134:135]
	v_fmac_f64_e32 v[136:137], v[204:205], v[58:59]
	v_add_f64 v[134:135], v[134:135], v[136:137]
	s_waitcnt lgkmcnt(3)
	v_mul_f64 v[136:137], v[206:207], v[60:61]
	v_fmac_f64_e32 v[136:137], v[208:209], v[70:71]
	v_add_f64 v[134:135], v[134:135], v[136:137]
	s_waitcnt lgkmcnt(2)
	v_mul_f64 v[136:137], v[210:211], v[62:63]
	buffer_load_dword v7, off, s[0:3], 0 offset:604
	buffer_load_dword v6, off, s[0:3], 0 offset:600
	;; [unrolled: 1-line block ×4, first 2 shown]
	ds_read_b128 v[222:225], v236 offset:1344
	ds_read_b128 v[226:229], v236 offset:1360
	v_fmac_f64_e32 v[136:137], v[212:213], v[64:65]
	s_waitcnt lgkmcnt(3)
	v_mul_f64 v[140:141], v[214:215], v[66:67]
	v_add_f64 v[138:139], v[134:135], v[136:137]
	v_fmac_f64_e32 v[140:141], v[216:217], v[68:69]
	v_add_f64 v[138:139], v[138:139], v[140:141]
	s_waitcnt lgkmcnt(2)
	v_mul_f64 v[140:141], v[218:219], v[74:75]
	ds_read_b128 v[230:233], v236 offset:1376
	ds_read_b128 v[238:241], v236 offset:1392
	v_fmac_f64_e32 v[140:141], v[220:221], v[76:77]
	v_add_f64 v[138:139], v[138:139], v[140:141]
	s_waitcnt lgkmcnt(3)
	v_mul_f64 v[140:141], v[222:223], v[78:79]
	v_fmac_f64_e32 v[140:141], v[224:225], v[80:81]
	v_fma_f64 v[136:137], v[22:23], v[234:235], -v[8:9]
	ds_read_b128 v[22:25], v236 offset:1408
	v_add_f64 v[138:139], v[138:139], v[140:141]
	s_waitcnt lgkmcnt(3)
	v_mul_f64 v[140:141], v[226:227], v[86:87]
	v_fmac_f64_e32 v[140:141], v[228:229], v[88:89]
	v_fma_f64 v[134:135], v[10:11], v[2:3], -v[4:5]
	s_waitcnt lgkmcnt(2)
	v_mul_f64 v[10:11], v[230:231], v[90:91]
	v_add_f64 v[138:139], v[138:139], v[140:141]
	v_fmac_f64_e32 v[10:11], v[232:233], v[92:93]
	s_waitcnt lgkmcnt(1)
	v_mul_f64 v[4:5], v[238:239], v[120:121]
	v_add_f64 v[10:11], v[138:139], v[10:11]
	v_fmac_f64_e32 v[4:5], v[240:241], v[122:123]
	v_pk_mov_b32 v[234:235], v[120:121], v[120:121] op_sel:[0,1]
	ds_read_b128 v[120:123], v236 offset:1424
	v_add_f64 v[4:5], v[10:11], v[4:5]
	s_waitcnt lgkmcnt(1)
	v_pk_mov_b32 v[8:9], v[22:23], v[22:23] op_sel:[0,1]
	v_pk_mov_b32 v[10:11], v[24:25], v[24:25] op_sel:[0,1]
	v_mul_f64 v[22:23], v[8:9], v[156:157]
	v_accvgpr_write_b32 a183, v11
	v_fmac_f64_e32 v[22:23], v[10:11], v[242:243]
	v_accvgpr_write_b32 a182, v10
	v_accvgpr_write_b32 a181, v9
	;; [unrolled: 1-line block ×3, first 2 shown]
	ds_read_b128 v[8:11], v236 offset:1440
	v_accvgpr_write_b32 a174, v238
	v_accvgpr_write_b32 a175, v239
	;; [unrolled: 1-line block ×4, first 2 shown]
	ds_read_b128 v[238:241], v236 offset:1456
	v_add_f64 v[4:5], v[4:5], v[22:23]
	s_waitcnt lgkmcnt(2)
	v_mul_f64 v[22:23], v[120:121], v[124:125]
	v_accvgpr_write_b32 a191, v123
	v_fmac_f64_e32 v[22:23], v[122:123], v[142:143]
	v_accvgpr_write_b32 a190, v122
	v_accvgpr_write_b32 a189, v121
	;; [unrolled: 1-line block ×3, first 2 shown]
	ds_read_b128 v[122:125], v236 offset:1472
	v_add_f64 v[4:5], v[4:5], v[22:23]
	s_waitcnt lgkmcnt(2)
	v_mul_f64 v[22:23], v[8:9], v[244:245]
	s_waitcnt vmcnt(12)
	v_fmac_f64_e32 v[22:23], v[10:11], v[118:119]
	v_accvgpr_write_b32 a204, v244
	v_add_f64 v[4:5], v[4:5], v[22:23]
	s_waitcnt lgkmcnt(1)
	v_mul_f64 v[22:23], v[238:239], v[144:145]
	v_fma_f64 v[138:139], v[98:99], v[16:17], -v[14:15]
	v_fma_f64 v[98:99], v[102:103], v[20:21], -v[18:19]
	v_accvgpr_write_b32 a205, v245
	ds_read_b128 v[242:245], v236 offset:1488
	v_fmac_f64_e32 v[22:23], v[240:241], v[146:147]
	s_waitcnt vmcnt(10) lgkmcnt(1)
	v_mul_f64 v[102:103], v[122:123], v[254:255]
	v_add_f64 v[4:5], v[4:5], v[22:23]
	s_waitcnt vmcnt(8)
	v_fmac_f64_e32 v[102:103], v[124:125], v[126:127]
	v_add_f64 v[102:103], v[4:5], v[102:103]
	v_mul_f64 v[4:5], v[112:113], v[30:31]
	v_fma_f64 v[104:105], v[110:111], v[32:33], -v[4:5]
	ds_read_b128 v[30:33], v236 offset:1504
	buffer_load_dword v121, off, s[0:3], 0 offset:620
	buffer_load_dword v120, off, s[0:3], 0 offset:616
	;; [unrolled: 1-line block ×8, first 2 shown]
	s_waitcnt vmcnt(14) lgkmcnt(1)
	v_mul_f64 v[106:107], v[242:243], v[128:129]
	s_waitcnt vmcnt(12)
	v_fmac_f64_e32 v[106:107], v[244:245], v[130:131]
	v_add_f64 v[102:103], v[102:103], v[106:107]
	v_fma_f64 v[106:107], v[114:115], v[36:37], -v[34:35]
	v_mul_f64 v[34:35], v[150:151], v[44:45]
	buffer_load_dword v151, off, s[0:3], 0 offset:628
	buffer_load_dword v150, off, s[0:3], 0 offset:624
	;; [unrolled: 1-line block ×4, first 2 shown]
	v_fma_f64 v[108:109], v[148:149], v[46:47], -v[34:35]
	v_mul_f64 v[34:35], v[154:155], v[38:39]
	v_fma_f64 v[26:27], v[152:153], v[40:41], -v[34:35]
	buffer_load_dword v148, off, s[0:3], 0 offset:680
	buffer_load_dword v153, off, s[0:3], 0 offset:668
	;; [unrolled: 1-line block ×8, first 2 shown]
	v_accvgpr_write_b32 a199, v11
	v_accvgpr_write_b32 a198, v10
	;; [unrolled: 1-line block ×4, first 2 shown]
	v_mul_f64 v[8:9], v[160:161], v[42:43]
	v_mul_f64 v[34:35], v[164:165], v[48:49]
	v_fma_f64 v[24:25], v[158:159], v[82:83], -v[8:9]
	v_fma_f64 v[16:17], v[162:163], v[50:51], -v[34:35]
	v_mul_f64 v[12:13], v[168:169], v[72:73]
	buffer_load_dword v159, off, s[0:3], 0 offset:716
	buffer_load_dword v163, off, s[0:3], 0 offset:700
	;; [unrolled: 1-line block ×6, first 2 shown]
	v_fma_f64 v[14:15], v[166:167], v[186:187], -v[12:13]
	buffer_load_dword v167, off, s[0:3], 0 offset:708
	buffer_load_dword v166, off, s[0:3], 0 offset:704
	v_mul_f64 v[34:35], v[172:173], v[54:55]
	v_fma_f64 v[12:13], v[170:171], v[52:53], -v[34:35]
	buffer_load_dword v160, off, s[0:3], 0 offset:744
	buffer_load_dword v171, off, s[0:3], 0 offset:732
	;; [unrolled: 1-line block ×8, first 2 shown]
	v_mul_f64 v[22:23], v[176:177], v[196:197]
	ds_read_b128 v[38:41], v236 offset:1520
	ds_read_b128 v[34:37], v236 offset:1536
	v_fma_f64 v[22:23], v[174:175], v[246:247], -v[22:23]
	buffer_load_dword v175, off, s[0:3], 0 offset:764
	buffer_load_dword v174, off, s[0:3], 0 offset:760
	;; [unrolled: 1-line block ×4, first 2 shown]
	v_mul_f64 v[42:43], v[180:181], v[188:189]
	v_fma_f64 v[246:247], v[178:179], v[190:191], -v[42:43]
	buffer_load_dword v178, off, s[0:3], 0 offset:776
	buffer_load_dword v180, off, s[0:3], 0 offset:768
	;; [unrolled: 1-line block ×4, first 2 shown]
	v_mul_f64 v[42:43], v[184:185], v[250:251]
	buffer_load_dword v185, off, s[0:3], 0 offset:796
	buffer_load_dword v184, off, s[0:3], 0 offset:792
	buffer_load_dword v189, off, s[0:3], 0 offset:788
	buffer_load_dword v188, off, s[0:3], 0 offset:784
	buffer_load_dword v187, off, s[0:3], 0 offset:812
	buffer_load_dword v186, off, s[0:3], 0 offset:808
	buffer_load_dword v191, off, s[0:3], 0 offset:804
	buffer_load_dword v190, off, s[0:3], 0 offset:800
	v_fma_f64 v[250:251], v[182:183], v[252:253], -v[42:43]
	v_mul_f64 v[42:43], v[194:195], v[248:249]
	v_fma_f64 v[10:11], v[192:193], v[96:97], -v[42:43]
	buffer_load_dword v182, off, s[0:3], 0 offset:840
	buffer_load_dword v195, off, s[0:3], 0 offset:828
	;; [unrolled: 1-line block ×8, first 2 shown]
	s_waitcnt vmcnt(62) lgkmcnt(2)
	v_mul_f64 v[44:45], v[30:31], v[6:7]
	s_waitcnt vmcnt(60)
	v_fmac_f64_e32 v[44:45], v[32:33], v[132:133]
	v_mul_f64 v[42:43], v[200:201], v[84:85]
	v_add_f64 v[20:21], v[102:103], v[44:45]
	v_fma_f64 v[252:253], v[198:199], v[94:95], -v[42:43]
	ds_read_b128 v[42:45], v236 offset:1552
	v_mul_f64 v[50:51], v[204:205], v[56:57]
	v_fma_f64 v[8:9], v[202:203], v[58:59], -v[50:51]
	ds_read_b128 v[50:53], v236 offset:1584
	v_accvgpr_write_b32 a207, v119
	v_mul_f64 v[62:63], v[212:213], v[62:63]
	ds_read_b128 v[54:57], v236 offset:1600
	v_accvgpr_write_b32 a206, v118
	v_pk_mov_b32 v[118:119], v[6:7], v[6:7] op_sel:[0,1]
	v_fma_f64 v[6:7], v[210:211], v[64:65], -v[62:63]
	v_mul_f64 v[66:67], v[216:217], v[66:67]
	v_fma_f64 v[198:199], v[214:215], v[68:69], -v[66:67]
	ds_read_b128 v[66:69], v236 offset:1648
	ds_read_b128 v[82:85], v236 offset:1712
	;; [unrolled: 1-line block ×3, first 2 shown]
	s_waitcnt vmcnt(58) lgkmcnt(7)
	v_mul_f64 v[46:47], v[38:39], v[120:121]
	s_waitcnt vmcnt(56)
	v_fmac_f64_e32 v[46:47], v[40:41], v[144:145]
	v_add_f64 v[20:21], v[20:21], v[46:47]
	s_waitcnt vmcnt(52) lgkmcnt(6)
	v_mul_f64 v[46:47], v[34:35], v[146:147]
	s_waitcnt vmcnt(50)
	v_fmac_f64_e32 v[46:47], v[36:37], v[150:151]
	v_add_f64 v[20:21], v[20:21], v[46:47]
	;; [unrolled: 5-line block ×3, first 2 shown]
	ds_read_b128 v[46:49], v236 offset:1568
	s_waitcnt vmcnt(41) lgkmcnt(5)
	v_mul_f64 v[58:59], v[50:51], v[148:149]
	s_waitcnt vmcnt(40)
	v_fmac_f64_e32 v[58:59], v[52:53], v[154:155]
	s_waitcnt lgkmcnt(0)
	v_mul_f64 v[18:19], v[46:47], v[152:153]
	v_fmac_f64_e32 v[18:19], v[48:49], v[156:157]
	v_add_f64 v[18:19], v[20:21], v[18:19]
	v_mul_f64 v[20:21], v[208:209], v[60:61]
	v_add_f64 v[18:19], v[18:19], v[58:59]
	ds_read_b128 v[58:61], v236 offset:1616
	s_waitcnt vmcnt(37)
	v_mul_f64 v[28:29], v[54:55], v[162:163]
	s_waitcnt vmcnt(35)
	v_fmac_f64_e32 v[28:29], v[56:57], v[164:165]
	v_add_f64 v[18:19], v[18:19], v[28:29]
	v_fma_f64 v[20:21], v[206:207], v[70:71], -v[20:21]
	s_waitcnt vmcnt(34) lgkmcnt(0)
	v_mul_f64 v[28:29], v[58:59], v[158:159]
	s_waitcnt vmcnt(32)
	v_fmac_f64_e32 v[28:29], v[60:61], v[166:167]
	v_add_f64 v[18:19], v[18:19], v[28:29]
	s_waitcnt vmcnt(29)
	v_mul_f64 v[28:29], v[62:63], v[170:171]
	ds_read_b128 v[70:73], v236 offset:1664
	s_waitcnt vmcnt(27)
	v_fmac_f64_e32 v[28:29], v[64:65], v[172:173]
	v_add_f64 v[18:19], v[18:19], v[28:29]
	s_waitcnt vmcnt(25)
	v_mul_f64 v[28:29], v[66:67], v[160:161]
	s_waitcnt vmcnt(24)
	v_fmac_f64_e32 v[28:29], v[68:69], v[168:169]
	v_add_f64 v[18:19], v[18:19], v[28:29]
	v_mul_f64 v[28:29], v[220:221], v[74:75]
	v_fma_f64 v[220:221], v[218:219], v[76:77], -v[28:29]
	s_waitcnt vmcnt(22) lgkmcnt(0)
	v_mul_f64 v[28:29], v[70:71], v[174:175]
	ds_read_b128 v[74:77], v236 offset:1680
	s_waitcnt vmcnt(20)
	v_fmac_f64_e32 v[28:29], v[72:73], v[176:177]
	v_add_f64 v[18:19], v[18:19], v[28:29]
	v_mul_f64 v[28:29], v[224:225], v[78:79]
	v_fma_f64 v[4:5], v[222:223], v[80:81], -v[28:29]
	ds_read_b128 v[78:81], v236 offset:1696
	s_waitcnt vmcnt(17) lgkmcnt(1)
	v_mul_f64 v[28:29], v[74:75], v[178:179]
	s_waitcnt vmcnt(16)
	v_fmac_f64_e32 v[28:29], v[76:77], v[180:181]
	v_add_f64 v[18:19], v[18:19], v[28:29]
	v_mul_f64 v[28:29], v[228:229], v[86:87]
	v_fma_f64 v[2:3], v[226:227], v[88:89], -v[28:29]
	s_waitcnt vmcnt(14) lgkmcnt(0)
	v_mul_f64 v[28:29], v[78:79], v[184:185]
	s_waitcnt vmcnt(12)
	v_fmac_f64_e32 v[28:29], v[80:81], v[188:189]
	ds_read_b128 v[86:89], v236 offset:1728
	v_add_f64 v[28:29], v[18:19], v[28:29]
	v_mul_f64 v[18:19], v[232:233], v[90:91]
	v_fma_f64 v[18:19], v[230:231], v[92:93], -v[18:19]
	ds_read_b128 v[90:93], v236 offset:1744
	s_waitcnt vmcnt(10)
	v_mul_f64 v[94:95], v[82:83], v[186:187]
	s_waitcnt vmcnt(8)
	v_fmac_f64_e32 v[94:95], v[84:85], v[190:191]
	v_add_f64 v[28:29], v[28:29], v[94:95]
	s_waitcnt vmcnt(5) lgkmcnt(1)
	v_mul_f64 v[94:95], v[86:87], v[194:195]
	s_waitcnt vmcnt(3)
	v_fmac_f64_e32 v[94:95], v[88:89], v[196:197]
	v_add_f64 v[28:29], v[28:29], v[94:95]
	s_waitcnt vmcnt(1) lgkmcnt(0)
	v_mul_f64 v[94:95], v[90:91], v[182:183]
	s_waitcnt vmcnt(0)
	v_fmac_f64_e32 v[94:95], v[92:93], v[192:193]
	v_add_f64 v[102:103], v[28:29], v[94:95]
	buffer_load_dword v29, off, s[0:3], 0 offset:860
	buffer_load_dword v28, off, s[0:3], 0 offset:856
	buffer_load_dword v201, off, s[0:3], 0 offset:852
	buffer_load_dword v200, off, s[0:3], 0 offset:848
	ds_read_b128 v[94:97], v236 offset:1760
	buffer_load_dword v202, off, s[0:3], 0 offset:872
	buffer_load_dword v203, off, s[0:3], 0 offset:876
	buffer_load_dword v204, off, s[0:3], 0 offset:864
	buffer_load_dword v205, off, s[0:3], 0 offset:868
	ds_read_b128 v[222:225], v236 offset:1776
	;; [unrolled: 5-line block ×4, first 2 shown]
	buffer_load_dword v215, off, s[0:3], 0 offset:924
	buffer_load_dword v214, off, s[0:3], 0 offset:920
	buffer_load_dword v217, off, s[0:3], 0 offset:916
	buffer_load_dword v216, off, s[0:3], 0 offset:912
	v_accvgpr_write_b32 a209, v19
	v_accvgpr_write_b32 a208, v18
	s_waitcnt vmcnt(18) lgkmcnt(3)
	v_mul_f64 v[110:111], v[94:95], v[28:29]
	s_waitcnt vmcnt(16)
	v_fmac_f64_e32 v[110:111], v[96:97], v[200:201]
	v_add_f64 v[102:103], v[102:103], v[110:111]
	s_waitcnt vmcnt(14) lgkmcnt(2)
	v_mul_f64 v[110:111], v[222:223], v[202:203]
	s_waitcnt vmcnt(12)
	v_fmac_f64_e32 v[110:111], v[224:225], v[204:205]
	v_add_f64 v[102:103], v[102:103], v[110:111]
	;; [unrolled: 5-line block ×4, first 2 shown]
	ds_read_b128 v[110:113], v236 offset:1824
	s_waitcnt vmcnt(2) lgkmcnt(0)
	v_mul_f64 v[114:115], v[110:111], v[214:215]
	s_waitcnt vmcnt(0)
	v_fmac_f64_e32 v[114:115], v[112:113], v[216:217]
	v_add_f64 v[218:219], v[102:103], v[114:115]
	buffer_load_dword v102, off, s[0:3], 0 offset:936
	buffer_load_dword v103, off, s[0:3], 0 offset:940
	;; [unrolled: 1-line block ×4, first 2 shown]
	ds_read_b128 v[114:117], v236 offset:1840
	s_waitcnt vmcnt(2) lgkmcnt(0)
	v_mul_f64 v[18:19], v[114:115], v[102:103]
	s_waitcnt vmcnt(0)
	v_fmac_f64_e32 v[18:19], v[116:117], v[248:249]
	v_add_f64 v[218:219], v[218:219], v[18:19]
	v_add_f64 v[18:19], v[134:135], 0
	;; [unrolled: 1-line block ×23, first 2 shown]
	buffer_load_dword v250, off, s[0:3], 0 offset:48
	buffer_load_dword v251, off, s[0:3], 0 offset:52
	v_add_f64 v[6:7], v[6:7], v[220:221]
	buffer_load_dword v220, off, s[0:3], 0 offset:56
	buffer_load_dword v221, off, s[0:3], 0 offset:60
	v_add_f64 v[4:5], v[6:7], v[4:5]
	v_add_f64 v[2:3], v[4:5], v[2:3]
	v_accvgpr_read_b32 v4, a208
	v_accvgpr_read_b32 v6, a174
	;; [unrolled: 1-line block ×5, first 2 shown]
	v_add_f64 v[2:3], v[2:3], v[4:5]
	v_mul_f64 v[4:5], v[8:9], v[234:235]
	v_accvgpr_read_b32 v8, a178
	v_accvgpr_read_b32 v7, a175
	v_accvgpr_read_b32 v9, a179
	v_fma_f64 v[4:5], v[6:7], v[8:9], -v[4:5]
	v_add_f64 v[2:3], v[2:3], v[4:5]
	v_accvgpr_read_b32 v6, a180
	v_accvgpr_read_b32 v4, a184
	v_accvgpr_read_b32 v8, a182
	v_accvgpr_read_b32 v9, a183
	v_accvgpr_read_b32 v5, a185
	v_mul_f64 v[4:5], v[8:9], v[4:5]
	v_accvgpr_read_b32 v8, a186
	v_accvgpr_read_b32 v7, a181
	v_accvgpr_read_b32 v9, a187
	v_fma_f64 v[4:5], v[6:7], v[8:9], -v[4:5]
	v_add_f64 v[2:3], v[2:3], v[4:5]
	v_accvgpr_read_b32 v6, a188
	v_accvgpr_read_b32 v4, a192
	v_accvgpr_read_b32 v8, a190
	v_accvgpr_read_b32 v9, a191
	v_accvgpr_read_b32 v5, a193
	;; [unrolled: 11-line block ×3, first 2 shown]
	v_mul_f64 v[4:5], v[8:9], v[4:5]
	v_accvgpr_read_b32 v8, a206
	v_accvgpr_read_b32 v7, a197
	;; [unrolled: 1-line block ×3, first 2 shown]
	v_fma_f64 v[4:5], v[6:7], v[8:9], -v[4:5]
	v_add_f64 v[2:3], v[2:3], v[4:5]
	v_accvgpr_read_b32 v4, a200
	v_accvgpr_read_b32 v5, a201
	;; [unrolled: 1-line block ×3, first 2 shown]
	v_mul_f64 v[4:5], v[240:241], v[4:5]
	v_accvgpr_read_b32 v7, a203
	v_fma_f64 v[4:5], v[238:239], v[6:7], -v[4:5]
	v_add_f64 v[2:3], v[2:3], v[4:5]
	v_mul_f64 v[4:5], v[124:125], v[254:255]
	v_fma_f64 v[4:5], v[122:123], v[126:127], -v[4:5]
	v_add_f64 v[2:3], v[2:3], v[4:5]
	v_mul_f64 v[4:5], v[244:245], v[128:129]
	;; [unrolled: 3-line block ×24, first 2 shown]
	v_fma_f64 v[4:5], v[114:115], v[248:249], -v[4:5]
	v_add_f64 v[2:3], v[2:3], v[4:5]
	s_waitcnt vmcnt(2)
	v_add_f64 v[2:3], v[250:251], -v[2:3]
	s_waitcnt vmcnt(0)
	v_add_f64 v[4:5], v[220:221], -v[218:219]
	buffer_store_dword v3, off, s[0:3], 0 offset:52
	buffer_store_dword v2, off, s[0:3], 0 offset:48
	;; [unrolled: 1-line block ×4, first 2 shown]
	s_and_saveexec_b64 s[4:5], vcc
	s_cbranch_execz .LBB57_359
; %bb.358:
	v_accvgpr_read_b32 v5, a172
	buffer_load_dword v2, v5, s[0:3], 0 offen
	buffer_load_dword v3, v5, s[0:3], 0 offen offset:4
	buffer_load_dword v4, v5, s[0:3], 0 offen offset:8
	s_nop 0
	buffer_load_dword v5, v5, s[0:3], 0 offen offset:12
	v_accvgpr_read_b32 v6, a173
	buffer_store_dword v236, off, s[0:3], 0 offset:32
	buffer_store_dword v236, off, s[0:3], 0 offset:36
	;; [unrolled: 1-line block ×4, first 2 shown]
	s_waitcnt vmcnt(4)
	ds_write_b128 v6, v[2:5]
.LBB57_359:
	s_or_b64 exec, exec, s[4:5]
	s_waitcnt lgkmcnt(0)
	; wave barrier
	s_waitcnt lgkmcnt(0)
	buffer_load_dword v4, off, s[0:3], 0 offset:48
	buffer_load_dword v5, off, s[0:3], 0 offset:52
	;; [unrolled: 1-line block ×42, first 2 shown]
	ds_read_b128 v[102:105], v236 offset:960
	ds_read_b128 v[106:109], v236 offset:976
	ds_read_b128 v[110:113], v236 offset:992
	ds_read_b128 v[114:117], v236 offset:1008
	ds_read_b128 v[146:149], v236 offset:1024
	ds_read_b128 v[150:153], v236 offset:1040
	ds_read_b128 v[154:157], v236 offset:1056
	ds_read_b128 v[158:161], v236 offset:1072
	ds_read_b128 v[42:45], v236 offset:1088
	ds_read_b128 v[34:37], v236 offset:1104
	buffer_load_dword v163, off, s[0:3], 0 offset:196
	buffer_load_dword v162, off, s[0:3], 0 offset:192
	ds_read_b128 v[38:41], v236 offset:1120
	buffer_load_dword v87, off, s[0:3], 0 offset:252
	buffer_load_dword v86, off, s[0:3], 0 offset:248
	;; [unrolled: 1-line block ×6, first 2 shown]
	v_cmp_ne_u32_e32 vcc, 0, v237
	s_waitcnt vmcnt(46) lgkmcnt(10)
	v_mul_f64 v[56:57], v[102:103], v[10:11]
	v_fmac_f64_e32 v[56:57], v[104:105], v[4:5]
	v_add_f64 v[56:57], v[56:57], 0
	v_mul_f64 v[10:11], v[104:105], v[10:11]
	s_waitcnt vmcnt(42) lgkmcnt(9)
	v_mul_f64 v[58:59], v[106:107], v[8:9]
	v_fmac_f64_e32 v[58:59], v[108:109], v[2:3]
	s_waitcnt vmcnt(40) lgkmcnt(8)
	v_mul_f64 v[62:63], v[110:111], v[6:7]
	v_add_f64 v[56:57], v[56:57], v[58:59]
	s_waitcnt vmcnt(38) lgkmcnt(6)
	v_mul_f64 v[66:67], v[146:147], v[14:15]
	v_fma_f64 v[222:223], v[102:103], v[4:5], -v[10:11]
	s_waitcnt vmcnt(36)
	v_fmac_f64_e32 v[66:67], v[148:149], v[144:145]
	v_mul_f64 v[8:9], v[108:109], v[8:9]
	s_waitcnt vmcnt(34)
	v_mul_f64 v[64:65], v[114:115], v[140:141]
	v_fma_f64 v[250:251], v[106:107], v[2:3], -v[8:9]
	s_waitcnt vmcnt(32) lgkmcnt(4)
	v_mul_f64 v[70:71], v[154:155], v[26:27]
	v_mul_f64 v[6:7], v[112:113], v[6:7]
	s_waitcnt vmcnt(30)
	v_fmac_f64_e32 v[70:71], v[156:157], v[28:29]
	v_mul_f64 v[10:11], v[116:117], v[140:141]
	s_waitcnt vmcnt(28)
	v_mul_f64 v[68:69], v[150:151], v[18:19]
	v_mul_f64 v[14:15], v[148:149], v[14:15]
	s_waitcnt vmcnt(26) lgkmcnt(2)
	v_mul_f64 v[74:75], v[42:43], v[46:47]
	v_mul_f64 v[26:27], v[156:157], v[26:27]
	s_waitcnt vmcnt(23)
	v_mul_f64 v[72:73], v[158:159], v[30:31]
	v_mul_f64 v[30:31], v[160:161], v[30:31]
	s_waitcnt vmcnt(21) lgkmcnt(1)
	v_mul_f64 v[130:131], v[34:35], v[50:51]
	s_waitcnt vmcnt(19)
	v_fmac_f64_e32 v[62:63], v[112:113], v[24:25]
	v_add_f64 v[56:57], v[56:57], v[62:63]
	s_waitcnt vmcnt(17)
	v_fmac_f64_e32 v[64:65], v[116:117], v[22:23]
	v_add_f64 v[56:57], v[56:57], v[64:65]
	;; [unrolled: 3-line block ×3, first 2 shown]
	v_add_f64 v[56:57], v[56:57], v[68:69]
	s_waitcnt vmcnt(13)
	v_fmac_f64_e32 v[72:73], v[160:161], v[32:33]
	v_add_f64 v[56:57], v[56:57], v[70:71]
	s_waitcnt vmcnt(12)
	v_fmac_f64_e32 v[74:75], v[44:45], v[48:49]
	v_add_f64 v[56:57], v[56:57], v[72:73]
	v_add_f64 v[132:133], v[56:57], v[74:75]
	buffer_load_dword v171, off, s[0:3], 0 offset:228
	buffer_load_dword v170, off, s[0:3], 0 offset:224
	;; [unrolled: 1-line block ×60, first 2 shown]
	s_waitcnt vmcnt(62)
	v_fmac_f64_e32 v[130:131], v[36:37], v[162:163]
	v_add_f64 v[130:131], v[132:133], v[130:131]
	s_waitcnt lgkmcnt(0)
	v_mul_f64 v[132:133], v[38:39], v[52:53]
	v_fmac_f64_e32 v[132:133], v[40:41], v[54:55]
	v_add_f64 v[130:131], v[130:131], v[132:133]
	v_fma_f64 v[252:253], v[110:111], v[24:25], -v[6:7]
	v_fma_f64 v[254:255], v[114:115], v[22:23], -v[10:11]
	;; [unrolled: 1-line block ×3, first 2 shown]
	v_mul_f64 v[36:37], v[36:37], v[50:51]
	v_mul_f64 v[44:45], v[44:45], v[46:47]
	s_waitcnt vmcnt(0)
	v_pk_mov_b32 v[120:121], v[118:119], v[118:119] op_sel:[0,1]
	buffer_load_dword v119, off, s[0:3], 0 offset:500
	buffer_load_dword v118, off, s[0:3], 0 offset:496
	v_accvgpr_write_b32 a191, v121
	v_accvgpr_write_b32 a190, v120
	s_waitcnt vmcnt(0)
	v_pk_mov_b32 v[122:123], v[118:119], v[118:119] op_sel:[0,1]
	buffer_load_dword v119, off, s[0:3], 0 offset:492
	buffer_load_dword v118, off, s[0:3], 0 offset:488
	v_accvgpr_write_b32 a193, v123
	v_accvgpr_write_b32 a192, v122
	;; [unrolled: 6-line block ×6, first 2 shown]
	s_waitcnt vmcnt(0)
	v_pk_mov_b32 v[234:235], v[118:119], v[118:119] op_sel:[0,1]
	buffer_load_dword v119, off, s[0:3], 0 offset:516
	buffer_load_dword v118, off, s[0:3], 0 offset:512
	ds_read_b128 v[166:169], v236 offset:1136
	ds_read_b128 v[174:177], v236 offset:1152
	;; [unrolled: 1-line block ×6, first 2 shown]
	s_waitcnt lgkmcnt(5)
	v_mul_f64 v[132:133], v[166:167], v[98:99]
	v_fmac_f64_e32 v[132:133], v[168:169], v[170:171]
	v_add_f64 v[130:131], v[130:131], v[132:133]
	s_waitcnt lgkmcnt(4)
	v_mul_f64 v[132:133], v[174:175], v[86:87]
	v_fmac_f64_e32 v[132:133], v[176:177], v[60:61]
	v_add_f64 v[130:131], v[130:131], v[132:133]
	;; [unrolled: 4-line block ×3, first 2 shown]
	s_waitcnt lgkmcnt(2)
	v_mul_f64 v[132:133], v[182:183], v[194:195]
	v_fmac_f64_e32 v[132:133], v[184:185], v[200:201]
	ds_read_b128 v[196:199], v236 offset:1232
	ds_read_b128 v[206:209], v236 offset:1248
	v_add_f64 v[130:131], v[130:131], v[132:133]
	s_waitcnt lgkmcnt(3)
	v_mul_f64 v[132:133], v[186:187], v[232:233]
	v_fmac_f64_e32 v[132:133], v[188:189], v[242:243]
	v_add_f64 v[130:131], v[130:131], v[132:133]
	s_waitcnt lgkmcnt(2)
	v_mul_f64 v[132:133], v[190:191], v[96:97]
	v_fmac_f64_e32 v[132:133], v[192:193], v[100:101]
	;; [unrolled: 4-line block ×4, first 2 shown]
	ds_read_b128 v[210:213], v236 offset:1264
	v_add_f64 v[134:135], v[130:131], v[132:133]
	buffer_load_dword v131, off, s[0:3], 0 offset:556
	buffer_load_dword v130, off, s[0:3], 0 offset:552
	s_waitcnt lgkmcnt(0)
	v_mul_f64 v[136:137], v[210:211], v[88:89]
	v_fmac_f64_e32 v[136:137], v[212:213], v[94:95]
	v_add_f64 v[164:165], v[134:135], v[136:137]
	v_mul_f64 v[46:47], v[212:213], v[88:89]
	s_waitcnt vmcnt(2)
	v_accvgpr_write_b32 a195, v119
	v_accvgpr_write_b32 a194, v118
	s_waitcnt vmcnt(0)
	v_pk_mov_b32 v[248:249], v[130:131], v[130:131] op_sel:[0,1]
	buffer_load_dword v131, off, s[0:3], 0 offset:548
	buffer_load_dword v130, off, s[0:3], 0 offset:544
	ds_read_b128 v[214:217], v236 offset:1280
	buffer_load_dword v16, off, s[0:3], 0 offset:568
	buffer_load_dword v134, off, s[0:3], 0 offset:560
	;; [unrolled: 1-line block ×4, first 2 shown]
	ds_read_b128 v[218:221], v236 offset:1296
	buffer_load_dword v133, off, s[0:3], 0 offset:604
	buffer_load_dword v13, off, s[0:3], 0 offset:588
	;; [unrolled: 1-line block ×8, first 2 shown]
	ds_read_b128 v[224:227], v236 offset:1312
	ds_read_b128 v[228:231], v236 offset:1328
	s_waitcnt lgkmcnt(3)
	v_mul_f64 v[172:173], v[214:215], v[56:57]
	v_fmac_f64_e32 v[172:173], v[216:217], v[58:59]
	v_add_f64 v[164:165], v[164:165], v[172:173]
	s_waitcnt lgkmcnt(2)
	v_mul_f64 v[172:173], v[218:219], v[62:63]
	ds_read_b128 v[238:241], v236 offset:1344
	ds_read_b128 v[102:105], v236 offset:1360
	v_fmac_f64_e32 v[172:173], v[220:221], v[64:65]
	v_add_f64 v[164:165], v[164:165], v[172:173]
	s_waitcnt lgkmcnt(3)
	v_mul_f64 v[172:173], v[224:225], v[66:67]
	v_fmac_f64_e32 v[172:173], v[226:227], v[68:69]
	v_add_f64 v[164:165], v[164:165], v[172:173]
	s_waitcnt lgkmcnt(2)
	v_mul_f64 v[172:173], v[228:229], v[70:71]
	ds_read_b128 v[106:109], v236 offset:1376
	ds_read_b128 v[6:9], v236 offset:1408
	v_fmac_f64_e32 v[172:173], v[230:231], v[72:73]
	s_waitcnt lgkmcnt(3)
	v_mul_f64 v[4:5], v[238:239], v[78:79]
	v_add_f64 v[164:165], v[164:165], v[172:173]
	v_fmac_f64_e32 v[4:5], v[240:241], v[80:81]
	v_add_f64 v[2:3], v[164:165], v[4:5]
	s_waitcnt lgkmcnt(2)
	v_mul_f64 v[4:5], v[102:103], v[82:83]
	v_fmac_f64_e32 v[4:5], v[104:105], v[84:85]
	v_add_f64 v[2:3], v[2:3], v[4:5]
	s_waitcnt lgkmcnt(1)
	v_mul_f64 v[4:5], v[106:107], v[90:91]
	v_fmac_f64_e32 v[4:5], v[108:109], v[92:93]
	v_add_f64 v[164:165], v[2:3], v[4:5]
	ds_read_b128 v[2:5], v236 offset:1392
	s_waitcnt lgkmcnt(1)
	v_accvgpr_write_b32 a185, v9
	v_accvgpr_write_b32 a184, v8
	;; [unrolled: 1-line block ×4, first 2 shown]
	s_waitcnt lgkmcnt(0)
	v_mul_f64 v[24:25], v[2:3], v[128:129]
	v_accvgpr_write_b32 a177, v5
	v_fmac_f64_e32 v[24:25], v[4:5], v[138:139]
	v_accvgpr_write_b32 a176, v4
	v_accvgpr_write_b32 a175, v3
	;; [unrolled: 1-line block ×3, first 2 shown]
	ds_read_b128 v[2:5], v236 offset:1424
	v_add_f64 v[22:23], v[164:165], v[24:25]
	v_mul_f64 v[24:25], v[6:7], v[120:121]
	v_fmac_f64_e32 v[24:25], v[8:9], v[122:123]
	v_add_f64 v[22:23], v[22:23], v[24:25]
	s_waitcnt lgkmcnt(0)
	v_mul_f64 v[24:25], v[2:3], v[234:235]
	v_fmac_f64_e32 v[24:25], v[4:5], v[118:119]
	v_fma_f64 v[118:119], v[146:147], v[144:145], -v[14:15]
	ds_read_b128 v[146:149], v236 offset:1440
	buffer_load_dword v143, off, s[0:3], 0 offset:620
	buffer_load_dword v142, off, s[0:3], 0 offset:616
	;; [unrolled: 1-line block ×4, first 2 shown]
	ds_read_b128 v[138:141], v236 offset:1456
	v_add_f64 v[22:23], v[22:23], v[24:25]
	ds_read_b128 v[120:123], v236 offset:1504
	s_waitcnt lgkmcnt(2)
	v_mul_f64 v[24:25], v[146:147], v[124:125]
	v_fmac_f64_e32 v[24:25], v[148:149], v[126:127]
	ds_read_b128 v[124:127], v236 offset:1488
	v_add_f64 v[22:23], v[22:23], v[24:25]
	s_waitcnt lgkmcnt(2)
	v_mul_f64 v[24:25], v[138:139], v[248:249]
	v_accvgpr_write_b32 a189, v5
	v_accvgpr_write_b32 a188, v4
	;; [unrolled: 1-line block ×4, first 2 shown]
	v_mul_f64 v[4:5], v[152:153], v[18:19]
	v_fma_f64 v[116:117], v[150:151], v[20:21], -v[4:5]
	buffer_load_dword v150, off, s[0:3], 0 offset:632
	v_fma_f64 v[152:153], v[158:159], v[32:33], -v[30:31]
	v_mul_f64 v[8:9], v[40:41], v[52:53]
	v_fma_f64 v[30:31], v[34:35], v[162:163], -v[36:37]
	v_fma_f64 v[26:27], v[38:39], v[54:55], -v[8:9]
	v_mul_f64 v[38:39], v[168:169], v[98:99]
	v_mul_f64 v[40:41], v[188:189], v[232:233]
	;; [unrolled: 1-line block ×3, first 2 shown]
	v_fma_f64 v[244:245], v[196:197], v[246:247], -v[18:19]
	v_accvgpr_write_b32 a200, v248
	v_accvgpr_write_b32 a201, v249
	v_fma_f64 v[248:249], v[42:43], v[48:49], -v[44:45]
	v_mul_f64 v[20:21], v[208:209], v[74:75]
	s_waitcnt vmcnt(17)
	v_accvgpr_write_b32 a203, v131
	v_fmac_f64_e32 v[24:25], v[140:141], v[130:131]
	v_accvgpr_write_b32 a202, v130
	ds_read_b128 v[128:131], v236 offset:1472
	v_add_f64 v[110:111], v[22:23], v[24:25]
	buffer_load_dword v154, off, s[0:3], 0 offset:624
	buffer_load_dword v151, off, s[0:3], 0 offset:636
	;; [unrolled: 1-line block ×3, first 2 shown]
	v_fma_f64 v[22:23], v[166:167], v[170:171], -v[38:39]
	s_waitcnt vmcnt(16)
	v_accvgpr_write_b32 a207, v135
	s_waitcnt lgkmcnt(0)
	v_mul_f64 v[114:115], v[128:129], v[16:17]
	v_fmac_f64_e32 v[114:115], v[130:131], v[134:135]
	v_add_f64 v[110:111], v[110:111], v[114:115]
	s_waitcnt vmcnt(13)
	v_mul_f64 v[114:115], v[124:125], v[12:13]
	s_waitcnt vmcnt(11)
	v_fmac_f64_e32 v[114:115], v[126:127], v[0:1]
	v_add_f64 v[110:111], v[110:111], v[114:115]
	s_waitcnt vmcnt(10)
	v_mul_f64 v[114:115], v[120:121], v[132:133]
	s_waitcnt vmcnt(8)
	v_fmac_f64_e32 v[114:115], v[122:123], v[136:137]
	v_add_f64 v[114:115], v[110:111], v[114:115]
	buffer_load_dword v110, off, s[0:3], 0 offset:664
	buffer_load_dword v159, off, s[0:3], 0 offset:652
	;; [unrolled: 1-line block ×8, first 2 shown]
	ds_read_b128 v[34:37], v236 offset:1520
	buffer_load_dword v163, off, s[0:3], 0 offset:684
	buffer_load_dword v162, off, s[0:3], 0 offset:680
	;; [unrolled: 1-line block ×12, first 2 shown]
	v_accvgpr_write_b32 a205, v17
	v_accvgpr_write_b32 a206, v134
	v_pk_mov_b32 v[134:135], v[12:13], v[12:13] op_sel:[0,1]
	v_mul_f64 v[12:13], v[176:177], v[86:87]
	v_accvgpr_write_b32 a204, v16
	v_fma_f64 v[16:17], v[174:175], v[60:61], -v[12:13]
	buffer_load_dword v174, off, s[0:3], 0 offset:728
	v_mul_f64 v[38:39], v[180:181], v[202:203]
	v_fma_f64 v[202:203], v[178:179], v[204:205], -v[38:39]
	buffer_load_dword v178, off, s[0:3], 0 offset:720
	buffer_load_dword v175, off, s[0:3], 0 offset:732
	;; [unrolled: 1-line block ×3, first 2 shown]
	v_mul_f64 v[38:39], v[184:185], v[194:195]
	v_fma_f64 v[14:15], v[182:183], v[200:201], -v[38:39]
	buffer_load_dword v176, off, s[0:3], 0 offset:760
	buffer_load_dword v183, off, s[0:3], 0 offset:748
	;; [unrolled: 1-line block ×8, first 2 shown]
	v_fma_f64 v[12:13], v[186:187], v[242:243], -v[40:41]
	buffer_load_dword v187, off, s[0:3], 0 offset:780
	buffer_load_dword v186, off, s[0:3], 0 offset:776
	;; [unrolled: 1-line block ×4, first 2 shown]
	v_mul_f64 v[40:41], v[192:193], v[96:97]
	buffer_load_dword v193, off, s[0:3], 0 offset:796
	buffer_load_dword v192, off, s[0:3], 0 offset:792
	;; [unrolled: 1-line block ×4, first 2 shown]
	v_fma_f64 v[10:11], v[190:191], v[100:101], -v[40:41]
	buffer_load_dword v190, off, s[0:3], 0 offset:824
	buffer_load_dword v199, off, s[0:3], 0 offset:812
	;; [unrolled: 1-line block ×12, first 2 shown]
	ds_read_b128 v[42:45], v236 offset:1552
	v_fma_f64 v[6:7], v[210:211], v[94:95], -v[46:47]
	ds_read_b128 v[46:49], v236 offset:1568
	ds_read_b128 v[50:53], v236 offset:1584
	v_fma_f64 v[8:9], v[206:207], v[76:77], -v[20:21]
	v_mul_f64 v[70:71], v[230:231], v[70:71]
	v_fma_f64 v[2:3], v[228:229], v[72:73], -v[70:71]
	ds_read_b128 v[70:73], v236 offset:1664
	ds_read_b128 v[74:77], v236 offset:1680
	s_waitcnt vmcnt(58) lgkmcnt(5)
	v_mul_f64 v[38:39], v[34:35], v[142:143]
	s_waitcnt vmcnt(56)
	v_fmac_f64_e32 v[38:39], v[36:37], v[144:145]
	v_add_f64 v[18:19], v[114:115], v[38:39]
	ds_read_b128 v[38:41], v236 offset:1536
	v_mul_f64 v[82:83], v[104:105], v[82:83]
	v_fma_f64 v[82:83], v[102:103], v[84:85], -v[82:83]
	v_accvgpr_write_b32 a209, v83
	v_accvgpr_write_b32 a208, v82
	ds_read_b128 v[86:89], v236 offset:1728
	ds_read_b128 v[82:85], v236 offset:1712
	s_waitcnt vmcnt(53) lgkmcnt(2)
	v_mul_f64 v[20:21], v[38:39], v[150:151]
	s_waitcnt vmcnt(52)
	v_fmac_f64_e32 v[20:21], v[40:41], v[154:155]
	v_add_f64 v[18:19], v[18:19], v[20:21]
	s_waitcnt vmcnt(49)
	v_mul_f64 v[20:21], v[42:43], v[158:159]
	s_waitcnt vmcnt(47)
	v_fmac_f64_e32 v[20:21], v[44:45], v[160:161]
	v_add_f64 v[18:19], v[18:19], v[20:21]
	s_waitcnt vmcnt(45)
	v_mul_f64 v[20:21], v[46:47], v[110:111]
	s_waitcnt vmcnt(44)
	v_fmac_f64_e32 v[20:21], v[48:49], v[156:157]
	v_add_f64 v[18:19], v[18:19], v[20:21]
	v_mul_f64 v[20:21], v[216:217], v[56:57]
	ds_read_b128 v[54:57], v236 offset:1600
	v_fma_f64 v[24:25], v[214:215], v[58:59], -v[20:21]
	v_mul_f64 v[58:59], v[220:221], v[62:63]
	v_fma_f64 v[4:5], v[218:219], v[64:65], -v[58:59]
	ds_read_b128 v[58:61], v236 offset:1616
	s_waitcnt vmcnt(42)
	v_mul_f64 v[20:21], v[50:51], v[162:163]
	s_waitcnt vmcnt(40)
	v_fmac_f64_e32 v[20:21], v[52:53], v[164:165]
	v_add_f64 v[18:19], v[18:19], v[20:21]
	s_waitcnt vmcnt(38) lgkmcnt(1)
	v_mul_f64 v[20:21], v[54:55], v[166:167]
	s_waitcnt vmcnt(36)
	v_fmac_f64_e32 v[20:21], v[56:57], v[170:171]
	v_add_f64 v[18:19], v[18:19], v[20:21]
	s_waitcnt vmcnt(34) lgkmcnt(0)
	v_mul_f64 v[20:21], v[58:59], v[168:169]
	s_waitcnt vmcnt(32)
	v_fmac_f64_e32 v[20:21], v[60:61], v[172:173]
	ds_read_b128 v[62:65], v236 offset:1632
	v_add_f64 v[18:19], v[18:19], v[20:21]
	v_mul_f64 v[20:21], v[226:227], v[66:67]
	v_fma_f64 v[28:29], v[224:225], v[68:69], -v[20:21]
	ds_read_b128 v[66:69], v236 offset:1648
	s_waitcnt vmcnt(29) lgkmcnt(1)
	v_mul_f64 v[20:21], v[62:63], v[174:175]
	s_waitcnt vmcnt(28)
	v_fmac_f64_e32 v[20:21], v[64:65], v[178:179]
	v_add_f64 v[18:19], v[18:19], v[20:21]
	s_waitcnt vmcnt(25) lgkmcnt(0)
	v_mul_f64 v[20:21], v[66:67], v[182:183]
	s_waitcnt vmcnt(23)
	v_fmac_f64_e32 v[20:21], v[68:69], v[184:185]
	v_add_f64 v[18:19], v[18:19], v[20:21]
	s_waitcnt vmcnt(21)
	v_mul_f64 v[20:21], v[70:71], v[176:177]
	s_waitcnt vmcnt(20)
	v_fmac_f64_e32 v[20:21], v[72:73], v[180:181]
	v_add_f64 v[18:19], v[18:19], v[20:21]
	v_mul_f64 v[20:21], v[240:241], v[78:79]
	v_fma_f64 v[32:33], v[238:239], v[80:81], -v[20:21]
	ds_read_b128 v[78:81], v236 offset:1696
	s_waitcnt vmcnt(18)
	v_mul_f64 v[20:21], v[74:75], v[186:187]
	s_waitcnt vmcnt(16)
	v_fmac_f64_e32 v[20:21], v[76:77], v[188:189]
	v_add_f64 v[18:19], v[18:19], v[20:21]
	s_waitcnt vmcnt(14) lgkmcnt(0)
	v_mul_f64 v[20:21], v[78:79], v[192:193]
	s_waitcnt vmcnt(12)
	v_fmac_f64_e32 v[20:21], v[80:81], v[194:195]
	v_add_f64 v[18:19], v[18:19], v[20:21]
	v_mul_f64 v[20:21], v[108:109], v[90:91]
	v_fma_f64 v[224:225], v[106:107], v[92:93], -v[20:21]
	ds_read_b128 v[90:93], v236 offset:1744
	buffer_load_dword v206, off, s[0:3], 0 offset:856
	buffer_load_dword v207, off, s[0:3], 0 offset:860
	buffer_load_dword v208, off, s[0:3], 0 offset:848
	buffer_load_dword v209, off, s[0:3], 0 offset:852
	ds_read_b128 v[94:97], v236 offset:1760
	buffer_load_dword v211, off, s[0:3], 0 offset:876
	buffer_load_dword v210, off, s[0:3], 0 offset:872
	buffer_load_dword v213, off, s[0:3], 0 offset:868
	buffer_load_dword v212, off, s[0:3], 0 offset:864
	;; [unrolled: 5-line block ×6, first 2 shown]
	s_waitcnt vmcnt(33)
	v_mul_f64 v[20:21], v[82:83], v[198:199]
	s_waitcnt vmcnt(31)
	v_fmac_f64_e32 v[20:21], v[84:85], v[232:233]
	v_add_f64 v[18:19], v[18:19], v[20:21]
	s_waitcnt vmcnt(29)
	v_mul_f64 v[20:21], v[86:87], v[190:191]
	s_waitcnt vmcnt(28)
	v_fmac_f64_e32 v[20:21], v[88:89], v[196:197]
	v_add_f64 v[18:19], v[18:19], v[20:21]
	s_waitcnt vmcnt(26) lgkmcnt(5)
	v_mul_f64 v[20:21], v[90:91], v[200:201]
	s_waitcnt vmcnt(24)
	v_fmac_f64_e32 v[20:21], v[92:93], v[204:205]
	v_add_f64 v[18:19], v[18:19], v[20:21]
	s_waitcnt vmcnt(22) lgkmcnt(4)
	;; [unrolled: 5-line block ×6, first 2 shown]
	v_mul_f64 v[20:21], v[226:227], v[240:241]
	s_waitcnt vmcnt(4)
	v_fmac_f64_e32 v[20:21], v[228:229], v[242:243]
	v_add_f64 v[114:115], v[18:19], v[20:21]
	ds_read_b128 v[18:21], v236 offset:1840
	s_waitcnt vmcnt(2) lgkmcnt(0)
	v_mul_f64 v[220:221], v[18:19], v[246:247]
	s_waitcnt vmcnt(0)
	v_fmac_f64_e32 v[220:221], v[20:21], v[230:231]
	v_add_f64 v[114:115], v[114:115], v[220:221]
	v_add_f64 v[220:221], v[222:223], 0
	;; [unrolled: 1-line block ×19, first 2 shown]
	buffer_load_dword v252, off, s[0:3], 0 offset:32
	buffer_load_dword v253, off, s[0:3], 0 offset:36
	;; [unrolled: 1-line block ×4, first 2 shown]
	v_add_f64 v[8:9], v[10:11], v[8:9]
	v_add_f64 v[6:7], v[8:9], v[6:7]
	;; [unrolled: 1-line block ×6, first 2 shown]
	v_accvgpr_read_b32 v6, a174
	v_accvgpr_read_b32 v4, a178
	v_add_f64 v[222:223], v[2:3], v[32:33]
	v_accvgpr_read_b32 v2, a208
	v_accvgpr_read_b32 v8, a176
	;; [unrolled: 1-line block ×5, first 2 shown]
	v_mul_f64 v[4:5], v[8:9], v[4:5]
	v_accvgpr_read_b32 v8, a180
	v_add_f64 v[2:3], v[222:223], v[2:3]
	v_accvgpr_read_b32 v7, a175
	v_accvgpr_read_b32 v9, a181
	v_add_f64 v[2:3], v[2:3], v[224:225]
	v_fma_f64 v[4:5], v[6:7], v[8:9], -v[4:5]
	v_add_f64 v[2:3], v[2:3], v[4:5]
	v_accvgpr_read_b32 v6, a182
	v_accvgpr_read_b32 v4, a190
	;; [unrolled: 1-line block ×5, first 2 shown]
	v_mul_f64 v[4:5], v[8:9], v[4:5]
	v_accvgpr_read_b32 v8, a192
	v_accvgpr_read_b32 v7, a183
	;; [unrolled: 1-line block ×3, first 2 shown]
	v_fma_f64 v[4:5], v[6:7], v[8:9], -v[4:5]
	v_accvgpr_read_b32 v6, a186
	v_accvgpr_read_b32 v8, a188
	;; [unrolled: 1-line block ×3, first 2 shown]
	v_add_f64 v[2:3], v[2:3], v[4:5]
	v_mul_f64 v[4:5], v[8:9], v[234:235]
	v_accvgpr_read_b32 v8, a194
	v_accvgpr_read_b32 v7, a187
	;; [unrolled: 1-line block ×3, first 2 shown]
	v_fma_f64 v[4:5], v[6:7], v[8:9], -v[4:5]
	v_add_f64 v[2:3], v[2:3], v[4:5]
	v_accvgpr_read_b32 v4, a196
	v_accvgpr_read_b32 v5, a197
	v_accvgpr_read_b32 v6, a198
	v_mul_f64 v[4:5], v[148:149], v[4:5]
	v_accvgpr_read_b32 v7, a199
	v_fma_f64 v[4:5], v[146:147], v[6:7], -v[4:5]
	v_add_f64 v[2:3], v[2:3], v[4:5]
	v_accvgpr_read_b32 v4, a200
	v_accvgpr_read_b32 v5, a201
	v_accvgpr_read_b32 v6, a202
	v_mul_f64 v[4:5], v[140:141], v[4:5]
	v_accvgpr_read_b32 v7, a203
	;; [unrolled: 7-line block ×3, first 2 shown]
	v_fma_f64 v[4:5], v[128:129], v[6:7], -v[4:5]
	v_add_f64 v[2:3], v[2:3], v[4:5]
	v_mul_f64 v[4:5], v[126:127], v[134:135]
	v_fma_f64 v[4:5], v[124:125], v[0:1], -v[4:5]
	v_add_f64 v[2:3], v[2:3], v[4:5]
	v_mul_f64 v[4:5], v[122:123], v[132:133]
	;; [unrolled: 3-line block ×23, first 2 shown]
	v_fma_f64 v[4:5], v[18:19], v[230:231], -v[4:5]
	v_add_f64 v[2:3], v[2:3], v[4:5]
	s_waitcnt vmcnt(2)
	v_add_f64 v[2:3], v[252:253], -v[2:3]
	s_waitcnt vmcnt(0)
	v_add_f64 v[4:5], v[250:251], -v[114:115]
	buffer_store_dword v3, off, s[0:3], 0 offset:36
	buffer_store_dword v2, off, s[0:3], 0 offset:32
	;; [unrolled: 1-line block ×4, first 2 shown]
	s_and_saveexec_b64 s[4:5], vcc
	s_cbranch_execz .LBB57_361
; %bb.360:
	buffer_load_dword v0, off, s[0:3], 0 offset:16
	buffer_load_dword v1, off, s[0:3], 0 offset:20
	buffer_load_dword v2, off, s[0:3], 0 offset:24
	buffer_load_dword v3, off, s[0:3], 0 offset:28
	v_mov_b32_e32 v4, 0
	v_accvgpr_read_b32 v5, a173
	buffer_store_dword v4, off, s[0:3], 0 offset:16
	buffer_store_dword v4, off, s[0:3], 0 offset:20
	;; [unrolled: 1-line block ×4, first 2 shown]
	s_waitcnt vmcnt(4)
	ds_write_b128 v5, v[0:3]
.LBB57_361:
	s_or_b64 exec, exec, s[4:5]
	s_waitcnt lgkmcnt(0)
	; wave barrier
	s_waitcnt lgkmcnt(0)
	buffer_load_dword v6, off, s[0:3], 0 offset:32
	buffer_load_dword v7, off, s[0:3], 0 offset:36
	;; [unrolled: 1-line block ×42, first 2 shown]
	v_mov_b32_e32 v12, 0
	buffer_load_dword v85, off, s[0:3], 0 offset:180
	buffer_load_dword v84, off, s[0:3], 0 offset:176
	buffer_load_dword v49, off, s[0:3], 0 offset:236
	buffer_load_dword v48, off, s[0:3], 0 offset:232
	buffer_load_dword v47, off, s[0:3], 0 offset:228
	buffer_load_dword v46, off, s[0:3], 0 offset:224
	buffer_load_dword v63, off, s[0:3], 0 offset:220
	ds_read_b128 v[100:103], v12 offset:944
	ds_read_b128 v[104:107], v12 offset:960
	;; [unrolled: 1-line block ×11, first 2 shown]
	s_and_b64 vcc, exec, s[20:21]
	s_waitcnt vmcnt(45) lgkmcnt(10)
	v_mul_f64 v[50:51], v[100:101], v[8:9]
	v_fmac_f64_e32 v[50:51], v[102:103], v[6:7]
	v_add_f64 v[50:51], v[50:51], 0
	v_mul_f64 v[8:9], v[102:103], v[8:9]
	s_waitcnt vmcnt(41) lgkmcnt(9)
	v_mul_f64 v[52:53], v[104:105], v[4:5]
	v_fmac_f64_e32 v[52:53], v[106:107], v[0:1]
	s_waitcnt vmcnt(39) lgkmcnt(8)
	v_mul_f64 v[54:55], v[108:109], v[2:3]
	v_add_f64 v[50:51], v[50:51], v[52:53]
	s_waitcnt vmcnt(37) lgkmcnt(6)
	v_mul_f64 v[58:59], v[252:253], v[230:231]
	v_fma_f64 v[212:213], v[100:101], v[6:7], -v[8:9]
	s_waitcnt vmcnt(35)
	v_fmac_f64_e32 v[58:59], v[254:255], v[246:247]
	v_mul_f64 v[4:5], v[106:107], v[4:5]
	s_waitcnt vmcnt(33)
	v_mul_f64 v[56:57], v[112:113], v[14:15]
	v_fma_f64 v[214:215], v[104:105], v[0:1], -v[4:5]
	s_waitcnt vmcnt(31) lgkmcnt(4)
	v_mul_f64 v[64:65], v[134:135], v[20:21]
	v_mul_f64 v[2:3], v[110:111], v[2:3]
	s_waitcnt vmcnt(29)
	v_fmac_f64_e32 v[64:65], v[136:137], v[250:251]
	v_mul_f64 v[4:5], v[114:115], v[14:15]
	s_waitcnt vmcnt(27)
	v_mul_f64 v[60:61], v[130:131], v[16:17]
	v_mul_f64 v[16:17], v[132:133], v[16:17]
	s_waitcnt vmcnt(25) lgkmcnt(2)
	v_mul_f64 v[68:69], v[142:143], v[28:29]
	v_mul_f64 v[20:21], v[136:137], v[20:21]
	;; [unrolled: 1-line block ×3, first 2 shown]
	s_waitcnt vmcnt(22)
	v_mul_f64 v[66:67], v[138:139], v[24:25]
	v_mul_f64 v[24:25], v[140:141], v[24:25]
	s_waitcnt vmcnt(20) lgkmcnt(1)
	v_mul_f64 v[118:119], v[146:147], v[40:41]
	s_waitcnt vmcnt(18)
	v_fmac_f64_e32 v[54:55], v[110:111], v[34:35]
	v_add_f64 v[50:51], v[50:51], v[54:55]
	s_waitcnt vmcnt(16)
	v_fmac_f64_e32 v[56:57], v[114:115], v[32:33]
	v_add_f64 v[50:51], v[50:51], v[56:57]
	;; [unrolled: 3-line block ×3, first 2 shown]
	v_add_f64 v[50:51], v[50:51], v[60:61]
	s_waitcnt vmcnt(12)
	v_fmac_f64_e32 v[66:67], v[140:141], v[26:27]
	v_add_f64 v[50:51], v[50:51], v[64:65]
	s_waitcnt vmcnt(11)
	v_fmac_f64_e32 v[68:69], v[144:145], v[30:31]
	v_add_f64 v[50:51], v[50:51], v[66:67]
	v_add_f64 v[120:121], v[50:51], v[68:69]
	buffer_load_dword v62, off, s[0:3], 0 offset:216
	buffer_load_dword v183, off, s[0:3], 0 offset:212
	buffer_load_dword v182, off, s[0:3], 0 offset:208
	buffer_load_dword v185, off, s[0:3], 0 offset:268
	buffer_load_dword v184, off, s[0:3], 0 offset:264
	buffer_load_dword v211, off, s[0:3], 0 offset:260
	buffer_load_dword v210, off, s[0:3], 0 offset:256
	buffer_load_dword v217, off, s[0:3], 0 offset:252
	buffer_load_dword v216, off, s[0:3], 0 offset:248
	buffer_load_dword v219, off, s[0:3], 0 offset:244
	buffer_load_dword v218, off, s[0:3], 0 offset:240
	buffer_load_dword v223, off, s[0:3], 0 offset:300
	buffer_load_dword v222, off, s[0:3], 0 offset:296
	buffer_load_dword v99, off, s[0:3], 0 offset:292
	buffer_load_dword v98, off, s[0:3], 0 offset:288
	buffer_load_dword v225, off, s[0:3], 0 offset:284
	buffer_load_dword v224, off, s[0:3], 0 offset:280
	buffer_load_dword v227, off, s[0:3], 0 offset:276
	buffer_load_dword v226, off, s[0:3], 0 offset:272
	buffer_load_dword v87, off, s[0:3], 0 offset:332
	buffer_load_dword v86, off, s[0:3], 0 offset:328
	buffer_load_dword v93, off, s[0:3], 0 offset:324
	buffer_load_dword v92, off, s[0:3], 0 offset:320
	buffer_load_dword v95, off, s[0:3], 0 offset:316
	buffer_load_dword v94, off, s[0:3], 0 offset:312
	buffer_load_dword v97, off, s[0:3], 0 offset:308
	buffer_load_dword v96, off, s[0:3], 0 offset:304
	buffer_load_dword v51, off, s[0:3], 0 offset:364
	buffer_load_dword v50, off, s[0:3], 0 offset:360
	buffer_load_dword v53, off, s[0:3], 0 offset:356
	buffer_load_dword v52, off, s[0:3], 0 offset:352
	buffer_load_dword v73, off, s[0:3], 0 offset:348
	buffer_load_dword v72, off, s[0:3], 0 offset:344
	buffer_load_dword v75, off, s[0:3], 0 offset:340
	buffer_load_dword v74, off, s[0:3], 0 offset:336
	buffer_load_dword v57, off, s[0:3], 0 offset:396
	buffer_load_dword v56, off, s[0:3], 0 offset:392
	buffer_load_dword v59, off, s[0:3], 0 offset:388
	buffer_load_dword v58, off, s[0:3], 0 offset:384
	buffer_load_dword v55, off, s[0:3], 0 offset:380
	buffer_load_dword v54, off, s[0:3], 0 offset:376
	buffer_load_dword v61, off, s[0:3], 0 offset:372
	buffer_load_dword v60, off, s[0:3], 0 offset:368
	buffer_load_dword v69, off, s[0:3], 0 offset:428
	buffer_load_dword v68, off, s[0:3], 0 offset:424
	buffer_load_dword v71, off, s[0:3], 0 offset:420
	buffer_load_dword v70, off, s[0:3], 0 offset:416
	buffer_load_dword v65, off, s[0:3], 0 offset:412
	buffer_load_dword v64, off, s[0:3], 0 offset:408
	buffer_load_dword v67, off, s[0:3], 0 offset:404
	buffer_load_dword v66, off, s[0:3], 0 offset:400
	buffer_load_dword v197, off, s[0:3], 0 offset:460
	buffer_load_dword v196, off, s[0:3], 0 offset:456
	buffer_load_dword v117, off, s[0:3], 0 offset:452
	buffer_load_dword v116, off, s[0:3], 0 offset:448
	buffer_load_dword v77, off, s[0:3], 0 offset:444
	buffer_load_dword v76, off, s[0:3], 0 offset:440
	buffer_load_dword v79, off, s[0:3], 0 offset:436
	buffer_load_dword v78, off, s[0:3], 0 offset:432
	buffer_load_dword v11, off, s[0:3], 0 offset:492
	buffer_load_dword v10, off, s[0:3], 0 offset:488
	buffer_load_dword v89, off, s[0:3], 0 offset:484
	buffer_load_dword v88, off, s[0:3], 0 offset:480
	s_waitcnt vmcnt(62)
	v_fmac_f64_e32 v[118:119], v[148:149], v[84:85]
	v_add_f64 v[118:119], v[120:121], v[118:119]
	s_waitcnt lgkmcnt(0)
	v_mul_f64 v[120:121], v[36:37], v[42:43]
	v_fmac_f64_e32 v[120:121], v[38:39], v[44:45]
	v_add_f64 v[118:119], v[118:119], v[120:121]
	v_fma_f64 v[220:221], v[108:109], v[34:35], -v[2:3]
	v_fma_f64 v[228:229], v[112:113], v[32:33], -v[4:5]
	s_waitcnt vmcnt(2)
	v_pk_mov_b32 v[244:245], v[10:11], v[10:11] op_sel:[0,1]
	s_waitcnt vmcnt(0)
	v_pk_mov_b32 v[128:129], v[88:89], v[88:89] op_sel:[0,1]
	buffer_load_dword v89, off, s[0:3], 0 offset:476
	buffer_load_dword v88, off, s[0:3], 0 offset:472
	;; [unrolled: 1-line block ×6, first 2 shown]
	v_accvgpr_write_b32 a180, v244
	v_accvgpr_write_b32 a181, v245
	v_accvgpr_write_b32 a179, v129
	v_accvgpr_write_b32 a178, v128
	s_waitcnt vmcnt(0)
	v_pk_mov_b32 v[232:233], v[122:123], v[122:123] op_sel:[0,1]
	buffer_load_dword v123, off, s[0:3], 0 offset:516
	buffer_load_dword v122, off, s[0:3], 0 offset:512
	;; [unrolled: 1-line block ×4, first 2 shown]
	v_accvgpr_write_b32 a190, v232
	v_accvgpr_write_b32 a191, v233
	s_waitcnt vmcnt(2)
	v_accvgpr_write_b32 a193, v123
	v_accvgpr_write_b32 a192, v122
	s_waitcnt vmcnt(0)
	v_pk_mov_b32 v[234:235], v[150:151], v[150:151] op_sel:[0,1]
	buffer_load_dword v151, off, s[0:3], 0 offset:500
	buffer_load_dword v150, off, s[0:3], 0 offset:496
	ds_read_b128 v[158:161], v12 offset:1152
	ds_read_b128 v[162:165], v12 offset:1168
	ds_read_b128 v[166:169], v12 offset:1184
	ds_read_b128 v[170:173], v12 offset:1200
	ds_read_b128 v[174:177], v12 offset:1216
	ds_read_b128 v[178:181], v12 offset:1232
	ds_read_b128 v[186:189], v12 offset:1248
	ds_read_b128 v[190:193], v12 offset:1264
	v_accvgpr_write_b32 a194, v234
	v_accvgpr_write_b32 a195, v235
	ds_read_b128 v[154:157], v12 offset:1136
	s_waitcnt vmcnt(0)
	v_pk_mov_b32 v[236:237], v[150:151], v[150:151] op_sel:[0,1]
	ds_read_b128 v[150:153], v12 offset:1120
	v_accvgpr_write_b32 a196, v236
	v_accvgpr_write_b32 a197, v237
	s_waitcnt lgkmcnt(0)
	v_mul_f64 v[120:121], v[150:151], v[62:63]
	v_fmac_f64_e32 v[120:121], v[152:153], v[182:183]
	v_add_f64 v[118:119], v[118:119], v[120:121]
	v_mul_f64 v[120:121], v[154:155], v[48:49]
	v_fmac_f64_e32 v[120:121], v[156:157], v[46:47]
	v_add_f64 v[118:119], v[118:119], v[120:121]
	;; [unrolled: 3-line block ×8, first 2 shown]
	buffer_load_dword v121, off, s[0:3], 0 offset:540
	buffer_load_dword v120, off, s[0:3], 0 offset:536
	s_waitcnt vmcnt(0)
	v_pk_mov_b32 v[238:239], v[120:121], v[120:121] op_sel:[0,1]
	buffer_load_dword v121, off, s[0:3], 0 offset:532
	buffer_load_dword v120, off, s[0:3], 0 offset:528
	;; [unrolled: 1-line block ×6, first 2 shown]
	ds_read_b128 v[80:83], v12 offset:1280
	ds_read_b128 v[198:201], v12 offset:1296
	v_accvgpr_write_b32 a198, v238
	v_accvgpr_write_b32 a199, v239
	s_waitcnt lgkmcnt(1)
	v_mul_f64 v[204:205], v[80:81], v[54:55]
	v_fmac_f64_e32 v[204:205], v[82:83], v[60:61]
	s_waitcnt lgkmcnt(0)
	v_mul_f64 v[208:209], v[198:199], v[56:57]
	v_fmac_f64_e32 v[208:209], v[200:201], v[58:59]
	v_mul_f64 v[56:57], v[200:201], v[56:57]
	s_waitcnt vmcnt(1)
	v_accvgpr_write_b32 a203, v11
	v_pk_mov_b32 v[240:241], v[120:121], v[120:121] op_sel:[0,1]
	v_mul_f64 v[120:121], v[186:187], v[72:73]
	v_fmac_f64_e32 v[120:121], v[188:189], v[74:75]
	v_add_f64 v[118:119], v[118:119], v[120:121]
	v_mul_f64 v[120:121], v[190:191], v[50:51]
	v_fmac_f64_e32 v[120:121], v[192:193], v[52:53]
	v_add_f64 v[202:203], v[118:119], v[120:121]
	buffer_load_dword v119, off, s[0:3], 0 offset:572
	buffer_load_dword v118, off, s[0:3], 0 offset:568
	v_add_f64 v[206:207], v[202:203], v[204:205]
	v_add_f64 v[6:7], v[206:207], v[208:209]
	v_accvgpr_write_b32 a200, v240
	v_accvgpr_write_b32 a201, v241
	;; [unrolled: 1-line block ×3, first 2 shown]
	s_waitcnt vmcnt(2)
	v_accvgpr_write_b32 a205, v195
	v_accvgpr_write_b32 a204, v194
	s_waitcnt vmcnt(0)
	v_pk_mov_b32 v[120:121], v[118:119], v[118:119] op_sel:[0,1]
	buffer_load_dword v119, off, s[0:3], 0 offset:564
	buffer_load_dword v118, off, s[0:3], 0 offset:560
	;; [unrolled: 1-line block ×10, first 2 shown]
	ds_read_b128 v[202:205], v12 offset:1312
	ds_read_b128 v[100:103], v12 offset:1328
	;; [unrolled: 1-line block ×5, first 2 shown]
	s_waitcnt lgkmcnt(4)
	v_mul_f64 v[8:9], v[202:203], v[64:65]
	v_fmac_f64_e32 v[8:9], v[204:205], v[66:67]
	v_add_f64 v[6:7], v[6:7], v[8:9]
	s_waitcnt lgkmcnt(3)
	v_mul_f64 v[8:9], v[100:101], v[68:69]
	v_fmac_f64_e32 v[8:9], v[102:103], v[70:71]
	s_waitcnt lgkmcnt(2)
	v_mul_f64 v[0:1], v[206:207], v[76:77]
	v_add_f64 v[6:7], v[6:7], v[8:9]
	v_fmac_f64_e32 v[0:1], v[208:209], v[78:79]
	s_waitcnt lgkmcnt(1)
	v_mul_f64 v[2:3], v[104:105], v[196:197]
	v_add_f64 v[0:1], v[6:7], v[0:1]
	v_fmac_f64_e32 v[2:3], v[106:107], v[116:117]
	v_add_f64 v[8:9], v[0:1], v[2:3]
	ds_read_b128 v[0:3], v12 offset:1392
	s_waitcnt lgkmcnt(1)
	v_mul_f64 v[14:15], v[108:109], v[88:89]
	ds_read_b128 v[4:7], v12 offset:1408
	ds_read_b128 v[112:115], v12 offset:1424
	v_fmac_f64_e32 v[14:15], v[110:111], v[90:91]
	v_add_f64 v[14:15], v[8:9], v[14:15]
	v_mul_f64 v[8:9], v[254:255], v[230:231]
	s_waitcnt lgkmcnt(2)
	v_mul_f64 v[32:33], v[0:1], v[244:245]
	v_fma_f64 v[230:231], v[252:253], v[246:247], -v[8:9]
	ds_read_b128 v[252:255], v12 offset:1440
	ds_read_b128 v[246:249], v12 offset:1456
	v_fmac_f64_e32 v[32:33], v[2:3], v[128:129]
	v_accvgpr_write_b32 a177, v3
	v_accvgpr_write_b32 a176, v2
	;; [unrolled: 1-line block ×4, first 2 shown]
	v_add_f64 v[0:1], v[14:15], v[32:33]
	s_waitcnt lgkmcnt(3)
	v_mul_f64 v[14:15], v[4:5], v[234:235]
	v_fmac_f64_e32 v[14:15], v[6:7], v[236:237]
	v_add_f64 v[0:1], v[0:1], v[14:15]
	s_waitcnt lgkmcnt(2)
	v_mul_f64 v[14:15], v[112:113], v[232:233]
	v_fma_f64 v[232:233], v[130:131], v[242:243], -v[16:17]
	ds_read_b128 v[242:245], v12 offset:1472
	s_waitcnt lgkmcnt(2)
	v_mul_f64 v[34:35], v[252:253], v[238:239]
	v_fmac_f64_e32 v[14:15], v[114:115], v[122:123]
	v_fmac_f64_e32 v[34:35], v[254:255], v[240:241]
	v_fma_f64 v[122:123], v[134:135], v[250:251], -v[20:21]
	buffer_load_dword v128, off, s[0:3], 0 offset:616
	buffer_load_dword v250, off, s[0:3], 0 offset:608
	;; [unrolled: 1-line block ×4, first 2 shown]
	ds_read_b128 v[238:241], v12 offset:1488
	ds_read_b128 v[234:237], v12 offset:1504
	v_add_f64 v[32:33], v[0:1], v[14:15]
	s_waitcnt lgkmcnt(3)
	v_mul_f64 v[2:3], v[246:247], v[10:11]
	v_add_f64 v[32:33], v[32:33], v[34:35]
	v_fmac_f64_e32 v[2:3], v[248:249], v[194:195]
	v_add_f64 v[2:3], v[32:33], v[2:3]
	s_waitcnt lgkmcnt(2)
	v_mul_f64 v[32:33], v[242:243], v[120:121]
	v_accvgpr_write_b32 a207, v121
	v_accvgpr_write_b32 a206, v120
	v_fma_f64 v[130:131], v[138:139], v[26:27], -v[24:25]
	v_accvgpr_write_b32 a189, v115
	v_accvgpr_write_b32 a188, v114
	;; [unrolled: 1-line block ×4, first 2 shown]
	v_fma_f64 v[112:113], v[142:143], v[30:31], -v[28:29]
	v_accvgpr_write_b32 a185, v7
	v_accvgpr_write_b32 a184, v6
	;; [unrolled: 1-line block ×4, first 2 shown]
	v_mul_f64 v[6:7], v[38:39], v[42:43]
	v_mul_f64 v[10:11], v[160:161], v[216:217]
	;; [unrolled: 1-line block ×3, first 2 shown]
	v_fma_f64 v[34:35], v[158:159], v[218:219], -v[10:11]
	v_fma_f64 v[14:15], v[170:171], v[98:99], -v[14:15]
	v_mul_f64 v[64:65], v[204:205], v[64:65]
	v_mul_f64 v[76:77], v[208:209], v[76:77]
	v_fma_f64 v[0:1], v[206:207], v[78:79], -v[76:77]
	s_waitcnt vmcnt(10)
	v_accvgpr_write_b32 a211, v23
	v_accvgpr_write_b32 a210, v22
	s_waitcnt vmcnt(8)
	v_pk_mov_b32 v[120:121], v[126:127], v[126:127] op_sel:[0,1]
	v_mul_f64 v[88:89], v[110:111], v[88:89]
	v_fma_f64 v[218:219], v[108:109], v[90:91], -v[88:89]
	v_fmac_f64_e32 v[32:33], v[244:245], v[118:119]
	v_add_f64 v[2:3], v[2:3], v[32:33]
	s_waitcnt lgkmcnt(1)
	v_mul_f64 v[32:33], v[238:239], v[22:23]
	v_fmac_f64_e32 v[32:33], v[240:241], v[126:127]
	v_accvgpr_write_b32 a209, v119
	v_add_f64 v[2:3], v[2:3], v[32:33]
	s_waitcnt vmcnt(6) lgkmcnt(0)
	v_mul_f64 v[32:33], v[234:235], v[18:19]
	s_waitcnt vmcnt(4)
	v_accvgpr_write_b32 a215, v125
	v_accvgpr_write_b32 a208, v118
	v_fmac_f64_e32 v[32:33], v[236:237], v[124:125]
	v_accvgpr_write_b32 a214, v124
	ds_read_b128 v[124:127], v12 offset:1520
	buffer_load_dword v119, off, s[0:3], 0 offset:636
	buffer_load_dword v118, off, s[0:3], 0 offset:632
	;; [unrolled: 1-line block ×8, first 2 shown]
	v_add_f64 v[114:115], v[2:3], v[32:33]
	v_mul_f64 v[2:3], v[148:149], v[40:41]
	buffer_load_dword v137, off, s[0:3], 0 offset:684
	buffer_load_dword v143, off, s[0:3], 0 offset:668
	;; [unrolled: 1-line block ×6, first 2 shown]
	v_fma_f64 v[24:25], v[146:147], v[84:85], -v[2:3]
	buffer_load_dword v147, off, s[0:3], 0 offset:676
	buffer_load_dword v146, off, s[0:3], 0 offset:672
	v_fma_f64 v[22:23], v[36:37], v[44:45], -v[6:7]
	v_mul_f64 v[36:37], v[152:153], v[62:63]
	v_fma_f64 v[182:183], v[150:151], v[182:183], -v[36:37]
	buffer_load_dword v140, off, s[0:3], 0 offset:712
	buffer_load_dword v151, off, s[0:3], 0 offset:700
	buffer_load_dword v150, off, s[0:3], 0 offset:696
	buffer_load_dword v153, off, s[0:3], 0 offset:692
	buffer_load_dword v152, off, s[0:3], 0 offset:688
	buffer_load_dword v148, off, s[0:3], 0 offset:704
	buffer_load_dword v141, off, s[0:3], 0 offset:716
	buffer_load_dword v149, off, s[0:3], 0 offset:708
	v_mul_f64 v[36:37], v[156:157], v[48:49]
	v_fma_f64 v[20:21], v[154:155], v[46:47], -v[36:37]
	buffer_load_dword v155, off, s[0:3], 0 offset:732
	buffer_load_dword v154, off, s[0:3], 0 offset:728
	buffer_load_dword v157, off, s[0:3], 0 offset:724
	buffer_load_dword v156, off, s[0:3], 0 offset:720
	v_mul_f64 v[36:37], v[164:165], v[184:185]
	v_fma_f64 v[216:217], v[162:163], v[210:211], -v[36:37]
	buffer_load_dword v160, off, s[0:3], 0 offset:744
	buffer_load_dword v162, off, s[0:3], 0 offset:736
	buffer_load_dword v161, off, s[0:3], 0 offset:748
	buffer_load_dword v163, off, s[0:3], 0 offset:740
	;; [unrolled: 6-line block ×3, first 2 shown]
	buffer_load_dword v170, off, s[0:3], 0 offset:752
	buffer_load_dword v158, off, s[0:3], 0 offset:776
	;; [unrolled: 1-line block ×8, first 2 shown]
	v_mul_f64 v[36:37], v[176:177], v[94:95]
	v_fma_f64 v[28:29], v[174:175], v[96:97], -v[36:37]
	v_mul_f64 v[36:37], v[180:181], v[86:87]
	v_fma_f64 v[10:11], v[178:179], v[92:93], -v[36:37]
	buffer_load_dword v176, off, s[0:3], 0 offset:808
	buffer_load_dword v178, off, s[0:3], 0 offset:800
	;; [unrolled: 1-line block ×12, first 2 shown]
	v_mul_f64 v[40:41], v[188:189], v[72:73]
	v_fma_f64 v[8:9], v[186:187], v[74:75], -v[40:41]
	ds_read_b128 v[40:43], v12 offset:1552
	v_fma_f64 v[2:3], v[202:203], v[66:67], -v[64:65]
	ds_read_b128 v[76:79], v12 offset:1696
	ds_read_b128 v[84:87], v12 offset:1712
	v_accvgpr_write_b32 a213, v19
	v_accvgpr_write_b32 a212, v18
	s_waitcnt vmcnt(57) lgkmcnt(3)
	v_mul_f64 v[36:37], v[124:125], v[128:129]
	s_waitcnt vmcnt(56)
	v_fmac_f64_e32 v[36:37], v[126:127], v[250:251]
	v_add_f64 v[44:45], v[114:115], v[36:37]
	ds_read_b128 v[36:39], v12 offset:1536
	v_fma_f64 v[114:115], v[198:199], v[58:59], -v[56:57]
	ds_read_b128 v[56:59], v12 offset:1616
	ds_read_b128 v[88:91], v12 offset:1744
	ds_read_b128 v[64:67], v12 offset:1648
	s_waitcnt vmcnt(54) lgkmcnt(3)
	v_mul_f64 v[46:47], v[36:37], v[118:119]
	s_waitcnt vmcnt(52)
	v_fmac_f64_e32 v[46:47], v[38:39], v[134:135]
	v_add_f64 v[48:49], v[44:45], v[46:47]
	v_mul_f64 v[44:45], v[192:193], v[50:51]
	s_waitcnt vmcnt(49)
	v_mul_f64 v[50:51], v[40:41], v[132:133]
	v_fma_f64 v[6:7], v[190:191], v[52:53], -v[44:45]
	ds_read_b128 v[44:47], v12 offset:1568
	s_waitcnt vmcnt(48)
	v_fmac_f64_e32 v[50:51], v[42:43], v[138:139]
	v_add_f64 v[62:63], v[48:49], v[50:51]
	ds_read_b128 v[48:51], v12 offset:1584
	v_mul_f64 v[52:53], v[82:83], v[54:55]
	v_fma_f64 v[4:5], v[80:81], v[60:61], -v[52:53]
	ds_read_b128 v[52:55], v12 offset:1600
	s_waitcnt vmcnt(45) lgkmcnt(2)
	v_mul_f64 v[26:27], v[44:45], v[142:143]
	s_waitcnt vmcnt(43)
	v_fmac_f64_e32 v[26:27], v[46:47], v[144:145]
	s_waitcnt vmcnt(42) lgkmcnt(1)
	v_mul_f64 v[60:61], v[48:49], v[136:137]
	v_add_f64 v[26:27], v[62:63], v[26:27]
	s_waitcnt vmcnt(40)
	v_fmac_f64_e32 v[60:61], v[50:51], v[146:147]
	v_add_f64 v[26:27], v[26:27], v[60:61]
	s_waitcnt vmcnt(37) lgkmcnt(0)
	v_mul_f64 v[60:61], v[52:53], v[150:151]
	s_waitcnt vmcnt(35)
	v_fmac_f64_e32 v[60:61], v[54:55], v[152:153]
	v_add_f64 v[26:27], v[26:27], v[60:61]
	s_waitcnt vmcnt(33)
	v_mul_f64 v[60:61], v[56:57], v[140:141]
	s_waitcnt vmcnt(32)
	v_fmac_f64_e32 v[60:61], v[58:59], v[148:149]
	v_add_f64 v[26:27], v[26:27], v[60:61]
	ds_read_b128 v[60:63], v12 offset:1632
	s_waitcnt vmcnt(25)
	v_mul_f64 v[72:73], v[64:65], v[160:161]
	s_waitcnt vmcnt(24)
	v_fmac_f64_e32 v[72:73], v[66:67], v[162:163]
	ds_read_b128 v[80:83], v12 offset:1728
	s_waitcnt vmcnt(14)
	v_mul_f64 v[92:93], v[76:77], v[166:167]
	s_waitcnt lgkmcnt(1)
	v_mul_f64 v[32:33], v[60:61], v[154:155]
	v_fmac_f64_e32 v[32:33], v[62:63], v[156:157]
	v_add_f64 v[26:27], v[26:27], v[32:33]
	v_mul_f64 v[32:33], v[102:103], v[68:69]
	v_fma_f64 v[32:33], v[100:101], v[70:71], -v[32:33]
	ds_read_b128 v[68:71], v12 offset:1664
	v_add_f64 v[26:27], v[26:27], v[72:73]
	ds_read_b128 v[72:75], v12 offset:1680
	s_waitcnt vmcnt(12)
	v_fmac_f64_e32 v[92:93], v[78:79], v[172:173]
	buffer_load_dword v187, off, s[0:3], 0 offset:860
	buffer_load_dword v186, off, s[0:3], 0 offset:856
	;; [unrolled: 1-line block ×4, first 2 shown]
	s_waitcnt lgkmcnt(1)
	v_mul_f64 v[30:31], v[68:69], v[164:165]
	v_fmac_f64_e32 v[30:31], v[70:71], v[170:171]
	v_add_f64 v[26:27], v[26:27], v[30:31]
	s_waitcnt lgkmcnt(0)
	v_mul_f64 v[30:31], v[72:73], v[158:159]
	v_fmac_f64_e32 v[30:31], v[74:75], v[168:169]
	v_add_f64 v[30:31], v[26:27], v[30:31]
	v_add_f64 v[30:31], v[30:31], v[92:93]
	s_waitcnt vmcnt(13)
	v_mul_f64 v[92:93], v[84:85], v[176:177]
	s_waitcnt vmcnt(12)
	v_fmac_f64_e32 v[92:93], v[86:87], v[178:179]
	v_add_f64 v[30:31], v[30:31], v[92:93]
	s_waitcnt vmcnt(9)
	v_mul_f64 v[92:93], v[80:81], v[226:227]
	s_waitcnt vmcnt(7)
	v_fmac_f64_e32 v[92:93], v[82:83], v[184:185]
	;; [unrolled: 5-line block ×3, first 2 shown]
	v_add_f64 v[30:31], v[30:31], v[92:93]
	ds_read_b128 v[92:95], v12 offset:1760
	buffer_load_dword v190, off, s[0:3], 0 offset:872
	buffer_load_dword v191, off, s[0:3], 0 offset:876
	;; [unrolled: 1-line block ×4, first 2 shown]
	v_mul_f64 v[26:27], v[106:107], v[196:197]
	v_fma_f64 v[26:27], v[104:105], v[116:117], -v[26:27]
	s_waitcnt vmcnt(6) lgkmcnt(0)
	v_mul_f64 v[96:97], v[92:93], v[186:187]
	s_waitcnt vmcnt(4)
	v_fmac_f64_e32 v[96:97], v[94:95], v[188:189]
	v_add_f64 v[30:31], v[30:31], v[96:97]
	ds_read_b128 v[96:99], v12 offset:1776
	buffer_load_dword v195, off, s[0:3], 0 offset:892
	buffer_load_dword v194, off, s[0:3], 0 offset:888
	buffer_load_dword v197, off, s[0:3], 0 offset:884
	buffer_load_dword v196, off, s[0:3], 0 offset:880
	s_waitcnt vmcnt(6) lgkmcnt(0)
	v_mul_f64 v[100:101], v[96:97], v[190:191]
	s_waitcnt vmcnt(4)
	v_fmac_f64_e32 v[100:101], v[98:99], v[192:193]
	v_add_f64 v[30:31], v[30:31], v[100:101]
	ds_read_b128 v[100:103], v12 offset:1792
	buffer_load_dword v198, off, s[0:3], 0 offset:904
	buffer_load_dword v199, off, s[0:3], 0 offset:908
	buffer_load_dword v200, off, s[0:3], 0 offset:896
	buffer_load_dword v201, off, s[0:3], 0 offset:900
	s_waitcnt vmcnt(6) lgkmcnt(0)
	v_mul_f64 v[104:105], v[100:101], v[194:195]
	s_waitcnt vmcnt(4)
	v_fmac_f64_e32 v[104:105], v[102:103], v[196:197]
	v_add_f64 v[30:31], v[30:31], v[104:105]
	ds_read_b128 v[104:107], v12 offset:1808
	buffer_load_dword v203, off, s[0:3], 0 offset:924
	buffer_load_dword v202, off, s[0:3], 0 offset:920
	buffer_load_dword v205, off, s[0:3], 0 offset:916
	buffer_load_dword v204, off, s[0:3], 0 offset:912
	s_waitcnt vmcnt(6) lgkmcnt(0)
	v_mul_f64 v[108:109], v[104:105], v[198:199]
	s_waitcnt vmcnt(4)
	v_fmac_f64_e32 v[108:109], v[106:107], v[200:201]
	v_add_f64 v[30:31], v[30:31], v[108:109]
	ds_read_b128 v[108:111], v12 offset:1824
	buffer_load_dword v208, off, s[0:3], 0 offset:936
	buffer_load_dword v209, off, s[0:3], 0 offset:940
	buffer_load_dword v210, off, s[0:3], 0 offset:928
	buffer_load_dword v211, off, s[0:3], 0 offset:932
	ds_read_b128 v[222:225], v12 offset:1840
	s_waitcnt vmcnt(6) lgkmcnt(1)
	v_mul_f64 v[206:207], v[108:109], v[202:203]
	s_waitcnt vmcnt(4)
	v_fmac_f64_e32 v[206:207], v[110:111], v[204:205]
	v_add_f64 v[30:31], v[30:31], v[206:207]
	s_waitcnt vmcnt(2) lgkmcnt(0)
	v_mul_f64 v[206:207], v[222:223], v[208:209]
	s_waitcnt vmcnt(0)
	v_fmac_f64_e32 v[206:207], v[224:225], v[210:211]
	v_add_f64 v[206:207], v[30:31], v[206:207]
	v_add_f64 v[30:31], v[212:213], 0
	;; [unrolled: 1-line block ×25, first 2 shown]
	buffer_load_dword v214, off, s[0:3], 0 offset:16
	buffer_load_dword v215, off, s[0:3], 0 offset:20
	v_add_f64 v[2:3], v[2:3], v[32:33]
	buffer_load_dword v212, off, s[0:3], 0 offset:24
	buffer_load_dword v213, off, s[0:3], 0 offset:28
	v_add_f64 v[220:221], v[2:3], v[0:1]
	v_accvgpr_read_b32 v4, a174
	v_accvgpr_read_b32 v2, a180
	;; [unrolled: 1-line block ×5, first 2 shown]
	v_mul_f64 v[2:3], v[6:7], v[2:3]
	v_accvgpr_read_b32 v6, a178
	v_add_f64 v[0:1], v[220:221], v[26:27]
	v_accvgpr_read_b32 v5, a175
	v_accvgpr_read_b32 v7, a179
	v_add_f64 v[0:1], v[0:1], v[218:219]
	v_fma_f64 v[2:3], v[4:5], v[6:7], -v[2:3]
	v_add_f64 v[0:1], v[0:1], v[2:3]
	v_accvgpr_read_b32 v4, a182
	v_accvgpr_read_b32 v2, a194
	;; [unrolled: 1-line block ×5, first 2 shown]
	v_mul_f64 v[2:3], v[6:7], v[2:3]
	v_accvgpr_read_b32 v6, a196
	v_accvgpr_read_b32 v5, a183
	v_accvgpr_read_b32 v7, a197
	v_fma_f64 v[2:3], v[4:5], v[6:7], -v[2:3]
	v_add_f64 v[0:1], v[0:1], v[2:3]
	v_accvgpr_read_b32 v4, a186
	v_accvgpr_read_b32 v2, a190
	;; [unrolled: 1-line block ×5, first 2 shown]
	v_mul_f64 v[2:3], v[6:7], v[2:3]
	v_accvgpr_read_b32 v6, a192
	v_accvgpr_read_b32 v5, a187
	;; [unrolled: 1-line block ×3, first 2 shown]
	v_fma_f64 v[2:3], v[4:5], v[6:7], -v[2:3]
	v_add_f64 v[0:1], v[0:1], v[2:3]
	v_accvgpr_read_b32 v2, a198
	v_accvgpr_read_b32 v3, a199
	v_accvgpr_read_b32 v4, a200
	v_mul_f64 v[2:3], v[254:255], v[2:3]
	v_accvgpr_read_b32 v5, a201
	v_fma_f64 v[2:3], v[252:253], v[4:5], -v[2:3]
	v_add_f64 v[0:1], v[0:1], v[2:3]
	v_accvgpr_read_b32 v2, a202
	v_accvgpr_read_b32 v3, a203
	v_accvgpr_read_b32 v4, a204
	v_mul_f64 v[2:3], v[248:249], v[2:3]
	v_accvgpr_read_b32 v5, a205
	;; [unrolled: 7-line block ×3, first 2 shown]
	v_fma_f64 v[2:3], v[242:243], v[4:5], -v[2:3]
	v_add_f64 v[0:1], v[0:1], v[2:3]
	v_accvgpr_read_b32 v2, a210
	v_accvgpr_read_b32 v3, a211
	v_mul_f64 v[2:3], v[240:241], v[2:3]
	v_fma_f64 v[2:3], v[238:239], v[120:121], -v[2:3]
	v_add_f64 v[0:1], v[0:1], v[2:3]
	v_accvgpr_read_b32 v2, a212
	v_accvgpr_read_b32 v3, a213
	;; [unrolled: 1-line block ×3, first 2 shown]
	v_mul_f64 v[2:3], v[236:237], v[2:3]
	v_accvgpr_read_b32 v5, a215
	v_fma_f64 v[2:3], v[234:235], v[4:5], -v[2:3]
	v_add_f64 v[0:1], v[0:1], v[2:3]
	v_mul_f64 v[2:3], v[126:127], v[128:129]
	v_fma_f64 v[2:3], v[124:125], v[250:251], -v[2:3]
	v_add_f64 v[0:1], v[0:1], v[2:3]
	v_mul_f64 v[2:3], v[38:39], v[118:119]
	;; [unrolled: 3-line block ×21, first 2 shown]
	v_fma_f64 v[2:3], v[222:223], v[210:211], -v[2:3]
	v_add_f64 v[0:1], v[0:1], v[2:3]
	s_waitcnt vmcnt(2)
	v_add_f64 v[0:1], v[214:215], -v[0:1]
	s_waitcnt vmcnt(0)
	v_add_f64 v[2:3], v[212:213], -v[206:207]
	buffer_store_dword v1, off, s[0:3], 0 offset:20
	buffer_store_dword v0, off, s[0:3], 0 offset:16
	;; [unrolled: 1-line block ×4, first 2 shown]
	s_cbranch_vccz .LBB57_477
; %bb.362:
	v_pk_mov_b32 v[0:1], s[10:11], s[10:11] op_sel:[0,1]
	flat_load_dword v0, v[0:1] offset:224
	s_waitcnt vmcnt(0) lgkmcnt(0)
	v_add_u32_e32 v0, -1, v0
	v_cmp_ne_u32_e32 vcc, 56, v0
	s_and_saveexec_b64 s[4:5], vcc
	s_cbranch_execz .LBB57_364
; %bb.363:
	v_mov_b32_e32 v1, 16
	v_accvgpr_read_b32 v9, a117
	v_lshl_add_u32 v0, v0, 4, v1
	buffer_load_dword v1, v9, s[0:3], 0 offen offset:4
	buffer_load_dword v2, v9, s[0:3], 0 offen offset:8
	buffer_load_dword v3, v9, s[0:3], 0 offen offset:12
	buffer_load_dword v4, v0, s[0:3], 0 offen
	buffer_load_dword v5, v0, s[0:3], 0 offen offset:4
	buffer_load_dword v6, v0, s[0:3], 0 offen offset:8
	buffer_load_dword v7, v0, s[0:3], 0 offen offset:12
	buffer_load_dword v8, v9, s[0:3], 0 offen
	s_waitcnt vmcnt(4)
	buffer_store_dword v4, v9, s[0:3], 0 offen
	s_waitcnt vmcnt(4)
	buffer_store_dword v5, v9, s[0:3], 0 offen offset:4
	s_waitcnt vmcnt(4)
	buffer_store_dword v6, v9, s[0:3], 0 offen offset:8
	s_waitcnt vmcnt(4)
	buffer_store_dword v7, v9, s[0:3], 0 offen offset:12
	buffer_store_dword v3, v0, s[0:3], 0 offen offset:12
	buffer_store_dword v2, v0, s[0:3], 0 offen offset:8
	buffer_store_dword v1, v0, s[0:3], 0 offen offset:4
	s_waitcnt vmcnt(7)
	buffer_store_dword v8, v0, s[0:3], 0 offen
.LBB57_364:
	s_or_b64 exec, exec, s[4:5]
	v_pk_mov_b32 v[0:1], s[10:11], s[10:11] op_sel:[0,1]
	flat_load_dword v0, v[0:1] offset:220
	s_waitcnt vmcnt(0) lgkmcnt(0)
	v_add_u32_e32 v0, -1, v0
	v_cmp_ne_u32_e32 vcc, 55, v0
	s_and_saveexec_b64 s[4:5], vcc
	s_cbranch_execz .LBB57_366
; %bb.365:
	v_mov_b32_e32 v1, 16
	v_accvgpr_read_b32 v9, a118
	v_lshl_add_u32 v0, v0, 4, v1
	buffer_load_dword v1, v9, s[0:3], 0 offen offset:4
	buffer_load_dword v2, v9, s[0:3], 0 offen offset:8
	buffer_load_dword v3, v9, s[0:3], 0 offen offset:12
	buffer_load_dword v4, v0, s[0:3], 0 offen
	buffer_load_dword v5, v0, s[0:3], 0 offen offset:4
	buffer_load_dword v6, v0, s[0:3], 0 offen offset:8
	buffer_load_dword v7, v0, s[0:3], 0 offen offset:12
	buffer_load_dword v8, v9, s[0:3], 0 offen
	s_waitcnt vmcnt(4)
	buffer_store_dword v4, v9, s[0:3], 0 offen
	s_waitcnt vmcnt(4)
	buffer_store_dword v5, v9, s[0:3], 0 offen offset:4
	s_waitcnt vmcnt(4)
	buffer_store_dword v6, v9, s[0:3], 0 offen offset:8
	s_waitcnt vmcnt(4)
	buffer_store_dword v7, v9, s[0:3], 0 offen offset:12
	buffer_store_dword v3, v0, s[0:3], 0 offen offset:12
	buffer_store_dword v2, v0, s[0:3], 0 offen offset:8
	buffer_store_dword v1, v0, s[0:3], 0 offen offset:4
	s_waitcnt vmcnt(7)
	buffer_store_dword v8, v0, s[0:3], 0 offen
.LBB57_366:
	s_or_b64 exec, exec, s[4:5]
	;; [unrolled: 34-line block ×56, first 2 shown]
	v_pk_mov_b32 v[0:1], s[10:11], s[10:11] op_sel:[0,1]
	flat_load_dword v0, v[0:1]
	s_waitcnt vmcnt(0) lgkmcnt(0)
	v_add_u32_e32 v0, -1, v0
	v_cmp_ne_u32_e32 vcc, 0, v0
	s_and_saveexec_b64 s[4:5], vcc
	s_cbranch_execz .LBB57_476
; %bb.475:
	v_mov_b32_e32 v1, 16
	v_lshl_add_u32 v0, v0, 4, v1
	buffer_load_dword v1, v0, s[0:3], 0 offen
	buffer_load_dword v2, v0, s[0:3], 0 offen offset:4
	buffer_load_dword v3, v0, s[0:3], 0 offen offset:8
	buffer_load_dword v4, v0, s[0:3], 0 offen offset:12
	buffer_load_dword v5, off, s[0:3], 0 offset:28
	buffer_load_dword v6, off, s[0:3], 0 offset:24
	;; [unrolled: 1-line block ×4, first 2 shown]
	s_waitcnt vmcnt(7)
	buffer_store_dword v1, off, s[0:3], 0 offset:16
	s_waitcnt vmcnt(7)
	buffer_store_dword v2, off, s[0:3], 0 offset:20
	;; [unrolled: 2-line block ×4, first 2 shown]
	s_waitcnt vmcnt(7)
	buffer_store_dword v5, v0, s[0:3], 0 offen offset:12
	s_waitcnt vmcnt(7)
	buffer_store_dword v6, v0, s[0:3], 0 offen offset:8
	;; [unrolled: 2-line block ×3, first 2 shown]
	s_waitcnt vmcnt(7)
	buffer_store_dword v8, v0, s[0:3], 0 offen
.LBB57_476:
	s_or_b64 exec, exec, s[4:5]
.LBB57_477:
	buffer_load_dword v0, off, s[0:3], 0 offset:16
	buffer_load_dword v1, off, s[0:3], 0 offset:20
	;; [unrolled: 1-line block ×4, first 2 shown]
	v_accvgpr_read_b32 v4, a114
	v_accvgpr_read_b32 v5, a115
	s_waitcnt vmcnt(0)
	global_store_dwordx4 v[4:5], v[0:3], off
	s_nop 0
	v_accvgpr_read_b32 v3, a172
	buffer_load_dword v0, v3, s[0:3], 0 offen
	buffer_load_dword v1, v3, s[0:3], 0 offen offset:4
	buffer_load_dword v2, v3, s[0:3], 0 offen offset:8
	s_nop 0
	buffer_load_dword v3, v3, s[0:3], 0 offen offset:12
	v_accvgpr_read_b32 v4, a110
	v_accvgpr_read_b32 v5, a111
	s_waitcnt vmcnt(0)
	global_store_dwordx4 v[4:5], v[0:3], off
	s_nop 0
	v_accvgpr_read_b32 v3, a171
	buffer_load_dword v0, v3, s[0:3], 0 offen
	buffer_load_dword v1, v3, s[0:3], 0 offen offset:4
	buffer_load_dword v2, v3, s[0:3], 0 offen offset:8
	s_nop 0
	buffer_load_dword v3, v3, s[0:3], 0 offen offset:12
	;; [unrolled: 11-line block ×16, first 2 shown]
	v_accvgpr_read_b32 v4, a34
	v_accvgpr_read_b32 v5, a35
	s_waitcnt vmcnt(0)
	global_store_dwordx4 v[4:5], v[0:3], off
	v_accvgpr_read_b32 v4, a156
	buffer_load_dword v0, v4, s[0:3], 0 offen
	buffer_load_dword v1, v4, s[0:3], 0 offen offset:4
	buffer_load_dword v2, v4, s[0:3], 0 offen offset:8
	buffer_load_dword v3, v4, s[0:3], 0 offen offset:12
	v_accvgpr_read_b32 v4, a112
	v_accvgpr_read_b32 v5, a113
	s_waitcnt vmcnt(0)
	global_store_dwordx4 v[4:5], v[0:3], off
	v_accvgpr_read_b32 v4, a155
	buffer_load_dword v0, v4, s[0:3], 0 offen
	buffer_load_dword v1, v4, s[0:3], 0 offen offset:4
	buffer_load_dword v2, v4, s[0:3], 0 offen offset:8
	buffer_load_dword v3, v4, s[0:3], 0 offen offset:12
	;; [unrolled: 9-line block ×41, first 2 shown]
	v_accvgpr_read_b32 v5, a1
	v_accvgpr_read_b32 v4, a0
	s_waitcnt vmcnt(0)
	global_store_dwordx4 v[4:5], v[0:3], off
	s_endpgm
	.section	.rodata,"a",@progbits
	.p2align	6, 0x0
	.amdhsa_kernel _ZN9rocsolver6v33100L18getri_kernel_smallILi58E19rocblas_complex_numIdEPS3_EEvT1_iilPiilS6_bb
		.amdhsa_group_segment_fixed_size 1864
		.amdhsa_private_segment_fixed_size 960
		.amdhsa_kernarg_size 60
		.amdhsa_user_sgpr_count 8
		.amdhsa_user_sgpr_private_segment_buffer 1
		.amdhsa_user_sgpr_dispatch_ptr 0
		.amdhsa_user_sgpr_queue_ptr 0
		.amdhsa_user_sgpr_kernarg_segment_ptr 1
		.amdhsa_user_sgpr_dispatch_id 0
		.amdhsa_user_sgpr_flat_scratch_init 1
		.amdhsa_user_sgpr_kernarg_preload_length 0
		.amdhsa_user_sgpr_kernarg_preload_offset 0
		.amdhsa_user_sgpr_private_segment_size 0
		.amdhsa_uses_dynamic_stack 0
		.amdhsa_system_sgpr_private_segment_wavefront_offset 1
		.amdhsa_system_sgpr_workgroup_id_x 1
		.amdhsa_system_sgpr_workgroup_id_y 0
		.amdhsa_system_sgpr_workgroup_id_z 0
		.amdhsa_system_sgpr_workgroup_info 0
		.amdhsa_system_vgpr_workitem_id 0
		.amdhsa_next_free_vgpr 472
		.amdhsa_next_free_sgpr 23
		.amdhsa_accum_offset 256
		.amdhsa_reserve_vcc 1
		.amdhsa_reserve_flat_scratch 1
		.amdhsa_float_round_mode_32 0
		.amdhsa_float_round_mode_16_64 0
		.amdhsa_float_denorm_mode_32 3
		.amdhsa_float_denorm_mode_16_64 3
		.amdhsa_dx10_clamp 1
		.amdhsa_ieee_mode 1
		.amdhsa_fp16_overflow 0
		.amdhsa_tg_split 0
		.amdhsa_exception_fp_ieee_invalid_op 0
		.amdhsa_exception_fp_denorm_src 0
		.amdhsa_exception_fp_ieee_div_zero 0
		.amdhsa_exception_fp_ieee_overflow 0
		.amdhsa_exception_fp_ieee_underflow 0
		.amdhsa_exception_fp_ieee_inexact 0
		.amdhsa_exception_int_div_zero 0
	.end_amdhsa_kernel
	.section	.text._ZN9rocsolver6v33100L18getri_kernel_smallILi58E19rocblas_complex_numIdEPS3_EEvT1_iilPiilS6_bb,"axG",@progbits,_ZN9rocsolver6v33100L18getri_kernel_smallILi58E19rocblas_complex_numIdEPS3_EEvT1_iilPiilS6_bb,comdat
.Lfunc_end57:
	.size	_ZN9rocsolver6v33100L18getri_kernel_smallILi58E19rocblas_complex_numIdEPS3_EEvT1_iilPiilS6_bb, .Lfunc_end57-_ZN9rocsolver6v33100L18getri_kernel_smallILi58E19rocblas_complex_numIdEPS3_EEvT1_iilPiilS6_bb
                                        ; -- End function
	.section	.AMDGPU.csdata,"",@progbits
; Kernel info:
; codeLenInByte = 209436
; NumSgprs: 29
; NumVgprs: 256
; NumAgprs: 216
; TotalNumVgprs: 472
; ScratchSize: 960
; MemoryBound: 0
; FloatMode: 240
; IeeeMode: 1
; LDSByteSize: 1864 bytes/workgroup (compile time only)
; SGPRBlocks: 3
; VGPRBlocks: 58
; NumSGPRsForWavesPerEU: 29
; NumVGPRsForWavesPerEU: 472
; AccumOffset: 256
; Occupancy: 1
; WaveLimiterHint : 1
; COMPUTE_PGM_RSRC2:SCRATCH_EN: 1
; COMPUTE_PGM_RSRC2:USER_SGPR: 8
; COMPUTE_PGM_RSRC2:TRAP_HANDLER: 0
; COMPUTE_PGM_RSRC2:TGID_X_EN: 1
; COMPUTE_PGM_RSRC2:TGID_Y_EN: 0
; COMPUTE_PGM_RSRC2:TGID_Z_EN: 0
; COMPUTE_PGM_RSRC2:TIDIG_COMP_CNT: 0
; COMPUTE_PGM_RSRC3_GFX90A:ACCUM_OFFSET: 63
; COMPUTE_PGM_RSRC3_GFX90A:TG_SPLIT: 0
	.section	.text._ZN9rocsolver6v33100L18getri_kernel_smallILi59E19rocblas_complex_numIdEPS3_EEvT1_iilPiilS6_bb,"axG",@progbits,_ZN9rocsolver6v33100L18getri_kernel_smallILi59E19rocblas_complex_numIdEPS3_EEvT1_iilPiilS6_bb,comdat
	.globl	_ZN9rocsolver6v33100L18getri_kernel_smallILi59E19rocblas_complex_numIdEPS3_EEvT1_iilPiilS6_bb ; -- Begin function _ZN9rocsolver6v33100L18getri_kernel_smallILi59E19rocblas_complex_numIdEPS3_EEvT1_iilPiilS6_bb
	.p2align	8
	.type	_ZN9rocsolver6v33100L18getri_kernel_smallILi59E19rocblas_complex_numIdEPS3_EEvT1_iilPiilS6_bb,@function
_ZN9rocsolver6v33100L18getri_kernel_smallILi59E19rocblas_complex_numIdEPS3_EEvT1_iilPiilS6_bb: ; @_ZN9rocsolver6v33100L18getri_kernel_smallILi59E19rocblas_complex_numIdEPS3_EEvT1_iilPiilS6_bb
; %bb.0:
	s_add_u32 flat_scratch_lo, s6, s9
	s_addc_u32 flat_scratch_hi, s7, 0
	s_add_u32 s0, s0, s9
	v_mov_b32_e32 v228, v0
	s_addc_u32 s1, s1, 0
	v_cmp_gt_u32_e32 vcc, 59, v228
	s_and_saveexec_b64 s[6:7], vcc
	s_cbranch_execz .LBB58_250
; %bb.1:
	s_load_dword s22, s[4:5], 0x38
	s_load_dwordx4 s[16:19], s[4:5], 0x10
	s_load_dwordx4 s[12:15], s[4:5], 0x28
                                        ; implicit-def: $sgpr10_sgpr11
	s_waitcnt lgkmcnt(0)
	s_bitcmp1_b32 s22, 8
	s_cselect_b64 s[20:21], -1, 0
	s_ashr_i32 s9, s8, 31
	s_bfe_u32 s6, s22, 0x10008
	s_cmp_eq_u32 s6, 0
	s_cbranch_scc1 .LBB58_3
; %bb.2:
	s_load_dword s6, s[4:5], 0x20
	s_mul_i32 s7, s8, s13
	s_mul_hi_u32 s10, s8, s12
	s_mul_i32 s11, s9, s12
	s_add_i32 s10, s10, s7
	s_add_i32 s11, s10, s11
	s_mul_i32 s10, s8, s12
	s_waitcnt lgkmcnt(0)
	s_ashr_i32 s7, s6, 31
	s_lshl_b64 s[10:11], s[10:11], 2
	s_add_u32 s10, s18, s10
	s_addc_u32 s11, s19, s11
	s_lshl_b64 s[6:7], s[6:7], 2
	s_add_u32 s10, s10, s6
	s_addc_u32 s11, s11, s7
.LBB58_3:
	s_load_dwordx4 s[4:7], s[4:5], 0x0
	s_mul_i32 s12, s8, s17
	s_mul_hi_u32 s13, s8, s16
	s_add_i32 s17, s13, s12
	v_lshlrev_b32_e32 v1, 4, v228
	s_waitcnt lgkmcnt(0)
	s_ashr_i32 s13, s6, 31
	s_mov_b32 s12, s6
	s_mul_i32 s6, s9, s16
	s_add_i32 s17, s17, s6
	s_mul_i32 s16, s8, s16
	s_lshl_b64 s[16:17], s[16:17], 4
	s_add_u32 s6, s4, s16
	s_addc_u32 s16, s5, s17
	s_lshl_b64 s[4:5], s[12:13], 4
	s_add_u32 s4, s6, s4
	s_addc_u32 s5, s16, s5
	v_mov_b32_e32 v0, s5
	v_add_co_u32_e32 v2, vcc, s4, v1
	s_ashr_i32 s13, s7, 31
	s_mov_b32 s12, s7
	s_add_i32 s6, s7, s7
	v_addc_co_u32_e32 v3, vcc, 0, v0, vcc
	s_lshl_b64 s[12:13], s[12:13], 4
	v_add_u32_e32 v14, s6, v228
	v_mov_b32_e32 v0, s13
	v_add_co_u32_e32 v4, vcc, s12, v2
	v_accvgpr_write_b32 a0, v2
	v_ashrrev_i32_e32 v15, 31, v14
	v_accvgpr_write_b32 a1, v3
	v_addc_co_u32_e32 v5, vcc, v3, v0, vcc
	v_lshlrev_b64 v[2:3], 4, v[14:15]
	v_add_u32_e32 v14, s7, v14
	global_load_dwordx4 v[6:9], v1, s[4:5]
	v_mov_b32_e32 v0, s5
	v_add_co_u32_e32 v2, vcc, s4, v2
	v_ashrrev_i32_e32 v15, 31, v14
	v_addc_co_u32_e32 v3, vcc, v0, v3, vcc
	v_lshlrev_b64 v[16:17], 4, v[14:15]
	v_add_u32_e32 v14, s7, v14
	v_add_co_u32_e32 v18, vcc, s4, v16
	v_ashrrev_i32_e32 v15, 31, v14
	v_addc_co_u32_e32 v19, vcc, v0, v17, vcc
	v_add_u32_e32 v16, s7, v14
	v_lshlrev_b64 v[14:15], 4, v[14:15]
	global_load_dwordx4 v[10:13], v[4:5], off
	v_add_co_u32_e32 v14, vcc, s4, v14
	v_accvgpr_write_b32 a2, v4
	v_accvgpr_write_b32 a5, v3
	v_ashrrev_i32_e32 v17, 31, v16
	v_addc_co_u32_e32 v15, vcc, v0, v15, vcc
	v_accvgpr_write_b32 a10, v14
	v_accvgpr_write_b32 a3, v5
	;; [unrolled: 1-line block ×3, first 2 shown]
	v_add_u32_e32 v22, s7, v16
	v_lshlrev_b64 v[24:25], 4, v[16:17]
	v_accvgpr_write_b32 a6, v18
	v_accvgpr_write_b32 a11, v15
	global_load_dwordx4 v[14:17], v[14:15], off
	v_accvgpr_write_b32 a7, v19
	global_load_dwordx4 v[2:5], v[2:3], off
	v_mov_b32_e32 v26, s5
	global_load_dwordx4 v[18:21], v[18:19], off
	v_ashrrev_i32_e32 v23, 31, v22
	v_add_co_u32_e32 v24, vcc, s4, v24
	v_add_u32_e32 v30, s7, v22
	v_addc_co_u32_e32 v25, vcc, v26, v25, vcc
	v_lshlrev_b64 v[22:23], 4, v[22:23]
	v_mov_b32_e32 v27, s5
	v_ashrrev_i32_e32 v31, 31, v30
	v_add_co_u32_e32 v22, vcc, s4, v22
	v_addc_co_u32_e32 v23, vcc, v27, v23, vcc
	v_lshlrev_b64 v[32:33], 4, v[30:31]
	global_load_dwordx4 v[26:29], v[24:25], off
	v_add_u32_e32 v38, s7, v30
	v_add_co_u32_e32 v32, vcc, s4, v32
	v_ashrrev_i32_e32 v39, 31, v38
	v_addc_co_u32_e32 v33, vcc, v0, v33, vcc
	v_lshlrev_b64 v[30:31], 4, v[38:39]
	v_accvgpr_write_b32 a12, v24
	v_accvgpr_write_b32 a8, v22
	v_add_co_u32_e32 v34, vcc, s4, v30
	v_accvgpr_write_b32 a14, v32
	v_accvgpr_write_b32 a13, v25
	;; [unrolled: 1-line block ×3, first 2 shown]
	v_addc_co_u32_e32 v35, vcc, v0, v31, vcc
	v_accvgpr_write_b32 a15, v33
	global_load_dwordx4 v[30:33], v[32:33], off
	v_add_u32_e32 v38, s7, v38
	global_load_dwordx4 v[22:25], v[22:23], off
	v_accvgpr_write_b32 a16, v34
	v_ashrrev_i32_e32 v39, 31, v38
	v_accvgpr_write_b32 a17, v35
	global_load_dwordx4 v[34:37], v[34:35], off
	v_lshlrev_b64 v[40:41], 4, v[38:39]
	v_add_u32_e32 v46, s7, v38
	v_add_co_u32_e32 v40, vcc, s4, v40
	v_ashrrev_i32_e32 v47, 31, v46
	v_addc_co_u32_e32 v41, vcc, v0, v41, vcc
	v_lshlrev_b64 v[38:39], 4, v[46:47]
	v_add_co_u32_e32 v42, vcc, s4, v38
	v_accvgpr_write_b32 a18, v40
	v_addc_co_u32_e32 v43, vcc, v0, v39, vcc
	v_accvgpr_write_b32 a19, v41
	global_load_dwordx4 v[38:41], v[40:41], off
	v_add_u32_e32 v46, s7, v46
	v_accvgpr_write_b32 a20, v42
	v_ashrrev_i32_e32 v47, 31, v46
	v_accvgpr_write_b32 a21, v43
	global_load_dwordx4 v[42:45], v[42:43], off
	v_lshlrev_b64 v[48:49], 4, v[46:47]
	v_add_u32_e32 v54, s7, v46
	v_add_co_u32_e32 v48, vcc, s4, v48
	v_ashrrev_i32_e32 v55, 31, v54
	v_addc_co_u32_e32 v49, vcc, v0, v49, vcc
	v_lshlrev_b64 v[46:47], 4, v[54:55]
	v_add_co_u32_e32 v50, vcc, s4, v46
	v_accvgpr_write_b32 a22, v48
	v_addc_co_u32_e32 v51, vcc, v0, v47, vcc
	v_accvgpr_write_b32 a23, v49
	global_load_dwordx4 v[46:49], v[48:49], off
	v_add_u32_e32 v54, s7, v54
	;; [unrolled: 16-line block ×3, first 2 shown]
	v_accvgpr_write_b32 a28, v58
	v_ashrrev_i32_e32 v63, 31, v62
	v_accvgpr_write_b32 a29, v59
	global_load_dwordx4 v[58:61], v[58:59], off
	v_lshlrev_b64 v[64:65], 4, v[62:63]
	v_add_u32_e32 v70, s7, v62
	v_add_co_u32_e32 v64, vcc, s4, v64
	v_ashrrev_i32_e32 v71, 31, v70
	v_addc_co_u32_e32 v65, vcc, v0, v65, vcc
	v_lshlrev_b64 v[62:63], 4, v[70:71]
	v_add_co_u32_e32 v66, vcc, s4, v62
	v_accvgpr_write_b32 a30, v64
	v_addc_co_u32_e32 v67, vcc, v0, v63, vcc
	v_accvgpr_write_b32 a31, v65
	global_load_dwordx4 v[62:65], v[64:65], off
	v_accvgpr_write_b32 a32, v66
	v_add_u32_e32 v74, s7, v70
	v_accvgpr_write_b32 a33, v67
	global_load_dwordx4 v[66:69], v[66:67], off
	v_ashrrev_i32_e32 v75, 31, v74
	v_lshlrev_b64 v[70:71], 4, v[74:75]
	v_add_co_u32_e32 v70, vcc, s4, v70
	v_addc_co_u32_e32 v71, vcc, v0, v71, vcc
	v_accvgpr_write_b32 a34, v70
	v_accvgpr_write_b32 a35, v71
	global_load_dwordx4 v[70:73], v[70:71], off
	s_waitcnt vmcnt(17)
	buffer_store_dword v9, off, s[0:3], 0 offset:28
	buffer_store_dword v8, off, s[0:3], 0 offset:24
	;; [unrolled: 1-line block ×4, first 2 shown]
	s_waitcnt vmcnt(20)
	buffer_store_dword v13, off, s[0:3], 0 offset:44
	buffer_store_dword v12, off, s[0:3], 0 offset:40
	;; [unrolled: 1-line block ×4, first 2 shown]
	s_waitcnt vmcnt(22)
	buffer_store_dword v5, off, s[0:3], 0 offset:60
	buffer_store_dword v4, off, s[0:3], 0 offset:56
	buffer_store_dword v3, off, s[0:3], 0 offset:52
	v_add_u32_e32 v4, s7, v74
	v_ashrrev_i32_e32 v5, 31, v4
	v_lshlrev_b64 v[6:7], 4, v[4:5]
	v_add_co_u32_e32 v6, vcc, s4, v6
	v_addc_co_u32_e32 v7, vcc, v0, v7, vcc
	v_accvgpr_write_b32 a37, v7
	v_accvgpr_write_b32 a36, v6
	global_load_dwordx4 v[6:9], v[6:7], off
	s_nop 0
	buffer_store_dword v2, off, s[0:3], 0 offset:48
	s_waitcnt vmcnt(26)
	buffer_store_dword v21, off, s[0:3], 0 offset:76
	buffer_store_dword v20, off, s[0:3], 0 offset:72
	;; [unrolled: 1-line block ×8, first 2 shown]
	s_waitcnt vmcnt(33)
	buffer_store_dword v29, off, s[0:3], 0 offset:108
	buffer_store_dword v28, off, s[0:3], 0 offset:104
	buffer_store_dword v27, off, s[0:3], 0 offset:100
	buffer_store_dword v26, off, s[0:3], 0 offset:96
	s_waitcnt vmcnt(35)
	buffer_store_dword v25, off, s[0:3], 0 offset:124
	buffer_store_dword v24, off, s[0:3], 0 offset:120
	;; [unrolled: 1-line block ×8, first 2 shown]
	s_waitcnt vmcnt(42)
	buffer_store_dword v37, off, s[0:3], 0 offset:156
	buffer_store_dword v36, off, s[0:3], 0 offset:152
	buffer_store_dword v35, off, s[0:3], 0 offset:148
	buffer_store_dword v34, off, s[0:3], 0 offset:144
	s_waitcnt vmcnt(45)
	buffer_store_dword v38, off, s[0:3], 0 offset:160
	buffer_store_dword v39, off, s[0:3], 0 offset:164
	buffer_store_dword v40, off, s[0:3], 0 offset:168
	buffer_store_dword v41, off, s[0:3], 0 offset:172
	;; [unrolled: 5-line block ×8, first 2 shown]
	buffer_store_dword v69, off, s[0:3], 0 offset:284
	buffer_store_dword v68, off, s[0:3], 0 offset:280
	;; [unrolled: 1-line block ×4, first 2 shown]
	s_waitcnt vmcnt(62)
	buffer_store_dword v73, off, s[0:3], 0 offset:300
	buffer_store_dword v72, off, s[0:3], 0 offset:296
	;; [unrolled: 1-line block ×4, first 2 shown]
	v_add_u32_e32 v2, s7, v4
	v_ashrrev_i32_e32 v3, 31, v2
	v_lshlrev_b64 v[4:5], 4, v[2:3]
	v_add_co_u32_e32 v10, vcc, s4, v4
	v_addc_co_u32_e32 v11, vcc, v0, v5, vcc
	v_add_u32_e32 v2, s7, v2
	v_ashrrev_i32_e32 v3, 31, v2
	v_accvgpr_write_b32 a39, v11
	v_lshlrev_b64 v[4:5], 4, v[2:3]
	v_accvgpr_write_b32 a38, v10
	global_load_dwordx4 v[10:13], v[10:11], off
	v_add_co_u32_e32 v4, vcc, s4, v4
	v_addc_co_u32_e32 v5, vcc, v0, v5, vcc
	v_add_u32_e32 v2, s7, v2
	v_accvgpr_write_b32 a41, v5
	v_ashrrev_i32_e32 v3, 31, v2
	v_accvgpr_write_b32 a40, v4
	global_load_dwordx4 v[14:17], v[4:5], off
	v_lshlrev_b64 v[4:5], 4, v[2:3]
	v_add_co_u32_e32 v18, vcc, s4, v4
	v_addc_co_u32_e32 v19, vcc, v0, v5, vcc
	v_add_u32_e32 v2, s7, v2
	v_ashrrev_i32_e32 v3, 31, v2
	v_accvgpr_write_b32 a43, v19
	v_lshlrev_b64 v[4:5], 4, v[2:3]
	v_accvgpr_write_b32 a42, v18
	global_load_dwordx4 v[18:21], v[18:19], off
	v_add_co_u32_e32 v4, vcc, s4, v4
	v_addc_co_u32_e32 v5, vcc, v0, v5, vcc
	global_load_dwordx4 v[22:25], v[4:5], off
	v_add_u32_e32 v2, s7, v2
	v_accvgpr_write_b32 a45, v5
	v_ashrrev_i32_e32 v3, 31, v2
	v_accvgpr_write_b32 a44, v4
	v_lshlrev_b64 v[4:5], 4, v[2:3]
	v_add_co_u32_e32 v26, vcc, s4, v4
	v_addc_co_u32_e32 v27, vcc, v0, v5, vcc
	v_add_u32_e32 v2, s7, v2
	v_ashrrev_i32_e32 v3, 31, v2
	v_accvgpr_write_b32 a47, v27
	v_lshlrev_b64 v[4:5], 4, v[2:3]
	v_accvgpr_write_b32 a46, v26
	global_load_dwordx4 v[26:29], v[26:27], off
	v_add_co_u32_e32 v4, vcc, s4, v4
	v_addc_co_u32_e32 v5, vcc, v0, v5, vcc
	global_load_dwordx4 v[30:33], v[4:5], off
	v_add_u32_e32 v2, s7, v2
	v_accvgpr_write_b32 a49, v5
	v_ashrrev_i32_e32 v3, 31, v2
	v_accvgpr_write_b32 a48, v4
	;; [unrolled: 16-line block ×5, first 2 shown]
	v_lshlrev_b64 v[4:5], 4, v[2:3]
	v_add_co_u32_e32 v58, vcc, s4, v4
	v_addc_co_u32_e32 v59, vcc, v0, v5, vcc
	v_add_u32_e32 v2, s7, v2
	v_accvgpr_write_b32 a63, v59
	v_ashrrev_i32_e32 v3, 31, v2
	v_accvgpr_write_b32 a62, v58
	global_load_dwordx4 v[58:61], v[58:59], off
	v_lshlrev_b64 v[4:5], 4, v[2:3]
	v_add_co_u32_e32 v4, vcc, s4, v4
	v_addc_co_u32_e32 v5, vcc, v0, v5, vcc
	global_load_dwordx4 v[62:65], v[4:5], off
	v_add_u32_e32 v2, s7, v2
	v_accvgpr_write_b32 a65, v5
	v_ashrrev_i32_e32 v3, 31, v2
	v_accvgpr_write_b32 a64, v4
	v_lshlrev_b64 v[4:5], 4, v[2:3]
	v_add_co_u32_e32 v66, vcc, s4, v4
	v_addc_co_u32_e32 v67, vcc, v0, v5, vcc
	v_add_u32_e32 v2, s7, v2
	v_accvgpr_write_b32 a66, v66
	v_ashrrev_i32_e32 v3, 31, v2
	v_accvgpr_write_b32 a67, v67
	global_load_dwordx4 v[66:69], v[66:67], off
	v_lshlrev_b64 v[4:5], 4, v[2:3]
	v_add_co_u32_e32 v4, vcc, s4, v4
	v_addc_co_u32_e32 v5, vcc, v0, v5, vcc
	global_load_dwordx4 v[70:73], v[4:5], off
	v_add_u32_e32 v2, s7, v2
	v_accvgpr_write_b32 a69, v5
	v_ashrrev_i32_e32 v3, 31, v2
	v_accvgpr_write_b32 a68, v4
	;; [unrolled: 16-line block ×3, first 2 shown]
	v_lshlrev_b64 v[4:5], 4, v[2:3]
	v_add_co_u32_e32 v4, vcc, s4, v4
	v_add_u32_e32 v86, s7, v2
	v_addc_co_u32_e32 v5, vcc, v0, v5, vcc
	v_ashrrev_i32_e32 v87, 31, v86
	v_lshlrev_b64 v[2:3], 4, v[86:87]
	global_load_dwordx4 v[82:85], v[4:5], off
	v_add_co_u32_e32 v2, vcc, s4, v2
	v_addc_co_u32_e32 v3, vcc, v0, v3, vcc
	v_accvgpr_write_b32 a75, v5
	v_accvgpr_write_b32 a77, v3
	v_accvgpr_write_b32 a74, v4
	v_accvgpr_write_b32 a76, v2
	global_load_dwordx4 v[2:5], v[2:3], off
	s_bitcmp0_b32 s22, 0
	s_waitcnt vmcnt(62)
	buffer_store_dword v9, off, s[0:3], 0 offset:316
	buffer_store_dword v8, off, s[0:3], 0 offset:312
	buffer_store_dword v7, off, s[0:3], 0 offset:308
	buffer_store_dword v6, off, s[0:3], 0 offset:304
	s_waitcnt vmcnt(23)
	buffer_store_dword v13, off, s[0:3], 0 offset:332
	buffer_store_dword v12, off, s[0:3], 0 offset:328
	buffer_store_dword v11, off, s[0:3], 0 offset:324
	buffer_store_dword v10, off, s[0:3], 0 offset:320
	;; [unrolled: 5-line block ×16, first 2 shown]
	buffer_store_dword v73, off, s[0:3], 0 offset:572
	buffer_store_dword v72, off, s[0:3], 0 offset:568
	;; [unrolled: 1-line block ×12, first 2 shown]
	s_waitcnt vmcnt(62)
	buffer_store_dword v85, off, s[0:3], 0 offset:620
	buffer_store_dword v84, off, s[0:3], 0 offset:616
	;; [unrolled: 1-line block ×5, first 2 shown]
	v_add_u32_e32 v6, s7, v86
	v_ashrrev_i32_e32 v7, 31, v6
	v_lshlrev_b64 v[8:9], 4, v[6:7]
	v_add_u32_e32 v14, s7, v6
	v_add_co_u32_e32 v8, vcc, s4, v8
	v_ashrrev_i32_e32 v15, 31, v14
	v_addc_co_u32_e32 v9, vcc, v0, v9, vcc
	v_lshlrev_b64 v[6:7], 4, v[14:15]
	v_add_co_u32_e32 v10, vcc, s4, v6
	v_accvgpr_write_b32 a81, v9
	v_addc_co_u32_e32 v11, vcc, v0, v7, vcc
	v_accvgpr_write_b32 a80, v8
	global_load_dwordx4 v[6:9], v[8:9], off
	v_add_u32_e32 v14, s7, v14
	v_accvgpr_write_b32 a83, v11
	v_ashrrev_i32_e32 v15, 31, v14
	v_accvgpr_write_b32 a82, v10
	global_load_dwordx4 v[10:13], v[10:11], off
	v_lshlrev_b64 v[16:17], 4, v[14:15]
	v_add_u32_e32 v22, s7, v14
	v_add_co_u32_e32 v16, vcc, s4, v16
	v_ashrrev_i32_e32 v23, 31, v22
	v_addc_co_u32_e32 v17, vcc, v0, v17, vcc
	v_lshlrev_b64 v[14:15], 4, v[22:23]
	v_add_co_u32_e32 v18, vcc, s4, v14
	v_accvgpr_write_b32 a85, v17
	v_addc_co_u32_e32 v19, vcc, v0, v15, vcc
	v_accvgpr_write_b32 a84, v16
	global_load_dwordx4 v[14:17], v[16:17], off
	v_add_u32_e32 v22, s7, v22
	v_accvgpr_write_b32 a87, v19
	v_ashrrev_i32_e32 v23, 31, v22
	v_accvgpr_write_b32 a86, v18
	global_load_dwordx4 v[18:21], v[18:19], off
	;; [unrolled: 16-line block ×9, first 2 shown]
	v_lshlrev_b64 v[80:81], 4, v[78:79]
	v_add_co_u32_e32 v80, vcc, s4, v80
	v_addc_co_u32_e32 v81, vcc, v0, v81, vcc
	v_add_u32_e32 v78, s7, v78
	v_ashrrev_i32_e32 v79, 31, v78
	v_accvgpr_write_b32 a117, v81
	v_lshlrev_b64 v[82:83], 4, v[78:79]
	v_accvgpr_write_b32 a116, v80
	global_load_dwordx4 v[78:81], v[80:81], off
	v_add_co_u32_e32 v82, vcc, s4, v82
	v_addc_co_u32_e32 v83, vcc, v0, v83, vcc
	v_accvgpr_write_b32 a78, v82
	v_accvgpr_write_b32 a79, v83
	global_load_dwordx4 v[82:85], v[82:83], off
	v_mov_b32_e32 v0, 16
	buffer_store_dword v4, off, s[0:3], 0 offset:632
	buffer_store_dword v3, off, s[0:3], 0 offset:628
	buffer_store_dword v2, off, s[0:3], 0 offset:624
	s_waitcnt vmcnt(22)
	buffer_store_dword v9, off, s[0:3], 0 offset:652
	buffer_store_dword v8, off, s[0:3], 0 offset:648
	buffer_store_dword v7, off, s[0:3], 0 offset:644
	buffer_store_dword v6, off, s[0:3], 0 offset:640
	s_waitcnt vmcnt(25)
	buffer_store_dword v13, off, s[0:3], 0 offset:668
	;; [unrolled: 5-line block ×15, first 2 shown]
	buffer_store_dword v64, off, s[0:3], 0 offset:872
	buffer_store_dword v63, off, s[0:3], 0 offset:868
	;; [unrolled: 1-line block ×11, first 2 shown]
	s_waitcnt vmcnt(62)
	buffer_store_dword v77, off, s[0:3], 0 offset:924
	buffer_store_dword v76, off, s[0:3], 0 offset:920
	;; [unrolled: 1-line block ×12, first 2 shown]
	v_add_u32_e32 v2, 16, v0
	v_accvgpr_write_b32 a175, v2
	v_add_u32_e32 v2, 32, v0
	v_accvgpr_write_b32 a174, v2
	v_add_u32_e32 v2, 48, v0
	v_accvgpr_write_b32 a173, v2
	v_add_u32_e32 v2, 64, v0
	v_accvgpr_write_b32 a172, v2
	v_add_u32_e32 v2, 0x50, v0
	v_accvgpr_write_b32 a171, v2
	v_add_u32_e32 v2, 0x60, v0
	v_accvgpr_write_b32 a170, v2
	v_add_u32_e32 v2, 0x70, v0
	v_accvgpr_write_b32 a169, v2
	v_add_u32_e32 v2, 0x80, v0
	v_accvgpr_write_b32 a168, v2
	v_add_u32_e32 v2, 0x90, v0
	v_accvgpr_write_b32 a167, v2
	v_add_u32_e32 v2, 0xa0, v0
	v_accvgpr_write_b32 a166, v2
	v_add_u32_e32 v2, 0xb0, v0
	v_accvgpr_write_b32 a165, v2
	v_add_u32_e32 v2, 0xc0, v0
	v_accvgpr_write_b32 a164, v2
	v_add_u32_e32 v2, 0xd0, v0
	v_accvgpr_write_b32 a163, v2
	v_add_u32_e32 v2, 0xe0, v0
	v_accvgpr_write_b32 a162, v2
	v_add_u32_e32 v2, 0xf0, v0
	v_accvgpr_write_b32 a161, v2
	v_add_u32_e32 v2, 0x100, v0
	v_accvgpr_write_b32 a160, v2
	v_add_u32_e32 v2, 0x110, v0
	v_accvgpr_write_b32 a159, v2
	v_add_u32_e32 v2, 0x120, v0
	v_accvgpr_write_b32 a158, v2
	v_add_u32_e32 v2, 0x130, v0
	v_accvgpr_write_b32 a157, v2
	v_add_u32_e32 v2, 0x140, v0
	v_accvgpr_write_b32 a156, v2
	v_add_u32_e32 v2, 0x150, v0
	v_accvgpr_write_b32 a155, v2
	v_add_u32_e32 v2, 0x160, v0
	v_accvgpr_write_b32 a154, v2
	v_add_u32_e32 v2, 0x170, v0
	v_accvgpr_write_b32 a153, v2
	v_add_u32_e32 v2, 0x180, v0
	v_accvgpr_write_b32 a152, v2
	v_add_u32_e32 v2, 0x190, v0
	v_accvgpr_write_b32 a151, v2
	v_add_u32_e32 v2, 0x1a0, v0
	v_accvgpr_write_b32 a150, v2
	v_add_u32_e32 v2, 0x1b0, v0
	v_accvgpr_write_b32 a149, v2
	v_add_u32_e32 v2, 0x1c0, v0
	v_accvgpr_write_b32 a148, v2
	v_add_u32_e32 v2, 0x1d0, v0
	v_accvgpr_write_b32 a147, v2
	v_add_u32_e32 v2, 0x1e0, v0
	v_accvgpr_write_b32 a146, v2
	v_add_u32_e32 v2, 0x1f0, v0
	v_accvgpr_write_b32 a145, v2
	v_add_u32_e32 v2, 0x200, v0
	v_accvgpr_write_b32 a144, v2
	v_add_u32_e32 v2, 0x210, v0
	v_accvgpr_write_b32 a143, v2
	v_add_u32_e32 v2, 0x220, v0
	v_accvgpr_write_b32 a142, v2
	v_add_u32_e32 v2, 0x230, v0
	v_accvgpr_write_b32 a141, v2
	v_add_u32_e32 v2, 0x240, v0
	v_accvgpr_write_b32 a140, v2
	v_add_u32_e32 v2, 0x250, v0
	v_accvgpr_write_b32 a139, v2
	v_add_u32_e32 v2, 0x260, v0
	v_accvgpr_write_b32 a138, v2
	v_add_u32_e32 v2, 0x270, v0
	v_accvgpr_write_b32 a137, v2
	v_add_u32_e32 v2, 0x280, v0
	v_accvgpr_write_b32 a136, v2
	v_add_u32_e32 v2, 0x290, v0
	v_accvgpr_write_b32 a135, v2
	v_add_u32_e32 v2, 0x2a0, v0
	v_accvgpr_write_b32 a134, v2
	v_add_u32_e32 v2, 0x2b0, v0
	v_accvgpr_write_b32 a133, v2
	v_add_u32_e32 v2, 0x2c0, v0
	v_accvgpr_write_b32 a132, v2
	v_add_u32_e32 v2, 0x2d0, v0
	v_accvgpr_write_b32 a131, v2
	v_add_u32_e32 v2, 0x2e0, v0
	v_accvgpr_write_b32 a130, v2
	v_add_u32_e32 v2, 0x2f0, v0
	v_accvgpr_write_b32 a129, v2
	v_add_u32_e32 v2, 0x300, v0
	v_accvgpr_write_b32 a128, v2
	v_add_u32_e32 v2, 0x310, v0
	v_accvgpr_write_b32 a127, v2
	v_add_u32_e32 v2, 0x320, v0
	v_accvgpr_write_b32 a126, v2
	v_add_u32_e32 v2, 0x330, v0
	v_accvgpr_write_b32 a125, v2
	v_add_u32_e32 v2, 0x340, v0
	v_accvgpr_write_b32 a124, v2
	v_add_u32_e32 v2, 0x350, v0
	v_accvgpr_write_b32 a123, v2
	v_add_u32_e32 v2, 0x360, v0
	v_accvgpr_write_b32 a122, v2
	v_add_u32_e32 v2, 0x370, v0
	v_accvgpr_write_b32 a121, v2
	v_add_u32_e32 v2, 0x380, v0
	v_accvgpr_write_b32 a120, v2
	v_add_u32_e32 v2, 0x390, v0
	v_add_u32_e32 v0, 0x3a0, v0
	v_accvgpr_write_b32 a119, v2
	v_accvgpr_write_b32 a118, v0
	s_mov_b64 s[6:7], -1
	s_cbranch_scc1 .LBB58_248
; %bb.4:
	v_cmp_eq_u32_e64 s[4:5], 0, v228
	s_and_saveexec_b64 s[6:7], s[4:5]
	s_cbranch_execz .LBB58_6
; %bb.5:
	v_mov_b32_e32 v0, 0
	ds_write_b32 v0, v0 offset:1888
.LBB58_6:
	s_or_b64 exec, exec, s[6:7]
	v_mov_b32_e32 v0, 16
	v_lshl_add_u32 v12, v228, 4, v0
	s_waitcnt lgkmcnt(0)
	; wave barrier
	s_waitcnt lgkmcnt(0)
	buffer_load_dword v2, v12, s[0:3], 0 offen
	buffer_load_dword v3, v12, s[0:3], 0 offen offset:4
	buffer_load_dword v4, v12, s[0:3], 0 offen offset:8
	;; [unrolled: 1-line block ×3, first 2 shown]
	s_waitcnt vmcnt(2)
	v_cmp_eq_f64_e32 vcc, 0, v[2:3]
	s_waitcnt vmcnt(0)
	v_cmp_eq_f64_e64 s[6:7], 0, v[4:5]
	s_and_b64 s[6:7], vcc, s[6:7]
	s_and_saveexec_b64 s[12:13], s[6:7]
	s_cbranch_execz .LBB58_10
; %bb.7:
	v_mov_b32_e32 v2, 0
	ds_read_b32 v0, v2 offset:1888
	v_add_u32_e32 v3, 1, v228
	s_waitcnt lgkmcnt(0)
	v_readfirstlane_b32 s6, v0
	s_cmp_eq_u32 s6, 0
	s_cselect_b64 s[16:17], -1, 0
	v_cmp_gt_i32_e32 vcc, s6, v3
	s_or_b64 s[16:17], s[16:17], vcc
	s_and_b64 exec, exec, s[16:17]
	s_cbranch_execz .LBB58_10
; %bb.8:
	s_mov_b64 s[16:17], 0
	v_mov_b32_e32 v4, s6
.LBB58_9:                               ; =>This Inner Loop Header: Depth=1
	ds_cmpst_rtn_b32 v4, v2, v4, v3 offset:1888
	s_waitcnt lgkmcnt(0)
	v_cmp_ne_u32_e32 vcc, 0, v4
	v_cmp_le_i32_e64 s[6:7], v4, v3
	s_and_b64 s[6:7], vcc, s[6:7]
	s_and_b64 s[6:7], exec, s[6:7]
	s_or_b64 s[16:17], s[6:7], s[16:17]
	s_andn2_b64 exec, exec, s[16:17]
	s_cbranch_execnz .LBB58_9
.LBB58_10:
	s_or_b64 exec, exec, s[12:13]
	v_mov_b32_e32 v3, 0
	s_waitcnt lgkmcnt(0)
	; wave barrier
	ds_read_b32 v2, v3 offset:1888
	s_and_saveexec_b64 s[6:7], s[4:5]
	s_cbranch_execz .LBB58_12
; %bb.11:
	s_lshl_b64 s[12:13], s[8:9], 2
	s_add_u32 s12, s14, s12
	s_addc_u32 s13, s15, s13
	s_waitcnt lgkmcnt(0)
	global_store_dword v3, v2, s[12:13]
.LBB58_12:
	s_or_b64 exec, exec, s[6:7]
	s_waitcnt lgkmcnt(0)
	v_cmp_ne_u32_e32 vcc, 0, v2
	s_mov_b64 s[6:7], 0
	s_cbranch_vccnz .LBB58_248
; %bb.13:
	buffer_load_dword v7, v12, s[0:3], 0 offen offset:4
	buffer_load_dword v6, v12, s[0:3], 0 offen
	buffer_load_dword v9, v12, s[0:3], 0 offen offset:12
	buffer_load_dword v8, v12, s[0:3], 0 offen offset:8
                                        ; implicit-def: $vgpr10_vgpr11
	s_waitcnt vmcnt(3)
	v_xor_b32_e32 v0, 0x80000000, v7
	s_waitcnt vmcnt(2)
	v_cmp_gt_f64_e32 vcc, 0, v[6:7]
	s_waitcnt vmcnt(1)
	v_xor_b32_e32 v4, 0x80000000, v9
	v_cndmask_b32_e32 v3, v7, v0, vcc
	s_waitcnt vmcnt(0)
	v_cmp_gt_f64_e32 vcc, 0, v[8:9]
	v_mov_b32_e32 v2, v6
	v_cndmask_b32_e32 v5, v9, v4, vcc
	v_mov_b32_e32 v4, v8
	v_cmp_ngt_f64_e32 vcc, v[2:3], v[4:5]
                                        ; implicit-def: $vgpr4_vgpr5
	s_and_saveexec_b64 s[6:7], vcc
	s_xor_b64 s[6:7], exec, s[6:7]
	s_cbranch_execz .LBB58_15
; %bb.14:
	v_div_scale_f64 v[2:3], s[12:13], v[8:9], v[8:9], v[6:7]
	v_rcp_f64_e32 v[4:5], v[2:3]
	v_div_scale_f64 v[10:11], vcc, v[6:7], v[8:9], v[6:7]
	v_fma_f64 v[14:15], -v[2:3], v[4:5], 1.0
	v_fmac_f64_e32 v[4:5], v[4:5], v[14:15]
	v_fma_f64 v[14:15], -v[2:3], v[4:5], 1.0
	v_fmac_f64_e32 v[4:5], v[4:5], v[14:15]
	v_mul_f64 v[14:15], v[10:11], v[4:5]
	v_fma_f64 v[2:3], -v[2:3], v[14:15], v[10:11]
	v_div_fmas_f64 v[2:3], v[2:3], v[4:5], v[14:15]
	v_div_fixup_f64 v[2:3], v[2:3], v[8:9], v[6:7]
	v_fmac_f64_e32 v[8:9], v[6:7], v[2:3]
	v_div_scale_f64 v[4:5], s[12:13], v[8:9], v[8:9], 1.0
	v_rcp_f64_e32 v[6:7], v[4:5]
	v_fma_f64 v[10:11], -v[4:5], v[6:7], 1.0
	v_fmac_f64_e32 v[6:7], v[6:7], v[10:11]
	v_fma_f64 v[10:11], -v[4:5], v[6:7], 1.0
	v_fmac_f64_e32 v[6:7], v[6:7], v[10:11]
	v_div_scale_f64 v[10:11], vcc, 1.0, v[8:9], 1.0
	v_mul_f64 v[14:15], v[10:11], v[6:7]
	v_fma_f64 v[4:5], -v[4:5], v[14:15], v[10:11]
	s_nop 1
	v_div_fmas_f64 v[4:5], v[4:5], v[6:7], v[14:15]
	v_div_fixup_f64 v[4:5], v[4:5], v[8:9], 1.0
	v_mul_f64 v[10:11], v[2:3], v[4:5]
	v_xor_b32_e32 v5, 0x80000000, v5
	v_xor_b32_e32 v3, 0x80000000, v11
	v_mov_b32_e32 v2, v10
                                        ; implicit-def: $vgpr6_vgpr7
                                        ; implicit-def: $vgpr8_vgpr9
.LBB58_15:
	s_andn2_saveexec_b64 s[6:7], s[6:7]
	s_cbranch_execz .LBB58_17
; %bb.16:
	v_div_scale_f64 v[2:3], s[12:13], v[6:7], v[6:7], v[8:9]
	v_rcp_f64_e32 v[4:5], v[2:3]
	v_div_scale_f64 v[10:11], vcc, v[8:9], v[6:7], v[8:9]
	v_fma_f64 v[14:15], -v[2:3], v[4:5], 1.0
	v_fmac_f64_e32 v[4:5], v[4:5], v[14:15]
	v_fma_f64 v[14:15], -v[2:3], v[4:5], 1.0
	v_fmac_f64_e32 v[4:5], v[4:5], v[14:15]
	v_mul_f64 v[14:15], v[10:11], v[4:5]
	v_fma_f64 v[2:3], -v[2:3], v[14:15], v[10:11]
	v_div_fmas_f64 v[2:3], v[2:3], v[4:5], v[14:15]
	v_div_fixup_f64 v[4:5], v[2:3], v[6:7], v[8:9]
	v_fmac_f64_e32 v[6:7], v[8:9], v[4:5]
	v_div_scale_f64 v[2:3], s[12:13], v[6:7], v[6:7], 1.0
	v_rcp_f64_e32 v[8:9], v[2:3]
	v_fma_f64 v[10:11], -v[2:3], v[8:9], 1.0
	v_fmac_f64_e32 v[8:9], v[8:9], v[10:11]
	v_fma_f64 v[10:11], -v[2:3], v[8:9], 1.0
	v_fmac_f64_e32 v[8:9], v[8:9], v[10:11]
	v_div_scale_f64 v[10:11], vcc, 1.0, v[6:7], 1.0
	v_mul_f64 v[14:15], v[10:11], v[8:9]
	v_fma_f64 v[2:3], -v[2:3], v[14:15], v[10:11]
	s_nop 1
	v_div_fmas_f64 v[2:3], v[2:3], v[8:9], v[14:15]
	v_div_fixup_f64 v[10:11], v[2:3], v[6:7], 1.0
	v_xor_b32_e32 v3, 0x80000000, v11
	v_mov_b32_e32 v2, v10
	v_mul_f64 v[4:5], v[4:5], -v[10:11]
.LBB58_17:
	s_or_b64 exec, exec, s[6:7]
	buffer_store_dword v11, v12, s[0:3], 0 offen offset:4
	buffer_store_dword v10, v12, s[0:3], 0 offen
	buffer_store_dword v5, v12, s[0:3], 0 offen offset:12
	buffer_store_dword v4, v12, s[0:3], 0 offen offset:8
	v_accvgpr_read_b32 v0, a175
	buffer_load_dword v11, v0, s[0:3], 0 offen offset:12
	buffer_load_dword v10, v0, s[0:3], 0 offen offset:8
	;; [unrolled: 1-line block ×3, first 2 shown]
	buffer_load_dword v8, v0, s[0:3], 0 offen
	v_xor_b32_e32 v5, 0x80000000, v5
	v_add_u32_e32 v6, 0x3b0, v1
	ds_write_b128 v1, v[2:5]
	s_waitcnt vmcnt(0)
	ds_write_b128 v1, v[8:11] offset:944
	s_waitcnt lgkmcnt(0)
	; wave barrier
	s_waitcnt lgkmcnt(0)
	s_and_saveexec_b64 s[6:7], s[4:5]
	s_cbranch_execz .LBB58_19
; %bb.18:
	buffer_load_dword v14, v12, s[0:3], 0 offen offset:8
	buffer_load_dword v15, v12, s[0:3], 0 offen offset:12
	buffer_load_dword v16, v12, s[0:3], 0 offen
	buffer_load_dword v17, v12, s[0:3], 0 offen offset:4
	ds_read_b128 v[2:5], v6
	v_mov_b32_e32 v0, 0
	ds_read_b128 v[8:11], v0 offset:16
	s_waitcnt vmcnt(2) lgkmcnt(1)
	v_mul_f64 v[18:19], v[4:5], v[14:15]
	v_mul_f64 v[14:15], v[2:3], v[14:15]
	s_waitcnt vmcnt(0)
	v_fmac_f64_e32 v[14:15], v[4:5], v[16:17]
	v_fma_f64 v[2:3], v[2:3], v[16:17], -v[18:19]
	v_add_f64 v[4:5], v[14:15], 0
	v_add_f64 v[2:3], v[2:3], 0
	s_waitcnt lgkmcnt(0)
	v_mul_f64 v[14:15], v[4:5], v[10:11]
	v_mul_f64 v[10:11], v[2:3], v[10:11]
	v_fma_f64 v[2:3], v[2:3], v[8:9], -v[14:15]
	v_fmac_f64_e32 v[10:11], v[4:5], v[8:9]
	buffer_store_dword v2, off, s[0:3], 0 offset:32
	buffer_store_dword v3, off, s[0:3], 0 offset:36
	;; [unrolled: 1-line block ×4, first 2 shown]
.LBB58_19:
	s_or_b64 exec, exec, s[6:7]
	v_accvgpr_read_b32 v0, a174
	s_waitcnt lgkmcnt(0)
	; wave barrier
	buffer_load_dword v2, v0, s[0:3], 0 offen
	buffer_load_dword v3, v0, s[0:3], 0 offen offset:4
	buffer_load_dword v4, v0, s[0:3], 0 offen offset:8
	buffer_load_dword v5, v0, s[0:3], 0 offen offset:12
	v_cmp_gt_u32_e32 vcc, 2, v228
	s_waitcnt vmcnt(0)
	ds_write_b128 v6, v[2:5]
	s_waitcnt lgkmcnt(0)
	; wave barrier
	s_waitcnt lgkmcnt(0)
	s_and_saveexec_b64 s[6:7], vcc
	s_cbranch_execz .LBB58_23
; %bb.20:
	buffer_load_dword v8, v12, s[0:3], 0 offen offset:8
	buffer_load_dword v9, v12, s[0:3], 0 offen offset:12
	buffer_load_dword v10, v12, s[0:3], 0 offen
	buffer_load_dword v11, v12, s[0:3], 0 offen offset:4
	ds_read_b128 v[2:5], v6
	s_waitcnt vmcnt(2) lgkmcnt(0)
	v_mul_f64 v[12:13], v[4:5], v[8:9]
	v_mul_f64 v[8:9], v[2:3], v[8:9]
	s_waitcnt vmcnt(0)
	v_fma_f64 v[2:3], v[2:3], v[10:11], -v[12:13]
	v_fmac_f64_e32 v[8:9], v[4:5], v[10:11]
	v_add_f64 v[4:5], v[2:3], 0
	v_add_f64 v[2:3], v[8:9], 0
	s_and_saveexec_b64 s[12:13], s[4:5]
	s_cbranch_execz .LBB58_22
; %bb.21:
	buffer_load_dword v12, off, s[0:3], 0 offset:40
	buffer_load_dword v13, off, s[0:3], 0 offset:44
	;; [unrolled: 1-line block ×4, first 2 shown]
	v_mov_b32_e32 v0, 0
	ds_read_b128 v[8:11], v0 offset:960
	s_waitcnt vmcnt(2) lgkmcnt(0)
	v_mul_f64 v[16:17], v[8:9], v[12:13]
	v_mul_f64 v[12:13], v[10:11], v[12:13]
	s_waitcnt vmcnt(0)
	v_fmac_f64_e32 v[16:17], v[10:11], v[14:15]
	v_fma_f64 v[8:9], v[8:9], v[14:15], -v[12:13]
	v_add_f64 v[2:3], v[2:3], v[16:17]
	v_add_f64 v[4:5], v[4:5], v[8:9]
.LBB58_22:
	s_or_b64 exec, exec, s[12:13]
	v_mov_b32_e32 v0, 0
	ds_read_b128 v[8:11], v0 offset:32
	s_waitcnt lgkmcnt(0)
	v_mul_f64 v[12:13], v[2:3], v[10:11]
	v_mul_f64 v[10:11], v[4:5], v[10:11]
	v_fma_f64 v[4:5], v[4:5], v[8:9], -v[12:13]
	v_fmac_f64_e32 v[10:11], v[2:3], v[8:9]
	buffer_store_dword v5, off, s[0:3], 0 offset:52
	buffer_store_dword v4, off, s[0:3], 0 offset:48
	;; [unrolled: 1-line block ×4, first 2 shown]
.LBB58_23:
	s_or_b64 exec, exec, s[6:7]
	v_accvgpr_read_b32 v0, a173
	s_waitcnt lgkmcnt(0)
	; wave barrier
	buffer_load_dword v2, v0, s[0:3], 0 offen
	buffer_load_dword v3, v0, s[0:3], 0 offen offset:4
	buffer_load_dword v4, v0, s[0:3], 0 offen offset:8
	;; [unrolled: 1-line block ×3, first 2 shown]
	v_cmp_gt_u32_e32 vcc, 3, v228
	v_add_u32_e32 v7, -1, v228
	s_waitcnt vmcnt(0)
	ds_write_b128 v6, v[2:5]
	s_waitcnt lgkmcnt(0)
	; wave barrier
	s_waitcnt lgkmcnt(0)
	s_and_saveexec_b64 s[4:5], vcc
	s_cbranch_execz .LBB58_27
; %bb.24:
	v_pk_mov_b32 v[2:3], 0, 0
	v_add_u32_e32 v8, -1, v228
	v_add_u32_e32 v9, 0x3b0, v1
	v_add_u32_e32 v10, 16, v1
	s_mov_b64 s[6:7], 0
	v_pk_mov_b32 v[4:5], v[2:3], v[2:3] op_sel:[0,1]
.LBB58_25:                              ; =>This Inner Loop Header: Depth=1
	buffer_load_dword v16, v10, s[0:3], 0 offen offset:8
	buffer_load_dword v17, v10, s[0:3], 0 offen offset:12
	buffer_load_dword v18, v10, s[0:3], 0 offen
	buffer_load_dword v19, v10, s[0:3], 0 offen offset:4
	ds_read_b128 v[12:15], v9
	v_add_u32_e32 v8, 1, v8
	v_cmp_lt_u32_e32 vcc, 1, v8
	v_add_u32_e32 v9, 16, v9
	v_add_u32_e32 v10, 16, v10
	s_or_b64 s[6:7], vcc, s[6:7]
	s_waitcnt vmcnt(2) lgkmcnt(0)
	v_mul_f64 v[20:21], v[14:15], v[16:17]
	v_mul_f64 v[16:17], v[12:13], v[16:17]
	s_waitcnt vmcnt(0)
	v_fma_f64 v[12:13], v[12:13], v[18:19], -v[20:21]
	v_fmac_f64_e32 v[16:17], v[14:15], v[18:19]
	v_add_f64 v[4:5], v[4:5], v[12:13]
	v_add_f64 v[2:3], v[2:3], v[16:17]
	s_andn2_b64 exec, exec, s[6:7]
	s_cbranch_execnz .LBB58_25
; %bb.26:
	s_or_b64 exec, exec, s[6:7]
	v_mov_b32_e32 v0, 0
	ds_read_b128 v[8:11], v0 offset:48
	s_waitcnt lgkmcnt(0)
	v_mul_f64 v[12:13], v[2:3], v[10:11]
	v_mul_f64 v[10:11], v[4:5], v[10:11]
	v_fma_f64 v[4:5], v[4:5], v[8:9], -v[12:13]
	v_fmac_f64_e32 v[10:11], v[2:3], v[8:9]
	buffer_store_dword v5, off, s[0:3], 0 offset:68
	buffer_store_dword v4, off, s[0:3], 0 offset:64
	buffer_store_dword v11, off, s[0:3], 0 offset:76
	buffer_store_dword v10, off, s[0:3], 0 offset:72
.LBB58_27:
	s_or_b64 exec, exec, s[4:5]
	v_accvgpr_read_b32 v0, a172
	s_waitcnt lgkmcnt(0)
	; wave barrier
	buffer_load_dword v2, v0, s[0:3], 0 offen
	buffer_load_dword v3, v0, s[0:3], 0 offen offset:4
	buffer_load_dword v4, v0, s[0:3], 0 offen offset:8
	buffer_load_dword v5, v0, s[0:3], 0 offen offset:12
	v_cmp_gt_u32_e32 vcc, 4, v228
	s_waitcnt vmcnt(0)
	ds_write_b128 v6, v[2:5]
	s_waitcnt lgkmcnt(0)
	; wave barrier
	s_waitcnt lgkmcnt(0)
	s_and_saveexec_b64 s[4:5], vcc
	s_cbranch_execz .LBB58_31
; %bb.28:
	v_pk_mov_b32 v[2:3], 0, 0
	v_add_u32_e32 v8, -1, v228
	v_add_u32_e32 v9, 0x3b0, v1
	v_add_u32_e32 v10, 16, v1
	s_mov_b64 s[6:7], 0
	v_pk_mov_b32 v[4:5], v[2:3], v[2:3] op_sel:[0,1]
.LBB58_29:                              ; =>This Inner Loop Header: Depth=1
	buffer_load_dword v16, v10, s[0:3], 0 offen offset:8
	buffer_load_dword v17, v10, s[0:3], 0 offen offset:12
	buffer_load_dword v18, v10, s[0:3], 0 offen
	buffer_load_dword v19, v10, s[0:3], 0 offen offset:4
	ds_read_b128 v[12:15], v9
	v_add_u32_e32 v8, 1, v8
	v_cmp_lt_u32_e32 vcc, 2, v8
	v_add_u32_e32 v9, 16, v9
	v_add_u32_e32 v10, 16, v10
	s_or_b64 s[6:7], vcc, s[6:7]
	s_waitcnt vmcnt(2) lgkmcnt(0)
	v_mul_f64 v[20:21], v[14:15], v[16:17]
	v_mul_f64 v[16:17], v[12:13], v[16:17]
	s_waitcnt vmcnt(0)
	v_fma_f64 v[12:13], v[12:13], v[18:19], -v[20:21]
	v_fmac_f64_e32 v[16:17], v[14:15], v[18:19]
	v_add_f64 v[4:5], v[4:5], v[12:13]
	v_add_f64 v[2:3], v[2:3], v[16:17]
	s_andn2_b64 exec, exec, s[6:7]
	s_cbranch_execnz .LBB58_29
; %bb.30:
	s_or_b64 exec, exec, s[6:7]
	v_mov_b32_e32 v0, 0
	ds_read_b128 v[8:11], v0 offset:64
	s_waitcnt lgkmcnt(0)
	v_mul_f64 v[12:13], v[2:3], v[10:11]
	v_mul_f64 v[10:11], v[4:5], v[10:11]
	v_fma_f64 v[4:5], v[4:5], v[8:9], -v[12:13]
	v_fmac_f64_e32 v[10:11], v[2:3], v[8:9]
	buffer_store_dword v5, off, s[0:3], 0 offset:84
	buffer_store_dword v4, off, s[0:3], 0 offset:80
	buffer_store_dword v11, off, s[0:3], 0 offset:92
	buffer_store_dword v10, off, s[0:3], 0 offset:88
.LBB58_31:
	s_or_b64 exec, exec, s[4:5]
	v_accvgpr_read_b32 v0, a171
	s_waitcnt lgkmcnt(0)
	; wave barrier
	buffer_load_dword v2, v0, s[0:3], 0 offen
	buffer_load_dword v3, v0, s[0:3], 0 offen offset:4
	buffer_load_dword v4, v0, s[0:3], 0 offen offset:8
	buffer_load_dword v5, v0, s[0:3], 0 offen offset:12
	v_cmp_gt_u32_e32 vcc, 5, v228
	;; [unrolled: 58-line block ×19, first 2 shown]
	s_waitcnt vmcnt(0)
	ds_write_b128 v6, v[2:5]
	s_waitcnt lgkmcnt(0)
	; wave barrier
	s_waitcnt lgkmcnt(0)
	s_and_saveexec_b64 s[4:5], vcc
	s_cbranch_execz .LBB58_103
; %bb.100:
	v_pk_mov_b32 v[2:3], 0, 0
	v_add_u32_e32 v8, -1, v228
	v_add_u32_e32 v9, 0x3b0, v1
	v_add_u32_e32 v10, 16, v1
	s_mov_b64 s[6:7], 0
	v_pk_mov_b32 v[4:5], v[2:3], v[2:3] op_sel:[0,1]
.LBB58_101:                             ; =>This Inner Loop Header: Depth=1
	buffer_load_dword v16, v10, s[0:3], 0 offen offset:8
	buffer_load_dword v17, v10, s[0:3], 0 offen offset:12
	buffer_load_dword v18, v10, s[0:3], 0 offen
	buffer_load_dword v19, v10, s[0:3], 0 offen offset:4
	ds_read_b128 v[12:15], v9
	v_add_u32_e32 v8, 1, v8
	v_cmp_lt_u32_e32 vcc, 20, v8
	v_add_u32_e32 v9, 16, v9
	v_add_u32_e32 v10, 16, v10
	s_or_b64 s[6:7], vcc, s[6:7]
	s_waitcnt vmcnt(2) lgkmcnt(0)
	v_mul_f64 v[20:21], v[14:15], v[16:17]
	v_mul_f64 v[16:17], v[12:13], v[16:17]
	s_waitcnt vmcnt(0)
	v_fma_f64 v[12:13], v[12:13], v[18:19], -v[20:21]
	v_fmac_f64_e32 v[16:17], v[14:15], v[18:19]
	v_add_f64 v[4:5], v[4:5], v[12:13]
	v_add_f64 v[2:3], v[2:3], v[16:17]
	s_andn2_b64 exec, exec, s[6:7]
	s_cbranch_execnz .LBB58_101
; %bb.102:
	s_or_b64 exec, exec, s[6:7]
	v_mov_b32_e32 v0, 0
	ds_read_b128 v[8:11], v0 offset:352
	s_waitcnt lgkmcnt(0)
	v_mul_f64 v[12:13], v[2:3], v[10:11]
	v_mul_f64 v[10:11], v[4:5], v[10:11]
	v_fma_f64 v[4:5], v[4:5], v[8:9], -v[12:13]
	v_fmac_f64_e32 v[10:11], v[2:3], v[8:9]
	buffer_store_dword v5, off, s[0:3], 0 offset:372
	buffer_store_dword v4, off, s[0:3], 0 offset:368
	buffer_store_dword v11, off, s[0:3], 0 offset:380
	buffer_store_dword v10, off, s[0:3], 0 offset:376
.LBB58_103:
	s_or_b64 exec, exec, s[4:5]
	v_accvgpr_read_b32 v0, a153
	s_waitcnt lgkmcnt(0)
	; wave barrier
	buffer_load_dword v2, v0, s[0:3], 0 offen
	buffer_load_dword v3, v0, s[0:3], 0 offen offset:4
	buffer_load_dword v4, v0, s[0:3], 0 offen offset:8
	buffer_load_dword v5, v0, s[0:3], 0 offen offset:12
	v_cmp_gt_u32_e32 vcc, 23, v228
	s_waitcnt vmcnt(0)
	ds_write_b128 v6, v[2:5]
	s_waitcnt lgkmcnt(0)
	; wave barrier
	s_waitcnt lgkmcnt(0)
	s_and_saveexec_b64 s[4:5], vcc
	s_cbranch_execz .LBB58_107
; %bb.104:
	v_pk_mov_b32 v[2:3], 0, 0
	v_add_u32_e32 v8, -1, v228
	v_add_u32_e32 v9, 0x3b0, v1
	v_add_u32_e32 v10, 16, v1
	s_mov_b64 s[6:7], 0
	v_pk_mov_b32 v[4:5], v[2:3], v[2:3] op_sel:[0,1]
.LBB58_105:                             ; =>This Inner Loop Header: Depth=1
	buffer_load_dword v16, v10, s[0:3], 0 offen offset:8
	buffer_load_dword v17, v10, s[0:3], 0 offen offset:12
	buffer_load_dword v18, v10, s[0:3], 0 offen
	buffer_load_dword v19, v10, s[0:3], 0 offen offset:4
	ds_read_b128 v[12:15], v9
	v_add_u32_e32 v8, 1, v8
	v_cmp_lt_u32_e32 vcc, 21, v8
	v_add_u32_e32 v9, 16, v9
	v_add_u32_e32 v10, 16, v10
	s_or_b64 s[6:7], vcc, s[6:7]
	s_waitcnt vmcnt(2) lgkmcnt(0)
	v_mul_f64 v[20:21], v[14:15], v[16:17]
	v_mul_f64 v[16:17], v[12:13], v[16:17]
	s_waitcnt vmcnt(0)
	v_fma_f64 v[12:13], v[12:13], v[18:19], -v[20:21]
	v_fmac_f64_e32 v[16:17], v[14:15], v[18:19]
	v_add_f64 v[4:5], v[4:5], v[12:13]
	v_add_f64 v[2:3], v[2:3], v[16:17]
	s_andn2_b64 exec, exec, s[6:7]
	s_cbranch_execnz .LBB58_105
; %bb.106:
	s_or_b64 exec, exec, s[6:7]
	v_mov_b32_e32 v0, 0
	ds_read_b128 v[8:11], v0 offset:368
	s_waitcnt lgkmcnt(0)
	v_mul_f64 v[12:13], v[2:3], v[10:11]
	v_mul_f64 v[10:11], v[4:5], v[10:11]
	v_fma_f64 v[4:5], v[4:5], v[8:9], -v[12:13]
	v_fmac_f64_e32 v[10:11], v[2:3], v[8:9]
	buffer_store_dword v5, off, s[0:3], 0 offset:388
	buffer_store_dword v4, off, s[0:3], 0 offset:384
	buffer_store_dword v11, off, s[0:3], 0 offset:396
	buffer_store_dword v10, off, s[0:3], 0 offset:392
.LBB58_107:
	s_or_b64 exec, exec, s[4:5]
	v_accvgpr_read_b32 v0, a152
	s_waitcnt lgkmcnt(0)
	; wave barrier
	buffer_load_dword v2, v0, s[0:3], 0 offen
	buffer_load_dword v3, v0, s[0:3], 0 offen offset:4
	buffer_load_dword v4, v0, s[0:3], 0 offen offset:8
	buffer_load_dword v5, v0, s[0:3], 0 offen offset:12
	v_cmp_gt_u32_e32 vcc, 24, v228
	;; [unrolled: 58-line block ×35, first 2 shown]
	s_waitcnt vmcnt(0)
	ds_write_b128 v6, v[2:5]
	s_waitcnt lgkmcnt(0)
	; wave barrier
	s_waitcnt lgkmcnt(0)
	s_and_saveexec_b64 s[4:5], vcc
	s_cbranch_execz .LBB58_243
; %bb.240:
	v_pk_mov_b32 v[2:3], 0, 0
	v_add_u32_e32 v8, -1, v228
	v_add_u32_e32 v9, 0x3b0, v1
	v_add_u32_e32 v10, 16, v1
	s_mov_b64 s[6:7], 0
	v_pk_mov_b32 v[4:5], v[2:3], v[2:3] op_sel:[0,1]
.LBB58_241:                             ; =>This Inner Loop Header: Depth=1
	buffer_load_dword v16, v10, s[0:3], 0 offen offset:8
	buffer_load_dword v17, v10, s[0:3], 0 offen offset:12
	buffer_load_dword v18, v10, s[0:3], 0 offen
	buffer_load_dword v19, v10, s[0:3], 0 offen offset:4
	ds_read_b128 v[12:15], v9
	v_add_u32_e32 v8, 1, v8
	v_cmp_lt_u32_e32 vcc, 55, v8
	v_add_u32_e32 v9, 16, v9
	v_add_u32_e32 v10, 16, v10
	s_or_b64 s[6:7], vcc, s[6:7]
	s_waitcnt vmcnt(2) lgkmcnt(0)
	v_mul_f64 v[20:21], v[14:15], v[16:17]
	v_mul_f64 v[16:17], v[12:13], v[16:17]
	s_waitcnt vmcnt(0)
	v_fma_f64 v[12:13], v[12:13], v[18:19], -v[20:21]
	v_fmac_f64_e32 v[16:17], v[14:15], v[18:19]
	v_add_f64 v[4:5], v[4:5], v[12:13]
	v_add_f64 v[2:3], v[2:3], v[16:17]
	s_andn2_b64 exec, exec, s[6:7]
	s_cbranch_execnz .LBB58_241
; %bb.242:
	s_or_b64 exec, exec, s[6:7]
	v_mov_b32_e32 v0, 0
	ds_read_b128 v[8:11], v0 offset:912
	s_waitcnt lgkmcnt(0)
	v_mul_f64 v[12:13], v[2:3], v[10:11]
	v_mul_f64 v[10:11], v[4:5], v[10:11]
	v_fma_f64 v[4:5], v[4:5], v[8:9], -v[12:13]
	v_fmac_f64_e32 v[10:11], v[2:3], v[8:9]
	buffer_store_dword v5, off, s[0:3], 0 offset:932
	buffer_store_dword v4, off, s[0:3], 0 offset:928
	;; [unrolled: 1-line block ×4, first 2 shown]
.LBB58_243:
	s_or_b64 exec, exec, s[4:5]
	v_accvgpr_read_b32 v0, a118
	s_waitcnt lgkmcnt(0)
	; wave barrier
	buffer_load_dword v2, v0, s[0:3], 0 offen
	buffer_load_dword v3, v0, s[0:3], 0 offen offset:4
	buffer_load_dword v4, v0, s[0:3], 0 offen offset:8
	;; [unrolled: 1-line block ×3, first 2 shown]
	v_cmp_ne_u32_e32 vcc, 58, v228
	s_waitcnt vmcnt(0)
	ds_write_b128 v6, v[2:5]
	s_waitcnt lgkmcnt(0)
	; wave barrier
	s_waitcnt lgkmcnt(0)
	s_and_saveexec_b64 s[4:5], vcc
	s_cbranch_execz .LBB58_247
; %bb.244:
	v_pk_mov_b32 v[2:3], 0, 0
	v_add_u32_e32 v6, 0x3b0, v1
	v_add_u32_e32 v1, 16, v1
	s_mov_b64 s[6:7], 0
	v_pk_mov_b32 v[4:5], v[2:3], v[2:3] op_sel:[0,1]
.LBB58_245:                             ; =>This Inner Loop Header: Depth=1
	buffer_load_dword v12, v1, s[0:3], 0 offen offset:8
	buffer_load_dword v13, v1, s[0:3], 0 offen offset:12
	buffer_load_dword v14, v1, s[0:3], 0 offen
	buffer_load_dword v15, v1, s[0:3], 0 offen offset:4
	ds_read_b128 v[8:11], v6
	v_add_u32_e32 v7, 1, v7
	v_cmp_lt_u32_e32 vcc, 56, v7
	v_add_u32_e32 v6, 16, v6
	v_add_u32_e32 v1, 16, v1
	s_or_b64 s[6:7], vcc, s[6:7]
	s_waitcnt vmcnt(2) lgkmcnt(0)
	v_mul_f64 v[16:17], v[10:11], v[12:13]
	v_mul_f64 v[12:13], v[8:9], v[12:13]
	s_waitcnt vmcnt(0)
	v_fma_f64 v[8:9], v[8:9], v[14:15], -v[16:17]
	v_fmac_f64_e32 v[12:13], v[10:11], v[14:15]
	v_add_f64 v[4:5], v[4:5], v[8:9]
	v_add_f64 v[2:3], v[2:3], v[12:13]
	s_andn2_b64 exec, exec, s[6:7]
	s_cbranch_execnz .LBB58_245
; %bb.246:
	s_or_b64 exec, exec, s[6:7]
	v_mov_b32_e32 v0, 0
	ds_read_b128 v[6:9], v0 offset:928
	s_waitcnt lgkmcnt(0)
	v_mul_f64 v[10:11], v[2:3], v[8:9]
	v_mul_f64 v[8:9], v[4:5], v[8:9]
	v_fma_f64 v[4:5], v[4:5], v[6:7], -v[10:11]
	v_fmac_f64_e32 v[8:9], v[2:3], v[6:7]
	buffer_store_dword v5, off, s[0:3], 0 offset:948
	buffer_store_dword v4, off, s[0:3], 0 offset:944
	;; [unrolled: 1-line block ×4, first 2 shown]
.LBB58_247:
	s_or_b64 exec, exec, s[4:5]
	s_mov_b64 s[6:7], -1
	s_waitcnt lgkmcnt(0)
	; wave barrier
.LBB58_248:
	s_and_b64 vcc, exec, s[6:7]
	s_cbranch_vccz .LBB58_250
; %bb.249:
	s_lshl_b64 s[4:5], s[8:9], 2
	s_add_u32 s4, s14, s4
	s_addc_u32 s5, s15, s5
	v_mov_b32_e32 v0, 0
	global_load_dword v0, v0, s[4:5]
	s_waitcnt vmcnt(0)
	v_cmp_ne_u32_e32 vcc, 0, v0
	s_cbranch_vccz .LBB58_251
.LBB58_250:
	s_endpgm
.LBB58_251:
	v_mov_b32_e32 v0, 0x3b0
	v_lshl_add_u32 v0, v228, 4, v0
	v_accvgpr_write_b32 a177, v0
	v_cmp_eq_u32_e32 vcc, 58, v228
	s_and_saveexec_b64 s[4:5], vcc
	s_cbranch_execz .LBB58_253
; %bb.252:
	v_accvgpr_read_b32 v0, a119
	buffer_load_dword v2, v0, s[0:3], 0 offen
	buffer_load_dword v3, v0, s[0:3], 0 offen offset:4
	buffer_load_dword v4, v0, s[0:3], 0 offen offset:8
	;; [unrolled: 1-line block ×3, first 2 shown]
	v_mov_b32_e32 v0, 0
	v_accvgpr_read_b32 v1, a177
	buffer_store_dword v0, off, s[0:3], 0 offset:928
	buffer_store_dword v0, off, s[0:3], 0 offset:932
	;; [unrolled: 1-line block ×4, first 2 shown]
	s_waitcnt vmcnt(4)
	ds_write_b128 v1, v[2:5]
.LBB58_253:
	s_or_b64 exec, exec, s[4:5]
	s_waitcnt lgkmcnt(0)
	; wave barrier
	s_waitcnt lgkmcnt(0)
	buffer_load_dword v8, off, s[0:3], 0 offset:952
	buffer_load_dword v9, off, s[0:3], 0 offset:956
	;; [unrolled: 1-line block ×8, first 2 shown]
	v_mov_b32_e32 v2, 0
	ds_read_b128 v[4:7], v2 offset:1872
	v_cmp_lt_u32_e32 vcc, 56, v228
	s_waitcnt vmcnt(6) lgkmcnt(0)
	v_mul_f64 v[16:17], v[4:5], v[8:9]
	v_mul_f64 v[8:9], v[6:7], v[8:9]
	s_waitcnt vmcnt(4)
	v_fma_f64 v[4:5], v[4:5], v[10:11], -v[8:9]
	v_fmac_f64_e32 v[16:17], v[6:7], v[10:11]
	v_add_f64 v[4:5], v[4:5], 0
	v_add_f64 v[6:7], v[16:17], 0
	s_waitcnt vmcnt(2)
	v_add_f64 v[4:5], v[12:13], -v[4:5]
	s_waitcnt vmcnt(0)
	v_add_f64 v[6:7], v[14:15], -v[6:7]
	buffer_store_dword v4, off, s[0:3], 0 offset:928
	buffer_store_dword v5, off, s[0:3], 0 offset:932
	;; [unrolled: 1-line block ×4, first 2 shown]
	s_and_saveexec_b64 s[4:5], vcc
	s_cbranch_execz .LBB58_255
; %bb.254:
	v_accvgpr_read_b32 v0, a120
	buffer_load_dword v4, v0, s[0:3], 0 offen
	buffer_load_dword v5, v0, s[0:3], 0 offen offset:4
	buffer_load_dword v6, v0, s[0:3], 0 offen offset:8
	;; [unrolled: 1-line block ×3, first 2 shown]
	v_accvgpr_read_b32 v0, a177
	buffer_store_dword v2, off, s[0:3], 0 offset:912
	buffer_store_dword v2, off, s[0:3], 0 offset:916
	;; [unrolled: 1-line block ×4, first 2 shown]
	s_waitcnt vmcnt(4)
	ds_write_b128 v0, v[4:7]
.LBB58_255:
	s_or_b64 exec, exec, s[4:5]
	s_waitcnt lgkmcnt(0)
	; wave barrier
	s_waitcnt lgkmcnt(0)
	buffer_load_dword v12, off, s[0:3], 0 offset:936
	buffer_load_dword v13, off, s[0:3], 0 offset:940
	;; [unrolled: 1-line block ×12, first 2 shown]
	ds_read_b128 v[4:7], v2 offset:1856
	ds_read_b128 v[8:11], v2 offset:1872
	v_cmp_lt_u32_e32 vcc, 55, v228
	s_waitcnt vmcnt(10) lgkmcnt(1)
	v_mul_f64 v[2:3], v[4:5], v[12:13]
	v_mul_f64 v[12:13], v[6:7], v[12:13]
	s_waitcnt vmcnt(8) lgkmcnt(0)
	v_mul_f64 v[24:25], v[8:9], v[14:15]
	v_mul_f64 v[14:15], v[10:11], v[14:15]
	s_waitcnt vmcnt(6)
	v_fma_f64 v[4:5], v[4:5], v[16:17], -v[12:13]
	v_fmac_f64_e32 v[2:3], v[6:7], v[16:17]
	s_waitcnt vmcnt(4)
	v_fma_f64 v[6:7], v[8:9], v[18:19], -v[14:15]
	v_add_f64 v[4:5], v[4:5], 0
	v_fmac_f64_e32 v[24:25], v[10:11], v[18:19]
	v_add_f64 v[2:3], v[2:3], 0
	v_add_f64 v[4:5], v[4:5], v[6:7]
	;; [unrolled: 1-line block ×3, first 2 shown]
	s_waitcnt vmcnt(2)
	v_add_f64 v[4:5], v[20:21], -v[4:5]
	s_waitcnt vmcnt(0)
	v_add_f64 v[2:3], v[22:23], -v[2:3]
	buffer_store_dword v4, off, s[0:3], 0 offset:912
	buffer_store_dword v5, off, s[0:3], 0 offset:916
	;; [unrolled: 1-line block ×4, first 2 shown]
	s_and_saveexec_b64 s[4:5], vcc
	s_cbranch_execz .LBB58_257
; %bb.256:
	v_accvgpr_read_b32 v0, a121
	buffer_load_dword v2, v0, s[0:3], 0 offen
	buffer_load_dword v3, v0, s[0:3], 0 offen offset:4
	buffer_load_dword v4, v0, s[0:3], 0 offen offset:8
	;; [unrolled: 1-line block ×3, first 2 shown]
	v_mov_b32_e32 v0, 0
	v_accvgpr_read_b32 v1, a177
	buffer_store_dword v0, off, s[0:3], 0 offset:896
	buffer_store_dword v0, off, s[0:3], 0 offset:900
	;; [unrolled: 1-line block ×4, first 2 shown]
	s_waitcnt vmcnt(4)
	ds_write_b128 v1, v[2:5]
.LBB58_257:
	s_or_b64 exec, exec, s[4:5]
	s_waitcnt lgkmcnt(0)
	; wave barrier
	s_waitcnt lgkmcnt(0)
	buffer_load_dword v16, off, s[0:3], 0 offset:920
	buffer_load_dword v17, off, s[0:3], 0 offset:924
	;; [unrolled: 1-line block ×16, first 2 shown]
	v_mov_b32_e32 v2, 0
	ds_read_b128 v[4:7], v2 offset:1840
	ds_read_b128 v[8:11], v2 offset:1856
	ds_read_b128 v[12:15], v2 offset:1872
	v_cmp_lt_u32_e32 vcc, 54, v228
	s_waitcnt vmcnt(14) lgkmcnt(2)
	v_mul_f64 v[32:33], v[4:5], v[16:17]
	v_mul_f64 v[16:17], v[6:7], v[16:17]
	s_waitcnt vmcnt(12) lgkmcnt(1)
	v_mul_f64 v[34:35], v[8:9], v[18:19]
	v_mul_f64 v[18:19], v[10:11], v[18:19]
	;; [unrolled: 3-line block ×3, first 2 shown]
	s_waitcnt vmcnt(8)
	v_fma_f64 v[4:5], v[4:5], v[22:23], -v[16:17]
	v_fmac_f64_e32 v[32:33], v[6:7], v[22:23]
	s_waitcnt vmcnt(6)
	v_fma_f64 v[6:7], v[8:9], v[24:25], -v[18:19]
	v_add_f64 v[4:5], v[4:5], 0
	v_fmac_f64_e32 v[34:35], v[10:11], v[24:25]
	s_waitcnt vmcnt(4)
	v_fma_f64 v[8:9], v[12:13], v[26:27], -v[20:21]
	v_add_f64 v[10:11], v[32:33], 0
	v_add_f64 v[4:5], v[4:5], v[6:7]
	v_fmac_f64_e32 v[36:37], v[14:15], v[26:27]
	v_add_f64 v[10:11], v[10:11], v[34:35]
	v_add_f64 v[4:5], v[4:5], v[8:9]
	;; [unrolled: 1-line block ×3, first 2 shown]
	s_waitcnt vmcnt(2)
	v_add_f64 v[4:5], v[28:29], -v[4:5]
	s_waitcnt vmcnt(0)
	v_add_f64 v[6:7], v[30:31], -v[6:7]
	buffer_store_dword v4, off, s[0:3], 0 offset:896
	buffer_store_dword v5, off, s[0:3], 0 offset:900
	;; [unrolled: 1-line block ×4, first 2 shown]
	s_and_saveexec_b64 s[4:5], vcc
	s_cbranch_execz .LBB58_259
; %bb.258:
	v_accvgpr_read_b32 v0, a122
	buffer_load_dword v4, v0, s[0:3], 0 offen
	buffer_load_dword v5, v0, s[0:3], 0 offen offset:4
	buffer_load_dword v6, v0, s[0:3], 0 offen offset:8
	;; [unrolled: 1-line block ×3, first 2 shown]
	v_accvgpr_read_b32 v0, a177
	buffer_store_dword v2, off, s[0:3], 0 offset:880
	buffer_store_dword v2, off, s[0:3], 0 offset:884
	;; [unrolled: 1-line block ×4, first 2 shown]
	s_waitcnt vmcnt(4)
	ds_write_b128 v0, v[4:7]
.LBB58_259:
	s_or_b64 exec, exec, s[4:5]
	s_waitcnt lgkmcnt(0)
	; wave barrier
	s_waitcnt lgkmcnt(0)
	buffer_load_dword v20, off, s[0:3], 0 offset:904
	buffer_load_dword v21, off, s[0:3], 0 offset:908
	;; [unrolled: 1-line block ×20, first 2 shown]
	ds_read_b128 v[4:7], v2 offset:1824
	ds_read_b128 v[8:11], v2 offset:1840
	;; [unrolled: 1-line block ×4, first 2 shown]
	v_cmp_lt_u32_e32 vcc, 53, v228
	s_waitcnt vmcnt(18) lgkmcnt(3)
	v_mul_f64 v[2:3], v[4:5], v[20:21]
	v_mul_f64 v[20:21], v[6:7], v[20:21]
	s_waitcnt vmcnt(16) lgkmcnt(2)
	v_mul_f64 v[40:41], v[8:9], v[22:23]
	v_mul_f64 v[22:23], v[10:11], v[22:23]
	;; [unrolled: 3-line block ×4, first 2 shown]
	s_waitcnt vmcnt(10)
	v_fma_f64 v[4:5], v[4:5], v[28:29], -v[20:21]
	v_fmac_f64_e32 v[2:3], v[6:7], v[28:29]
	s_waitcnt vmcnt(8)
	v_fma_f64 v[6:7], v[8:9], v[30:31], -v[22:23]
	v_add_f64 v[4:5], v[4:5], 0
	v_fmac_f64_e32 v[40:41], v[10:11], v[30:31]
	s_waitcnt vmcnt(6)
	v_fma_f64 v[8:9], v[12:13], v[32:33], -v[24:25]
	v_add_f64 v[2:3], v[2:3], 0
	v_add_f64 v[4:5], v[4:5], v[6:7]
	v_fmac_f64_e32 v[42:43], v[14:15], v[32:33]
	s_waitcnt vmcnt(4)
	v_fma_f64 v[10:11], v[16:17], v[34:35], -v[26:27]
	v_add_f64 v[2:3], v[2:3], v[40:41]
	v_add_f64 v[4:5], v[4:5], v[8:9]
	v_fmac_f64_e32 v[44:45], v[18:19], v[34:35]
	v_add_f64 v[2:3], v[2:3], v[42:43]
	v_add_f64 v[4:5], v[4:5], v[10:11]
	;; [unrolled: 1-line block ×3, first 2 shown]
	s_waitcnt vmcnt(2)
	v_add_f64 v[4:5], v[36:37], -v[4:5]
	s_waitcnt vmcnt(0)
	v_add_f64 v[2:3], v[38:39], -v[2:3]
	buffer_store_dword v4, off, s[0:3], 0 offset:880
	buffer_store_dword v5, off, s[0:3], 0 offset:884
	;; [unrolled: 1-line block ×4, first 2 shown]
	s_and_saveexec_b64 s[4:5], vcc
	s_cbranch_execz .LBB58_261
; %bb.260:
	v_accvgpr_read_b32 v0, a123
	buffer_load_dword v2, v0, s[0:3], 0 offen
	buffer_load_dword v3, v0, s[0:3], 0 offen offset:4
	buffer_load_dword v4, v0, s[0:3], 0 offen offset:8
	;; [unrolled: 1-line block ×3, first 2 shown]
	v_mov_b32_e32 v0, 0
	v_accvgpr_read_b32 v1, a177
	buffer_store_dword v0, off, s[0:3], 0 offset:864
	buffer_store_dword v0, off, s[0:3], 0 offset:868
	;; [unrolled: 1-line block ×4, first 2 shown]
	s_waitcnt vmcnt(4)
	ds_write_b128 v1, v[2:5]
.LBB58_261:
	s_or_b64 exec, exec, s[4:5]
	s_waitcnt lgkmcnt(0)
	; wave barrier
	s_waitcnt lgkmcnt(0)
	buffer_load_dword v24, off, s[0:3], 0 offset:888
	buffer_load_dword v25, off, s[0:3], 0 offset:892
	buffer_load_dword v26, off, s[0:3], 0 offset:904
	buffer_load_dword v27, off, s[0:3], 0 offset:908
	buffer_load_dword v28, off, s[0:3], 0 offset:920
	buffer_load_dword v29, off, s[0:3], 0 offset:924
	buffer_load_dword v30, off, s[0:3], 0 offset:952
	buffer_load_dword v32, off, s[0:3], 0 offset:944
	buffer_load_dword v35, off, s[0:3], 0 offset:940
	buffer_load_dword v34, off, s[0:3], 0 offset:936
	buffer_load_dword v31, off, s[0:3], 0 offset:956
	buffer_load_dword v36, off, s[0:3], 0 offset:880
	buffer_load_dword v37, off, s[0:3], 0 offset:884
	buffer_load_dword v38, off, s[0:3], 0 offset:896
	buffer_load_dword v39, off, s[0:3], 0 offset:900
	buffer_load_dword v40, off, s[0:3], 0 offset:912
	buffer_load_dword v41, off, s[0:3], 0 offset:916
	buffer_load_dword v43, off, s[0:3], 0 offset:932
	buffer_load_dword v42, off, s[0:3], 0 offset:928
	buffer_load_dword v33, off, s[0:3], 0 offset:948
	buffer_load_dword v44, off, s[0:3], 0 offset:864
	buffer_load_dword v45, off, s[0:3], 0 offset:868
	buffer_load_dword v46, off, s[0:3], 0 offset:872
	buffer_load_dword v47, off, s[0:3], 0 offset:876
	v_mov_b32_e32 v2, 0
	ds_read_b128 v[4:7], v2 offset:1808
	ds_read_b128 v[8:11], v2 offset:1824
	;; [unrolled: 1-line block ×5, first 2 shown]
	v_cmp_lt_u32_e32 vcc, 52, v228
	s_waitcnt vmcnt(22) lgkmcnt(4)
	v_mul_f64 v[48:49], v[4:5], v[24:25]
	v_mul_f64 v[24:25], v[6:7], v[24:25]
	s_waitcnt vmcnt(20) lgkmcnt(3)
	v_mul_f64 v[50:51], v[8:9], v[26:27]
	v_mul_f64 v[26:27], v[10:11], v[26:27]
	s_waitcnt vmcnt(18) lgkmcnt(2)
	v_mul_f64 v[52:53], v[12:13], v[28:29]
	v_mul_f64 v[28:29], v[14:15], v[28:29]
	s_waitcnt vmcnt(14) lgkmcnt(1)
	v_mul_f64 v[54:55], v[16:17], v[34:35]
	v_mul_f64 v[34:35], v[18:19], v[34:35]
	s_waitcnt vmcnt(13) lgkmcnt(0)
	v_mul_f64 v[56:57], v[20:21], v[30:31]
	s_waitcnt vmcnt(11)
	v_fma_f64 v[4:5], v[4:5], v[36:37], -v[24:25]
	v_fmac_f64_e32 v[48:49], v[6:7], v[36:37]
	s_waitcnt vmcnt(9)
	v_fma_f64 v[6:7], v[8:9], v[38:39], -v[26:27]
	v_add_f64 v[4:5], v[4:5], 0
	v_fmac_f64_e32 v[50:51], v[10:11], v[38:39]
	s_waitcnt vmcnt(7)
	v_fmac_f64_e32 v[52:53], v[14:15], v[40:41]
	v_fma_f64 v[8:9], v[12:13], v[40:41], -v[28:29]
	v_add_f64 v[14:15], v[48:49], 0
	v_add_f64 v[4:5], v[4:5], v[6:7]
	v_mul_f64 v[30:31], v[22:23], v[30:31]
	s_waitcnt vmcnt(5)
	v_fma_f64 v[10:11], v[16:17], v[42:43], -v[34:35]
	v_add_f64 v[14:15], v[14:15], v[50:51]
	v_add_f64 v[4:5], v[4:5], v[8:9]
	v_fmac_f64_e32 v[54:55], v[18:19], v[42:43]
	s_waitcnt vmcnt(4)
	v_fma_f64 v[12:13], v[20:21], v[32:33], -v[30:31]
	v_add_f64 v[6:7], v[14:15], v[52:53]
	v_add_f64 v[4:5], v[4:5], v[10:11]
	v_fmac_f64_e32 v[56:57], v[22:23], v[32:33]
	v_add_f64 v[6:7], v[6:7], v[54:55]
	v_add_f64 v[4:5], v[4:5], v[12:13]
	;; [unrolled: 1-line block ×3, first 2 shown]
	s_waitcnt vmcnt(2)
	v_add_f64 v[4:5], v[44:45], -v[4:5]
	s_waitcnt vmcnt(0)
	v_add_f64 v[6:7], v[46:47], -v[6:7]
	buffer_store_dword v5, off, s[0:3], 0 offset:868
	buffer_store_dword v4, off, s[0:3], 0 offset:864
	;; [unrolled: 1-line block ×4, first 2 shown]
	s_and_saveexec_b64 s[4:5], vcc
	s_cbranch_execz .LBB58_263
; %bb.262:
	v_accvgpr_read_b32 v0, a124
	buffer_load_dword v4, v0, s[0:3], 0 offen
	buffer_load_dword v5, v0, s[0:3], 0 offen offset:4
	buffer_load_dword v6, v0, s[0:3], 0 offen offset:8
	buffer_load_dword v7, v0, s[0:3], 0 offen offset:12
	v_accvgpr_read_b32 v0, a177
	buffer_store_dword v2, off, s[0:3], 0 offset:848
	buffer_store_dword v2, off, s[0:3], 0 offset:852
	;; [unrolled: 1-line block ×4, first 2 shown]
	s_waitcnt vmcnt(4)
	ds_write_b128 v0, v[4:7]
.LBB58_263:
	s_or_b64 exec, exec, s[4:5]
	s_waitcnt lgkmcnt(0)
	; wave barrier
	s_waitcnt lgkmcnt(0)
	buffer_load_dword v28, off, s[0:3], 0 offset:872
	buffer_load_dword v29, off, s[0:3], 0 offset:876
	;; [unrolled: 1-line block ×28, first 2 shown]
	ds_read_b128 v[4:7], v2 offset:1792
	ds_read_b128 v[8:11], v2 offset:1808
	;; [unrolled: 1-line block ×6, first 2 shown]
	v_cmp_lt_u32_e32 vcc, 51, v228
	s_waitcnt vmcnt(26) lgkmcnt(5)
	v_mul_f64 v[2:3], v[4:5], v[28:29]
	v_mul_f64 v[28:29], v[6:7], v[28:29]
	s_waitcnt vmcnt(24) lgkmcnt(4)
	v_mul_f64 v[56:57], v[8:9], v[30:31]
	v_mul_f64 v[30:31], v[10:11], v[30:31]
	;; [unrolled: 3-line block ×4, first 2 shown]
	s_waitcnt vmcnt(17)
	v_mul_f64 v[60:61], v[16:17], v[38:39]
	v_mul_f64 v[38:39], v[18:19], v[38:39]
	s_waitcnt vmcnt(15) lgkmcnt(0)
	v_mul_f64 v[64:65], v[24:25], v[40:41]
	v_mul_f64 v[40:41], v[26:27], v[40:41]
	s_waitcnt vmcnt(14)
	v_fmac_f64_e32 v[62:63], v[22:23], v[36:37]
	s_waitcnt vmcnt(12)
	v_fma_f64 v[4:5], v[4:5], v[42:43], -v[28:29]
	v_fmac_f64_e32 v[2:3], v[6:7], v[42:43]
	s_waitcnt vmcnt(10)
	v_fma_f64 v[6:7], v[8:9], v[44:45], -v[30:31]
	v_add_f64 v[4:5], v[4:5], 0
	v_fmac_f64_e32 v[56:57], v[10:11], v[44:45]
	s_waitcnt vmcnt(8)
	v_fma_f64 v[8:9], v[12:13], v[46:47], -v[32:33]
	v_add_f64 v[2:3], v[2:3], 0
	v_add_f64 v[4:5], v[4:5], v[6:7]
	v_fmac_f64_e32 v[58:59], v[14:15], v[46:47]
	s_waitcnt vmcnt(6)
	v_fma_f64 v[10:11], v[16:17], v[48:49], -v[38:39]
	v_add_f64 v[2:3], v[2:3], v[56:57]
	v_add_f64 v[4:5], v[4:5], v[8:9]
	v_fmac_f64_e32 v[60:61], v[18:19], v[48:49]
	v_fma_f64 v[12:13], v[20:21], v[36:37], -v[34:35]
	v_add_f64 v[2:3], v[2:3], v[58:59]
	v_add_f64 v[4:5], v[4:5], v[10:11]
	s_waitcnt vmcnt(4)
	v_fma_f64 v[14:15], v[24:25], v[50:51], -v[40:41]
	v_add_f64 v[2:3], v[2:3], v[60:61]
	v_add_f64 v[4:5], v[4:5], v[12:13]
	v_fmac_f64_e32 v[64:65], v[26:27], v[50:51]
	v_add_f64 v[2:3], v[2:3], v[62:63]
	v_add_f64 v[4:5], v[4:5], v[14:15]
	;; [unrolled: 1-line block ×3, first 2 shown]
	s_waitcnt vmcnt(2)
	v_add_f64 v[4:5], v[52:53], -v[4:5]
	s_waitcnt vmcnt(0)
	v_add_f64 v[2:3], v[54:55], -v[2:3]
	buffer_store_dword v5, off, s[0:3], 0 offset:852
	buffer_store_dword v4, off, s[0:3], 0 offset:848
	;; [unrolled: 1-line block ×4, first 2 shown]
	s_and_saveexec_b64 s[4:5], vcc
	s_cbranch_execz .LBB58_265
; %bb.264:
	v_accvgpr_read_b32 v0, a125
	buffer_load_dword v2, v0, s[0:3], 0 offen
	buffer_load_dword v3, v0, s[0:3], 0 offen offset:4
	buffer_load_dword v4, v0, s[0:3], 0 offen offset:8
	;; [unrolled: 1-line block ×3, first 2 shown]
	v_mov_b32_e32 v0, 0
	v_accvgpr_read_b32 v1, a177
	buffer_store_dword v0, off, s[0:3], 0 offset:832
	buffer_store_dword v0, off, s[0:3], 0 offset:836
	;; [unrolled: 1-line block ×4, first 2 shown]
	s_waitcnt vmcnt(4)
	ds_write_b128 v1, v[2:5]
.LBB58_265:
	s_or_b64 exec, exec, s[4:5]
	s_waitcnt lgkmcnt(0)
	; wave barrier
	s_waitcnt lgkmcnt(0)
	buffer_load_dword v32, off, s[0:3], 0 offset:856
	buffer_load_dword v33, off, s[0:3], 0 offset:860
	;; [unrolled: 1-line block ×32, first 2 shown]
	v_mov_b32_e32 v26, 0
	ds_read_b128 v[2:5], v26 offset:1776
	ds_read_b128 v[6:9], v26 offset:1792
	;; [unrolled: 1-line block ×7, first 2 shown]
	v_cmp_lt_u32_e32 vcc, 50, v228
	s_waitcnt vmcnt(30) lgkmcnt(6)
	v_mul_f64 v[64:65], v[2:3], v[32:33]
	v_mul_f64 v[32:33], v[4:5], v[32:33]
	s_waitcnt vmcnt(28) lgkmcnt(5)
	v_mul_f64 v[66:67], v[6:7], v[34:35]
	v_mul_f64 v[34:35], v[8:9], v[34:35]
	;; [unrolled: 3-line block ×4, first 2 shown]
	s_waitcnt vmcnt(21)
	v_mul_f64 v[70:71], v[14:15], v[42:43]
	v_mul_f64 v[42:43], v[16:17], v[42:43]
	s_waitcnt vmcnt(17) lgkmcnt(1)
	v_mul_f64 v[74:75], v[22:23], v[48:49]
	v_mul_f64 v[48:49], v[24:25], v[48:49]
	s_waitcnt vmcnt(16) lgkmcnt(0)
	v_mul_f64 v[76:77], v[28:29], v[44:45]
	v_mul_f64 v[44:45], v[30:31], v[44:45]
	s_waitcnt vmcnt(13)
	v_fma_f64 v[2:3], v[2:3], v[50:51], -v[32:33]
	v_fmac_f64_e32 v[64:65], v[4:5], v[50:51]
	s_waitcnt vmcnt(11)
	v_fma_f64 v[4:5], v[6:7], v[52:53], -v[34:35]
	v_add_f64 v[2:3], v[2:3], 0
	v_fmac_f64_e32 v[66:67], v[8:9], v[52:53]
	s_waitcnt vmcnt(9)
	v_fma_f64 v[6:7], v[10:11], v[54:55], -v[36:37]
	s_waitcnt vmcnt(7)
	v_fmac_f64_e32 v[70:71], v[16:17], v[56:57]
	v_add_f64 v[16:17], v[64:65], 0
	v_add_f64 v[2:3], v[2:3], v[4:5]
	v_fmac_f64_e32 v[68:69], v[12:13], v[54:55]
	v_fma_f64 v[8:9], v[14:15], v[56:57], -v[42:43]
	v_add_f64 v[16:17], v[16:17], v[66:67]
	v_add_f64 v[2:3], v[2:3], v[6:7]
	v_fma_f64 v[10:11], v[18:19], v[40:41], -v[38:39]
	v_add_f64 v[4:5], v[16:17], v[68:69]
	v_add_f64 v[2:3], v[2:3], v[8:9]
	v_fmac_f64_e32 v[72:73], v[20:21], v[40:41]
	s_waitcnt vmcnt(5)
	v_fma_f64 v[12:13], v[22:23], v[58:59], -v[48:49]
	v_add_f64 v[4:5], v[4:5], v[70:71]
	v_add_f64 v[2:3], v[2:3], v[10:11]
	v_fmac_f64_e32 v[74:75], v[24:25], v[58:59]
	s_waitcnt vmcnt(4)
	v_fma_f64 v[14:15], v[28:29], v[46:47], -v[44:45]
	v_add_f64 v[4:5], v[4:5], v[72:73]
	v_add_f64 v[2:3], v[2:3], v[12:13]
	v_fmac_f64_e32 v[76:77], v[30:31], v[46:47]
	v_add_f64 v[4:5], v[4:5], v[74:75]
	v_add_f64 v[2:3], v[2:3], v[14:15]
	;; [unrolled: 1-line block ×3, first 2 shown]
	s_waitcnt vmcnt(2)
	v_add_f64 v[2:3], v[60:61], -v[2:3]
	s_waitcnt vmcnt(0)
	v_add_f64 v[4:5], v[62:63], -v[4:5]
	buffer_store_dword v3, off, s[0:3], 0 offset:836
	buffer_store_dword v2, off, s[0:3], 0 offset:832
	;; [unrolled: 1-line block ×4, first 2 shown]
	s_and_saveexec_b64 s[4:5], vcc
	s_cbranch_execz .LBB58_267
; %bb.266:
	v_accvgpr_read_b32 v0, a126
	buffer_load_dword v2, v0, s[0:3], 0 offen
	buffer_load_dword v3, v0, s[0:3], 0 offen offset:4
	buffer_load_dword v4, v0, s[0:3], 0 offen offset:8
	;; [unrolled: 1-line block ×3, first 2 shown]
	v_accvgpr_read_b32 v0, a177
	buffer_store_dword v26, off, s[0:3], 0 offset:816
	buffer_store_dword v26, off, s[0:3], 0 offset:820
	;; [unrolled: 1-line block ×4, first 2 shown]
	s_waitcnt vmcnt(4)
	ds_write_b128 v0, v[2:5]
.LBB58_267:
	s_or_b64 exec, exec, s[4:5]
	s_waitcnt lgkmcnt(0)
	; wave barrier
	s_waitcnt lgkmcnt(0)
	ds_read_b128 v[14:17], v26 offset:1760
	ds_read_b128 v[10:13], v26 offset:1776
	ds_read_b128 v[6:9], v26 offset:1792
	ds_read_b128 v[2:5], v26 offset:1808
	buffer_load_dword v36, off, s[0:3], 0 offset:816
	buffer_load_dword v37, off, s[0:3], 0 offset:820
	;; [unrolled: 1-line block ×20, first 2 shown]
	v_cmp_lt_u32_e32 vcc, 49, v228
	s_waitcnt vmcnt(12) lgkmcnt(3)
	v_mul_f64 v[18:19], v[14:15], v[44:45]
	v_fmac_f64_e32 v[18:19], v[16:17], v[38:39]
	v_add_f64 v[18:19], v[18:19], 0
	v_mul_f64 v[16:17], v[16:17], v[44:45]
	s_waitcnt vmcnt(8) lgkmcnt(2)
	v_mul_f64 v[20:21], v[10:11], v[46:47]
	v_fmac_f64_e32 v[20:21], v[12:13], v[40:41]
	v_add_f64 v[18:19], v[18:19], v[20:21]
	v_fma_f64 v[14:15], v[14:15], v[38:39], -v[16:17]
	s_waitcnt vmcnt(4) lgkmcnt(1)
	v_mul_f64 v[20:21], v[6:7], v[50:51]
	v_fmac_f64_e32 v[20:21], v[8:9], v[42:43]
	v_add_f64 v[18:19], v[18:19], v[20:21]
	s_waitcnt vmcnt(0) lgkmcnt(0)
	v_mul_f64 v[20:21], v[2:3], v[54:55]
	v_fmac_f64_e32 v[20:21], v[4:5], v[52:53]
	v_add_f64 v[22:23], v[18:19], v[20:21]
	ds_read_b128 v[18:21], v26 offset:1824
	buffer_load_dword v49, off, s[0:3], 0 offset:900
	buffer_load_dword v48, off, s[0:3], 0 offset:896
	buffer_load_dword v65, off, s[0:3], 0 offset:908
	buffer_load_dword v64, off, s[0:3], 0 offset:904
	ds_read_b128 v[30:33], v26 offset:1840
	buffer_load_dword v61, off, s[0:3], 0 offset:916
	buffer_load_dword v60, off, s[0:3], 0 offset:912
	;; [unrolled: 1-line block ×4, first 2 shown]
	v_mul_f64 v[12:13], v[12:13], v[46:47]
	v_add_f64 v[14:15], v[14:15], 0
	v_fma_f64 v[10:11], v[10:11], v[40:41], -v[12:13]
	v_mul_f64 v[8:9], v[8:9], v[50:51]
	v_add_f64 v[10:11], v[14:15], v[10:11]
	v_fma_f64 v[6:7], v[6:7], v[42:43], -v[8:9]
	;; [unrolled: 3-line block ×3, first 2 shown]
	v_add_f64 v[2:3], v[6:7], v[2:3]
	s_waitcnt vmcnt(4) lgkmcnt(1)
	v_mul_f64 v[24:25], v[18:19], v[64:65]
	v_fmac_f64_e32 v[24:25], v[20:21], v[48:49]
	v_add_f64 v[22:23], v[22:23], v[24:25]
	s_waitcnt vmcnt(0) lgkmcnt(0)
	v_mul_f64 v[24:25], v[30:31], v[62:63]
	v_fmac_f64_e32 v[24:25], v[32:33], v[60:61]
	v_add_f64 v[28:29], v[22:23], v[24:25]
	ds_read_b128 v[22:25], v26 offset:1856
	buffer_load_dword v57, off, s[0:3], 0 offset:932
	buffer_load_dword v56, off, s[0:3], 0 offset:928
	;; [unrolled: 1-line block ×4, first 2 shown]
	v_mul_f64 v[4:5], v[20:21], v[64:65]
	v_fma_f64 v[4:5], v[18:19], v[48:49], -v[4:5]
	v_add_f64 v[2:3], v[2:3], v[4:5]
	v_mul_f64 v[4:5], v[32:33], v[62:63]
	v_fma_f64 v[4:5], v[30:31], v[60:61], -v[4:5]
	v_add_f64 v[2:3], v[2:3], v[4:5]
	s_waitcnt vmcnt(0) lgkmcnt(0)
	v_mul_f64 v[58:59], v[22:23], v[66:67]
	v_fmac_f64_e32 v[58:59], v[24:25], v[56:57]
	v_add_f64 v[68:69], v[28:29], v[58:59]
	ds_read_b128 v[26:29], v26 offset:1872
	buffer_load_dword v59, off, s[0:3], 0 offset:948
	buffer_load_dword v58, off, s[0:3], 0 offset:944
	;; [unrolled: 1-line block ×4, first 2 shown]
	v_mul_f64 v[4:5], v[24:25], v[66:67]
	v_fma_f64 v[4:5], v[22:23], v[56:57], -v[4:5]
	v_add_f64 v[2:3], v[2:3], v[4:5]
	s_waitcnt vmcnt(0) lgkmcnt(0)
	v_mul_f64 v[4:5], v[28:29], v[70:71]
	v_mul_f64 v[72:73], v[26:27], v[70:71]
	v_fma_f64 v[4:5], v[26:27], v[58:59], -v[4:5]
	v_fmac_f64_e32 v[72:73], v[28:29], v[58:59]
	v_add_f64 v[2:3], v[2:3], v[4:5]
	v_add_f64 v[68:69], v[68:69], v[72:73]
	v_add_f64 v[2:3], v[36:37], -v[2:3]
	v_add_f64 v[4:5], v[34:35], -v[68:69]
	buffer_store_dword v3, off, s[0:3], 0 offset:820
	buffer_store_dword v2, off, s[0:3], 0 offset:816
	;; [unrolled: 1-line block ×4, first 2 shown]
	s_and_saveexec_b64 s[4:5], vcc
	s_cbranch_execz .LBB58_269
; %bb.268:
	v_accvgpr_read_b32 v0, a127
	buffer_load_dword v2, v0, s[0:3], 0 offen
	buffer_load_dword v3, v0, s[0:3], 0 offen offset:4
	buffer_load_dword v4, v0, s[0:3], 0 offen offset:8
	;; [unrolled: 1-line block ×3, first 2 shown]
	v_mov_b32_e32 v0, 0
	v_accvgpr_read_b32 v1, a177
	buffer_store_dword v0, off, s[0:3], 0 offset:800
	buffer_store_dword v0, off, s[0:3], 0 offset:804
	;; [unrolled: 1-line block ×4, first 2 shown]
	s_waitcnt vmcnt(4)
	ds_write_b128 v1, v[2:5]
.LBB58_269:
	s_or_b64 exec, exec, s[4:5]
	v_mov_b32_e32 v82, 0
	s_waitcnt lgkmcnt(0)
	; wave barrier
	s_waitcnt lgkmcnt(0)
	ds_read_b128 v[18:21], v82 offset:1744
	ds_read_b128 v[14:17], v82 offset:1760
	;; [unrolled: 1-line block ×4, first 2 shown]
	buffer_load_dword v40, off, s[0:3], 0 offset:800
	buffer_load_dword v41, off, s[0:3], 0 offset:804
	;; [unrolled: 1-line block ×20, first 2 shown]
	v_cmp_lt_u32_e32 vcc, 48, v228
	s_waitcnt vmcnt(12) lgkmcnt(3)
	v_mul_f64 v[6:7], v[18:19], v[56:57]
	v_fmac_f64_e32 v[6:7], v[20:21], v[44:45]
	v_add_f64 v[6:7], v[6:7], 0
	v_mul_f64 v[20:21], v[20:21], v[56:57]
	s_waitcnt vmcnt(8) lgkmcnt(2)
	v_mul_f64 v[8:9], v[14:15], v[54:55]
	v_fmac_f64_e32 v[8:9], v[16:17], v[50:51]
	v_add_f64 v[6:7], v[6:7], v[8:9]
	v_fma_f64 v[18:19], v[18:19], v[44:45], -v[20:21]
	s_waitcnt vmcnt(4) lgkmcnt(1)
	v_mul_f64 v[8:9], v[10:11], v[52:53]
	v_fmac_f64_e32 v[8:9], v[12:13], v[48:49]
	v_add_f64 v[6:7], v[6:7], v[8:9]
	s_waitcnt vmcnt(0) lgkmcnt(0)
	v_mul_f64 v[8:9], v[2:3], v[58:59]
	v_fmac_f64_e32 v[8:9], v[4:5], v[46:47]
	v_add_f64 v[22:23], v[6:7], v[8:9]
	ds_read_b128 v[6:9], v82 offset:1808
	buffer_load_dword v43, off, s[0:3], 0 offset:884
	buffer_load_dword v42, off, s[0:3], 0 offset:880
	;; [unrolled: 1-line block ×4, first 2 shown]
	v_mul_f64 v[16:17], v[16:17], v[54:55]
	v_add_f64 v[18:19], v[18:19], 0
	v_fma_f64 v[14:15], v[14:15], v[50:51], -v[16:17]
	v_mul_f64 v[12:13], v[12:13], v[52:53]
	v_add_f64 v[14:15], v[18:19], v[14:15]
	v_fma_f64 v[10:11], v[10:11], v[48:49], -v[12:13]
	;; [unrolled: 3-line block ×3, first 2 shown]
	v_add_f64 v[2:3], v[10:11], v[2:3]
	s_waitcnt vmcnt(0) lgkmcnt(0)
	v_mul_f64 v[24:25], v[6:7], v[60:61]
	v_fmac_f64_e32 v[24:25], v[8:9], v[42:43]
	v_add_f64 v[26:27], v[22:23], v[24:25]
	ds_read_b128 v[22:25], v82 offset:1824
	buffer_load_dword v63, off, s[0:3], 0 offset:900
	buffer_load_dword v62, off, s[0:3], 0 offset:896
	buffer_load_dword v65, off, s[0:3], 0 offset:908
	buffer_load_dword v64, off, s[0:3], 0 offset:904
	v_mul_f64 v[4:5], v[8:9], v[60:61]
	v_fma_f64 v[4:5], v[6:7], v[42:43], -v[4:5]
	v_add_f64 v[2:3], v[2:3], v[4:5]
	s_waitcnt vmcnt(0) lgkmcnt(0)
	v_mul_f64 v[28:29], v[22:23], v[64:65]
	v_fmac_f64_e32 v[28:29], v[24:25], v[62:63]
	v_add_f64 v[30:31], v[26:27], v[28:29]
	ds_read_b128 v[26:29], v82 offset:1840
	buffer_load_dword v67, off, s[0:3], 0 offset:916
	buffer_load_dword v66, off, s[0:3], 0 offset:912
	buffer_load_dword v69, off, s[0:3], 0 offset:924
	buffer_load_dword v68, off, s[0:3], 0 offset:920
	v_mul_f64 v[4:5], v[24:25], v[64:65]
	v_fma_f64 v[4:5], v[22:23], v[62:63], -v[4:5]
	;; [unrolled: 12-line block ×4, first 2 shown]
	v_add_f64 v[2:3], v[2:3], v[4:5]
	s_waitcnt vmcnt(0) lgkmcnt(0)
	v_mul_f64 v[4:5], v[36:37], v[76:77]
	v_mul_f64 v[80:81], v[34:35], v[76:77]
	v_fma_f64 v[4:5], v[34:35], v[74:75], -v[4:5]
	v_fmac_f64_e32 v[80:81], v[36:37], v[74:75]
	v_add_f64 v[2:3], v[2:3], v[4:5]
	v_add_f64 v[78:79], v[78:79], v[80:81]
	v_add_f64 v[2:3], v[40:41], -v[2:3]
	v_add_f64 v[4:5], v[38:39], -v[78:79]
	buffer_store_dword v3, off, s[0:3], 0 offset:804
	buffer_store_dword v2, off, s[0:3], 0 offset:800
	;; [unrolled: 1-line block ×4, first 2 shown]
	s_and_saveexec_b64 s[4:5], vcc
	s_cbranch_execz .LBB58_271
; %bb.270:
	v_accvgpr_read_b32 v0, a128
	buffer_load_dword v2, v0, s[0:3], 0 offen
	buffer_load_dword v3, v0, s[0:3], 0 offen offset:4
	buffer_load_dword v4, v0, s[0:3], 0 offen offset:8
	;; [unrolled: 1-line block ×3, first 2 shown]
	v_accvgpr_read_b32 v0, a177
	buffer_store_dword v82, off, s[0:3], 0 offset:784
	buffer_store_dword v82, off, s[0:3], 0 offset:788
	;; [unrolled: 1-line block ×4, first 2 shown]
	s_waitcnt vmcnt(4)
	ds_write_b128 v0, v[2:5]
.LBB58_271:
	s_or_b64 exec, exec, s[4:5]
	s_waitcnt lgkmcnt(0)
	; wave barrier
	s_waitcnt lgkmcnt(0)
	ds_read_b128 v[18:21], v82 offset:1728
	ds_read_b128 v[10:13], v82 offset:1744
	;; [unrolled: 1-line block ×4, first 2 shown]
	buffer_load_dword v44, off, s[0:3], 0 offset:784
	buffer_load_dword v45, off, s[0:3], 0 offset:788
	;; [unrolled: 1-line block ×20, first 2 shown]
	v_cmp_lt_u32_e32 vcc, 47, v228
	s_waitcnt vmcnt(12) lgkmcnt(3)
	v_mul_f64 v[14:15], v[18:19], v[62:63]
	v_fmac_f64_e32 v[14:15], v[20:21], v[58:59]
	v_add_f64 v[14:15], v[14:15], 0
	v_mul_f64 v[20:21], v[20:21], v[62:63]
	s_waitcnt vmcnt(8) lgkmcnt(2)
	v_mul_f64 v[16:17], v[10:11], v[60:61]
	v_fmac_f64_e32 v[16:17], v[12:13], v[56:57]
	v_add_f64 v[14:15], v[14:15], v[16:17]
	v_fma_f64 v[18:19], v[18:19], v[58:59], -v[20:21]
	s_waitcnt vmcnt(4) lgkmcnt(1)
	v_mul_f64 v[16:17], v[6:7], v[48:49]
	v_fmac_f64_e32 v[16:17], v[8:9], v[46:47]
	v_add_f64 v[14:15], v[14:15], v[16:17]
	s_waitcnt vmcnt(0) lgkmcnt(0)
	v_mul_f64 v[16:17], v[2:3], v[52:53]
	v_fmac_f64_e32 v[16:17], v[4:5], v[50:51]
	v_add_f64 v[22:23], v[14:15], v[16:17]
	ds_read_b128 v[14:17], v82 offset:1792
	buffer_load_dword v55, off, s[0:3], 0 offset:868
	buffer_load_dword v54, off, s[0:3], 0 offset:864
	;; [unrolled: 1-line block ×4, first 2 shown]
	v_mul_f64 v[12:13], v[12:13], v[60:61]
	v_add_f64 v[18:19], v[18:19], 0
	v_fma_f64 v[10:11], v[10:11], v[56:57], -v[12:13]
	v_mul_f64 v[8:9], v[8:9], v[48:49]
	v_add_f64 v[10:11], v[18:19], v[10:11]
	v_fma_f64 v[6:7], v[6:7], v[46:47], -v[8:9]
	v_mul_f64 v[4:5], v[4:5], v[52:53]
	v_add_f64 v[6:7], v[10:11], v[6:7]
	v_fma_f64 v[2:3], v[2:3], v[50:51], -v[4:5]
	v_add_f64 v[2:3], v[6:7], v[2:3]
	s_waitcnt vmcnt(0) lgkmcnt(0)
	v_mul_f64 v[24:25], v[14:15], v[64:65]
	v_fmac_f64_e32 v[24:25], v[16:17], v[54:55]
	v_add_f64 v[26:27], v[22:23], v[24:25]
	ds_read_b128 v[22:25], v82 offset:1808
	buffer_load_dword v67, off, s[0:3], 0 offset:884
	buffer_load_dword v66, off, s[0:3], 0 offset:880
	buffer_load_dword v69, off, s[0:3], 0 offset:892
	buffer_load_dword v68, off, s[0:3], 0 offset:888
	v_mul_f64 v[4:5], v[16:17], v[64:65]
	v_fma_f64 v[4:5], v[14:15], v[54:55], -v[4:5]
	v_add_f64 v[2:3], v[2:3], v[4:5]
	s_waitcnt vmcnt(0) lgkmcnt(0)
	v_mul_f64 v[28:29], v[22:23], v[68:69]
	v_fmac_f64_e32 v[28:29], v[24:25], v[66:67]
	v_add_f64 v[30:31], v[26:27], v[28:29]
	ds_read_b128 v[26:29], v82 offset:1824
	buffer_load_dword v71, off, s[0:3], 0 offset:900
	buffer_load_dword v70, off, s[0:3], 0 offset:896
	buffer_load_dword v73, off, s[0:3], 0 offset:908
	buffer_load_dword v72, off, s[0:3], 0 offset:904
	v_mul_f64 v[4:5], v[24:25], v[68:69]
	v_fma_f64 v[4:5], v[22:23], v[66:67], -v[4:5]
	;; [unrolled: 12-line block ×5, first 2 shown]
	v_add_f64 v[2:3], v[2:3], v[4:5]
	s_waitcnt vmcnt(0) lgkmcnt(0)
	v_mul_f64 v[4:5], v[40:41], v[86:87]
	v_mul_f64 v[88:89], v[38:39], v[86:87]
	v_fma_f64 v[4:5], v[38:39], v[82:83], -v[4:5]
	v_fmac_f64_e32 v[88:89], v[40:41], v[82:83]
	v_add_f64 v[2:3], v[2:3], v[4:5]
	v_add_f64 v[84:85], v[84:85], v[88:89]
	v_add_f64 v[2:3], v[44:45], -v[2:3]
	v_add_f64 v[4:5], v[42:43], -v[84:85]
	buffer_store_dword v3, off, s[0:3], 0 offset:788
	buffer_store_dword v2, off, s[0:3], 0 offset:784
	;; [unrolled: 1-line block ×4, first 2 shown]
	s_and_saveexec_b64 s[4:5], vcc
	s_cbranch_execz .LBB58_273
; %bb.272:
	v_accvgpr_read_b32 v0, a129
	buffer_load_dword v2, v0, s[0:3], 0 offen
	buffer_load_dword v3, v0, s[0:3], 0 offen offset:4
	buffer_load_dword v4, v0, s[0:3], 0 offen offset:8
	;; [unrolled: 1-line block ×3, first 2 shown]
	v_mov_b32_e32 v0, 0
	v_accvgpr_read_b32 v1, a177
	buffer_store_dword v0, off, s[0:3], 0 offset:768
	buffer_store_dword v0, off, s[0:3], 0 offset:772
	;; [unrolled: 1-line block ×4, first 2 shown]
	s_waitcnt vmcnt(4)
	ds_write_b128 v1, v[2:5]
.LBB58_273:
	s_or_b64 exec, exec, s[4:5]
	v_mov_b32_e32 v96, 0
	s_waitcnt lgkmcnt(0)
	; wave barrier
	s_waitcnt lgkmcnt(0)
	ds_read_b128 v[14:17], v96 offset:1712
	ds_read_b128 v[10:13], v96 offset:1728
	;; [unrolled: 1-line block ×4, first 2 shown]
	buffer_load_dword v48, off, s[0:3], 0 offset:768
	buffer_load_dword v49, off, s[0:3], 0 offset:772
	;; [unrolled: 1-line block ×20, first 2 shown]
	v_cmp_lt_u32_e32 vcc, 46, v228
	s_waitcnt vmcnt(12) lgkmcnt(3)
	v_mul_f64 v[18:19], v[14:15], v[56:57]
	v_fmac_f64_e32 v[18:19], v[16:17], v[50:51]
	v_add_f64 v[18:19], v[18:19], 0
	v_mul_f64 v[16:17], v[16:17], v[56:57]
	s_waitcnt vmcnt(8) lgkmcnt(2)
	v_mul_f64 v[20:21], v[10:11], v[58:59]
	v_fmac_f64_e32 v[20:21], v[12:13], v[52:53]
	v_add_f64 v[18:19], v[18:19], v[20:21]
	v_fma_f64 v[14:15], v[14:15], v[50:51], -v[16:17]
	s_waitcnt vmcnt(4) lgkmcnt(1)
	v_mul_f64 v[20:21], v[6:7], v[60:61]
	v_fmac_f64_e32 v[20:21], v[8:9], v[54:55]
	v_add_f64 v[18:19], v[18:19], v[20:21]
	s_waitcnt vmcnt(0) lgkmcnt(0)
	v_mul_f64 v[20:21], v[2:3], v[64:65]
	v_fmac_f64_e32 v[20:21], v[4:5], v[62:63]
	v_add_f64 v[22:23], v[18:19], v[20:21]
	ds_read_b128 v[18:21], v96 offset:1776
	buffer_load_dword v67, off, s[0:3], 0 offset:852
	buffer_load_dword v66, off, s[0:3], 0 offset:848
	;; [unrolled: 1-line block ×4, first 2 shown]
	v_mul_f64 v[12:13], v[12:13], v[58:59]
	v_add_f64 v[14:15], v[14:15], 0
	v_fma_f64 v[10:11], v[10:11], v[52:53], -v[12:13]
	v_mul_f64 v[8:9], v[8:9], v[60:61]
	v_add_f64 v[10:11], v[14:15], v[10:11]
	v_fma_f64 v[6:7], v[6:7], v[54:55], -v[8:9]
	;; [unrolled: 3-line block ×3, first 2 shown]
	v_add_f64 v[2:3], v[6:7], v[2:3]
	s_waitcnt vmcnt(0) lgkmcnt(0)
	v_mul_f64 v[24:25], v[18:19], v[68:69]
	v_fmac_f64_e32 v[24:25], v[20:21], v[66:67]
	v_add_f64 v[26:27], v[22:23], v[24:25]
	ds_read_b128 v[22:25], v96 offset:1792
	buffer_load_dword v71, off, s[0:3], 0 offset:868
	buffer_load_dword v70, off, s[0:3], 0 offset:864
	buffer_load_dword v73, off, s[0:3], 0 offset:876
	buffer_load_dword v72, off, s[0:3], 0 offset:872
	v_mul_f64 v[4:5], v[20:21], v[68:69]
	v_fma_f64 v[4:5], v[18:19], v[66:67], -v[4:5]
	v_add_f64 v[2:3], v[2:3], v[4:5]
	s_waitcnt vmcnt(0) lgkmcnt(0)
	v_mul_f64 v[28:29], v[22:23], v[72:73]
	v_fmac_f64_e32 v[28:29], v[24:25], v[70:71]
	v_add_f64 v[30:31], v[26:27], v[28:29]
	ds_read_b128 v[26:29], v96 offset:1808
	buffer_load_dword v75, off, s[0:3], 0 offset:884
	buffer_load_dword v74, off, s[0:3], 0 offset:880
	buffer_load_dword v77, off, s[0:3], 0 offset:892
	buffer_load_dword v76, off, s[0:3], 0 offset:888
	v_mul_f64 v[4:5], v[24:25], v[72:73]
	v_fma_f64 v[4:5], v[22:23], v[70:71], -v[4:5]
	;; [unrolled: 12-line block ×6, first 2 shown]
	v_add_f64 v[2:3], v[2:3], v[4:5]
	s_waitcnt vmcnt(0) lgkmcnt(0)
	v_mul_f64 v[4:5], v[44:45], v[92:93]
	v_mul_f64 v[98:99], v[42:43], v[92:93]
	v_fma_f64 v[4:5], v[42:43], v[90:91], -v[4:5]
	v_fmac_f64_e32 v[98:99], v[44:45], v[90:91]
	v_add_f64 v[2:3], v[2:3], v[4:5]
	v_add_f64 v[94:95], v[94:95], v[98:99]
	v_add_f64 v[2:3], v[48:49], -v[2:3]
	v_add_f64 v[4:5], v[46:47], -v[94:95]
	buffer_store_dword v3, off, s[0:3], 0 offset:772
	buffer_store_dword v2, off, s[0:3], 0 offset:768
	;; [unrolled: 1-line block ×4, first 2 shown]
	s_and_saveexec_b64 s[4:5], vcc
	s_cbranch_execz .LBB58_275
; %bb.274:
	v_accvgpr_read_b32 v0, a130
	buffer_load_dword v2, v0, s[0:3], 0 offen
	buffer_load_dword v3, v0, s[0:3], 0 offen offset:4
	buffer_load_dword v4, v0, s[0:3], 0 offen offset:8
	;; [unrolled: 1-line block ×3, first 2 shown]
	v_accvgpr_read_b32 v0, a177
	buffer_store_dword v96, off, s[0:3], 0 offset:752
	buffer_store_dword v96, off, s[0:3], 0 offset:756
	;; [unrolled: 1-line block ×4, first 2 shown]
	s_waitcnt vmcnt(4)
	ds_write_b128 v0, v[2:5]
.LBB58_275:
	s_or_b64 exec, exec, s[4:5]
	s_waitcnt lgkmcnt(0)
	; wave barrier
	s_waitcnt lgkmcnt(0)
	ds_read_b128 v[14:17], v96 offset:1696
	ds_read_b128 v[10:13], v96 offset:1712
	;; [unrolled: 1-line block ×4, first 2 shown]
	buffer_load_dword v48, off, s[0:3], 0 offset:752
	buffer_load_dword v49, off, s[0:3], 0 offset:756
	;; [unrolled: 1-line block ×20, first 2 shown]
	v_cmp_lt_u32_e32 vcc, 45, v228
	s_waitcnt vmcnt(12) lgkmcnt(3)
	v_mul_f64 v[18:19], v[14:15], v[56:57]
	v_fmac_f64_e32 v[18:19], v[16:17], v[50:51]
	v_add_f64 v[18:19], v[18:19], 0
	v_mul_f64 v[16:17], v[16:17], v[56:57]
	s_waitcnt vmcnt(8) lgkmcnt(2)
	v_mul_f64 v[20:21], v[10:11], v[58:59]
	v_fmac_f64_e32 v[20:21], v[12:13], v[52:53]
	v_add_f64 v[18:19], v[18:19], v[20:21]
	v_fma_f64 v[14:15], v[14:15], v[50:51], -v[16:17]
	s_waitcnt vmcnt(4) lgkmcnt(1)
	v_mul_f64 v[20:21], v[6:7], v[60:61]
	v_fmac_f64_e32 v[20:21], v[8:9], v[54:55]
	v_add_f64 v[18:19], v[18:19], v[20:21]
	s_waitcnt vmcnt(0) lgkmcnt(0)
	v_mul_f64 v[20:21], v[2:3], v[64:65]
	v_fmac_f64_e32 v[20:21], v[4:5], v[62:63]
	v_add_f64 v[22:23], v[18:19], v[20:21]
	ds_read_b128 v[18:21], v96 offset:1760
	buffer_load_dword v67, off, s[0:3], 0 offset:836
	buffer_load_dword v66, off, s[0:3], 0 offset:832
	;; [unrolled: 1-line block ×4, first 2 shown]
	v_mul_f64 v[12:13], v[12:13], v[58:59]
	v_add_f64 v[14:15], v[14:15], 0
	v_fma_f64 v[10:11], v[10:11], v[52:53], -v[12:13]
	v_mul_f64 v[8:9], v[8:9], v[60:61]
	v_add_f64 v[10:11], v[14:15], v[10:11]
	v_fma_f64 v[6:7], v[6:7], v[54:55], -v[8:9]
	;; [unrolled: 3-line block ×3, first 2 shown]
	v_add_f64 v[2:3], v[6:7], v[2:3]
	s_waitcnt vmcnt(0) lgkmcnt(0)
	v_mul_f64 v[24:25], v[18:19], v[68:69]
	v_fmac_f64_e32 v[24:25], v[20:21], v[66:67]
	v_add_f64 v[26:27], v[22:23], v[24:25]
	ds_read_b128 v[22:25], v96 offset:1776
	buffer_load_dword v71, off, s[0:3], 0 offset:852
	buffer_load_dword v70, off, s[0:3], 0 offset:848
	buffer_load_dword v73, off, s[0:3], 0 offset:860
	buffer_load_dword v72, off, s[0:3], 0 offset:856
	v_mul_f64 v[4:5], v[20:21], v[68:69]
	v_fma_f64 v[4:5], v[18:19], v[66:67], -v[4:5]
	v_add_f64 v[2:3], v[2:3], v[4:5]
	s_waitcnt vmcnt(0) lgkmcnt(0)
	v_mul_f64 v[28:29], v[22:23], v[72:73]
	v_fmac_f64_e32 v[28:29], v[24:25], v[70:71]
	v_add_f64 v[30:31], v[26:27], v[28:29]
	ds_read_b128 v[26:29], v96 offset:1792
	buffer_load_dword v75, off, s[0:3], 0 offset:868
	buffer_load_dword v74, off, s[0:3], 0 offset:864
	buffer_load_dword v77, off, s[0:3], 0 offset:876
	buffer_load_dword v76, off, s[0:3], 0 offset:872
	v_mul_f64 v[4:5], v[24:25], v[72:73]
	v_fma_f64 v[4:5], v[22:23], v[70:71], -v[4:5]
	;; [unrolled: 12-line block ×7, first 2 shown]
	v_add_f64 v[2:3], v[2:3], v[4:5]
	s_waitcnt vmcnt(0) lgkmcnt(0)
	v_mul_f64 v[4:5], v[96:97], v[102:103]
	v_mul_f64 v[104:105], v[94:95], v[102:103]
	v_fma_f64 v[4:5], v[94:95], v[100:101], -v[4:5]
	v_fmac_f64_e32 v[104:105], v[96:97], v[100:101]
	v_add_f64 v[2:3], v[2:3], v[4:5]
	v_add_f64 v[98:99], v[98:99], v[104:105]
	v_add_f64 v[2:3], v[48:49], -v[2:3]
	v_add_f64 v[4:5], v[46:47], -v[98:99]
	buffer_store_dword v3, off, s[0:3], 0 offset:756
	buffer_store_dword v2, off, s[0:3], 0 offset:752
	buffer_store_dword v5, off, s[0:3], 0 offset:764
	buffer_store_dword v4, off, s[0:3], 0 offset:760
	s_and_saveexec_b64 s[4:5], vcc
	s_cbranch_execz .LBB58_277
; %bb.276:
	v_accvgpr_read_b32 v0, a131
	buffer_load_dword v2, v0, s[0:3], 0 offen
	buffer_load_dword v3, v0, s[0:3], 0 offen offset:4
	buffer_load_dword v4, v0, s[0:3], 0 offen offset:8
	;; [unrolled: 1-line block ×3, first 2 shown]
	v_mov_b32_e32 v0, 0
	v_accvgpr_read_b32 v1, a177
	buffer_store_dword v0, off, s[0:3], 0 offset:736
	buffer_store_dword v0, off, s[0:3], 0 offset:740
	;; [unrolled: 1-line block ×4, first 2 shown]
	s_waitcnt vmcnt(4)
	ds_write_b128 v1, v[2:5]
.LBB58_277:
	s_or_b64 exec, exec, s[4:5]
	s_waitcnt lgkmcnt(0)
	; wave barrier
	s_waitcnt lgkmcnt(0)
	buffer_load_dword v2, off, s[0:3], 0 offset:752
	buffer_load_dword v3, off, s[0:3], 0 offset:756
	;; [unrolled: 1-line block ×56, first 2 shown]
	v_mov_b32_e32 v30, 0
	ds_read_b128 v[32:35], v30 offset:1680
	ds_read_b128 v[36:39], v30 offset:1696
	;; [unrolled: 1-line block ×9, first 2 shown]
	v_cmp_lt_u32_e32 vcc, 44, v228
	s_waitcnt vmcnt(52) lgkmcnt(8)
	v_mul_f64 v[64:65], v[32:33], v[6:7]
	v_fmac_f64_e32 v[64:65], v[34:35], v[2:3]
	v_mul_f64 v[6:7], v[34:35], v[6:7]
	v_add_f64 v[64:65], v[64:65], 0
	s_waitcnt vmcnt(48) lgkmcnt(7)
	v_mul_f64 v[66:67], v[36:37], v[8:9]
	v_fmac_f64_e32 v[66:67], v[38:39], v[4:5]
	s_waitcnt vmcnt(46) lgkmcnt(6)
	v_mul_f64 v[68:69], v[40:41], v[10:11]
	v_fma_f64 v[2:3], v[32:33], v[2:3], -v[6:7]
	v_mul_f64 v[6:7], v[38:39], v[8:9]
	s_waitcnt vmcnt(44) lgkmcnt(5)
	v_mul_f64 v[70:71], v[44:45], v[12:13]
	v_add_f64 v[64:65], v[64:65], v[66:67]
	v_add_f64 v[2:3], v[2:3], 0
	v_fma_f64 v[4:5], v[36:37], v[4:5], -v[6:7]
	v_add_f64 v[2:3], v[2:3], v[4:5]
	v_mul_f64 v[4:5], v[42:43], v[10:11]
	s_waitcnt vmcnt(37) lgkmcnt(4)
	v_mul_f64 v[72:73], v[48:49], v[20:21]
	s_waitcnt lgkmcnt(3)
	v_mul_f64 v[74:75], v[52:53], v[18:19]
	s_waitcnt vmcnt(35)
	v_fmac_f64_e32 v[72:73], v[50:51], v[22:23]
	s_waitcnt lgkmcnt(2)
	v_mul_f64 v[76:77], v[56:57], v[14:15]
	s_waitcnt vmcnt(33)
	v_fmac_f64_e32 v[68:69], v[42:43], v[28:29]
	v_add_f64 v[64:65], v[64:65], v[68:69]
	s_waitcnt vmcnt(31)
	v_fmac_f64_e32 v[70:71], v[46:47], v[26:27]
	v_add_f64 v[64:65], v[64:65], v[70:71]
	v_fma_f64 v[4:5], v[40:41], v[28:29], -v[4:5]
	s_waitcnt vmcnt(29)
	v_fmac_f64_e32 v[74:75], v[54:55], v[24:25]
	v_add_f64 v[64:65], v[64:65], v[72:73]
	v_add_f64 v[2:3], v[2:3], v[4:5]
	v_mul_f64 v[4:5], v[46:47], v[12:13]
	s_waitcnt vmcnt(28)
	v_fmac_f64_e32 v[76:77], v[58:59], v[16:17]
	v_add_f64 v[64:65], v[64:65], v[74:75]
	v_fma_f64 v[4:5], v[44:45], v[26:27], -v[4:5]
	v_add_f64 v[68:69], v[64:65], v[76:77]
	ds_read_b128 v[64:67], v30 offset:1808
	s_waitcnt vmcnt(24) lgkmcnt(2)
	v_mul_f64 v[70:71], v[60:61], v[88:89]
	v_add_f64 v[2:3], v[2:3], v[4:5]
	v_mul_f64 v[4:5], v[50:51], v[20:21]
	s_waitcnt vmcnt(22)
	v_fmac_f64_e32 v[70:71], v[62:63], v[90:91]
	v_fma_f64 v[4:5], v[48:49], v[22:23], -v[4:5]
	v_add_f64 v[72:73], v[68:69], v[70:71]
	ds_read_b128 v[68:71], v30 offset:1824
	v_add_f64 v[2:3], v[2:3], v[4:5]
	v_mul_f64 v[4:5], v[54:55], v[18:19]
	v_fma_f64 v[4:5], v[52:53], v[24:25], -v[4:5]
	v_add_f64 v[2:3], v[2:3], v[4:5]
	v_mul_f64 v[4:5], v[58:59], v[14:15]
	s_waitcnt vmcnt(21) lgkmcnt(1)
	v_mul_f64 v[74:75], v[64:65], v[84:85]
	v_fma_f64 v[4:5], v[56:57], v[16:17], -v[4:5]
	s_waitcnt vmcnt(20)
	v_fmac_f64_e32 v[74:75], v[66:67], v[86:87]
	v_add_f64 v[2:3], v[2:3], v[4:5]
	v_mul_f64 v[4:5], v[62:63], v[88:89]
	v_add_f64 v[76:77], v[72:73], v[74:75]
	ds_read_b128 v[72:75], v30 offset:1840
	s_waitcnt vmcnt(16) lgkmcnt(1)
	v_mul_f64 v[78:79], v[68:69], v[96:97]
	v_fma_f64 v[4:5], v[60:61], v[90:91], -v[4:5]
	s_waitcnt vmcnt(14)
	v_fmac_f64_e32 v[78:79], v[70:71], v[98:99]
	v_add_f64 v[2:3], v[2:3], v[4:5]
	v_mul_f64 v[4:5], v[66:67], v[84:85]
	v_add_f64 v[112:113], v[76:77], v[78:79]
	ds_read_b128 v[76:79], v30 offset:1856
	v_fma_f64 v[4:5], v[64:65], v[86:87], -v[4:5]
	v_add_f64 v[2:3], v[2:3], v[4:5]
	v_mul_f64 v[4:5], v[70:71], v[96:97]
	v_fma_f64 v[4:5], v[68:69], v[98:99], -v[4:5]
	v_add_f64 v[2:3], v[2:3], v[4:5]
	s_waitcnt vmcnt(13) lgkmcnt(1)
	v_mul_f64 v[4:5], v[74:75], v[92:93]
	v_mul_f64 v[114:115], v[72:73], v[92:93]
	s_waitcnt vmcnt(12)
	v_fma_f64 v[4:5], v[72:73], v[94:95], -v[4:5]
	v_fmac_f64_e32 v[114:115], v[74:75], v[94:95]
	v_add_f64 v[2:3], v[2:3], v[4:5]
	s_waitcnt vmcnt(8) lgkmcnt(0)
	v_mul_f64 v[4:5], v[78:79], v[104:105]
	v_add_f64 v[112:113], v[112:113], v[114:115]
	v_mul_f64 v[114:115], v[76:77], v[104:105]
	s_waitcnt vmcnt(6)
	v_fma_f64 v[4:5], v[76:77], v[106:107], -v[4:5]
	v_fmac_f64_e32 v[114:115], v[78:79], v[106:107]
	v_add_f64 v[2:3], v[2:3], v[4:5]
	s_waitcnt vmcnt(5)
	v_mul_f64 v[4:5], v[82:83], v[100:101]
	v_add_f64 v[112:113], v[112:113], v[114:115]
	v_mul_f64 v[114:115], v[80:81], v[100:101]
	s_waitcnt vmcnt(4)
	v_fma_f64 v[4:5], v[80:81], v[102:103], -v[4:5]
	v_fmac_f64_e32 v[114:115], v[82:83], v[102:103]
	v_add_f64 v[2:3], v[2:3], v[4:5]
	v_add_f64 v[112:113], v[112:113], v[114:115]
	s_waitcnt vmcnt(2)
	v_add_f64 v[2:3], v[108:109], -v[2:3]
	s_waitcnt vmcnt(0)
	v_add_f64 v[4:5], v[110:111], -v[112:113]
	buffer_store_dword v3, off, s[0:3], 0 offset:740
	buffer_store_dword v2, off, s[0:3], 0 offset:736
	;; [unrolled: 1-line block ×4, first 2 shown]
	s_and_saveexec_b64 s[4:5], vcc
	s_cbranch_execz .LBB58_279
; %bb.278:
	v_accvgpr_read_b32 v0, a132
	buffer_load_dword v2, v0, s[0:3], 0 offen
	buffer_load_dword v3, v0, s[0:3], 0 offen offset:4
	buffer_load_dword v4, v0, s[0:3], 0 offen offset:8
	;; [unrolled: 1-line block ×3, first 2 shown]
	v_accvgpr_read_b32 v0, a177
	buffer_store_dword v30, off, s[0:3], 0 offset:720
	buffer_store_dword v30, off, s[0:3], 0 offset:724
	;; [unrolled: 1-line block ×4, first 2 shown]
	s_waitcnt vmcnt(4)
	ds_write_b128 v0, v[2:5]
.LBB58_279:
	s_or_b64 exec, exec, s[4:5]
	s_waitcnt lgkmcnt(0)
	; wave barrier
	s_waitcnt lgkmcnt(0)
	buffer_load_dword v2, off, s[0:3], 0 offset:736
	buffer_load_dword v3, off, s[0:3], 0 offset:740
	;; [unrolled: 1-line block ×60, first 2 shown]
	ds_read_b128 v[32:35], v30 offset:1664
	ds_read_b128 v[36:39], v30 offset:1680
	ds_read_b128 v[40:43], v30 offset:1696
	ds_read_b128 v[44:47], v30 offset:1712
	ds_read_b128 v[48:51], v30 offset:1728
	ds_read_b128 v[52:55], v30 offset:1744
	ds_read_b128 v[56:59], v30 offset:1760
	ds_read_b128 v[60:63], v30 offset:1776
	v_cmp_lt_u32_e32 vcc, 43, v228
	ds_read_b128 v[84:87], v30 offset:1872
	s_waitcnt vmcnt(56) lgkmcnt(8)
	v_mul_f64 v[64:65], v[32:33], v[6:7]
	v_fmac_f64_e32 v[64:65], v[34:35], v[2:3]
	v_add_f64 v[64:65], v[64:65], 0
	v_mul_f64 v[6:7], v[34:35], v[6:7]
	s_waitcnt vmcnt(52) lgkmcnt(7)
	v_mul_f64 v[66:67], v[36:37], v[8:9]
	v_fmac_f64_e32 v[66:67], v[38:39], v[4:5]
	s_waitcnt vmcnt(50) lgkmcnt(6)
	v_mul_f64 v[68:69], v[40:41], v[10:11]
	v_add_f64 v[64:65], v[64:65], v[66:67]
	s_waitcnt vmcnt(48) lgkmcnt(4)
	v_mul_f64 v[72:73], v[48:49], v[12:13]
	v_fma_f64 v[2:3], v[32:33], v[2:3], -v[6:7]
	s_waitcnt vmcnt(46)
	v_fmac_f64_e32 v[72:73], v[50:51], v[14:15]
	v_mul_f64 v[6:7], v[38:39], v[8:9]
	s_waitcnt vmcnt(44)
	v_mul_f64 v[70:71], v[44:45], v[16:17]
	v_add_f64 v[2:3], v[2:3], 0
	v_fma_f64 v[4:5], v[36:37], v[4:5], -v[6:7]
	v_add_f64 v[2:3], v[2:3], v[4:5]
	s_waitcnt vmcnt(40) lgkmcnt(3)
	v_mul_f64 v[74:75], v[52:53], v[22:23]
	v_mul_f64 v[4:5], v[42:43], v[10:11]
	s_waitcnt vmcnt(38)
	v_fmac_f64_e32 v[68:69], v[42:43], v[28:29]
	v_add_f64 v[64:65], v[64:65], v[68:69]
	s_waitcnt vmcnt(36)
	v_fmac_f64_e32 v[70:71], v[46:47], v[26:27]
	v_add_f64 v[64:65], v[64:65], v[70:71]
	;; [unrolled: 3-line block ×3, first 2 shown]
	s_waitcnt vmcnt(33) lgkmcnt(2)
	v_mul_f64 v[66:67], v[56:57], v[18:19]
	v_add_f64 v[64:65], v[64:65], v[74:75]
	s_waitcnt vmcnt(32)
	v_fmac_f64_e32 v[66:67], v[58:59], v[20:21]
	v_add_f64 v[68:69], v[64:65], v[66:67]
	ds_read_b128 v[64:67], v30 offset:1792
	v_fma_f64 v[4:5], v[40:41], v[28:29], -v[4:5]
	v_add_f64 v[2:3], v[2:3], v[4:5]
	v_mul_f64 v[4:5], v[46:47], v[16:17]
	v_fma_f64 v[4:5], v[44:45], v[26:27], -v[4:5]
	s_waitcnt vmcnt(28) lgkmcnt(2)
	v_mul_f64 v[70:71], v[60:61], v[92:93]
	v_add_f64 v[2:3], v[2:3], v[4:5]
	v_mul_f64 v[4:5], v[50:51], v[12:13]
	s_waitcnt vmcnt(26)
	v_fmac_f64_e32 v[70:71], v[62:63], v[94:95]
	v_fma_f64 v[4:5], v[48:49], v[14:15], -v[4:5]
	v_add_f64 v[72:73], v[68:69], v[70:71]
	ds_read_b128 v[68:71], v30 offset:1808
	s_waitcnt vmcnt(25) lgkmcnt(1)
	v_mul_f64 v[74:75], v[64:65], v[88:89]
	v_add_f64 v[2:3], v[2:3], v[4:5]
	v_mul_f64 v[4:5], v[54:55], v[22:23]
	s_waitcnt vmcnt(24)
	v_fmac_f64_e32 v[74:75], v[66:67], v[90:91]
	v_fma_f64 v[4:5], v[52:53], v[24:25], -v[4:5]
	v_add_f64 v[76:77], v[72:73], v[74:75]
	ds_read_b128 v[72:75], v30 offset:1824
	v_add_f64 v[2:3], v[2:3], v[4:5]
	v_mul_f64 v[4:5], v[58:59], v[18:19]
	v_fma_f64 v[4:5], v[56:57], v[20:21], -v[4:5]
	v_add_f64 v[2:3], v[2:3], v[4:5]
	v_mul_f64 v[4:5], v[62:63], v[92:93]
	s_waitcnt vmcnt(20) lgkmcnt(1)
	v_mul_f64 v[78:79], v[68:69], v[100:101]
	v_fma_f64 v[4:5], v[60:61], v[94:95], -v[4:5]
	s_waitcnt vmcnt(18)
	v_fmac_f64_e32 v[78:79], v[70:71], v[102:103]
	v_add_f64 v[2:3], v[2:3], v[4:5]
	v_mul_f64 v[4:5], v[66:67], v[88:89]
	v_add_f64 v[80:81], v[76:77], v[78:79]
	ds_read_b128 v[76:79], v30 offset:1840
	s_waitcnt vmcnt(17) lgkmcnt(1)
	v_mul_f64 v[82:83], v[72:73], v[96:97]
	v_fma_f64 v[4:5], v[64:65], v[90:91], -v[4:5]
	s_waitcnt vmcnt(16)
	v_fmac_f64_e32 v[82:83], v[74:75], v[98:99]
	v_add_f64 v[2:3], v[2:3], v[4:5]
	v_mul_f64 v[4:5], v[70:71], v[100:101]
	v_add_f64 v[120:121], v[80:81], v[82:83]
	ds_read_b128 v[80:83], v30 offset:1856
	v_fma_f64 v[4:5], v[68:69], v[102:103], -v[4:5]
	v_add_f64 v[2:3], v[2:3], v[4:5]
	v_mul_f64 v[4:5], v[74:75], v[96:97]
	v_fma_f64 v[4:5], v[72:73], v[98:99], -v[4:5]
	v_add_f64 v[2:3], v[2:3], v[4:5]
	s_waitcnt vmcnt(12) lgkmcnt(1)
	v_mul_f64 v[4:5], v[78:79], v[108:109]
	v_mul_f64 v[122:123], v[76:77], v[108:109]
	s_waitcnt vmcnt(10)
	v_fma_f64 v[4:5], v[76:77], v[110:111], -v[4:5]
	v_fmac_f64_e32 v[122:123], v[78:79], v[110:111]
	v_add_f64 v[2:3], v[2:3], v[4:5]
	s_waitcnt vmcnt(9) lgkmcnt(0)
	v_mul_f64 v[4:5], v[82:83], v[104:105]
	v_add_f64 v[30:31], v[120:121], v[122:123]
	v_mul_f64 v[120:121], v[80:81], v[104:105]
	s_waitcnt vmcnt(8)
	v_fma_f64 v[4:5], v[80:81], v[106:107], -v[4:5]
	v_fmac_f64_e32 v[120:121], v[82:83], v[106:107]
	v_add_f64 v[2:3], v[2:3], v[4:5]
	s_waitcnt vmcnt(6)
	v_mul_f64 v[4:5], v[86:87], v[112:113]
	v_add_f64 v[30:31], v[30:31], v[120:121]
	v_mul_f64 v[120:121], v[84:85], v[112:113]
	s_waitcnt vmcnt(4)
	v_fma_f64 v[4:5], v[84:85], v[114:115], -v[4:5]
	v_fmac_f64_e32 v[120:121], v[86:87], v[114:115]
	v_add_f64 v[2:3], v[2:3], v[4:5]
	v_add_f64 v[30:31], v[30:31], v[120:121]
	s_waitcnt vmcnt(2)
	v_add_f64 v[2:3], v[116:117], -v[2:3]
	s_waitcnt vmcnt(0)
	v_add_f64 v[4:5], v[118:119], -v[30:31]
	buffer_store_dword v3, off, s[0:3], 0 offset:724
	buffer_store_dword v2, off, s[0:3], 0 offset:720
	;; [unrolled: 1-line block ×4, first 2 shown]
	s_and_saveexec_b64 s[4:5], vcc
	s_cbranch_execz .LBB58_281
; %bb.280:
	v_accvgpr_read_b32 v0, a133
	buffer_load_dword v2, v0, s[0:3], 0 offen
	buffer_load_dword v3, v0, s[0:3], 0 offen offset:4
	buffer_load_dword v4, v0, s[0:3], 0 offen offset:8
	;; [unrolled: 1-line block ×3, first 2 shown]
	v_mov_b32_e32 v0, 0
	v_accvgpr_read_b32 v1, a177
	buffer_store_dword v0, off, s[0:3], 0 offset:704
	buffer_store_dword v0, off, s[0:3], 0 offset:708
	;; [unrolled: 1-line block ×4, first 2 shown]
	s_waitcnt vmcnt(4)
	ds_write_b128 v1, v[2:5]
.LBB58_281:
	s_or_b64 exec, exec, s[4:5]
	s_waitcnt lgkmcnt(0)
	; wave barrier
	s_waitcnt lgkmcnt(0)
	buffer_load_dword v2, off, s[0:3], 0 offset:720
	buffer_load_dword v3, off, s[0:3], 0 offset:724
	;; [unrolled: 1-line block ×64, first 2 shown]
	v_mov_b32_e32 v46, 0
	ds_read_b128 v[38:41], v46 offset:1648
	ds_read_b128 v[42:45], v46 offset:1664
	;; [unrolled: 1-line block ×7, first 2 shown]
	v_cmp_lt_u32_e32 vcc, 42, v228
	s_waitcnt vmcnt(60) lgkmcnt(6)
	v_mul_f64 v[64:65], v[38:39], v[4:5]
	v_fmac_f64_e32 v[64:65], v[40:41], v[2:3]
	s_waitcnt vmcnt(58) lgkmcnt(5)
	v_mul_f64 v[66:67], v[42:43], v[6:7]
	v_add_f64 v[64:65], v[64:65], 0
	s_waitcnt vmcnt(56) lgkmcnt(4)
	v_mul_f64 v[68:69], v[48:49], v[8:9]
	v_mul_f64 v[4:5], v[40:41], v[4:5]
	s_waitcnt vmcnt(54) lgkmcnt(2)
	v_mul_f64 v[72:73], v[56:57], v[10:11]
	v_fma_f64 v[2:3], v[38:39], v[2:3], -v[4:5]
	v_mul_f64 v[4:5], v[44:45], v[6:7]
	s_waitcnt vmcnt(51)
	v_mul_f64 v[70:71], v[52:53], v[14:15]
	v_add_f64 v[2:3], v[2:3], 0
	s_waitcnt vmcnt(49)
	v_fmac_f64_e32 v[66:67], v[44:45], v[20:21]
	v_add_f64 v[64:65], v[64:65], v[66:67]
	s_waitcnt vmcnt(47)
	v_fmac_f64_e32 v[68:69], v[50:51], v[18:19]
	;; [unrolled: 3-line block ×4, first 2 shown]
	v_add_f64 v[68:69], v[64:65], v[72:73]
	ds_read_b128 v[64:67], v46 offset:1744
	s_waitcnt vmcnt(40) lgkmcnt(2)
	v_mul_f64 v[70:71], v[60:61], v[26:27]
	v_fma_f64 v[4:5], v[42:43], v[20:21], -v[4:5]
	s_waitcnt vmcnt(38)
	v_fmac_f64_e32 v[70:71], v[62:63], v[28:29]
	v_add_f64 v[72:73], v[68:69], v[70:71]
	ds_read_b128 v[68:71], v46 offset:1760
	s_waitcnt vmcnt(37) lgkmcnt(1)
	v_mul_f64 v[74:75], v[64:65], v[22:23]
	s_waitcnt vmcnt(36)
	v_fmac_f64_e32 v[74:75], v[66:67], v[24:25]
	v_add_f64 v[2:3], v[2:3], v[4:5]
	v_mul_f64 v[4:5], v[50:51], v[8:9]
	v_add_f64 v[76:77], v[72:73], v[74:75]
	ds_read_b128 v[72:75], v46 offset:1776
	s_waitcnt vmcnt(32) lgkmcnt(1)
	v_mul_f64 v[78:79], v[68:69], v[34:35]
	v_fma_f64 v[4:5], v[48:49], v[18:19], -v[4:5]
	s_waitcnt vmcnt(30)
	v_fmac_f64_e32 v[78:79], v[70:71], v[36:37]
	v_add_f64 v[2:3], v[2:3], v[4:5]
	v_mul_f64 v[4:5], v[54:55], v[14:15]
	v_add_f64 v[80:81], v[76:77], v[78:79]
	ds_read_b128 v[76:79], v46 offset:1792
	v_fma_f64 v[4:5], v[52:53], v[16:17], -v[4:5]
	v_add_f64 v[2:3], v[2:3], v[4:5]
	v_mul_f64 v[4:5], v[58:59], v[10:11]
	v_fma_f64 v[4:5], v[56:57], v[12:13], -v[4:5]
	s_waitcnt vmcnt(29) lgkmcnt(1)
	v_mul_f64 v[82:83], v[72:73], v[30:31]
	v_add_f64 v[2:3], v[2:3], v[4:5]
	v_mul_f64 v[4:5], v[62:63], v[26:27]
	s_waitcnt vmcnt(28)
	v_fmac_f64_e32 v[82:83], v[74:75], v[32:33]
	v_fma_f64 v[4:5], v[60:61], v[28:29], -v[4:5]
	v_add_f64 v[84:85], v[80:81], v[82:83]
	ds_read_b128 v[80:83], v46 offset:1808
	s_waitcnt vmcnt(24) lgkmcnt(1)
	v_mul_f64 v[86:87], v[76:77], v[104:105]
	v_add_f64 v[2:3], v[2:3], v[4:5]
	v_mul_f64 v[4:5], v[66:67], v[22:23]
	s_waitcnt vmcnt(22)
	v_fmac_f64_e32 v[86:87], v[78:79], v[106:107]
	v_fma_f64 v[4:5], v[64:65], v[24:25], -v[4:5]
	v_add_f64 v[88:89], v[84:85], v[86:87]
	ds_read_b128 v[84:87], v46 offset:1824
	v_add_f64 v[2:3], v[2:3], v[4:5]
	v_mul_f64 v[4:5], v[70:71], v[34:35]
	v_fma_f64 v[4:5], v[68:69], v[36:37], -v[4:5]
	v_add_f64 v[2:3], v[2:3], v[4:5]
	v_mul_f64 v[4:5], v[74:75], v[30:31]
	s_waitcnt vmcnt(21) lgkmcnt(1)
	v_mul_f64 v[90:91], v[80:81], v[100:101]
	v_fma_f64 v[4:5], v[72:73], v[32:33], -v[4:5]
	s_waitcnt vmcnt(20)
	v_fmac_f64_e32 v[90:91], v[82:83], v[102:103]
	v_add_f64 v[2:3], v[2:3], v[4:5]
	v_mul_f64 v[4:5], v[78:79], v[104:105]
	v_add_f64 v[92:93], v[88:89], v[90:91]
	ds_read_b128 v[88:91], v46 offset:1840
	s_waitcnt vmcnt(16) lgkmcnt(1)
	v_mul_f64 v[94:95], v[84:85], v[112:113]
	v_fma_f64 v[4:5], v[76:77], v[106:107], -v[4:5]
	s_waitcnt vmcnt(14)
	v_fmac_f64_e32 v[94:95], v[86:87], v[114:115]
	v_add_f64 v[2:3], v[2:3], v[4:5]
	v_mul_f64 v[4:5], v[82:83], v[100:101]
	v_add_f64 v[128:129], v[92:93], v[94:95]
	ds_read_b128 v[92:95], v46 offset:1856
	v_fma_f64 v[4:5], v[80:81], v[102:103], -v[4:5]
	v_add_f64 v[2:3], v[2:3], v[4:5]
	v_mul_f64 v[4:5], v[86:87], v[112:113]
	v_fma_f64 v[4:5], v[84:85], v[114:115], -v[4:5]
	v_add_f64 v[2:3], v[2:3], v[4:5]
	s_waitcnt vmcnt(13) lgkmcnt(1)
	v_mul_f64 v[4:5], v[90:91], v[108:109]
	v_mul_f64 v[130:131], v[88:89], v[108:109]
	s_waitcnt vmcnt(12)
	v_fma_f64 v[4:5], v[88:89], v[110:111], -v[4:5]
	v_fmac_f64_e32 v[130:131], v[90:91], v[110:111]
	v_add_f64 v[2:3], v[2:3], v[4:5]
	s_waitcnt vmcnt(8) lgkmcnt(0)
	v_mul_f64 v[4:5], v[94:95], v[120:121]
	v_add_f64 v[128:129], v[128:129], v[130:131]
	v_mul_f64 v[130:131], v[92:93], v[120:121]
	s_waitcnt vmcnt(6)
	v_fma_f64 v[4:5], v[92:93], v[122:123], -v[4:5]
	v_fmac_f64_e32 v[130:131], v[94:95], v[122:123]
	v_add_f64 v[2:3], v[2:3], v[4:5]
	s_waitcnt vmcnt(5)
	v_mul_f64 v[4:5], v[98:99], v[116:117]
	v_add_f64 v[128:129], v[128:129], v[130:131]
	v_mul_f64 v[130:131], v[96:97], v[116:117]
	s_waitcnt vmcnt(4)
	v_fma_f64 v[4:5], v[96:97], v[118:119], -v[4:5]
	v_fmac_f64_e32 v[130:131], v[98:99], v[118:119]
	v_add_f64 v[2:3], v[2:3], v[4:5]
	v_add_f64 v[128:129], v[128:129], v[130:131]
	s_waitcnt vmcnt(2)
	v_add_f64 v[2:3], v[124:125], -v[2:3]
	s_waitcnt vmcnt(0)
	v_add_f64 v[4:5], v[126:127], -v[128:129]
	buffer_store_dword v3, off, s[0:3], 0 offset:708
	buffer_store_dword v2, off, s[0:3], 0 offset:704
	;; [unrolled: 1-line block ×4, first 2 shown]
	s_and_saveexec_b64 s[4:5], vcc
	s_cbranch_execz .LBB58_283
; %bb.282:
	v_accvgpr_read_b32 v0, a134
	buffer_load_dword v2, v0, s[0:3], 0 offen
	buffer_load_dword v3, v0, s[0:3], 0 offen offset:4
	buffer_load_dword v4, v0, s[0:3], 0 offen offset:8
	;; [unrolled: 1-line block ×3, first 2 shown]
	v_accvgpr_read_b32 v0, a177
	buffer_store_dword v46, off, s[0:3], 0 offset:688
	buffer_store_dword v46, off, s[0:3], 0 offset:692
	;; [unrolled: 1-line block ×4, first 2 shown]
	s_waitcnt vmcnt(4)
	ds_write_b128 v0, v[2:5]
.LBB58_283:
	s_or_b64 exec, exec, s[4:5]
	s_waitcnt lgkmcnt(0)
	; wave barrier
	s_waitcnt lgkmcnt(0)
	buffer_load_dword v2, off, s[0:3], 0 offset:704
	buffer_load_dword v3, off, s[0:3], 0 offset:708
	;; [unrolled: 1-line block ×64, first 2 shown]
	ds_read_b128 v[48:51], v46 offset:1632
	ds_read_b128 v[52:55], v46 offset:1648
	;; [unrolled: 1-line block ×4, first 2 shown]
	buffer_load_dword v132, off, s[0:3], 0 offset:688
	buffer_load_dword v133, off, s[0:3], 0 offset:692
	;; [unrolled: 1-line block ×4, first 2 shown]
	v_cmp_lt_u32_e32 vcc, 41, v228
	ds_read_b128 v[108:111], v46 offset:1872
	s_waitcnt vmcnt(62) lgkmcnt(4)
	v_mul_f64 v[64:65], v[48:49], v[4:5]
	v_fmac_f64_e32 v[64:65], v[50:51], v[2:3]
	v_add_f64 v[64:65], v[64:65], 0
	s_waitcnt lgkmcnt(2)
	v_mul_f64 v[68:69], v[56:57], v[6:7]
	v_mul_f64 v[4:5], v[50:51], v[4:5]
	v_fma_f64 v[2:3], v[48:49], v[2:3], -v[4:5]
	s_waitcnt vmcnt(58) lgkmcnt(1)
	v_mul_f64 v[70:71], v[60:61], v[12:13]
	v_add_f64 v[2:3], v[2:3], 0
	s_waitcnt vmcnt(56)
	v_mul_f64 v[66:67], v[52:53], v[18:19]
	v_mul_f64 v[4:5], v[54:55], v[18:19]
	s_waitcnt vmcnt(53)
	v_fmac_f64_e32 v[68:69], v[58:59], v[16:17]
	s_waitcnt vmcnt(52)
	v_fmac_f64_e32 v[66:67], v[54:55], v[20:21]
	v_add_f64 v[72:73], v[64:65], v[66:67]
	ds_read_b128 v[64:67], v46 offset:1696
	v_add_f64 v[68:69], v[72:73], v[68:69]
	s_waitcnt vmcnt(50)
	v_fmac_f64_e32 v[70:71], v[62:63], v[14:15]
	v_add_f64 v[72:73], v[68:69], v[70:71]
	ds_read_b128 v[68:71], v46 offset:1712
	s_waitcnt vmcnt(49) lgkmcnt(1)
	v_mul_f64 v[74:75], v[64:65], v[8:9]
	s_waitcnt vmcnt(48)
	v_fmac_f64_e32 v[74:75], v[66:67], v[10:11]
	v_add_f64 v[76:77], v[72:73], v[74:75]
	ds_read_b128 v[72:75], v46 offset:1728
	s_waitcnt vmcnt(44) lgkmcnt(1)
	v_mul_f64 v[78:79], v[68:69], v[26:27]
	;; [unrolled: 6-line block ×3, first 2 shown]
	s_waitcnt vmcnt(40)
	v_fmac_f64_e32 v[82:83], v[74:75], v[24:25]
	v_add_f64 v[84:85], v[80:81], v[82:83]
	ds_read_b128 v[80:83], v46 offset:1760
	v_fma_f64 v[4:5], v[52:53], v[20:21], -v[4:5]
	v_add_f64 v[2:3], v[2:3], v[4:5]
	v_mul_f64 v[4:5], v[58:59], v[6:7]
	s_waitcnt vmcnt(36) lgkmcnt(1)
	v_mul_f64 v[86:87], v[76:77], v[34:35]
	v_fma_f64 v[4:5], v[56:57], v[16:17], -v[4:5]
	s_waitcnt vmcnt(34)
	v_fmac_f64_e32 v[86:87], v[78:79], v[36:37]
	v_add_f64 v[2:3], v[2:3], v[4:5]
	v_mul_f64 v[4:5], v[62:63], v[12:13]
	v_add_f64 v[88:89], v[84:85], v[86:87]
	ds_read_b128 v[84:87], v46 offset:1776
	s_waitcnt vmcnt(33) lgkmcnt(1)
	v_mul_f64 v[90:91], v[80:81], v[30:31]
	v_fma_f64 v[4:5], v[60:61], v[14:15], -v[4:5]
	s_waitcnt vmcnt(32)
	v_fmac_f64_e32 v[90:91], v[82:83], v[32:33]
	v_add_f64 v[2:3], v[2:3], v[4:5]
	v_mul_f64 v[4:5], v[66:67], v[8:9]
	v_add_f64 v[92:93], v[88:89], v[90:91]
	ds_read_b128 v[88:91], v46 offset:1792
	v_fma_f64 v[4:5], v[64:65], v[10:11], -v[4:5]
	v_add_f64 v[2:3], v[2:3], v[4:5]
	v_mul_f64 v[4:5], v[70:71], v[26:27]
	v_fma_f64 v[4:5], v[68:69], v[28:29], -v[4:5]
	s_waitcnt vmcnt(28) lgkmcnt(1)
	v_mul_f64 v[94:95], v[84:85], v[42:43]
	v_add_f64 v[2:3], v[2:3], v[4:5]
	v_mul_f64 v[4:5], v[74:75], v[22:23]
	s_waitcnt vmcnt(26)
	v_fmac_f64_e32 v[94:95], v[86:87], v[44:45]
	v_fma_f64 v[4:5], v[72:73], v[24:25], -v[4:5]
	v_add_f64 v[96:97], v[92:93], v[94:95]
	ds_read_b128 v[92:95], v46 offset:1808
	s_waitcnt vmcnt(25) lgkmcnt(1)
	v_mul_f64 v[98:99], v[88:89], v[38:39]
	v_add_f64 v[2:3], v[2:3], v[4:5]
	v_mul_f64 v[4:5], v[78:79], v[34:35]
	s_waitcnt vmcnt(24)
	v_fmac_f64_e32 v[98:99], v[90:91], v[40:41]
	v_fma_f64 v[4:5], v[76:77], v[36:37], -v[4:5]
	v_add_f64 v[100:101], v[96:97], v[98:99]
	ds_read_b128 v[96:99], v46 offset:1824
	v_add_f64 v[2:3], v[2:3], v[4:5]
	v_mul_f64 v[4:5], v[82:83], v[30:31]
	v_fma_f64 v[4:5], v[80:81], v[32:33], -v[4:5]
	v_add_f64 v[2:3], v[2:3], v[4:5]
	v_mul_f64 v[4:5], v[86:87], v[42:43]
	s_waitcnt vmcnt(20) lgkmcnt(1)
	v_mul_f64 v[102:103], v[92:93], v[116:117]
	v_fma_f64 v[4:5], v[84:85], v[44:45], -v[4:5]
	s_waitcnt vmcnt(18)
	v_fmac_f64_e32 v[102:103], v[94:95], v[118:119]
	v_add_f64 v[2:3], v[2:3], v[4:5]
	v_mul_f64 v[4:5], v[90:91], v[38:39]
	v_add_f64 v[104:105], v[100:101], v[102:103]
	ds_read_b128 v[100:103], v46 offset:1840
	s_waitcnt vmcnt(17) lgkmcnt(1)
	v_mul_f64 v[106:107], v[96:97], v[112:113]
	v_fma_f64 v[4:5], v[88:89], v[40:41], -v[4:5]
	s_waitcnt vmcnt(16)
	v_fmac_f64_e32 v[106:107], v[98:99], v[114:115]
	v_add_f64 v[2:3], v[2:3], v[4:5]
	v_mul_f64 v[4:5], v[94:95], v[116:117]
	v_add_f64 v[136:137], v[104:105], v[106:107]
	ds_read_b128 v[104:107], v46 offset:1856
	v_fma_f64 v[4:5], v[92:93], v[118:119], -v[4:5]
	v_add_f64 v[2:3], v[2:3], v[4:5]
	v_mul_f64 v[4:5], v[98:99], v[112:113]
	v_fma_f64 v[4:5], v[96:97], v[114:115], -v[4:5]
	v_add_f64 v[2:3], v[2:3], v[4:5]
	s_waitcnt vmcnt(12) lgkmcnt(1)
	v_mul_f64 v[4:5], v[102:103], v[124:125]
	v_mul_f64 v[138:139], v[100:101], v[124:125]
	s_waitcnt vmcnt(10)
	v_fma_f64 v[4:5], v[100:101], v[126:127], -v[4:5]
	v_fmac_f64_e32 v[138:139], v[102:103], v[126:127]
	v_add_f64 v[2:3], v[2:3], v[4:5]
	s_waitcnt vmcnt(9) lgkmcnt(0)
	v_mul_f64 v[4:5], v[106:107], v[120:121]
	v_add_f64 v[46:47], v[136:137], v[138:139]
	v_mul_f64 v[136:137], v[104:105], v[120:121]
	s_waitcnt vmcnt(8)
	v_fma_f64 v[4:5], v[104:105], v[122:123], -v[4:5]
	v_fmac_f64_e32 v[136:137], v[106:107], v[122:123]
	v_add_f64 v[2:3], v[2:3], v[4:5]
	s_waitcnt vmcnt(6)
	v_mul_f64 v[4:5], v[110:111], v[128:129]
	v_add_f64 v[46:47], v[46:47], v[136:137]
	v_mul_f64 v[136:137], v[108:109], v[128:129]
	s_waitcnt vmcnt(4)
	v_fma_f64 v[4:5], v[108:109], v[130:131], -v[4:5]
	v_fmac_f64_e32 v[136:137], v[110:111], v[130:131]
	v_add_f64 v[2:3], v[2:3], v[4:5]
	v_add_f64 v[46:47], v[46:47], v[136:137]
	s_waitcnt vmcnt(2)
	v_add_f64 v[2:3], v[132:133], -v[2:3]
	s_waitcnt vmcnt(0)
	v_add_f64 v[4:5], v[134:135], -v[46:47]
	buffer_store_dword v3, off, s[0:3], 0 offset:692
	buffer_store_dword v2, off, s[0:3], 0 offset:688
	;; [unrolled: 1-line block ×4, first 2 shown]
	s_and_saveexec_b64 s[4:5], vcc
	s_cbranch_execz .LBB58_285
; %bb.284:
	v_accvgpr_read_b32 v0, a135
	buffer_load_dword v2, v0, s[0:3], 0 offen
	buffer_load_dword v3, v0, s[0:3], 0 offen offset:4
	buffer_load_dword v4, v0, s[0:3], 0 offen offset:8
	;; [unrolled: 1-line block ×3, first 2 shown]
	v_mov_b32_e32 v0, 0
	v_accvgpr_read_b32 v1, a177
	buffer_store_dword v0, off, s[0:3], 0 offset:672
	buffer_store_dword v0, off, s[0:3], 0 offset:676
	;; [unrolled: 1-line block ×4, first 2 shown]
	s_waitcnt vmcnt(4)
	ds_write_b128 v1, v[2:5]
.LBB58_285:
	s_or_b64 exec, exec, s[4:5]
	s_waitcnt lgkmcnt(0)
	; wave barrier
	s_waitcnt lgkmcnt(0)
	buffer_load_dword v2, off, s[0:3], 0 offset:688
	buffer_load_dword v3, off, s[0:3], 0 offset:692
	;; [unrolled: 1-line block ×68, first 2 shown]
	v_mov_b32_e32 v52, 0
	buffer_load_dword v140, off, s[0:3], 0 offset:672
	buffer_load_dword v141, off, s[0:3], 0 offset:676
	buffer_load_dword v142, off, s[0:3], 0 offset:680
	ds_read_b128 v[46:49], v52 offset:1616
	ds_read_b128 v[54:57], v52 offset:1632
	buffer_load_dword v143, off, s[0:3], 0 offset:684
	ds_read_b128 v[58:61], v52 offset:1648
	ds_read_b128 v[62:65], v52 offset:1664
	;; [unrolled: 1-line block ×3, first 2 shown]
	v_cmp_lt_u32_e32 vcc, 40, v228
	s_waitcnt vmcnt(62) lgkmcnt(4)
	v_mul_f64 v[66:67], v[46:47], v[6:7]
	v_fmac_f64_e32 v[66:67], v[48:49], v[2:3]
	v_add_f64 v[66:67], v[66:67], 0
	v_mul_f64 v[6:7], v[48:49], v[6:7]
	s_waitcnt lgkmcnt(3)
	v_mul_f64 v[68:69], v[54:55], v[10:11]
	v_fmac_f64_e32 v[68:69], v[56:57], v[4:5]
	v_add_f64 v[66:67], v[66:67], v[68:69]
	v_fma_f64 v[2:3], v[46:47], v[2:3], -v[6:7]
	s_waitcnt vmcnt(60) lgkmcnt(2)
	v_mul_f64 v[68:69], v[58:59], v[12:13]
	v_fmac_f64_e32 v[68:69], v[60:61], v[8:9]
	v_add_f64 v[70:71], v[66:67], v[68:69]
	ds_read_b128 v[66:69], v52 offset:1680
	s_waitcnt vmcnt(56) lgkmcnt(2)
	v_mul_f64 v[72:73], v[62:63], v[18:19]
	v_mul_f64 v[6:7], v[56:57], v[10:11]
	s_waitcnt vmcnt(54)
	v_fmac_f64_e32 v[72:73], v[64:65], v[20:21]
	v_add_f64 v[74:75], v[70:71], v[72:73]
	ds_read_b128 v[70:73], v52 offset:1696
	s_waitcnt vmcnt(53) lgkmcnt(1)
	v_mul_f64 v[76:77], v[66:67], v[14:15]
	s_waitcnt vmcnt(52)
	v_fmac_f64_e32 v[76:77], v[68:69], v[16:17]
	v_add_f64 v[78:79], v[74:75], v[76:77]
	ds_read_b128 v[74:77], v52 offset:1712
	s_waitcnt vmcnt(48) lgkmcnt(1)
	;; [unrolled: 6-line block ×4, first 2 shown]
	v_mul_f64 v[88:89], v[78:79], v[34:35]
	s_waitcnt vmcnt(38)
	v_fmac_f64_e32 v[88:89], v[80:81], v[36:37]
	v_add_f64 v[2:3], v[2:3], 0
	v_fma_f64 v[4:5], v[54:55], v[4:5], -v[6:7]
	v_add_f64 v[90:91], v[86:87], v[88:89]
	ds_read_b128 v[86:89], v52 offset:1760
	v_add_f64 v[2:3], v[2:3], v[4:5]
	v_mul_f64 v[4:5], v[60:61], v[12:13]
	v_fma_f64 v[4:5], v[58:59], v[8:9], -v[4:5]
	v_add_f64 v[2:3], v[2:3], v[4:5]
	v_mul_f64 v[4:5], v[64:65], v[18:19]
	s_waitcnt vmcnt(37) lgkmcnt(1)
	v_mul_f64 v[92:93], v[82:83], v[30:31]
	v_fma_f64 v[4:5], v[62:63], v[20:21], -v[4:5]
	s_waitcnt vmcnt(36)
	v_fmac_f64_e32 v[92:93], v[84:85], v[32:33]
	v_add_f64 v[2:3], v[2:3], v[4:5]
	v_mul_f64 v[4:5], v[68:69], v[14:15]
	v_add_f64 v[94:95], v[90:91], v[92:93]
	ds_read_b128 v[90:93], v52 offset:1776
	s_waitcnt vmcnt(32) lgkmcnt(1)
	v_mul_f64 v[96:97], v[86:87], v[42:43]
	v_fma_f64 v[4:5], v[66:67], v[16:17], -v[4:5]
	s_waitcnt vmcnt(30)
	v_fmac_f64_e32 v[96:97], v[88:89], v[44:45]
	v_add_f64 v[2:3], v[2:3], v[4:5]
	v_mul_f64 v[4:5], v[72:73], v[26:27]
	v_add_f64 v[98:99], v[94:95], v[96:97]
	ds_read_b128 v[94:97], v52 offset:1792
	v_fma_f64 v[4:5], v[70:71], v[28:29], -v[4:5]
	v_add_f64 v[2:3], v[2:3], v[4:5]
	v_mul_f64 v[4:5], v[76:77], v[22:23]
	v_fma_f64 v[4:5], v[74:75], v[24:25], -v[4:5]
	s_waitcnt vmcnt(29) lgkmcnt(1)
	v_mul_f64 v[100:101], v[90:91], v[38:39]
	v_add_f64 v[2:3], v[2:3], v[4:5]
	v_mul_f64 v[4:5], v[80:81], v[34:35]
	s_waitcnt vmcnt(28)
	v_fmac_f64_e32 v[100:101], v[92:93], v[40:41]
	v_fma_f64 v[4:5], v[78:79], v[36:37], -v[4:5]
	v_add_f64 v[102:103], v[98:99], v[100:101]
	ds_read_b128 v[98:101], v52 offset:1808
	s_waitcnt vmcnt(24) lgkmcnt(1)
	v_mul_f64 v[104:105], v[94:95], v[120:121]
	v_add_f64 v[2:3], v[2:3], v[4:5]
	v_mul_f64 v[4:5], v[84:85], v[30:31]
	s_waitcnt vmcnt(22)
	v_fmac_f64_e32 v[104:105], v[96:97], v[122:123]
	v_fma_f64 v[4:5], v[82:83], v[32:33], -v[4:5]
	v_add_f64 v[106:107], v[102:103], v[104:105]
	ds_read_b128 v[102:105], v52 offset:1824
	v_add_f64 v[2:3], v[2:3], v[4:5]
	v_mul_f64 v[4:5], v[88:89], v[42:43]
	v_fma_f64 v[4:5], v[86:87], v[44:45], -v[4:5]
	v_add_f64 v[2:3], v[2:3], v[4:5]
	v_mul_f64 v[4:5], v[92:93], v[38:39]
	s_waitcnt vmcnt(21) lgkmcnt(1)
	v_mul_f64 v[108:109], v[98:99], v[50:51]
	v_fma_f64 v[4:5], v[90:91], v[40:41], -v[4:5]
	s_waitcnt vmcnt(20)
	v_fmac_f64_e32 v[108:109], v[100:101], v[118:119]
	v_add_f64 v[2:3], v[2:3], v[4:5]
	v_mul_f64 v[4:5], v[96:97], v[120:121]
	v_add_f64 v[110:111], v[106:107], v[108:109]
	ds_read_b128 v[106:109], v52 offset:1840
	s_waitcnt vmcnt(16) lgkmcnt(1)
	v_mul_f64 v[112:113], v[102:103], v[128:129]
	v_fma_f64 v[4:5], v[94:95], v[122:123], -v[4:5]
	s_waitcnt vmcnt(14)
	v_fmac_f64_e32 v[112:113], v[104:105], v[130:131]
	v_add_f64 v[2:3], v[2:3], v[4:5]
	v_mul_f64 v[4:5], v[100:101], v[50:51]
	v_add_f64 v[144:145], v[110:111], v[112:113]
	ds_read_b128 v[110:113], v52 offset:1856
	v_fma_f64 v[4:5], v[98:99], v[118:119], -v[4:5]
	v_add_f64 v[2:3], v[2:3], v[4:5]
	v_mul_f64 v[4:5], v[104:105], v[128:129]
	v_fma_f64 v[4:5], v[102:103], v[130:131], -v[4:5]
	v_add_f64 v[2:3], v[2:3], v[4:5]
	s_waitcnt vmcnt(13) lgkmcnt(1)
	v_mul_f64 v[4:5], v[108:109], v[124:125]
	v_mul_f64 v[146:147], v[106:107], v[124:125]
	s_waitcnt vmcnt(12)
	v_fma_f64 v[4:5], v[106:107], v[126:127], -v[4:5]
	v_fmac_f64_e32 v[146:147], v[108:109], v[126:127]
	v_add_f64 v[2:3], v[2:3], v[4:5]
	s_waitcnt vmcnt(8) lgkmcnt(0)
	v_mul_f64 v[4:5], v[112:113], v[136:137]
	v_add_f64 v[144:145], v[144:145], v[146:147]
	v_mul_f64 v[146:147], v[110:111], v[136:137]
	s_waitcnt vmcnt(6)
	v_fma_f64 v[4:5], v[110:111], v[138:139], -v[4:5]
	v_fmac_f64_e32 v[146:147], v[112:113], v[138:139]
	v_add_f64 v[2:3], v[2:3], v[4:5]
	s_waitcnt vmcnt(5)
	v_mul_f64 v[4:5], v[116:117], v[132:133]
	v_add_f64 v[144:145], v[144:145], v[146:147]
	v_mul_f64 v[146:147], v[114:115], v[132:133]
	s_waitcnt vmcnt(4)
	v_fma_f64 v[4:5], v[114:115], v[134:135], -v[4:5]
	v_fmac_f64_e32 v[146:147], v[116:117], v[134:135]
	v_add_f64 v[2:3], v[2:3], v[4:5]
	v_add_f64 v[144:145], v[144:145], v[146:147]
	s_waitcnt vmcnt(2)
	v_add_f64 v[2:3], v[140:141], -v[2:3]
	s_waitcnt vmcnt(0)
	v_add_f64 v[4:5], v[142:143], -v[144:145]
	buffer_store_dword v3, off, s[0:3], 0 offset:676
	buffer_store_dword v2, off, s[0:3], 0 offset:672
	;; [unrolled: 1-line block ×4, first 2 shown]
	s_and_saveexec_b64 s[4:5], vcc
	s_cbranch_execz .LBB58_287
; %bb.286:
	v_accvgpr_read_b32 v0, a136
	buffer_load_dword v2, v0, s[0:3], 0 offen
	buffer_load_dword v3, v0, s[0:3], 0 offen offset:4
	buffer_load_dword v4, v0, s[0:3], 0 offen offset:8
	;; [unrolled: 1-line block ×3, first 2 shown]
	v_accvgpr_read_b32 v0, a177
	buffer_store_dword v52, off, s[0:3], 0 offset:656
	buffer_store_dword v52, off, s[0:3], 0 offset:660
	;; [unrolled: 1-line block ×4, first 2 shown]
	s_waitcnt vmcnt(4)
	ds_write_b128 v0, v[2:5]
.LBB58_287:
	s_or_b64 exec, exec, s[4:5]
	s_waitcnt lgkmcnt(0)
	; wave barrier
	s_waitcnt lgkmcnt(0)
	buffer_load_dword v2, off, s[0:3], 0 offset:672
	buffer_load_dword v3, off, s[0:3], 0 offset:676
	;; [unrolled: 1-line block ×72, first 2 shown]
	ds_read_b128 v[54:57], v52 offset:1600
	buffer_load_dword v148, off, s[0:3], 0 offset:656
	buffer_load_dword v149, off, s[0:3], 0 offset:660
	;; [unrolled: 1-line block ×4, first 2 shown]
	ds_read_b128 v[58:61], v52 offset:1616
	ds_read_b128 v[62:65], v52 offset:1632
	;; [unrolled: 1-line block ×3, first 2 shown]
	v_cmp_lt_u32_e32 vcc, 39, v228
	ds_read_b128 v[124:127], v52 offset:1872
	s_waitcnt vmcnt(62) lgkmcnt(4)
	v_mul_f64 v[70:71], v[54:55], v[8:9]
	v_fmac_f64_e32 v[70:71], v[56:57], v[2:3]
	v_add_f64 v[70:71], v[70:71], 0
	v_mul_f64 v[8:9], v[56:57], v[8:9]
	s_waitcnt lgkmcnt(3)
	v_mul_f64 v[72:73], v[58:59], v[10:11]
	v_fmac_f64_e32 v[72:73], v[60:61], v[4:5]
	v_add_f64 v[70:71], v[70:71], v[72:73]
	v_fma_f64 v[2:3], v[54:55], v[2:3], -v[8:9]
	s_waitcnt lgkmcnt(2)
	v_mul_f64 v[72:73], v[62:63], v[12:13]
	v_fmac_f64_e32 v[72:73], v[64:65], v[6:7]
	v_add_f64 v[74:75], v[70:71], v[72:73]
	ds_read_b128 v[70:73], v52 offset:1664
	s_waitcnt vmcnt(60) lgkmcnt(2)
	v_mul_f64 v[76:77], v[66:67], v[18:19]
	v_mul_f64 v[8:9], v[60:61], v[10:11]
	s_waitcnt vmcnt(58)
	v_fmac_f64_e32 v[76:77], v[68:69], v[20:21]
	v_add_f64 v[78:79], v[74:75], v[76:77]
	ds_read_b128 v[74:77], v52 offset:1680
	s_waitcnt vmcnt(57) lgkmcnt(1)
	v_mul_f64 v[80:81], v[70:71], v[14:15]
	s_waitcnt vmcnt(56)
	v_fmac_f64_e32 v[80:81], v[72:73], v[16:17]
	v_add_f64 v[82:83], v[78:79], v[80:81]
	ds_read_b128 v[78:81], v52 offset:1696
	s_waitcnt vmcnt(52) lgkmcnt(1)
	;; [unrolled: 6-line block ×4, first 2 shown]
	v_mul_f64 v[92:93], v[82:83], v[34:35]
	s_waitcnt vmcnt(42)
	v_fmac_f64_e32 v[92:93], v[84:85], v[36:37]
	v_add_f64 v[2:3], v[2:3], 0
	v_fma_f64 v[4:5], v[58:59], v[4:5], -v[8:9]
	v_add_f64 v[94:95], v[90:91], v[92:93]
	ds_read_b128 v[90:93], v52 offset:1744
	s_waitcnt vmcnt(41) lgkmcnt(1)
	v_mul_f64 v[96:97], v[86:87], v[30:31]
	v_add_f64 v[2:3], v[2:3], v[4:5]
	v_mul_f64 v[4:5], v[64:65], v[12:13]
	s_waitcnt vmcnt(40)
	v_fmac_f64_e32 v[96:97], v[88:89], v[32:33]
	v_fma_f64 v[4:5], v[62:63], v[6:7], -v[4:5]
	v_add_f64 v[98:99], v[94:95], v[96:97]
	ds_read_b128 v[94:97], v52 offset:1760
	v_add_f64 v[2:3], v[2:3], v[4:5]
	v_mul_f64 v[4:5], v[68:69], v[18:19]
	v_fma_f64 v[4:5], v[66:67], v[20:21], -v[4:5]
	v_add_f64 v[2:3], v[2:3], v[4:5]
	v_mul_f64 v[4:5], v[72:73], v[14:15]
	s_waitcnt vmcnt(36) lgkmcnt(1)
	v_mul_f64 v[100:101], v[90:91], v[42:43]
	v_fma_f64 v[4:5], v[70:71], v[16:17], -v[4:5]
	s_waitcnt vmcnt(34)
	v_fmac_f64_e32 v[100:101], v[92:93], v[44:45]
	v_add_f64 v[2:3], v[2:3], v[4:5]
	v_mul_f64 v[4:5], v[76:77], v[26:27]
	v_add_f64 v[102:103], v[98:99], v[100:101]
	ds_read_b128 v[98:101], v52 offset:1776
	s_waitcnt vmcnt(33) lgkmcnt(1)
	v_mul_f64 v[104:105], v[94:95], v[38:39]
	v_fma_f64 v[4:5], v[74:75], v[28:29], -v[4:5]
	s_waitcnt vmcnt(32)
	v_fmac_f64_e32 v[104:105], v[96:97], v[40:41]
	v_add_f64 v[2:3], v[2:3], v[4:5]
	v_mul_f64 v[4:5], v[80:81], v[22:23]
	v_add_f64 v[106:107], v[102:103], v[104:105]
	ds_read_b128 v[102:105], v52 offset:1792
	v_fma_f64 v[4:5], v[78:79], v[24:25], -v[4:5]
	v_add_f64 v[2:3], v[2:3], v[4:5]
	v_mul_f64 v[4:5], v[84:85], v[34:35]
	v_fma_f64 v[4:5], v[82:83], v[36:37], -v[4:5]
	s_waitcnt vmcnt(28) lgkmcnt(1)
	v_mul_f64 v[108:109], v[98:99], v[50:51]
	v_add_f64 v[2:3], v[2:3], v[4:5]
	v_mul_f64 v[4:5], v[88:89], v[30:31]
	s_waitcnt vmcnt(26)
	v_fmac_f64_e32 v[108:109], v[100:101], v[118:119]
	v_fma_f64 v[4:5], v[86:87], v[32:33], -v[4:5]
	v_add_f64 v[110:111], v[106:107], v[108:109]
	ds_read_b128 v[106:109], v52 offset:1808
	s_waitcnt vmcnt(25) lgkmcnt(1)
	v_mul_f64 v[112:113], v[102:103], v[46:47]
	v_add_f64 v[2:3], v[2:3], v[4:5]
	v_mul_f64 v[4:5], v[92:93], v[42:43]
	s_waitcnt vmcnt(24)
	v_fmac_f64_e32 v[112:113], v[104:105], v[48:49]
	v_fma_f64 v[4:5], v[90:91], v[44:45], -v[4:5]
	v_add_f64 v[114:115], v[110:111], v[112:113]
	ds_read_b128 v[110:113], v52 offset:1824
	v_add_f64 v[2:3], v[2:3], v[4:5]
	v_mul_f64 v[4:5], v[96:97], v[38:39]
	v_fma_f64 v[4:5], v[94:95], v[40:41], -v[4:5]
	v_add_f64 v[2:3], v[2:3], v[4:5]
	v_mul_f64 v[4:5], v[100:101], v[50:51]
	s_waitcnt vmcnt(20) lgkmcnt(1)
	v_mul_f64 v[116:117], v[106:107], v[132:133]
	v_fma_f64 v[4:5], v[98:99], v[118:119], -v[4:5]
	s_waitcnt vmcnt(18)
	v_fmac_f64_e32 v[116:117], v[108:109], v[134:135]
	v_add_f64 v[2:3], v[2:3], v[4:5]
	v_mul_f64 v[4:5], v[104:105], v[46:47]
	v_add_f64 v[120:121], v[114:115], v[116:117]
	ds_read_b128 v[114:117], v52 offset:1840
	s_waitcnt vmcnt(17) lgkmcnt(1)
	v_mul_f64 v[122:123], v[110:111], v[128:129]
	v_fma_f64 v[4:5], v[102:103], v[48:49], -v[4:5]
	s_waitcnt vmcnt(16)
	v_fmac_f64_e32 v[122:123], v[112:113], v[130:131]
	v_add_f64 v[2:3], v[2:3], v[4:5]
	v_mul_f64 v[4:5], v[108:109], v[132:133]
	v_add_f64 v[152:153], v[120:121], v[122:123]
	ds_read_b128 v[120:123], v52 offset:1856
	v_fma_f64 v[4:5], v[106:107], v[134:135], -v[4:5]
	v_add_f64 v[2:3], v[2:3], v[4:5]
	v_mul_f64 v[4:5], v[112:113], v[128:129]
	v_fma_f64 v[4:5], v[110:111], v[130:131], -v[4:5]
	v_add_f64 v[2:3], v[2:3], v[4:5]
	s_waitcnt vmcnt(12) lgkmcnt(1)
	v_mul_f64 v[4:5], v[116:117], v[140:141]
	v_mul_f64 v[154:155], v[114:115], v[140:141]
	s_waitcnt vmcnt(10)
	v_fma_f64 v[4:5], v[114:115], v[142:143], -v[4:5]
	v_fmac_f64_e32 v[154:155], v[116:117], v[142:143]
	v_add_f64 v[2:3], v[2:3], v[4:5]
	s_waitcnt vmcnt(9) lgkmcnt(0)
	v_mul_f64 v[4:5], v[122:123], v[136:137]
	v_add_f64 v[52:53], v[152:153], v[154:155]
	v_mul_f64 v[152:153], v[120:121], v[136:137]
	s_waitcnt vmcnt(8)
	v_fma_f64 v[4:5], v[120:121], v[138:139], -v[4:5]
	v_fmac_f64_e32 v[152:153], v[122:123], v[138:139]
	v_add_f64 v[2:3], v[2:3], v[4:5]
	s_waitcnt vmcnt(6)
	v_mul_f64 v[4:5], v[126:127], v[144:145]
	v_add_f64 v[52:53], v[52:53], v[152:153]
	v_mul_f64 v[152:153], v[124:125], v[144:145]
	s_waitcnt vmcnt(4)
	v_fma_f64 v[4:5], v[124:125], v[146:147], -v[4:5]
	v_fmac_f64_e32 v[152:153], v[126:127], v[146:147]
	v_add_f64 v[2:3], v[2:3], v[4:5]
	v_add_f64 v[52:53], v[52:53], v[152:153]
	s_waitcnt vmcnt(2)
	v_add_f64 v[2:3], v[148:149], -v[2:3]
	s_waitcnt vmcnt(0)
	v_add_f64 v[4:5], v[150:151], -v[52:53]
	buffer_store_dword v3, off, s[0:3], 0 offset:660
	buffer_store_dword v2, off, s[0:3], 0 offset:656
	;; [unrolled: 1-line block ×4, first 2 shown]
	s_and_saveexec_b64 s[4:5], vcc
	s_cbranch_execz .LBB58_289
; %bb.288:
	v_accvgpr_read_b32 v0, a137
	buffer_load_dword v2, v0, s[0:3], 0 offen
	buffer_load_dword v3, v0, s[0:3], 0 offen offset:4
	buffer_load_dword v4, v0, s[0:3], 0 offen offset:8
	;; [unrolled: 1-line block ×3, first 2 shown]
	v_mov_b32_e32 v0, 0
	v_accvgpr_read_b32 v1, a177
	buffer_store_dword v0, off, s[0:3], 0 offset:640
	buffer_store_dword v0, off, s[0:3], 0 offset:644
	;; [unrolled: 1-line block ×4, first 2 shown]
	s_waitcnt vmcnt(4)
	ds_write_b128 v1, v[2:5]
.LBB58_289:
	s_or_b64 exec, exec, s[4:5]
	s_waitcnt lgkmcnt(0)
	; wave barrier
	s_waitcnt lgkmcnt(0)
	buffer_load_dword v2, off, s[0:3], 0 offset:656
	buffer_load_dword v3, off, s[0:3], 0 offset:660
	;; [unrolled: 1-line block ×76, first 2 shown]
	v_mov_b32_e32 v54, 0
	ds_read_b128 v[56:59], v54 offset:1584
	buffer_load_dword v156, off, s[0:3], 0 offset:640
	buffer_load_dword v157, off, s[0:3], 0 offset:644
	;; [unrolled: 1-line block ×4, first 2 shown]
	ds_read_b128 v[60:63], v54 offset:1600
	ds_read_b128 v[64:67], v54 offset:1616
	;; [unrolled: 1-line block ×4, first 2 shown]
	v_cmp_lt_u32_e32 vcc, 38, v228
	s_waitcnt vmcnt(62) lgkmcnt(4)
	v_mul_f64 v[72:73], v[56:57], v[8:9]
	v_fmac_f64_e32 v[72:73], v[58:59], v[2:3]
	v_add_f64 v[72:73], v[72:73], 0
	v_mul_f64 v[8:9], v[58:59], v[8:9]
	s_waitcnt lgkmcnt(3)
	v_mul_f64 v[74:75], v[60:61], v[10:11]
	v_fmac_f64_e32 v[74:75], v[62:63], v[4:5]
	v_add_f64 v[72:73], v[72:73], v[74:75]
	v_fma_f64 v[2:3], v[56:57], v[2:3], -v[8:9]
	s_waitcnt lgkmcnt(2)
	v_mul_f64 v[74:75], v[64:65], v[12:13]
	v_fmac_f64_e32 v[74:75], v[66:67], v[6:7]
	v_add_f64 v[76:77], v[72:73], v[74:75]
	ds_read_b128 v[72:75], v54 offset:1648
	s_waitcnt lgkmcnt(2)
	v_mul_f64 v[78:79], v[68:69], v[18:19]
	v_mul_f64 v[8:9], v[62:63], v[10:11]
	v_fmac_f64_e32 v[78:79], v[70:71], v[20:21]
	v_add_f64 v[80:81], v[76:77], v[78:79]
	ds_read_b128 v[76:79], v54 offset:1664
	s_waitcnt vmcnt(61) lgkmcnt(1)
	v_mul_f64 v[82:83], v[72:73], v[14:15]
	s_waitcnt vmcnt(60)
	v_fmac_f64_e32 v[82:83], v[74:75], v[16:17]
	v_add_f64 v[84:85], v[80:81], v[82:83]
	ds_read_b128 v[80:83], v54 offset:1680
	s_waitcnt vmcnt(56) lgkmcnt(1)
	v_mul_f64 v[86:87], v[76:77], v[26:27]
	s_waitcnt vmcnt(54)
	;; [unrolled: 6-line block ×4, first 2 shown]
	v_fmac_f64_e32 v[94:95], v[86:87], v[36:37]
	v_add_f64 v[96:97], v[92:93], v[94:95]
	ds_read_b128 v[92:95], v54 offset:1728
	v_add_f64 v[2:3], v[2:3], 0
	v_fma_f64 v[4:5], v[60:61], v[4:5], -v[8:9]
	s_waitcnt vmcnt(45) lgkmcnt(1)
	v_mul_f64 v[98:99], v[88:89], v[30:31]
	v_add_f64 v[2:3], v[2:3], v[4:5]
	v_mul_f64 v[4:5], v[66:67], v[12:13]
	s_waitcnt vmcnt(44)
	v_fmac_f64_e32 v[98:99], v[90:91], v[32:33]
	v_fma_f64 v[4:5], v[64:65], v[6:7], -v[4:5]
	v_add_f64 v[100:101], v[96:97], v[98:99]
	ds_read_b128 v[96:99], v54 offset:1744
	s_waitcnt vmcnt(40) lgkmcnt(1)
	v_mul_f64 v[102:103], v[92:93], v[42:43]
	v_add_f64 v[2:3], v[2:3], v[4:5]
	v_mul_f64 v[4:5], v[70:71], v[18:19]
	s_waitcnt vmcnt(38)
	v_fmac_f64_e32 v[102:103], v[94:95], v[44:45]
	v_fma_f64 v[4:5], v[68:69], v[20:21], -v[4:5]
	v_add_f64 v[104:105], v[100:101], v[102:103]
	ds_read_b128 v[100:103], v54 offset:1760
	v_add_f64 v[2:3], v[2:3], v[4:5]
	v_mul_f64 v[4:5], v[74:75], v[14:15]
	v_fma_f64 v[4:5], v[72:73], v[16:17], -v[4:5]
	v_add_f64 v[2:3], v[2:3], v[4:5]
	v_mul_f64 v[4:5], v[78:79], v[26:27]
	s_waitcnt vmcnt(37) lgkmcnt(1)
	v_mul_f64 v[106:107], v[96:97], v[38:39]
	v_fma_f64 v[4:5], v[76:77], v[28:29], -v[4:5]
	s_waitcnt vmcnt(36)
	v_fmac_f64_e32 v[106:107], v[98:99], v[40:41]
	v_add_f64 v[2:3], v[2:3], v[4:5]
	v_mul_f64 v[4:5], v[82:83], v[22:23]
	v_add_f64 v[108:109], v[104:105], v[106:107]
	ds_read_b128 v[104:107], v54 offset:1776
	s_waitcnt vmcnt(32) lgkmcnt(1)
	v_mul_f64 v[110:111], v[100:101], v[50:51]
	v_fma_f64 v[4:5], v[80:81], v[24:25], -v[4:5]
	s_waitcnt vmcnt(30)
	v_fmac_f64_e32 v[110:111], v[102:103], v[52:53]
	v_add_f64 v[2:3], v[2:3], v[4:5]
	v_mul_f64 v[4:5], v[86:87], v[34:35]
	v_add_f64 v[112:113], v[108:109], v[110:111]
	ds_read_b128 v[108:111], v54 offset:1792
	v_fma_f64 v[4:5], v[84:85], v[36:37], -v[4:5]
	v_add_f64 v[2:3], v[2:3], v[4:5]
	v_mul_f64 v[4:5], v[90:91], v[30:31]
	v_fma_f64 v[4:5], v[88:89], v[32:33], -v[4:5]
	s_waitcnt vmcnt(29) lgkmcnt(1)
	v_mul_f64 v[114:115], v[104:105], v[46:47]
	v_add_f64 v[2:3], v[2:3], v[4:5]
	v_mul_f64 v[4:5], v[94:95], v[42:43]
	s_waitcnt vmcnt(28)
	v_fmac_f64_e32 v[114:115], v[106:107], v[48:49]
	v_fma_f64 v[4:5], v[92:93], v[44:45], -v[4:5]
	v_add_f64 v[120:121], v[112:113], v[114:115]
	ds_read_b128 v[112:115], v54 offset:1808
	s_waitcnt vmcnt(24) lgkmcnt(1)
	v_mul_f64 v[122:123], v[108:109], v[136:137]
	v_add_f64 v[2:3], v[2:3], v[4:5]
	v_mul_f64 v[4:5], v[98:99], v[38:39]
	s_waitcnt vmcnt(22)
	v_fmac_f64_e32 v[122:123], v[110:111], v[138:139]
	v_fma_f64 v[4:5], v[96:97], v[40:41], -v[4:5]
	v_add_f64 v[124:125], v[120:121], v[122:123]
	ds_read_b128 v[120:123], v54 offset:1824
	v_add_f64 v[2:3], v[2:3], v[4:5]
	v_mul_f64 v[4:5], v[102:103], v[50:51]
	v_fma_f64 v[4:5], v[100:101], v[52:53], -v[4:5]
	v_add_f64 v[2:3], v[2:3], v[4:5]
	v_mul_f64 v[4:5], v[106:107], v[46:47]
	s_waitcnt vmcnt(21) lgkmcnt(1)
	v_mul_f64 v[126:127], v[112:113], v[116:117]
	v_fma_f64 v[4:5], v[104:105], v[48:49], -v[4:5]
	s_waitcnt vmcnt(20)
	v_fmac_f64_e32 v[126:127], v[114:115], v[118:119]
	v_add_f64 v[2:3], v[2:3], v[4:5]
	v_mul_f64 v[4:5], v[110:111], v[136:137]
	v_add_f64 v[128:129], v[124:125], v[126:127]
	ds_read_b128 v[124:127], v54 offset:1840
	s_waitcnt vmcnt(16) lgkmcnt(1)
	v_mul_f64 v[130:131], v[120:121], v[144:145]
	v_fma_f64 v[4:5], v[108:109], v[138:139], -v[4:5]
	s_waitcnt vmcnt(14)
	v_fmac_f64_e32 v[130:131], v[122:123], v[146:147]
	v_add_f64 v[2:3], v[2:3], v[4:5]
	v_mul_f64 v[4:5], v[114:115], v[116:117]
	v_add_f64 v[160:161], v[128:129], v[130:131]
	ds_read_b128 v[128:131], v54 offset:1856
	v_fma_f64 v[4:5], v[112:113], v[118:119], -v[4:5]
	v_add_f64 v[2:3], v[2:3], v[4:5]
	v_mul_f64 v[4:5], v[122:123], v[144:145]
	v_fma_f64 v[4:5], v[120:121], v[146:147], -v[4:5]
	v_add_f64 v[2:3], v[2:3], v[4:5]
	s_waitcnt vmcnt(13) lgkmcnt(1)
	v_mul_f64 v[4:5], v[126:127], v[140:141]
	v_mul_f64 v[162:163], v[124:125], v[140:141]
	s_waitcnt vmcnt(12)
	v_fma_f64 v[4:5], v[124:125], v[142:143], -v[4:5]
	v_fmac_f64_e32 v[162:163], v[126:127], v[142:143]
	v_add_f64 v[2:3], v[2:3], v[4:5]
	s_waitcnt vmcnt(8) lgkmcnt(0)
	v_mul_f64 v[4:5], v[130:131], v[152:153]
	v_add_f64 v[160:161], v[160:161], v[162:163]
	v_mul_f64 v[162:163], v[128:129], v[152:153]
	s_waitcnt vmcnt(6)
	v_fma_f64 v[4:5], v[128:129], v[154:155], -v[4:5]
	v_fmac_f64_e32 v[162:163], v[130:131], v[154:155]
	v_add_f64 v[2:3], v[2:3], v[4:5]
	s_waitcnt vmcnt(5)
	v_mul_f64 v[4:5], v[134:135], v[148:149]
	v_add_f64 v[160:161], v[160:161], v[162:163]
	v_mul_f64 v[162:163], v[132:133], v[148:149]
	s_waitcnt vmcnt(4)
	v_fma_f64 v[4:5], v[132:133], v[150:151], -v[4:5]
	v_fmac_f64_e32 v[162:163], v[134:135], v[150:151]
	v_add_f64 v[2:3], v[2:3], v[4:5]
	v_add_f64 v[160:161], v[160:161], v[162:163]
	s_waitcnt vmcnt(2)
	v_add_f64 v[2:3], v[156:157], -v[2:3]
	s_waitcnt vmcnt(0)
	v_add_f64 v[4:5], v[158:159], -v[160:161]
	buffer_store_dword v3, off, s[0:3], 0 offset:644
	buffer_store_dword v2, off, s[0:3], 0 offset:640
	;; [unrolled: 1-line block ×4, first 2 shown]
	s_and_saveexec_b64 s[4:5], vcc
	s_cbranch_execz .LBB58_291
; %bb.290:
	v_accvgpr_read_b32 v0, a138
	buffer_load_dword v2, v0, s[0:3], 0 offen
	buffer_load_dword v3, v0, s[0:3], 0 offen offset:4
	buffer_load_dword v4, v0, s[0:3], 0 offen offset:8
	;; [unrolled: 1-line block ×3, first 2 shown]
	v_accvgpr_read_b32 v0, a177
	buffer_store_dword v54, off, s[0:3], 0 offset:624
	buffer_store_dword v54, off, s[0:3], 0 offset:628
	;; [unrolled: 1-line block ×4, first 2 shown]
	s_waitcnt vmcnt(4)
	ds_write_b128 v0, v[2:5]
.LBB58_291:
	s_or_b64 exec, exec, s[4:5]
	s_waitcnt lgkmcnt(0)
	; wave barrier
	s_waitcnt lgkmcnt(0)
	buffer_load_dword v2, off, s[0:3], 0 offset:640
	buffer_load_dword v3, off, s[0:3], 0 offset:644
	;; [unrolled: 1-line block ×76, first 2 shown]
	ds_read_b128 v[56:59], v54 offset:1568
	buffer_load_dword v161, off, s[0:3], 0 offset:956
	buffer_load_dword v160, off, s[0:3], 0 offset:952
	;; [unrolled: 1-line block ×8, first 2 shown]
	ds_read_b128 v[60:63], v54 offset:1584
	ds_read_b128 v[64:67], v54 offset:1600
	;; [unrolled: 1-line block ×3, first 2 shown]
	v_cmp_lt_u32_e32 vcc, 37, v228
	ds_read_b128 v[136:139], v54 offset:1872
	s_waitcnt vmcnt(62) lgkmcnt(4)
	v_mul_f64 v[72:73], v[56:57], v[8:9]
	v_fmac_f64_e32 v[72:73], v[58:59], v[2:3]
	v_add_f64 v[72:73], v[72:73], 0
	v_mul_f64 v[8:9], v[58:59], v[8:9]
	s_waitcnt lgkmcnt(3)
	v_mul_f64 v[74:75], v[60:61], v[10:11]
	v_fmac_f64_e32 v[74:75], v[62:63], v[4:5]
	v_add_f64 v[72:73], v[72:73], v[74:75]
	v_fma_f64 v[2:3], v[56:57], v[2:3], -v[8:9]
	s_waitcnt lgkmcnt(2)
	v_mul_f64 v[74:75], v[64:65], v[12:13]
	v_fmac_f64_e32 v[74:75], v[66:67], v[6:7]
	v_add_f64 v[76:77], v[72:73], v[74:75]
	ds_read_b128 v[72:75], v54 offset:1632
	v_mul_f64 v[8:9], v[62:63], v[10:11]
	v_add_f64 v[2:3], v[2:3], 0
	s_waitcnt lgkmcnt(2)
	v_mul_f64 v[78:79], v[68:69], v[18:19]
	v_fma_f64 v[4:5], v[60:61], v[4:5], -v[8:9]
	v_fmac_f64_e32 v[78:79], v[70:71], v[20:21]
	v_add_f64 v[80:81], v[76:77], v[78:79]
	ds_read_b128 v[76:79], v54 offset:1648
	s_waitcnt lgkmcnt(1)
	v_mul_f64 v[82:83], v[72:73], v[14:15]
	v_fmac_f64_e32 v[82:83], v[74:75], v[16:17]
	v_add_f64 v[84:85], v[80:81], v[82:83]
	ds_read_b128 v[80:83], v54 offset:1664
	s_waitcnt vmcnt(58) lgkmcnt(1)
	v_mul_f64 v[86:87], v[76:77], v[26:27]
	s_waitcnt vmcnt(56)
	v_fmac_f64_e32 v[86:87], v[78:79], v[28:29]
	v_add_f64 v[88:89], v[84:85], v[86:87]
	ds_read_b128 v[84:87], v54 offset:1680
	s_waitcnt lgkmcnt(1)
	v_mul_f64 v[90:91], v[80:81], v[22:23]
	v_fmac_f64_e32 v[90:91], v[82:83], v[24:25]
	v_add_f64 v[92:93], v[88:89], v[90:91]
	ds_read_b128 v[88:91], v54 offset:1696
	s_waitcnt vmcnt(50) lgkmcnt(1)
	v_mul_f64 v[94:95], v[84:85], v[34:35]
	s_waitcnt vmcnt(48)
	v_fmac_f64_e32 v[94:95], v[86:87], v[36:37]
	v_add_f64 v[96:97], v[92:93], v[94:95]
	ds_read_b128 v[92:95], v54 offset:1712
	s_waitcnt lgkmcnt(1)
	v_mul_f64 v[98:99], v[88:89], v[30:31]
	v_fmac_f64_e32 v[98:99], v[90:91], v[32:33]
	v_add_f64 v[100:101], v[96:97], v[98:99]
	ds_read_b128 v[96:99], v54 offset:1728
	v_add_f64 v[2:3], v[2:3], v[4:5]
	v_mul_f64 v[4:5], v[66:67], v[12:13]
	v_fma_f64 v[4:5], v[64:65], v[6:7], -v[4:5]
	s_waitcnt vmcnt(42) lgkmcnt(1)
	v_mul_f64 v[102:103], v[92:93], v[42:43]
	v_add_f64 v[2:3], v[2:3], v[4:5]
	v_mul_f64 v[4:5], v[70:71], v[18:19]
	s_waitcnt vmcnt(40)
	v_fmac_f64_e32 v[102:103], v[94:95], v[44:45]
	v_fma_f64 v[4:5], v[68:69], v[20:21], -v[4:5]
	v_add_f64 v[104:105], v[100:101], v[102:103]
	ds_read_b128 v[100:103], v54 offset:1744
	s_waitcnt lgkmcnt(1)
	v_mul_f64 v[106:107], v[96:97], v[38:39]
	v_add_f64 v[2:3], v[2:3], v[4:5]
	v_mul_f64 v[4:5], v[74:75], v[14:15]
	v_fmac_f64_e32 v[106:107], v[98:99], v[40:41]
	v_fma_f64 v[4:5], v[72:73], v[16:17], -v[4:5]
	v_add_f64 v[108:109], v[104:105], v[106:107]
	ds_read_b128 v[104:107], v54 offset:1760
	v_add_f64 v[2:3], v[2:3], v[4:5]
	v_mul_f64 v[4:5], v[78:79], v[26:27]
	v_fma_f64 v[4:5], v[76:77], v[28:29], -v[4:5]
	v_add_f64 v[2:3], v[2:3], v[4:5]
	v_mul_f64 v[4:5], v[82:83], v[22:23]
	s_waitcnt vmcnt(34) lgkmcnt(1)
	v_mul_f64 v[110:111], v[100:101], v[50:51]
	v_fma_f64 v[4:5], v[80:81], v[24:25], -v[4:5]
	s_waitcnt vmcnt(32)
	v_fmac_f64_e32 v[110:111], v[102:103], v[52:53]
	v_add_f64 v[2:3], v[2:3], v[4:5]
	v_mul_f64 v[4:5], v[86:87], v[34:35]
	v_add_f64 v[112:113], v[108:109], v[110:111]
	ds_read_b128 v[108:111], v54 offset:1776
	s_waitcnt lgkmcnt(1)
	v_mul_f64 v[114:115], v[104:105], v[46:47]
	v_fma_f64 v[4:5], v[84:85], v[36:37], -v[4:5]
	v_fmac_f64_e32 v[114:115], v[106:107], v[48:49]
	v_add_f64 v[2:3], v[2:3], v[4:5]
	v_mul_f64 v[4:5], v[90:91], v[30:31]
	v_add_f64 v[120:121], v[112:113], v[114:115]
	ds_read_b128 v[112:115], v54 offset:1792
	v_fma_f64 v[4:5], v[88:89], v[32:33], -v[4:5]
	v_add_f64 v[2:3], v[2:3], v[4:5]
	v_mul_f64 v[4:5], v[94:95], v[42:43]
	v_fma_f64 v[4:5], v[92:93], v[44:45], -v[4:5]
	s_waitcnt vmcnt(26) lgkmcnt(1)
	v_mul_f64 v[122:123], v[108:109], v[140:141]
	v_add_f64 v[2:3], v[2:3], v[4:5]
	v_mul_f64 v[4:5], v[98:99], v[38:39]
	s_waitcnt vmcnt(24)
	v_fmac_f64_e32 v[122:123], v[110:111], v[142:143]
	v_fma_f64 v[4:5], v[96:97], v[40:41], -v[4:5]
	v_add_f64 v[124:125], v[120:121], v[122:123]
	ds_read_b128 v[120:123], v54 offset:1808
	s_waitcnt lgkmcnt(1)
	v_mul_f64 v[126:127], v[112:113], v[116:117]
	v_add_f64 v[2:3], v[2:3], v[4:5]
	v_mul_f64 v[4:5], v[102:103], v[50:51]
	v_fmac_f64_e32 v[126:127], v[114:115], v[118:119]
	v_fma_f64 v[4:5], v[100:101], v[52:53], -v[4:5]
	v_add_f64 v[128:129], v[124:125], v[126:127]
	ds_read_b128 v[124:127], v54 offset:1824
	v_add_f64 v[2:3], v[2:3], v[4:5]
	v_mul_f64 v[4:5], v[106:107], v[46:47]
	v_fma_f64 v[4:5], v[104:105], v[48:49], -v[4:5]
	v_add_f64 v[2:3], v[2:3], v[4:5]
	v_mul_f64 v[4:5], v[110:111], v[140:141]
	s_waitcnt vmcnt(18) lgkmcnt(1)
	v_mul_f64 v[130:131], v[120:121], v[148:149]
	v_fma_f64 v[4:5], v[108:109], v[142:143], -v[4:5]
	s_waitcnt vmcnt(16)
	v_fmac_f64_e32 v[130:131], v[122:123], v[150:151]
	v_add_f64 v[2:3], v[2:3], v[4:5]
	v_mul_f64 v[4:5], v[114:115], v[116:117]
	v_add_f64 v[132:133], v[128:129], v[130:131]
	ds_read_b128 v[128:131], v54 offset:1840
	s_waitcnt lgkmcnt(1)
	v_mul_f64 v[134:135], v[124:125], v[144:145]
	v_fma_f64 v[4:5], v[112:113], v[118:119], -v[4:5]
	v_fmac_f64_e32 v[134:135], v[126:127], v[146:147]
	v_add_f64 v[2:3], v[2:3], v[4:5]
	v_mul_f64 v[4:5], v[122:123], v[148:149]
	v_add_f64 v[168:169], v[132:133], v[134:135]
	ds_read_b128 v[132:135], v54 offset:1856
	v_fma_f64 v[4:5], v[120:121], v[150:151], -v[4:5]
	v_add_f64 v[2:3], v[2:3], v[4:5]
	v_mul_f64 v[4:5], v[126:127], v[144:145]
	v_fma_f64 v[4:5], v[124:125], v[146:147], -v[4:5]
	v_add_f64 v[2:3], v[2:3], v[4:5]
	s_waitcnt vmcnt(10) lgkmcnt(1)
	v_mul_f64 v[4:5], v[130:131], v[156:157]
	v_mul_f64 v[170:171], v[128:129], v[156:157]
	s_waitcnt vmcnt(8)
	v_fma_f64 v[4:5], v[128:129], v[158:159], -v[4:5]
	v_fmac_f64_e32 v[170:171], v[130:131], v[158:159]
	v_add_f64 v[2:3], v[2:3], v[4:5]
	s_waitcnt lgkmcnt(0)
	v_mul_f64 v[4:5], v[134:135], v[152:153]
	v_add_f64 v[54:55], v[168:169], v[170:171]
	v_mul_f64 v[168:169], v[132:133], v[152:153]
	v_fma_f64 v[4:5], v[132:133], v[154:155], -v[4:5]
	v_fmac_f64_e32 v[168:169], v[134:135], v[154:155]
	v_add_f64 v[2:3], v[2:3], v[4:5]
	s_waitcnt vmcnt(6)
	v_mul_f64 v[4:5], v[138:139], v[160:161]
	v_add_f64 v[54:55], v[54:55], v[168:169]
	v_mul_f64 v[168:169], v[136:137], v[160:161]
	s_waitcnt vmcnt(4)
	v_fma_f64 v[4:5], v[136:137], v[162:163], -v[4:5]
	v_fmac_f64_e32 v[168:169], v[138:139], v[162:163]
	v_add_f64 v[2:3], v[2:3], v[4:5]
	v_add_f64 v[54:55], v[54:55], v[168:169]
	s_waitcnt vmcnt(2)
	v_add_f64 v[2:3], v[164:165], -v[2:3]
	s_waitcnt vmcnt(0)
	v_add_f64 v[4:5], v[166:167], -v[54:55]
	buffer_store_dword v3, off, s[0:3], 0 offset:628
	buffer_store_dword v2, off, s[0:3], 0 offset:624
	;; [unrolled: 1-line block ×4, first 2 shown]
	s_and_saveexec_b64 s[4:5], vcc
	s_cbranch_execz .LBB58_293
; %bb.292:
	v_accvgpr_read_b32 v0, a139
	buffer_load_dword v2, v0, s[0:3], 0 offen
	buffer_load_dword v3, v0, s[0:3], 0 offen offset:4
	buffer_load_dword v4, v0, s[0:3], 0 offen offset:8
	;; [unrolled: 1-line block ×3, first 2 shown]
	v_mov_b32_e32 v0, 0
	v_accvgpr_read_b32 v1, a177
	buffer_store_dword v0, off, s[0:3], 0 offset:608
	buffer_store_dword v0, off, s[0:3], 0 offset:612
	;; [unrolled: 1-line block ×4, first 2 shown]
	s_waitcnt vmcnt(4)
	ds_write_b128 v1, v[2:5]
.LBB58_293:
	s_or_b64 exec, exec, s[4:5]
	s_waitcnt lgkmcnt(0)
	; wave barrier
	s_waitcnt lgkmcnt(0)
	buffer_load_dword v4, off, s[0:3], 0 offset:608
	buffer_load_dword v5, off, s[0:3], 0 offset:612
	;; [unrolled: 1-line block ×84, first 2 shown]
	v_mov_b32_e32 v86, 0
	ds_read_b128 v[66:69], v86 offset:1552
	buffer_load_dword v173, off, s[0:3], 0 offset:956
	buffer_load_dword v172, off, s[0:3], 0 offset:952
	;; [unrolled: 1-line block ×4, first 2 shown]
	ds_read_b128 v[70:73], v86 offset:1568
	ds_read_b128 v[74:77], v86 offset:1584
	;; [unrolled: 1-line block ×4, first 2 shown]
	v_cmp_lt_u32_e32 vcc, 36, v228
	s_waitcnt vmcnt(62) lgkmcnt(4)
	v_mul_f64 v[82:83], v[66:67], v[12:13]
	v_fmac_f64_e32 v[82:83], v[68:69], v[6:7]
	s_waitcnt lgkmcnt(3)
	v_mul_f64 v[84:85], v[70:71], v[14:15]
	v_add_f64 v[82:83], v[82:83], 0
	v_fmac_f64_e32 v[84:85], v[72:73], v[8:9]
	v_add_f64 v[82:83], v[82:83], v[84:85]
	s_waitcnt lgkmcnt(2)
	v_mul_f64 v[84:85], v[74:75], v[16:17]
	v_fmac_f64_e32 v[84:85], v[76:77], v[10:11]
	v_add_f64 v[88:89], v[82:83], v[84:85]
	ds_read_b128 v[82:85], v86 offset:1616
	v_mul_f64 v[12:13], v[68:69], v[12:13]
	s_waitcnt lgkmcnt(2)
	v_mul_f64 v[90:91], v[78:79], v[22:23]
	v_fma_f64 v[6:7], v[66:67], v[6:7], -v[12:13]
	v_fmac_f64_e32 v[90:91], v[80:81], v[24:25]
	v_add_f64 v[92:93], v[88:89], v[90:91]
	ds_read_b128 v[88:91], v86 offset:1632
	s_waitcnt lgkmcnt(1)
	v_mul_f64 v[94:95], v[82:83], v[18:19]
	v_fmac_f64_e32 v[94:95], v[84:85], v[20:21]
	v_add_f64 v[96:97], v[92:93], v[94:95]
	ds_read_b128 v[92:95], v86 offset:1648
	s_waitcnt vmcnt(58) lgkmcnt(1)
	v_mul_f64 v[98:99], v[88:89], v[30:31]
	s_waitcnt vmcnt(56)
	v_fmac_f64_e32 v[98:99], v[90:91], v[32:33]
	v_add_f64 v[100:101], v[96:97], v[98:99]
	ds_read_b128 v[96:99], v86 offset:1664
	s_waitcnt lgkmcnt(1)
	v_mul_f64 v[102:103], v[92:93], v[26:27]
	v_fmac_f64_e32 v[102:103], v[94:95], v[28:29]
	v_add_f64 v[104:105], v[100:101], v[102:103]
	ds_read_b128 v[100:103], v86 offset:1680
	s_waitcnt vmcnt(50) lgkmcnt(1)
	v_mul_f64 v[106:107], v[96:97], v[38:39]
	s_waitcnt vmcnt(48)
	v_fmac_f64_e32 v[106:107], v[98:99], v[40:41]
	v_add_f64 v[108:109], v[104:105], v[106:107]
	ds_read_b128 v[104:107], v86 offset:1696
	s_waitcnt lgkmcnt(1)
	v_mul_f64 v[110:111], v[100:101], v[34:35]
	v_fmac_f64_e32 v[110:111], v[102:103], v[36:37]
	v_mul_f64 v[12:13], v[72:73], v[14:15]
	v_add_f64 v[112:113], v[108:109], v[110:111]
	ds_read_b128 v[108:111], v86 offset:1712
	s_waitcnt vmcnt(42) lgkmcnt(1)
	v_mul_f64 v[114:115], v[104:105], v[46:47]
	v_add_f64 v[6:7], v[6:7], 0
	v_fma_f64 v[8:9], v[70:71], v[8:9], -v[12:13]
	s_waitcnt vmcnt(40)
	v_fmac_f64_e32 v[114:115], v[106:107], v[48:49]
	v_add_f64 v[6:7], v[6:7], v[8:9]
	v_mul_f64 v[8:9], v[76:77], v[16:17]
	v_add_f64 v[120:121], v[112:113], v[114:115]
	ds_read_b128 v[112:115], v86 offset:1728
	v_fma_f64 v[8:9], v[74:75], v[10:11], -v[8:9]
	v_add_f64 v[6:7], v[6:7], v[8:9]
	v_mul_f64 v[8:9], v[80:81], v[22:23]
	v_fma_f64 v[8:9], v[78:79], v[24:25], -v[8:9]
	s_waitcnt lgkmcnt(1)
	v_mul_f64 v[122:123], v[108:109], v[42:43]
	v_add_f64 v[6:7], v[6:7], v[8:9]
	v_mul_f64 v[8:9], v[84:85], v[18:19]
	v_fmac_f64_e32 v[122:123], v[110:111], v[44:45]
	v_fma_f64 v[8:9], v[82:83], v[20:21], -v[8:9]
	v_add_f64 v[124:125], v[120:121], v[122:123]
	ds_read_b128 v[120:123], v86 offset:1744
	s_waitcnt vmcnt(34) lgkmcnt(1)
	v_mul_f64 v[126:127], v[112:113], v[54:55]
	v_add_f64 v[6:7], v[6:7], v[8:9]
	v_mul_f64 v[8:9], v[90:91], v[30:31]
	s_waitcnt vmcnt(32)
	v_fmac_f64_e32 v[126:127], v[114:115], v[56:57]
	v_fma_f64 v[8:9], v[88:89], v[32:33], -v[8:9]
	v_add_f64 v[128:129], v[124:125], v[126:127]
	ds_read_b128 v[124:127], v86 offset:1760
	v_add_f64 v[6:7], v[6:7], v[8:9]
	v_mul_f64 v[8:9], v[94:95], v[26:27]
	v_fma_f64 v[8:9], v[92:93], v[28:29], -v[8:9]
	v_add_f64 v[6:7], v[6:7], v[8:9]
	v_mul_f64 v[8:9], v[98:99], v[38:39]
	s_waitcnt lgkmcnt(1)
	v_mul_f64 v[130:131], v[120:121], v[50:51]
	v_fma_f64 v[8:9], v[96:97], v[40:41], -v[8:9]
	v_fmac_f64_e32 v[130:131], v[122:123], v[52:53]
	v_add_f64 v[6:7], v[6:7], v[8:9]
	v_mul_f64 v[8:9], v[102:103], v[34:35]
	v_add_f64 v[132:133], v[128:129], v[130:131]
	ds_read_b128 v[128:131], v86 offset:1776
	s_waitcnt vmcnt(26) lgkmcnt(1)
	v_mul_f64 v[134:135], v[124:125], v[62:63]
	v_fma_f64 v[8:9], v[100:101], v[36:37], -v[8:9]
	s_waitcnt vmcnt(24)
	v_fmac_f64_e32 v[134:135], v[126:127], v[64:65]
	v_add_f64 v[6:7], v[6:7], v[8:9]
	v_mul_f64 v[8:9], v[106:107], v[46:47]
	v_add_f64 v[136:137], v[132:133], v[134:135]
	ds_read_b128 v[132:135], v86 offset:1792
	v_fma_f64 v[8:9], v[104:105], v[48:49], -v[8:9]
	v_add_f64 v[6:7], v[6:7], v[8:9]
	v_mul_f64 v[8:9], v[110:111], v[42:43]
	v_fma_f64 v[8:9], v[108:109], v[44:45], -v[8:9]
	s_waitcnt lgkmcnt(1)
	v_mul_f64 v[138:139], v[128:129], v[58:59]
	v_add_f64 v[6:7], v[6:7], v[8:9]
	v_mul_f64 v[8:9], v[114:115], v[54:55]
	v_fmac_f64_e32 v[138:139], v[130:131], v[60:61]
	v_fma_f64 v[8:9], v[112:113], v[56:57], -v[8:9]
	v_add_f64 v[140:141], v[136:137], v[138:139]
	ds_read_b128 v[136:139], v86 offset:1808
	s_waitcnt vmcnt(18) lgkmcnt(1)
	v_mul_f64 v[142:143], v[132:133], v[156:157]
	v_add_f64 v[6:7], v[6:7], v[8:9]
	v_mul_f64 v[8:9], v[122:123], v[50:51]
	s_waitcnt vmcnt(16)
	v_fmac_f64_e32 v[142:143], v[134:135], v[158:159]
	v_fma_f64 v[8:9], v[120:121], v[52:53], -v[8:9]
	v_add_f64 v[144:145], v[140:141], v[142:143]
	ds_read_b128 v[140:143], v86 offset:1824
	v_add_f64 v[6:7], v[6:7], v[8:9]
	v_mul_f64 v[8:9], v[126:127], v[62:63]
	v_fma_f64 v[8:9], v[124:125], v[64:65], -v[8:9]
	v_add_f64 v[6:7], v[6:7], v[8:9]
	v_mul_f64 v[8:9], v[130:131], v[58:59]
	s_waitcnt lgkmcnt(1)
	v_mul_f64 v[146:147], v[136:137], v[116:117]
	v_fma_f64 v[8:9], v[128:129], v[60:61], -v[8:9]
	v_fmac_f64_e32 v[146:147], v[138:139], v[118:119]
	v_add_f64 v[6:7], v[6:7], v[8:9]
	v_mul_f64 v[8:9], v[134:135], v[156:157]
	v_add_f64 v[148:149], v[144:145], v[146:147]
	ds_read_b128 v[144:147], v86 offset:1840
	s_waitcnt vmcnt(10) lgkmcnt(1)
	v_mul_f64 v[150:151], v[140:141], v[164:165]
	v_fma_f64 v[8:9], v[132:133], v[158:159], -v[8:9]
	s_waitcnt vmcnt(8)
	v_fmac_f64_e32 v[150:151], v[142:143], v[166:167]
	v_add_f64 v[6:7], v[6:7], v[8:9]
	v_mul_f64 v[8:9], v[138:139], v[116:117]
	v_add_f64 v[176:177], v[148:149], v[150:151]
	ds_read_b128 v[148:151], v86 offset:1856
	v_fma_f64 v[8:9], v[136:137], v[118:119], -v[8:9]
	v_add_f64 v[6:7], v[6:7], v[8:9]
	v_mul_f64 v[8:9], v[142:143], v[164:165]
	v_fma_f64 v[8:9], v[140:141], v[166:167], -v[8:9]
	v_add_f64 v[6:7], v[6:7], v[8:9]
	s_waitcnt lgkmcnt(1)
	v_mul_f64 v[8:9], v[146:147], v[160:161]
	v_mul_f64 v[178:179], v[144:145], v[160:161]
	v_fma_f64 v[8:9], v[144:145], v[162:163], -v[8:9]
	v_fmac_f64_e32 v[178:179], v[146:147], v[162:163]
	v_add_f64 v[6:7], v[6:7], v[8:9]
	s_waitcnt vmcnt(6) lgkmcnt(0)
	v_mul_f64 v[8:9], v[150:151], v[168:169]
	v_add_f64 v[176:177], v[176:177], v[178:179]
	v_mul_f64 v[178:179], v[148:149], v[168:169]
	s_waitcnt vmcnt(4)
	v_fma_f64 v[8:9], v[148:149], v[170:171], -v[8:9]
	v_fmac_f64_e32 v[178:179], v[150:151], v[170:171]
	v_add_f64 v[6:7], v[6:7], v[8:9]
	s_waitcnt vmcnt(2)
	v_mul_f64 v[8:9], v[154:155], v[172:173]
	v_add_f64 v[176:177], v[176:177], v[178:179]
	v_mul_f64 v[178:179], v[152:153], v[172:173]
	s_waitcnt vmcnt(0)
	v_fma_f64 v[8:9], v[152:153], v[174:175], -v[8:9]
	v_fmac_f64_e32 v[178:179], v[154:155], v[174:175]
	v_add_f64 v[6:7], v[6:7], v[8:9]
	v_add_f64 v[176:177], v[176:177], v[178:179]
	v_add_f64 v[4:5], v[4:5], -v[6:7]
	v_add_f64 v[2:3], v[2:3], -v[176:177]
	buffer_store_dword v5, off, s[0:3], 0 offset:612
	buffer_store_dword v4, off, s[0:3], 0 offset:608
	;; [unrolled: 1-line block ×4, first 2 shown]
	s_and_saveexec_b64 s[4:5], vcc
	s_cbranch_execz .LBB58_295
; %bb.294:
	v_accvgpr_read_b32 v0, a140
	buffer_load_dword v2, v0, s[0:3], 0 offen
	buffer_load_dword v3, v0, s[0:3], 0 offen offset:4
	buffer_load_dword v4, v0, s[0:3], 0 offen offset:8
	;; [unrolled: 1-line block ×3, first 2 shown]
	v_accvgpr_read_b32 v0, a177
	buffer_store_dword v86, off, s[0:3], 0 offset:592
	buffer_store_dword v86, off, s[0:3], 0 offset:596
	;; [unrolled: 1-line block ×4, first 2 shown]
	s_waitcnt vmcnt(4)
	ds_write_b128 v0, v[2:5]
.LBB58_295:
	s_or_b64 exec, exec, s[4:5]
	s_waitcnt lgkmcnt(0)
	; wave barrier
	s_waitcnt lgkmcnt(0)
	ds_read_b128 v[14:17], v86 offset:1536
	ds_read_b128 v[10:13], v86 offset:1552
	;; [unrolled: 1-line block ×4, first 2 shown]
	buffer_load_dword v20, off, s[0:3], 0 offset:592
	buffer_load_dword v21, off, s[0:3], 0 offset:596
	;; [unrolled: 1-line block ×92, first 2 shown]
	s_waitcnt vmcnt(62) lgkmcnt(3)
	v_mul_f64 v[88:89], v[14:15], v[28:29]
	v_fmac_f64_e32 v[88:89], v[16:17], v[22:23]
	s_waitcnt lgkmcnt(2)
	v_mul_f64 v[90:91], v[10:11], v[30:31]
	v_add_f64 v[88:89], v[88:89], 0
	v_fmac_f64_e32 v[90:91], v[12:13], v[24:25]
	v_add_f64 v[88:89], v[88:89], v[90:91]
	s_waitcnt lgkmcnt(1)
	v_mul_f64 v[90:91], v[6:7], v[32:33]
	v_fmac_f64_e32 v[90:91], v[8:9], v[26:27]
	v_add_f64 v[92:93], v[88:89], v[90:91]
	ds_read_b128 v[88:91], v86 offset:1600
	v_mul_f64 v[16:17], v[16:17], v[28:29]
	v_fma_f64 v[14:15], v[14:15], v[22:23], -v[16:17]
	s_waitcnt lgkmcnt(1)
	v_mul_f64 v[94:95], v[2:3], v[38:39]
	v_mul_f64 v[12:13], v[12:13], v[30:31]
	v_fmac_f64_e32 v[94:95], v[4:5], v[40:41]
	v_add_f64 v[96:97], v[92:93], v[94:95]
	ds_read_b128 v[92:95], v86 offset:1616
	s_waitcnt lgkmcnt(1)
	v_mul_f64 v[98:99], v[88:89], v[34:35]
	v_fmac_f64_e32 v[98:99], v[90:91], v[36:37]
	v_add_f64 v[100:101], v[96:97], v[98:99]
	ds_read_b128 v[96:99], v86 offset:1632
	s_waitcnt lgkmcnt(1)
	v_mul_f64 v[102:103], v[92:93], v[46:47]
	s_waitcnt vmcnt(60)
	v_fmac_f64_e32 v[102:103], v[94:95], v[48:49]
	v_add_f64 v[104:105], v[100:101], v[102:103]
	ds_read_b128 v[100:103], v86 offset:1648
	s_waitcnt lgkmcnt(1)
	v_mul_f64 v[106:107], v[96:97], v[42:43]
	v_fmac_f64_e32 v[106:107], v[98:99], v[44:45]
	v_add_f64 v[108:109], v[104:105], v[106:107]
	ds_read_b128 v[104:107], v86 offset:1664
	s_waitcnt vmcnt(54) lgkmcnt(1)
	v_mul_f64 v[110:111], v[100:101], v[54:55]
	s_waitcnt vmcnt(52)
	v_fmac_f64_e32 v[110:111], v[102:103], v[56:57]
	v_add_f64 v[112:113], v[108:109], v[110:111]
	ds_read_b128 v[108:111], v86 offset:1680
	s_waitcnt lgkmcnt(1)
	v_mul_f64 v[114:115], v[104:105], v[50:51]
	v_fmac_f64_e32 v[114:115], v[106:107], v[52:53]
	v_add_f64 v[120:121], v[112:113], v[114:115]
	ds_read_b128 v[112:115], v86 offset:1696
	s_waitcnt vmcnt(46) lgkmcnt(1)
	v_mul_f64 v[122:123], v[108:109], v[62:63]
	s_waitcnt vmcnt(44)
	v_fmac_f64_e32 v[122:123], v[110:111], v[64:65]
	v_add_f64 v[124:125], v[120:121], v[122:123]
	ds_read_b128 v[120:123], v86 offset:1712
	s_waitcnt lgkmcnt(1)
	v_mul_f64 v[126:127], v[112:113], v[58:59]
	v_fmac_f64_e32 v[126:127], v[114:115], v[60:61]
	v_add_f64 v[14:15], v[14:15], 0
	v_fma_f64 v[10:11], v[10:11], v[24:25], -v[12:13]
	v_mul_f64 v[8:9], v[8:9], v[32:33]
	v_add_f64 v[128:129], v[124:125], v[126:127]
	ds_read_b128 v[124:127], v86 offset:1728
	v_add_f64 v[10:11], v[14:15], v[10:11]
	v_fma_f64 v[6:7], v[6:7], v[26:27], -v[8:9]
	v_mul_f64 v[4:5], v[4:5], v[38:39]
	v_add_f64 v[6:7], v[10:11], v[6:7]
	v_fma_f64 v[2:3], v[2:3], v[40:41], -v[4:5]
	v_mul_f64 v[4:5], v[90:91], v[34:35]
	v_add_f64 v[2:3], v[6:7], v[2:3]
	v_fma_f64 v[4:5], v[88:89], v[36:37], -v[4:5]
	s_waitcnt vmcnt(38) lgkmcnt(1)
	v_mul_f64 v[130:131], v[120:121], v[70:71]
	v_add_f64 v[2:3], v[2:3], v[4:5]
	v_mul_f64 v[4:5], v[94:95], v[46:47]
	s_waitcnt vmcnt(36)
	v_fmac_f64_e32 v[130:131], v[122:123], v[72:73]
	v_fma_f64 v[4:5], v[92:93], v[48:49], -v[4:5]
	v_add_f64 v[132:133], v[128:129], v[130:131]
	ds_read_b128 v[128:131], v86 offset:1744
	s_waitcnt lgkmcnt(1)
	v_mul_f64 v[134:135], v[124:125], v[66:67]
	v_add_f64 v[2:3], v[2:3], v[4:5]
	v_mul_f64 v[4:5], v[98:99], v[42:43]
	v_fmac_f64_e32 v[134:135], v[126:127], v[68:69]
	v_fma_f64 v[4:5], v[96:97], v[44:45], -v[4:5]
	v_add_f64 v[136:137], v[132:133], v[134:135]
	ds_read_b128 v[132:135], v86 offset:1760
	v_add_f64 v[2:3], v[2:3], v[4:5]
	v_mul_f64 v[4:5], v[102:103], v[54:55]
	v_fma_f64 v[4:5], v[100:101], v[56:57], -v[4:5]
	v_add_f64 v[2:3], v[2:3], v[4:5]
	v_mul_f64 v[4:5], v[106:107], v[50:51]
	s_waitcnt vmcnt(30) lgkmcnt(1)
	v_mul_f64 v[138:139], v[128:129], v[78:79]
	v_fma_f64 v[4:5], v[104:105], v[52:53], -v[4:5]
	s_waitcnt vmcnt(28)
	v_fmac_f64_e32 v[138:139], v[130:131], v[80:81]
	v_add_f64 v[2:3], v[2:3], v[4:5]
	v_mul_f64 v[4:5], v[110:111], v[62:63]
	v_add_f64 v[140:141], v[136:137], v[138:139]
	ds_read_b128 v[136:139], v86 offset:1776
	s_waitcnt lgkmcnt(1)
	v_mul_f64 v[142:143], v[132:133], v[74:75]
	v_fma_f64 v[4:5], v[108:109], v[64:65], -v[4:5]
	v_fmac_f64_e32 v[142:143], v[134:135], v[76:77]
	v_add_f64 v[2:3], v[2:3], v[4:5]
	v_mul_f64 v[4:5], v[114:115], v[58:59]
	v_add_f64 v[144:145], v[140:141], v[142:143]
	ds_read_b128 v[140:143], v86 offset:1792
	v_fma_f64 v[4:5], v[112:113], v[60:61], -v[4:5]
	v_add_f64 v[2:3], v[2:3], v[4:5]
	v_mul_f64 v[4:5], v[122:123], v[70:71]
	v_fma_f64 v[4:5], v[120:121], v[72:73], -v[4:5]
	s_waitcnt vmcnt(22) lgkmcnt(1)
	v_mul_f64 v[146:147], v[136:137], v[116:117]
	v_add_f64 v[2:3], v[2:3], v[4:5]
	v_mul_f64 v[4:5], v[126:127], v[66:67]
	s_waitcnt vmcnt(20)
	v_fmac_f64_e32 v[146:147], v[138:139], v[118:119]
	v_fma_f64 v[4:5], v[124:125], v[68:69], -v[4:5]
	v_add_f64 v[148:149], v[144:145], v[146:147]
	ds_read_b128 v[144:147], v86 offset:1808
	s_waitcnt lgkmcnt(1)
	v_mul_f64 v[150:151], v[140:141], v[82:83]
	v_add_f64 v[2:3], v[2:3], v[4:5]
	v_mul_f64 v[4:5], v[130:131], v[78:79]
	v_fmac_f64_e32 v[150:151], v[142:143], v[84:85]
	v_fma_f64 v[4:5], v[128:129], v[80:81], -v[4:5]
	v_add_f64 v[152:153], v[148:149], v[150:151]
	ds_read_b128 v[148:151], v86 offset:1824
	v_add_f64 v[2:3], v[2:3], v[4:5]
	v_mul_f64 v[4:5], v[134:135], v[74:75]
	v_fma_f64 v[4:5], v[132:133], v[76:77], -v[4:5]
	v_add_f64 v[2:3], v[2:3], v[4:5]
	v_mul_f64 v[4:5], v[138:139], v[116:117]
	s_waitcnt vmcnt(14) lgkmcnt(1)
	v_mul_f64 v[154:155], v[144:145], v[168:169]
	v_fma_f64 v[4:5], v[136:137], v[118:119], -v[4:5]
	s_waitcnt vmcnt(12)
	v_fmac_f64_e32 v[154:155], v[146:147], v[170:171]
	v_add_f64 v[2:3], v[2:3], v[4:5]
	v_mul_f64 v[4:5], v[142:143], v[82:83]
	v_add_f64 v[156:157], v[152:153], v[154:155]
	ds_read_b128 v[152:155], v86 offset:1840
	s_waitcnt lgkmcnt(1)
	v_mul_f64 v[158:159], v[148:149], v[164:165]
	v_fma_f64 v[4:5], v[140:141], v[84:85], -v[4:5]
	v_fmac_f64_e32 v[158:159], v[150:151], v[166:167]
	v_add_f64 v[2:3], v[2:3], v[4:5]
	v_mul_f64 v[4:5], v[146:147], v[168:169]
	v_add_f64 v[184:185], v[156:157], v[158:159]
	ds_read_b128 v[156:159], v86 offset:1856
	ds_read_b128 v[160:163], v86 offset:1872
	v_fma_f64 v[4:5], v[144:145], v[170:171], -v[4:5]
	v_add_f64 v[2:3], v[2:3], v[4:5]
	v_mul_f64 v[4:5], v[150:151], v[164:165]
	v_fma_f64 v[4:5], v[148:149], v[166:167], -v[4:5]
	v_add_f64 v[2:3], v[2:3], v[4:5]
	s_waitcnt vmcnt(6) lgkmcnt(2)
	v_mul_f64 v[4:5], v[154:155], v[176:177]
	v_mul_f64 v[186:187], v[152:153], v[176:177]
	s_waitcnt vmcnt(4)
	v_fma_f64 v[4:5], v[152:153], v[178:179], -v[4:5]
	v_fmac_f64_e32 v[186:187], v[154:155], v[178:179]
	v_add_f64 v[2:3], v[2:3], v[4:5]
	s_waitcnt lgkmcnt(1)
	v_mul_f64 v[4:5], v[158:159], v[172:173]
	v_add_f64 v[86:87], v[184:185], v[186:187]
	v_mul_f64 v[184:185], v[156:157], v[172:173]
	v_fma_f64 v[4:5], v[156:157], v[174:175], -v[4:5]
	v_fmac_f64_e32 v[184:185], v[158:159], v[174:175]
	v_add_f64 v[2:3], v[2:3], v[4:5]
	s_waitcnt vmcnt(2) lgkmcnt(0)
	v_mul_f64 v[4:5], v[162:163], v[180:181]
	v_add_f64 v[86:87], v[86:87], v[184:185]
	v_mul_f64 v[184:185], v[160:161], v[180:181]
	s_waitcnt vmcnt(0)
	v_fma_f64 v[4:5], v[160:161], v[182:183], -v[4:5]
	v_fmac_f64_e32 v[184:185], v[162:163], v[182:183]
	v_add_f64 v[2:3], v[2:3], v[4:5]
	v_add_f64 v[86:87], v[86:87], v[184:185]
	v_add_f64 v[2:3], v[20:21], -v[2:3]
	v_cmp_lt_u32_e32 vcc, 35, v228
	v_add_f64 v[4:5], v[18:19], -v[86:87]
	buffer_store_dword v3, off, s[0:3], 0 offset:596
	buffer_store_dword v2, off, s[0:3], 0 offset:592
	;; [unrolled: 1-line block ×4, first 2 shown]
	s_and_saveexec_b64 s[4:5], vcc
	s_cbranch_execz .LBB58_297
; %bb.296:
	v_accvgpr_read_b32 v0, a141
	buffer_load_dword v2, v0, s[0:3], 0 offen
	buffer_load_dword v3, v0, s[0:3], 0 offen offset:4
	buffer_load_dword v4, v0, s[0:3], 0 offen offset:8
	;; [unrolled: 1-line block ×3, first 2 shown]
	v_mov_b32_e32 v0, 0
	v_accvgpr_read_b32 v1, a177
	buffer_store_dword v0, off, s[0:3], 0 offset:576
	buffer_store_dword v0, off, s[0:3], 0 offset:580
	;; [unrolled: 1-line block ×4, first 2 shown]
	s_waitcnt vmcnt(4)
	ds_write_b128 v1, v[2:5]
.LBB58_297:
	s_or_b64 exec, exec, s[4:5]
	s_waitcnt lgkmcnt(0)
	; wave barrier
	s_waitcnt lgkmcnt(0)
	buffer_load_dword v9, off, s[0:3], 0 offset:604
	buffer_load_dword v6, off, s[0:3], 0 offset:616
	;; [unrolled: 1-line block ×64, first 2 shown]
	v_mov_b32_e32 v98, 0
	ds_read_b128 v[74:77], v98 offset:1520
	ds_read_b128 v[78:81], v98 offset:1536
	buffer_load_dword v67, off, s[0:3], 0 offset:860
	buffer_load_dword v66, off, s[0:3], 0 offset:856
	;; [unrolled: 1-line block ×8, first 2 shown]
	ds_read_b128 v[82:85], v98 offset:1552
	ds_read_b128 v[86:89], v98 offset:1568
	buffer_load_dword v117, off, s[0:3], 0 offset:892
	buffer_load_dword v116, off, s[0:3], 0 offset:888
	;; [unrolled: 1-line block ×24, first 2 shown]
	ds_read_b128 v[168:171], v98 offset:1872
	v_cmp_lt_u32_e32 vcc, 34, v228
	s_waitcnt vmcnt(62) lgkmcnt(1)
	v_mul_f64 v[96:97], v[86:87], v[22:23]
	v_fmac_f64_e32 v[96:97], v[88:89], v[24:25]
	v_mul_f64 v[92:93], v[78:79], v[6:7]
	v_mul_f64 v[90:91], v[74:75], v[8:9]
	;; [unrolled: 1-line block ×3, first 2 shown]
	v_fmac_f64_e32 v[90:91], v[76:77], v[10:11]
	v_add_f64 v[90:91], v[90:91], 0
	v_fma_f64 v[8:9], v[74:75], v[10:11], -v[8:9]
	v_mul_f64 v[6:7], v[80:81], v[6:7]
	v_add_f64 v[8:9], v[8:9], 0
	v_fmac_f64_e32 v[92:93], v[80:81], v[14:15]
	v_add_f64 v[90:91], v[90:91], v[92:93]
	v_mul_f64 v[92:93], v[82:83], v[16:17]
	v_fmac_f64_e32 v[92:93], v[84:85], v[12:13]
	v_add_f64 v[94:95], v[90:91], v[92:93]
	ds_read_b128 v[90:93], v98 offset:1584
	v_add_f64 v[100:101], v[94:95], v[96:97]
	ds_read_b128 v[94:97], v98 offset:1600
	v_fma_f64 v[6:7], v[78:79], v[14:15], -v[6:7]
	v_add_f64 v[6:7], v[8:9], v[6:7]
	s_waitcnt lgkmcnt(1)
	v_mul_f64 v[102:103], v[90:91], v[18:19]
	v_fmac_f64_e32 v[102:103], v[92:93], v[20:21]
	v_add_f64 v[104:105], v[100:101], v[102:103]
	ds_read_b128 v[100:103], v98 offset:1616
	s_waitcnt lgkmcnt(1)
	v_mul_f64 v[106:107], v[94:95], v[30:31]
	v_fmac_f64_e32 v[106:107], v[96:97], v[32:33]
	v_add_f64 v[108:109], v[104:105], v[106:107]
	ds_read_b128 v[104:107], v98 offset:1632
	;; [unrolled: 5-line block ×3, first 2 shown]
	s_waitcnt vmcnt(58) lgkmcnt(1)
	v_mul_f64 v[114:115], v[104:105], v[38:39]
	s_waitcnt vmcnt(56)
	v_fmac_f64_e32 v[114:115], v[106:107], v[40:41]
	v_add_f64 v[120:121], v[112:113], v[114:115]
	ds_read_b128 v[112:115], v98 offset:1664
	s_waitcnt lgkmcnt(1)
	v_mul_f64 v[122:123], v[108:109], v[34:35]
	v_fmac_f64_e32 v[122:123], v[110:111], v[36:37]
	v_add_f64 v[124:125], v[120:121], v[122:123]
	ds_read_b128 v[120:123], v98 offset:1680
	s_waitcnt vmcnt(50) lgkmcnt(1)
	v_mul_f64 v[126:127], v[112:113], v[46:47]
	s_waitcnt vmcnt(48)
	v_fmac_f64_e32 v[126:127], v[114:115], v[48:49]
	v_add_f64 v[128:129], v[124:125], v[126:127]
	ds_read_b128 v[124:127], v98 offset:1696
	v_mul_f64 v[8:9], v[84:85], v[16:17]
	s_waitcnt lgkmcnt(1)
	v_mul_f64 v[130:131], v[120:121], v[42:43]
	v_fma_f64 v[8:9], v[82:83], v[12:13], -v[8:9]
	v_fmac_f64_e32 v[130:131], v[122:123], v[44:45]
	v_add_f64 v[6:7], v[6:7], v[8:9]
	v_mul_f64 v[8:9], v[88:89], v[22:23]
	v_add_f64 v[132:133], v[128:129], v[130:131]
	ds_read_b128 v[128:131], v98 offset:1712
	s_waitcnt vmcnt(42) lgkmcnt(1)
	v_mul_f64 v[134:135], v[124:125], v[54:55]
	v_fma_f64 v[8:9], v[86:87], v[24:25], -v[8:9]
	s_waitcnt vmcnt(40)
	v_fmac_f64_e32 v[134:135], v[126:127], v[56:57]
	v_add_f64 v[6:7], v[6:7], v[8:9]
	v_mul_f64 v[8:9], v[92:93], v[18:19]
	v_add_f64 v[136:137], v[132:133], v[134:135]
	ds_read_b128 v[132:135], v98 offset:1728
	v_fma_f64 v[8:9], v[90:91], v[20:21], -v[8:9]
	v_add_f64 v[6:7], v[6:7], v[8:9]
	v_mul_f64 v[8:9], v[96:97], v[30:31]
	v_fma_f64 v[8:9], v[94:95], v[32:33], -v[8:9]
	s_waitcnt lgkmcnt(1)
	v_mul_f64 v[138:139], v[128:129], v[50:51]
	v_add_f64 v[6:7], v[6:7], v[8:9]
	v_mul_f64 v[8:9], v[102:103], v[26:27]
	v_fmac_f64_e32 v[138:139], v[130:131], v[52:53]
	v_fma_f64 v[8:9], v[100:101], v[28:29], -v[8:9]
	v_add_f64 v[140:141], v[136:137], v[138:139]
	ds_read_b128 v[136:139], v98 offset:1744
	s_waitcnt vmcnt(34) lgkmcnt(1)
	v_mul_f64 v[142:143], v[132:133], v[62:63]
	v_add_f64 v[6:7], v[6:7], v[8:9]
	v_mul_f64 v[8:9], v[106:107], v[38:39]
	s_waitcnt vmcnt(32)
	v_fmac_f64_e32 v[142:143], v[134:135], v[64:65]
	v_fma_f64 v[8:9], v[104:105], v[40:41], -v[8:9]
	v_add_f64 v[144:145], v[140:141], v[142:143]
	ds_read_b128 v[140:143], v98 offset:1760
	v_add_f64 v[6:7], v[6:7], v[8:9]
	v_mul_f64 v[8:9], v[110:111], v[34:35]
	v_fma_f64 v[8:9], v[108:109], v[36:37], -v[8:9]
	v_add_f64 v[6:7], v[6:7], v[8:9]
	v_mul_f64 v[8:9], v[114:115], v[46:47]
	s_waitcnt lgkmcnt(1)
	v_mul_f64 v[146:147], v[136:137], v[58:59]
	v_fma_f64 v[8:9], v[112:113], v[48:49], -v[8:9]
	v_fmac_f64_e32 v[146:147], v[138:139], v[60:61]
	v_add_f64 v[6:7], v[6:7], v[8:9]
	v_mul_f64 v[8:9], v[122:123], v[42:43]
	v_add_f64 v[148:149], v[144:145], v[146:147]
	ds_read_b128 v[144:147], v98 offset:1776
	s_waitcnt vmcnt(26) lgkmcnt(1)
	v_mul_f64 v[150:151], v[140:141], v[70:71]
	v_fma_f64 v[8:9], v[120:121], v[44:45], -v[8:9]
	s_waitcnt vmcnt(24)
	v_fmac_f64_e32 v[150:151], v[142:143], v[72:73]
	v_add_f64 v[6:7], v[6:7], v[8:9]
	v_mul_f64 v[8:9], v[126:127], v[54:55]
	v_add_f64 v[152:153], v[148:149], v[150:151]
	ds_read_b128 v[148:151], v98 offset:1792
	v_fma_f64 v[8:9], v[124:125], v[56:57], -v[8:9]
	v_add_f64 v[6:7], v[6:7], v[8:9]
	v_mul_f64 v[8:9], v[130:131], v[50:51]
	v_fma_f64 v[8:9], v[128:129], v[52:53], -v[8:9]
	s_waitcnt lgkmcnt(1)
	v_mul_f64 v[154:155], v[144:145], v[66:67]
	v_add_f64 v[6:7], v[6:7], v[8:9]
	v_mul_f64 v[8:9], v[134:135], v[62:63]
	v_fmac_f64_e32 v[154:155], v[146:147], v[68:69]
	v_fma_f64 v[8:9], v[132:133], v[64:65], -v[8:9]
	v_add_f64 v[156:157], v[152:153], v[154:155]
	ds_read_b128 v[152:155], v98 offset:1808
	s_waitcnt vmcnt(18) lgkmcnt(1)
	v_mul_f64 v[158:159], v[148:149], v[172:173]
	v_add_f64 v[6:7], v[6:7], v[8:9]
	v_mul_f64 v[8:9], v[138:139], v[58:59]
	s_waitcnt vmcnt(16)
	v_fmac_f64_e32 v[158:159], v[150:151], v[174:175]
	v_fma_f64 v[8:9], v[136:137], v[60:61], -v[8:9]
	v_add_f64 v[160:161], v[156:157], v[158:159]
	ds_read_b128 v[156:159], v98 offset:1824
	v_add_f64 v[6:7], v[6:7], v[8:9]
	v_mul_f64 v[8:9], v[142:143], v[70:71]
	v_fma_f64 v[8:9], v[140:141], v[72:73], -v[8:9]
	v_add_f64 v[6:7], v[6:7], v[8:9]
	v_mul_f64 v[8:9], v[146:147], v[66:67]
	s_waitcnt lgkmcnt(1)
	v_mul_f64 v[162:163], v[152:153], v[116:117]
	v_fma_f64 v[8:9], v[144:145], v[68:69], -v[8:9]
	v_fmac_f64_e32 v[162:163], v[154:155], v[118:119]
	v_add_f64 v[6:7], v[6:7], v[8:9]
	v_mul_f64 v[8:9], v[150:151], v[172:173]
	v_add_f64 v[164:165], v[160:161], v[162:163]
	ds_read_b128 v[160:163], v98 offset:1840
	s_waitcnt vmcnt(10) lgkmcnt(1)
	v_mul_f64 v[166:167], v[156:157], v[180:181]
	v_fma_f64 v[8:9], v[148:149], v[174:175], -v[8:9]
	s_waitcnt vmcnt(8)
	v_fmac_f64_e32 v[166:167], v[158:159], v[182:183]
	v_add_f64 v[6:7], v[6:7], v[8:9]
	v_mul_f64 v[8:9], v[154:155], v[116:117]
	v_add_f64 v[192:193], v[164:165], v[166:167]
	ds_read_b128 v[164:167], v98 offset:1856
	v_fma_f64 v[8:9], v[152:153], v[118:119], -v[8:9]
	v_add_f64 v[6:7], v[6:7], v[8:9]
	v_mul_f64 v[8:9], v[158:159], v[180:181]
	v_fma_f64 v[8:9], v[156:157], v[182:183], -v[8:9]
	v_add_f64 v[6:7], v[6:7], v[8:9]
	s_waitcnt lgkmcnt(1)
	v_mul_f64 v[8:9], v[162:163], v[176:177]
	v_mul_f64 v[194:195], v[160:161], v[176:177]
	v_fma_f64 v[8:9], v[160:161], v[178:179], -v[8:9]
	v_fmac_f64_e32 v[194:195], v[162:163], v[178:179]
	v_add_f64 v[6:7], v[6:7], v[8:9]
	s_waitcnt vmcnt(2) lgkmcnt(0)
	v_mul_f64 v[8:9], v[166:167], v[188:189]
	v_add_f64 v[192:193], v[192:193], v[194:195]
	v_mul_f64 v[194:195], v[164:165], v[188:189]
	s_waitcnt vmcnt(0)
	v_fma_f64 v[8:9], v[164:165], v[190:191], -v[8:9]
	v_fmac_f64_e32 v[194:195], v[166:167], v[190:191]
	v_add_f64 v[6:7], v[6:7], v[8:9]
	v_mul_f64 v[8:9], v[170:171], v[184:185]
	v_add_f64 v[192:193], v[192:193], v[194:195]
	v_mul_f64 v[194:195], v[168:169], v[184:185]
	v_fma_f64 v[8:9], v[168:169], v[186:187], -v[8:9]
	v_fmac_f64_e32 v[194:195], v[170:171], v[186:187]
	v_add_f64 v[6:7], v[6:7], v[8:9]
	v_add_f64 v[192:193], v[192:193], v[194:195]
	v_add_f64 v[4:5], v[4:5], -v[6:7]
	v_add_f64 v[2:3], v[2:3], -v[192:193]
	buffer_store_dword v5, off, s[0:3], 0 offset:580
	buffer_store_dword v4, off, s[0:3], 0 offset:576
	;; [unrolled: 1-line block ×4, first 2 shown]
	s_and_saveexec_b64 s[4:5], vcc
	s_cbranch_execz .LBB58_299
; %bb.298:
	v_accvgpr_read_b32 v0, a142
	buffer_load_dword v2, v0, s[0:3], 0 offen
	buffer_load_dword v3, v0, s[0:3], 0 offen offset:4
	buffer_load_dword v4, v0, s[0:3], 0 offen offset:8
	buffer_load_dword v5, v0, s[0:3], 0 offen offset:12
	v_accvgpr_read_b32 v0, a177
	buffer_store_dword v98, off, s[0:3], 0 offset:560
	buffer_store_dword v98, off, s[0:3], 0 offset:564
	;; [unrolled: 1-line block ×4, first 2 shown]
	s_waitcnt vmcnt(4)
	ds_write_b128 v0, v[2:5]
.LBB58_299:
	s_or_b64 exec, exec, s[4:5]
	s_waitcnt lgkmcnt(0)
	; wave barrier
	s_waitcnt lgkmcnt(0)
	buffer_load_dword v22, off, s[0:3], 0 offset:576
	buffer_load_dword v23, off, s[0:3], 0 offset:580
	buffer_load_dword v24, off, s[0:3], 0 offset:584
	buffer_load_dword v25, off, s[0:3], 0 offset:588
	buffer_load_dword v27, off, s[0:3], 0 offset:620
	buffer_load_dword v28, off, s[0:3], 0 offset:592
	buffer_load_dword v32, off, s[0:3], 0 offset:600
	buffer_load_dword v33, off, s[0:3], 0 offset:604
	buffer_load_dword v30, off, s[0:3], 0 offset:608
	buffer_load_dword v26, off, s[0:3], 0 offset:616
	buffer_load_dword v31, off, s[0:3], 0 offset:612
	buffer_load_dword v29, off, s[0:3], 0 offset:596
	buffer_load_dword v20, off, s[0:3], 0 offset:560
	buffer_load_dword v21, off, s[0:3], 0 offset:564
	buffer_load_dword v18, off, s[0:3], 0 offset:568
	buffer_load_dword v19, off, s[0:3], 0 offset:572
	ds_read_b128 v[2:5], v98 offset:1504
	ds_read_b128 v[6:9], v98 offset:1520
	;; [unrolled: 1-line block ×4, first 2 shown]
	buffer_load_dword v35, off, s[0:3], 0 offset:652
	buffer_load_dword v34, off, s[0:3], 0 offset:648
	;; [unrolled: 1-line block ×48, first 2 shown]
	v_cmp_lt_u32_e32 vcc, 33, v228
	s_waitcnt vmcnt(42) lgkmcnt(0)
	v_mul_f64 v[106:107], v[14:15], v[38:39]
	s_waitcnt vmcnt(40)
	v_fmac_f64_e32 v[106:107], v[16:17], v[40:41]
	v_mul_f64 v[82:83], v[2:3], v[24:25]
	v_fmac_f64_e32 v[82:83], v[4:5], v[22:23]
	v_add_f64 v[82:83], v[82:83], 0
	v_mul_f64 v[4:5], v[4:5], v[24:25]
	v_mul_f64 v[84:85], v[6:7], v[32:33]
	v_fma_f64 v[2:3], v[2:3], v[22:23], -v[4:5]
	v_mul_f64 v[100:101], v[10:11], v[26:27]
	v_fmac_f64_e32 v[100:101], v[12:13], v[30:31]
	v_fmac_f64_e32 v[84:85], v[8:9], v[28:29]
	v_add_f64 v[102:103], v[82:83], v[84:85]
	buffer_load_dword v83, off, s[0:3], 0 offset:844
	buffer_load_dword v82, off, s[0:3], 0 offset:840
	;; [unrolled: 1-line block ×32, first 2 shown]
	v_add_f64 v[104:105], v[102:103], v[100:101]
	ds_read_b128 v[100:103], v98 offset:1568
	buffer_load_dword v197, off, s[0:3], 0 offset:956
	buffer_load_dword v196, off, s[0:3], 0 offset:952
	;; [unrolled: 1-line block ×4, first 2 shown]
	v_add_f64 v[108:109], v[104:105], v[106:107]
	ds_read_b128 v[104:107], v98 offset:1584
	v_mul_f64 v[4:5], v[8:9], v[32:33]
	s_waitcnt lgkmcnt(1)
	v_mul_f64 v[110:111], v[100:101], v[34:35]
	v_fmac_f64_e32 v[110:111], v[102:103], v[36:37]
	v_add_f64 v[112:113], v[108:109], v[110:111]
	ds_read_b128 v[108:111], v98 offset:1600
	s_waitcnt vmcnt(62) lgkmcnt(1)
	v_mul_f64 v[114:115], v[104:105], v[46:47]
	v_fmac_f64_e32 v[114:115], v[106:107], v[48:49]
	v_add_f64 v[120:121], v[112:113], v[114:115]
	ds_read_b128 v[112:115], v98 offset:1616
	s_waitcnt lgkmcnt(1)
	v_mul_f64 v[122:123], v[108:109], v[42:43]
	v_fmac_f64_e32 v[122:123], v[110:111], v[44:45]
	v_add_f64 v[124:125], v[120:121], v[122:123]
	ds_read_b128 v[120:123], v98 offset:1632
	s_waitcnt lgkmcnt(1)
	v_mul_f64 v[126:127], v[112:113], v[54:55]
	s_waitcnt vmcnt(60)
	v_fmac_f64_e32 v[126:127], v[114:115], v[56:57]
	v_add_f64 v[128:129], v[124:125], v[126:127]
	ds_read_b128 v[124:127], v98 offset:1648
	s_waitcnt lgkmcnt(1)
	v_mul_f64 v[130:131], v[120:121], v[50:51]
	v_fmac_f64_e32 v[130:131], v[122:123], v[52:53]
	v_add_f64 v[132:133], v[128:129], v[130:131]
	ds_read_b128 v[128:131], v98 offset:1664
	s_waitcnt vmcnt(54) lgkmcnt(1)
	v_mul_f64 v[134:135], v[124:125], v[62:63]
	s_waitcnt vmcnt(52)
	v_fmac_f64_e32 v[134:135], v[126:127], v[64:65]
	v_add_f64 v[136:137], v[132:133], v[134:135]
	ds_read_b128 v[132:135], v98 offset:1680
	s_waitcnt lgkmcnt(1)
	v_mul_f64 v[138:139], v[128:129], v[58:59]
	v_fmac_f64_e32 v[138:139], v[130:131], v[60:61]
	v_add_f64 v[2:3], v[2:3], 0
	v_fma_f64 v[4:5], v[6:7], v[28:29], -v[4:5]
	v_add_f64 v[140:141], v[136:137], v[138:139]
	ds_read_b128 v[136:139], v98 offset:1696
	v_add_f64 v[2:3], v[2:3], v[4:5]
	v_mul_f64 v[4:5], v[12:13], v[26:27]
	v_fma_f64 v[4:5], v[10:11], v[30:31], -v[4:5]
	v_add_f64 v[2:3], v[2:3], v[4:5]
	v_mul_f64 v[4:5], v[16:17], v[38:39]
	s_waitcnt vmcnt(46) lgkmcnt(1)
	v_mul_f64 v[142:143], v[132:133], v[70:71]
	v_fma_f64 v[4:5], v[14:15], v[40:41], -v[4:5]
	s_waitcnt vmcnt(44)
	v_fmac_f64_e32 v[142:143], v[134:135], v[72:73]
	v_add_f64 v[2:3], v[2:3], v[4:5]
	v_mul_f64 v[4:5], v[102:103], v[34:35]
	v_add_f64 v[144:145], v[140:141], v[142:143]
	ds_read_b128 v[140:143], v98 offset:1712
	s_waitcnt lgkmcnt(1)
	v_mul_f64 v[146:147], v[136:137], v[66:67]
	v_fma_f64 v[4:5], v[100:101], v[36:37], -v[4:5]
	v_fmac_f64_e32 v[146:147], v[138:139], v[68:69]
	v_add_f64 v[2:3], v[2:3], v[4:5]
	v_mul_f64 v[4:5], v[106:107], v[46:47]
	v_add_f64 v[148:149], v[144:145], v[146:147]
	ds_read_b128 v[144:147], v98 offset:1728
	v_fma_f64 v[4:5], v[104:105], v[48:49], -v[4:5]
	v_add_f64 v[2:3], v[2:3], v[4:5]
	v_mul_f64 v[4:5], v[110:111], v[42:43]
	v_fma_f64 v[4:5], v[108:109], v[44:45], -v[4:5]
	s_waitcnt vmcnt(38) lgkmcnt(1)
	v_mul_f64 v[150:151], v[140:141], v[78:79]
	v_add_f64 v[2:3], v[2:3], v[4:5]
	v_mul_f64 v[4:5], v[114:115], v[54:55]
	s_waitcnt vmcnt(36)
	v_fmac_f64_e32 v[150:151], v[142:143], v[80:81]
	v_fma_f64 v[4:5], v[112:113], v[56:57], -v[4:5]
	v_add_f64 v[152:153], v[148:149], v[150:151]
	ds_read_b128 v[148:151], v98 offset:1744
	s_waitcnt lgkmcnt(1)
	v_mul_f64 v[154:155], v[144:145], v[74:75]
	v_add_f64 v[2:3], v[2:3], v[4:5]
	v_mul_f64 v[4:5], v[122:123], v[50:51]
	v_fmac_f64_e32 v[154:155], v[146:147], v[76:77]
	v_fma_f64 v[4:5], v[120:121], v[52:53], -v[4:5]
	v_add_f64 v[156:157], v[152:153], v[154:155]
	ds_read_b128 v[152:155], v98 offset:1760
	v_add_f64 v[2:3], v[2:3], v[4:5]
	v_mul_f64 v[4:5], v[126:127], v[62:63]
	v_fma_f64 v[4:5], v[124:125], v[64:65], -v[4:5]
	v_add_f64 v[2:3], v[2:3], v[4:5]
	v_mul_f64 v[4:5], v[130:131], v[58:59]
	s_waitcnt vmcnt(30) lgkmcnt(1)
	v_mul_f64 v[158:159], v[148:149], v[86:87]
	v_fma_f64 v[4:5], v[128:129], v[60:61], -v[4:5]
	s_waitcnt vmcnt(28)
	v_fmac_f64_e32 v[158:159], v[150:151], v[88:89]
	v_add_f64 v[2:3], v[2:3], v[4:5]
	v_mul_f64 v[4:5], v[134:135], v[70:71]
	v_add_f64 v[160:161], v[156:157], v[158:159]
	ds_read_b128 v[156:159], v98 offset:1776
	s_waitcnt lgkmcnt(1)
	v_mul_f64 v[162:163], v[152:153], v[82:83]
	v_fma_f64 v[4:5], v[132:133], v[72:73], -v[4:5]
	v_fmac_f64_e32 v[162:163], v[154:155], v[84:85]
	v_add_f64 v[2:3], v[2:3], v[4:5]
	v_mul_f64 v[4:5], v[138:139], v[66:67]
	v_add_f64 v[164:165], v[160:161], v[162:163]
	ds_read_b128 v[160:163], v98 offset:1792
	v_fma_f64 v[4:5], v[136:137], v[68:69], -v[4:5]
	v_add_f64 v[2:3], v[2:3], v[4:5]
	v_mul_f64 v[4:5], v[142:143], v[78:79]
	v_fma_f64 v[4:5], v[140:141], v[80:81], -v[4:5]
	s_waitcnt vmcnt(22) lgkmcnt(1)
	v_mul_f64 v[166:167], v[156:157], v[94:95]
	v_add_f64 v[2:3], v[2:3], v[4:5]
	v_mul_f64 v[4:5], v[146:147], v[74:75]
	s_waitcnt vmcnt(20)
	v_fmac_f64_e32 v[166:167], v[158:159], v[96:97]
	v_fma_f64 v[4:5], v[144:145], v[76:77], -v[4:5]
	v_add_f64 v[168:169], v[164:165], v[166:167]
	ds_read_b128 v[164:167], v98 offset:1808
	s_waitcnt lgkmcnt(1)
	v_mul_f64 v[170:171], v[160:161], v[90:91]
	v_add_f64 v[2:3], v[2:3], v[4:5]
	v_mul_f64 v[4:5], v[150:151], v[86:87]
	v_fmac_f64_e32 v[170:171], v[162:163], v[92:93]
	v_fma_f64 v[4:5], v[148:149], v[88:89], -v[4:5]
	v_add_f64 v[172:173], v[168:169], v[170:171]
	ds_read_b128 v[168:171], v98 offset:1824
	v_add_f64 v[2:3], v[2:3], v[4:5]
	v_mul_f64 v[4:5], v[154:155], v[82:83]
	v_fma_f64 v[4:5], v[152:153], v[84:85], -v[4:5]
	v_add_f64 v[2:3], v[2:3], v[4:5]
	v_mul_f64 v[4:5], v[158:159], v[94:95]
	s_waitcnt vmcnt(14) lgkmcnt(1)
	v_mul_f64 v[174:175], v[164:165], v[184:185]
	v_fma_f64 v[4:5], v[156:157], v[96:97], -v[4:5]
	s_waitcnt vmcnt(12)
	v_fmac_f64_e32 v[174:175], v[166:167], v[186:187]
	v_add_f64 v[2:3], v[2:3], v[4:5]
	v_mul_f64 v[4:5], v[162:163], v[90:91]
	v_add_f64 v[176:177], v[172:173], v[174:175]
	ds_read_b128 v[172:175], v98 offset:1840
	s_waitcnt lgkmcnt(1)
	v_mul_f64 v[178:179], v[168:169], v[116:117]
	v_fma_f64 v[4:5], v[160:161], v[92:93], -v[4:5]
	v_fmac_f64_e32 v[178:179], v[170:171], v[118:119]
	v_add_f64 v[2:3], v[2:3], v[4:5]
	v_mul_f64 v[4:5], v[166:167], v[184:185]
	v_add_f64 v[200:201], v[176:177], v[178:179]
	ds_read_b128 v[176:179], v98 offset:1856
	v_fma_f64 v[4:5], v[164:165], v[186:187], -v[4:5]
	v_add_f64 v[2:3], v[2:3], v[4:5]
	v_mul_f64 v[4:5], v[170:171], v[116:117]
	ds_read_b128 v[180:183], v98 offset:1872
	v_fma_f64 v[4:5], v[168:169], v[118:119], -v[4:5]
	v_add_f64 v[2:3], v[2:3], v[4:5]
	s_waitcnt vmcnt(6) lgkmcnt(2)
	v_mul_f64 v[4:5], v[174:175], v[192:193]
	v_mul_f64 v[202:203], v[172:173], v[192:193]
	s_waitcnt vmcnt(4)
	v_fma_f64 v[4:5], v[172:173], v[194:195], -v[4:5]
	v_fmac_f64_e32 v[202:203], v[174:175], v[194:195]
	v_add_f64 v[2:3], v[2:3], v[4:5]
	s_waitcnt lgkmcnt(1)
	v_mul_f64 v[4:5], v[178:179], v[188:189]
	v_add_f64 v[98:99], v[200:201], v[202:203]
	v_mul_f64 v[200:201], v[176:177], v[188:189]
	v_fma_f64 v[4:5], v[176:177], v[190:191], -v[4:5]
	v_fmac_f64_e32 v[200:201], v[178:179], v[190:191]
	v_add_f64 v[2:3], v[2:3], v[4:5]
	s_waitcnt vmcnt(2) lgkmcnt(0)
	v_mul_f64 v[4:5], v[182:183], v[196:197]
	v_add_f64 v[98:99], v[98:99], v[200:201]
	v_mul_f64 v[200:201], v[180:181], v[196:197]
	s_waitcnt vmcnt(0)
	v_fma_f64 v[4:5], v[180:181], v[198:199], -v[4:5]
	v_fmac_f64_e32 v[200:201], v[182:183], v[198:199]
	v_add_f64 v[2:3], v[2:3], v[4:5]
	v_add_f64 v[98:99], v[98:99], v[200:201]
	v_add_f64 v[2:3], v[20:21], -v[2:3]
	v_add_f64 v[4:5], v[18:19], -v[98:99]
	buffer_store_dword v3, off, s[0:3], 0 offset:564
	buffer_store_dword v2, off, s[0:3], 0 offset:560
	;; [unrolled: 1-line block ×4, first 2 shown]
	s_and_saveexec_b64 s[4:5], vcc
	s_cbranch_execz .LBB58_301
; %bb.300:
	v_accvgpr_read_b32 v0, a143
	buffer_load_dword v2, v0, s[0:3], 0 offen
	buffer_load_dword v3, v0, s[0:3], 0 offen offset:4
	buffer_load_dword v4, v0, s[0:3], 0 offen offset:8
	;; [unrolled: 1-line block ×3, first 2 shown]
	v_mov_b32_e32 v0, 0
	v_accvgpr_read_b32 v1, a177
	buffer_store_dword v0, off, s[0:3], 0 offset:544
	buffer_store_dword v0, off, s[0:3], 0 offset:548
	;; [unrolled: 1-line block ×4, first 2 shown]
	s_waitcnt vmcnt(4)
	ds_write_b128 v1, v[2:5]
.LBB58_301:
	s_or_b64 exec, exec, s[4:5]
	s_waitcnt lgkmcnt(0)
	; wave barrier
	s_waitcnt lgkmcnt(0)
	buffer_load_dword v22, off, s[0:3], 0 offset:560
	buffer_load_dword v23, off, s[0:3], 0 offset:564
	;; [unrolled: 1-line block ×64, first 2 shown]
	v_mov_b32_e32 v114, 0
	ds_read_b128 v[18:21], v114 offset:1488
	ds_read_b128 v[14:17], v114 offset:1504
	;; [unrolled: 1-line block ×5, first 2 shown]
	v_cmp_lt_u32_e32 vcc, 32, v228
	s_waitcnt vmcnt(60) lgkmcnt(4)
	v_mul_f64 v[86:87], v[18:19], v[26:27]
	v_fmac_f64_e32 v[86:87], v[20:21], v[22:23]
	v_add_f64 v[86:87], v[86:87], 0
	v_mul_f64 v[20:21], v[20:21], v[26:27]
	s_waitcnt vmcnt(56) lgkmcnt(3)
	v_mul_f64 v[88:89], v[14:15], v[28:29]
	v_fmac_f64_e32 v[88:89], v[16:17], v[24:25]
	s_waitcnt vmcnt(54) lgkmcnt(2)
	v_mul_f64 v[90:91], v[10:11], v[30:31]
	v_add_f64 v[86:87], v[86:87], v[88:89]
	v_fma_f64 v[18:19], v[18:19], v[22:23], -v[20:21]
	v_mul_f64 v[16:17], v[16:17], v[28:29]
	s_waitcnt vmcnt(50) lgkmcnt(1)
	v_mul_f64 v[102:103], v[6:7], v[40:41]
	v_add_f64 v[18:19], v[18:19], 0
	s_waitcnt vmcnt(48)
	v_fmac_f64_e32 v[90:91], v[12:13], v[44:45]
	v_add_f64 v[104:105], v[86:87], v[90:91]
	buffer_load_dword v87, off, s[0:3], 0 offset:828
	buffer_load_dword v86, off, s[0:3], 0 offset:824
	buffer_load_dword v89, off, s[0:3], 0 offset:820
	buffer_load_dword v88, off, s[0:3], 0 offset:816
	buffer_load_dword v91, off, s[0:3], 0 offset:812
	buffer_load_dword v90, off, s[0:3], 0 offset:808
	buffer_load_dword v93, off, s[0:3], 0 offset:804
	buffer_load_dword v92, off, s[0:3], 0 offset:800
	buffer_load_dword v95, off, s[0:3], 0 offset:860
	buffer_load_dword v94, off, s[0:3], 0 offset:856
	buffer_load_dword v97, off, s[0:3], 0 offset:852
	buffer_load_dword v96, off, s[0:3], 0 offset:848
	buffer_load_dword v99, off, s[0:3], 0 offset:844
	buffer_load_dword v98, off, s[0:3], 0 offset:840
	buffer_load_dword v101, off, s[0:3], 0 offset:836
	buffer_load_dword v100, off, s[0:3], 0 offset:832
	buffer_load_dword v117, off, s[0:3], 0 offset:892
	buffer_load_dword v116, off, s[0:3], 0 offset:888
	buffer_load_dword v119, off, s[0:3], 0 offset:884
	buffer_load_dword v118, off, s[0:3], 0 offset:880
	buffer_load_dword v189, off, s[0:3], 0 offset:876
	buffer_load_dword v188, off, s[0:3], 0 offset:872
	buffer_load_dword v191, off, s[0:3], 0 offset:868
	buffer_load_dword v190, off, s[0:3], 0 offset:864
	buffer_load_dword v193, off, s[0:3], 0 offset:924
	buffer_load_dword v192, off, s[0:3], 0 offset:920
	buffer_load_dword v195, off, s[0:3], 0 offset:916
	buffer_load_dword v194, off, s[0:3], 0 offset:912
	buffer_load_dword v197, off, s[0:3], 0 offset:908
	buffer_load_dword v196, off, s[0:3], 0 offset:904
	buffer_load_dword v199, off, s[0:3], 0 offset:900
	buffer_load_dword v198, off, s[0:3], 0 offset:896
	buffer_load_dword v201, off, s[0:3], 0 offset:956
	buffer_load_dword v200, off, s[0:3], 0 offset:952
	buffer_load_dword v203, off, s[0:3], 0 offset:948
	buffer_load_dword v202, off, s[0:3], 0 offset:944
	buffer_load_dword v205, off, s[0:3], 0 offset:940
	buffer_load_dword v204, off, s[0:3], 0 offset:936
	buffer_load_dword v207, off, s[0:3], 0 offset:932
	buffer_load_dword v206, off, s[0:3], 0 offset:928
	s_waitcnt vmcnt(62)
	v_fmac_f64_e32 v[102:103], v[8:9], v[42:43]
	v_add_f64 v[106:107], v[104:105], v[102:103]
	ds_read_b128 v[102:105], v114 offset:1568
	s_waitcnt lgkmcnt(1)
	v_mul_f64 v[108:109], v[2:3], v[36:37]
	v_fmac_f64_e32 v[108:109], v[4:5], v[38:39]
	v_add_f64 v[110:111], v[106:107], v[108:109]
	ds_read_b128 v[106:109], v114 offset:1584
	s_waitcnt lgkmcnt(1)
	v_mul_f64 v[112:113], v[102:103], v[50:51]
	;; [unrolled: 5-line block ×5, first 2 shown]
	v_fmac_f64_e32 v[130:131], v[122:123], v[56:57]
	v_add_f64 v[132:133], v[128:129], v[130:131]
	ds_read_b128 v[128:131], v114 offset:1648
	s_waitcnt vmcnt(58) lgkmcnt(1)
	v_mul_f64 v[134:135], v[124:125], v[66:67]
	s_waitcnt vmcnt(56)
	v_fmac_f64_e32 v[134:135], v[126:127], v[68:69]
	v_add_f64 v[136:137], v[132:133], v[134:135]
	ds_read_b128 v[132:135], v114 offset:1664
	s_waitcnt lgkmcnt(1)
	v_mul_f64 v[138:139], v[128:129], v[62:63]
	v_fmac_f64_e32 v[138:139], v[130:131], v[64:65]
	v_add_f64 v[140:141], v[136:137], v[138:139]
	ds_read_b128 v[136:139], v114 offset:1680
	s_waitcnt vmcnt(50) lgkmcnt(1)
	v_mul_f64 v[142:143], v[132:133], v[74:75]
	s_waitcnt vmcnt(48)
	v_fmac_f64_e32 v[142:143], v[134:135], v[76:77]
	v_add_f64 v[144:145], v[140:141], v[142:143]
	ds_read_b128 v[140:143], v114 offset:1696
	v_fma_f64 v[14:15], v[14:15], v[24:25], -v[16:17]
	v_mul_f64 v[12:13], v[12:13], v[30:31]
	v_add_f64 v[14:15], v[18:19], v[14:15]
	v_fma_f64 v[10:11], v[10:11], v[44:45], -v[12:13]
	v_mul_f64 v[8:9], v[8:9], v[40:41]
	s_waitcnt lgkmcnt(1)
	v_mul_f64 v[146:147], v[136:137], v[70:71]
	v_add_f64 v[10:11], v[14:15], v[10:11]
	v_fma_f64 v[6:7], v[6:7], v[42:43], -v[8:9]
	v_mul_f64 v[4:5], v[4:5], v[36:37]
	v_fmac_f64_e32 v[146:147], v[138:139], v[72:73]
	v_add_f64 v[6:7], v[10:11], v[6:7]
	v_fma_f64 v[2:3], v[2:3], v[38:39], -v[4:5]
	v_mul_f64 v[4:5], v[104:105], v[50:51]
	v_add_f64 v[148:149], v[144:145], v[146:147]
	ds_read_b128 v[144:147], v114 offset:1712
	s_waitcnt vmcnt(42) lgkmcnt(1)
	v_mul_f64 v[150:151], v[140:141], v[82:83]
	v_add_f64 v[2:3], v[6:7], v[2:3]
	v_fma_f64 v[4:5], v[102:103], v[52:53], -v[4:5]
	s_waitcnt vmcnt(40)
	v_fmac_f64_e32 v[150:151], v[142:143], v[84:85]
	v_add_f64 v[2:3], v[2:3], v[4:5]
	v_mul_f64 v[4:5], v[108:109], v[46:47]
	v_add_f64 v[152:153], v[148:149], v[150:151]
	ds_read_b128 v[148:151], v114 offset:1728
	v_fma_f64 v[4:5], v[106:107], v[48:49], -v[4:5]
	v_add_f64 v[2:3], v[2:3], v[4:5]
	v_mul_f64 v[4:5], v[112:113], v[58:59]
	v_fma_f64 v[4:5], v[110:111], v[60:61], -v[4:5]
	s_waitcnt lgkmcnt(1)
	v_mul_f64 v[154:155], v[144:145], v[78:79]
	v_add_f64 v[2:3], v[2:3], v[4:5]
	v_mul_f64 v[4:5], v[122:123], v[54:55]
	v_fmac_f64_e32 v[154:155], v[146:147], v[80:81]
	v_fma_f64 v[4:5], v[120:121], v[56:57], -v[4:5]
	v_add_f64 v[156:157], v[152:153], v[154:155]
	ds_read_b128 v[152:155], v114 offset:1744
	s_waitcnt vmcnt(34) lgkmcnt(1)
	v_mul_f64 v[158:159], v[148:149], v[90:91]
	v_add_f64 v[2:3], v[2:3], v[4:5]
	v_mul_f64 v[4:5], v[126:127], v[66:67]
	s_waitcnt vmcnt(32)
	v_fmac_f64_e32 v[158:159], v[150:151], v[92:93]
	v_fma_f64 v[4:5], v[124:125], v[68:69], -v[4:5]
	v_add_f64 v[160:161], v[156:157], v[158:159]
	ds_read_b128 v[156:159], v114 offset:1760
	v_add_f64 v[2:3], v[2:3], v[4:5]
	v_mul_f64 v[4:5], v[130:131], v[62:63]
	v_fma_f64 v[4:5], v[128:129], v[64:65], -v[4:5]
	v_add_f64 v[2:3], v[2:3], v[4:5]
	v_mul_f64 v[4:5], v[134:135], v[74:75]
	s_waitcnt lgkmcnt(1)
	v_mul_f64 v[162:163], v[152:153], v[86:87]
	v_fma_f64 v[4:5], v[132:133], v[76:77], -v[4:5]
	v_fmac_f64_e32 v[162:163], v[154:155], v[88:89]
	v_add_f64 v[2:3], v[2:3], v[4:5]
	v_mul_f64 v[4:5], v[138:139], v[70:71]
	v_add_f64 v[164:165], v[160:161], v[162:163]
	ds_read_b128 v[160:163], v114 offset:1776
	s_waitcnt vmcnt(26) lgkmcnt(1)
	v_mul_f64 v[166:167], v[156:157], v[98:99]
	v_fma_f64 v[4:5], v[136:137], v[72:73], -v[4:5]
	s_waitcnt vmcnt(24)
	v_fmac_f64_e32 v[166:167], v[158:159], v[100:101]
	v_add_f64 v[2:3], v[2:3], v[4:5]
	v_mul_f64 v[4:5], v[142:143], v[82:83]
	v_add_f64 v[168:169], v[164:165], v[166:167]
	ds_read_b128 v[164:167], v114 offset:1792
	v_fma_f64 v[4:5], v[140:141], v[84:85], -v[4:5]
	v_add_f64 v[2:3], v[2:3], v[4:5]
	v_mul_f64 v[4:5], v[146:147], v[78:79]
	v_fma_f64 v[4:5], v[144:145], v[80:81], -v[4:5]
	s_waitcnt lgkmcnt(1)
	v_mul_f64 v[170:171], v[160:161], v[94:95]
	v_add_f64 v[2:3], v[2:3], v[4:5]
	v_mul_f64 v[4:5], v[150:151], v[90:91]
	v_fmac_f64_e32 v[170:171], v[162:163], v[96:97]
	v_fma_f64 v[4:5], v[148:149], v[92:93], -v[4:5]
	v_add_f64 v[172:173], v[168:169], v[170:171]
	ds_read_b128 v[168:171], v114 offset:1808
	s_waitcnt vmcnt(18) lgkmcnt(1)
	v_mul_f64 v[174:175], v[164:165], v[188:189]
	v_add_f64 v[2:3], v[2:3], v[4:5]
	v_mul_f64 v[4:5], v[154:155], v[86:87]
	s_waitcnt vmcnt(16)
	v_fmac_f64_e32 v[174:175], v[166:167], v[190:191]
	v_fma_f64 v[4:5], v[152:153], v[88:89], -v[4:5]
	v_add_f64 v[176:177], v[172:173], v[174:175]
	ds_read_b128 v[172:175], v114 offset:1824
	v_add_f64 v[2:3], v[2:3], v[4:5]
	v_mul_f64 v[4:5], v[158:159], v[98:99]
	v_fma_f64 v[4:5], v[156:157], v[100:101], -v[4:5]
	v_add_f64 v[2:3], v[2:3], v[4:5]
	v_mul_f64 v[4:5], v[162:163], v[94:95]
	s_waitcnt lgkmcnt(1)
	v_mul_f64 v[178:179], v[168:169], v[116:117]
	v_fma_f64 v[4:5], v[160:161], v[96:97], -v[4:5]
	v_fmac_f64_e32 v[178:179], v[170:171], v[118:119]
	v_add_f64 v[2:3], v[2:3], v[4:5]
	v_mul_f64 v[4:5], v[166:167], v[188:189]
	v_add_f64 v[180:181], v[176:177], v[178:179]
	ds_read_b128 v[176:179], v114 offset:1840
	s_waitcnt vmcnt(10) lgkmcnt(1)
	v_mul_f64 v[182:183], v[172:173], v[196:197]
	v_fma_f64 v[4:5], v[164:165], v[190:191], -v[4:5]
	s_waitcnt vmcnt(8)
	v_fmac_f64_e32 v[182:183], v[174:175], v[198:199]
	v_add_f64 v[2:3], v[2:3], v[4:5]
	v_mul_f64 v[4:5], v[170:171], v[116:117]
	v_add_f64 v[208:209], v[180:181], v[182:183]
	ds_read_b128 v[180:183], v114 offset:1856
	ds_read_b128 v[184:187], v114 offset:1872
	v_fma_f64 v[4:5], v[168:169], v[118:119], -v[4:5]
	v_add_f64 v[2:3], v[2:3], v[4:5]
	v_mul_f64 v[4:5], v[174:175], v[196:197]
	v_fma_f64 v[4:5], v[172:173], v[198:199], -v[4:5]
	v_add_f64 v[2:3], v[2:3], v[4:5]
	s_waitcnt lgkmcnt(2)
	v_mul_f64 v[4:5], v[178:179], v[192:193]
	v_mul_f64 v[210:211], v[176:177], v[192:193]
	v_fma_f64 v[4:5], v[176:177], v[194:195], -v[4:5]
	v_fmac_f64_e32 v[210:211], v[178:179], v[194:195]
	v_add_f64 v[2:3], v[2:3], v[4:5]
	s_waitcnt vmcnt(2) lgkmcnt(1)
	v_mul_f64 v[4:5], v[182:183], v[204:205]
	v_add_f64 v[208:209], v[208:209], v[210:211]
	v_mul_f64 v[210:211], v[180:181], v[204:205]
	s_waitcnt vmcnt(0)
	v_fma_f64 v[4:5], v[180:181], v[206:207], -v[4:5]
	v_fmac_f64_e32 v[210:211], v[182:183], v[206:207]
	v_add_f64 v[2:3], v[2:3], v[4:5]
	s_waitcnt lgkmcnt(0)
	v_mul_f64 v[4:5], v[186:187], v[200:201]
	v_add_f64 v[208:209], v[208:209], v[210:211]
	v_mul_f64 v[210:211], v[184:185], v[200:201]
	v_fma_f64 v[4:5], v[184:185], v[202:203], -v[4:5]
	v_fmac_f64_e32 v[210:211], v[186:187], v[202:203]
	v_add_f64 v[2:3], v[2:3], v[4:5]
	v_add_f64 v[208:209], v[208:209], v[210:211]
	v_add_f64 v[2:3], v[34:35], -v[2:3]
	v_add_f64 v[4:5], v[32:33], -v[208:209]
	buffer_store_dword v3, off, s[0:3], 0 offset:548
	buffer_store_dword v2, off, s[0:3], 0 offset:544
	;; [unrolled: 1-line block ×4, first 2 shown]
	s_and_saveexec_b64 s[4:5], vcc
	s_cbranch_execz .LBB58_303
; %bb.302:
	v_accvgpr_read_b32 v0, a144
	buffer_load_dword v2, v0, s[0:3], 0 offen
	buffer_load_dword v3, v0, s[0:3], 0 offen offset:4
	buffer_load_dword v4, v0, s[0:3], 0 offen offset:8
	;; [unrolled: 1-line block ×3, first 2 shown]
	v_accvgpr_read_b32 v0, a177
	buffer_store_dword v114, off, s[0:3], 0 offset:528
	buffer_store_dword v114, off, s[0:3], 0 offset:532
	;; [unrolled: 1-line block ×4, first 2 shown]
	s_waitcnt vmcnt(4)
	ds_write_b128 v0, v[2:5]
.LBB58_303:
	s_or_b64 exec, exec, s[4:5]
	s_waitcnt lgkmcnt(0)
	; wave barrier
	s_waitcnt lgkmcnt(0)
	buffer_load_dword v26, off, s[0:3], 0 offset:544
	buffer_load_dword v27, off, s[0:3], 0 offset:548
	;; [unrolled: 1-line block ×24, first 2 shown]
	ds_read_b128 v[22:25], v114 offset:1472
	ds_read_b128 v[18:21], v114 offset:1488
	;; [unrolled: 1-line block ×6, first 2 shown]
	buffer_load_dword v51, off, s[0:3], 0 offset:652
	buffer_load_dword v50, off, s[0:3], 0 offset:648
	;; [unrolled: 1-line block ×40, first 2 shown]
	v_cmp_lt_u32_e32 vcc, 31, v228
	s_waitcnt vmcnt(60) lgkmcnt(5)
	v_mul_f64 v[90:91], v[22:23], v[28:29]
	v_fmac_f64_e32 v[90:91], v[24:25], v[26:27]
	s_waitcnt vmcnt(58) lgkmcnt(4)
	v_mul_f64 v[92:93], v[18:19], v[30:31]
	v_add_f64 v[90:91], v[90:91], 0
	s_waitcnt vmcnt(56) lgkmcnt(3)
	v_mul_f64 v[94:95], v[10:11], v[32:33]
	v_mul_f64 v[24:25], v[24:25], v[28:29]
	v_fma_f64 v[22:23], v[22:23], v[26:27], -v[24:25]
	s_waitcnt vmcnt(54) lgkmcnt(1)
	v_mul_f64 v[116:117], v[2:3], v[38:39]
	v_add_f64 v[22:23], v[22:23], 0
	s_waitcnt vmcnt(51)
	v_mul_f64 v[96:97], v[6:7], v[42:43]
	s_waitcnt vmcnt(49)
	v_fmac_f64_e32 v[92:93], v[20:21], v[48:49]
	v_add_f64 v[90:91], v[90:91], v[92:93]
	s_waitcnt vmcnt(47)
	v_fmac_f64_e32 v[94:95], v[12:13], v[46:47]
	v_add_f64 v[90:91], v[90:91], v[94:95]
	;; [unrolled: 3-line block ×3, first 2 shown]
	buffer_load_dword v91, off, s[0:3], 0 offset:812
	buffer_load_dword v90, off, s[0:3], 0 offset:808
	;; [unrolled: 1-line block ×40, first 2 shown]
	ds_read_b128 v[120:123], v114 offset:1568
	buffer_load_dword v213, off, s[0:3], 0 offset:956
	buffer_load_dword v212, off, s[0:3], 0 offset:952
	;; [unrolled: 1-line block ×4, first 2 shown]
	v_mul_f64 v[20:21], v[20:21], v[30:31]
	v_fma_f64 v[18:19], v[18:19], v[48:49], -v[20:21]
	v_mul_f64 v[12:13], v[12:13], v[32:33]
	s_waitcnt vmcnt(62)
	v_fmac_f64_e32 v[116:117], v[4:5], v[40:41]
	ds_read_b128 v[124:127], v114 offset:1584
	ds_read_b128 v[128:131], v114 offset:1600
	v_add_f64 v[18:19], v[22:23], v[18:19]
	v_fma_f64 v[10:11], v[10:11], v[46:47], -v[12:13]
	v_mul_f64 v[8:9], v[8:9], v[42:43]
	v_add_f64 v[116:117], v[118:119], v[116:117]
	s_waitcnt lgkmcnt(3)
	v_mul_f64 v[118:119], v[14:15], v[54:55]
	v_add_f64 v[10:11], v[18:19], v[10:11]
	v_fma_f64 v[6:7], v[6:7], v[44:45], -v[8:9]
	v_mul_f64 v[4:5], v[4:5], v[38:39]
	v_fmac_f64_e32 v[118:119], v[16:17], v[56:57]
	v_add_f64 v[6:7], v[10:11], v[6:7]
	v_fma_f64 v[2:3], v[2:3], v[40:41], -v[4:5]
	v_mul_f64 v[4:5], v[16:17], v[54:55]
	v_add_f64 v[116:117], v[116:117], v[118:119]
	s_waitcnt lgkmcnt(2)
	v_mul_f64 v[118:119], v[120:121], v[50:51]
	v_add_f64 v[2:3], v[6:7], v[2:3]
	v_fma_f64 v[4:5], v[14:15], v[56:57], -v[4:5]
	v_fmac_f64_e32 v[118:119], v[122:123], v[52:53]
	ds_read_b128 v[132:135], v114 offset:1616
	ds_read_b128 v[136:139], v114 offset:1632
	v_add_f64 v[2:3], v[2:3], v[4:5]
	v_mul_f64 v[4:5], v[122:123], v[50:51]
	v_add_f64 v[116:117], v[116:117], v[118:119]
	s_waitcnt lgkmcnt(3)
	v_mul_f64 v[118:119], v[124:125], v[62:63]
	v_fma_f64 v[4:5], v[120:121], v[52:53], -v[4:5]
	v_fmac_f64_e32 v[118:119], v[126:127], v[64:65]
	v_add_f64 v[2:3], v[2:3], v[4:5]
	v_mul_f64 v[4:5], v[126:127], v[62:63]
	v_add_f64 v[116:117], v[116:117], v[118:119]
	s_waitcnt lgkmcnt(2)
	v_mul_f64 v[118:119], v[128:129], v[58:59]
	v_fma_f64 v[4:5], v[124:125], v[64:65], -v[4:5]
	v_fmac_f64_e32 v[118:119], v[130:131], v[60:61]
	ds_read_b128 v[140:143], v114 offset:1648
	ds_read_b128 v[144:147], v114 offset:1664
	v_add_f64 v[2:3], v[2:3], v[4:5]
	v_mul_f64 v[4:5], v[130:131], v[58:59]
	v_add_f64 v[116:117], v[116:117], v[118:119]
	s_waitcnt lgkmcnt(3)
	v_mul_f64 v[118:119], v[132:133], v[70:71]
	v_fma_f64 v[4:5], v[128:129], v[60:61], -v[4:5]
	s_waitcnt vmcnt(60)
	v_fmac_f64_e32 v[118:119], v[134:135], v[72:73]
	v_add_f64 v[2:3], v[2:3], v[4:5]
	v_mul_f64 v[4:5], v[134:135], v[70:71]
	v_add_f64 v[116:117], v[116:117], v[118:119]
	s_waitcnt lgkmcnt(2)
	v_mul_f64 v[118:119], v[136:137], v[66:67]
	v_fma_f64 v[4:5], v[132:133], v[72:73], -v[4:5]
	v_fmac_f64_e32 v[118:119], v[138:139], v[68:69]
	ds_read_b128 v[148:151], v114 offset:1680
	ds_read_b128 v[152:155], v114 offset:1696
	v_add_f64 v[2:3], v[2:3], v[4:5]
	v_mul_f64 v[4:5], v[138:139], v[66:67]
	v_add_f64 v[116:117], v[116:117], v[118:119]
	s_waitcnt vmcnt(54) lgkmcnt(3)
	v_mul_f64 v[118:119], v[140:141], v[78:79]
	v_fma_f64 v[4:5], v[136:137], v[68:69], -v[4:5]
	s_waitcnt vmcnt(52)
	v_fmac_f64_e32 v[118:119], v[142:143], v[80:81]
	v_add_f64 v[2:3], v[2:3], v[4:5]
	v_mul_f64 v[4:5], v[142:143], v[78:79]
	v_add_f64 v[116:117], v[116:117], v[118:119]
	s_waitcnt lgkmcnt(2)
	v_mul_f64 v[118:119], v[144:145], v[74:75]
	v_fma_f64 v[4:5], v[140:141], v[80:81], -v[4:5]
	v_fmac_f64_e32 v[118:119], v[146:147], v[76:77]
	ds_read_b128 v[156:159], v114 offset:1712
	ds_read_b128 v[160:163], v114 offset:1728
	v_add_f64 v[2:3], v[2:3], v[4:5]
	v_mul_f64 v[4:5], v[146:147], v[74:75]
	v_add_f64 v[116:117], v[116:117], v[118:119]
	s_waitcnt vmcnt(46) lgkmcnt(3)
	;; [unrolled: 17-line block ×5, first 2 shown]
	v_mul_f64 v[118:119], v[172:173], v[110:111]
	v_fma_f64 v[4:5], v[168:169], v[100:101], -v[4:5]
	s_waitcnt vmcnt(20)
	v_fmac_f64_e32 v[118:119], v[174:175], v[112:113]
	v_add_f64 v[2:3], v[2:3], v[4:5]
	v_mul_f64 v[4:5], v[174:175], v[110:111]
	v_add_f64 v[116:117], v[116:117], v[118:119]
	s_waitcnt lgkmcnt(2)
	v_mul_f64 v[118:119], v[176:177], v[106:107]
	v_fma_f64 v[4:5], v[172:173], v[112:113], -v[4:5]
	v_fmac_f64_e32 v[118:119], v[178:179], v[108:109]
	v_add_f64 v[2:3], v[2:3], v[4:5]
	v_mul_f64 v[4:5], v[178:179], v[106:107]
	v_add_f64 v[116:117], v[116:117], v[118:119]
	s_waitcnt vmcnt(14) lgkmcnt(1)
	v_mul_f64 v[118:119], v[180:181], v[200:201]
	ds_read_b128 v[188:191], v114 offset:1840
	ds_read_b128 v[192:195], v114 offset:1856
	v_fma_f64 v[4:5], v[176:177], v[108:109], -v[4:5]
	s_waitcnt vmcnt(12)
	v_fmac_f64_e32 v[118:119], v[182:183], v[202:203]
	v_add_f64 v[2:3], v[2:3], v[4:5]
	v_mul_f64 v[4:5], v[182:183], v[200:201]
	v_add_f64 v[116:117], v[116:117], v[118:119]
	s_waitcnt lgkmcnt(2)
	v_mul_f64 v[118:119], v[184:185], v[196:197]
	v_fma_f64 v[4:5], v[180:181], v[202:203], -v[4:5]
	v_fmac_f64_e32 v[118:119], v[186:187], v[198:199]
	v_add_f64 v[2:3], v[2:3], v[4:5]
	v_mul_f64 v[4:5], v[186:187], v[196:197]
	v_add_f64 v[118:119], v[116:117], v[118:119]
	ds_read_b128 v[114:117], v114 offset:1872
	v_fma_f64 v[4:5], v[184:185], v[198:199], -v[4:5]
	v_add_f64 v[2:3], v[2:3], v[4:5]
	s_waitcnt vmcnt(6) lgkmcnt(2)
	v_mul_f64 v[4:5], v[190:191], v[208:209]
	v_mul_f64 v[216:217], v[188:189], v[208:209]
	s_waitcnt vmcnt(4)
	v_fma_f64 v[4:5], v[188:189], v[210:211], -v[4:5]
	v_fmac_f64_e32 v[216:217], v[190:191], v[210:211]
	v_add_f64 v[2:3], v[2:3], v[4:5]
	s_waitcnt lgkmcnt(1)
	v_mul_f64 v[4:5], v[194:195], v[204:205]
	v_add_f64 v[118:119], v[118:119], v[216:217]
	v_mul_f64 v[216:217], v[192:193], v[204:205]
	v_fma_f64 v[4:5], v[192:193], v[206:207], -v[4:5]
	v_fmac_f64_e32 v[216:217], v[194:195], v[206:207]
	v_add_f64 v[2:3], v[2:3], v[4:5]
	s_waitcnt vmcnt(2) lgkmcnt(0)
	v_mul_f64 v[4:5], v[116:117], v[212:213]
	v_add_f64 v[118:119], v[118:119], v[216:217]
	v_mul_f64 v[216:217], v[114:115], v[212:213]
	s_waitcnt vmcnt(0)
	v_fma_f64 v[4:5], v[114:115], v[214:215], -v[4:5]
	v_fmac_f64_e32 v[216:217], v[116:117], v[214:215]
	v_add_f64 v[2:3], v[2:3], v[4:5]
	v_add_f64 v[118:119], v[118:119], v[216:217]
	v_add_f64 v[2:3], v[36:37], -v[2:3]
	v_add_f64 v[4:5], v[34:35], -v[118:119]
	buffer_store_dword v3, off, s[0:3], 0 offset:532
	buffer_store_dword v2, off, s[0:3], 0 offset:528
	;; [unrolled: 1-line block ×4, first 2 shown]
	s_and_saveexec_b64 s[4:5], vcc
	s_cbranch_execz .LBB58_305
; %bb.304:
	v_accvgpr_read_b32 v0, a145
	buffer_load_dword v2, v0, s[0:3], 0 offen
	buffer_load_dword v3, v0, s[0:3], 0 offen offset:4
	buffer_load_dword v4, v0, s[0:3], 0 offen offset:8
	;; [unrolled: 1-line block ×3, first 2 shown]
	v_mov_b32_e32 v0, 0
	v_accvgpr_read_b32 v1, a177
	buffer_store_dword v0, off, s[0:3], 0 offset:512
	buffer_store_dword v0, off, s[0:3], 0 offset:516
	;; [unrolled: 1-line block ×4, first 2 shown]
	s_waitcnt vmcnt(4)
	ds_write_b128 v1, v[2:5]
.LBB58_305:
	s_or_b64 exec, exec, s[4:5]
	s_waitcnt lgkmcnt(0)
	; wave barrier
	s_waitcnt lgkmcnt(0)
	buffer_load_dword v30, off, s[0:3], 0 offset:528
	buffer_load_dword v31, off, s[0:3], 0 offset:532
	;; [unrolled: 1-line block ×56, first 2 shown]
	v_mov_b32_e32 v136, 0
	ds_read_b128 v[26:29], v136 offset:1456
	ds_read_b128 v[22:25], v136 offset:1472
	;; [unrolled: 1-line block ×7, first 2 shown]
	v_accvgpr_write_b32 a176, v228
	v_cmp_lt_u32_e32 vcc, 30, v228
	s_waitcnt vmcnt(52) lgkmcnt(6)
	v_mul_f64 v[86:87], v[26:27], v[34:35]
	v_fmac_f64_e32 v[86:87], v[28:29], v[30:31]
	v_add_f64 v[86:87], v[86:87], 0
	v_mul_f64 v[28:29], v[28:29], v[34:35]
	s_waitcnt vmcnt(48) lgkmcnt(5)
	v_mul_f64 v[88:89], v[22:23], v[36:37]
	v_fmac_f64_e32 v[88:89], v[24:25], v[32:33]
	s_waitcnt vmcnt(46) lgkmcnt(4)
	v_mul_f64 v[90:91], v[18:19], v[38:39]
	v_add_f64 v[86:87], v[86:87], v[88:89]
	s_waitcnt vmcnt(44) lgkmcnt(2)
	v_mul_f64 v[94:95], v[10:11], v[40:41]
	v_fma_f64 v[26:27], v[26:27], v[30:31], -v[28:29]
	s_waitcnt vmcnt(42)
	v_fmac_f64_e32 v[94:95], v[12:13], v[42:43]
	v_mul_f64 v[24:25], v[24:25], v[36:37]
	s_waitcnt vmcnt(40)
	v_mul_f64 v[92:93], v[14:15], v[48:49]
	v_add_f64 v[26:27], v[26:27], 0
	v_fma_f64 v[22:23], v[22:23], v[32:33], -v[24:25]
	v_add_f64 v[22:23], v[26:27], v[22:23]
	s_waitcnt vmcnt(36) lgkmcnt(1)
	v_mul_f64 v[110:111], v[6:7], v[54:55]
	v_mul_f64 v[12:13], v[12:13], v[40:41]
	s_waitcnt vmcnt(34)
	v_fmac_f64_e32 v[90:91], v[20:21], v[60:61]
	v_add_f64 v[86:87], v[86:87], v[90:91]
	s_waitcnt vmcnt(32)
	v_fmac_f64_e32 v[92:93], v[16:17], v[58:59]
	v_add_f64 v[86:87], v[86:87], v[92:93]
	v_add_f64 v[116:117], v[86:87], v[94:95]
	buffer_load_dword v87, off, s[0:3], 0 offset:764
	buffer_load_dword v86, off, s[0:3], 0 offset:760
	;; [unrolled: 1-line block ×56, first 2 shown]
	ds_read_b128 v[126:129], v136 offset:1568
	ds_read_b128 v[130:133], v136 offset:1584
	v_mul_f64 v[20:21], v[20:21], v[38:39]
	v_fma_f64 v[18:19], v[18:19], v[60:61], -v[20:21]
	v_mul_f64 v[16:17], v[16:17], v[48:49]
	s_waitcnt vmcnt(62)
	v_fmac_f64_e32 v[110:111], v[8:9], v[56:57]
	v_add_f64 v[18:19], v[22:23], v[18:19]
	v_fma_f64 v[14:15], v[14:15], v[58:59], -v[16:17]
	v_add_f64 v[110:111], v[116:117], v[110:111]
	s_waitcnt lgkmcnt(2)
	v_mul_f64 v[116:117], v[2:3], v[50:51]
	v_add_f64 v[14:15], v[18:19], v[14:15]
	v_fma_f64 v[10:11], v[10:11], v[42:43], -v[12:13]
	v_mul_f64 v[8:9], v[8:9], v[54:55]
	v_fmac_f64_e32 v[116:117], v[4:5], v[52:53]
	ds_read_b128 v[138:141], v136 offset:1600
	ds_read_b128 v[142:145], v136 offset:1616
	v_add_f64 v[10:11], v[14:15], v[10:11]
	v_fma_f64 v[6:7], v[6:7], v[56:57], -v[8:9]
	v_mul_f64 v[4:5], v[4:5], v[50:51]
	v_add_f64 v[6:7], v[10:11], v[6:7]
	v_fma_f64 v[2:3], v[2:3], v[52:53], -v[4:5]
	s_waitcnt lgkmcnt(3)
	v_mul_f64 v[4:5], v[128:129], v[66:67]
	v_add_f64 v[110:111], v[110:111], v[116:117]
	v_mul_f64 v[116:117], v[126:127], v[66:67]
	v_add_f64 v[2:3], v[6:7], v[2:3]
	v_fma_f64 v[4:5], v[126:127], v[68:69], -v[4:5]
	v_fmac_f64_e32 v[116:117], v[128:129], v[68:69]
	v_add_f64 v[2:3], v[2:3], v[4:5]
	s_waitcnt lgkmcnt(2)
	v_mul_f64 v[4:5], v[132:133], v[62:63]
	v_add_f64 v[110:111], v[110:111], v[116:117]
	v_mul_f64 v[116:117], v[130:131], v[62:63]
	ds_read_b128 v[146:149], v136 offset:1632
	ds_read_b128 v[150:153], v136 offset:1648
	v_fma_f64 v[4:5], v[130:131], v[64:65], -v[4:5]
	v_fmac_f64_e32 v[116:117], v[132:133], v[64:65]
	v_add_f64 v[2:3], v[2:3], v[4:5]
	s_waitcnt lgkmcnt(3)
	v_mul_f64 v[4:5], v[140:141], v[74:75]
	v_add_f64 v[110:111], v[110:111], v[116:117]
	v_mul_f64 v[116:117], v[138:139], v[74:75]
	v_fma_f64 v[4:5], v[138:139], v[76:77], -v[4:5]
	v_fmac_f64_e32 v[116:117], v[140:141], v[76:77]
	v_add_f64 v[2:3], v[2:3], v[4:5]
	s_waitcnt lgkmcnt(2)
	v_mul_f64 v[4:5], v[144:145], v[70:71]
	v_add_f64 v[110:111], v[110:111], v[116:117]
	v_mul_f64 v[116:117], v[142:143], v[70:71]
	ds_read_b128 v[154:157], v136 offset:1664
	ds_read_b128 v[158:161], v136 offset:1680
	v_fma_f64 v[4:5], v[142:143], v[72:73], -v[4:5]
	v_fmac_f64_e32 v[116:117], v[144:145], v[72:73]
	v_add_f64 v[2:3], v[2:3], v[4:5]
	s_waitcnt vmcnt(58) lgkmcnt(3)
	v_mul_f64 v[4:5], v[148:149], v[82:83]
	v_add_f64 v[110:111], v[110:111], v[116:117]
	v_mul_f64 v[116:117], v[146:147], v[82:83]
	s_waitcnt vmcnt(56)
	v_fma_f64 v[4:5], v[146:147], v[84:85], -v[4:5]
	v_fmac_f64_e32 v[116:117], v[148:149], v[84:85]
	v_add_f64 v[2:3], v[2:3], v[4:5]
	s_waitcnt lgkmcnt(2)
	v_mul_f64 v[4:5], v[152:153], v[78:79]
	v_add_f64 v[110:111], v[110:111], v[116:117]
	v_mul_f64 v[116:117], v[150:151], v[78:79]
	ds_read_b128 v[162:165], v136 offset:1696
	ds_read_b128 v[166:169], v136 offset:1712
	v_fma_f64 v[4:5], v[150:151], v[80:81], -v[4:5]
	v_fmac_f64_e32 v[116:117], v[152:153], v[80:81]
	v_add_f64 v[2:3], v[2:3], v[4:5]
	s_waitcnt vmcnt(50) lgkmcnt(3)
	v_mul_f64 v[4:5], v[156:157], v[90:91]
	v_add_f64 v[110:111], v[110:111], v[116:117]
	v_mul_f64 v[116:117], v[154:155], v[90:91]
	s_waitcnt vmcnt(48)
	;; [unrolled: 17-line block ×7, first 2 shown]
	v_fma_f64 v[4:5], v[194:195], v[218:219], -v[4:5]
	v_fmac_f64_e32 v[116:117], v[196:197], v[218:219]
	v_add_f64 v[2:3], v[2:3], v[4:5]
	s_waitcnt lgkmcnt(2)
	v_mul_f64 v[4:5], v[200:201], v[212:213]
	v_add_f64 v[110:111], v[110:111], v[116:117]
	v_mul_f64 v[116:117], v[198:199], v[212:213]
	v_fma_f64 v[4:5], v[198:199], v[214:215], -v[4:5]
	v_fmac_f64_e32 v[116:117], v[200:201], v[214:215]
	v_add_f64 v[2:3], v[2:3], v[4:5]
	s_waitcnt vmcnt(2) lgkmcnt(1)
	v_mul_f64 v[4:5], v[204:205], v[224:225]
	v_add_f64 v[110:111], v[110:111], v[116:117]
	v_mul_f64 v[116:117], v[202:203], v[224:225]
	s_waitcnt vmcnt(0)
	v_fma_f64 v[4:5], v[202:203], v[226:227], -v[4:5]
	v_fmac_f64_e32 v[116:117], v[204:205], v[226:227]
	v_add_f64 v[2:3], v[2:3], v[4:5]
	s_waitcnt lgkmcnt(0)
	v_mul_f64 v[4:5], v[208:209], v[220:221]
	v_add_f64 v[110:111], v[110:111], v[116:117]
	v_mul_f64 v[116:117], v[206:207], v[220:221]
	v_fma_f64 v[4:5], v[206:207], v[222:223], -v[4:5]
	v_fmac_f64_e32 v[116:117], v[208:209], v[222:223]
	v_add_f64 v[2:3], v[2:3], v[4:5]
	v_add_f64 v[110:111], v[110:111], v[116:117]
	v_add_f64 v[2:3], v[46:47], -v[2:3]
	v_add_f64 v[4:5], v[44:45], -v[110:111]
	buffer_store_dword v3, off, s[0:3], 0 offset:516
	buffer_store_dword v2, off, s[0:3], 0 offset:512
	;; [unrolled: 1-line block ×4, first 2 shown]
	s_and_saveexec_b64 s[4:5], vcc
	s_cbranch_execz .LBB58_307
; %bb.306:
	v_accvgpr_read_b32 v0, a146
	buffer_load_dword v2, v0, s[0:3], 0 offen
	buffer_load_dword v3, v0, s[0:3], 0 offen offset:4
	buffer_load_dword v4, v0, s[0:3], 0 offen offset:8
	;; [unrolled: 1-line block ×3, first 2 shown]
	v_accvgpr_read_b32 v0, a177
	buffer_store_dword v136, off, s[0:3], 0 offset:496
	buffer_store_dword v136, off, s[0:3], 0 offset:500
	;; [unrolled: 1-line block ×4, first 2 shown]
	s_waitcnt vmcnt(4)
	ds_write_b128 v0, v[2:5]
.LBB58_307:
	s_or_b64 exec, exec, s[4:5]
	s_waitcnt lgkmcnt(0)
	; wave barrier
	s_waitcnt lgkmcnt(0)
	buffer_load_dword v34, off, s[0:3], 0 offset:512
	buffer_load_dword v35, off, s[0:3], 0 offset:516
	;; [unrolled: 1-line block ×32, first 2 shown]
	ds_read_b128 v[30:33], v136 offset:1440
	ds_read_b128 v[26:29], v136 offset:1456
	;; [unrolled: 1-line block ×8, first 2 shown]
	buffer_load_dword v67, off, s[0:3], 0 offset:652
	buffer_load_dword v66, off, s[0:3], 0 offset:648
	;; [unrolled: 1-line block ×24, first 2 shown]
	v_accvgpr_read_b32 v0, a176
	v_cmp_lt_u32_e32 vcc, 29, v0
	s_waitcnt vmcnt(52) lgkmcnt(7)
	v_mul_f64 v[90:91], v[30:31], v[38:39]
	v_fmac_f64_e32 v[90:91], v[32:33], v[34:35]
	v_add_f64 v[90:91], v[90:91], 0
	v_mul_f64 v[32:33], v[32:33], v[38:39]
	s_waitcnt vmcnt(48) lgkmcnt(6)
	v_mul_f64 v[92:93], v[26:27], v[40:41]
	v_fmac_f64_e32 v[92:93], v[28:29], v[36:37]
	s_waitcnt vmcnt(46) lgkmcnt(5)
	v_mul_f64 v[94:95], v[22:23], v[42:43]
	v_add_f64 v[90:91], v[90:91], v[92:93]
	s_waitcnt vmcnt(44) lgkmcnt(4)
	v_mul_f64 v[96:97], v[18:19], v[48:49]
	v_fma_f64 v[30:31], v[30:31], v[34:35], -v[32:33]
	s_waitcnt vmcnt(42) lgkmcnt(1)
	v_mul_f64 v[124:125], v[2:3], v[50:51]
	v_mul_f64 v[28:29], v[28:29], v[40:41]
	s_waitcnt vmcnt(18) lgkmcnt(0)
	v_mul_f64 v[140:141], v[14:15], v[70:71]
	v_mul_f64 v[100:101], v[6:7], v[54:55]
	s_waitcnt vmcnt(16)
	v_fmac_f64_e32 v[140:141], v[16:17], v[72:73]
	v_mul_f64 v[98:99], v[10:11], v[56:57]
	v_add_f64 v[30:31], v[30:31], 0
	v_fmac_f64_e32 v[98:99], v[12:13], v[58:59]
	v_fma_f64 v[26:27], v[26:27], v[36:37], -v[28:29]
	v_fmac_f64_e32 v[94:95], v[24:25], v[64:65]
	v_add_f64 v[90:91], v[90:91], v[94:95]
	v_fmac_f64_e32 v[96:97], v[20:21], v[62:63]
	v_add_f64 v[90:91], v[90:91], v[96:97]
	;; [unrolled: 2-line block ×3, first 2 shown]
	v_add_f64 v[126:127], v[90:91], v[100:101]
	buffer_load_dword v91, off, s[0:3], 0 offset:748
	buffer_load_dword v90, off, s[0:3], 0 offset:744
	;; [unrolled: 1-line block ×56, first 2 shown]
	v_fmac_f64_e32 v[124:125], v[4:5], v[52:53]
	v_add_f64 v[138:139], v[126:127], v[124:125]
	ds_read_b128 v[124:127], v136 offset:1568
	buffer_load_dword v229, off, s[0:3], 0 offset:956
	buffer_load_dword v228, off, s[0:3], 0 offset:952
	buffer_load_dword v231, off, s[0:3], 0 offset:948
	buffer_load_dword v230, off, s[0:3], 0 offset:944
	v_add_f64 v[142:143], v[138:139], v[140:141]
	ds_read_b128 v[138:141], v136 offset:1584
	v_mul_f64 v[24:25], v[24:25], v[42:43]
	s_waitcnt lgkmcnt(1)
	v_mul_f64 v[144:145], v[124:125], v[66:67]
	v_fmac_f64_e32 v[144:145], v[126:127], v[68:69]
	v_add_f64 v[146:147], v[142:143], v[144:145]
	ds_read_b128 v[142:145], v136 offset:1600
	s_waitcnt vmcnt(62) lgkmcnt(1)
	v_mul_f64 v[148:149], v[138:139], v[78:79]
	v_fmac_f64_e32 v[148:149], v[140:141], v[80:81]
	v_add_f64 v[150:151], v[146:147], v[148:149]
	ds_read_b128 v[146:149], v136 offset:1616
	s_waitcnt lgkmcnt(1)
	v_mul_f64 v[152:153], v[142:143], v[74:75]
	v_fmac_f64_e32 v[152:153], v[144:145], v[76:77]
	v_add_f64 v[154:155], v[150:151], v[152:153]
	ds_read_b128 v[150:153], v136 offset:1632
	s_waitcnt lgkmcnt(1)
	v_mul_f64 v[156:157], v[146:147], v[86:87]
	s_waitcnt vmcnt(60)
	v_fmac_f64_e32 v[156:157], v[148:149], v[88:89]
	v_add_f64 v[158:159], v[154:155], v[156:157]
	ds_read_b128 v[154:157], v136 offset:1648
	s_waitcnt lgkmcnt(1)
	v_mul_f64 v[160:161], v[150:151], v[82:83]
	v_fmac_f64_e32 v[160:161], v[152:153], v[84:85]
	v_add_f64 v[162:163], v[158:159], v[160:161]
	ds_read_b128 v[158:161], v136 offset:1664
	v_add_f64 v[26:27], v[30:31], v[26:27]
	v_fma_f64 v[22:23], v[22:23], v[64:65], -v[24:25]
	s_waitcnt vmcnt(54) lgkmcnt(1)
	v_mul_f64 v[164:165], v[154:155], v[94:95]
	v_mul_f64 v[20:21], v[20:21], v[48:49]
	s_waitcnt vmcnt(52)
	v_fmac_f64_e32 v[164:165], v[156:157], v[96:97]
	v_add_f64 v[166:167], v[162:163], v[164:165]
	ds_read_b128 v[162:165], v136 offset:1680
	s_waitcnt lgkmcnt(1)
	v_mul_f64 v[168:169], v[158:159], v[90:91]
	v_fmac_f64_e32 v[168:169], v[160:161], v[92:93]
	v_add_f64 v[22:23], v[26:27], v[22:23]
	v_fma_f64 v[18:19], v[18:19], v[62:63], -v[20:21]
	v_mul_f64 v[12:13], v[12:13], v[56:57]
	v_add_f64 v[170:171], v[166:167], v[168:169]
	ds_read_b128 v[166:169], v136 offset:1696
	v_add_f64 v[18:19], v[22:23], v[18:19]
	v_fma_f64 v[10:11], v[10:11], v[58:59], -v[12:13]
	v_mul_f64 v[8:9], v[8:9], v[54:55]
	v_add_f64 v[10:11], v[18:19], v[10:11]
	v_fma_f64 v[6:7], v[6:7], v[60:61], -v[8:9]
	v_mul_f64 v[4:5], v[4:5], v[50:51]
	;; [unrolled: 3-line block ×3, first 2 shown]
	s_waitcnt vmcnt(46) lgkmcnt(1)
	v_mul_f64 v[172:173], v[162:163], v[102:103]
	v_add_f64 v[2:3], v[6:7], v[2:3]
	v_fma_f64 v[4:5], v[14:15], v[72:73], -v[4:5]
	s_waitcnt vmcnt(44)
	v_fmac_f64_e32 v[172:173], v[164:165], v[104:105]
	v_add_f64 v[2:3], v[2:3], v[4:5]
	v_mul_f64 v[4:5], v[126:127], v[66:67]
	v_add_f64 v[174:175], v[170:171], v[172:173]
	ds_read_b128 v[170:173], v136 offset:1712
	s_waitcnt lgkmcnt(1)
	v_mul_f64 v[176:177], v[166:167], v[98:99]
	v_fma_f64 v[4:5], v[124:125], v[68:69], -v[4:5]
	v_fmac_f64_e32 v[176:177], v[168:169], v[100:101]
	v_add_f64 v[2:3], v[2:3], v[4:5]
	v_mul_f64 v[4:5], v[140:141], v[78:79]
	v_add_f64 v[178:179], v[174:175], v[176:177]
	ds_read_b128 v[174:177], v136 offset:1728
	v_fma_f64 v[4:5], v[138:139], v[80:81], -v[4:5]
	v_add_f64 v[2:3], v[2:3], v[4:5]
	v_mul_f64 v[4:5], v[144:145], v[74:75]
	v_fma_f64 v[4:5], v[142:143], v[76:77], -v[4:5]
	s_waitcnt vmcnt(38) lgkmcnt(1)
	v_mul_f64 v[180:181], v[170:171], v[110:111]
	v_add_f64 v[2:3], v[2:3], v[4:5]
	v_mul_f64 v[4:5], v[148:149], v[86:87]
	s_waitcnt vmcnt(36)
	v_fmac_f64_e32 v[180:181], v[172:173], v[112:113]
	v_fma_f64 v[4:5], v[146:147], v[88:89], -v[4:5]
	v_add_f64 v[182:183], v[178:179], v[180:181]
	ds_read_b128 v[178:181], v136 offset:1744
	s_waitcnt lgkmcnt(1)
	v_mul_f64 v[184:185], v[174:175], v[106:107]
	v_add_f64 v[2:3], v[2:3], v[4:5]
	v_mul_f64 v[4:5], v[152:153], v[82:83]
	v_fmac_f64_e32 v[184:185], v[176:177], v[108:109]
	v_fma_f64 v[4:5], v[150:151], v[84:85], -v[4:5]
	v_add_f64 v[186:187], v[182:183], v[184:185]
	ds_read_b128 v[182:185], v136 offset:1760
	v_add_f64 v[2:3], v[2:3], v[4:5]
	v_mul_f64 v[4:5], v[156:157], v[94:95]
	v_fma_f64 v[4:5], v[154:155], v[96:97], -v[4:5]
	v_add_f64 v[2:3], v[2:3], v[4:5]
	v_mul_f64 v[4:5], v[160:161], v[90:91]
	s_waitcnt vmcnt(30) lgkmcnt(1)
	v_mul_f64 v[188:189], v[178:179], v[120:121]
	v_fma_f64 v[4:5], v[158:159], v[92:93], -v[4:5]
	s_waitcnt vmcnt(28)
	v_fmac_f64_e32 v[188:189], v[180:181], v[122:123]
	v_add_f64 v[2:3], v[2:3], v[4:5]
	v_mul_f64 v[4:5], v[164:165], v[102:103]
	v_add_f64 v[190:191], v[186:187], v[188:189]
	ds_read_b128 v[186:189], v136 offset:1776
	s_waitcnt lgkmcnt(1)
	v_mul_f64 v[192:193], v[182:183], v[114:115]
	v_fma_f64 v[4:5], v[162:163], v[104:105], -v[4:5]
	v_fmac_f64_e32 v[192:193], v[184:185], v[116:117]
	v_add_f64 v[2:3], v[2:3], v[4:5]
	v_mul_f64 v[4:5], v[168:169], v[98:99]
	v_add_f64 v[194:195], v[190:191], v[192:193]
	ds_read_b128 v[190:193], v136 offset:1792
	v_fma_f64 v[4:5], v[166:167], v[100:101], -v[4:5]
	v_add_f64 v[2:3], v[2:3], v[4:5]
	v_mul_f64 v[4:5], v[172:173], v[110:111]
	v_fma_f64 v[4:5], v[170:171], v[112:113], -v[4:5]
	s_waitcnt vmcnt(22) lgkmcnt(1)
	v_mul_f64 v[196:197], v[186:187], v[132:133]
	v_add_f64 v[2:3], v[2:3], v[4:5]
	v_mul_f64 v[4:5], v[176:177], v[106:107]
	s_waitcnt vmcnt(20)
	v_fmac_f64_e32 v[196:197], v[188:189], v[134:135]
	v_fma_f64 v[4:5], v[174:175], v[108:109], -v[4:5]
	v_add_f64 v[198:199], v[194:195], v[196:197]
	ds_read_b128 v[194:197], v136 offset:1808
	s_waitcnt lgkmcnt(1)
	v_mul_f64 v[200:201], v[190:191], v[128:129]
	v_add_f64 v[2:3], v[2:3], v[4:5]
	v_mul_f64 v[4:5], v[180:181], v[120:121]
	v_fmac_f64_e32 v[200:201], v[192:193], v[130:131]
	v_fma_f64 v[4:5], v[178:179], v[122:123], -v[4:5]
	v_add_f64 v[202:203], v[198:199], v[200:201]
	ds_read_b128 v[198:201], v136 offset:1824
	v_add_f64 v[2:3], v[2:3], v[4:5]
	v_mul_f64 v[4:5], v[184:185], v[114:115]
	v_fma_f64 v[4:5], v[182:183], v[116:117], -v[4:5]
	v_add_f64 v[2:3], v[2:3], v[4:5]
	v_mul_f64 v[4:5], v[188:189], v[132:133]
	s_waitcnt vmcnt(14) lgkmcnt(1)
	v_mul_f64 v[204:205], v[194:195], v[216:217]
	v_fma_f64 v[4:5], v[186:187], v[134:135], -v[4:5]
	s_waitcnt vmcnt(12)
	v_fmac_f64_e32 v[204:205], v[196:197], v[218:219]
	v_add_f64 v[2:3], v[2:3], v[4:5]
	v_mul_f64 v[4:5], v[192:193], v[128:129]
	v_add_f64 v[206:207], v[202:203], v[204:205]
	ds_read_b128 v[202:205], v136 offset:1840
	s_waitcnt lgkmcnt(1)
	v_mul_f64 v[208:209], v[198:199], v[118:119]
	v_fma_f64 v[4:5], v[190:191], v[130:131], -v[4:5]
	v_fmac_f64_e32 v[208:209], v[200:201], v[214:215]
	v_add_f64 v[2:3], v[2:3], v[4:5]
	v_mul_f64 v[4:5], v[196:197], v[216:217]
	v_add_f64 v[232:233], v[206:207], v[208:209]
	ds_read_b128 v[206:209], v136 offset:1856
	v_fma_f64 v[4:5], v[194:195], v[218:219], -v[4:5]
	v_add_f64 v[2:3], v[2:3], v[4:5]
	v_mul_f64 v[4:5], v[200:201], v[118:119]
	ds_read_b128 v[210:213], v136 offset:1872
	v_fma_f64 v[4:5], v[198:199], v[214:215], -v[4:5]
	v_add_f64 v[2:3], v[2:3], v[4:5]
	s_waitcnt vmcnt(6) lgkmcnt(2)
	v_mul_f64 v[4:5], v[204:205], v[224:225]
	v_mul_f64 v[234:235], v[202:203], v[224:225]
	s_waitcnt vmcnt(4)
	v_fma_f64 v[4:5], v[202:203], v[226:227], -v[4:5]
	v_fmac_f64_e32 v[234:235], v[204:205], v[226:227]
	v_add_f64 v[2:3], v[2:3], v[4:5]
	s_waitcnt lgkmcnt(1)
	v_mul_f64 v[4:5], v[208:209], v[220:221]
	v_add_f64 v[136:137], v[232:233], v[234:235]
	v_mul_f64 v[232:233], v[206:207], v[220:221]
	v_fma_f64 v[4:5], v[206:207], v[222:223], -v[4:5]
	v_fmac_f64_e32 v[232:233], v[208:209], v[222:223]
	v_add_f64 v[2:3], v[2:3], v[4:5]
	s_waitcnt vmcnt(2) lgkmcnt(0)
	v_mul_f64 v[4:5], v[212:213], v[228:229]
	v_add_f64 v[136:137], v[136:137], v[232:233]
	v_mul_f64 v[232:233], v[210:211], v[228:229]
	s_waitcnt vmcnt(0)
	v_fma_f64 v[4:5], v[210:211], v[230:231], -v[4:5]
	v_fmac_f64_e32 v[232:233], v[212:213], v[230:231]
	v_add_f64 v[2:3], v[2:3], v[4:5]
	v_add_f64 v[136:137], v[136:137], v[232:233]
	v_add_f64 v[2:3], v[46:47], -v[2:3]
	v_add_f64 v[4:5], v[44:45], -v[136:137]
	buffer_store_dword v3, off, s[0:3], 0 offset:500
	buffer_store_dword v2, off, s[0:3], 0 offset:496
	;; [unrolled: 1-line block ×4, first 2 shown]
	s_and_saveexec_b64 s[4:5], vcc
	s_cbranch_execz .LBB58_309
; %bb.308:
	v_accvgpr_read_b32 v0, a147
	buffer_load_dword v2, v0, s[0:3], 0 offen
	buffer_load_dword v3, v0, s[0:3], 0 offen offset:4
	buffer_load_dword v4, v0, s[0:3], 0 offen offset:8
	;; [unrolled: 1-line block ×3, first 2 shown]
	v_mov_b32_e32 v0, 0
	v_accvgpr_read_b32 v1, a177
	buffer_store_dword v0, off, s[0:3], 0 offset:480
	buffer_store_dword v0, off, s[0:3], 0 offset:484
	;; [unrolled: 1-line block ×4, first 2 shown]
	s_waitcnt vmcnt(4)
	ds_write_b128 v1, v[2:5]
.LBB58_309:
	s_or_b64 exec, exec, s[4:5]
	s_waitcnt lgkmcnt(0)
	; wave barrier
	s_waitcnt lgkmcnt(0)
	buffer_load_dword v38, off, s[0:3], 0 offset:496
	buffer_load_dword v39, off, s[0:3], 0 offset:500
	;; [unrolled: 1-line block ×48, first 2 shown]
	v_mov_b32_e32 v152, 0
	ds_read_b128 v[34:37], v152 offset:1424
	ds_read_b128 v[30:33], v152 offset:1440
	;; [unrolled: 1-line block ×9, first 2 shown]
	v_accvgpr_read_b32 v0, a176
	v_cmp_lt_u32_e32 vcc, 28, v0
	s_waitcnt vmcnt(44) lgkmcnt(8)
	v_mul_f64 v[86:87], v[34:35], v[42:43]
	v_fmac_f64_e32 v[86:87], v[36:37], v[38:39]
	v_add_f64 v[86:87], v[86:87], 0
	v_mul_f64 v[36:37], v[36:37], v[42:43]
	s_waitcnt vmcnt(40) lgkmcnt(7)
	v_mul_f64 v[88:89], v[30:31], v[44:45]
	v_fmac_f64_e32 v[88:89], v[32:33], v[40:41]
	s_waitcnt vmcnt(38) lgkmcnt(6)
	v_mul_f64 v[90:91], v[26:27], v[46:47]
	v_add_f64 v[86:87], v[86:87], v[88:89]
	s_waitcnt vmcnt(36) lgkmcnt(4)
	v_mul_f64 v[94:95], v[18:19], v[48:49]
	v_fma_f64 v[34:35], v[34:35], v[38:39], -v[36:37]
	s_waitcnt vmcnt(34)
	v_fmac_f64_e32 v[94:95], v[20:21], v[50:51]
	v_mul_f64 v[32:33], v[32:33], v[44:45]
	s_waitcnt vmcnt(32)
	v_mul_f64 v[92:93], v[22:23], v[52:53]
	v_add_f64 v[34:35], v[34:35], 0
	s_waitcnt vmcnt(30) lgkmcnt(2)
	v_mul_f64 v[98:99], v[10:11], v[54:55]
	v_fma_f64 v[30:31], v[30:31], v[40:41], -v[32:33]
	s_waitcnt vmcnt(28)
	v_fmac_f64_e32 v[98:99], v[12:13], v[56:57]
	v_add_f64 v[30:31], v[34:35], v[30:31]
	s_waitcnt vmcnt(26)
	v_mul_f64 v[96:97], v[14:15], v[58:59]
	v_mul_f64 v[20:21], v[20:21], v[48:49]
	v_fma_f64 v[18:19], v[18:19], v[50:51], -v[20:21]
	v_mul_f64 v[12:13], v[12:13], v[54:55]
	s_waitcnt vmcnt(22) lgkmcnt(1)
	v_mul_f64 v[110:111], v[6:7], v[68:69]
	v_fma_f64 v[10:11], v[10:11], v[56:57], -v[12:13]
	s_waitcnt vmcnt(20)
	v_fmac_f64_e32 v[90:91], v[28:29], v[76:77]
	v_add_f64 v[86:87], v[86:87], v[90:91]
	s_waitcnt vmcnt(18)
	v_fmac_f64_e32 v[92:93], v[24:25], v[74:75]
	v_add_f64 v[86:87], v[86:87], v[92:93]
	;; [unrolled: 3-line block ×3, first 2 shown]
	v_add_f64 v[86:87], v[86:87], v[96:97]
	v_add_f64 v[112:113], v[86:87], v[98:99]
	buffer_load_dword v87, off, s[0:3], 0 offset:700
	buffer_load_dword v86, off, s[0:3], 0 offset:696
	buffer_load_dword v89, off, s[0:3], 0 offset:692
	buffer_load_dword v88, off, s[0:3], 0 offset:688
	buffer_load_dword v91, off, s[0:3], 0 offset:684
	buffer_load_dword v90, off, s[0:3], 0 offset:680
	buffer_load_dword v93, off, s[0:3], 0 offset:676
	buffer_load_dword v92, off, s[0:3], 0 offset:672
	buffer_load_dword v95, off, s[0:3], 0 offset:732
	buffer_load_dword v94, off, s[0:3], 0 offset:728
	buffer_load_dword v97, off, s[0:3], 0 offset:724
	buffer_load_dword v96, off, s[0:3], 0 offset:720
	buffer_load_dword v99, off, s[0:3], 0 offset:716
	buffer_load_dword v98, off, s[0:3], 0 offset:712
	buffer_load_dword v101, off, s[0:3], 0 offset:708
	buffer_load_dword v100, off, s[0:3], 0 offset:704
	buffer_load_dword v103, off, s[0:3], 0 offset:764
	buffer_load_dword v102, off, s[0:3], 0 offset:760
	buffer_load_dword v105, off, s[0:3], 0 offset:756
	buffer_load_dword v104, off, s[0:3], 0 offset:752
	buffer_load_dword v107, off, s[0:3], 0 offset:748
	buffer_load_dword v106, off, s[0:3], 0 offset:744
	buffer_load_dword v109, off, s[0:3], 0 offset:740
	buffer_load_dword v108, off, s[0:3], 0 offset:736
	buffer_load_dword v115, off, s[0:3], 0 offset:796
	buffer_load_dword v114, off, s[0:3], 0 offset:792
	buffer_load_dword v117, off, s[0:3], 0 offset:788
	buffer_load_dword v116, off, s[0:3], 0 offset:784
	buffer_load_dword v121, off, s[0:3], 0 offset:780
	buffer_load_dword v120, off, s[0:3], 0 offset:776
	buffer_load_dword v123, off, s[0:3], 0 offset:772
	buffer_load_dword v122, off, s[0:3], 0 offset:768
	buffer_load_dword v125, off, s[0:3], 0 offset:828
	buffer_load_dword v124, off, s[0:3], 0 offset:824
	buffer_load_dword v127, off, s[0:3], 0 offset:820
	buffer_load_dword v126, off, s[0:3], 0 offset:816
	buffer_load_dword v129, off, s[0:3], 0 offset:812
	buffer_load_dword v128, off, s[0:3], 0 offset:808
	buffer_load_dword v131, off, s[0:3], 0 offset:804
	buffer_load_dword v130, off, s[0:3], 0 offset:800
	buffer_load_dword v133, off, s[0:3], 0 offset:860
	buffer_load_dword v132, off, s[0:3], 0 offset:856
	buffer_load_dword v135, off, s[0:3], 0 offset:852
	buffer_load_dword v134, off, s[0:3], 0 offset:848
	buffer_load_dword v137, off, s[0:3], 0 offset:844
	buffer_load_dword v136, off, s[0:3], 0 offset:840
	buffer_load_dword v139, off, s[0:3], 0 offset:836
	buffer_load_dword v138, off, s[0:3], 0 offset:832
	buffer_load_dword v141, off, s[0:3], 0 offset:892
	buffer_load_dword v140, off, s[0:3], 0 offset:888
	buffer_load_dword v143, off, s[0:3], 0 offset:884
	buffer_load_dword v142, off, s[0:3], 0 offset:880
	buffer_load_dword v119, off, s[0:3], 0 offset:876
	buffer_load_dword v118, off, s[0:3], 0 offset:872
	buffer_load_dword v223, off, s[0:3], 0 offset:868
	buffer_load_dword v222, off, s[0:3], 0 offset:864
	buffer_load_dword v225, off, s[0:3], 0 offset:924
	buffer_load_dword v224, off, s[0:3], 0 offset:920
	buffer_load_dword v227, off, s[0:3], 0 offset:916
	buffer_load_dword v226, off, s[0:3], 0 offset:912
	buffer_load_dword v229, off, s[0:3], 0 offset:908
	buffer_load_dword v228, off, s[0:3], 0 offset:904
	buffer_load_dword v231, off, s[0:3], 0 offset:900
	buffer_load_dword v230, off, s[0:3], 0 offset:896
	buffer_load_dword v233, off, s[0:3], 0 offset:956
	buffer_load_dword v232, off, s[0:3], 0 offset:952
	buffer_load_dword v235, off, s[0:3], 0 offset:948
	buffer_load_dword v234, off, s[0:3], 0 offset:944
	buffer_load_dword v237, off, s[0:3], 0 offset:940
	buffer_load_dword v236, off, s[0:3], 0 offset:936
	buffer_load_dword v239, off, s[0:3], 0 offset:932
	buffer_load_dword v238, off, s[0:3], 0 offset:928
	s_waitcnt vmcnt(62)
	v_fmac_f64_e32 v[110:111], v[8:9], v[70:71]
	v_add_f64 v[144:145], v[112:113], v[110:111]
	ds_read_b128 v[110:113], v152 offset:1568
	s_waitcnt lgkmcnt(1)
	v_mul_f64 v[146:147], v[2:3], v[64:65]
	v_fmac_f64_e32 v[146:147], v[4:5], v[66:67]
	v_add_f64 v[148:149], v[144:145], v[146:147]
	ds_read_b128 v[144:147], v152 offset:1584
	s_waitcnt lgkmcnt(1)
	v_mul_f64 v[150:151], v[110:111], v[82:83]
	v_fmac_f64_e32 v[150:151], v[112:113], v[84:85]
	v_add_f64 v[154:155], v[148:149], v[150:151]
	ds_read_b128 v[148:151], v152 offset:1600
	s_waitcnt lgkmcnt(1)
	v_mul_f64 v[156:157], v[144:145], v[78:79]
	v_fmac_f64_e32 v[156:157], v[146:147], v[80:81]
	v_add_f64 v[158:159], v[154:155], v[156:157]
	ds_read_b128 v[154:157], v152 offset:1616
	s_waitcnt lgkmcnt(1)
	v_mul_f64 v[160:161], v[148:149], v[90:91]
	v_fmac_f64_e32 v[160:161], v[150:151], v[92:93]
	v_add_f64 v[162:163], v[158:159], v[160:161]
	ds_read_b128 v[158:161], v152 offset:1632
	s_waitcnt lgkmcnt(1)
	v_mul_f64 v[164:165], v[154:155], v[86:87]
	v_fmac_f64_e32 v[164:165], v[156:157], v[88:89]
	v_add_f64 v[166:167], v[162:163], v[164:165]
	ds_read_b128 v[162:165], v152 offset:1648
	s_waitcnt vmcnt(58) lgkmcnt(1)
	v_mul_f64 v[168:169], v[158:159], v[98:99]
	s_waitcnt vmcnt(56)
	v_fmac_f64_e32 v[168:169], v[160:161], v[100:101]
	v_add_f64 v[170:171], v[166:167], v[168:169]
	ds_read_b128 v[166:169], v152 offset:1664
	s_waitcnt lgkmcnt(1)
	v_mul_f64 v[172:173], v[162:163], v[94:95]
	v_fmac_f64_e32 v[172:173], v[164:165], v[96:97]
	v_mul_f64 v[28:29], v[28:29], v[46:47]
	v_add_f64 v[174:175], v[170:171], v[172:173]
	ds_read_b128 v[170:173], v152 offset:1680
	s_waitcnt vmcnt(50) lgkmcnt(1)
	v_mul_f64 v[176:177], v[166:167], v[106:107]
	v_fma_f64 v[26:27], v[26:27], v[76:77], -v[28:29]
	v_mul_f64 v[24:25], v[24:25], v[52:53]
	s_waitcnt vmcnt(48)
	v_fmac_f64_e32 v[176:177], v[168:169], v[108:109]
	v_add_f64 v[26:27], v[30:31], v[26:27]
	v_fma_f64 v[22:23], v[22:23], v[74:75], -v[24:25]
	v_add_f64 v[178:179], v[174:175], v[176:177]
	ds_read_b128 v[174:177], v152 offset:1696
	v_add_f64 v[22:23], v[26:27], v[22:23]
	v_mul_f64 v[16:17], v[16:17], v[58:59]
	v_add_f64 v[18:19], v[22:23], v[18:19]
	v_fma_f64 v[14:15], v[14:15], v[72:73], -v[16:17]
	v_add_f64 v[14:15], v[18:19], v[14:15]
	v_mul_f64 v[8:9], v[8:9], v[68:69]
	s_waitcnt lgkmcnt(1)
	v_mul_f64 v[180:181], v[170:171], v[102:103]
	v_add_f64 v[10:11], v[14:15], v[10:11]
	v_fma_f64 v[6:7], v[6:7], v[70:71], -v[8:9]
	v_mul_f64 v[4:5], v[4:5], v[64:65]
	v_fmac_f64_e32 v[180:181], v[172:173], v[104:105]
	v_add_f64 v[6:7], v[10:11], v[6:7]
	v_fma_f64 v[2:3], v[2:3], v[66:67], -v[4:5]
	v_mul_f64 v[4:5], v[112:113], v[82:83]
	v_add_f64 v[182:183], v[178:179], v[180:181]
	ds_read_b128 v[178:181], v152 offset:1712
	s_waitcnt vmcnt(42) lgkmcnt(1)
	v_mul_f64 v[184:185], v[174:175], v[120:121]
	v_add_f64 v[2:3], v[6:7], v[2:3]
	v_fma_f64 v[4:5], v[110:111], v[84:85], -v[4:5]
	s_waitcnt vmcnt(40)
	v_fmac_f64_e32 v[184:185], v[176:177], v[122:123]
	v_add_f64 v[2:3], v[2:3], v[4:5]
	v_mul_f64 v[4:5], v[146:147], v[78:79]
	v_add_f64 v[186:187], v[182:183], v[184:185]
	ds_read_b128 v[182:185], v152 offset:1728
	v_fma_f64 v[4:5], v[144:145], v[80:81], -v[4:5]
	v_add_f64 v[2:3], v[2:3], v[4:5]
	v_mul_f64 v[4:5], v[150:151], v[90:91]
	v_fma_f64 v[4:5], v[148:149], v[92:93], -v[4:5]
	s_waitcnt lgkmcnt(1)
	v_mul_f64 v[188:189], v[178:179], v[114:115]
	v_add_f64 v[2:3], v[2:3], v[4:5]
	v_mul_f64 v[4:5], v[156:157], v[86:87]
	v_fmac_f64_e32 v[188:189], v[180:181], v[116:117]
	v_fma_f64 v[4:5], v[154:155], v[88:89], -v[4:5]
	v_add_f64 v[190:191], v[186:187], v[188:189]
	ds_read_b128 v[186:189], v152 offset:1744
	s_waitcnt vmcnt(34) lgkmcnt(1)
	v_mul_f64 v[192:193], v[182:183], v[128:129]
	v_add_f64 v[2:3], v[2:3], v[4:5]
	v_mul_f64 v[4:5], v[160:161], v[98:99]
	s_waitcnt vmcnt(32)
	v_fmac_f64_e32 v[192:193], v[184:185], v[130:131]
	v_fma_f64 v[4:5], v[158:159], v[100:101], -v[4:5]
	v_add_f64 v[194:195], v[190:191], v[192:193]
	ds_read_b128 v[190:193], v152 offset:1760
	v_add_f64 v[2:3], v[2:3], v[4:5]
	v_mul_f64 v[4:5], v[164:165], v[94:95]
	v_fma_f64 v[4:5], v[162:163], v[96:97], -v[4:5]
	v_add_f64 v[2:3], v[2:3], v[4:5]
	v_mul_f64 v[4:5], v[168:169], v[106:107]
	s_waitcnt lgkmcnt(1)
	v_mul_f64 v[196:197], v[186:187], v[124:125]
	v_fma_f64 v[4:5], v[166:167], v[108:109], -v[4:5]
	v_fmac_f64_e32 v[196:197], v[188:189], v[126:127]
	v_add_f64 v[2:3], v[2:3], v[4:5]
	v_mul_f64 v[4:5], v[172:173], v[102:103]
	v_add_f64 v[198:199], v[194:195], v[196:197]
	ds_read_b128 v[194:197], v152 offset:1776
	s_waitcnt vmcnt(26) lgkmcnt(1)
	v_mul_f64 v[200:201], v[190:191], v[136:137]
	v_fma_f64 v[4:5], v[170:171], v[104:105], -v[4:5]
	s_waitcnt vmcnt(24)
	v_fmac_f64_e32 v[200:201], v[192:193], v[138:139]
	v_add_f64 v[2:3], v[2:3], v[4:5]
	v_mul_f64 v[4:5], v[176:177], v[120:121]
	v_add_f64 v[202:203], v[198:199], v[200:201]
	ds_read_b128 v[198:201], v152 offset:1792
	v_fma_f64 v[4:5], v[174:175], v[122:123], -v[4:5]
	v_add_f64 v[2:3], v[2:3], v[4:5]
	v_mul_f64 v[4:5], v[180:181], v[114:115]
	v_fma_f64 v[4:5], v[178:179], v[116:117], -v[4:5]
	s_waitcnt lgkmcnt(1)
	v_mul_f64 v[204:205], v[194:195], v[132:133]
	v_add_f64 v[2:3], v[2:3], v[4:5]
	v_mul_f64 v[4:5], v[184:185], v[128:129]
	v_fmac_f64_e32 v[204:205], v[196:197], v[134:135]
	v_fma_f64 v[4:5], v[182:183], v[130:131], -v[4:5]
	v_add_f64 v[206:207], v[202:203], v[204:205]
	ds_read_b128 v[202:205], v152 offset:1808
	s_waitcnt vmcnt(18) lgkmcnt(1)
	v_mul_f64 v[208:209], v[198:199], v[118:119]
	v_add_f64 v[2:3], v[2:3], v[4:5]
	v_mul_f64 v[4:5], v[188:189], v[124:125]
	s_waitcnt vmcnt(16)
	v_fmac_f64_e32 v[208:209], v[200:201], v[222:223]
	v_fma_f64 v[4:5], v[186:187], v[126:127], -v[4:5]
	v_add_f64 v[210:211], v[206:207], v[208:209]
	ds_read_b128 v[206:209], v152 offset:1824
	v_add_f64 v[2:3], v[2:3], v[4:5]
	v_mul_f64 v[4:5], v[192:193], v[136:137]
	v_fma_f64 v[4:5], v[190:191], v[138:139], -v[4:5]
	v_add_f64 v[2:3], v[2:3], v[4:5]
	v_mul_f64 v[4:5], v[196:197], v[132:133]
	s_waitcnt lgkmcnt(1)
	v_mul_f64 v[212:213], v[202:203], v[140:141]
	v_fma_f64 v[4:5], v[194:195], v[134:135], -v[4:5]
	v_fmac_f64_e32 v[212:213], v[204:205], v[142:143]
	v_add_f64 v[2:3], v[2:3], v[4:5]
	v_mul_f64 v[4:5], v[200:201], v[118:119]
	v_add_f64 v[214:215], v[210:211], v[212:213]
	ds_read_b128 v[210:213], v152 offset:1840
	s_waitcnt vmcnt(10) lgkmcnt(1)
	v_mul_f64 v[216:217], v[206:207], v[228:229]
	v_fma_f64 v[4:5], v[198:199], v[222:223], -v[4:5]
	s_waitcnt vmcnt(8)
	v_fmac_f64_e32 v[216:217], v[208:209], v[230:231]
	v_add_f64 v[2:3], v[2:3], v[4:5]
	v_mul_f64 v[4:5], v[204:205], v[140:141]
	v_add_f64 v[240:241], v[214:215], v[216:217]
	ds_read_b128 v[214:217], v152 offset:1856
	ds_read_b128 v[218:221], v152 offset:1872
	v_fma_f64 v[4:5], v[202:203], v[142:143], -v[4:5]
	v_add_f64 v[2:3], v[2:3], v[4:5]
	v_mul_f64 v[4:5], v[208:209], v[228:229]
	v_fma_f64 v[4:5], v[206:207], v[230:231], -v[4:5]
	v_add_f64 v[2:3], v[2:3], v[4:5]
	s_waitcnt lgkmcnt(2)
	v_mul_f64 v[4:5], v[212:213], v[224:225]
	v_mul_f64 v[242:243], v[210:211], v[224:225]
	v_fma_f64 v[4:5], v[210:211], v[226:227], -v[4:5]
	v_fmac_f64_e32 v[242:243], v[212:213], v[226:227]
	v_add_f64 v[2:3], v[2:3], v[4:5]
	s_waitcnt vmcnt(2) lgkmcnt(1)
	v_mul_f64 v[4:5], v[216:217], v[236:237]
	v_add_f64 v[240:241], v[240:241], v[242:243]
	v_mul_f64 v[242:243], v[214:215], v[236:237]
	s_waitcnt vmcnt(0)
	v_fma_f64 v[4:5], v[214:215], v[238:239], -v[4:5]
	v_fmac_f64_e32 v[242:243], v[216:217], v[238:239]
	v_add_f64 v[2:3], v[2:3], v[4:5]
	s_waitcnt lgkmcnt(0)
	v_mul_f64 v[4:5], v[220:221], v[232:233]
	v_add_f64 v[240:241], v[240:241], v[242:243]
	v_mul_f64 v[242:243], v[218:219], v[232:233]
	v_fma_f64 v[4:5], v[218:219], v[234:235], -v[4:5]
	v_fmac_f64_e32 v[242:243], v[220:221], v[234:235]
	v_add_f64 v[2:3], v[2:3], v[4:5]
	v_add_f64 v[240:241], v[240:241], v[242:243]
	v_add_f64 v[2:3], v[62:63], -v[2:3]
	v_add_f64 v[4:5], v[60:61], -v[240:241]
	buffer_store_dword v3, off, s[0:3], 0 offset:484
	buffer_store_dword v2, off, s[0:3], 0 offset:480
	;; [unrolled: 1-line block ×4, first 2 shown]
	s_and_saveexec_b64 s[4:5], vcc
	s_cbranch_execz .LBB58_311
; %bb.310:
	v_accvgpr_read_b32 v0, a148
	buffer_load_dword v2, v0, s[0:3], 0 offen
	buffer_load_dword v3, v0, s[0:3], 0 offen offset:4
	buffer_load_dword v4, v0, s[0:3], 0 offen offset:8
	;; [unrolled: 1-line block ×3, first 2 shown]
	v_accvgpr_read_b32 v0, a177
	buffer_store_dword v152, off, s[0:3], 0 offset:464
	buffer_store_dword v152, off, s[0:3], 0 offset:468
	;; [unrolled: 1-line block ×4, first 2 shown]
	s_waitcnt vmcnt(4)
	ds_write_b128 v0, v[2:5]
.LBB58_311:
	s_or_b64 exec, exec, s[4:5]
	s_waitcnt lgkmcnt(0)
	; wave barrier
	s_waitcnt lgkmcnt(0)
	buffer_load_dword v48, off, s[0:3], 0 offset:480
	buffer_load_dword v49, off, s[0:3], 0 offset:484
	;; [unrolled: 1-line block ×40, first 2 shown]
	ds_read_b128 v[38:41], v152 offset:1408
	ds_read_b128 v[34:37], v152 offset:1424
	;; [unrolled: 1-line block ×10, first 2 shown]
	buffer_load_dword v83, off, s[0:3], 0 offset:652
	buffer_load_dword v82, off, s[0:3], 0 offset:648
	;; [unrolled: 1-line block ×8, first 2 shown]
	v_accvgpr_read_b32 v1, a176
	v_cmp_lt_u32_e32 vcc, 27, v1
	s_waitcnt vmcnt(44) lgkmcnt(9)
	v_mul_f64 v[90:91], v[38:39], v[50:51]
	v_fmac_f64_e32 v[90:91], v[40:41], v[48:49]
	v_add_f64 v[90:91], v[90:91], 0
	v_mul_f64 v[40:41], v[40:41], v[50:51]
	s_waitcnt vmcnt(40) lgkmcnt(8)
	v_mul_f64 v[92:93], v[34:35], v[44:45]
	v_fmac_f64_e32 v[92:93], v[36:37], v[42:43]
	s_waitcnt vmcnt(38) lgkmcnt(7)
	v_mul_f64 v[94:95], v[30:31], v[46:47]
	v_add_f64 v[90:91], v[90:91], v[92:93]
	s_waitcnt vmcnt(36) lgkmcnt(5)
	v_mul_f64 v[98:99], v[22:23], v[52:53]
	v_mul_f64 v[36:37], v[36:37], v[44:45]
	s_waitcnt vmcnt(34)
	v_fmac_f64_e32 v[98:99], v[24:25], v[54:55]
	v_fma_f64 v[34:35], v[34:35], v[42:43], -v[36:37]
	s_waitcnt vmcnt(32)
	v_mul_f64 v[96:97], v[26:27], v[56:57]
	v_mul_f64 v[24:25], v[24:25], v[52:53]
	s_waitcnt vmcnt(30) lgkmcnt(4)
	v_mul_f64 v[100:101], v[18:19], v[62:63]
	v_fma_f64 v[22:23], v[22:23], v[54:55], -v[24:25]
	s_waitcnt vmcnt(28) lgkmcnt(1)
	v_mul_f64 v[124:125], v[2:3], v[64:65]
	s_waitcnt vmcnt(25)
	v_mul_f64 v[104:105], v[6:7], v[68:69]
	s_waitcnt vmcnt(23)
	;; [unrolled: 2-line block ×3, first 2 shown]
	v_fmac_f64_e32 v[102:103], v[12:13], v[72:73]
	v_mul_f64 v[12:13], v[12:13], v[70:71]
	s_waitcnt vmcnt(19)
	v_fmac_f64_e32 v[94:95], v[32:33], v[80:81]
	v_add_f64 v[90:91], v[90:91], v[94:95]
	s_waitcnt vmcnt(17)
	v_fmac_f64_e32 v[96:97], v[28:29], v[78:79]
	v_add_f64 v[90:91], v[90:91], v[96:97]
	;; [unrolled: 3-line block ×3, first 2 shown]
	v_add_f64 v[90:91], v[90:91], v[100:101]
	s_waitcnt vmcnt(13)
	v_fmac_f64_e32 v[104:105], v[8:9], v[74:75]
	v_add_f64 v[90:91], v[90:91], v[102:103]
	v_add_f64 v[126:127], v[90:91], v[104:105]
	buffer_load_dword v91, off, s[0:3], 0 offset:684
	buffer_load_dword v90, off, s[0:3], 0 offset:680
	;; [unrolled: 1-line block ×72, first 2 shown]
	s_waitcnt vmcnt(62)
	v_fmac_f64_e32 v[124:125], v[4:5], v[66:67]
	v_add_f64 v[154:155], v[126:127], v[124:125]
	ds_read_b128 v[124:127], v152 offset:1568
	buffer_load_dword v237, off, s[0:3], 0 offset:956
	buffer_load_dword v236, off, s[0:3], 0 offset:952
	buffer_load_dword v239, off, s[0:3], 0 offset:948
	buffer_load_dword v238, off, s[0:3], 0 offset:944
	s_waitcnt lgkmcnt(1)
	v_mul_f64 v[156:157], v[14:15], v[86:87]
	v_fmac_f64_e32 v[156:157], v[16:17], v[88:89]
	v_add_f64 v[158:159], v[154:155], v[156:157]
	ds_read_b128 v[154:157], v152 offset:1584
	s_waitcnt lgkmcnt(1)
	v_mul_f64 v[160:161], v[124:125], v[82:83]
	v_fmac_f64_e32 v[160:161], v[126:127], v[84:85]
	v_add_f64 v[162:163], v[158:159], v[160:161]
	ds_read_b128 v[158:161], v152 offset:1600
	v_mul_f64 v[32:33], v[32:33], v[46:47]
	s_waitcnt lgkmcnt(1)
	v_mul_f64 v[164:165], v[154:155], v[94:95]
	v_fma_f64 v[30:31], v[30:31], v[80:81], -v[32:33]
	v_fmac_f64_e32 v[164:165], v[156:157], v[96:97]
	v_add_f64 v[166:167], v[162:163], v[164:165]
	ds_read_b128 v[162:165], v152 offset:1616
	s_waitcnt lgkmcnt(1)
	v_mul_f64 v[168:169], v[158:159], v[90:91]
	v_fmac_f64_e32 v[168:169], v[160:161], v[92:93]
	v_add_f64 v[170:171], v[166:167], v[168:169]
	ds_read_b128 v[166:169], v152 offset:1632
	s_waitcnt vmcnt(62) lgkmcnt(1)
	v_mul_f64 v[172:173], v[162:163], v[102:103]
	s_waitcnt vmcnt(60)
	v_fmac_f64_e32 v[172:173], v[164:165], v[104:105]
	v_add_f64 v[174:175], v[170:171], v[172:173]
	ds_read_b128 v[170:173], v152 offset:1648
	s_waitcnt lgkmcnt(1)
	v_mul_f64 v[176:177], v[166:167], v[98:99]
	v_fmac_f64_e32 v[176:177], v[168:169], v[100:101]
	v_add_f64 v[178:179], v[174:175], v[176:177]
	ds_read_b128 v[174:177], v152 offset:1664
	s_waitcnt vmcnt(54) lgkmcnt(1)
	v_mul_f64 v[180:181], v[170:171], v[110:111]
	s_waitcnt vmcnt(52)
	;; [unrolled: 11-line block ×7, first 2 shown]
	v_fmac_f64_e32 v[220:221], v[212:213], v[226:227]
	v_add_f64 v[240:241], v[218:219], v[220:221]
	ds_read_b128 v[218:221], v152 offset:1840
	s_waitcnt lgkmcnt(1)
	v_mul_f64 v[242:243], v[214:215], v[118:119]
	v_fmac_f64_e32 v[242:243], v[216:217], v[222:223]
	v_add_f64 v[240:241], v[240:241], v[242:243]
	v_fma_f64 v[242:243], v[38:39], v[48:49], -v[40:41]
	ds_read_b128 v[38:41], v152 offset:1856
	ds_read_b128 v[48:51], v152 offset:1872
	s_waitcnt vmcnt(6) lgkmcnt(2)
	v_mul_f64 v[244:245], v[218:219], v[232:233]
	s_waitcnt vmcnt(4)
	v_fmac_f64_e32 v[244:245], v[220:221], v[234:235]
	v_add_f64 v[152:153], v[240:241], v[244:245]
	s_waitcnt lgkmcnt(1)
	v_mul_f64 v[240:241], v[38:39], v[228:229]
	v_fmac_f64_e32 v[240:241], v[40:41], v[230:231]
	v_add_f64 v[152:153], v[152:153], v[240:241]
	s_waitcnt vmcnt(2) lgkmcnt(0)
	v_mul_f64 v[240:241], v[48:49], v[236:237]
	s_waitcnt vmcnt(0)
	v_fmac_f64_e32 v[240:241], v[50:51], v[238:239]
	v_add_f64 v[152:153], v[152:153], v[240:241]
	v_add_f64 v[240:241], v[242:243], 0
	;; [unrolled: 1-line block ×3, first 2 shown]
	v_mul_f64 v[28:29], v[28:29], v[56:57]
	v_add_f64 v[30:31], v[34:35], v[30:31]
	v_fma_f64 v[26:27], v[26:27], v[78:79], -v[28:29]
	v_add_f64 v[26:27], v[30:31], v[26:27]
	v_mul_f64 v[20:21], v[20:21], v[62:63]
	v_add_f64 v[22:23], v[26:27], v[22:23]
	v_fma_f64 v[18:19], v[18:19], v[76:77], -v[20:21]
	v_add_f64 v[18:19], v[22:23], v[18:19]
	v_fma_f64 v[10:11], v[10:11], v[72:73], -v[12:13]
	v_mul_f64 v[8:9], v[8:9], v[68:69]
	v_add_f64 v[10:11], v[18:19], v[10:11]
	v_fma_f64 v[6:7], v[6:7], v[74:75], -v[8:9]
	v_mul_f64 v[4:5], v[4:5], v[64:65]
	;; [unrolled: 3-line block ×3, first 2 shown]
	v_add_f64 v[2:3], v[6:7], v[2:3]
	v_fma_f64 v[4:5], v[14:15], v[88:89], -v[4:5]
	v_add_f64 v[2:3], v[2:3], v[4:5]
	v_mul_f64 v[4:5], v[126:127], v[82:83]
	v_fma_f64 v[4:5], v[124:125], v[84:85], -v[4:5]
	v_add_f64 v[2:3], v[2:3], v[4:5]
	v_mul_f64 v[4:5], v[156:157], v[94:95]
	;; [unrolled: 3-line block ×20, first 2 shown]
	v_fma_f64 v[4:5], v[48:49], v[238:239], -v[4:5]
	v_add_f64 v[2:3], v[2:3], v[4:5]
	v_add_f64 v[2:3], v[60:61], -v[2:3]
	v_add_f64 v[4:5], v[58:59], -v[152:153]
	buffer_store_dword v3, off, s[0:3], 0 offset:468
	buffer_store_dword v2, off, s[0:3], 0 offset:464
	;; [unrolled: 1-line block ×4, first 2 shown]
	s_and_saveexec_b64 s[4:5], vcc
	s_cbranch_execz .LBB58_313
; %bb.312:
	v_accvgpr_read_b32 v0, a149
	buffer_load_dword v2, v0, s[0:3], 0 offen
	buffer_load_dword v3, v0, s[0:3], 0 offen offset:4
	buffer_load_dword v4, v0, s[0:3], 0 offen offset:8
	;; [unrolled: 1-line block ×3, first 2 shown]
	v_mov_b32_e32 v0, 0
	v_accvgpr_read_b32 v6, a177
	buffer_store_dword v0, off, s[0:3], 0 offset:448
	buffer_store_dword v0, off, s[0:3], 0 offset:452
	;; [unrolled: 1-line block ×4, first 2 shown]
	s_waitcnt vmcnt(4)
	ds_write_b128 v6, v[2:5]
.LBB58_313:
	s_or_b64 exec, exec, s[4:5]
	s_waitcnt lgkmcnt(0)
	; wave barrier
	s_waitcnt lgkmcnt(0)
	buffer_load_dword v106, off, s[0:3], 0 offset:464
	buffer_load_dword v107, off, s[0:3], 0 offset:468
	buffer_load_dword v108, off, s[0:3], 0 offset:472
	buffer_load_dword v109, off, s[0:3], 0 offset:476
	buffer_load_dword v114, off, s[0:3], 0 offset:480
	buffer_load_dword v115, off, s[0:3], 0 offset:484
	buffer_load_dword v116, off, s[0:3], 0 offset:488
	buffer_load_dword v117, off, s[0:3], 0 offset:492
	buffer_load_dword v120, off, s[0:3], 0 offset:504
	buffer_load_dword v121, off, s[0:3], 0 offset:508
	buffer_load_dword v123, off, s[0:3], 0 offset:540
	buffer_load_dword v122, off, s[0:3], 0 offset:536
	buffer_load_dword v125, off, s[0:3], 0 offset:532
	buffer_load_dword v124, off, s[0:3], 0 offset:528
	buffer_load_dword v127, off, s[0:3], 0 offset:524
	buffer_load_dword v126, off, s[0:3], 0 offset:520
	buffer_load_dword v129, off, s[0:3], 0 offset:572
	buffer_load_dword v128, off, s[0:3], 0 offset:568
	buffer_load_dword v131, off, s[0:3], 0 offset:564
	buffer_load_dword v130, off, s[0:3], 0 offset:560
	buffer_load_dword v133, off, s[0:3], 0 offset:556
	buffer_load_dword v132, off, s[0:3], 0 offset:552
	buffer_load_dword v135, off, s[0:3], 0 offset:604
	buffer_load_dword v134, off, s[0:3], 0 offset:600
	buffer_load_dword v137, off, s[0:3], 0 offset:596
	buffer_load_dword v136, off, s[0:3], 0 offset:592
	buffer_load_dword v143, off, s[0:3], 0 offset:588
	buffer_load_dword v142, off, s[0:3], 0 offset:584
	buffer_load_dword v139, off, s[0:3], 0 offset:620
	buffer_load_dword v138, off, s[0:3], 0 offset:616
	buffer_load_dword v154, off, s[0:3], 0 offset:496
	buffer_load_dword v155, off, s[0:3], 0 offset:500
	buffer_load_dword v153, off, s[0:3], 0 offset:516
	buffer_load_dword v152, off, s[0:3], 0 offset:512
	buffer_load_dword v151, off, s[0:3], 0 offset:548
	buffer_load_dword v150, off, s[0:3], 0 offset:544
	buffer_load_dword v149, off, s[0:3], 0 offset:580
	buffer_load_dword v148, off, s[0:3], 0 offset:576
	buffer_load_dword v147, off, s[0:3], 0 offset:612
	buffer_load_dword v146, off, s[0:3], 0 offset:608
	buffer_load_dword v144, off, s[0:3], 0 offset:632
	buffer_load_dword v156, off, s[0:3], 0 offset:624
	buffer_load_dword v157, off, s[0:3], 0 offset:628
	buffer_load_dword v140, off, s[0:3], 0 offset:448
	buffer_load_dword v141, off, s[0:3], 0 offset:452
	buffer_load_dword v145, off, s[0:3], 0 offset:636
	buffer_load_dword v159, off, s[0:3], 0 offset:668
	buffer_load_dword v158, off, s[0:3], 0 offset:664
	buffer_load_dword v161, off, s[0:3], 0 offset:660
	v_mov_b32_e32 v228, 0
	ds_read_b128 v[110:113], v228 offset:1392
	ds_read_b128 v[250:253], v228 offset:1408
	;; [unrolled: 1-line block ×10, first 2 shown]
	buffer_load_dword v160, off, s[0:3], 0 offset:656
	buffer_load_dword v175, off, s[0:3], 0 offset:652
	;; [unrolled: 1-line block ×69, first 2 shown]
	v_cmp_lt_u32_e32 vcc, 26, v1
	s_waitcnt vmcnt(62) lgkmcnt(9)
	v_mul_f64 v[34:35], v[110:111], v[108:109]
	v_fmac_f64_e32 v[34:35], v[112:113], v[106:107]
	v_add_f64 v[34:35], v[34:35], 0
	v_mul_f64 v[108:109], v[112:113], v[108:109]
	s_waitcnt lgkmcnt(8)
	v_mul_f64 v[36:37], v[250:251], v[116:117]
	v_fmac_f64_e32 v[36:37], v[252:253], v[114:115]
	s_waitcnt lgkmcnt(7)
	v_mul_f64 v[38:39], v[30:31], v[120:121]
	v_add_f64 v[34:35], v[34:35], v[36:37]
	s_waitcnt lgkmcnt(5)
	v_mul_f64 v[42:43], v[22:23], v[122:123]
	v_mul_f64 v[116:117], v[252:253], v[116:117]
	v_fmac_f64_e32 v[42:43], v[24:25], v[124:125]
	v_fma_f64 v[248:249], v[110:111], v[106:107], -v[108:109]
	v_mul_f64 v[40:41], v[26:27], v[126:127]
	v_fma_f64 v[250:251], v[250:251], v[114:115], -v[116:117]
	s_waitcnt lgkmcnt(3)
	v_mul_f64 v[46:47], v[14:15], v[128:129]
	v_mul_f64 v[24:25], v[24:25], v[122:123]
	v_fmac_f64_e32 v[46:47], v[16:17], v[130:131]
	v_fma_f64 v[22:23], v[22:23], v[124:125], -v[24:25]
	v_mul_f64 v[44:45], v[18:19], v[132:133]
	v_mul_f64 v[16:17], v[16:17], v[128:129]
	s_waitcnt lgkmcnt(1)
	v_mul_f64 v[50:51], v[6:7], v[134:135]
	v_fma_f64 v[14:15], v[14:15], v[130:131], -v[16:17]
	v_fmac_f64_e32 v[50:51], v[8:9], v[136:137]
	v_mul_f64 v[8:9], v[8:9], v[134:135]
	v_mul_f64 v[48:49], v[10:11], v[142:143]
	v_fma_f64 v[6:7], v[6:7], v[136:137], -v[8:9]
	s_waitcnt lgkmcnt(0)
	v_mul_f64 v[52:53], v[2:3], v[138:139]
	v_fmac_f64_e32 v[38:39], v[32:33], v[154:155]
	v_add_f64 v[34:35], v[34:35], v[38:39]
	v_fmac_f64_e32 v[40:41], v[28:29], v[152:153]
	v_add_f64 v[34:35], v[34:35], v[40:41]
	;; [unrolled: 2-line block ×3, first 2 shown]
	v_add_f64 v[34:35], v[34:35], v[44:45]
	v_fmac_f64_e32 v[48:49], v[12:13], v[148:149]
	v_add_f64 v[34:35], v[34:35], v[46:47]
	v_add_f64 v[34:35], v[34:35], v[48:49]
	v_fmac_f64_e32 v[52:53], v[4:5], v[146:147]
	v_add_f64 v[34:35], v[34:35], v[50:51]
	v_add_f64 v[42:43], v[34:35], v[52:53]
	ds_read_b128 v[38:41], v228 offset:1552
	ds_read_b128 v[34:37], v228 offset:1568
	buffer_load_dword v223, off, s[0:3], 0 offset:956
	buffer_load_dword v222, off, s[0:3], 0 offset:952
	;; [unrolled: 1-line block ×8, first 2 shown]
	ds_read_b128 v[110:113], v228 offset:1840
	ds_read_b128 v[106:109], v228 offset:1856
	s_waitcnt lgkmcnt(3)
	v_mul_f64 v[44:45], v[38:39], v[144:145]
	v_fmac_f64_e32 v[44:45], v[40:41], v[156:157]
	v_add_f64 v[46:47], v[42:43], v[44:45]
	ds_read_b128 v[42:45], v228 offset:1584
	s_waitcnt lgkmcnt(3)
	v_mul_f64 v[48:49], v[34:35], v[174:175]
	v_fmac_f64_e32 v[48:49], v[36:37], v[178:179]
	v_add_f64 v[50:51], v[46:47], v[48:49]
	;; [unrolled: 5-line block ×3, first 2 shown]
	ds_read_b128 v[50:53], v228 offset:1616
	s_waitcnt vmcnt(62) lgkmcnt(1)
	v_mul_f64 v[56:57], v[46:47], v[182:183]
	v_fmac_f64_e32 v[56:57], v[48:49], v[186:187]
	v_add_f64 v[58:59], v[54:55], v[56:57]
	ds_read_b128 v[54:57], v228 offset:1632
	s_waitcnt lgkmcnt(1)
	v_mul_f64 v[60:61], v[50:51], v[162:163]
	v_fmac_f64_e32 v[60:61], v[52:53], v[164:165]
	v_add_f64 v[62:63], v[58:59], v[60:61]
	ds_read_b128 v[58:61], v228 offset:1648
	s_waitcnt vmcnt(58) lgkmcnt(1)
	v_mul_f64 v[64:65], v[54:55], v[190:191]
	s_waitcnt vmcnt(56)
	v_fmac_f64_e32 v[64:65], v[56:57], v[194:195]
	v_add_f64 v[66:67], v[62:63], v[64:65]
	ds_read_b128 v[62:65], v228 offset:1664
	s_waitcnt lgkmcnt(1)
	v_mul_f64 v[68:69], v[58:59], v[166:167]
	v_fmac_f64_e32 v[68:69], v[60:61], v[168:169]
	v_add_f64 v[70:71], v[66:67], v[68:69]
	ds_read_b128 v[66:69], v228 offset:1680
	s_waitcnt vmcnt(50) lgkmcnt(1)
	v_mul_f64 v[72:73], v[62:63], v[198:199]
	s_waitcnt vmcnt(48)
	;; [unrolled: 11-line block ×5, first 2 shown]
	v_fmac_f64_e32 v[96:97], v[88:89], v[220:221]
	v_add_f64 v[98:99], v[94:95], v[96:97]
	ds_read_b128 v[94:97], v228 offset:1792
	s_waitcnt lgkmcnt(1)
	v_mul_f64 v[100:101], v[90:91], v[192:193]
	v_fmac_f64_e32 v[100:101], v[92:93], v[196:197]
	v_add_f64 v[118:119], v[98:99], v[100:101]
	ds_read_b128 v[98:101], v228 offset:1808
	ds_read_b128 v[102:105], v228 offset:1824
	;; [unrolled: 1-line block ×3, first 2 shown]
	buffer_load_dword v252, off, s[0:3], 0 offset:456
	buffer_load_dword v253, off, s[0:3], 0 offset:460
	s_waitcnt vmcnt(20) lgkmcnt(3)
	v_mul_f64 v[230:231], v[94:95], v[224:225]
	s_waitcnt vmcnt(18)
	v_fmac_f64_e32 v[230:231], v[96:97], v[236:237]
	v_add_f64 v[118:119], v[118:119], v[230:231]
	s_waitcnt lgkmcnt(2)
	v_mul_f64 v[230:231], v[98:99], v[200:201]
	v_fmac_f64_e32 v[230:231], v[100:101], v[204:205]
	v_add_f64 v[118:119], v[118:119], v[230:231]
	s_waitcnt vmcnt(12) lgkmcnt(1)
	v_mul_f64 v[230:231], v[102:103], v[238:239]
	s_waitcnt vmcnt(10)
	v_fmac_f64_e32 v[230:231], v[104:105], v[240:241]
	v_add_f64 v[118:119], v[118:119], v[230:231]
	v_mul_f64 v[230:231], v[110:111], v[208:209]
	v_fmac_f64_e32 v[230:231], v[112:113], v[212:213]
	v_add_f64 v[118:119], v[118:119], v[230:231]
	s_waitcnt vmcnt(4)
	v_mul_f64 v[230:231], v[106:107], v[242:243]
	v_mul_f64 v[32:33], v[32:33], v[120:121]
	s_waitcnt vmcnt(2)
	v_fmac_f64_e32 v[230:231], v[108:109], v[244:245]
	v_add_f64 v[118:119], v[118:119], v[230:231]
	s_waitcnt lgkmcnt(0)
	v_mul_f64 v[230:231], v[114:115], v[222:223]
	v_fmac_f64_e32 v[230:231], v[116:117], v[226:227]
	v_add_f64 v[246:247], v[118:119], v[230:231]
	v_add_f64 v[118:119], v[248:249], 0
	;; [unrolled: 1-line block ×3, first 2 shown]
	v_fma_f64 v[30:31], v[30:31], v[154:155], -v[32:33]
	v_mul_f64 v[28:29], v[28:29], v[126:127]
	v_add_f64 v[30:31], v[118:119], v[30:31]
	v_fma_f64 v[26:27], v[26:27], v[152:153], -v[28:29]
	v_add_f64 v[26:27], v[30:31], v[26:27]
	v_mul_f64 v[20:21], v[20:21], v[132:133]
	v_add_f64 v[22:23], v[26:27], v[22:23]
	v_fma_f64 v[18:19], v[18:19], v[150:151], -v[20:21]
	v_add_f64 v[18:19], v[22:23], v[18:19]
	v_mul_f64 v[12:13], v[12:13], v[142:143]
	v_add_f64 v[14:15], v[18:19], v[14:15]
	v_fma_f64 v[10:11], v[10:11], v[148:149], -v[12:13]
	v_add_f64 v[10:11], v[14:15], v[10:11]
	v_mul_f64 v[4:5], v[4:5], v[138:139]
	v_add_f64 v[6:7], v[10:11], v[6:7]
	v_fma_f64 v[2:3], v[2:3], v[146:147], -v[4:5]
	v_mul_f64 v[4:5], v[40:41], v[144:145]
	v_add_f64 v[2:3], v[6:7], v[2:3]
	v_fma_f64 v[4:5], v[38:39], v[156:157], -v[4:5]
	v_add_f64 v[2:3], v[2:3], v[4:5]
	v_mul_f64 v[4:5], v[36:37], v[174:175]
	v_fma_f64 v[4:5], v[34:35], v[178:179], -v[4:5]
	v_add_f64 v[2:3], v[2:3], v[4:5]
	v_mul_f64 v[4:5], v[44:45], v[158:159]
	;; [unrolled: 3-line block ×20, first 2 shown]
	v_fma_f64 v[4:5], v[114:115], v[226:227], -v[4:5]
	v_add_f64 v[2:3], v[2:3], v[4:5]
	v_add_f64 v[2:3], v[140:141], -v[2:3]
	s_waitcnt vmcnt(0)
	v_add_f64 v[4:5], v[252:253], -v[246:247]
	buffer_store_dword v3, off, s[0:3], 0 offset:452
	buffer_store_dword v2, off, s[0:3], 0 offset:448
	buffer_store_dword v5, off, s[0:3], 0 offset:460
	buffer_store_dword v4, off, s[0:3], 0 offset:456
	s_and_saveexec_b64 s[4:5], vcc
	s_cbranch_execz .LBB58_315
; %bb.314:
	v_accvgpr_read_b32 v0, a150
	buffer_load_dword v2, v0, s[0:3], 0 offen
	buffer_load_dword v3, v0, s[0:3], 0 offen offset:4
	buffer_load_dword v4, v0, s[0:3], 0 offen offset:8
	;; [unrolled: 1-line block ×3, first 2 shown]
	v_accvgpr_read_b32 v0, a177
	buffer_store_dword v228, off, s[0:3], 0 offset:432
	buffer_store_dword v228, off, s[0:3], 0 offset:436
	;; [unrolled: 1-line block ×4, first 2 shown]
	s_waitcnt vmcnt(4)
	ds_write_b128 v0, v[2:5]
.LBB58_315:
	s_or_b64 exec, exec, s[4:5]
	s_waitcnt lgkmcnt(0)
	; wave barrier
	s_waitcnt lgkmcnt(0)
	buffer_load_dword v112, off, s[0:3], 0 offset:448
	buffer_load_dword v113, off, s[0:3], 0 offset:452
	;; [unrolled: 1-line block ×36, first 2 shown]
	ds_read_b128 v[102:105], v228 offset:1376
	ds_read_b128 v[106:109], v228 offset:1392
	;; [unrolled: 1-line block ×9, first 2 shown]
	buffer_load_dword v145, off, s[0:3], 0 offset:620
	buffer_load_dword v144, off, s[0:3], 0 offset:616
	;; [unrolled: 1-line block ×78, first 2 shown]
	v_accvgpr_read_b32 v1, a176
	v_cmp_lt_u32_e32 vcc, 25, v1
	s_waitcnt vmcnt(62) lgkmcnt(8)
	v_mul_f64 v[26:27], v[102:103], v[246:247]
	v_fmac_f64_e32 v[26:27], v[104:105], v[112:113]
	v_add_f64 v[26:27], v[26:27], 0
	v_mul_f64 v[104:105], v[104:105], v[246:247]
	s_waitcnt lgkmcnt(7)
	v_mul_f64 v[28:29], v[106:107], v[248:249]
	v_fmac_f64_e32 v[28:29], v[108:109], v[110:111]
	s_waitcnt lgkmcnt(6)
	v_mul_f64 v[30:31], v[114:115], v[244:245]
	v_add_f64 v[26:27], v[26:27], v[28:29]
	s_waitcnt lgkmcnt(4)
	v_mul_f64 v[34:35], v[18:19], v[120:121]
	v_fma_f64 v[246:247], v[102:103], v[112:113], -v[104:105]
	v_fmac_f64_e32 v[34:35], v[20:21], v[122:123]
	v_mul_f64 v[108:109], v[108:109], v[248:249]
	v_mul_f64 v[32:33], v[22:23], v[124:125]
	v_fma_f64 v[248:249], v[106:107], v[110:111], -v[108:109]
	s_waitcnt lgkmcnt(2)
	v_mul_f64 v[38:39], v[10:11], v[126:127]
	v_mul_f64 v[20:21], v[20:21], v[120:121]
	v_fmac_f64_e32 v[38:39], v[12:13], v[128:129]
	v_fma_f64 v[18:19], v[18:19], v[122:123], -v[20:21]
	v_mul_f64 v[36:37], v[14:15], v[132:133]
	v_mul_f64 v[12:13], v[12:13], v[126:127]
	s_waitcnt lgkmcnt(1)
	v_mul_f64 v[40:41], v[6:7], v[130:131]
	v_fma_f64 v[10:11], v[10:11], v[128:129], -v[12:13]
	v_fmac_f64_e32 v[30:31], v[116:117], v[250:251]
	v_add_f64 v[26:27], v[26:27], v[30:31]
	v_fmac_f64_e32 v[32:33], v[24:25], v[140:141]
	v_add_f64 v[26:27], v[26:27], v[32:33]
	;; [unrolled: 2-line block ×3, first 2 shown]
	v_add_f64 v[26:27], v[26:27], v[36:37]
	v_fmac_f64_e32 v[40:41], v[8:9], v[136:137]
	v_add_f64 v[30:31], v[26:27], v[38:39]
	v_add_f64 v[30:31], v[30:31], v[40:41]
	s_waitcnt lgkmcnt(0)
	v_mul_f64 v[32:33], v[2:3], v[134:135]
	v_fmac_f64_e32 v[32:33], v[4:5], v[142:143]
	ds_read_b128 v[26:29], v228 offset:1520
	v_add_f64 v[34:35], v[30:31], v[32:33]
	ds_read_b128 v[30:33], v228 offset:1536
	buffer_load_dword v223, off, s[0:3], 0 offset:884
	buffer_load_dword v222, off, s[0:3], 0 offset:880
	v_mul_f64 v[116:117], v[116:117], v[244:245]
	s_waitcnt lgkmcnt(1)
	v_mul_f64 v[36:37], v[26:27], v[148:149]
	v_fmac_f64_e32 v[36:37], v[28:29], v[150:151]
	v_add_f64 v[38:39], v[34:35], v[36:37]
	ds_read_b128 v[34:37], v228 offset:1552
	s_waitcnt lgkmcnt(1)
	v_mul_f64 v[40:41], v[30:31], v[144:145]
	v_fmac_f64_e32 v[40:41], v[32:33], v[146:147]
	v_add_f64 v[42:43], v[38:39], v[40:41]
	ds_read_b128 v[38:41], v228 offset:1568
	;; [unrolled: 5-line block ×4, first 2 shown]
	buffer_load_dword v225, off, s[0:3], 0 offset:940
	buffer_load_dword v227, off, s[0:3], 0 offset:924
	buffer_load_dword v226, off, s[0:3], 0 offset:920
	buffer_load_dword v241, off, s[0:3], 0 offset:916
	buffer_load_dword v240, off, s[0:3], 0 offset:912
	buffer_load_dword v224, off, s[0:3], 0 offset:936
	buffer_load_dword v239, off, s[0:3], 0 offset:932
	buffer_load_dword v238, off, s[0:3], 0 offset:928
	buffer_load_dword v237, off, s[0:3], 0 offset:956
	buffer_load_dword v236, off, s[0:3], 0 offset:952
	buffer_load_dword v243, off, s[0:3], 0 offset:948
	buffer_load_dword v242, off, s[0:3], 0 offset:944
	s_waitcnt vmcnt(62) lgkmcnt(1)
	v_mul_f64 v[52:53], v[42:43], v[176:177]
	v_fmac_f64_e32 v[52:53], v[44:45], v[180:181]
	v_add_f64 v[54:55], v[50:51], v[52:53]
	ds_read_b128 v[50:53], v228 offset:1616
	s_waitcnt lgkmcnt(1)
	v_mul_f64 v[56:57], v[46:47], v[156:157]
	v_fmac_f64_e32 v[56:57], v[48:49], v[158:159]
	v_add_f64 v[58:59], v[54:55], v[56:57]
	ds_read_b128 v[54:57], v228 offset:1632
	s_waitcnt lgkmcnt(1)
	v_mul_f64 v[60:61], v[50:51], v[184:185]
	s_waitcnt vmcnt(60)
	v_fmac_f64_e32 v[60:61], v[52:53], v[188:189]
	v_add_f64 v[62:63], v[58:59], v[60:61]
	ds_read_b128 v[58:61], v228 offset:1648
	s_waitcnt lgkmcnt(1)
	v_mul_f64 v[64:65], v[54:55], v[164:165]
	v_fmac_f64_e32 v[64:65], v[56:57], v[166:167]
	v_add_f64 v[66:67], v[62:63], v[64:65]
	ds_read_b128 v[62:65], v228 offset:1664
	s_waitcnt vmcnt(54) lgkmcnt(1)
	v_mul_f64 v[68:69], v[58:59], v[192:193]
	s_waitcnt vmcnt(52)
	v_fmac_f64_e32 v[68:69], v[60:61], v[196:197]
	v_add_f64 v[70:71], v[66:67], v[68:69]
	ds_read_b128 v[66:69], v228 offset:1680
	s_waitcnt lgkmcnt(1)
	v_mul_f64 v[72:73], v[62:63], v[168:169]
	v_fmac_f64_e32 v[72:73], v[64:65], v[170:171]
	v_add_f64 v[74:75], v[70:71], v[72:73]
	ds_read_b128 v[70:73], v228 offset:1696
	s_waitcnt vmcnt(46) lgkmcnt(1)
	;; [unrolled: 11-line block ×4, first 2 shown]
	v_mul_f64 v[92:93], v[82:83], v[212:213]
	s_waitcnt vmcnt(28)
	v_fmac_f64_e32 v[92:93], v[84:85], v[214:215]
	v_add_f64 v[98:99], v[90:91], v[92:93]
	ds_read_b128 v[90:93], v228 offset:1776
	ds_read_b128 v[94:97], v228 offset:1792
	s_waitcnt lgkmcnt(2)
	v_mul_f64 v[100:101], v[86:87], v[186:187]
	v_fmac_f64_e32 v[100:101], v[88:89], v[190:191]
	v_add_f64 v[98:99], v[98:99], v[100:101]
	s_waitcnt vmcnt(22) lgkmcnt(1)
	v_mul_f64 v[100:101], v[90:91], v[216:217]
	s_waitcnt vmcnt(20)
	v_fmac_f64_e32 v[100:101], v[92:93], v[218:219]
	v_add_f64 v[98:99], v[98:99], v[100:101]
	s_waitcnt lgkmcnt(0)
	v_mul_f64 v[100:101], v[94:95], v[194:195]
	v_fmac_f64_e32 v[100:101], v[96:97], v[198:199]
	v_add_f64 v[118:119], v[98:99], v[100:101]
	ds_read_b128 v[98:101], v228 offset:1808
	ds_read_b128 v[102:105], v228 offset:1824
	;; [unrolled: 1-line block ×3, first 2 shown]
	v_fma_f64 v[250:251], v[114:115], v[250:251], -v[116:117]
	ds_read_b128 v[114:117], v228 offset:1872
	s_waitcnt vmcnt(14) lgkmcnt(3)
	v_mul_f64 v[112:113], v[98:99], v[220:221]
	s_waitcnt lgkmcnt(2)
	v_mul_f64 v[110:111], v[102:103], v[202:203]
	s_waitcnt vmcnt(12)
	v_fmac_f64_e32 v[112:113], v[100:101], v[222:223]
	v_add_f64 v[112:113], v[118:119], v[112:113]
	v_fmac_f64_e32 v[110:111], v[104:105], v[206:207]
	v_add_f64 v[118:119], v[112:113], v[110:111]
	ds_read_b128 v[110:113], v228 offset:1856
	buffer_load_dword v254, off, s[0:3], 0 offset:432
	buffer_load_dword v255, off, s[0:3], 0 offset:436
	;; [unrolled: 1-line block ×4, first 2 shown]
	v_mul_f64 v[24:25], v[24:25], v[124:125]
	v_fma_f64 v[22:23], v[22:23], v[140:141], -v[24:25]
	v_mul_f64 v[16:17], v[16:17], v[132:133]
	s_waitcnt vmcnt(13) lgkmcnt(2)
	v_mul_f64 v[230:231], v[106:107], v[226:227]
	v_fma_f64 v[14:15], v[14:15], v[138:139], -v[16:17]
	s_waitcnt vmcnt(11)
	v_fmac_f64_e32 v[230:231], v[108:109], v[240:241]
	s_waitcnt vmcnt(10) lgkmcnt(0)
	v_mul_f64 v[228:229], v[110:111], v[224:225]
	v_add_f64 v[118:119], v[118:119], v[230:231]
	s_waitcnt vmcnt(8)
	v_fmac_f64_e32 v[228:229], v[112:113], v[238:239]
	v_add_f64 v[118:119], v[118:119], v[228:229]
	s_waitcnt vmcnt(6)
	v_mul_f64 v[228:229], v[114:115], v[236:237]
	v_mul_f64 v[8:9], v[8:9], v[130:131]
	s_waitcnt vmcnt(4)
	v_fmac_f64_e32 v[228:229], v[116:117], v[242:243]
	v_add_f64 v[244:245], v[118:119], v[228:229]
	v_add_f64 v[118:119], v[246:247], 0
	;; [unrolled: 1-line block ×8, first 2 shown]
	v_fma_f64 v[6:7], v[6:7], v[136:137], -v[8:9]
	v_mul_f64 v[4:5], v[4:5], v[134:135]
	v_add_f64 v[6:7], v[10:11], v[6:7]
	v_fma_f64 v[2:3], v[2:3], v[142:143], -v[4:5]
	v_mul_f64 v[4:5], v[28:29], v[148:149]
	v_add_f64 v[2:3], v[6:7], v[2:3]
	v_fma_f64 v[4:5], v[26:27], v[150:151], -v[4:5]
	v_add_f64 v[2:3], v[2:3], v[4:5]
	v_mul_f64 v[4:5], v[32:33], v[144:145]
	v_fma_f64 v[4:5], v[30:31], v[146:147], -v[4:5]
	v_add_f64 v[2:3], v[2:3], v[4:5]
	v_mul_f64 v[4:5], v[36:37], v[160:161]
	;; [unrolled: 3-line block ×22, first 2 shown]
	v_fma_f64 v[4:5], v[114:115], v[242:243], -v[4:5]
	v_add_f64 v[2:3], v[2:3], v[4:5]
	s_waitcnt vmcnt(2)
	v_add_f64 v[2:3], v[254:255], -v[2:3]
	s_waitcnt vmcnt(0)
	v_add_f64 v[4:5], v[252:253], -v[244:245]
	buffer_store_dword v3, off, s[0:3], 0 offset:436
	buffer_store_dword v2, off, s[0:3], 0 offset:432
	;; [unrolled: 1-line block ×4, first 2 shown]
	s_and_saveexec_b64 s[4:5], vcc
	s_cbranch_execz .LBB58_317
; %bb.316:
	v_accvgpr_read_b32 v0, a151
	buffer_load_dword v2, v0, s[0:3], 0 offen
	buffer_load_dword v3, v0, s[0:3], 0 offen offset:4
	buffer_load_dword v4, v0, s[0:3], 0 offen offset:8
	;; [unrolled: 1-line block ×3, first 2 shown]
	v_mov_b32_e32 v0, 0
	v_accvgpr_read_b32 v6, a177
	buffer_store_dword v0, off, s[0:3], 0 offset:416
	buffer_store_dword v0, off, s[0:3], 0 offset:420
	;; [unrolled: 1-line block ×4, first 2 shown]
	s_waitcnt vmcnt(4)
	ds_write_b128 v6, v[2:5]
.LBB58_317:
	s_or_b64 exec, exec, s[4:5]
	s_waitcnt lgkmcnt(0)
	; wave barrier
	s_waitcnt lgkmcnt(0)
	buffer_load_dword v94, off, s[0:3], 0 offset:432
	buffer_load_dword v95, off, s[0:3], 0 offset:436
	;; [unrolled: 1-line block ×52, first 2 shown]
	v_mov_b32_e32 v228, 0
	ds_read_b128 v[102:105], v228 offset:1360
	ds_read_b128 v[114:117], v228 offset:1376
	ds_read_b128 v[244:247], v228 offset:1392
	ds_read_b128 v[250:253], v228 offset:1408
	ds_read_b128 v[22:25], v228 offset:1424
	ds_read_b128 v[18:21], v228 offset:1440
	ds_read_b128 v[14:17], v228 offset:1456
	ds_read_b128 v[10:13], v228 offset:1472
	ds_read_b128 v[6:9], v228 offset:1488
	ds_read_b128 v[2:5], v228 offset:1504
	v_cmp_lt_u32_e32 vcc, 24, v1
	s_waitcnt vmcnt(48) lgkmcnt(9)
	v_mul_f64 v[26:27], v[102:103], v[96:97]
	v_fmac_f64_e32 v[26:27], v[104:105], v[94:95]
	v_add_f64 v[26:27], v[26:27], 0
	v_mul_f64 v[96:97], v[104:105], v[96:97]
	s_waitcnt vmcnt(44) lgkmcnt(8)
	v_mul_f64 v[28:29], v[114:115], v[100:101]
	v_fmac_f64_e32 v[28:29], v[116:117], v[98:99]
	s_waitcnt vmcnt(42) lgkmcnt(7)
	v_mul_f64 v[30:31], v[244:245], v[106:107]
	v_add_f64 v[26:27], v[26:27], v[28:29]
	s_waitcnt vmcnt(40) lgkmcnt(5)
	v_mul_f64 v[34:35], v[22:23], v[122:123]
	v_fma_f64 v[230:231], v[102:103], v[94:95], -v[96:97]
	s_waitcnt vmcnt(38)
	v_fmac_f64_e32 v[34:35], v[24:25], v[126:127]
	v_mul_f64 v[100:101], v[116:117], v[100:101]
	s_waitcnt vmcnt(36)
	v_mul_f64 v[32:33], v[250:251], v[110:111]
	v_fma_f64 v[232:233], v[114:115], v[98:99], -v[100:101]
	s_waitcnt vmcnt(34) lgkmcnt(3)
	v_mul_f64 v[38:39], v[14:15], v[120:121]
	v_mul_f64 v[106:107], v[246:247], v[106:107]
	s_waitcnt vmcnt(32)
	v_fmac_f64_e32 v[38:39], v[16:17], v[124:125]
	v_mul_f64 v[110:111], v[252:253], v[110:111]
	s_waitcnt vmcnt(30)
	v_mul_f64 v[36:37], v[18:19], v[132:133]
	v_mul_f64 v[24:25], v[24:25], v[122:123]
	v_fma_f64 v[22:23], v[22:23], v[126:127], -v[24:25]
	s_waitcnt vmcnt(27) lgkmcnt(2)
	v_mul_f64 v[40:41], v[10:11], v[130:131]
	s_waitcnt vmcnt(26) lgkmcnt(1)
	v_mul_f64 v[42:43], v[6:7], v[128:129]
	v_mul_f64 v[16:17], v[16:17], v[120:121]
	s_waitcnt vmcnt(24)
	v_fmac_f64_e32 v[30:31], v[246:247], v[108:109]
	v_add_f64 v[26:27], v[26:27], v[30:31]
	s_waitcnt vmcnt(22)
	v_fmac_f64_e32 v[32:33], v[252:253], v[112:113]
	v_add_f64 v[26:27], v[26:27], v[32:33]
	;; [unrolled: 3-line block ×3, first 2 shown]
	v_add_f64 v[26:27], v[26:27], v[36:37]
	s_waitcnt vmcnt(18)
	v_fmac_f64_e32 v[40:41], v[12:13], v[134:135]
	v_add_f64 v[26:27], v[26:27], v[38:39]
	v_add_f64 v[26:27], v[26:27], v[40:41]
	s_waitcnt vmcnt(16)
	v_fmac_f64_e32 v[42:43], v[8:9], v[140:141]
	v_add_f64 v[34:35], v[26:27], v[42:43]
	ds_read_b128 v[26:29], v228 offset:1520
	ds_read_b128 v[30:33], v228 offset:1536
	buffer_load_dword v157, off, s[0:3], 0 offset:668
	buffer_load_dword v156, off, s[0:3], 0 offset:664
	;; [unrolled: 1-line block ×56, first 2 shown]
	s_waitcnt vmcnt(62) lgkmcnt(2)
	v_mul_f64 v[36:37], v[2:3], v[144:145]
	v_fmac_f64_e32 v[36:37], v[4:5], v[146:147]
	v_add_f64 v[34:35], v[34:35], v[36:37]
	s_waitcnt lgkmcnt(1)
	v_mul_f64 v[36:37], v[26:27], v[138:139]
	v_fmac_f64_e32 v[36:37], v[28:29], v[142:143]
	v_add_f64 v[34:35], v[34:35], v[36:37]
	s_waitcnt lgkmcnt(0)
	v_mul_f64 v[36:37], v[30:31], v[148:149]
	s_waitcnt vmcnt(60)
	v_fmac_f64_e32 v[36:37], v[32:33], v[152:153]
	v_add_f64 v[42:43], v[34:35], v[36:37]
	ds_read_b128 v[34:37], v228 offset:1552
	buffer_load_dword v201, off, s[0:3], 0 offset:892
	buffer_load_dword v200, off, s[0:3], 0 offset:888
	;; [unrolled: 1-line block ×16, first 2 shown]
	ds_read_b128 v[38:41], v228 offset:1568
	buffer_load_dword v223, off, s[0:3], 0 offset:956
	buffer_load_dword v222, off, s[0:3], 0 offset:952
	;; [unrolled: 1-line block ×8, first 2 shown]
	ds_read_b128 v[98:101], v228 offset:1808
	s_waitcnt vmcnt(62) lgkmcnt(2)
	v_mul_f64 v[44:45], v[34:35], v[150:151]
	v_fmac_f64_e32 v[44:45], v[36:37], v[154:155]
	v_add_f64 v[46:47], v[42:43], v[44:45]
	ds_read_b128 v[42:45], v228 offset:1584
	v_fma_f64 v[248:249], v[244:245], v[108:109], -v[106:107]
	ds_read_b128 v[106:109], v228 offset:1840
	v_fma_f64 v[246:247], v[250:251], v[112:113], -v[110:111]
	v_mul_f64 v[20:21], v[20:21], v[132:133]
	v_fma_f64 v[18:19], v[18:19], v[136:137], -v[20:21]
	v_fma_f64 v[14:15], v[14:15], v[124:125], -v[16:17]
	v_mul_f64 v[12:13], v[12:13], v[130:131]
	v_fma_f64 v[10:11], v[10:11], v[134:135], -v[12:13]
	v_mul_f64 v[8:9], v[8:9], v[128:129]
	;; [unrolled: 2-line block ×3, first 2 shown]
	s_waitcnt lgkmcnt(3)
	v_mul_f64 v[48:49], v[38:39], v[172:173]
	v_fma_f64 v[2:3], v[2:3], v[146:147], -v[4:5]
	v_fmac_f64_e32 v[48:49], v[40:41], v[176:177]
	v_add_f64 v[50:51], v[46:47], v[48:49]
	ds_read_b128 v[46:49], v228 offset:1600
	s_waitcnt lgkmcnt(2)
	v_mul_f64 v[52:53], v[42:43], v[156:157]
	v_fmac_f64_e32 v[52:53], v[44:45], v[158:159]
	v_add_f64 v[54:55], v[50:51], v[52:53]
	ds_read_b128 v[50:53], v228 offset:1616
	s_waitcnt lgkmcnt(1)
	v_mul_f64 v[56:57], v[46:47], v[180:181]
	;; [unrolled: 5-line block ×3, first 2 shown]
	v_fmac_f64_e32 v[60:61], v[52:53], v[162:163]
	v_add_f64 v[62:63], v[58:59], v[60:61]
	ds_read_b128 v[58:61], v228 offset:1648
	s_waitcnt vmcnt(58) lgkmcnt(1)
	v_mul_f64 v[64:65], v[54:55], v[188:189]
	s_waitcnt vmcnt(56)
	v_fmac_f64_e32 v[64:65], v[56:57], v[192:193]
	v_add_f64 v[66:67], v[62:63], v[64:65]
	ds_read_b128 v[62:65], v228 offset:1664
	s_waitcnt lgkmcnt(1)
	v_mul_f64 v[68:69], v[58:59], v[164:165]
	v_fmac_f64_e32 v[68:69], v[60:61], v[166:167]
	v_add_f64 v[70:71], v[66:67], v[68:69]
	ds_read_b128 v[66:69], v228 offset:1680
	s_waitcnt vmcnt(50) lgkmcnt(1)
	v_mul_f64 v[72:73], v[62:63], v[196:197]
	s_waitcnt vmcnt(48)
	v_fmac_f64_e32 v[72:73], v[64:65], v[198:199]
	v_add_f64 v[74:75], v[70:71], v[72:73]
	ds_read_b128 v[70:73], v228 offset:1696
	s_waitcnt lgkmcnt(1)
	v_mul_f64 v[76:77], v[66:67], v[168:169]
	;; [unrolled: 11-line block ×3, first 2 shown]
	v_fmac_f64_e32 v[84:85], v[76:77], v[178:179]
	v_add_f64 v[90:91], v[82:83], v[84:85]
	ds_read_b128 v[82:85], v228 offset:1744
	ds_read_b128 v[86:89], v228 offset:1760
	s_waitcnt vmcnt(34) lgkmcnt(2)
	v_mul_f64 v[92:93], v[78:79], v[210:211]
	s_waitcnt vmcnt(32)
	v_fmac_f64_e32 v[92:93], v[80:81], v[216:217]
	v_add_f64 v[90:91], v[90:91], v[92:93]
	s_waitcnt lgkmcnt(1)
	v_mul_f64 v[92:93], v[82:83], v[182:183]
	v_fmac_f64_e32 v[92:93], v[84:85], v[186:187]
	v_add_f64 v[90:91], v[90:91], v[92:93]
	s_waitcnt vmcnt(27) lgkmcnt(0)
	v_mul_f64 v[92:93], v[86:87], v[214:215]
	s_waitcnt vmcnt(25)
	v_fmac_f64_e32 v[92:93], v[88:89], v[218:219]
	v_add_f64 v[118:119], v[90:91], v[92:93]
	ds_read_b128 v[90:93], v228 offset:1776
	ds_read_b128 v[94:97], v228 offset:1792
	;; [unrolled: 1-line block ×3, first 2 shown]
	v_mul_f64 v[4:5], v[28:29], v[138:139]
	v_fma_f64 v[4:5], v[26:27], v[142:143], -v[4:5]
	s_waitcnt lgkmcnt(2)
	v_mul_f64 v[102:103], v[90:91], v[190:191]
	s_waitcnt vmcnt(24)
	v_fmac_f64_e32 v[102:103], v[92:93], v[194:195]
	s_waitcnt vmcnt(18) lgkmcnt(1)
	v_mul_f64 v[104:105], v[94:95], v[220:221]
	v_add_f64 v[102:103], v[118:119], v[102:103]
	s_waitcnt vmcnt(16)
	v_fmac_f64_e32 v[104:105], v[96:97], v[224:225]
	v_add_f64 v[102:103], v[102:103], v[104:105]
	v_mul_f64 v[104:105], v[98:99], v[200:201]
	v_fmac_f64_e32 v[104:105], v[100:101], v[204:205]
	v_add_f64 v[114:115], v[102:103], v[104:105]
	ds_read_b128 v[102:105], v228 offset:1824
	s_waitcnt vmcnt(10) lgkmcnt(0)
	v_mul_f64 v[116:117], v[102:103], v[236:237]
	s_waitcnt vmcnt(8)
	v_fmac_f64_e32 v[116:117], v[104:105], v[238:239]
	v_add_f64 v[114:115], v[114:115], v[116:117]
	v_mul_f64 v[116:117], v[106:107], v[208:209]
	v_fmac_f64_e32 v[116:117], v[108:109], v[212:213]
	v_add_f64 v[114:115], v[114:115], v[116:117]
	s_waitcnt vmcnt(2)
	v_mul_f64 v[116:117], v[110:111], v[240:241]
	s_waitcnt vmcnt(0)
	v_fmac_f64_e32 v[116:117], v[112:113], v[242:243]
	v_add_f64 v[118:119], v[114:115], v[116:117]
	ds_read_b128 v[114:117], v228 offset:1872
	buffer_load_dword v252, off, s[0:3], 0 offset:416
	buffer_load_dword v253, off, s[0:3], 0 offset:420
	s_waitcnt lgkmcnt(0)
	v_mul_f64 v[234:235], v[114:115], v[222:223]
	v_fmac_f64_e32 v[234:235], v[116:117], v[226:227]
	v_add_f64 v[244:245], v[118:119], v[234:235]
	v_add_f64 v[118:119], v[230:231], 0
	;; [unrolled: 1-line block ×4, first 2 shown]
	buffer_load_dword v248, off, s[0:3], 0 offset:424
	buffer_load_dword v249, off, s[0:3], 0 offset:428
	v_add_f64 v[118:119], v[118:119], v[246:247]
	v_add_f64 v[22:23], v[118:119], v[22:23]
	;; [unrolled: 1-line block ×8, first 2 shown]
	v_mul_f64 v[4:5], v[32:33], v[148:149]
	v_fma_f64 v[4:5], v[30:31], v[152:153], -v[4:5]
	v_add_f64 v[2:3], v[2:3], v[4:5]
	v_mul_f64 v[4:5], v[36:37], v[150:151]
	v_fma_f64 v[4:5], v[34:35], v[154:155], -v[4:5]
	v_add_f64 v[2:3], v[2:3], v[4:5]
	;; [unrolled: 3-line block ×22, first 2 shown]
	s_waitcnt vmcnt(2)
	v_add_f64 v[2:3], v[252:253], -v[2:3]
	s_waitcnt vmcnt(0)
	v_add_f64 v[4:5], v[248:249], -v[244:245]
	buffer_store_dword v3, off, s[0:3], 0 offset:420
	buffer_store_dword v2, off, s[0:3], 0 offset:416
	;; [unrolled: 1-line block ×4, first 2 shown]
	s_and_saveexec_b64 s[4:5], vcc
	s_cbranch_execz .LBB58_319
; %bb.318:
	v_accvgpr_read_b32 v0, a152
	buffer_load_dword v2, v0, s[0:3], 0 offen
	buffer_load_dword v3, v0, s[0:3], 0 offen offset:4
	buffer_load_dword v4, v0, s[0:3], 0 offen offset:8
	;; [unrolled: 1-line block ×3, first 2 shown]
	v_accvgpr_read_b32 v0, a177
	buffer_store_dword v228, off, s[0:3], 0 offset:400
	buffer_store_dword v228, off, s[0:3], 0 offset:404
	;; [unrolled: 1-line block ×4, first 2 shown]
	s_waitcnt vmcnt(4)
	ds_write_b128 v0, v[2:5]
.LBB58_319:
	s_or_b64 exec, exec, s[4:5]
	s_waitcnt lgkmcnt(0)
	; wave barrier
	s_waitcnt lgkmcnt(0)
	buffer_load_dword v86, off, s[0:3], 0 offset:416
	buffer_load_dword v87, off, s[0:3], 0 offset:420
	;; [unrolled: 1-line block ×42, first 2 shown]
	ds_read_b128 v[94:97], v228 offset:1344
	ds_read_b128 v[106:109], v228 offset:1360
	;; [unrolled: 1-line block ×10, first 2 shown]
	buffer_load_dword v147, off, s[0:3], 0 offset:564
	buffer_load_dword v146, off, s[0:3], 0 offset:560
	ds_read_b128 v[6:9], v228 offset:1504
	buffer_load_dword v143, off, s[0:3], 0 offset:620
	buffer_load_dword v142, off, s[0:3], 0 offset:616
	buffer_load_dword v145, off, s[0:3], 0 offset:612
	buffer_load_dword v144, off, s[0:3], 0 offset:608
	buffer_load_dword v149, off, s[0:3], 0 offset:604
	buffer_load_dword v148, off, s[0:3], 0 offset:600
	buffer_load_dword v165, off, s[0:3], 0 offset:596
	buffer_load_dword v164, off, s[0:3], 0 offset:592
	buffer_load_dword v151, off, s[0:3], 0 offset:652
	buffer_load_dword v150, off, s[0:3], 0 offset:648
	buffer_load_dword v153, off, s[0:3], 0 offset:644
	buffer_load_dword v152, off, s[0:3], 0 offset:640
	buffer_load_dword v169, off, s[0:3], 0 offset:636
	buffer_load_dword v168, off, s[0:3], 0 offset:632
	buffer_load_dword v173, off, s[0:3], 0 offset:628
	buffer_load_dword v172, off, s[0:3], 0 offset:624
	buffer_load_dword v155, off, s[0:3], 0 offset:684
	buffer_load_dword v154, off, s[0:3], 0 offset:680
	buffer_load_dword v157, off, s[0:3], 0 offset:676
	buffer_load_dword v156, off, s[0:3], 0 offset:672
	buffer_load_dword v177, off, s[0:3], 0 offset:668
	buffer_load_dword v176, off, s[0:3], 0 offset:664
	buffer_load_dword v181, off, s[0:3], 0 offset:660
	buffer_load_dword v180, off, s[0:3], 0 offset:656
	buffer_load_dword v159, off, s[0:3], 0 offset:716
	buffer_load_dword v158, off, s[0:3], 0 offset:712
	buffer_load_dword v161, off, s[0:3], 0 offset:708
	buffer_load_dword v160, off, s[0:3], 0 offset:704
	buffer_load_dword v185, off, s[0:3], 0 offset:700
	buffer_load_dword v184, off, s[0:3], 0 offset:696
	buffer_load_dword v189, off, s[0:3], 0 offset:692
	buffer_load_dword v188, off, s[0:3], 0 offset:688
	buffer_load_dword v163, off, s[0:3], 0 offset:748
	buffer_load_dword v162, off, s[0:3], 0 offset:744
	buffer_load_dword v167, off, s[0:3], 0 offset:740
	buffer_load_dword v166, off, s[0:3], 0 offset:736
	buffer_load_dword v193, off, s[0:3], 0 offset:732
	buffer_load_dword v192, off, s[0:3], 0 offset:728
	buffer_load_dword v197, off, s[0:3], 0 offset:724
	buffer_load_dword v196, off, s[0:3], 0 offset:720
	buffer_load_dword v171, off, s[0:3], 0 offset:780
	buffer_load_dword v170, off, s[0:3], 0 offset:776
	buffer_load_dword v175, off, s[0:3], 0 offset:772
	buffer_load_dword v174, off, s[0:3], 0 offset:768
	buffer_load_dword v201, off, s[0:3], 0 offset:764
	buffer_load_dword v200, off, s[0:3], 0 offset:760
	buffer_load_dword v205, off, s[0:3], 0 offset:756
	buffer_load_dword v204, off, s[0:3], 0 offset:752
	buffer_load_dword v179, off, s[0:3], 0 offset:812
	buffer_load_dword v178, off, s[0:3], 0 offset:808
	buffer_load_dword v183, off, s[0:3], 0 offset:804
	buffer_load_dword v182, off, s[0:3], 0 offset:800
	buffer_load_dword v209, off, s[0:3], 0 offset:796
	buffer_load_dword v208, off, s[0:3], 0 offset:792
	buffer_load_dword v211, off, s[0:3], 0 offset:788
	buffer_load_dword v210, off, s[0:3], 0 offset:784
	buffer_load_dword v187, off, s[0:3], 0 offset:844
	buffer_load_dword v186, off, s[0:3], 0 offset:840
	buffer_load_dword v191, off, s[0:3], 0 offset:836
	buffer_load_dword v190, off, s[0:3], 0 offset:832
	buffer_load_dword v213, off, s[0:3], 0 offset:828
	buffer_load_dword v212, off, s[0:3], 0 offset:824
	buffer_load_dword v215, off, s[0:3], 0 offset:820
	buffer_load_dword v214, off, s[0:3], 0 offset:816
	buffer_load_dword v195, off, s[0:3], 0 offset:876
	buffer_load_dword v194, off, s[0:3], 0 offset:872
	buffer_load_dword v199, off, s[0:3], 0 offset:868
	buffer_load_dword v198, off, s[0:3], 0 offset:864
	buffer_load_dword v217, off, s[0:3], 0 offset:860
	buffer_load_dword v216, off, s[0:3], 0 offset:856
	buffer_load_dword v219, off, s[0:3], 0 offset:852
	buffer_load_dword v218, off, s[0:3], 0 offset:848
	buffer_load_dword v203, off, s[0:3], 0 offset:908
	buffer_load_dword v202, off, s[0:3], 0 offset:904
	buffer_load_dword v207, off, s[0:3], 0 offset:900
	buffer_load_dword v206, off, s[0:3], 0 offset:896
	buffer_load_dword v221, off, s[0:3], 0 offset:892
	buffer_load_dword v220, off, s[0:3], 0 offset:888
	buffer_load_dword v223, off, s[0:3], 0 offset:884
	buffer_load_dword v222, off, s[0:3], 0 offset:880
	v_accvgpr_read_b32 v1, a176
	v_cmp_lt_u32_e32 vcc, 23, v1
	s_waitcnt vmcnt(62) lgkmcnt(10)
	v_mul_f64 v[26:27], v[94:95], v[88:89]
	v_fmac_f64_e32 v[26:27], v[96:97], v[86:87]
	v_add_f64 v[26:27], v[26:27], 0
	v_mul_f64 v[88:89], v[96:97], v[88:89]
	s_waitcnt lgkmcnt(9)
	v_mul_f64 v[28:29], v[106:107], v[92:93]
	v_fmac_f64_e32 v[28:29], v[108:109], v[90:91]
	s_waitcnt lgkmcnt(8)
	v_mul_f64 v[30:31], v[114:115], v[98:99]
	v_add_f64 v[26:27], v[26:27], v[28:29]
	s_waitcnt lgkmcnt(6)
	v_mul_f64 v[34:35], v[248:249], v[110:111]
	v_fma_f64 v[230:231], v[94:95], v[86:87], -v[88:89]
	v_fmac_f64_e32 v[34:35], v[250:251], v[112:113]
	v_mul_f64 v[92:93], v[108:109], v[92:93]
	v_mul_f64 v[32:33], v[244:245], v[102:103]
	;; [unrolled: 1-line block ×3, first 2 shown]
	s_waitcnt lgkmcnt(4)
	v_mul_f64 v[38:39], v[18:19], v[120:121]
	v_mul_f64 v[102:103], v[246:247], v[102:103]
	v_fmac_f64_e32 v[38:39], v[20:21], v[122:123]
	v_mul_f64 v[110:111], v[250:251], v[110:111]
	v_mul_f64 v[36:37], v[22:23], v[124:125]
	v_fma_f64 v[248:249], v[248:249], v[112:113], -v[110:111]
	s_waitcnt lgkmcnt(2)
	v_mul_f64 v[42:43], v[10:11], v[126:127]
	v_mul_f64 v[20:21], v[20:21], v[120:121]
	v_fma_f64 v[18:19], v[18:19], v[122:123], -v[20:21]
	v_mul_f64 v[40:41], v[14:15], v[132:133]
	s_waitcnt lgkmcnt(1)
	v_mul_f64 v[44:45], v[2:3], v[130:131]
	v_fmac_f64_e32 v[30:31], v[116:117], v[100:101]
	v_add_f64 v[26:27], v[26:27], v[30:31]
	v_fmac_f64_e32 v[32:33], v[246:247], v[104:105]
	v_add_f64 v[26:27], v[26:27], v[32:33]
	;; [unrolled: 2-line block ×3, first 2 shown]
	v_add_f64 v[26:27], v[26:27], v[36:37]
	v_fmac_f64_e32 v[40:41], v[16:17], v[134:135]
	v_add_f64 v[26:27], v[26:27], v[38:39]
	v_fmac_f64_e32 v[42:43], v[12:13], v[128:129]
	v_add_f64 v[26:27], v[26:27], v[40:41]
	v_add_f64 v[26:27], v[26:27], v[42:43]
	s_waitcnt lgkmcnt(0)
	v_mul_f64 v[32:33], v[6:7], v[138:139]
	v_fmac_f64_e32 v[44:45], v[4:5], v[146:147]
	v_add_f64 v[30:31], v[26:27], v[44:45]
	ds_read_b128 v[26:29], v228 offset:1520
	v_fmac_f64_e32 v[32:33], v[8:9], v[140:141]
	v_add_f64 v[34:35], v[30:31], v[32:33]
	ds_read_b128 v[30:33], v228 offset:1536
	v_fma_f64 v[232:233], v[114:115], v[100:101], -v[98:99]
	s_waitcnt lgkmcnt(1)
	v_mul_f64 v[36:37], v[26:27], v[148:149]
	v_fmac_f64_e32 v[36:37], v[28:29], v[164:165]
	v_add_f64 v[38:39], v[34:35], v[36:37]
	ds_read_b128 v[34:37], v228 offset:1552
	s_waitcnt lgkmcnt(1)
	v_mul_f64 v[40:41], v[30:31], v[142:143]
	v_fmac_f64_e32 v[40:41], v[32:33], v[144:145]
	v_add_f64 v[42:43], v[38:39], v[40:41]
	ds_read_b128 v[38:41], v228 offset:1568
	;; [unrolled: 5-line block ×4, first 2 shown]
	s_waitcnt vmcnt(58) lgkmcnt(1)
	v_mul_f64 v[52:53], v[42:43], v[176:177]
	s_waitcnt vmcnt(56)
	v_fmac_f64_e32 v[52:53], v[44:45], v[180:181]
	v_add_f64 v[54:55], v[50:51], v[52:53]
	ds_read_b128 v[50:53], v228 offset:1616
	buffer_load_dword v224, off, s[0:3], 0 offset:936
	buffer_load_dword v237, off, s[0:3], 0 offset:924
	;; [unrolled: 1-line block ×8, first 2 shown]
	s_waitcnt lgkmcnt(1)
	v_mul_f64 v[56:57], v[46:47], v[154:155]
	v_fmac_f64_e32 v[56:57], v[48:49], v[156:157]
	v_add_f64 v[58:59], v[54:55], v[56:57]
	ds_read_b128 v[54:57], v228 offset:1632
	buffer_load_dword v241, off, s[0:3], 0 offset:956
	buffer_load_dword v240, off, s[0:3], 0 offset:952
	;; [unrolled: 1-line block ×4, first 2 shown]
	s_waitcnt vmcnt(62) lgkmcnt(1)
	v_mul_f64 v[60:61], v[50:51], v[184:185]
	s_waitcnt vmcnt(60)
	v_fmac_f64_e32 v[60:61], v[52:53], v[188:189]
	v_add_f64 v[62:63], v[58:59], v[60:61]
	ds_read_b128 v[58:61], v228 offset:1648
	s_waitcnt lgkmcnt(1)
	v_mul_f64 v[64:65], v[54:55], v[158:159]
	v_fmac_f64_e32 v[64:65], v[56:57], v[160:161]
	v_add_f64 v[66:67], v[62:63], v[64:65]
	ds_read_b128 v[62:65], v228 offset:1664
	s_waitcnt vmcnt(54) lgkmcnt(1)
	v_mul_f64 v[68:69], v[58:59], v[192:193]
	s_waitcnt vmcnt(52)
	v_fmac_f64_e32 v[68:69], v[60:61], v[196:197]
	v_add_f64 v[70:71], v[66:67], v[68:69]
	ds_read_b128 v[66:69], v228 offset:1680
	s_waitcnt lgkmcnt(1)
	v_mul_f64 v[72:73], v[62:63], v[162:163]
	v_fmac_f64_e32 v[72:73], v[64:65], v[166:167]
	v_add_f64 v[74:75], v[70:71], v[72:73]
	ds_read_b128 v[70:73], v228 offset:1696
	s_waitcnt vmcnt(46) lgkmcnt(1)
	v_mul_f64 v[76:77], v[66:67], v[200:201]
	s_waitcnt vmcnt(44)
	v_fmac_f64_e32 v[76:77], v[68:69], v[204:205]
	v_add_f64 v[82:83], v[74:75], v[76:77]
	ds_read_b128 v[74:77], v228 offset:1712
	ds_read_b128 v[78:81], v228 offset:1728
	s_waitcnt lgkmcnt(2)
	v_mul_f64 v[84:85], v[70:71], v[170:171]
	v_fmac_f64_e32 v[84:85], v[72:73], v[174:175]
	v_add_f64 v[82:83], v[82:83], v[84:85]
	s_waitcnt vmcnt(38) lgkmcnt(1)
	v_mul_f64 v[84:85], v[74:75], v[208:209]
	s_waitcnt vmcnt(36)
	v_fmac_f64_e32 v[84:85], v[76:77], v[210:211]
	v_add_f64 v[82:83], v[82:83], v[84:85]
	s_waitcnt lgkmcnt(0)
	v_mul_f64 v[84:85], v[78:79], v[178:179]
	v_fmac_f64_e32 v[84:85], v[80:81], v[182:183]
	v_add_f64 v[118:119], v[82:83], v[84:85]
	ds_read_b128 v[82:85], v228 offset:1744
	ds_read_b128 v[86:89], v228 offset:1760
	ds_read_b128 v[98:101], v228 offset:1808
	v_fma_f64 v[246:247], v[244:245], v[104:105], -v[102:103]
	ds_read_b128 v[102:105], v228 offset:1840
	ds_read_b128 v[110:113], v228 offset:1856
	s_waitcnt vmcnt(30) lgkmcnt(4)
	v_mul_f64 v[94:95], v[82:83], v[212:213]
	s_waitcnt vmcnt(28)
	v_fmac_f64_e32 v[94:95], v[84:85], v[214:215]
	v_add_f64 v[94:95], v[118:119], v[94:95]
	v_fma_f64 v[118:119], v[106:107], v[90:91], -v[92:93]
	ds_read_b128 v[90:93], v228 offset:1776
	s_waitcnt lgkmcnt(4)
	v_mul_f64 v[96:97], v[86:87], v[186:187]
	v_fmac_f64_e32 v[96:97], v[88:89], v[190:191]
	v_add_f64 v[106:107], v[94:95], v[96:97]
	ds_read_b128 v[94:97], v228 offset:1792
	s_waitcnt vmcnt(22) lgkmcnt(1)
	v_mul_f64 v[108:109], v[90:91], v[216:217]
	s_waitcnt vmcnt(20)
	v_fmac_f64_e32 v[108:109], v[92:93], v[218:219]
	v_add_f64 v[106:107], v[106:107], v[108:109]
	v_mul_f64 v[24:25], v[24:25], v[124:125]
	s_waitcnt lgkmcnt(0)
	v_mul_f64 v[108:109], v[94:95], v[194:195]
	v_fmac_f64_e32 v[108:109], v[96:97], v[198:199]
	v_add_f64 v[114:115], v[106:107], v[108:109]
	ds_read_b128 v[106:109], v228 offset:1824
	s_waitcnt vmcnt(14)
	v_mul_f64 v[116:117], v[98:99], v[220:221]
	s_waitcnt vmcnt(12)
	v_fmac_f64_e32 v[116:117], v[100:101], v[222:223]
	v_add_f64 v[114:115], v[114:115], v[116:117]
	v_fma_f64 v[22:23], v[22:23], v[136:137], -v[24:25]
	s_waitcnt lgkmcnt(0)
	v_mul_f64 v[116:117], v[106:107], v[202:203]
	v_fmac_f64_e32 v[116:117], v[108:109], v[206:207]
	v_add_f64 v[114:115], v[114:115], v[116:117]
	v_mul_f64 v[16:17], v[16:17], v[132:133]
	v_fma_f64 v[14:15], v[14:15], v[134:135], -v[16:17]
	v_mul_f64 v[12:13], v[12:13], v[126:127]
	v_fma_f64 v[10:11], v[10:11], v[128:129], -v[12:13]
	;; [unrolled: 2-line block ×4, first 2 shown]
	s_waitcnt vmcnt(9)
	v_mul_f64 v[116:117], v[102:103], v[236:237]
	s_waitcnt vmcnt(7)
	v_fmac_f64_e32 v[116:117], v[104:105], v[238:239]
	v_add_f64 v[114:115], v[114:115], v[116:117]
	s_waitcnt vmcnt(5)
	v_mul_f64 v[116:117], v[110:111], v[224:225]
	s_waitcnt vmcnt(4)
	v_fmac_f64_e32 v[116:117], v[112:113], v[226:227]
	v_add_f64 v[234:235], v[114:115], v[116:117]
	ds_read_b128 v[114:117], v228 offset:1872
	buffer_load_dword v254, off, s[0:3], 0 offset:400
	buffer_load_dword v255, off, s[0:3], 0 offset:404
	buffer_load_dword v252, off, s[0:3], 0 offset:408
	buffer_load_dword v253, off, s[0:3], 0 offset:412
	s_waitcnt vmcnt(6) lgkmcnt(0)
	v_mul_f64 v[228:229], v[114:115], v[240:241]
	s_waitcnt vmcnt(4)
	v_fmac_f64_e32 v[228:229], v[116:117], v[242:243]
	v_add_f64 v[244:245], v[234:235], v[228:229]
	v_add_f64 v[228:229], v[230:231], 0
	;; [unrolled: 1-line block ×12, first 2 shown]
	v_mul_f64 v[4:5], v[28:29], v[148:149]
	v_fma_f64 v[4:5], v[26:27], v[164:165], -v[4:5]
	v_add_f64 v[2:3], v[2:3], v[4:5]
	v_mul_f64 v[4:5], v[32:33], v[142:143]
	v_fma_f64 v[4:5], v[30:31], v[144:145], -v[4:5]
	v_add_f64 v[2:3], v[2:3], v[4:5]
	;; [unrolled: 3-line block ×23, first 2 shown]
	s_waitcnt vmcnt(2)
	v_add_f64 v[2:3], v[254:255], -v[2:3]
	s_waitcnt vmcnt(0)
	v_add_f64 v[4:5], v[252:253], -v[244:245]
	buffer_store_dword v3, off, s[0:3], 0 offset:404
	buffer_store_dword v2, off, s[0:3], 0 offset:400
	;; [unrolled: 1-line block ×4, first 2 shown]
	s_and_saveexec_b64 s[4:5], vcc
	s_cbranch_execz .LBB58_321
; %bb.320:
	v_accvgpr_read_b32 v0, a153
	buffer_load_dword v2, v0, s[0:3], 0 offen
	buffer_load_dword v3, v0, s[0:3], 0 offen offset:4
	buffer_load_dword v4, v0, s[0:3], 0 offen offset:8
	;; [unrolled: 1-line block ×3, first 2 shown]
	v_mov_b32_e32 v0, 0
	v_accvgpr_read_b32 v6, a177
	buffer_store_dword v0, off, s[0:3], 0 offset:384
	buffer_store_dword v0, off, s[0:3], 0 offset:388
	;; [unrolled: 1-line block ×4, first 2 shown]
	s_waitcnt vmcnt(4)
	ds_write_b128 v6, v[2:5]
.LBB58_321:
	s_or_b64 exec, exec, s[4:5]
	s_waitcnt lgkmcnt(0)
	; wave barrier
	s_waitcnt lgkmcnt(0)
	buffer_load_dword v82, off, s[0:3], 0 offset:400
	buffer_load_dword v83, off, s[0:3], 0 offset:404
	;; [unrolled: 1-line block ×54, first 2 shown]
	v_mov_b32_e32 v228, 0
	ds_read_b128 v[90:93], v228 offset:1328
	ds_read_b128 v[106:109], v228 offset:1344
	ds_read_b128 v[114:117], v228 offset:1360
	ds_read_b128 v[242:245], v228 offset:1376
	ds_read_b128 v[246:249], v228 offset:1392
	ds_read_b128 v[250:253], v228 offset:1408
	ds_read_b128 v[10:13], v228 offset:1424
	ds_read_b128 v[6:9], v228 offset:1440
	ds_read_b128 v[2:5], v228 offset:1456
	buffer_load_dword v151, off, s[0:3], 0 offset:628
	buffer_load_dword v150, off, s[0:3], 0 offset:624
	;; [unrolled: 1-line block ×62, first 2 shown]
	v_cmp_lt_u32_e32 vcc, 22, v1
	s_waitcnt vmcnt(62) lgkmcnt(8)
	v_mul_f64 v[14:15], v[90:91], v[84:85]
	v_fmac_f64_e32 v[14:15], v[92:93], v[82:83]
	v_add_f64 v[14:15], v[14:15], 0
	v_mul_f64 v[84:85], v[92:93], v[84:85]
	s_waitcnt lgkmcnt(7)
	v_mul_f64 v[16:17], v[106:107], v[88:89]
	v_fmac_f64_e32 v[16:17], v[108:109], v[86:87]
	s_waitcnt lgkmcnt(6)
	v_mul_f64 v[18:19], v[114:115], v[94:95]
	v_add_f64 v[14:15], v[14:15], v[16:17]
	s_waitcnt lgkmcnt(4)
	v_mul_f64 v[22:23], v[246:247], v[102:103]
	v_fma_f64 v[230:231], v[90:91], v[82:83], -v[84:85]
	v_fmac_f64_e32 v[22:23], v[248:249], v[104:105]
	v_mul_f64 v[88:89], v[108:109], v[88:89]
	v_mul_f64 v[20:21], v[242:243], v[98:99]
	v_fma_f64 v[232:233], v[106:107], v[86:87], -v[88:89]
	s_waitcnt lgkmcnt(2)
	v_mul_f64 v[26:27], v[10:11], v[120:121]
	v_mul_f64 v[94:95], v[116:117], v[94:95]
	v_fmac_f64_e32 v[26:27], v[12:13], v[122:123]
	v_mul_f64 v[98:99], v[244:245], v[98:99]
	v_mul_f64 v[24:25], v[250:251], v[110:111]
	;; [unrolled: 1-line block ×3, first 2 shown]
	s_waitcnt lgkmcnt(1)
	v_mul_f64 v[28:29], v[6:7], v[124:125]
	v_mul_f64 v[110:111], v[252:253], v[110:111]
	v_fmac_f64_e32 v[18:19], v[116:117], v[96:97]
	v_add_f64 v[14:15], v[14:15], v[18:19]
	v_fmac_f64_e32 v[20:21], v[244:245], v[100:101]
	v_add_f64 v[14:15], v[14:15], v[20:21]
	v_fmac_f64_e32 v[24:25], v[252:253], v[112:113]
	v_add_f64 v[14:15], v[14:15], v[22:23]
	v_add_f64 v[14:15], v[14:15], v[24:25]
	v_fmac_f64_e32 v[28:29], v[8:9], v[128:129]
	v_add_f64 v[14:15], v[14:15], v[26:27]
	v_add_f64 v[18:19], v[14:15], v[28:29]
	ds_read_b128 v[14:17], v228 offset:1472
	s_waitcnt lgkmcnt(1)
	v_mul_f64 v[20:21], v[2:3], v[126:127]
	v_fmac_f64_e32 v[20:21], v[4:5], v[130:131]
	v_add_f64 v[22:23], v[18:19], v[20:21]
	ds_read_b128 v[18:21], v228 offset:1488
	s_waitcnt lgkmcnt(1)
	v_mul_f64 v[24:25], v[14:15], v[136:137]
	v_fmac_f64_e32 v[24:25], v[16:17], v[138:139]
	;; [unrolled: 5-line block ×5, first 2 shown]
	v_add_f64 v[38:39], v[34:35], v[36:37]
	ds_read_b128 v[34:37], v228 offset:1552
	s_waitcnt vmcnt(58) lgkmcnt(1)
	v_mul_f64 v[40:41], v[30:31], v[164:165]
	s_waitcnt vmcnt(56)
	v_fmac_f64_e32 v[40:41], v[32:33], v[168:169]
	v_add_f64 v[42:43], v[38:39], v[40:41]
	ds_read_b128 v[38:41], v228 offset:1568
	s_waitcnt lgkmcnt(1)
	v_mul_f64 v[44:45], v[34:35], v[144:145]
	v_fmac_f64_e32 v[44:45], v[36:37], v[150:151]
	v_add_f64 v[46:47], v[42:43], v[44:45]
	ds_read_b128 v[42:45], v228 offset:1584
	s_waitcnt vmcnt(50) lgkmcnt(1)
	v_mul_f64 v[48:49], v[38:39], v[172:173]
	s_waitcnt vmcnt(48)
	v_fmac_f64_e32 v[48:49], v[40:41], v[176:177]
	v_add_f64 v[50:51], v[46:47], v[48:49]
	ds_read_b128 v[46:49], v228 offset:1600
	buffer_load_dword v213, off, s[0:3], 0 offset:876
	buffer_load_dword v212, off, s[0:3], 0 offset:872
	;; [unrolled: 1-line block ×8, first 2 shown]
	s_waitcnt lgkmcnt(1)
	v_mul_f64 v[52:53], v[42:43], v[152:153]
	v_fmac_f64_e32 v[52:53], v[44:45], v[154:155]
	v_add_f64 v[54:55], v[50:51], v[52:53]
	ds_read_b128 v[50:53], v228 offset:1616
	s_waitcnt vmcnt(50) lgkmcnt(1)
	v_mul_f64 v[56:57], v[46:47], v[180:181]
	s_waitcnt vmcnt(48)
	v_fmac_f64_e32 v[56:57], v[48:49], v[184:185]
	buffer_load_dword v217, off, s[0:3], 0 offset:924
	buffer_load_dword v223, off, s[0:3], 0 offset:908
	;; [unrolled: 1-line block ×12, first 2 shown]
	v_add_f64 v[58:59], v[54:55], v[56:57]
	ds_read_b128 v[54:57], v228 offset:1632
	s_waitcnt lgkmcnt(1)
	v_mul_f64 v[60:61], v[50:51], v[156:157]
	v_fmac_f64_e32 v[60:61], v[52:53], v[158:159]
	v_add_f64 v[62:63], v[58:59], v[60:61]
	ds_read_b128 v[58:61], v228 offset:1648
	s_waitcnt vmcnt(54) lgkmcnt(1)
	v_mul_f64 v[64:65], v[54:55], v[188:189]
	s_waitcnt vmcnt(52)
	v_fmac_f64_e32 v[64:65], v[56:57], v[192:193]
	v_add_f64 v[66:67], v[62:63], v[64:65]
	ds_read_b128 v[62:65], v228 offset:1664
	s_waitcnt lgkmcnt(1)
	v_mul_f64 v[68:69], v[58:59], v[160:161]
	v_fmac_f64_e32 v[68:69], v[60:61], v[162:163]
	v_add_f64 v[70:71], v[66:67], v[68:69]
	ds_read_b128 v[66:69], v228 offset:1680
	s_waitcnt vmcnt(46) lgkmcnt(1)
	v_mul_f64 v[72:73], v[62:63], v[196:197]
	s_waitcnt vmcnt(44)
	v_fmac_f64_e32 v[72:73], v[64:65], v[198:199]
	v_add_f64 v[78:79], v[70:71], v[72:73]
	ds_read_b128 v[70:73], v228 offset:1696
	ds_read_b128 v[74:77], v228 offset:1712
	s_waitcnt lgkmcnt(2)
	v_mul_f64 v[80:81], v[66:67], v[166:167]
	v_fmac_f64_e32 v[80:81], v[68:69], v[170:171]
	v_add_f64 v[78:79], v[78:79], v[80:81]
	s_waitcnt vmcnt(38) lgkmcnt(1)
	v_mul_f64 v[80:81], v[70:71], v[200:201]
	s_waitcnt vmcnt(36)
	v_fmac_f64_e32 v[80:81], v[72:73], v[202:203]
	v_add_f64 v[78:79], v[78:79], v[80:81]
	s_waitcnt lgkmcnt(0)
	v_mul_f64 v[80:81], v[74:75], v[174:175]
	v_fmac_f64_e32 v[80:81], v[76:77], v[178:179]
	v_add_f64 v[118:119], v[78:79], v[80:81]
	ds_read_b128 v[78:81], v228 offset:1728
	ds_read_b128 v[82:85], v228 offset:1744
	ds_read_b128 v[86:89], v228 offset:1760
	v_fma_f64 v[234:235], v[242:243], v[100:101], -v[98:99]
	ds_read_b128 v[98:101], v228 offset:1808
	s_waitcnt vmcnt(30) lgkmcnt(3)
	v_mul_f64 v[90:91], v[78:79], v[204:205]
	s_waitcnt vmcnt(28)
	v_fmac_f64_e32 v[90:91], v[80:81], v[206:207]
	s_waitcnt lgkmcnt(2)
	v_mul_f64 v[92:93], v[82:83], v[182:183]
	v_add_f64 v[90:91], v[118:119], v[90:91]
	v_fmac_f64_e32 v[92:93], v[84:85], v[186:187]
	v_add_f64 v[90:91], v[90:91], v[92:93]
	v_fma_f64 v[118:119], v[114:115], v[96:97], -v[94:95]
	ds_read_b128 v[94:97], v228 offset:1792
	s_waitcnt vmcnt(22) lgkmcnt(2)
	v_mul_f64 v[92:93], v[86:87], v[208:209]
	s_waitcnt vmcnt(20)
	v_fmac_f64_e32 v[92:93], v[88:89], v[210:211]
	v_add_f64 v[106:107], v[90:91], v[92:93]
	ds_read_b128 v[90:93], v228 offset:1776
	buffer_load_dword v240, off, s[0:3], 0 offset:952
	v_fma_f64 v[246:247], v[246:247], v[104:105], -v[102:103]
	ds_read_b128 v[102:105], v228 offset:1824
	v_fma_f64 v[250:251], v[250:251], v[112:113], -v[110:111]
	s_waitcnt lgkmcnt(1)
	v_mul_f64 v[108:109], v[90:91], v[190:191]
	v_fmac_f64_e32 v[108:109], v[92:93], v[194:195]
	v_add_f64 v[106:107], v[106:107], v[108:109]
	ds_read_b128 v[110:113], v228 offset:1856
	v_add_f64 v[230:231], v[230:231], 0
	v_add_f64 v[230:231], v[230:231], v[232:233]
	v_add_f64 v[118:119], v[230:231], v[118:119]
	v_add_f64 v[118:119], v[118:119], v[234:235]
	v_add_f64 v[252:253], v[118:119], v[246:247]
	v_mul_f64 v[12:13], v[12:13], v[120:121]
	v_add_f64 v[118:119], v[252:253], v[250:251]
	v_fma_f64 v[10:11], v[10:11], v[122:123], -v[12:13]
	v_mul_f64 v[8:9], v[8:9], v[124:125]
	v_add_f64 v[10:11], v[118:119], v[10:11]
	v_fma_f64 v[6:7], v[6:7], v[128:129], -v[8:9]
	;; [unrolled: 3-line block ×3, first 2 shown]
	v_mul_f64 v[4:5], v[16:17], v[136:137]
	v_add_f64 v[2:3], v[6:7], v[2:3]
	s_waitcnt vmcnt(19)
	v_mul_f64 v[108:109], v[94:95], v[212:213]
	v_fma_f64 v[4:5], v[14:15], v[138:139], -v[4:5]
	s_waitcnt vmcnt(17)
	v_fmac_f64_e32 v[108:109], v[96:97], v[214:215]
	v_add_f64 v[106:107], v[106:107], v[108:109]
	s_waitcnt vmcnt(15)
	v_mul_f64 v[108:109], v[98:99], v[218:219]
	s_waitcnt vmcnt(13)
	v_fmac_f64_e32 v[108:109], v[100:101], v[220:221]
	v_add_f64 v[114:115], v[106:107], v[108:109]
	ds_read_b128 v[106:109], v228 offset:1840
	buffer_load_dword v244, off, s[0:3], 0 offset:944
	buffer_load_dword v241, off, s[0:3], 0 offset:956
	;; [unrolled: 1-line block ×3, first 2 shown]
	s_waitcnt vmcnt(13) lgkmcnt(2)
	v_mul_f64 v[116:117], v[102:103], v[222:223]
	s_waitcnt vmcnt(11)
	v_fmac_f64_e32 v[116:117], v[104:105], v[236:237]
	v_add_f64 v[114:115], v[114:115], v[116:117]
	s_waitcnt vmcnt(10) lgkmcnt(0)
	v_mul_f64 v[116:117], v[106:107], v[216:217]
	s_waitcnt vmcnt(8)
	v_fmac_f64_e32 v[116:117], v[108:109], v[226:227]
	v_add_f64 v[114:115], v[114:115], v[116:117]
	s_waitcnt vmcnt(6)
	v_mul_f64 v[116:117], v[110:111], v[224:225]
	s_waitcnt vmcnt(4)
	v_fmac_f64_e32 v[116:117], v[112:113], v[238:239]
	v_add_f64 v[242:243], v[114:115], v[116:117]
	ds_read_b128 v[114:117], v228 offset:1872
	v_add_f64 v[2:3], v[2:3], v[4:5]
	v_mul_f64 v[4:5], v[20:21], v[132:133]
	v_fma_f64 v[4:5], v[18:19], v[134:135], -v[4:5]
	v_add_f64 v[2:3], v[2:3], v[4:5]
	v_mul_f64 v[4:5], v[24:25], v[146:147]
	v_fma_f64 v[4:5], v[22:23], v[148:149], -v[4:5]
	;; [unrolled: 3-line block ×22, first 2 shown]
	v_add_f64 v[2:3], v[2:3], v[4:5]
	v_mul_f64 v[4:5], v[108:109], v[216:217]
	s_waitcnt vmcnt(1) lgkmcnt(0)
	v_mul_f64 v[248:249], v[114:115], v[240:241]
	s_waitcnt vmcnt(0)
	v_fmac_f64_e32 v[248:249], v[116:117], v[244:245]
	v_add_f64 v[242:243], v[242:243], v[248:249]
	buffer_load_dword v248, off, s[0:3], 0 offset:384
	buffer_load_dword v249, off, s[0:3], 0 offset:388
	;; [unrolled: 1-line block ×4, first 2 shown]
	v_fma_f64 v[4:5], v[106:107], v[226:227], -v[4:5]
	v_add_f64 v[2:3], v[2:3], v[4:5]
	v_mul_f64 v[4:5], v[112:113], v[224:225]
	v_fma_f64 v[4:5], v[110:111], v[238:239], -v[4:5]
	v_add_f64 v[2:3], v[2:3], v[4:5]
	v_mul_f64 v[4:5], v[116:117], v[240:241]
	v_fma_f64 v[4:5], v[114:115], v[244:245], -v[4:5]
	v_add_f64 v[2:3], v[2:3], v[4:5]
	s_waitcnt vmcnt(2)
	v_add_f64 v[2:3], v[248:249], -v[2:3]
	s_waitcnt vmcnt(0)
	v_add_f64 v[4:5], v[246:247], -v[242:243]
	buffer_store_dword v3, off, s[0:3], 0 offset:388
	buffer_store_dword v2, off, s[0:3], 0 offset:384
	;; [unrolled: 1-line block ×4, first 2 shown]
	s_and_saveexec_b64 s[4:5], vcc
	s_cbranch_execz .LBB58_323
; %bb.322:
	v_accvgpr_read_b32 v0, a154
	buffer_load_dword v2, v0, s[0:3], 0 offen
	buffer_load_dword v3, v0, s[0:3], 0 offen offset:4
	buffer_load_dword v4, v0, s[0:3], 0 offen offset:8
	;; [unrolled: 1-line block ×3, first 2 shown]
	v_accvgpr_read_b32 v0, a177
	buffer_store_dword v228, off, s[0:3], 0 offset:368
	buffer_store_dword v228, off, s[0:3], 0 offset:372
	;; [unrolled: 1-line block ×4, first 2 shown]
	s_waitcnt vmcnt(4)
	ds_write_b128 v0, v[2:5]
.LBB58_323:
	s_or_b64 exec, exec, s[4:5]
	s_waitcnt lgkmcnt(0)
	; wave barrier
	s_waitcnt lgkmcnt(0)
	buffer_load_dword v84, off, s[0:3], 0 offset:384
	buffer_load_dword v85, off, s[0:3], 0 offset:388
	;; [unrolled: 1-line block ×34, first 2 shown]
	ds_read_b128 v[74:77], v228 offset:1312
	ds_read_b128 v[78:81], v228 offset:1328
	;; [unrolled: 1-line block ×8, first 2 shown]
	buffer_load_dword v127, off, s[0:3], 0 offset:500
	buffer_load_dword v126, off, s[0:3], 0 offset:496
	ds_read_b128 v[6:9], v228 offset:1440
	buffer_load_dword v129, off, s[0:3], 0 offset:556
	buffer_load_dword v128, off, s[0:3], 0 offset:552
	;; [unrolled: 1-line block ×80, first 2 shown]
	v_accvgpr_read_b32 v1, a176
	v_cmp_lt_u32_e32 vcc, 21, v1
	s_waitcnt vmcnt(62) lgkmcnt(8)
	v_mul_f64 v[10:11], v[74:75], v[106:107]
	v_fmac_f64_e32 v[10:11], v[76:77], v[84:85]
	v_add_f64 v[10:11], v[10:11], 0
	v_mul_f64 v[76:77], v[76:77], v[106:107]
	s_waitcnt lgkmcnt(7)
	v_mul_f64 v[12:13], v[78:79], v[96:97]
	v_fmac_f64_e32 v[12:13], v[80:81], v[82:83]
	s_waitcnt lgkmcnt(6)
	v_mul_f64 v[14:15], v[86:87], v[94:95]
	v_add_f64 v[10:11], v[10:11], v[12:13]
	s_waitcnt lgkmcnt(4)
	v_mul_f64 v[18:19], v[98:99], v[108:109]
	v_fma_f64 v[230:231], v[74:75], v[84:85], -v[76:77]
	v_fmac_f64_e32 v[18:19], v[100:101], v[114:115]
	v_mul_f64 v[80:81], v[80:81], v[96:97]
	v_mul_f64 v[16:17], v[90:91], v[116:117]
	v_fma_f64 v[232:233], v[78:79], v[82:83], -v[80:81]
	s_waitcnt lgkmcnt(2)
	v_mul_f64 v[22:23], v[110:111], v[240:241]
	v_mul_f64 v[100:101], v[100:101], v[108:109]
	v_mul_f64 v[20:21], v[102:103], v[244:245]
	s_waitcnt lgkmcnt(1)
	v_mul_f64 v[24:25], v[2:3], v[120:121]
	v_fmac_f64_e32 v[14:15], v[88:89], v[250:251]
	v_add_f64 v[10:11], v[10:11], v[14:15]
	v_fmac_f64_e32 v[16:17], v[92:93], v[248:249]
	v_add_f64 v[10:11], v[10:11], v[16:17]
	v_fmac_f64_e32 v[20:21], v[104:105], v[246:247]
	v_add_f64 v[10:11], v[10:11], v[18:19]
	v_fmac_f64_e32 v[22:23], v[112:113], v[242:243]
	v_add_f64 v[10:11], v[10:11], v[20:21]
	v_add_f64 v[10:11], v[10:11], v[22:23]
	s_waitcnt lgkmcnt(0)
	v_mul_f64 v[16:17], v[6:7], v[122:123]
	v_fmac_f64_e32 v[16:17], v[8:9], v[124:125]
	v_fmac_f64_e32 v[24:25], v[4:5], v[126:127]
	v_add_f64 v[14:15], v[10:11], v[24:25]
	ds_read_b128 v[10:13], v228 offset:1456
	v_add_f64 v[18:19], v[14:15], v[16:17]
	ds_read_b128 v[14:17], v228 offset:1472
	v_mul_f64 v[88:89], v[88:89], v[94:95]
	v_mul_f64 v[92:93], v[92:93], v[116:117]
	s_waitcnt lgkmcnt(1)
	v_mul_f64 v[20:21], v[10:11], v[132:133]
	v_fmac_f64_e32 v[20:21], v[12:13], v[134:135]
	s_waitcnt lgkmcnt(0)
	v_mul_f64 v[24:25], v[14:15], v[128:129]
	v_add_f64 v[22:23], v[18:19], v[20:21]
	ds_read_b128 v[18:21], v228 offset:1488
	v_fmac_f64_e32 v[24:25], v[16:17], v[130:131]
	v_add_f64 v[26:27], v[22:23], v[24:25]
	ds_read_b128 v[22:25], v228 offset:1504
	v_fma_f64 v[234:235], v[90:91], v[248:249], -v[92:93]
	s_waitcnt lgkmcnt(1)
	v_mul_f64 v[28:29], v[18:19], v[144:145]
	v_fmac_f64_e32 v[28:29], v[20:21], v[146:147]
	v_add_f64 v[30:31], v[26:27], v[28:29]
	s_waitcnt lgkmcnt(0)
	v_mul_f64 v[32:33], v[22:23], v[136:137]
	ds_read_b128 v[26:29], v228 offset:1520
	v_fmac_f64_e32 v[32:33], v[24:25], v[138:139]
	v_add_f64 v[34:35], v[30:31], v[32:33]
	ds_read_b128 v[30:33], v228 offset:1536
	v_fma_f64 v[248:249], v[98:99], v[114:115], -v[100:101]
	s_waitcnt vmcnt(58) lgkmcnt(1)
	v_mul_f64 v[36:37], v[26:27], v[160:161]
	s_waitcnt vmcnt(56)
	v_fmac_f64_e32 v[36:37], v[28:29], v[164:165]
	v_add_f64 v[38:39], v[34:35], v[36:37]
	s_waitcnt lgkmcnt(0)
	v_mul_f64 v[40:41], v[30:31], v[140:141]
	ds_read_b128 v[34:37], v228 offset:1552
	v_fmac_f64_e32 v[40:41], v[32:33], v[142:143]
	v_add_f64 v[42:43], v[38:39], v[40:41]
	ds_read_b128 v[38:41], v228 offset:1568
	v_mul_f64 v[104:105], v[104:105], v[244:245]
	s_waitcnt vmcnt(50) lgkmcnt(1)
	v_mul_f64 v[44:45], v[34:35], v[168:169]
	s_waitcnt vmcnt(48)
	v_fmac_f64_e32 v[44:45], v[36:37], v[172:173]
	v_add_f64 v[46:47], v[42:43], v[44:45]
	s_waitcnt lgkmcnt(0)
	v_mul_f64 v[48:49], v[38:39], v[148:149]
	v_fmac_f64_e32 v[48:49], v[40:41], v[150:151]
	ds_read_b128 v[42:45], v228 offset:1584
	v_add_f64 v[50:51], v[46:47], v[48:49]
	ds_read_b128 v[46:49], v228 offset:1600
	buffer_load_dword v209, off, s[0:3], 0 offset:876
	buffer_load_dword v211, off, s[0:3], 0 offset:860
	;; [unrolled: 1-line block ×12, first 2 shown]
	v_mul_f64 v[112:113], v[112:113], v[240:241]
	s_waitcnt vmcnt(54) lgkmcnt(1)
	v_mul_f64 v[52:53], v[42:43], v[176:177]
	s_waitcnt vmcnt(52)
	v_fmac_f64_e32 v[52:53], v[44:45], v[180:181]
	v_add_f64 v[54:55], v[50:51], v[52:53]
	ds_read_b128 v[50:53], v228 offset:1616
	s_waitcnt lgkmcnt(1)
	v_mul_f64 v[56:57], v[46:47], v[152:153]
	v_fmac_f64_e32 v[56:57], v[48:49], v[154:155]
	buffer_load_dword v223, off, s[0:3], 0 offset:908
	buffer_load_dword v222, off, s[0:3], 0 offset:904
	;; [unrolled: 1-line block ×12, first 2 shown]
	v_add_f64 v[58:59], v[54:55], v[56:57]
	ds_read_b128 v[54:57], v228 offset:1632
	s_waitcnt vmcnt(58) lgkmcnt(1)
	v_mul_f64 v[60:61], v[50:51], v[184:185]
	s_waitcnt vmcnt(56)
	v_fmac_f64_e32 v[60:61], v[52:53], v[188:189]
	v_add_f64 v[62:63], v[58:59], v[60:61]
	ds_read_b128 v[58:61], v228 offset:1648
	s_waitcnt lgkmcnt(1)
	v_mul_f64 v[64:65], v[54:55], v[156:157]
	v_fmac_f64_e32 v[64:65], v[56:57], v[158:159]
	v_add_f64 v[70:71], v[62:63], v[64:65]
	ds_read_b128 v[62:65], v228 offset:1664
	ds_read_b128 v[66:69], v228 offset:1680
	s_waitcnt vmcnt(50) lgkmcnt(2)
	v_mul_f64 v[72:73], v[58:59], v[192:193]
	s_waitcnt vmcnt(48)
	v_fmac_f64_e32 v[72:73], v[60:61], v[194:195]
	v_add_f64 v[70:71], v[70:71], v[72:73]
	s_waitcnt lgkmcnt(1)
	v_mul_f64 v[72:73], v[62:63], v[162:163]
	v_fmac_f64_e32 v[72:73], v[64:65], v[166:167]
	v_add_f64 v[70:71], v[70:71], v[72:73]
	s_waitcnt vmcnt(42) lgkmcnt(0)
	v_mul_f64 v[72:73], v[66:67], v[196:197]
	s_waitcnt vmcnt(40)
	v_fmac_f64_e32 v[72:73], v[68:69], v[198:199]
	v_add_f64 v[118:119], v[70:71], v[72:73]
	ds_read_b128 v[70:73], v228 offset:1696
	ds_read_b128 v[74:77], v228 offset:1712
	;; [unrolled: 1-line block ×5, first 2 shown]
	s_waitcnt lgkmcnt(4)
	v_mul_f64 v[84:85], v[70:71], v[170:171]
	v_fmac_f64_e32 v[84:85], v[72:73], v[174:175]
	v_add_f64 v[82:83], v[118:119], v[84:85]
	s_waitcnt vmcnt(34) lgkmcnt(3)
	v_mul_f64 v[84:85], v[74:75], v[200:201]
	s_waitcnt vmcnt(32)
	v_fmac_f64_e32 v[84:85], v[76:77], v[202:203]
	v_add_f64 v[82:83], v[82:83], v[84:85]
	v_fma_f64 v[118:119], v[86:87], v[250:251], -v[88:89]
	ds_read_b128 v[86:89], v228 offset:1760
	s_waitcnt lgkmcnt(3)
	v_mul_f64 v[84:85], v[78:79], v[178:179]
	v_fmac_f64_e32 v[84:85], v[80:81], v[182:183]
	v_add_f64 v[96:97], v[82:83], v[84:85]
	ds_read_b128 v[82:85], v228 offset:1744
	v_fma_f64 v[250:251], v[102:103], v[246:247], -v[104:105]
	v_fma_f64 v[252:253], v[110:111], v[242:243], -v[112:113]
	ds_read_b128 v[110:113], v228 offset:1856
	v_mul_f64 v[4:5], v[4:5], v[120:121]
	s_waitcnt vmcnt(26) lgkmcnt(1)
	v_mul_f64 v[94:95], v[82:83], v[204:205]
	s_waitcnt vmcnt(24)
	v_fmac_f64_e32 v[94:95], v[84:85], v[206:207]
	v_add_f64 v[94:95], v[96:97], v[94:95]
	v_mul_f64 v[96:97], v[86:87], v[186:187]
	v_fmac_f64_e32 v[96:97], v[88:89], v[190:191]
	v_add_f64 v[106:107], v[94:95], v[96:97]
	ds_read_b128 v[94:97], v228 offset:1792
	v_fma_f64 v[2:3], v[2:3], v[126:127], -v[4:5]
	v_mul_f64 v[4:5], v[8:9], v[122:123]
	v_fma_f64 v[4:5], v[6:7], v[124:125], -v[4:5]
	ds_read_b128 v[102:105], v228 offset:1840
	s_waitcnt vmcnt(21)
	v_mul_f64 v[108:109], v[90:91], v[210:211]
	s_waitcnt vmcnt(19)
	v_fmac_f64_e32 v[108:109], v[92:93], v[216:217]
	v_add_f64 v[106:107], v[106:107], v[108:109]
	s_waitcnt vmcnt(18) lgkmcnt(1)
	v_mul_f64 v[108:109], v[94:95], v[208:209]
	s_waitcnt vmcnt(16)
	v_fmac_f64_e32 v[108:109], v[96:97], v[214:215]
	v_add_f64 v[114:115], v[106:107], v[108:109]
	ds_read_b128 v[106:109], v228 offset:1824
	buffer_load_dword v243, off, s[0:3], 0 offset:956
	buffer_load_dword v242, off, s[0:3], 0 offset:952
	;; [unrolled: 1-line block ×4, first 2 shown]
	s_waitcnt vmcnt(18)
	v_mul_f64 v[116:117], v[98:99], v[212:213]
	s_waitcnt vmcnt(16)
	v_fmac_f64_e32 v[116:117], v[100:101], v[218:219]
	v_add_f64 v[114:115], v[114:115], v[116:117]
	s_waitcnt vmcnt(14) lgkmcnt(0)
	v_mul_f64 v[116:117], v[106:107], v[222:223]
	s_waitcnt vmcnt(12)
	v_fmac_f64_e32 v[116:117], v[108:109], v[224:225]
	v_add_f64 v[114:115], v[114:115], v[116:117]
	s_waitcnt vmcnt(9)
	v_mul_f64 v[116:117], v[102:103], v[236:237]
	s_waitcnt vmcnt(7)
	v_fmac_f64_e32 v[116:117], v[104:105], v[238:239]
	v_add_f64 v[114:115], v[114:115], v[116:117]
	s_waitcnt vmcnt(5)
	v_mul_f64 v[116:117], v[110:111], v[220:221]
	s_waitcnt vmcnt(4)
	v_fmac_f64_e32 v[116:117], v[112:113], v[226:227]
	v_add_f64 v[240:241], v[114:115], v[116:117]
	ds_read_b128 v[114:117], v228 offset:1872
	s_waitcnt vmcnt(2) lgkmcnt(0)
	v_mul_f64 v[228:229], v[114:115], v[242:243]
	s_waitcnt vmcnt(0)
	v_fmac_f64_e32 v[228:229], v[116:117], v[244:245]
	v_add_f64 v[240:241], v[240:241], v[228:229]
	v_add_f64 v[228:229], v[230:231], 0
	v_add_f64 v[228:229], v[228:229], v[232:233]
	v_add_f64 v[118:119], v[228:229], v[118:119]
	v_add_f64 v[118:119], v[118:119], v[234:235]
	v_add_f64 v[254:255], v[118:119], v[248:249]
	buffer_load_dword v248, off, s[0:3], 0 offset:368
	buffer_load_dword v249, off, s[0:3], 0 offset:372
	;; [unrolled: 1-line block ×4, first 2 shown]
	v_add_f64 v[118:119], v[254:255], v[250:251]
	v_add_f64 v[118:119], v[118:119], v[252:253]
	;; [unrolled: 1-line block ×4, first 2 shown]
	v_mul_f64 v[4:5], v[12:13], v[132:133]
	v_fma_f64 v[4:5], v[10:11], v[134:135], -v[4:5]
	v_add_f64 v[2:3], v[2:3], v[4:5]
	v_mul_f64 v[4:5], v[16:17], v[128:129]
	v_fma_f64 v[4:5], v[14:15], v[130:131], -v[4:5]
	v_add_f64 v[2:3], v[2:3], v[4:5]
	v_mul_f64 v[4:5], v[20:21], v[144:145]
	v_fma_f64 v[4:5], v[18:19], v[146:147], -v[4:5]
	v_add_f64 v[2:3], v[2:3], v[4:5]
	v_mul_f64 v[4:5], v[24:25], v[136:137]
	v_fma_f64 v[4:5], v[22:23], v[138:139], -v[4:5]
	v_add_f64 v[2:3], v[2:3], v[4:5]
	v_mul_f64 v[4:5], v[28:29], v[160:161]
	v_fma_f64 v[4:5], v[26:27], v[164:165], -v[4:5]
	v_add_f64 v[2:3], v[2:3], v[4:5]
	v_mul_f64 v[4:5], v[32:33], v[140:141]
	v_fma_f64 v[4:5], v[30:31], v[142:143], -v[4:5]
	v_add_f64 v[2:3], v[2:3], v[4:5]
	v_mul_f64 v[4:5], v[36:37], v[168:169]
	v_fma_f64 v[4:5], v[34:35], v[172:173], -v[4:5]
	v_add_f64 v[2:3], v[2:3], v[4:5]
	v_mul_f64 v[4:5], v[40:41], v[148:149]
	v_fma_f64 v[4:5], v[38:39], v[150:151], -v[4:5]
	v_add_f64 v[2:3], v[2:3], v[4:5]
	v_mul_f64 v[4:5], v[44:45], v[176:177]
	v_fma_f64 v[4:5], v[42:43], v[180:181], -v[4:5]
	v_add_f64 v[2:3], v[2:3], v[4:5]
	v_mul_f64 v[4:5], v[48:49], v[152:153]
	v_fma_f64 v[4:5], v[46:47], v[154:155], -v[4:5]
	v_add_f64 v[2:3], v[2:3], v[4:5]
	v_mul_f64 v[4:5], v[52:53], v[184:185]
	v_fma_f64 v[4:5], v[50:51], v[188:189], -v[4:5]
	v_add_f64 v[2:3], v[2:3], v[4:5]
	v_mul_f64 v[4:5], v[56:57], v[156:157]
	v_fma_f64 v[4:5], v[54:55], v[158:159], -v[4:5]
	v_add_f64 v[2:3], v[2:3], v[4:5]
	v_mul_f64 v[4:5], v[60:61], v[192:193]
	v_fma_f64 v[4:5], v[58:59], v[194:195], -v[4:5]
	v_add_f64 v[2:3], v[2:3], v[4:5]
	v_mul_f64 v[4:5], v[64:65], v[162:163]
	v_fma_f64 v[4:5], v[62:63], v[166:167], -v[4:5]
	v_add_f64 v[2:3], v[2:3], v[4:5]
	v_mul_f64 v[4:5], v[68:69], v[196:197]
	v_fma_f64 v[4:5], v[66:67], v[198:199], -v[4:5]
	v_add_f64 v[2:3], v[2:3], v[4:5]
	v_mul_f64 v[4:5], v[72:73], v[170:171]
	v_fma_f64 v[4:5], v[70:71], v[174:175], -v[4:5]
	v_add_f64 v[2:3], v[2:3], v[4:5]
	v_mul_f64 v[4:5], v[76:77], v[200:201]
	v_fma_f64 v[4:5], v[74:75], v[202:203], -v[4:5]
	v_add_f64 v[2:3], v[2:3], v[4:5]
	v_mul_f64 v[4:5], v[80:81], v[178:179]
	v_fma_f64 v[4:5], v[78:79], v[182:183], -v[4:5]
	v_add_f64 v[2:3], v[2:3], v[4:5]
	v_mul_f64 v[4:5], v[84:85], v[204:205]
	v_fma_f64 v[4:5], v[82:83], v[206:207], -v[4:5]
	v_add_f64 v[2:3], v[2:3], v[4:5]
	v_mul_f64 v[4:5], v[88:89], v[186:187]
	v_fma_f64 v[4:5], v[86:87], v[190:191], -v[4:5]
	v_add_f64 v[2:3], v[2:3], v[4:5]
	v_mul_f64 v[4:5], v[92:93], v[210:211]
	v_fma_f64 v[4:5], v[90:91], v[216:217], -v[4:5]
	v_add_f64 v[2:3], v[2:3], v[4:5]
	v_mul_f64 v[4:5], v[96:97], v[208:209]
	v_fma_f64 v[4:5], v[94:95], v[214:215], -v[4:5]
	v_add_f64 v[2:3], v[2:3], v[4:5]
	v_mul_f64 v[4:5], v[100:101], v[212:213]
	v_fma_f64 v[4:5], v[98:99], v[218:219], -v[4:5]
	v_add_f64 v[2:3], v[2:3], v[4:5]
	v_mul_f64 v[4:5], v[108:109], v[222:223]
	v_fma_f64 v[4:5], v[106:107], v[224:225], -v[4:5]
	v_add_f64 v[2:3], v[2:3], v[4:5]
	v_mul_f64 v[4:5], v[104:105], v[236:237]
	v_fma_f64 v[4:5], v[102:103], v[238:239], -v[4:5]
	v_add_f64 v[2:3], v[2:3], v[4:5]
	v_mul_f64 v[4:5], v[112:113], v[220:221]
	v_fma_f64 v[4:5], v[110:111], v[226:227], -v[4:5]
	v_add_f64 v[2:3], v[2:3], v[4:5]
	v_mul_f64 v[4:5], v[116:117], v[242:243]
	v_fma_f64 v[4:5], v[114:115], v[244:245], -v[4:5]
	v_add_f64 v[2:3], v[2:3], v[4:5]
	s_waitcnt vmcnt(2)
	v_add_f64 v[2:3], v[248:249], -v[2:3]
	s_waitcnt vmcnt(0)
	v_add_f64 v[4:5], v[246:247], -v[240:241]
	buffer_store_dword v3, off, s[0:3], 0 offset:372
	buffer_store_dword v2, off, s[0:3], 0 offset:368
	;; [unrolled: 1-line block ×4, first 2 shown]
	s_and_saveexec_b64 s[4:5], vcc
	s_cbranch_execz .LBB58_325
; %bb.324:
	v_accvgpr_read_b32 v0, a155
	buffer_load_dword v2, v0, s[0:3], 0 offen
	buffer_load_dword v3, v0, s[0:3], 0 offen offset:4
	buffer_load_dword v4, v0, s[0:3], 0 offen offset:8
	;; [unrolled: 1-line block ×3, first 2 shown]
	v_mov_b32_e32 v0, 0
	v_accvgpr_read_b32 v6, a177
	buffer_store_dword v0, off, s[0:3], 0 offset:352
	buffer_store_dword v0, off, s[0:3], 0 offset:356
	;; [unrolled: 1-line block ×4, first 2 shown]
	s_waitcnt vmcnt(4)
	ds_write_b128 v6, v[2:5]
.LBB58_325:
	s_or_b64 exec, exec, s[4:5]
	s_waitcnt lgkmcnt(0)
	; wave barrier
	s_waitcnt lgkmcnt(0)
	buffer_load_dword v66, off, s[0:3], 0 offset:368
	buffer_load_dword v67, off, s[0:3], 0 offset:372
	;; [unrolled: 1-line block ×55, first 2 shown]
	v_mov_b32_e32 v228, 0
	ds_read_b128 v[74:77], v228 offset:1296
	ds_read_b128 v[86:89], v228 offset:1312
	;; [unrolled: 1-line block ×9, first 2 shown]
	buffer_load_dword v138, off, s[0:3], 0 offset:592
	buffer_load_dword v157, off, s[0:3], 0 offset:588
	;; [unrolled: 1-line block ×61, first 2 shown]
	v_cmp_lt_u32_e32 vcc, 20, v1
	s_waitcnt vmcnt(62) lgkmcnt(8)
	v_mul_f64 v[6:7], v[74:75], v[68:69]
	v_fmac_f64_e32 v[6:7], v[76:77], v[66:67]
	v_add_f64 v[6:7], v[6:7], 0
	v_mul_f64 v[68:69], v[76:77], v[68:69]
	s_waitcnt lgkmcnt(7)
	v_mul_f64 v[8:9], v[86:87], v[72:73]
	v_fmac_f64_e32 v[8:9], v[88:89], v[70:71]
	s_waitcnt lgkmcnt(6)
	v_mul_f64 v[10:11], v[98:99], v[78:79]
	v_add_f64 v[6:7], v[6:7], v[8:9]
	s_waitcnt lgkmcnt(4)
	v_mul_f64 v[14:15], v[114:115], v[90:91]
	v_fma_f64 v[230:231], v[74:75], v[66:67], -v[68:69]
	v_fmac_f64_e32 v[14:15], v[116:117], v[92:93]
	v_mul_f64 v[72:73], v[88:89], v[72:73]
	v_mul_f64 v[12:13], v[110:111], v[82:83]
	;; [unrolled: 1-line block ×3, first 2 shown]
	s_waitcnt lgkmcnt(2)
	v_mul_f64 v[18:19], v[244:245], v[102:103]
	v_mul_f64 v[82:83], v[112:113], v[82:83]
	;; [unrolled: 1-line block ×4, first 2 shown]
	v_fma_f64 v[252:253], v[114:115], v[92:93], -v[90:91]
	s_waitcnt lgkmcnt(1)
	v_mul_f64 v[20:21], v[248:249], v[106:107]
	v_fmac_f64_e32 v[20:21], v[250:251], v[108:109]
	v_fmac_f64_e32 v[10:11], v[100:101], v[80:81]
	v_add_f64 v[6:7], v[6:7], v[10:11]
	v_fmac_f64_e32 v[12:13], v[112:113], v[84:85]
	v_add_f64 v[6:7], v[6:7], v[12:13]
	;; [unrolled: 2-line block ×4, first 2 shown]
	v_add_f64 v[6:7], v[6:7], v[18:19]
	v_add_f64 v[10:11], v[6:7], v[20:21]
	ds_read_b128 v[6:9], v228 offset:1440
	s_waitcnt lgkmcnt(1)
	v_mul_f64 v[12:13], v[2:3], v[120:121]
	v_fmac_f64_e32 v[12:13], v[4:5], v[122:123]
	v_add_f64 v[14:15], v[10:11], v[12:13]
	ds_read_b128 v[10:13], v228 offset:1456
	s_waitcnt lgkmcnt(1)
	v_mul_f64 v[16:17], v[6:7], v[128:129]
	v_fmac_f64_e32 v[16:17], v[8:9], v[130:131]
	;; [unrolled: 5-line block ×5, first 2 shown]
	v_add_f64 v[30:31], v[26:27], v[28:29]
	ds_read_b128 v[26:29], v228 offset:1520
	s_waitcnt vmcnt(58) lgkmcnt(1)
	v_mul_f64 v[32:33], v[22:23], v[156:157]
	s_waitcnt vmcnt(56)
	v_fmac_f64_e32 v[32:33], v[24:25], v[160:161]
	v_add_f64 v[34:35], v[30:31], v[32:33]
	ds_read_b128 v[30:33], v228 offset:1536
	s_waitcnt lgkmcnt(1)
	v_mul_f64 v[36:37], v[26:27], v[136:137]
	v_fmac_f64_e32 v[36:37], v[28:29], v[138:139]
	v_add_f64 v[38:39], v[34:35], v[36:37]
	ds_read_b128 v[34:37], v228 offset:1552
	s_waitcnt vmcnt(50) lgkmcnt(1)
	v_mul_f64 v[40:41], v[30:31], v[164:165]
	s_waitcnt vmcnt(48)
	v_fmac_f64_e32 v[40:41], v[32:33], v[168:169]
	v_add_f64 v[42:43], v[38:39], v[40:41]
	ds_read_b128 v[38:41], v228 offset:1568
	s_waitcnt lgkmcnt(1)
	v_mul_f64 v[44:45], v[34:35], v[144:145]
	v_fmac_f64_e32 v[44:45], v[36:37], v[146:147]
	v_add_f64 v[46:47], v[42:43], v[44:45]
	ds_read_b128 v[42:45], v228 offset:1584
	s_waitcnt vmcnt(42) lgkmcnt(1)
	v_mul_f64 v[48:49], v[38:39], v[172:173]
	s_waitcnt vmcnt(40)
	v_fmac_f64_e32 v[48:49], v[40:41], v[176:177]
	v_add_f64 v[50:51], v[46:47], v[48:49]
	ds_read_b128 v[46:49], v228 offset:1600
	buffer_load_dword v205, off, s[0:3], 0 offset:844
	buffer_load_dword v204, off, s[0:3], 0 offset:840
	;; [unrolled: 1-line block ×4, first 2 shown]
	s_waitcnt lgkmcnt(1)
	v_mul_f64 v[52:53], v[42:43], v[148:149]
	v_fmac_f64_e32 v[52:53], v[44:45], v[150:151]
	v_add_f64 v[54:55], v[50:51], v[52:53]
	ds_read_b128 v[50:53], v228 offset:1616
	buffer_load_dword v209, off, s[0:3], 0 offset:860
	buffer_load_dword v208, off, s[0:3], 0 offset:856
	;; [unrolled: 1-line block ×8, first 2 shown]
	s_waitcnt vmcnt(46) lgkmcnt(1)
	v_mul_f64 v[56:57], v[46:47], v[180:181]
	s_waitcnt vmcnt(44)
	v_fmac_f64_e32 v[56:57], v[48:49], v[184:185]
	v_add_f64 v[58:59], v[54:55], v[56:57]
	ds_read_b128 v[54:57], v228 offset:1632
	buffer_load_dword v219, off, s[0:3], 0 offset:892
	buffer_load_dword v218, off, s[0:3], 0 offset:888
	;; [unrolled: 1-line block ×12, first 2 shown]
	s_waitcnt lgkmcnt(1)
	v_mul_f64 v[60:61], v[50:51], v[152:153]
	v_fmac_f64_e32 v[60:61], v[52:53], v[154:155]
	v_add_f64 v[62:63], v[58:59], v[60:61]
	ds_read_b128 v[58:61], v228 offset:1648
	s_waitcnt vmcnt(50) lgkmcnt(1)
	v_mul_f64 v[64:65], v[54:55], v[188:189]
	s_waitcnt vmcnt(48)
	v_fmac_f64_e32 v[64:65], v[56:57], v[190:191]
	v_add_f64 v[62:63], v[62:63], v[64:65]
	buffer_load_dword v237, off, s[0:3], 0 offset:940
	buffer_load_dword v236, off, s[0:3], 0 offset:936
	;; [unrolled: 1-line block ×4, first 2 shown]
	s_waitcnt lgkmcnt(0)
	v_mul_f64 v[64:65], v[58:59], v[158:159]
	v_fmac_f64_e32 v[64:65], v[60:61], v[162:163]
	v_add_f64 v[118:119], v[62:63], v[64:65]
	ds_read_b128 v[62:65], v228 offset:1664
	ds_read_b128 v[66:69], v228 offset:1680
	v_fma_f64 v[232:233], v[98:99], v[80:81], -v[78:79]
	ds_read_b128 v[78:81], v228 offset:1728
	v_fma_f64 v[234:235], v[110:111], v[84:85], -v[82:83]
	ds_read_b128 v[82:85], v228 offset:1744
	s_waitcnt vmcnt(46) lgkmcnt(3)
	v_mul_f64 v[74:75], v[62:63], v[192:193]
	s_waitcnt vmcnt(44)
	v_fmac_f64_e32 v[74:75], v[64:65], v[194:195]
	v_add_f64 v[74:75], v[118:119], v[74:75]
	v_fma_f64 v[118:119], v[86:87], v[70:71], -v[72:73]
	ds_read_b128 v[70:73], v228 offset:1696
	s_waitcnt lgkmcnt(3)
	v_mul_f64 v[76:77], v[66:67], v[166:167]
	v_fmac_f64_e32 v[76:77], v[68:69], v[170:171]
	v_add_f64 v[86:87], v[74:75], v[76:77]
	ds_read_b128 v[74:77], v228 offset:1712
	s_waitcnt vmcnt(38) lgkmcnt(1)
	v_mul_f64 v[88:89], v[70:71], v[196:197]
	s_waitcnt vmcnt(36)
	v_fmac_f64_e32 v[88:89], v[72:73], v[198:199]
	v_add_f64 v[86:87], v[86:87], v[88:89]
	ds_read_b128 v[90:93], v228 offset:1776
	s_waitcnt lgkmcnt(1)
	v_mul_f64 v[88:89], v[74:75], v[174:175]
	v_fmac_f64_e32 v[88:89], v[76:77], v[178:179]
	v_add_f64 v[86:87], v[86:87], v[88:89]
	s_waitcnt vmcnt(30)
	v_mul_f64 v[88:89], v[78:79], v[200:201]
	s_waitcnt vmcnt(28)
	v_fmac_f64_e32 v[88:89], v[80:81], v[202:203]
	v_add_f64 v[86:87], v[86:87], v[88:89]
	v_mul_f64 v[88:89], v[82:83], v[182:183]
	v_fmac_f64_e32 v[88:89], v[84:85], v[186:187]
	v_add_f64 v[98:99], v[86:87], v[88:89]
	ds_read_b128 v[86:89], v228 offset:1760
	v_mul_f64 v[94:95], v[242:243], v[94:95]
	v_fma_f64 v[254:255], v[240:241], v[96:97], -v[94:95]
	ds_read_b128 v[94:97], v228 offset:1792
	v_mul_f64 v[102:103], v[246:247], v[102:103]
	v_fma_f64 v[246:247], v[244:245], v[104:105], -v[102:103]
	ds_read_b128 v[102:105], v228 offset:1824
	v_mul_f64 v[106:107], v[250:251], v[106:107]
	v_fma_f64 v[250:251], v[248:249], v[108:109], -v[106:107]
	v_add_f64 v[230:231], v[230:231], 0
	v_add_f64 v[118:119], v[230:231], v[118:119]
	;; [unrolled: 1-line block ×7, first 2 shown]
	v_mul_f64 v[4:5], v[4:5], v[120:121]
	v_add_f64 v[118:119], v[252:253], v[250:251]
	v_fma_f64 v[2:3], v[2:3], v[122:123], -v[4:5]
	v_mul_f64 v[4:5], v[8:9], v[128:129]
	v_add_f64 v[2:3], v[118:119], v[2:3]
	v_fma_f64 v[4:5], v[6:7], v[130:131], -v[4:5]
	v_add_f64 v[2:3], v[2:3], v[4:5]
	ds_read_b128 v[106:109], v228 offset:1840
	v_mul_f64 v[4:5], v[12:13], v[124:125]
	v_fma_f64 v[4:5], v[10:11], v[126:127], -v[4:5]
	v_add_f64 v[2:3], v[2:3], v[4:5]
	s_waitcnt vmcnt(26) lgkmcnt(3)
	v_mul_f64 v[100:101], v[86:87], v[204:205]
	v_mul_f64 v[4:5], v[16:17], v[140:141]
	s_waitcnt vmcnt(24)
	v_fmac_f64_e32 v[100:101], v[88:89], v[206:207]
	v_add_f64 v[98:99], v[98:99], v[100:101]
	s_waitcnt vmcnt(22)
	v_mul_f64 v[100:101], v[90:91], v[208:209]
	s_waitcnt vmcnt(20)
	v_fmac_f64_e32 v[100:101], v[92:93], v[212:213]
	v_add_f64 v[98:99], v[98:99], v[100:101]
	s_waitcnt vmcnt(18) lgkmcnt(2)
	v_mul_f64 v[100:101], v[94:95], v[210:211]
	s_waitcnt vmcnt(16)
	v_fmac_f64_e32 v[100:101], v[96:97], v[214:215]
	v_add_f64 v[110:111], v[98:99], v[100:101]
	ds_read_b128 v[98:101], v228 offset:1808
	v_fma_f64 v[4:5], v[14:15], v[142:143], -v[4:5]
	v_add_f64 v[2:3], v[2:3], v[4:5]
	v_mul_f64 v[4:5], v[20:21], v[132:133]
	v_fma_f64 v[4:5], v[18:19], v[134:135], -v[4:5]
	s_waitcnt vmcnt(14) lgkmcnt(0)
	v_mul_f64 v[112:113], v[98:99], v[218:219]
	s_waitcnt vmcnt(12)
	v_fmac_f64_e32 v[112:113], v[100:101], v[220:221]
	v_add_f64 v[110:111], v[110:111], v[112:113]
	s_waitcnt vmcnt(9)
	v_mul_f64 v[112:113], v[102:103], v[224:225]
	s_waitcnt vmcnt(7)
	v_fmac_f64_e32 v[112:113], v[104:105], v[226:227]
	v_add_f64 v[110:111], v[110:111], v[112:113]
	s_waitcnt vmcnt(5)
	v_mul_f64 v[112:113], v[106:107], v[216:217]
	s_waitcnt vmcnt(4)
	v_fmac_f64_e32 v[112:113], v[108:109], v[222:223]
	v_add_f64 v[114:115], v[110:111], v[112:113]
	ds_read_b128 v[110:113], v228 offset:1856
	buffer_load_dword v242, off, s[0:3], 0 offset:952
	buffer_load_dword v243, off, s[0:3], 0 offset:956
	;; [unrolled: 1-line block ×4, first 2 shown]
	v_add_f64 v[2:3], v[2:3], v[4:5]
	v_mul_f64 v[4:5], v[24:25], v[156:157]
	v_fma_f64 v[4:5], v[22:23], v[160:161], -v[4:5]
	s_waitcnt vmcnt(6) lgkmcnt(0)
	v_mul_f64 v[116:117], v[110:111], v[236:237]
	s_waitcnt vmcnt(4)
	v_fmac_f64_e32 v[116:117], v[112:113], v[238:239]
	v_add_f64 v[240:241], v[114:115], v[116:117]
	ds_read_b128 v[114:117], v228 offset:1872
	v_add_f64 v[2:3], v[2:3], v[4:5]
	v_mul_f64 v[4:5], v[28:29], v[136:137]
	v_fma_f64 v[4:5], v[26:27], v[138:139], -v[4:5]
	v_add_f64 v[2:3], v[2:3], v[4:5]
	v_mul_f64 v[4:5], v[32:33], v[164:165]
	v_fma_f64 v[4:5], v[30:31], v[168:169], -v[4:5]
	;; [unrolled: 3-line block ×22, first 2 shown]
	v_add_f64 v[2:3], v[2:3], v[4:5]
	s_waitcnt vmcnt(2) lgkmcnt(0)
	v_mul_f64 v[248:249], v[114:115], v[242:243]
	v_mul_f64 v[4:5], v[116:117], v[242:243]
	s_waitcnt vmcnt(0)
	v_fmac_f64_e32 v[248:249], v[116:117], v[244:245]
	v_add_f64 v[240:241], v[240:241], v[248:249]
	buffer_load_dword v248, off, s[0:3], 0 offset:352
	buffer_load_dword v249, off, s[0:3], 0 offset:356
	buffer_load_dword v246, off, s[0:3], 0 offset:360
	buffer_load_dword v247, off, s[0:3], 0 offset:364
	v_fma_f64 v[4:5], v[114:115], v[244:245], -v[4:5]
	v_add_f64 v[2:3], v[2:3], v[4:5]
	s_waitcnt vmcnt(2)
	v_add_f64 v[2:3], v[248:249], -v[2:3]
	s_waitcnt vmcnt(0)
	v_add_f64 v[4:5], v[246:247], -v[240:241]
	buffer_store_dword v3, off, s[0:3], 0 offset:356
	buffer_store_dword v2, off, s[0:3], 0 offset:352
	buffer_store_dword v5, off, s[0:3], 0 offset:364
	buffer_store_dword v4, off, s[0:3], 0 offset:360
	s_and_saveexec_b64 s[4:5], vcc
	s_cbranch_execz .LBB58_327
; %bb.326:
	v_accvgpr_read_b32 v0, a156
	buffer_load_dword v2, v0, s[0:3], 0 offen
	buffer_load_dword v3, v0, s[0:3], 0 offen offset:4
	buffer_load_dword v4, v0, s[0:3], 0 offen offset:8
	;; [unrolled: 1-line block ×3, first 2 shown]
	v_accvgpr_read_b32 v0, a177
	buffer_store_dword v228, off, s[0:3], 0 offset:336
	buffer_store_dword v228, off, s[0:3], 0 offset:340
	;; [unrolled: 1-line block ×4, first 2 shown]
	s_waitcnt vmcnt(4)
	ds_write_b128 v0, v[2:5]
.LBB58_327:
	s_or_b64 exec, exec, s[4:5]
	s_waitcnt lgkmcnt(0)
	; wave barrier
	s_waitcnt lgkmcnt(0)
	buffer_load_dword v66, off, s[0:3], 0 offset:352
	buffer_load_dword v67, off, s[0:3], 0 offset:356
	buffer_load_dword v68, off, s[0:3], 0 offset:360
	buffer_load_dword v69, off, s[0:3], 0 offset:364
	buffer_load_dword v62, off, s[0:3], 0 offset:368
	buffer_load_dword v63, off, s[0:3], 0 offset:372
	buffer_load_dword v64, off, s[0:3], 0 offset:376
	buffer_load_dword v65, off, s[0:3], 0 offset:380
	buffer_load_dword v70, off, s[0:3], 0 offset:392
	buffer_load_dword v71, off, s[0:3], 0 offset:396
	buffer_load_dword v83, off, s[0:3], 0 offset:428
	buffer_load_dword v82, off, s[0:3], 0 offset:424
	buffer_load_dword v85, off, s[0:3], 0 offset:420
	buffer_load_dword v84, off, s[0:3], 0 offset:416
	buffer_load_dword v75, off, s[0:3], 0 offset:412
	buffer_load_dword v74, off, s[0:3], 0 offset:408
	buffer_load_dword v95, off, s[0:3], 0 offset:460
	buffer_load_dword v94, off, s[0:3], 0 offset:456
	buffer_load_dword v97, off, s[0:3], 0 offset:452
	buffer_load_dword v96, off, s[0:3], 0 offset:448
	buffer_load_dword v87, off, s[0:3], 0 offset:444
	buffer_load_dword v86, off, s[0:3], 0 offset:440
	buffer_load_dword v107, off, s[0:3], 0 offset:492
	buffer_load_dword v106, off, s[0:3], 0 offset:488
	buffer_load_dword v108, off, s[0:3], 0 offset:480
	buffer_load_dword v99, off, s[0:3], 0 offset:476
	buffer_load_dword v98, off, s[0:3], 0 offset:472
	buffer_load_dword v121, off, s[0:3], 0 offset:508
	buffer_load_dword v120, off, s[0:3], 0 offset:504
	buffer_load_dword v72, off, s[0:3], 0 offset:384
	buffer_load_dword v73, off, s[0:3], 0 offset:388
	buffer_load_dword v77, off, s[0:3], 0 offset:404
	buffer_load_dword v76, off, s[0:3], 0 offset:400
	buffer_load_dword v89, off, s[0:3], 0 offset:436
	buffer_load_dword v88, off, s[0:3], 0 offset:432
	buffer_load_dword v101, off, s[0:3], 0 offset:468
	buffer_load_dword v100, off, s[0:3], 0 offset:464
	buffer_load_dword v109, off, s[0:3], 0 offset:484
	buffer_load_dword v122, off, s[0:3], 0 offset:520
	buffer_load_dword v124, off, s[0:3], 0 offset:512
	buffer_load_dword v125, off, s[0:3], 0 offset:516
	buffer_load_dword v123, off, s[0:3], 0 offset:524
	ds_read_b128 v[78:81], v228 offset:1280
	ds_read_b128 v[90:93], v228 offset:1296
	;; [unrolled: 1-line block ×10, first 2 shown]
	buffer_load_dword v131, off, s[0:3], 0 offset:500
	buffer_load_dword v130, off, s[0:3], 0 offset:496
	ds_read_b128 v[6:9], v228 offset:1440
	buffer_load_dword v127, off, s[0:3], 0 offset:556
	buffer_load_dword v126, off, s[0:3], 0 offset:552
	;; [unrolled: 1-line block ×80, first 2 shown]
	s_waitcnt vmcnt(62) lgkmcnt(10)
	v_mul_f64 v[10:11], v[78:79], v[68:69]
	v_fmac_f64_e32 v[10:11], v[80:81], v[66:67]
	v_add_f64 v[10:11], v[10:11], 0
	v_mul_f64 v[68:69], v[80:81], v[68:69]
	s_waitcnt lgkmcnt(9)
	v_mul_f64 v[12:13], v[90:91], v[64:65]
	v_fmac_f64_e32 v[12:13], v[92:93], v[62:63]
	s_waitcnt lgkmcnt(8)
	v_mul_f64 v[14:15], v[102:103], v[70:71]
	v_add_f64 v[10:11], v[10:11], v[12:13]
	s_waitcnt lgkmcnt(6)
	v_mul_f64 v[18:19], v[114:115], v[82:83]
	v_mul_f64 v[64:65], v[92:93], v[64:65]
	v_fmac_f64_e32 v[18:19], v[116:117], v[84:85]
	v_fma_f64 v[232:233], v[90:91], v[62:63], -v[64:65]
	v_mul_f64 v[16:17], v[110:111], v[74:75]
	v_fma_f64 v[230:231], v[78:79], v[66:67], -v[68:69]
	s_waitcnt lgkmcnt(4)
	v_mul_f64 v[22:23], v[244:245], v[94:95]
	v_mul_f64 v[70:71], v[104:105], v[70:71]
	v_fmac_f64_e32 v[22:23], v[246:247], v[96:97]
	v_mul_f64 v[74:75], v[112:113], v[74:75]
	v_mul_f64 v[20:21], v[240:241], v[86:87]
	;; [unrolled: 1-line block ×3, first 2 shown]
	s_waitcnt lgkmcnt(2)
	v_mul_f64 v[26:27], v[252:253], v[106:107]
	v_fma_f64 v[0:1], v[114:115], v[84:85], -v[82:83]
	v_mul_f64 v[86:87], v[242:243], v[86:87]
	v_mul_f64 v[24:25], v[248:249], v[98:99]
	;; [unrolled: 1-line block ×3, first 2 shown]
	s_waitcnt lgkmcnt(1)
	v_mul_f64 v[28:29], v[2:3], v[120:121]
	v_fma_f64 v[246:247], v[244:245], v[96:97], -v[94:95]
	v_fmac_f64_e32 v[14:15], v[104:105], v[72:73]
	v_add_f64 v[10:11], v[10:11], v[14:15]
	v_fmac_f64_e32 v[16:17], v[112:113], v[76:77]
	v_add_f64 v[10:11], v[10:11], v[16:17]
	;; [unrolled: 2-line block ×3, first 2 shown]
	v_add_f64 v[10:11], v[10:11], v[20:21]
	v_fmac_f64_e32 v[24:25], v[250:251], v[100:101]
	v_add_f64 v[10:11], v[10:11], v[22:23]
	v_fmac_f64_e32 v[26:27], v[254:255], v[108:109]
	v_add_f64 v[10:11], v[10:11], v[24:25]
	v_add_f64 v[10:11], v[10:11], v[26:27]
	s_waitcnt lgkmcnt(0)
	v_mul_f64 v[16:17], v[6:7], v[122:123]
	v_fmac_f64_e32 v[28:29], v[4:5], v[130:131]
	v_add_f64 v[14:15], v[10:11], v[28:29]
	ds_read_b128 v[10:13], v228 offset:1456
	v_fmac_f64_e32 v[16:17], v[8:9], v[124:125]
	v_add_f64 v[18:19], v[14:15], v[16:17]
	ds_read_b128 v[14:17], v228 offset:1472
	v_fma_f64 v[234:235], v[110:111], v[76:77], -v[74:75]
	s_waitcnt lgkmcnt(1)
	v_mul_f64 v[20:21], v[10:11], v[132:133]
	v_fmac_f64_e32 v[20:21], v[12:13], v[148:149]
	v_add_f64 v[22:23], v[18:19], v[20:21]
	ds_read_b128 v[18:21], v228 offset:1488
	s_waitcnt lgkmcnt(1)
	v_mul_f64 v[24:25], v[14:15], v[126:127]
	v_fmac_f64_e32 v[24:25], v[16:17], v[128:129]
	v_add_f64 v[26:27], v[22:23], v[24:25]
	ds_read_b128 v[22:25], v228 offset:1504
	;; [unrolled: 5-line block ×4, first 2 shown]
	s_waitcnt vmcnt(58) lgkmcnt(1)
	v_mul_f64 v[36:37], v[26:27], v[160:161]
	s_waitcnt vmcnt(56)
	v_fmac_f64_e32 v[36:37], v[28:29], v[164:165]
	v_add_f64 v[38:39], v[34:35], v[36:37]
	ds_read_b128 v[34:37], v228 offset:1552
	s_waitcnt lgkmcnt(1)
	v_mul_f64 v[40:41], v[30:31], v[138:139]
	v_fmac_f64_e32 v[40:41], v[32:33], v[140:141]
	v_add_f64 v[42:43], v[38:39], v[40:41]
	ds_read_b128 v[38:41], v228 offset:1568
	s_waitcnt vmcnt(50) lgkmcnt(1)
	v_mul_f64 v[44:45], v[34:35], v[168:169]
	s_waitcnt vmcnt(48)
	v_fmac_f64_e32 v[44:45], v[36:37], v[172:173]
	v_add_f64 v[46:47], v[42:43], v[44:45]
	ds_read_b128 v[42:45], v228 offset:1584
	s_waitcnt lgkmcnt(1)
	v_mul_f64 v[48:49], v[38:39], v[142:143]
	v_fmac_f64_e32 v[48:49], v[40:41], v[144:145]
	v_add_f64 v[50:51], v[46:47], v[48:49]
	ds_read_b128 v[46:49], v228 offset:1600
	s_waitcnt vmcnt(42) lgkmcnt(1)
	v_mul_f64 v[52:53], v[42:43], v[176:177]
	s_waitcnt vmcnt(40)
	v_fmac_f64_e32 v[52:53], v[44:45], v[180:181]
	v_add_f64 v[54:55], v[50:51], v[52:53]
	ds_read_b128 v[50:53], v228 offset:1616
	s_waitcnt lgkmcnt(1)
	v_mul_f64 v[56:57], v[46:47], v[146:147]
	buffer_load_dword v209, off, s[0:3], 0 offset:860
	buffer_load_dword v208, off, s[0:3], 0 offset:856
	;; [unrolled: 1-line block ×4, first 2 shown]
	v_fmac_f64_e32 v[56:57], v[48:49], v[150:151]
	v_add_f64 v[58:59], v[54:55], v[56:57]
	ds_read_b128 v[54:57], v228 offset:1632
	buffer_load_dword v214, off, s[0:3], 0 offset:872
	buffer_load_dword v216, off, s[0:3], 0 offset:864
	;; [unrolled: 1-line block ×16, first 2 shown]
	s_waitcnt vmcnt(54) lgkmcnt(1)
	v_mul_f64 v[60:61], v[50:51], v[184:185]
	s_waitcnt vmcnt(52)
	v_fmac_f64_e32 v[60:61], v[52:53], v[188:189]
	v_add_f64 v[118:119], v[58:59], v[60:61]
	ds_read_b128 v[58:61], v228 offset:1648
	buffer_load_dword v236, off, s[0:3], 0 offset:936
	buffer_load_dword v238, off, s[0:3], 0 offset:928
	;; [unrolled: 1-line block ×4, first 2 shown]
	ds_read_b128 v[62:65], v228 offset:1664
	s_waitcnt lgkmcnt(2)
	v_mul_f64 v[66:67], v[54:55], v[154:155]
	v_fmac_f64_e32 v[66:67], v[56:57], v[158:159]
	s_waitcnt vmcnt(50) lgkmcnt(1)
	v_mul_f64 v[68:69], v[58:59], v[192:193]
	v_add_f64 v[66:67], v[118:119], v[66:67]
	s_waitcnt vmcnt(48)
	v_fmac_f64_e32 v[68:69], v[60:61], v[194:195]
	v_add_f64 v[66:67], v[66:67], v[68:69]
	v_fma_f64 v[118:119], v[102:103], v[72:73], -v[70:71]
	ds_read_b128 v[70:73], v228 offset:1696
	s_waitcnt lgkmcnt(1)
	v_mul_f64 v[68:69], v[62:63], v[162:163]
	v_fmac_f64_e32 v[68:69], v[64:65], v[166:167]
	v_add_f64 v[78:79], v[66:67], v[68:69]
	ds_read_b128 v[66:69], v228 offset:1680
	ds_read_b128 v[74:77], v228 offset:1712
	;; [unrolled: 1-line block ×3, first 2 shown]
	v_fma_f64 v[240:241], v[240:241], v[88:89], -v[86:87]
	ds_read_b128 v[86:89], v228 offset:1760
	ds_read_b128 v[94:97], v228 offset:1792
	s_waitcnt vmcnt(42) lgkmcnt(4)
	v_mul_f64 v[80:81], v[66:67], v[196:197]
	s_waitcnt vmcnt(40)
	v_fmac_f64_e32 v[80:81], v[68:69], v[198:199]
	v_add_f64 v[78:79], v[78:79], v[80:81]
	v_mul_f64 v[80:81], v[70:71], v[170:171]
	v_fmac_f64_e32 v[80:81], v[72:73], v[174:175]
	v_add_f64 v[90:91], v[78:79], v[80:81]
	ds_read_b128 v[78:81], v228 offset:1728
	s_waitcnt vmcnt(34) lgkmcnt(4)
	v_mul_f64 v[92:93], v[74:75], v[200:201]
	s_waitcnt vmcnt(32)
	v_fmac_f64_e32 v[92:93], v[76:77], v[202:203]
	v_add_f64 v[90:91], v[90:91], v[92:93]
	v_mul_f64 v[98:99], v[250:251], v[98:99]
	s_waitcnt lgkmcnt(0)
	v_mul_f64 v[92:93], v[78:79], v[178:179]
	v_fmac_f64_e32 v[92:93], v[80:81], v[182:183]
	v_add_f64 v[90:91], v[90:91], v[92:93]
	s_waitcnt vmcnt(26)
	v_mul_f64 v[92:93], v[82:83], v[204:205]
	s_waitcnt vmcnt(24)
	v_fmac_f64_e32 v[92:93], v[84:85], v[206:207]
	v_add_f64 v[90:91], v[90:91], v[92:93]
	v_mul_f64 v[92:93], v[86:87], v[186:187]
	v_fmac_f64_e32 v[92:93], v[88:89], v[190:191]
	v_add_f64 v[102:103], v[90:91], v[92:93]
	ds_read_b128 v[90:93], v228 offset:1776
	v_fma_f64 v[250:251], v[248:249], v[100:101], -v[98:99]
	ds_read_b128 v[98:101], v228 offset:1808
	v_mul_f64 v[106:107], v[254:255], v[106:107]
	v_fma_f64 v[252:253], v[252:253], v[108:109], -v[106:107]
	v_add_f64 v[230:231], v[230:231], 0
	v_add_f64 v[230:231], v[230:231], v[232:233]
	v_add_f64 v[118:119], v[230:231], v[118:119]
	v_add_f64 v[118:119], v[118:119], v[234:235]
	v_add_f64 v[0:1], v[118:119], v[0:1]
	v_add_f64 v[0:1], v[0:1], v[240:241]
	v_add_f64 v[254:255], v[0:1], v[246:247]
	v_add_f64 v[0:1], v[254:255], v[250:251]
	v_mul_f64 v[4:5], v[4:5], v[120:121]
	v_add_f64 v[0:1], v[0:1], v[252:253]
	v_fma_f64 v[2:3], v[2:3], v[130:131], -v[4:5]
	v_add_f64 v[0:1], v[0:1], v[2:3]
	v_mul_f64 v[2:3], v[8:9], v[122:123]
	v_fma_f64 v[2:3], v[6:7], v[124:125], -v[2:3]
	v_add_f64 v[0:1], v[0:1], v[2:3]
	v_mul_f64 v[2:3], v[12:13], v[132:133]
	v_fma_f64 v[2:3], v[10:11], v[148:149], -v[2:3]
	ds_read_b128 v[106:109], v228 offset:1840
	v_add_f64 v[0:1], v[0:1], v[2:3]
	v_mul_f64 v[2:3], v[16:17], v[126:127]
	v_fma_f64 v[2:3], v[14:15], v[128:129], -v[2:3]
	v_add_f64 v[0:1], v[0:1], v[2:3]
	s_waitcnt vmcnt(13) lgkmcnt(1)
	v_mul_f64 v[112:113], v[98:99], v[218:219]
	v_mul_f64 v[2:3], v[20:21], v[152:153]
	;; [unrolled: 1-line block ×3, first 2 shown]
	s_waitcnt vmcnt(11)
	v_fmac_f64_e32 v[112:113], v[100:101], v[224:225]
	v_fmac_f64_e32 v[104:105], v[92:93], v[210:211]
	v_add_f64 v[102:103], v[102:103], v[104:105]
	v_fma_f64 v[2:3], v[18:19], v[156:157], -v[2:3]
	v_mul_f64 v[104:105], v[94:95], v[214:215]
	v_fmac_f64_e32 v[104:105], v[96:97], v[216:217]
	v_add_f64 v[110:111], v[102:103], v[104:105]
	ds_read_b128 v[102:105], v228 offset:1824
	v_add_f64 v[110:111], v[110:111], v[112:113]
	v_add_f64 v[0:1], v[0:1], v[2:3]
	v_mul_f64 v[2:3], v[24:25], v[134:135]
	v_fma_f64 v[2:3], v[22:23], v[136:137], -v[2:3]
	s_waitcnt vmcnt(10) lgkmcnt(0)
	v_mul_f64 v[112:113], v[102:103], v[212:213]
	s_waitcnt vmcnt(8)
	v_fmac_f64_e32 v[112:113], v[104:105], v[222:223]
	v_add_f64 v[110:111], v[110:111], v[112:113]
	s_waitcnt vmcnt(6)
	v_mul_f64 v[112:113], v[106:107], v[220:221]
	s_waitcnt vmcnt(4)
	v_fmac_f64_e32 v[112:113], v[108:109], v[226:227]
	v_add_f64 v[114:115], v[110:111], v[112:113]
	ds_read_b128 v[110:113], v228 offset:1856
	buffer_load_dword v243, off, s[0:3], 0 offset:956
	buffer_load_dword v242, off, s[0:3], 0 offset:952
	;; [unrolled: 1-line block ×4, first 2 shown]
	v_add_f64 v[0:1], v[0:1], v[2:3]
	v_mul_f64 v[2:3], v[28:29], v[160:161]
	v_fma_f64 v[2:3], v[26:27], v[164:165], -v[2:3]
	s_waitcnt vmcnt(5) lgkmcnt(0)
	v_mul_f64 v[116:117], v[110:111], v[236:237]
	s_waitcnt vmcnt(4)
	v_fmac_f64_e32 v[116:117], v[112:113], v[238:239]
	v_add_f64 v[248:249], v[114:115], v[116:117]
	ds_read_b128 v[114:117], v228 offset:1872
	v_add_f64 v[0:1], v[0:1], v[2:3]
	v_mul_f64 v[2:3], v[32:33], v[138:139]
	v_fma_f64 v[2:3], v[30:31], v[140:141], -v[2:3]
	v_add_f64 v[0:1], v[0:1], v[2:3]
	v_mul_f64 v[2:3], v[36:37], v[168:169]
	v_fma_f64 v[2:3], v[34:35], v[172:173], -v[2:3]
	;; [unrolled: 3-line block ×21, first 2 shown]
	v_add_f64 v[0:1], v[0:1], v[2:3]
	s_waitcnt vmcnt(2) lgkmcnt(0)
	v_mul_f64 v[228:229], v[114:115], v[242:243]
	v_mul_f64 v[2:3], v[116:117], v[242:243]
	s_waitcnt vmcnt(0)
	v_fmac_f64_e32 v[228:229], v[116:117], v[244:245]
	v_add_f64 v[228:229], v[248:249], v[228:229]
	buffer_load_dword v248, off, s[0:3], 0 offset:336
	buffer_load_dword v249, off, s[0:3], 0 offset:340
	;; [unrolled: 1-line block ×4, first 2 shown]
	v_fma_f64 v[2:3], v[114:115], v[244:245], -v[2:3]
	v_add_f64 v[0:1], v[0:1], v[2:3]
	s_waitcnt vmcnt(2)
	v_add_f64 v[0:1], v[248:249], -v[0:1]
	s_waitcnt vmcnt(0)
	v_add_f64 v[2:3], v[246:247], -v[228:229]
	v_accvgpr_read_b32 v229, a176
	v_cmp_lt_u32_e32 vcc, 19, v229
	buffer_store_dword v1, off, s[0:3], 0 offset:340
	buffer_store_dword v0, off, s[0:3], 0 offset:336
	;; [unrolled: 1-line block ×4, first 2 shown]
	s_and_saveexec_b64 s[4:5], vcc
	s_cbranch_execz .LBB58_329
; %bb.328:
	v_accvgpr_read_b32 v0, a157
	buffer_load_dword v2, v0, s[0:3], 0 offen
	buffer_load_dword v3, v0, s[0:3], 0 offen offset:4
	buffer_load_dword v4, v0, s[0:3], 0 offen offset:8
	;; [unrolled: 1-line block ×3, first 2 shown]
	v_mov_b32_e32 v0, 0
	v_accvgpr_read_b32 v1, a177
	buffer_store_dword v0, off, s[0:3], 0 offset:320
	buffer_store_dword v0, off, s[0:3], 0 offset:324
	;; [unrolled: 1-line block ×4, first 2 shown]
	s_waitcnt vmcnt(4)
	ds_write_b128 v1, v[2:5]
.LBB58_329:
	s_or_b64 exec, exec, s[4:5]
	s_waitcnt lgkmcnt(0)
	; wave barrier
	s_waitcnt lgkmcnt(0)
	buffer_load_dword v54, off, s[0:3], 0 offset:336
	buffer_load_dword v55, off, s[0:3], 0 offset:340
	buffer_load_dword v56, off, s[0:3], 0 offset:344
	buffer_load_dword v57, off, s[0:3], 0 offset:348
	buffer_load_dword v58, off, s[0:3], 0 offset:352
	buffer_load_dword v59, off, s[0:3], 0 offset:356
	buffer_load_dword v60, off, s[0:3], 0 offset:360
	buffer_load_dword v61, off, s[0:3], 0 offset:364
	buffer_load_dword v66, off, s[0:3], 0 offset:376
	buffer_load_dword v67, off, s[0:3], 0 offset:380
	buffer_load_dword v79, off, s[0:3], 0 offset:412
	buffer_load_dword v78, off, s[0:3], 0 offset:408
	buffer_load_dword v81, off, s[0:3], 0 offset:404
	buffer_load_dword v80, off, s[0:3], 0 offset:400
	buffer_load_dword v71, off, s[0:3], 0 offset:396
	buffer_load_dword v70, off, s[0:3], 0 offset:392
	buffer_load_dword v91, off, s[0:3], 0 offset:444
	buffer_load_dword v90, off, s[0:3], 0 offset:440
	buffer_load_dword v93, off, s[0:3], 0 offset:436
	buffer_load_dword v92, off, s[0:3], 0 offset:432
	buffer_load_dword v83, off, s[0:3], 0 offset:428
	buffer_load_dword v82, off, s[0:3], 0 offset:424
	buffer_load_dword v103, off, s[0:3], 0 offset:476
	buffer_load_dword v102, off, s[0:3], 0 offset:472
	buffer_load_dword v104, off, s[0:3], 0 offset:464
	buffer_load_dword v95, off, s[0:3], 0 offset:460
	buffer_load_dword v94, off, s[0:3], 0 offset:456
	buffer_load_dword v107, off, s[0:3], 0 offset:492
	buffer_load_dword v106, off, s[0:3], 0 offset:488
	buffer_load_dword v68, off, s[0:3], 0 offset:368
	buffer_load_dword v69, off, s[0:3], 0 offset:372
	buffer_load_dword v73, off, s[0:3], 0 offset:388
	buffer_load_dword v72, off, s[0:3], 0 offset:384
	buffer_load_dword v85, off, s[0:3], 0 offset:420
	buffer_load_dword v84, off, s[0:3], 0 offset:416
	buffer_load_dword v97, off, s[0:3], 0 offset:452
	buffer_load_dword v96, off, s[0:3], 0 offset:448
	buffer_load_dword v105, off, s[0:3], 0 offset:468
	buffer_load_dword v4, off, s[0:3], 0 offset:504
	buffer_load_dword v0, off, s[0:3], 0 offset:496
	buffer_load_dword v1, off, s[0:3], 0 offset:500
	buffer_load_dword v5, off, s[0:3], 0 offset:508
	buffer_load_dword v109, off, s[0:3], 0 offset:484
	buffer_load_dword v108, off, s[0:3], 0 offset:480
	buffer_load_dword v125, off, s[0:3], 0 offset:540
	buffer_load_dword v124, off, s[0:3], 0 offset:536
	buffer_load_dword v127, off, s[0:3], 0 offset:532
	buffer_load_dword v126, off, s[0:3], 0 offset:528
	buffer_load_dword v129, off, s[0:3], 0 offset:524
	v_mov_b32_e32 v228, 0
	ds_read_b128 v[62:65], v228 offset:1264
	ds_read_b128 v[74:77], v228 offset:1280
	;; [unrolled: 1-line block ×11, first 2 shown]
	buffer_load_dword v128, off, s[0:3], 0 offset:520
	buffer_load_dword v145, off, s[0:3], 0 offset:516
	;; [unrolled: 1-line block ×75, first 2 shown]
	v_cmp_lt_u32_e32 vcc, 18, v229
	s_waitcnt vmcnt(62) lgkmcnt(9)
	v_mul_f64 v[6:7], v[74:75], v[60:61]
	v_fmac_f64_e32 v[6:7], v[76:77], v[58:59]
	s_waitcnt lgkmcnt(8)
	v_mul_f64 v[8:9], v[86:87], v[66:67]
	v_mul_f64 v[60:61], v[76:77], v[60:61]
	s_waitcnt lgkmcnt(6)
	v_mul_f64 v[12:13], v[110:111], v[78:79]
	v_fma_f64 v[230:231], v[74:75], v[58:59], -v[60:61]
	v_fmac_f64_e32 v[12:13], v[112:113], v[80:81]
	v_mul_f64 v[66:67], v[88:89], v[66:67]
	v_mul_f64 v[10:11], v[98:99], v[70:71]
	;; [unrolled: 1-line block ×3, first 2 shown]
	s_waitcnt lgkmcnt(4)
	v_mul_f64 v[16:17], v[236:237], v[90:91]
	v_mul_f64 v[78:79], v[112:113], v[78:79]
	v_fmac_f64_e32 v[16:17], v[238:239], v[92:93]
	v_fma_f64 v[252:253], v[110:111], v[80:81], -v[78:79]
	v_mul_f64 v[14:15], v[114:115], v[82:83]
	v_mul_f64 v[82:83], v[116:117], v[82:83]
	s_waitcnt lgkmcnt(2)
	v_mul_f64 v[20:21], v[244:245], v[102:103]
	v_mul_f64 v[90:91], v[238:239], v[90:91]
	;; [unrolled: 1-line block ×5, first 2 shown]
	s_waitcnt lgkmcnt(1)
	v_mul_f64 v[22:23], v[248:249], v[106:107]
	v_mul_f64 v[106:107], v[250:251], v[106:107]
	v_fmac_f64_e32 v[8:9], v[88:89], v[68:69]
	v_fma_f64 v[232:233], v[86:87], v[68:69], -v[66:67]
	v_fmac_f64_e32 v[10:11], v[100:101], v[72:73]
	v_fma_f64 v[234:235], v[98:99], v[72:73], -v[70:71]
	;; [unrolled: 2-line block ×3, first 2 shown]
	v_fmac_f64_e32 v[18:19], v[242:243], v[96:97]
	v_fmac_f64_e32 v[20:21], v[246:247], v[104:105]
	;; [unrolled: 1-line block ×3, first 2 shown]
	v_fma_f64 v[240:241], v[240:241], v[96:97], -v[94:95]
	v_pk_mov_b32 v[2:3], v[0:1], v[0:1] op_sel:[0,1]
	v_mul_f64 v[0:1], v[62:63], v[56:57]
	v_fmac_f64_e32 v[0:1], v[64:65], v[54:55]
	v_add_f64 v[0:1], v[0:1], 0
	v_add_f64 v[0:1], v[0:1], v[6:7]
	;; [unrolled: 1-line block ×9, first 2 shown]
	ds_read_b128 v[6:9], v228 offset:1440
	s_waitcnt lgkmcnt(1)
	v_mul_f64 v[10:11], v[120:121], v[4:5]
	v_add_f64 v[0:1], v[0:1], v[22:23]
	v_fmac_f64_e32 v[10:11], v[122:123], v[2:3]
	v_add_f64 v[0:1], v[0:1], v[10:11]
	ds_read_b128 v[10:13], v228 offset:1456
	s_waitcnt lgkmcnt(1)
	v_mul_f64 v[14:15], v[6:7], v[128:129]
	v_fmac_f64_e32 v[14:15], v[8:9], v[144:145]
	v_add_f64 v[0:1], v[0:1], v[14:15]
	ds_read_b128 v[14:17], v228 offset:1472
	s_waitcnt lgkmcnt(1)
	v_mul_f64 v[18:19], v[10:11], v[124:125]
	;; [unrolled: 5-line block ×4, first 2 shown]
	v_fmac_f64_e32 v[26:27], v[20:21], v[132:133]
	v_add_f64 v[0:1], v[0:1], v[26:27]
	ds_read_b128 v[26:29], v228 offset:1520
	s_waitcnt vmcnt(58) lgkmcnt(1)
	v_mul_f64 v[30:31], v[22:23], v[156:157]
	s_waitcnt vmcnt(56)
	v_fmac_f64_e32 v[30:31], v[24:25], v[160:161]
	v_add_f64 v[0:1], v[0:1], v[30:31]
	ds_read_b128 v[30:33], v228 offset:1536
	s_waitcnt lgkmcnt(1)
	v_mul_f64 v[34:35], v[26:27], v[134:135]
	v_fmac_f64_e32 v[34:35], v[28:29], v[136:137]
	v_add_f64 v[0:1], v[0:1], v[34:35]
	ds_read_b128 v[34:37], v228 offset:1552
	s_waitcnt vmcnt(50) lgkmcnt(1)
	v_mul_f64 v[38:39], v[30:31], v[164:165]
	s_waitcnt vmcnt(48)
	v_fmac_f64_e32 v[38:39], v[32:33], v[168:169]
	v_add_f64 v[0:1], v[0:1], v[38:39]
	ds_read_b128 v[38:41], v228 offset:1568
	s_waitcnt lgkmcnt(1)
	v_mul_f64 v[42:43], v[34:35], v[138:139]
	;; [unrolled: 11-line block ×3, first 2 shown]
	buffer_load_dword v205, off, s[0:3], 0 offset:844
	buffer_load_dword v204, off, s[0:3], 0 offset:840
	;; [unrolled: 1-line block ×4, first 2 shown]
	v_fmac_f64_e32 v[50:51], v[44:45], v[146:147]
	v_add_f64 v[0:1], v[0:1], v[50:51]
	ds_read_b128 v[50:53], v228 offset:1616
	buffer_load_dword v208, off, s[0:3], 0 offset:856
	buffer_load_dword v210, off, s[0:3], 0 offset:848
	;; [unrolled: 1-line block ×20, first 2 shown]
	s_waitcnt vmcnt(58) lgkmcnt(1)
	v_mul_f64 v[118:119], v[46:47], v[180:181]
	s_waitcnt vmcnt(56)
	v_fmac_f64_e32 v[118:119], v[48:49], v[184:185]
	v_mul_f64 v[56:57], v[64:65], v[56:57]
	v_add_f64 v[0:1], v[0:1], v[118:119]
	v_fma_f64 v[118:119], v[62:63], v[54:55], -v[56:57]
	ds_read_b128 v[54:57], v228 offset:1632
	ds_read_b128 v[58:61], v228 offset:1648
	s_waitcnt lgkmcnt(2)
	v_mul_f64 v[62:63], v[50:51], v[150:151]
	v_fmac_f64_e32 v[62:63], v[52:53], v[154:155]
	v_add_f64 v[0:1], v[0:1], v[62:63]
	s_waitcnt vmcnt(50) lgkmcnt(1)
	v_mul_f64 v[62:63], v[54:55], v[188:189]
	s_waitcnt vmcnt(48)
	v_fmac_f64_e32 v[62:63], v[56:57], v[190:191]
	v_add_f64 v[0:1], v[0:1], v[62:63]
	s_waitcnt lgkmcnt(0)
	v_mul_f64 v[62:63], v[58:59], v[158:159]
	v_fmac_f64_e32 v[62:63], v[60:61], v[162:163]
	v_add_f64 v[0:1], v[0:1], v[62:63]
	ds_read_b128 v[62:65], v228 offset:1664
	ds_read_b128 v[66:69], v228 offset:1680
	;; [unrolled: 1-line block ×5, first 2 shown]
	s_waitcnt vmcnt(42) lgkmcnt(4)
	v_mul_f64 v[74:75], v[62:63], v[192:193]
	s_waitcnt vmcnt(40)
	v_fmac_f64_e32 v[74:75], v[64:65], v[194:195]
	v_add_f64 v[0:1], v[0:1], v[74:75]
	s_waitcnt lgkmcnt(3)
	v_mul_f64 v[74:75], v[66:67], v[166:167]
	v_fmac_f64_e32 v[74:75], v[68:69], v[170:171]
	v_add_f64 v[0:1], v[0:1], v[74:75]
	ds_read_b128 v[74:77], v228 offset:1712
	s_waitcnt vmcnt(34) lgkmcnt(3)
	v_mul_f64 v[86:87], v[70:71], v[196:197]
	s_waitcnt vmcnt(32)
	v_fmac_f64_e32 v[86:87], v[72:73], v[198:199]
	v_add_f64 v[0:1], v[0:1], v[86:87]
	v_accvgpr_write_b32 a179, v3
	s_waitcnt lgkmcnt(0)
	v_mul_f64 v[86:87], v[74:75], v[174:175]
	v_fmac_f64_e32 v[86:87], v[76:77], v[178:179]
	v_add_f64 v[0:1], v[0:1], v[86:87]
	s_waitcnt vmcnt(26)
	v_mul_f64 v[86:87], v[78:79], v[200:201]
	s_waitcnt vmcnt(24)
	v_fmac_f64_e32 v[86:87], v[80:81], v[202:203]
	v_add_f64 v[0:1], v[0:1], v[86:87]
	v_mul_f64 v[86:87], v[82:83], v[182:183]
	v_fmac_f64_e32 v[86:87], v[84:85], v[186:187]
	v_add_f64 v[0:1], v[0:1], v[86:87]
	ds_read_b128 v[86:89], v228 offset:1760
	v_accvgpr_write_b32 a178, v2
	v_fma_f64 v[2:3], v[236:237], v[92:93], -v[90:91]
	ds_read_b128 v[90:93], v228 offset:1776
	ds_read_b128 v[94:97], v228 offset:1792
	v_fma_f64 v[246:247], v[244:245], v[104:105], -v[102:103]
	ds_read_b128 v[102:105], v228 offset:1824
	v_fma_f64 v[250:251], v[248:249], v[108:109], -v[106:107]
	ds_read_b128 v[106:109], v228 offset:1840
	v_add_f64 v[118:119], v[118:119], 0
	v_add_f64 v[118:119], v[118:119], v[230:231]
	;; [unrolled: 1-line block ×9, first 2 shown]
	v_accvgpr_read_b32 v118, a178
	v_mul_f64 v[4:5], v[122:123], v[4:5]
	v_accvgpr_read_b32 v119, a179
	v_add_f64 v[2:3], v[252:253], v[250:251]
	v_fma_f64 v[4:5], v[120:121], v[118:119], -v[4:5]
	v_add_f64 v[2:3], v[2:3], v[4:5]
	v_mul_f64 v[4:5], v[8:9], v[128:129]
	v_fma_f64 v[4:5], v[6:7], v[144:145], -v[4:5]
	v_add_f64 v[2:3], v[2:3], v[4:5]
	v_mul_f64 v[4:5], v[12:13], v[124:125]
	v_fma_f64 v[4:5], v[10:11], v[126:127], -v[4:5]
	v_add_f64 v[2:3], v[2:3], v[4:5]
	s_waitcnt vmcnt(22) lgkmcnt(4)
	v_mul_f64 v[98:99], v[86:87], v[204:205]
	v_mul_f64 v[4:5], v[16:17], v[148:149]
	s_waitcnt vmcnt(20)
	v_fmac_f64_e32 v[98:99], v[88:89], v[206:207]
	v_add_f64 v[0:1], v[0:1], v[98:99]
	v_fma_f64 v[4:5], v[14:15], v[152:153], -v[4:5]
	s_waitcnt vmcnt(17) lgkmcnt(3)
	v_mul_f64 v[98:99], v[90:91], v[208:209]
	s_waitcnt vmcnt(16)
	v_fmac_f64_e32 v[98:99], v[92:93], v[210:211]
	v_add_f64 v[0:1], v[0:1], v[98:99]
	ds_read_b128 v[98:101], v228 offset:1808
	s_waitcnt vmcnt(14) lgkmcnt(3)
	v_mul_f64 v[110:111], v[94:95], v[214:215]
	s_waitcnt vmcnt(12)
	v_fmac_f64_e32 v[110:111], v[96:97], v[218:219]
	buffer_load_dword v237, off, s[0:3], 0 offset:940
	buffer_load_dword v236, off, s[0:3], 0 offset:936
	;; [unrolled: 1-line block ×4, first 2 shown]
	v_add_f64 v[0:1], v[0:1], v[110:111]
	s_waitcnt vmcnt(14) lgkmcnt(0)
	v_mul_f64 v[110:111], v[98:99], v[216:217]
	s_waitcnt vmcnt(12)
	v_fmac_f64_e32 v[110:111], v[100:101], v[220:221]
	v_add_f64 v[0:1], v[0:1], v[110:111]
	s_waitcnt vmcnt(9)
	v_mul_f64 v[110:111], v[102:103], v[224:225]
	s_waitcnt vmcnt(7)
	v_fmac_f64_e32 v[110:111], v[104:105], v[226:227]
	v_add_f64 v[0:1], v[0:1], v[110:111]
	s_waitcnt vmcnt(5)
	v_mul_f64 v[110:111], v[106:107], v[212:213]
	s_waitcnt vmcnt(4)
	v_fmac_f64_e32 v[110:111], v[108:109], v[222:223]
	v_add_f64 v[0:1], v[0:1], v[110:111]
	ds_read_b128 v[110:113], v228 offset:1856
	buffer_load_dword v242, off, s[0:3], 0 offset:952
	buffer_load_dword v243, off, s[0:3], 0 offset:956
	;; [unrolled: 1-line block ×4, first 2 shown]
	v_add_f64 v[2:3], v[2:3], v[4:5]
	v_mul_f64 v[4:5], v[20:21], v[130:131]
	v_fma_f64 v[4:5], v[18:19], v[132:133], -v[4:5]
	v_add_f64 v[2:3], v[2:3], v[4:5]
	v_mul_f64 v[4:5], v[24:25], v[156:157]
	v_fma_f64 v[4:5], v[22:23], v[160:161], -v[4:5]
	;; [unrolled: 3-line block ×21, first 2 shown]
	v_add_f64 v[2:3], v[2:3], v[4:5]
	v_mul_f64 v[4:5], v[104:105], v[224:225]
	s_waitcnt vmcnt(6) lgkmcnt(0)
	v_mul_f64 v[114:115], v[110:111], v[236:237]
	v_fma_f64 v[4:5], v[102:103], v[226:227], -v[4:5]
	s_waitcnt vmcnt(4)
	v_fmac_f64_e32 v[114:115], v[112:113], v[238:239]
	v_add_f64 v[0:1], v[0:1], v[114:115]
	ds_read_b128 v[114:117], v228 offset:1872
	v_add_f64 v[2:3], v[2:3], v[4:5]
	v_mul_f64 v[4:5], v[108:109], v[212:213]
	v_fma_f64 v[4:5], v[106:107], v[222:223], -v[4:5]
	v_add_f64 v[2:3], v[2:3], v[4:5]
	v_mul_f64 v[4:5], v[112:113], v[236:237]
	v_fma_f64 v[4:5], v[110:111], v[238:239], -v[4:5]
	v_add_f64 v[2:3], v[2:3], v[4:5]
	s_waitcnt vmcnt(2) lgkmcnt(0)
	v_mul_f64 v[248:249], v[114:115], v[242:243]
	v_mul_f64 v[4:5], v[116:117], v[242:243]
	s_waitcnt vmcnt(0)
	v_fmac_f64_e32 v[248:249], v[116:117], v[244:245]
	v_add_f64 v[0:1], v[0:1], v[248:249]
	buffer_load_dword v248, off, s[0:3], 0 offset:320
	buffer_load_dword v249, off, s[0:3], 0 offset:324
	;; [unrolled: 1-line block ×4, first 2 shown]
	v_fma_f64 v[4:5], v[114:115], v[244:245], -v[4:5]
	v_add_f64 v[2:3], v[2:3], v[4:5]
	s_waitcnt vmcnt(2)
	v_add_f64 v[2:3], v[248:249], -v[2:3]
	s_waitcnt vmcnt(0)
	v_add_f64 v[0:1], v[246:247], -v[0:1]
	buffer_store_dword v3, off, s[0:3], 0 offset:324
	buffer_store_dword v2, off, s[0:3], 0 offset:320
	buffer_store_dword v1, off, s[0:3], 0 offset:332
	buffer_store_dword v0, off, s[0:3], 0 offset:328
	s_and_saveexec_b64 s[4:5], vcc
	s_cbranch_execz .LBB58_331
; %bb.330:
	v_accvgpr_read_b32 v0, a158
	buffer_load_dword v2, v0, s[0:3], 0 offen
	buffer_load_dword v3, v0, s[0:3], 0 offen offset:4
	buffer_load_dword v4, v0, s[0:3], 0 offen offset:8
	;; [unrolled: 1-line block ×3, first 2 shown]
	v_accvgpr_read_b32 v0, a177
	buffer_store_dword v228, off, s[0:3], 0 offset:304
	buffer_store_dword v228, off, s[0:3], 0 offset:308
	buffer_store_dword v228, off, s[0:3], 0 offset:312
	buffer_store_dword v228, off, s[0:3], 0 offset:316
	s_waitcnt vmcnt(4)
	ds_write_b128 v0, v[2:5]
.LBB58_331:
	s_or_b64 exec, exec, s[4:5]
	s_waitcnt lgkmcnt(0)
	; wave barrier
	s_waitcnt lgkmcnt(0)
	buffer_load_dword v56, off, s[0:3], 0 offset:320
	buffer_load_dword v57, off, s[0:3], 0 offset:324
	buffer_load_dword v60, off, s[0:3], 0 offset:328
	buffer_load_dword v61, off, s[0:3], 0 offset:332
	buffer_load_dword v54, off, s[0:3], 0 offset:336
	buffer_load_dword v55, off, s[0:3], 0 offset:340
	buffer_load_dword v62, off, s[0:3], 0 offset:344
	buffer_load_dword v63, off, s[0:3], 0 offset:348
	buffer_load_dword v58, off, s[0:3], 0 offset:360
	buffer_load_dword v59, off, s[0:3], 0 offset:364
	buffer_load_dword v71, off, s[0:3], 0 offset:396
	buffer_load_dword v70, off, s[0:3], 0 offset:392
	buffer_load_dword v73, off, s[0:3], 0 offset:388
	buffer_load_dword v72, off, s[0:3], 0 offset:384
	buffer_load_dword v65, off, s[0:3], 0 offset:380
	buffer_load_dword v64, off, s[0:3], 0 offset:376
	buffer_load_dword v83, off, s[0:3], 0 offset:428
	buffer_load_dword v82, off, s[0:3], 0 offset:424
	buffer_load_dword v85, off, s[0:3], 0 offset:420
	buffer_load_dword v84, off, s[0:3], 0 offset:416
	buffer_load_dword v75, off, s[0:3], 0 offset:412
	buffer_load_dword v74, off, s[0:3], 0 offset:408
	buffer_load_dword v95, off, s[0:3], 0 offset:460
	buffer_load_dword v94, off, s[0:3], 0 offset:456
	buffer_load_dword v96, off, s[0:3], 0 offset:448
	buffer_load_dword v87, off, s[0:3], 0 offset:444
	buffer_load_dword v86, off, s[0:3], 0 offset:440
	buffer_load_dword v103, off, s[0:3], 0 offset:476
	buffer_load_dword v102, off, s[0:3], 0 offset:472
	buffer_load_dword v68, off, s[0:3], 0 offset:352
	buffer_load_dword v69, off, s[0:3], 0 offset:356
	buffer_load_dword v67, off, s[0:3], 0 offset:372
	buffer_load_dword v66, off, s[0:3], 0 offset:368
	buffer_load_dword v77, off, s[0:3], 0 offset:404
	buffer_load_dword v76, off, s[0:3], 0 offset:400
	buffer_load_dword v89, off, s[0:3], 0 offset:436
	buffer_load_dword v88, off, s[0:3], 0 offset:432
	buffer_load_dword v97, off, s[0:3], 0 offset:452
	buffer_load_dword v110, off, s[0:3], 0 offset:488
	buffer_load_dword v112, off, s[0:3], 0 offset:480
	buffer_load_dword v113, off, s[0:3], 0 offset:484
	buffer_load_dword v111, off, s[0:3], 0 offset:492
	ds_read_b128 v[78:81], v228 offset:1248
	ds_read_b128 v[90:93], v228 offset:1264
	;; [unrolled: 1-line block ×10, first 2 shown]
	buffer_load_dword v1, off, s[0:3], 0 offset:468
	buffer_load_dword v0, off, s[0:3], 0 offset:464
	ds_read_b128 v[106:109], v228 offset:1408
	buffer_load_dword v3, off, s[0:3], 0 offset:524
	buffer_load_dword v2, off, s[0:3], 0 offset:520
	v_cmp_lt_u32_e32 vcc, 17, v229
	s_waitcnt vmcnt(38) lgkmcnt(9)
	v_mul_f64 v[4:5], v[90:91], v[62:63]
	v_fmac_f64_e32 v[4:5], v[92:93], v[54:55]
	s_waitcnt vmcnt(36) lgkmcnt(8)
	v_mul_f64 v[6:7], v[114:115], v[58:59]
	v_mul_f64 v[58:59], v[116:117], v[58:59]
	s_waitcnt vmcnt(34) lgkmcnt(6)
	v_mul_f64 v[10:11], v[240:241], v[70:71]
	v_mul_f64 v[70:71], v[242:243], v[70:71]
	s_waitcnt vmcnt(32)
	v_fmac_f64_e32 v[10:11], v[242:243], v[72:73]
	v_fma_f64 v[240:241], v[240:241], v[72:73], -v[70:71]
	s_waitcnt vmcnt(30)
	v_mul_f64 v[8:9], v[236:237], v[64:65]
	s_waitcnt vmcnt(28) lgkmcnt(4)
	v_mul_f64 v[14:15], v[248:249], v[82:83]
	v_mul_f64 v[82:83], v[250:251], v[82:83]
	s_waitcnt vmcnt(26)
	v_fmac_f64_e32 v[14:15], v[250:251], v[84:85]
	v_fma_f64 v[248:249], v[248:249], v[84:85], -v[82:83]
	s_waitcnt vmcnt(24)
	v_mul_f64 v[12:13], v[244:245], v[74:75]
	v_mul_f64 v[74:75], v[246:247], v[74:75]
	s_waitcnt vmcnt(22) lgkmcnt(2)
	v_mul_f64 v[18:19], v[230:231], v[94:95]
	v_mul_f64 v[94:95], v[232:233], v[94:95]
	s_waitcnt vmcnt(19)
	v_mul_f64 v[16:17], v[252:253], v[86:87]
	v_mul_f64 v[86:87], v[254:255], v[86:87]
	s_waitcnt vmcnt(17) lgkmcnt(1)
	v_mul_f64 v[20:21], v[98:99], v[102:103]
	s_waitcnt vmcnt(15)
	v_fmac_f64_e32 v[6:7], v[116:117], v[68:69]
	s_waitcnt vmcnt(13)
	v_fmac_f64_e32 v[8:9], v[238:239], v[66:67]
	;; [unrolled: 2-line block ×3, first 2 shown]
	v_fma_f64 v[246:247], v[244:245], v[76:77], -v[74:75]
	s_waitcnt vmcnt(9)
	v_fmac_f64_e32 v[16:17], v[254:255], v[88:89]
	s_waitcnt vmcnt(8)
	v_fmac_f64_e32 v[18:19], v[232:233], v[96:97]
	v_fma_f64 v[254:255], v[252:253], v[88:89], -v[86:87]
	v_fma_f64 v[250:251], v[230:231], v[96:97], -v[94:95]
	s_waitcnt vmcnt(2)
	v_fmac_f64_e32 v[20:21], v[100:101], v[0:1]
	v_mul_f64 v[100:101], v[100:101], v[102:103]
	s_waitcnt vmcnt(0)
	v_pk_mov_b32 v[22:23], v[2:3], v[2:3] op_sel:[0,1]
	buffer_load_dword v3, off, s[0:3], 0 offset:516
	buffer_load_dword v2, off, s[0:3], 0 offset:512
	;; [unrolled: 1-line block ×78, first 2 shown]
	ds_read_b128 v[120:123], v228 offset:1424
	v_accvgpr_write_b32 a179, v23
	v_accvgpr_write_b32 a178, v22
	v_fma_f64 v[102:103], v[98:99], v[0:1], -v[100:101]
	s_waitcnt vmcnt(62)
	v_pk_mov_b32 v[24:25], v[2:3], v[2:3] op_sel:[0,1]
	v_mul_f64 v[2:3], v[78:79], v[60:61]
	v_fmac_f64_e32 v[2:3], v[80:81], v[56:57]
	v_add_f64 v[2:3], v[2:3], 0
	v_add_f64 v[2:3], v[2:3], v[4:5]
	;; [unrolled: 1-line block ×9, first 2 shown]
	s_waitcnt lgkmcnt(1)
	v_mul_f64 v[8:9], v[106:107], v[110:111]
	v_add_f64 v[6:7], v[2:3], v[20:21]
	v_fmac_f64_e32 v[8:9], v[108:109], v[112:113]
	v_add_f64 v[10:11], v[6:7], v[8:9]
	ds_read_b128 v[6:9], v228 offset:1440
	s_waitcnt lgkmcnt(1)
	v_mul_f64 v[12:13], v[120:121], v[124:125]
	v_fmac_f64_e32 v[12:13], v[122:123], v[140:141]
	v_add_f64 v[14:15], v[10:11], v[12:13]
	ds_read_b128 v[10:13], v228 offset:1456
	s_waitcnt lgkmcnt(1)
	v_mul_f64 v[16:17], v[6:7], v[22:23]
	;; [unrolled: 5-line block ×3, first 2 shown]
	v_fmac_f64_e32 v[20:21], v[12:13], v[148:149]
	v_add_f64 v[22:23], v[18:19], v[20:21]
	ds_read_b128 v[18:21], v228 offset:1488
	v_accvgpr_write_b32 a181, v25
	v_accvgpr_write_b32 a180, v24
	s_waitcnt lgkmcnt(1)
	v_mul_f64 v[24:25], v[14:15], v[126:127]
	v_fmac_f64_e32 v[24:25], v[16:17], v[128:129]
	v_add_f64 v[26:27], v[22:23], v[24:25]
	ds_read_b128 v[22:25], v228 offset:1504
	s_waitcnt vmcnt(58) lgkmcnt(1)
	v_mul_f64 v[28:29], v[18:19], v[152:153]
	s_waitcnt vmcnt(56)
	v_fmac_f64_e32 v[28:29], v[20:21], v[156:157]
	v_add_f64 v[30:31], v[26:27], v[28:29]
	ds_read_b128 v[26:29], v228 offset:1520
	s_waitcnt lgkmcnt(1)
	v_mul_f64 v[32:33], v[22:23], v[130:131]
	v_fmac_f64_e32 v[32:33], v[24:25], v[132:133]
	v_add_f64 v[34:35], v[30:31], v[32:33]
	ds_read_b128 v[30:33], v228 offset:1536
	s_waitcnt vmcnt(50) lgkmcnt(1)
	v_mul_f64 v[36:37], v[26:27], v[160:161]
	s_waitcnt vmcnt(48)
	v_fmac_f64_e32 v[36:37], v[28:29], v[164:165]
	v_add_f64 v[38:39], v[34:35], v[36:37]
	ds_read_b128 v[34:37], v228 offset:1552
	;; [unrolled: 11-line block ×4, first 2 shown]
	buffer_load_dword v200, off, s[0:3], 0 offset:840
	buffer_load_dword v205, off, s[0:3], 0 offset:828
	;; [unrolled: 1-line block ×16, first 2 shown]
	s_waitcnt lgkmcnt(1)
	v_mul_f64 v[118:119], v[46:47], v[146:147]
	v_fmac_f64_e32 v[118:119], v[48:49], v[150:151]
	v_mul_f64 v[60:61], v[80:81], v[60:61]
	v_add_f64 v[104:105], v[104:105], v[118:119]
	s_waitcnt vmcnt(42) lgkmcnt(0)
	v_mul_f64 v[118:119], v[50:51], v[184:185]
	v_fma_f64 v[234:235], v[78:79], v[56:57], -v[60:61]
	v_mul_f64 v[56:57], v[92:93], v[62:63]
	v_fma_f64 v[2:3], v[90:91], v[54:55], -v[56:57]
	buffer_load_dword v212, off, s[0:3], 0 offset:904
	buffer_load_dword v221, off, s[0:3], 0 offset:892
	buffer_load_dword v220, off, s[0:3], 0 offset:888
	buffer_load_dword v225, off, s[0:3], 0 offset:884
	buffer_load_dword v224, off, s[0:3], 0 offset:880
	buffer_load_dword v218, off, s[0:3], 0 offset:896
	buffer_load_dword v213, off, s[0:3], 0 offset:908
	buffer_load_dword v219, off, s[0:3], 0 offset:900
	buffer_load_dword v223, off, s[0:3], 0 offset:924
	buffer_load_dword v222, off, s[0:3], 0 offset:920
	buffer_load_dword v227, off, s[0:3], 0 offset:916
	buffer_load_dword v226, off, s[0:3], 0 offset:912
	s_waitcnt vmcnt(52)
	v_fmac_f64_e32 v[118:119], v[52:53], v[186:187]
	ds_read_b128 v[54:57], v228 offset:1632
	v_add_f64 v[4:5], v[104:105], v[118:119]
	v_fma_f64 v[118:119], v[114:115], v[68:69], -v[58:59]
	ds_read_b128 v[58:61], v228 offset:1648
	v_mul_f64 v[62:63], v[238:239], v[64:65]
	v_fma_f64 v[104:105], v[236:237], v[66:67], -v[62:63]
	ds_read_b128 v[62:65], v228 offset:1664
	ds_read_b128 v[70:73], v228 offset:1696
	s_waitcnt lgkmcnt(3)
	v_mul_f64 v[68:69], v[54:55], v[154:155]
	v_fmac_f64_e32 v[68:69], v[56:57], v[158:159]
	s_waitcnt vmcnt(46) lgkmcnt(2)
	v_mul_f64 v[66:67], v[58:59], v[188:189]
	v_add_f64 v[4:5], v[4:5], v[68:69]
	s_waitcnt vmcnt(44)
	v_fmac_f64_e32 v[66:67], v[60:61], v[190:191]
	v_add_f64 v[4:5], v[4:5], v[66:67]
	s_waitcnt lgkmcnt(1)
	v_mul_f64 v[66:67], v[62:63], v[162:163]
	v_fmac_f64_e32 v[66:67], v[64:65], v[166:167]
	v_add_f64 v[4:5], v[4:5], v[66:67]
	ds_read_b128 v[66:69], v228 offset:1680
	ds_read_b128 v[74:77], v228 offset:1712
	;; [unrolled: 1-line block ×5, first 2 shown]
	s_waitcnt vmcnt(38) lgkmcnt(4)
	v_mul_f64 v[78:79], v[66:67], v[192:193]
	s_waitcnt vmcnt(36)
	v_fmac_f64_e32 v[78:79], v[68:69], v[194:195]
	v_add_f64 v[4:5], v[4:5], v[78:79]
	v_mul_f64 v[78:79], v[70:71], v[170:171]
	v_fmac_f64_e32 v[78:79], v[72:73], v[174:175]
	v_add_f64 v[4:5], v[4:5], v[78:79]
	s_waitcnt vmcnt(30) lgkmcnt(3)
	v_mul_f64 v[78:79], v[74:75], v[196:197]
	s_waitcnt vmcnt(28)
	v_fmac_f64_e32 v[78:79], v[76:77], v[198:199]
	v_add_f64 v[4:5], v[4:5], v[78:79]
	ds_read_b128 v[78:81], v228 offset:1728
	ds_read_b128 v[230:233], v228 offset:1824
	;; [unrolled: 1-line block ×3, first 2 shown]
	s_waitcnt lgkmcnt(2)
	v_mul_f64 v[90:91], v[78:79], v[178:179]
	v_fmac_f64_e32 v[90:91], v[80:81], v[182:183]
	v_add_f64 v[4:5], v[4:5], v[90:91]
	s_waitcnt vmcnt(25)
	v_mul_f64 v[90:91], v[82:83], v[204:205]
	s_waitcnt vmcnt(23)
	v_fmac_f64_e32 v[90:91], v[84:85], v[206:207]
	v_add_f64 v[4:5], v[4:5], v[90:91]
	s_waitcnt vmcnt(21)
	v_mul_f64 v[90:91], v[86:87], v[200:201]
	s_waitcnt vmcnt(20)
	v_fmac_f64_e32 v[90:91], v[88:89], v[202:203]
	v_add_f64 v[4:5], v[4:5], v[90:91]
	ds_read_b128 v[90:93], v228 offset:1776
	s_waitcnt vmcnt(18) lgkmcnt(0)
	v_mul_f64 v[114:115], v[90:91], v[208:209]
	s_waitcnt vmcnt(16)
	v_fmac_f64_e32 v[114:115], v[92:93], v[210:211]
	v_add_f64 v[0:1], v[4:5], v[114:115]
	s_waitcnt vmcnt(14)
	v_mul_f64 v[4:5], v[94:95], v[214:215]
	s_waitcnt vmcnt(12)
	v_fmac_f64_e32 v[4:5], v[96:97], v[216:217]
	v_add_f64 v[0:1], v[0:1], v[4:5]
	v_mul_f64 v[4:5], v[108:109], v[110:111]
	v_fma_f64 v[252:253], v[106:107], v[112:113], -v[4:5]
	ds_read_b128 v[106:109], v228 offset:1840
	buffer_load_dword v236, off, s[0:3], 0 offset:936
	buffer_load_dword v237, off, s[0:3], 0 offset:940
	;; [unrolled: 1-line block ×4, first 2 shown]
	ds_read_b128 v[110:113], v228 offset:1856
	buffer_load_dword v243, off, s[0:3], 0 offset:956
	buffer_load_dword v242, off, s[0:3], 0 offset:952
	;; [unrolled: 1-line block ×4, first 2 shown]
	s_waitcnt vmcnt(17)
	v_mul_f64 v[4:5], v[98:99], v[220:221]
	s_waitcnt vmcnt(15)
	v_fmac_f64_e32 v[4:5], v[100:101], v[224:225]
	v_add_f64 v[0:1], v[0:1], v[4:5]
	s_waitcnt vmcnt(13)
	v_mul_f64 v[4:5], v[230:231], v[212:213]
	s_waitcnt vmcnt(12)
	v_fmac_f64_e32 v[4:5], v[232:233], v[218:219]
	ds_read_b128 v[114:117], v228 offset:1872
	v_add_f64 v[0:1], v[0:1], v[4:5]
	s_waitcnt vmcnt(10) lgkmcnt(2)
	v_mul_f64 v[4:5], v[106:107], v[222:223]
	s_waitcnt vmcnt(8)
	v_fmac_f64_e32 v[4:5], v[108:109], v[226:227]
	v_add_f64 v[0:1], v[0:1], v[4:5]
	s_waitcnt vmcnt(6) lgkmcnt(1)
	v_mul_f64 v[4:5], v[110:111], v[236:237]
	s_waitcnt vmcnt(4)
	v_fmac_f64_e32 v[4:5], v[112:113], v[238:239]
	;; [unrolled: 5-line block ×3, first 2 shown]
	v_add_f64 v[0:1], v[0:1], v[4:5]
	v_add_f64 v[4:5], v[234:235], 0
	;; [unrolled: 1-line block ×8, first 2 shown]
	buffer_load_dword v248, off, s[0:3], 0 offset:304
	buffer_load_dword v249, off, s[0:3], 0 offset:308
	;; [unrolled: 1-line block ×4, first 2 shown]
	v_add_f64 v[2:3], v[2:3], v[254:255]
	v_add_f64 v[254:255], v[2:3], v[250:251]
	;; [unrolled: 1-line block ×3, first 2 shown]
	v_mul_f64 v[4:5], v[122:123], v[124:125]
	v_add_f64 v[2:3], v[2:3], v[252:253]
	v_fma_f64 v[4:5], v[120:121], v[140:141], -v[4:5]
	v_add_f64 v[2:3], v[2:3], v[4:5]
	v_accvgpr_read_b32 v4, a178
	v_accvgpr_read_b32 v5, a179
	v_mul_f64 v[4:5], v[8:9], v[4:5]
	v_accvgpr_read_b32 v8, a180
	v_accvgpr_read_b32 v9, a181
	v_fma_f64 v[4:5], v[6:7], v[8:9], -v[4:5]
	v_add_f64 v[2:3], v[2:3], v[4:5]
	v_mul_f64 v[4:5], v[12:13], v[144:145]
	v_fma_f64 v[4:5], v[10:11], v[148:149], -v[4:5]
	v_add_f64 v[2:3], v[2:3], v[4:5]
	v_mul_f64 v[4:5], v[16:17], v[126:127]
	;; [unrolled: 3-line block ×27, first 2 shown]
	v_fma_f64 v[4:5], v[114:115], v[244:245], -v[4:5]
	v_add_f64 v[2:3], v[2:3], v[4:5]
	s_waitcnt vmcnt(2)
	v_add_f64 v[2:3], v[248:249], -v[2:3]
	s_waitcnt vmcnt(0)
	v_add_f64 v[0:1], v[246:247], -v[0:1]
	buffer_store_dword v3, off, s[0:3], 0 offset:308
	buffer_store_dword v2, off, s[0:3], 0 offset:304
	;; [unrolled: 1-line block ×4, first 2 shown]
	s_and_saveexec_b64 s[4:5], vcc
	s_cbranch_execz .LBB58_333
; %bb.332:
	v_accvgpr_read_b32 v0, a159
	buffer_load_dword v2, v0, s[0:3], 0 offen
	buffer_load_dword v3, v0, s[0:3], 0 offen offset:4
	buffer_load_dword v4, v0, s[0:3], 0 offen offset:8
	;; [unrolled: 1-line block ×3, first 2 shown]
	v_mov_b32_e32 v0, 0
	v_accvgpr_read_b32 v1, a177
	buffer_store_dword v0, off, s[0:3], 0 offset:288
	buffer_store_dword v0, off, s[0:3], 0 offset:292
	;; [unrolled: 1-line block ×4, first 2 shown]
	s_waitcnt vmcnt(4)
	ds_write_b128 v1, v[2:5]
.LBB58_333:
	s_or_b64 exec, exec, s[4:5]
	s_waitcnt lgkmcnt(0)
	; wave barrier
	s_waitcnt lgkmcnt(0)
	buffer_load_dword v54, off, s[0:3], 0 offset:304
	buffer_load_dword v55, off, s[0:3], 0 offset:308
	;; [unrolled: 1-line block ×46, first 2 shown]
	v_mov_b32_e32 v228, 0
	v_cmp_lt_u32_e32 vcc, 16, v229
	s_waitcnt vmcnt(0)
	v_pk_mov_b32 v[20:21], v[0:1], v[0:1] op_sel:[0,1]
	buffer_load_dword v1, off, s[0:3], 0 offset:500
	buffer_load_dword v0, off, s[0:3], 0 offset:496
	;; [unrolled: 1-line block ×3, first 2 shown]
	ds_read_b128 v[94:97], v228 offset:1232
	ds_read_b128 v[108:111], v228 offset:1248
	;; [unrolled: 1-line block ×11, first 2 shown]
	s_waitcnt lgkmcnt(9)
	v_mul_f64 v[2:3], v[108:109], v[62:63]
	s_waitcnt lgkmcnt(8)
	v_mul_f64 v[4:5], v[112:113], v[60:61]
	v_fmac_f64_e32 v[2:3], v[110:111], v[58:59]
	s_waitcnt lgkmcnt(7)
	v_mul_f64 v[6:7], v[224:225], v[68:69]
	v_fmac_f64_e32 v[4:5], v[114:115], v[84:85]
	;; [unrolled: 3-line block ×3, first 2 shown]
	v_fmac_f64_e32 v[8:9], v[232:233], v[66:67]
	s_waitcnt lgkmcnt(5)
	v_mul_f64 v[10:11], v[236:237], v[70:71]
	s_waitcnt lgkmcnt(4)
	v_mul_f64 v[12:13], v[240:241], v[74:75]
	v_fmac_f64_e32 v[10:11], v[238:239], v[72:73]
	s_waitcnt lgkmcnt(3)
	v_mul_f64 v[14:15], v[244:245], v[78:79]
	v_fmac_f64_e32 v[12:13], v[242:243], v[76:77]
	;; [unrolled: 3-line block ×4, first 2 shown]
	v_fmac_f64_e32 v[18:19], v[254:255], v[92:93]
	v_accvgpr_write_b32 a179, v21
	v_accvgpr_write_b32 a178, v20
	v_mul_f64 v[62:63], v[110:111], v[62:63]
	v_fma_f64 v[62:63], v[108:109], v[58:59], -v[62:63]
	v_mul_f64 v[58:59], v[114:115], v[60:61]
	v_mul_f64 v[64:65], v[232:233], v[64:65]
	v_fma_f64 v[64:65], v[230:231], v[66:67], -v[64:65]
	v_mul_f64 v[66:67], v[238:239], v[70:71]
	v_fma_f64 v[236:237], v[236:237], v[72:73], -v[66:67]
	;; [unrolled: 2-line block ×6, first 2 shown]
	s_waitcnt vmcnt(1)
	v_pk_mov_b32 v[22:23], v[0:1], v[0:1] op_sel:[0,1]
	v_mul_f64 v[0:1], v[94:95], v[56:57]
	v_fmac_f64_e32 v[0:1], v[96:97], v[54:55]
	v_add_f64 v[0:1], v[0:1], 0
	v_add_f64 v[0:1], v[0:1], v[2:3]
	;; [unrolled: 1-line block ×5, first 2 shown]
	buffer_load_dword v106, off, s[0:3], 0 offset:488
	buffer_load_dword v235, off, s[0:3], 0 offset:484
	;; [unrolled: 1-line block ×75, first 2 shown]
	ds_read_b128 v[116:119], v228 offset:1408
	ds_read_b128 v[120:123], v228 offset:1424
	v_add_f64 v[0:1], v[0:1], v[10:11]
	v_add_f64 v[0:1], v[0:1], v[12:13]
	;; [unrolled: 1-line block ×5, first 2 shown]
	s_waitcnt lgkmcnt(0)
	v_mul_f64 v[10:11], v[120:121], v[20:21]
	ds_read_b128 v[124:127], v228 offset:1440
	v_fmac_f64_e32 v[10:11], v[122:123], v[22:23]
	v_accvgpr_write_b32 a181, v23
	v_accvgpr_write_b32 a180, v22
	v_mul_f64 v[56:57], v[96:97], v[56:57]
	s_waitcnt vmcnt(62)
	v_mul_f64 v[6:7], v[116:117], v[106:107]
	v_fmac_f64_e32 v[6:7], v[118:119], v[234:235]
	v_pk_mov_b32 v[4:5], v[2:3], v[2:3] op_sel:[0,1]
	v_mul_f64 v[2:3], v[98:99], v[102:103]
	v_fmac_f64_e32 v[2:3], v[100:101], v[104:105]
	v_add_f64 v[0:1], v[0:1], v[2:3]
	v_add_f64 v[0:1], v[0:1], v[6:7]
	;; [unrolled: 1-line block ×3, first 2 shown]
	ds_read_b128 v[10:13], v228 offset:1456
	s_waitcnt lgkmcnt(1)
	v_mul_f64 v[14:15], v[124:125], v[140:141]
	v_fmac_f64_e32 v[14:15], v[126:127], v[144:145]
	v_add_f64 v[0:1], v[0:1], v[14:15]
	ds_read_b128 v[14:17], v228 offset:1472
	s_waitcnt lgkmcnt(1)
	v_mul_f64 v[18:19], v[10:11], v[8:9]
	v_fmac_f64_e32 v[18:19], v[12:13], v[4:5]
	v_add_f64 v[0:1], v[0:1], v[18:19]
	ds_read_b128 v[18:21], v228 offset:1488
	s_waitcnt vmcnt(58) lgkmcnt(1)
	v_mul_f64 v[22:23], v[14:15], v[148:149]
	s_waitcnt vmcnt(56)
	v_fmac_f64_e32 v[22:23], v[16:17], v[152:153]
	v_add_f64 v[0:1], v[0:1], v[22:23]
	ds_read_b128 v[22:25], v228 offset:1504
	s_waitcnt lgkmcnt(1)
	v_mul_f64 v[26:27], v[18:19], v[128:129]
	v_fmac_f64_e32 v[26:27], v[20:21], v[130:131]
	v_add_f64 v[0:1], v[0:1], v[26:27]
	ds_read_b128 v[26:29], v228 offset:1520
	s_waitcnt vmcnt(50) lgkmcnt(1)
	v_mul_f64 v[30:31], v[22:23], v[156:157]
	s_waitcnt vmcnt(48)
	;; [unrolled: 11-line block ×4, first 2 shown]
	v_fmac_f64_e32 v[46:47], v[40:41], v[176:177]
	v_add_f64 v[0:1], v[0:1], v[46:47]
	ds_read_b128 v[46:49], v228 offset:1600
	s_waitcnt lgkmcnt(1)
	v_mul_f64 v[50:51], v[42:43], v[142:143]
	v_fmac_f64_e32 v[50:51], v[44:45], v[146:147]
	v_add_f64 v[0:1], v[0:1], v[50:51]
	ds_read_b128 v[50:53], v228 offset:1616
	buffer_load_dword v197, off, s[0:3], 0 offset:812
	buffer_load_dword v196, off, s[0:3], 0 offset:808
	;; [unrolled: 1-line block ×8, first 2 shown]
	s_waitcnt vmcnt(34) lgkmcnt(1)
	v_mul_f64 v[200:201], v[46:47], v[180:181]
	s_waitcnt vmcnt(32)
	v_fmac_f64_e32 v[200:201], v[48:49], v[182:183]
	v_add_f64 v[0:1], v[0:1], v[200:201]
	buffer_load_dword v201, off, s[0:3], 0 offset:860
	buffer_load_dword v207, off, s[0:3], 0 offset:844
	;; [unrolled: 1-line block ×8, first 2 shown]
	v_fma_f64 v[6:7], v[94:95], v[54:55], -v[56:57]
	ds_read_b128 v[54:57], v228 offset:1632
	buffer_load_dword v213, off, s[0:3], 0 offset:876
	buffer_load_dword v212, off, s[0:3], 0 offset:872
	;; [unrolled: 1-line block ×12, first 2 shown]
	v_accvgpr_write_b32 a183, v5
	v_accvgpr_write_b32 a182, v4
	s_waitcnt lgkmcnt(1)
	v_mul_f64 v[4:5], v[50:51], v[150:151]
	v_fmac_f64_e32 v[4:5], v[52:53], v[154:155]
	v_add_f64 v[0:1], v[0:1], v[4:5]
	v_mul_f64 v[4:5], v[226:227], v[68:69]
	v_fma_f64 v[4:5], v[224:225], v[82:83], -v[4:5]
	buffer_load_dword v224, off, s[0:3], 0 offset:920
	buffer_load_dword v226, off, s[0:3], 0 offset:912
	;; [unrolled: 1-line block ×4, first 2 shown]
	v_fma_f64 v[2:3], v[112:113], v[84:85], -v[58:59]
	s_waitcnt vmcnt(50) lgkmcnt(0)
	v_mul_f64 v[58:59], v[54:55], v[184:185]
	s_waitcnt vmcnt(48)
	v_fmac_f64_e32 v[58:59], v[56:57], v[186:187]
	v_add_f64 v[0:1], v[0:1], v[58:59]
	ds_read_b128 v[58:61], v228 offset:1648
	ds_read_b128 v[230:233], v228 offset:1664
	;; [unrolled: 1-line block ×5, first 2 shown]
	s_waitcnt lgkmcnt(4)
	v_mul_f64 v[82:83], v[58:59], v[158:159]
	v_fmac_f64_e32 v[82:83], v[60:61], v[162:163]
	s_waitcnt vmcnt(42) lgkmcnt(3)
	v_mul_f64 v[70:71], v[230:231], v[188:189]
	v_add_f64 v[0:1], v[0:1], v[82:83]
	s_waitcnt vmcnt(40)
	v_fmac_f64_e32 v[70:71], v[232:233], v[190:191]
	v_add_f64 v[0:1], v[0:1], v[70:71]
	s_waitcnt lgkmcnt(2)
	v_mul_f64 v[70:71], v[66:67], v[166:167]
	v_fmac_f64_e32 v[70:71], v[68:69], v[170:171]
	v_add_f64 v[0:1], v[0:1], v[70:71]
	ds_read_b128 v[70:73], v228 offset:1696
	ds_read_b128 v[90:93], v228 offset:1776
	v_mul_f64 v[100:101], v[100:101], v[102:103]
	v_fma_f64 v[254:255], v[98:99], v[104:105], -v[100:101]
	ds_read_b128 v[98:101], v228 offset:1808
	s_waitcnt vmcnt(34) lgkmcnt(2)
	v_mul_f64 v[82:83], v[70:71], v[192:193]
	s_waitcnt vmcnt(32)
	v_fmac_f64_e32 v[82:83], v[72:73], v[194:195]
	v_add_f64 v[0:1], v[0:1], v[82:83]
	v_mul_f64 v[82:83], v[74:75], v[174:175]
	v_fmac_f64_e32 v[82:83], v[76:77], v[178:179]
	v_add_f64 v[0:1], v[0:1], v[82:83]
	v_mul_f64 v[102:103], v[118:119], v[106:107]
	v_fma_f64 v[250:251], v[116:117], v[234:235], -v[102:103]
	v_add_f64 v[6:7], v[6:7], 0
	v_add_f64 v[6:7], v[6:7], v[62:63]
	v_add_f64 v[2:3], v[6:7], v[2:3]
	v_add_f64 v[2:3], v[2:3], v[4:5]
	v_add_f64 v[2:3], v[2:3], v[64:65]
	v_add_f64 v[2:3], v[2:3], v[236:237]
	v_add_f64 v[2:3], v[2:3], v[240:241]
	v_add_f64 v[2:3], v[2:3], v[246:247]
	v_add_f64 v[2:3], v[2:3], v[248:249]
	v_accvgpr_read_b32 v4, a178
	v_add_f64 v[2:3], v[2:3], v[252:253]
	v_accvgpr_read_b32 v5, a179
	v_accvgpr_read_b32 v6, a180
	v_add_f64 v[252:253], v[2:3], v[254:255]
	v_mul_f64 v[4:5], v[122:123], v[4:5]
	v_accvgpr_read_b32 v7, a181
	v_add_f64 v[2:3], v[252:253], v[250:251]
	v_fma_f64 v[4:5], v[120:121], v[6:7], -v[4:5]
	ds_read_b128 v[86:89], v228 offset:1760
	v_add_f64 v[2:3], v[2:3], v[4:5]
	v_mul_f64 v[4:5], v[126:127], v[140:141]
	v_fma_f64 v[4:5], v[124:125], v[144:145], -v[4:5]
	v_accvgpr_read_b32 v6, a182
	v_add_f64 v[2:3], v[2:3], v[4:5]
	v_mul_f64 v[4:5], v[12:13], v[8:9]
	v_accvgpr_read_b32 v7, a183
	v_fma_f64 v[4:5], v[10:11], v[6:7], -v[4:5]
	v_add_f64 v[2:3], v[2:3], v[4:5]
	v_mul_f64 v[4:5], v[16:17], v[148:149]
	s_waitcnt vmcnt(30)
	v_mul_f64 v[82:83], v[78:79], v[196:197]
	ds_read_b128 v[102:105], v228 offset:1824
	s_waitcnt vmcnt(28)
	v_fmac_f64_e32 v[82:83], v[80:81], v[198:199]
	v_add_f64 v[0:1], v[0:1], v[82:83]
	ds_read_b128 v[82:85], v228 offset:1744
	v_fma_f64 v[4:5], v[14:15], v[152:153], -v[4:5]
	s_waitcnt vmcnt(9) lgkmcnt(3)
	v_mul_f64 v[106:107], v[98:99], v[216:217]
	s_waitcnt vmcnt(8)
	v_fmac_f64_e32 v[106:107], v[100:101], v[218:219]
	v_add_f64 v[2:3], v[2:3], v[4:5]
	s_waitcnt lgkmcnt(0)
	v_mul_f64 v[94:95], v[82:83], v[202:203]
	v_fmac_f64_e32 v[94:95], v[84:85], v[204:205]
	v_add_f64 v[0:1], v[0:1], v[94:95]
	v_mul_f64 v[94:95], v[86:87], v[206:207]
	v_fmac_f64_e32 v[94:95], v[88:89], v[210:211]
	v_add_f64 v[0:1], v[0:1], v[94:95]
	;; [unrolled: 3-line block ×3, first 2 shown]
	ds_read_b128 v[94:97], v228 offset:1792
	v_mul_f64 v[4:5], v[20:21], v[128:129]
	v_fma_f64 v[4:5], v[18:19], v[130:131], -v[4:5]
	v_add_f64 v[2:3], v[2:3], v[4:5]
	v_mul_f64 v[4:5], v[24:25], v[156:157]
	s_waitcnt lgkmcnt(0)
	v_mul_f64 v[108:109], v[94:95], v[212:213]
	v_fmac_f64_e32 v[108:109], v[96:97], v[214:215]
	v_add_f64 v[0:1], v[0:1], v[108:109]
	v_add_f64 v[0:1], v[0:1], v[106:107]
	s_waitcnt vmcnt(6)
	v_mul_f64 v[106:107], v[102:103], v[220:221]
	s_waitcnt vmcnt(4)
	v_fmac_f64_e32 v[106:107], v[104:105], v[222:223]
	v_add_f64 v[0:1], v[0:1], v[106:107]
	ds_read_b128 v[106:109], v228 offset:1840
	v_fma_f64 v[4:5], v[22:23], v[160:161], -v[4:5]
	v_add_f64 v[2:3], v[2:3], v[4:5]
	v_mul_f64 v[4:5], v[28:29], v[132:133]
	v_fma_f64 v[4:5], v[26:27], v[134:135], -v[4:5]
	s_waitcnt vmcnt(1) lgkmcnt(0)
	v_mul_f64 v[110:111], v[106:107], v[224:225]
	s_waitcnt vmcnt(0)
	v_fmac_f64_e32 v[110:111], v[108:109], v[226:227]
	v_add_f64 v[114:115], v[0:1], v[110:111]
	buffer_load_dword v1, off, s[0:3], 0 offset:940
	buffer_load_dword v0, off, s[0:3], 0 offset:936
	;; [unrolled: 1-line block ×4, first 2 shown]
	ds_read_b128 v[110:113], v228 offset:1856
	buffer_load_dword v242, off, s[0:3], 0 offset:952
	buffer_load_dword v243, off, s[0:3], 0 offset:956
	;; [unrolled: 1-line block ×4, first 2 shown]
	v_add_f64 v[2:3], v[2:3], v[4:5]
	v_mul_f64 v[4:5], v[32:33], v[164:165]
	v_fma_f64 v[4:5], v[30:31], v[168:169], -v[4:5]
	v_add_f64 v[2:3], v[2:3], v[4:5]
	v_mul_f64 v[4:5], v[36:37], v[136:137]
	v_fma_f64 v[4:5], v[34:35], v[138:139], -v[4:5]
	;; [unrolled: 3-line block ×20, first 2 shown]
	v_add_f64 v[2:3], v[2:3], v[4:5]
	s_waitcnt vmcnt(6) lgkmcnt(0)
	v_mul_f64 v[116:117], v[110:111], v[0:1]
	v_mul_f64 v[0:1], v[112:113], v[0:1]
	s_waitcnt vmcnt(4)
	v_fmac_f64_e32 v[116:117], v[112:113], v[238:239]
	v_add_f64 v[118:119], v[114:115], v[116:117]
	ds_read_b128 v[114:117], v228 offset:1872
	buffer_load_dword v248, off, s[0:3], 0 offset:288
	buffer_load_dword v249, off, s[0:3], 0 offset:292
	;; [unrolled: 1-line block ×4, first 2 shown]
	v_fma_f64 v[0:1], v[110:111], v[238:239], -v[0:1]
	v_add_f64 v[0:1], v[2:3], v[0:1]
	s_waitcnt vmcnt(6) lgkmcnt(0)
	v_mul_f64 v[2:3], v[116:117], v[242:243]
	v_mul_f64 v[234:235], v[114:115], v[242:243]
	s_waitcnt vmcnt(4)
	v_fma_f64 v[2:3], v[114:115], v[244:245], -v[2:3]
	v_fmac_f64_e32 v[234:235], v[116:117], v[244:245]
	v_add_f64 v[0:1], v[0:1], v[2:3]
	v_add_f64 v[118:119], v[118:119], v[234:235]
	s_waitcnt vmcnt(2)
	v_add_f64 v[0:1], v[248:249], -v[0:1]
	s_waitcnt vmcnt(0)
	v_add_f64 v[2:3], v[246:247], -v[118:119]
	buffer_store_dword v1, off, s[0:3], 0 offset:292
	buffer_store_dword v0, off, s[0:3], 0 offset:288
	;; [unrolled: 1-line block ×4, first 2 shown]
	s_and_saveexec_b64 s[4:5], vcc
	s_cbranch_execz .LBB58_335
; %bb.334:
	v_accvgpr_read_b32 v0, a160
	buffer_load_dword v2, v0, s[0:3], 0 offen
	buffer_load_dword v3, v0, s[0:3], 0 offen offset:4
	buffer_load_dword v4, v0, s[0:3], 0 offen offset:8
	;; [unrolled: 1-line block ×3, first 2 shown]
	v_accvgpr_read_b32 v0, a177
	buffer_store_dword v228, off, s[0:3], 0 offset:272
	buffer_store_dword v228, off, s[0:3], 0 offset:276
	buffer_store_dword v228, off, s[0:3], 0 offset:280
	buffer_store_dword v228, off, s[0:3], 0 offset:284
	s_waitcnt vmcnt(4)
	ds_write_b128 v0, v[2:5]
.LBB58_335:
	s_or_b64 exec, exec, s[4:5]
	s_waitcnt lgkmcnt(0)
	; wave barrier
	s_waitcnt lgkmcnt(0)
	buffer_load_dword v58, off, s[0:3], 0 offset:288
	buffer_load_dword v59, off, s[0:3], 0 offset:292
	;; [unrolled: 1-line block ×42, first 2 shown]
	ds_read_b128 v[110:113], v228 offset:1216
	ds_read_b128 v[114:117], v228 offset:1232
	;; [unrolled: 1-line block ×10, first 2 shown]
	buffer_load_dword v1, off, s[0:3], 0 offset:436
	buffer_load_dword v0, off, s[0:3], 0 offset:432
	ds_read_b128 v[90:93], v228 offset:1376
	buffer_load_dword v105, off, s[0:3], 0 offset:492
	buffer_load_dword v104, off, s[0:3], 0 offset:488
	;; [unrolled: 1-line block ×6, first 2 shown]
	s_waitcnt vmcnt(46) lgkmcnt(10)
	v_mul_f64 v[2:3], v[110:111], v[60:61]
	v_fmac_f64_e32 v[2:3], v[112:113], v[58:59]
	v_add_f64 v[2:3], v[2:3], 0
	v_mul_f64 v[60:61], v[112:113], v[60:61]
	s_waitcnt vmcnt(42) lgkmcnt(9)
	v_mul_f64 v[4:5], v[114:115], v[62:63]
	v_fmac_f64_e32 v[4:5], v[116:117], v[56:57]
	v_add_f64 v[2:3], v[2:3], v[4:5]
	buffer_load_dword v119, off, s[0:3], 0 offset:468
	buffer_load_dword v118, off, s[0:3], 0 offset:464
	;; [unrolled: 1-line block ×4, first 2 shown]
	s_waitcnt vmcnt(44) lgkmcnt(8)
	v_mul_f64 v[6:7], v[212:213], v[220:221]
	s_waitcnt vmcnt(42) lgkmcnt(6)
	v_mul_f64 v[10:11], v[224:225], v[64:65]
	s_waitcnt vmcnt(40)
	v_fmac_f64_e32 v[10:11], v[226:227], v[66:67]
	s_waitcnt vmcnt(38)
	v_mul_f64 v[8:9], v[216:217], v[68:69]
	s_waitcnt vmcnt(36) lgkmcnt(4)
	v_mul_f64 v[14:15], v[236:237], v[70:71]
	s_waitcnt vmcnt(34)
	v_fmac_f64_e32 v[14:15], v[238:239], v[72:73]
	s_waitcnt vmcnt(32)
	v_mul_f64 v[12:13], v[230:231], v[74:75]
	s_waitcnt vmcnt(30) lgkmcnt(2)
	v_mul_f64 v[18:19], v[244:245], v[78:79]
	v_mul_f64 v[78:79], v[246:247], v[78:79]
	s_waitcnt vmcnt(27)
	v_mul_f64 v[16:17], v[240:241], v[76:77]
	s_waitcnt vmcnt(25) lgkmcnt(1)
	v_mul_f64 v[20:21], v[82:83], v[86:87]
	s_waitcnt vmcnt(23)
	v_fmac_f64_e32 v[6:7], v[214:215], v[100:101]
	v_add_f64 v[2:3], v[2:3], v[6:7]
	s_waitcnt vmcnt(21)
	v_fmac_f64_e32 v[8:9], v[218:219], v[98:99]
	v_add_f64 v[2:3], v[2:3], v[8:9]
	;; [unrolled: 3-line block ×3, first 2 shown]
	v_add_f64 v[2:3], v[2:3], v[12:13]
	s_waitcnt vmcnt(17)
	v_fmac_f64_e32 v[16:17], v[242:243], v[88:89]
	v_add_f64 v[2:3], v[2:3], v[14:15]
	s_waitcnt vmcnt(16)
	v_fmac_f64_e32 v[18:19], v[246:247], v[80:81]
	v_add_f64 v[2:3], v[2:3], v[16:17]
	v_add_f64 v[2:3], v[2:3], v[18:19]
	v_fma_f64 v[246:247], v[244:245], v[80:81], -v[78:79]
	s_waitcnt vmcnt(10)
	v_fmac_f64_e32 v[20:21], v[84:85], v[0:1]
	v_add_f64 v[2:3], v[2:3], v[20:21]
	v_mul_f64 v[84:85], v[84:85], v[86:87]
	s_waitcnt vmcnt(0)
	v_pk_mov_b32 v[18:19], v[4:5], v[4:5] op_sel:[0,1]
	buffer_load_dword v5, off, s[0:3], 0 offset:516
	buffer_load_dword v4, off, s[0:3], 0 offset:512
	v_accvgpr_write_b32 a179, v19
	v_accvgpr_write_b32 a178, v18
	s_waitcnt vmcnt(0)
	v_pk_mov_b32 v[22:23], v[4:5], v[4:5] op_sel:[0,1]
	buffer_load_dword v137, off, s[0:3], 0 offset:508
	buffer_load_dword v136, off, s[0:3], 0 offset:504
	;; [unrolled: 1-line block ×6, first 2 shown]
	v_accvgpr_write_b32 a181, v23
	v_accvgpr_write_b32 a180, v22
	s_waitcnt vmcnt(0)
	v_pk_mov_b32 v[26:27], v[4:5], v[4:5] op_sel:[0,1]
	buffer_load_dword v5, off, s[0:3], 0 offset:548
	buffer_load_dword v4, off, s[0:3], 0 offset:544
	;; [unrolled: 1-line block ×62, first 2 shown]
	ds_read_b128 v[248:251], v228 offset:1392
	ds_read_b128 v[252:255], v228 offset:1408
	;; [unrolled: 1-line block ×4, first 2 shown]
	v_accvgpr_write_b32 a183, v27
	v_accvgpr_write_b32 a182, v26
	s_waitcnt lgkmcnt(2)
	v_mul_f64 v[8:9], v[252:253], v[104:105]
	v_fmac_f64_e32 v[8:9], v[254:255], v[106:107]
	s_waitcnt lgkmcnt(1)
	v_mul_f64 v[12:13], v[120:121], v[136:137]
	v_fmac_f64_e32 v[12:13], v[122:123], v[140:141]
	;; [unrolled: 3-line block ×3, first 2 shown]
	s_waitcnt vmcnt(60)
	v_pk_mov_b32 v[28:29], v[4:5], v[4:5] op_sel:[0,1]
	v_mul_f64 v[4:5], v[90:91], v[96:97]
	v_fmac_f64_e32 v[4:5], v[92:93], v[102:103]
	v_add_f64 v[2:3], v[2:3], v[4:5]
	v_mul_f64 v[4:5], v[248:249], v[108:109]
	v_fmac_f64_e32 v[4:5], v[250:251], v[118:119]
	v_add_f64 v[6:7], v[2:3], v[4:5]
	v_add_f64 v[10:11], v[6:7], v[8:9]
	v_add_f64 v[14:15], v[10:11], v[12:13]
	ds_read_b128 v[10:13], v228 offset:1456
	v_add_f64 v[18:19], v[14:15], v[16:17]
	ds_read_b128 v[14:17], v228 offset:1472
	v_accvgpr_write_b32 a185, v29
	v_accvgpr_write_b32 a184, v28
	s_waitcnt vmcnt(58) lgkmcnt(1)
	v_mul_f64 v[20:21], v[10:11], v[144:145]
	s_waitcnt vmcnt(56)
	v_fmac_f64_e32 v[20:21], v[12:13], v[148:149]
	v_add_f64 v[22:23], v[18:19], v[20:21]
	ds_read_b128 v[18:21], v228 offset:1488
	s_waitcnt lgkmcnt(1)
	v_mul_f64 v[24:25], v[14:15], v[26:27]
	v_fmac_f64_e32 v[24:25], v[16:17], v[28:29]
	v_add_f64 v[26:27], v[22:23], v[24:25]
	ds_read_b128 v[22:25], v228 offset:1504
	s_waitcnt vmcnt(50) lgkmcnt(1)
	v_mul_f64 v[28:29], v[18:19], v[152:153]
	s_waitcnt vmcnt(48)
	v_fmac_f64_e32 v[28:29], v[20:21], v[156:157]
	v_add_f64 v[30:31], v[26:27], v[28:29]
	ds_read_b128 v[26:29], v228 offset:1520
	s_waitcnt lgkmcnt(1)
	v_mul_f64 v[32:33], v[22:23], v[128:129]
	v_fmac_f64_e32 v[32:33], v[24:25], v[130:131]
	v_add_f64 v[34:35], v[30:31], v[32:33]
	ds_read_b128 v[30:33], v228 offset:1536
	;; [unrolled: 11-line block ×4, first 2 shown]
	s_waitcnt vmcnt(26) lgkmcnt(1)
	v_mul_f64 v[52:53], v[42:43], v[176:177]
	s_waitcnt vmcnt(24)
	v_fmac_f64_e32 v[52:53], v[44:45], v[178:179]
	v_add_f64 v[234:235], v[50:51], v[52:53]
	ds_read_b128 v[50:53], v228 offset:1616
	buffer_load_dword v127, off, s[0:3], 0 offset:796
	buffer_load_dword v126, off, s[0:3], 0 offset:792
	;; [unrolled: 1-line block ×20, first 2 shown]
	v_mul_f64 v[4:5], v[116:117], v[62:63]
	v_fma_f64 v[6:7], v[114:115], v[56:57], -v[4:5]
	v_mul_f64 v[56:57], v[214:215], v[220:221]
	v_fma_f64 v[8:9], v[110:111], v[58:59], -v[60:61]
	v_fma_f64 v[58:59], v[212:213], v[100:101], -v[56:57]
	v_mul_f64 v[56:57], v[218:219], v[68:69]
	v_fma_f64 v[60:61], v[216:217], v[98:99], -v[56:57]
	buffer_load_dword v214, off, s[0:3], 0 offset:872
	buffer_load_dword v216, off, s[0:3], 0 offset:864
	;; [unrolled: 1-line block ×12, first 2 shown]
	s_waitcnt lgkmcnt(1)
	v_mul_f64 v[54:55], v[46:47], v[146:147]
	v_fmac_f64_e32 v[54:55], v[48:49], v[150:151]
	v_add_f64 v[62:63], v[234:235], v[54:55]
	v_mul_f64 v[54:55], v[226:227], v[64:65]
	v_fma_f64 v[234:235], v[224:225], v[66:67], -v[54:55]
	buffer_load_dword v225, off, s[0:3], 0 offset:924
	buffer_load_dword v224, off, s[0:3], 0 offset:920
	;; [unrolled: 1-line block ×4, first 2 shown]
	s_waitcnt vmcnt(54) lgkmcnt(0)
	v_mul_f64 v[64:65], v[50:51], v[180:181]
	ds_read_b128 v[54:57], v228 offset:1632
	s_waitcnt vmcnt(52)
	v_fmac_f64_e32 v[64:65], v[52:53], v[182:183]
	v_add_f64 v[62:63], v[62:63], v[64:65]
	v_mul_f64 v[64:65], v[232:233], v[74:75]
	v_fma_f64 v[4:5], v[230:231], v[94:95], -v[64:65]
	ds_read_b128 v[230:233], v228 offset:1648
	s_waitcnt lgkmcnt(1)
	v_mul_f64 v[64:65], v[54:55], v[154:155]
	v_fmac_f64_e32 v[64:65], v[56:57], v[158:159]
	v_add_f64 v[74:75], v[62:63], v[64:65]
	ds_read_b128 v[62:65], v228 offset:1664
	v_mul_f64 v[66:67], v[238:239], v[70:71]
	s_waitcnt vmcnt(46) lgkmcnt(1)
	v_mul_f64 v[70:71], v[230:231], v[184:185]
	v_fma_f64 v[236:237], v[236:237], v[72:73], -v[66:67]
	ds_read_b128 v[66:69], v228 offset:1680
	s_waitcnt vmcnt(44)
	v_fmac_f64_e32 v[70:71], v[232:233], v[186:187]
	v_add_f64 v[74:75], v[74:75], v[70:71]
	v_mul_f64 v[70:71], v[242:243], v[76:77]
	v_fma_f64 v[240:241], v[240:241], v[88:89], -v[70:71]
	ds_read_b128 v[70:73], v228 offset:1696
	ds_read_b128 v[78:81], v228 offset:1728
	s_waitcnt lgkmcnt(3)
	v_mul_f64 v[94:95], v[62:63], v[162:163]
	v_fmac_f64_e32 v[94:95], v[64:65], v[166:167]
	s_waitcnt vmcnt(38) lgkmcnt(2)
	v_mul_f64 v[76:77], v[66:67], v[188:189]
	v_add_f64 v[74:75], v[74:75], v[94:95]
	s_waitcnt vmcnt(36)
	v_fmac_f64_e32 v[76:77], v[68:69], v[190:191]
	v_add_f64 v[74:75], v[74:75], v[76:77]
	s_waitcnt lgkmcnt(1)
	v_mul_f64 v[76:77], v[70:71], v[170:171]
	v_fmac_f64_e32 v[76:77], v[72:73], v[174:175]
	v_add_f64 v[88:89], v[74:75], v[76:77]
	ds_read_b128 v[74:77], v228 offset:1712
	v_fma_f64 v[2:3], v[82:83], v[0:1], -v[84:85]
	ds_read_b128 v[82:85], v228 offset:1744
	v_mul_f64 v[92:93], v[92:93], v[96:97]
	v_fma_f64 v[0:1], v[90:91], v[102:103], -v[92:93]
	v_mul_f64 v[98:99], v[250:251], v[108:109]
	v_fma_f64 v[250:251], v[248:249], v[118:119], -v[98:99]
	ds_read_b128 v[98:101], v228 offset:1792
	v_mul_f64 v[102:103], v[254:255], v[104:105]
	v_fma_f64 v[252:253], v[252:253], v[106:107], -v[102:103]
	ds_read_b128 v[102:105], v228 offset:1824
	v_add_f64 v[8:9], v[8:9], 0
	v_add_f64 v[6:7], v[8:9], v[6:7]
	v_add_f64 v[6:7], v[6:7], v[58:59]
	v_add_f64 v[6:7], v[6:7], v[60:61]
	v_add_f64 v[6:7], v[6:7], v[234:235]
	v_add_f64 v[4:5], v[6:7], v[4:5]
	v_add_f64 v[4:5], v[4:5], v[236:237]
	v_add_f64 v[4:5], v[4:5], v[240:241]
	ds_read_b128 v[90:93], v228 offset:1776
	v_add_f64 v[4:5], v[4:5], v[246:247]
	v_add_f64 v[2:3], v[4:5], v[2:3]
	;; [unrolled: 1-line block ×4, first 2 shown]
	v_mul_f64 v[2:3], v[122:123], v[136:137]
	v_add_f64 v[0:1], v[0:1], v[252:253]
	s_waitcnt vmcnt(25) lgkmcnt(3)
	v_mul_f64 v[96:97], v[82:83], v[202:203]
	v_fma_f64 v[2:3], v[120:121], v[140:141], -v[2:3]
	s_waitcnt vmcnt(23)
	v_fmac_f64_e32 v[96:97], v[84:85], v[208:209]
	v_add_f64 v[0:1], v[0:1], v[2:3]
	v_mul_f64 v[94:95], v[74:75], v[126:127]
	v_accvgpr_read_b32 v2, a178
	v_fmac_f64_e32 v[94:95], v[76:77], v[124:125]
	v_mul_f64 v[86:87], v[78:79], v[198:199]
	v_add_f64 v[88:89], v[88:89], v[94:95]
	v_fmac_f64_e32 v[86:87], v[80:81], v[200:201]
	v_add_f64 v[94:95], v[88:89], v[86:87]
	ds_read_b128 v[86:89], v228 offset:1760
	v_add_f64 v[94:95], v[94:95], v[96:97]
	v_accvgpr_read_b32 v3, a179
	v_accvgpr_read_b32 v4, a180
	v_mul_f64 v[2:3], v[194:195], v[2:3]
	s_waitcnt vmcnt(22) lgkmcnt(0)
	v_mul_f64 v[96:97], v[86:87], v[196:197]
	s_waitcnt vmcnt(20)
	v_fmac_f64_e32 v[96:97], v[88:89], v[206:207]
	v_add_f64 v[94:95], v[94:95], v[96:97]
	s_waitcnt vmcnt(18)
	v_mul_f64 v[96:97], v[90:91], v[204:205]
	s_waitcnt vmcnt(16)
	v_fmac_f64_e32 v[96:97], v[92:93], v[210:211]
	v_add_f64 v[108:109], v[94:95], v[96:97]
	ds_read_b128 v[94:97], v228 offset:1808
	s_waitcnt vmcnt(13)
	v_mul_f64 v[106:107], v[98:99], v[214:215]
	s_waitcnt vmcnt(12)
	v_fmac_f64_e32 v[106:107], v[100:101], v[216:217]
	v_add_f64 v[106:107], v[108:109], v[106:107]
	v_accvgpr_read_b32 v5, a181
	s_waitcnt vmcnt(9) lgkmcnt(0)
	v_mul_f64 v[108:109], v[94:95], v[220:221]
	s_waitcnt vmcnt(7)
	v_fmac_f64_e32 v[108:109], v[96:97], v[222:223]
	v_add_f64 v[106:107], v[106:107], v[108:109]
	s_waitcnt vmcnt(5)
	v_mul_f64 v[108:109], v[102:103], v[212:213]
	s_waitcnt vmcnt(4)
	v_fmac_f64_e32 v[108:109], v[104:105], v[218:219]
	v_add_f64 v[110:111], v[106:107], v[108:109]
	ds_read_b128 v[106:109], v228 offset:1840
	buffer_load_dword v118, off, s[0:3], 0 offset:936
	buffer_load_dword v119, off, s[0:3], 0 offset:940
	;; [unrolled: 1-line block ×4, first 2 shown]
	v_fma_f64 v[2:3], v[192:193], v[4:5], -v[2:3]
	v_add_f64 v[0:1], v[0:1], v[2:3]
	v_mul_f64 v[2:3], v[12:13], v[144:145]
	s_waitcnt vmcnt(6) lgkmcnt(0)
	v_mul_f64 v[112:113], v[106:107], v[224:225]
	s_waitcnt vmcnt(4)
	v_fmac_f64_e32 v[112:113], v[108:109], v[226:227]
	v_add_f64 v[114:115], v[110:111], v[112:113]
	ds_read_b128 v[110:113], v228 offset:1856
	buffer_load_dword v243, off, s[0:3], 0 offset:956
	buffer_load_dword v242, off, s[0:3], 0 offset:952
	;; [unrolled: 1-line block ×4, first 2 shown]
	v_fma_f64 v[2:3], v[10:11], v[148:149], -v[2:3]
	v_add_f64 v[0:1], v[0:1], v[2:3]
	v_accvgpr_read_b32 v2, a182
	v_accvgpr_read_b32 v3, a183
	;; [unrolled: 1-line block ×3, first 2 shown]
	v_mul_f64 v[2:3], v[16:17], v[2:3]
	v_accvgpr_read_b32 v5, a185
	v_fma_f64 v[2:3], v[14:15], v[4:5], -v[2:3]
	v_add_f64 v[0:1], v[0:1], v[2:3]
	v_mul_f64 v[2:3], v[20:21], v[152:153]
	v_fma_f64 v[2:3], v[18:19], v[156:157], -v[2:3]
	v_add_f64 v[0:1], v[0:1], v[2:3]
	v_mul_f64 v[2:3], v[24:25], v[128:129]
	;; [unrolled: 3-line block ×20, first 2 shown]
	v_fma_f64 v[2:3], v[98:99], v[216:217], -v[2:3]
	v_add_f64 v[0:1], v[0:1], v[2:3]
	s_waitcnt vmcnt(6) lgkmcnt(0)
	v_mul_f64 v[116:117], v[110:111], v[118:119]
	v_mul_f64 v[2:3], v[96:97], v[220:221]
	s_waitcnt vmcnt(4)
	v_fmac_f64_e32 v[116:117], v[112:113], v[238:239]
	v_add_f64 v[248:249], v[114:115], v[116:117]
	ds_read_b128 v[114:117], v228 offset:1872
	v_fma_f64 v[2:3], v[94:95], v[222:223], -v[2:3]
	v_add_f64 v[0:1], v[0:1], v[2:3]
	v_mul_f64 v[2:3], v[104:105], v[212:213]
	v_fma_f64 v[2:3], v[102:103], v[218:219], -v[2:3]
	s_waitcnt vmcnt(2) lgkmcnt(0)
	v_mul_f64 v[228:229], v[114:115], v[242:243]
	s_waitcnt vmcnt(0)
	v_fmac_f64_e32 v[228:229], v[116:117], v[244:245]
	v_add_f64 v[228:229], v[248:249], v[228:229]
	buffer_load_dword v248, off, s[0:3], 0 offset:272
	buffer_load_dword v249, off, s[0:3], 0 offset:276
	;; [unrolled: 1-line block ×4, first 2 shown]
	v_add_f64 v[0:1], v[0:1], v[2:3]
	v_mul_f64 v[2:3], v[108:109], v[224:225]
	v_fma_f64 v[2:3], v[106:107], v[226:227], -v[2:3]
	v_add_f64 v[0:1], v[0:1], v[2:3]
	v_mul_f64 v[2:3], v[112:113], v[118:119]
	v_fma_f64 v[2:3], v[110:111], v[238:239], -v[2:3]
	;; [unrolled: 3-line block ×3, first 2 shown]
	v_add_f64 v[0:1], v[0:1], v[2:3]
	s_waitcnt vmcnt(2)
	v_add_f64 v[0:1], v[248:249], -v[0:1]
	s_waitcnt vmcnt(0)
	v_add_f64 v[2:3], v[246:247], -v[228:229]
	v_accvgpr_read_b32 v229, a176
	v_cmp_lt_u32_e32 vcc, 15, v229
	buffer_store_dword v1, off, s[0:3], 0 offset:276
	buffer_store_dword v0, off, s[0:3], 0 offset:272
	;; [unrolled: 1-line block ×4, first 2 shown]
	s_and_saveexec_b64 s[4:5], vcc
	s_cbranch_execz .LBB58_337
; %bb.336:
	v_accvgpr_read_b32 v0, a161
	buffer_load_dword v2, v0, s[0:3], 0 offen
	buffer_load_dword v3, v0, s[0:3], 0 offen offset:4
	buffer_load_dword v4, v0, s[0:3], 0 offen offset:8
	;; [unrolled: 1-line block ×3, first 2 shown]
	v_mov_b32_e32 v0, 0
	v_accvgpr_read_b32 v1, a177
	buffer_store_dword v0, off, s[0:3], 0 offset:256
	buffer_store_dword v0, off, s[0:3], 0 offset:260
	;; [unrolled: 1-line block ×4, first 2 shown]
	s_waitcnt vmcnt(4)
	ds_write_b128 v1, v[2:5]
.LBB58_337:
	s_or_b64 exec, exec, s[4:5]
	s_waitcnt lgkmcnt(0)
	; wave barrier
	s_waitcnt lgkmcnt(0)
	buffer_load_dword v50, off, s[0:3], 0 offset:272
	buffer_load_dword v51, off, s[0:3], 0 offset:276
	;; [unrolled: 1-line block ×54, first 2 shown]
	v_mov_b32_e32 v228, 0
	ds_read_b128 v[102:105], v228 offset:1200
	ds_read_b128 v[106:109], v228 offset:1216
	;; [unrolled: 1-line block ×9, first 2 shown]
	v_cmp_lt_u32_e32 vcc, 14, v229
	s_waitcnt vmcnt(46) lgkmcnt(7)
	v_mul_f64 v[2:3], v[106:107], v[58:59]
	v_fmac_f64_e32 v[2:3], v[108:109], v[52:53]
	s_waitcnt vmcnt(44) lgkmcnt(6)
	v_mul_f64 v[4:5], v[110:111], v[54:55]
	s_waitcnt vmcnt(42) lgkmcnt(4)
	v_mul_f64 v[8:9], v[208:209], v[212:213]
	s_waitcnt vmcnt(40)
	v_fmac_f64_e32 v[8:9], v[210:211], v[60:61]
	s_waitcnt vmcnt(38)
	v_mul_f64 v[6:7], v[114:115], v[214:215]
	s_waitcnt vmcnt(36) lgkmcnt(2)
	v_mul_f64 v[12:13], v[230:231], v[66:67]
	v_mul_f64 v[66:67], v[232:233], v[66:67]
	s_waitcnt vmcnt(34)
	v_fmac_f64_e32 v[12:13], v[232:233], v[70:71]
	s_waitcnt vmcnt(32)
	v_mul_f64 v[10:11], v[224:225], v[76:77]
	s_waitcnt vmcnt(30) lgkmcnt(1)
	v_mul_f64 v[14:15], v[236:237], v[68:69]
	s_waitcnt vmcnt(28)
	v_fmac_f64_e32 v[4:5], v[112:113], v[82:83]
	s_waitcnt vmcnt(26)
	v_fmac_f64_e32 v[6:7], v[116:117], v[80:81]
	;; [unrolled: 2-line block ×4, first 2 shown]
	s_waitcnt vmcnt(0)
	v_pk_mov_b32 v[16:17], v[0:1], v[0:1] op_sel:[0,1]
	v_mul_f64 v[0:1], v[102:103], v[56:57]
	v_fmac_f64_e32 v[0:1], v[104:105], v[50:51]
	v_add_f64 v[0:1], v[0:1], 0
	v_add_f64 v[0:1], v[0:1], v[2:3]
	;; [unrolled: 1-line block ×7, first 2 shown]
	buffer_load_dword v1, off, s[0:3], 0 offset:500
	buffer_load_dword v0, off, s[0:3], 0 offset:496
	v_add_f64 v[2:3], v[2:3], v[14:15]
	v_accvgpr_write_b32 a179, v17
	v_accvgpr_write_b32 a178, v16
	v_mul_f64 v[56:57], v[104:105], v[56:57]
	s_waitcnt vmcnt(0)
	v_pk_mov_b32 v[18:19], v[0:1], v[0:1] op_sel:[0,1]
	buffer_load_dword v181, off, s[0:3], 0 offset:492
	buffer_load_dword v180, off, s[0:3], 0 offset:488
	;; [unrolled: 1-line block ×6, first 2 shown]
	v_accvgpr_write_b32 a181, v19
	v_accvgpr_write_b32 a180, v18
	s_waitcnt vmcnt(0)
	v_pk_mov_b32 v[22:23], v[4:5], v[4:5] op_sel:[0,1]
	buffer_load_dword v5, off, s[0:3], 0 offset:532
	buffer_load_dword v4, off, s[0:3], 0 offset:528
	;; [unrolled: 1-line block ×54, first 2 shown]
	ds_read_b128 v[244:247], v228 offset:1344
	ds_read_b128 v[248:251], v228 offset:1360
	;; [unrolled: 1-line block ×7, first 2 shown]
	v_accvgpr_write_b32 a183, v23
	v_accvgpr_write_b32 a182, v22
	s_waitcnt lgkmcnt(2)
	v_mul_f64 v[8:9], v[62:63], v[180:181]
	v_fmac_f64_e32 v[8:9], v[64:65], v[0:1]
	s_waitcnt lgkmcnt(1)
	v_mul_f64 v[12:13], v[126:127], v[16:17]
	v_fmac_f64_e32 v[12:13], v[128:129], v[18:19]
	s_waitcnt vmcnt(52)
	v_pk_mov_b32 v[24:25], v[4:5], v[4:5] op_sel:[0,1]
	v_mul_f64 v[4:5], v[240:241], v[74:75]
	v_fmac_f64_e32 v[4:5], v[242:243], v[84:85]
	v_add_f64 v[2:3], v[2:3], v[4:5]
	v_mul_f64 v[4:5], v[244:245], v[90:91]
	v_fmac_f64_e32 v[4:5], v[246:247], v[92:93]
	v_add_f64 v[2:3], v[2:3], v[4:5]
	v_mul_f64 v[4:5], v[248:249], v[86:87]
	v_fmac_f64_e32 v[4:5], v[250:251], v[88:89]
	v_add_f64 v[2:3], v[2:3], v[4:5]
	v_mul_f64 v[4:5], v[252:253], v[98:99]
	v_fmac_f64_e32 v[4:5], v[254:255], v[100:101]
	v_add_f64 v[2:3], v[2:3], v[4:5]
	v_mul_f64 v[4:5], v[118:119], v[94:95]
	v_fmac_f64_e32 v[4:5], v[120:121], v[96:97]
	v_add_f64 v[6:7], v[2:3], v[4:5]
	v_add_f64 v[10:11], v[6:7], v[8:9]
	v_add_f64 v[14:15], v[10:11], v[12:13]
	ds_read_b128 v[10:13], v228 offset:1456
	s_waitcnt vmcnt(50) lgkmcnt(1)
	v_mul_f64 v[16:17], v[122:123], v[140:141]
	s_waitcnt vmcnt(48)
	v_fmac_f64_e32 v[16:17], v[124:125], v[144:145]
	v_add_f64 v[18:19], v[14:15], v[16:17]
	ds_read_b128 v[14:17], v228 offset:1472
	s_waitcnt lgkmcnt(1)
	v_mul_f64 v[20:21], v[10:11], v[22:23]
	v_fmac_f64_e32 v[20:21], v[12:13], v[24:25]
	v_add_f64 v[22:23], v[18:19], v[20:21]
	ds_read_b128 v[18:21], v228 offset:1488
	v_accvgpr_write_b32 a185, v25
	v_accvgpr_write_b32 a184, v24
	s_waitcnt vmcnt(42) lgkmcnt(1)
	v_mul_f64 v[24:25], v[14:15], v[148:149]
	s_waitcnt vmcnt(40)
	v_fmac_f64_e32 v[24:25], v[16:17], v[152:153]
	s_waitcnt lgkmcnt(0)
	v_mul_f64 v[28:29], v[18:19], v[234:235]
	v_add_f64 v[26:27], v[22:23], v[24:25]
	ds_read_b128 v[22:25], v228 offset:1504
	v_fmac_f64_e32 v[28:29], v[20:21], v[130:131]
	v_add_f64 v[30:31], v[26:27], v[28:29]
	ds_read_b128 v[26:29], v228 offset:1520
	v_fma_f64 v[6:7], v[102:103], v[50:51], -v[56:57]
	s_waitcnt vmcnt(34) lgkmcnt(1)
	v_mul_f64 v[32:33], v[22:23], v[156:157]
	s_waitcnt vmcnt(32)
	v_fmac_f64_e32 v[32:33], v[24:25], v[160:161]
	v_add_f64 v[34:35], v[30:31], v[32:33]
	s_waitcnt lgkmcnt(0)
	v_mul_f64 v[36:37], v[26:27], v[132:133]
	ds_read_b128 v[30:33], v228 offset:1536
	v_fmac_f64_e32 v[36:37], v[28:29], v[134:135]
	v_add_f64 v[38:39], v[34:35], v[36:37]
	ds_read_b128 v[34:37], v228 offset:1552
	v_mul_f64 v[50:51], v[108:109], v[58:59]
	s_waitcnt vmcnt(26) lgkmcnt(1)
	v_mul_f64 v[40:41], v[30:31], v[164:165]
	s_waitcnt vmcnt(24)
	v_fmac_f64_e32 v[40:41], v[32:33], v[166:167]
	v_add_f64 v[42:43], v[38:39], v[40:41]
	s_waitcnt lgkmcnt(0)
	v_mul_f64 v[44:45], v[34:35], v[136:137]
	v_fmac_f64_e32 v[44:45], v[36:37], v[138:139]
	ds_read_b128 v[38:41], v228 offset:1568
	v_add_f64 v[46:47], v[42:43], v[44:45]
	ds_read_b128 v[42:45], v228 offset:1584
	buffer_load_dword v9, off, s[0:3], 0 offset:764
	buffer_load_dword v183, off, s[0:3], 0 offset:748
	;; [unrolled: 1-line block ×8, first 2 shown]
	v_fma_f64 v[102:103], v[106:107], v[52:53], -v[50:51]
	s_waitcnt vmcnt(26) lgkmcnt(1)
	v_mul_f64 v[48:49], v[38:39], v[168:169]
	s_waitcnt vmcnt(24)
	v_fmac_f64_e32 v[48:49], v[40:41], v[170:171]
	v_add_f64 v[192:193], v[46:47], v[48:49]
	ds_read_b128 v[46:49], v228 offset:1600
	buffer_load_dword v189, off, s[0:3], 0 offset:780
	buffer_load_dword v188, off, s[0:3], 0 offset:776
	;; [unrolled: 1-line block ×4, first 2 shown]
	s_waitcnt lgkmcnt(1)
	v_mul_f64 v[194:195], v[42:43], v[142:143]
	v_fmac_f64_e32 v[194:195], v[44:45], v[146:147]
	v_add_f64 v[2:3], v[192:193], v[194:195]
	buffer_load_dword v193, off, s[0:3], 0 offset:796
	buffer_load_dword v192, off, s[0:3], 0 offset:792
	;; [unrolled: 1-line block ×12, first 2 shown]
	v_mul_f64 v[50:51], v[112:113], v[54:55]
	buffer_load_dword v205, off, s[0:3], 0 offset:844
	buffer_load_dword v204, off, s[0:3], 0 offset:840
	;; [unrolled: 1-line block ×4, first 2 shown]
	v_fma_f64 v[104:105], v[110:111], v[82:83], -v[50:51]
	v_mul_f64 v[50:51], v[116:117], v[214:215]
	v_fma_f64 v[106:107], v[114:115], v[80:81], -v[50:51]
	v_mul_f64 v[50:51], v[210:211], v[212:213]
	buffer_load_dword v211, off, s[0:3], 0 offset:860
	buffer_load_dword v210, off, s[0:3], 0 offset:856
	;; [unrolled: 1-line block ×4, first 2 shown]
	v_fma_f64 v[108:109], v[208:209], v[60:61], -v[50:51]
	buffer_load_dword v209, off, s[0:3], 0 offset:892
	buffer_load_dword v215, off, s[0:3], 0 offset:876
	;; [unrolled: 1-line block ×12, first 2 shown]
	ds_read_b128 v[50:53], v228 offset:1616
	v_mul_f64 v[54:55], v[226:227], v[76:77]
	v_fma_f64 v[226:227], v[224:225], v[78:79], -v[54:55]
	ds_read_b128 v[54:57], v228 offset:1632
	s_waitcnt vmcnt(54) lgkmcnt(2)
	v_mul_f64 v[58:59], v[46:47], v[172:173]
	s_waitcnt vmcnt(52)
	v_fmac_f64_e32 v[58:59], v[48:49], v[174:175]
	v_add_f64 v[2:3], v[2:3], v[58:59]
	s_waitcnt lgkmcnt(1)
	v_mul_f64 v[58:59], v[50:51], v[150:151]
	v_fmac_f64_e32 v[58:59], v[52:53], v[154:155]
	v_add_f64 v[2:3], v[2:3], v[58:59]
	s_waitcnt vmcnt(46) lgkmcnt(0)
	v_mul_f64 v[58:59], v[54:55], v[176:177]
	s_waitcnt vmcnt(44)
	v_fmac_f64_e32 v[58:59], v[56:57], v[178:179]
	v_add_f64 v[2:3], v[2:3], v[58:59]
	ds_read_b128 v[58:61], v228 offset:1648
	v_fma_f64 v[4:5], v[230:231], v[70:71], -v[66:67]
	ds_read_b128 v[230:233], v228 offset:1664
	v_mul_f64 v[66:67], v[238:239], v[68:69]
	v_fma_f64 v[236:237], v[236:237], v[72:73], -v[66:67]
	ds_read_b128 v[66:69], v228 offset:1680
	s_waitcnt lgkmcnt(2)
	v_mul_f64 v[70:71], v[58:59], v[158:159]
	v_fmac_f64_e32 v[70:71], v[60:61], v[162:163]
	v_add_f64 v[2:3], v[2:3], v[70:71]
	v_mul_f64 v[74:75], v[242:243], v[74:75]
	v_fma_f64 v[240:241], v[240:241], v[84:85], -v[74:75]
	ds_read_b128 v[74:77], v228 offset:1712
	v_mul_f64 v[78:79], v[246:247], v[90:91]
	v_fma_f64 v[246:247], v[244:245], v[92:93], -v[78:79]
	v_mul_f64 v[86:87], v[250:251], v[86:87]
	v_fma_f64 v[248:249], v[248:249], v[88:89], -v[86:87]
	v_mul_f64 v[94:95], v[120:121], v[94:95]
	buffer_load_dword v224, off, s[0:3], 0 offset:920
	v_add_f64 v[6:7], v[6:7], 0
	v_add_f64 v[6:7], v[6:7], v[102:103]
	;; [unrolled: 1-line block ×6, first 2 shown]
	ds_read_b128 v[78:81], v228 offset:1728
	v_add_f64 v[4:5], v[6:7], v[4:5]
	v_add_f64 v[4:5], v[4:5], v[236:237]
	v_add_f64 v[4:5], v[4:5], v[240:241]
	v_add_f64 v[4:5], v[4:5], v[246:247]
	v_add_f64 v[4:5], v[4:5], v[248:249]
	v_accvgpr_read_b32 v6, a178
	v_accvgpr_read_b32 v7, a179
	;; [unrolled: 1-line block ×3, first 2 shown]
	v_mul_f64 v[6:7], v[128:129], v[6:7]
	v_accvgpr_read_b32 v103, a181
	ds_read_b128 v[86:89], v228 offset:1760
	v_fma_f64 v[6:7], v[126:127], v[102:103], -v[6:7]
	s_waitcnt vmcnt(42) lgkmcnt(4)
	v_mul_f64 v[70:71], v[230:231], v[182:183]
	s_waitcnt vmcnt(40)
	v_fmac_f64_e32 v[70:71], v[232:233], v[186:187]
	v_add_f64 v[2:3], v[2:3], v[70:71]
	s_waitcnt vmcnt(39) lgkmcnt(3)
	v_mul_f64 v[70:71], v[66:67], v[8:9]
	s_waitcnt vmcnt(37)
	v_fmac_f64_e32 v[70:71], v[68:69], v[184:185]
	v_add_f64 v[2:3], v[2:3], v[70:71]
	ds_read_b128 v[70:73], v228 offset:1696
	s_waitcnt vmcnt(35) lgkmcnt(0)
	v_mul_f64 v[82:83], v[70:71], v[188:189]
	s_waitcnt vmcnt(33)
	v_fmac_f64_e32 v[82:83], v[72:73], v[190:191]
	v_add_f64 v[2:3], v[2:3], v[82:83]
	s_waitcnt vmcnt(31)
	v_mul_f64 v[82:83], v[74:75], v[192:193]
	s_waitcnt vmcnt(29)
	v_fmac_f64_e32 v[82:83], v[76:77], v[196:197]
	v_add_f64 v[2:3], v[2:3], v[82:83]
	s_waitcnt vmcnt(27)
	v_mul_f64 v[82:83], v[78:79], v[194:195]
	s_waitcnt vmcnt(25)
	v_fmac_f64_e32 v[82:83], v[80:81], v[198:199]
	v_add_f64 v[2:3], v[2:3], v[82:83]
	ds_read_b128 v[82:85], v228 offset:1744
	s_waitcnt vmcnt(22) lgkmcnt(0)
	v_mul_f64 v[90:91], v[82:83], v[200:201]
	s_waitcnt vmcnt(21)
	v_fmac_f64_e32 v[90:91], v[84:85], v[202:203]
	v_add_f64 v[2:3], v[2:3], v[90:91]
	v_mul_f64 v[90:91], v[254:255], v[98:99]
	v_fma_f64 v[252:253], v[252:253], v[100:101], -v[90:91]
	ds_read_b128 v[90:93], v228 offset:1776
	s_waitcnt vmcnt(19)
	v_mul_f64 v[98:99], v[86:87], v[204:205]
	s_waitcnt vmcnt(17)
	v_fmac_f64_e32 v[98:99], v[88:89], v[206:207]
	v_add_f64 v[2:3], v[2:3], v[98:99]
	v_fma_f64 v[254:255], v[118:119], v[96:97], -v[94:95]
	ds_read_b128 v[94:97], v228 offset:1792
	s_waitcnt vmcnt(15) lgkmcnt(1)
	v_mul_f64 v[98:99], v[90:91], v[210:211]
	s_waitcnt vmcnt(13)
	v_fmac_f64_e32 v[98:99], v[92:93], v[212:213]
	v_add_f64 v[110:111], v[2:3], v[98:99]
	v_mul_f64 v[2:3], v[64:65], v[180:181]
	ds_read_b128 v[98:101], v228 offset:1808
	v_fma_f64 v[0:1], v[62:63], v[0:1], -v[2:3]
	v_accvgpr_write_b32 a187, v1
	v_accvgpr_write_b32 a186, v0
	ds_read_b128 v[0:3], v228 offset:1824
	buffer_load_dword v118, off, s[0:3], 0 offset:912
	buffer_load_dword v225, off, s[0:3], 0 offset:924
	;; [unrolled: 1-line block ×3, first 2 shown]
	s_waitcnt vmcnt(13) lgkmcnt(2)
	v_mul_f64 v[62:63], v[94:95], v[214:215]
	s_waitcnt vmcnt(11)
	v_fmac_f64_e32 v[62:63], v[96:97], v[220:221]
	s_waitcnt vmcnt(10) lgkmcnt(1)
	v_mul_f64 v[64:65], v[98:99], v[208:209]
	v_add_f64 v[62:63], v[110:111], v[62:63]
	s_waitcnt vmcnt(8)
	v_fmac_f64_e32 v[64:65], v[100:101], v[218:219]
	v_add_f64 v[62:63], v[62:63], v[64:65]
	s_waitcnt vmcnt(6) lgkmcnt(0)
	v_mul_f64 v[64:65], v[0:1], v[216:217]
	s_waitcnt vmcnt(4)
	v_fmac_f64_e32 v[64:65], v[2:3], v[222:223]
	v_add_f64 v[110:111], v[62:63], v[64:65]
	ds_read_b128 v[62:65], v228 offset:1840
	buffer_load_dword v121, off, s[0:3], 0 offset:940
	buffer_load_dword v120, off, s[0:3], 0 offset:936
	;; [unrolled: 1-line block ×4, first 2 shown]
	v_add_f64 v[4:5], v[4:5], v[252:253]
	v_add_f64 v[252:253], v[4:5], v[254:255]
	v_accvgpr_read_b32 v4, a186
	v_accvgpr_read_b32 v5, a187
	v_add_f64 v[4:5], v[252:253], v[4:5]
	v_add_f64 v[4:5], v[4:5], v[6:7]
	v_mul_f64 v[6:7], v[124:125], v[140:141]
	v_fma_f64 v[6:7], v[122:123], v[144:145], -v[6:7]
	v_add_f64 v[4:5], v[4:5], v[6:7]
	v_accvgpr_read_b32 v6, a182
	v_accvgpr_read_b32 v7, a183
	v_mul_f64 v[6:7], v[12:13], v[6:7]
	v_accvgpr_read_b32 v12, a184
	v_accvgpr_read_b32 v13, a185
	v_fma_f64 v[6:7], v[10:11], v[12:13], -v[6:7]
	v_add_f64 v[4:5], v[4:5], v[6:7]
	v_mul_f64 v[6:7], v[16:17], v[148:149]
	v_fma_f64 v[6:7], v[14:15], v[152:153], -v[6:7]
	v_add_f64 v[4:5], v[4:5], v[6:7]
	v_mul_f64 v[6:7], v[20:21], v[234:235]
	;; [unrolled: 3-line block ×17, first 2 shown]
	v_fma_f64 v[6:7], v[78:79], v[198:199], -v[6:7]
	v_add_f64 v[4:5], v[4:5], v[6:7]
	s_waitcnt vmcnt(5) lgkmcnt(0)
	v_mul_f64 v[112:113], v[62:63], v[224:225]
	s_waitcnt vmcnt(4)
	v_fmac_f64_e32 v[112:113], v[64:65], v[118:119]
	v_add_f64 v[114:115], v[110:111], v[112:113]
	ds_read_b128 v[110:113], v228 offset:1856
	buffer_load_dword v242, off, s[0:3], 0 offset:952
	buffer_load_dword v243, off, s[0:3], 0 offset:956
	buffer_load_dword v244, off, s[0:3], 0 offset:944
	buffer_load_dword v245, off, s[0:3], 0 offset:948
	v_mul_f64 v[6:7], v[84:85], v[200:201]
	v_fma_f64 v[6:7], v[82:83], v[202:203], -v[6:7]
	v_add_f64 v[4:5], v[4:5], v[6:7]
	v_mul_f64 v[6:7], v[88:89], v[204:205]
	v_fma_f64 v[6:7], v[86:87], v[206:207], -v[6:7]
	s_waitcnt vmcnt(6) lgkmcnt(0)
	v_mul_f64 v[116:117], v[110:111], v[120:121]
	v_add_f64 v[4:5], v[4:5], v[6:7]
	s_waitcnt vmcnt(4)
	v_fmac_f64_e32 v[116:117], v[112:113], v[238:239]
	v_add_f64 v[180:181], v[114:115], v[116:117]
	ds_read_b128 v[114:117], v228 offset:1872
	buffer_load_dword v248, off, s[0:3], 0 offset:256
	buffer_load_dword v249, off, s[0:3], 0 offset:260
	;; [unrolled: 1-line block ×4, first 2 shown]
	v_mul_f64 v[6:7], v[92:93], v[210:211]
	v_fma_f64 v[6:7], v[90:91], v[212:213], -v[6:7]
	v_add_f64 v[4:5], v[4:5], v[6:7]
	v_mul_f64 v[6:7], v[96:97], v[214:215]
	v_fma_f64 v[6:7], v[94:95], v[220:221], -v[6:7]
	v_add_f64 v[4:5], v[4:5], v[6:7]
	v_mul_f64 v[6:7], v[100:101], v[208:209]
	v_fma_f64 v[6:7], v[98:99], v[218:219], -v[6:7]
	v_mul_f64 v[2:3], v[2:3], v[216:217]
	v_add_f64 v[4:5], v[4:5], v[6:7]
	v_fma_f64 v[0:1], v[0:1], v[222:223], -v[2:3]
	v_mul_f64 v[2:3], v[64:65], v[224:225]
	v_add_f64 v[0:1], v[4:5], v[0:1]
	v_fma_f64 v[2:3], v[62:63], v[118:119], -v[2:3]
	v_add_f64 v[0:1], v[0:1], v[2:3]
	v_mul_f64 v[2:3], v[112:113], v[120:121]
	v_fma_f64 v[2:3], v[110:111], v[238:239], -v[2:3]
	v_add_f64 v[0:1], v[0:1], v[2:3]
	s_waitcnt vmcnt(6) lgkmcnt(0)
	v_mul_f64 v[2:3], v[116:117], v[242:243]
	v_mul_f64 v[250:251], v[114:115], v[242:243]
	s_waitcnt vmcnt(4)
	v_fma_f64 v[2:3], v[114:115], v[244:245], -v[2:3]
	v_fmac_f64_e32 v[250:251], v[116:117], v[244:245]
	v_add_f64 v[0:1], v[0:1], v[2:3]
	v_add_f64 v[180:181], v[180:181], v[250:251]
	s_waitcnt vmcnt(2)
	v_add_f64 v[0:1], v[248:249], -v[0:1]
	s_waitcnt vmcnt(0)
	v_add_f64 v[2:3], v[246:247], -v[180:181]
	buffer_store_dword v1, off, s[0:3], 0 offset:260
	buffer_store_dword v0, off, s[0:3], 0 offset:256
	;; [unrolled: 1-line block ×4, first 2 shown]
	s_and_saveexec_b64 s[4:5], vcc
	s_cbranch_execz .LBB58_339
; %bb.338:
	v_accvgpr_read_b32 v0, a162
	buffer_load_dword v2, v0, s[0:3], 0 offen
	buffer_load_dword v3, v0, s[0:3], 0 offen offset:4
	buffer_load_dword v4, v0, s[0:3], 0 offen offset:8
	;; [unrolled: 1-line block ×3, first 2 shown]
	v_accvgpr_read_b32 v0, a177
	buffer_store_dword v228, off, s[0:3], 0 offset:240
	buffer_store_dword v228, off, s[0:3], 0 offset:244
	;; [unrolled: 1-line block ×4, first 2 shown]
	s_waitcnt vmcnt(4)
	ds_write_b128 v0, v[2:5]
.LBB58_339:
	s_or_b64 exec, exec, s[4:5]
	s_waitcnt lgkmcnt(0)
	; wave barrier
	s_waitcnt lgkmcnt(0)
	buffer_load_dword v186, off, s[0:3], 0 offset:256
	buffer_load_dword v187, off, s[0:3], 0 offset:260
	;; [unrolled: 1-line block ×36, first 2 shown]
	ds_read_b128 v[82:85], v228 offset:1184
	ds_read_b128 v[78:81], v228 offset:1200
	;; [unrolled: 1-line block ×9, first 2 shown]
	buffer_load_dword v227, off, s[0:3], 0 offset:428
	buffer_load_dword v226, off, s[0:3], 0 offset:424
	;; [unrolled: 1-line block ×19, first 2 shown]
	s_waitcnt vmcnt(51) lgkmcnt(8)
	v_mul_f64 v[0:1], v[82:83], v[194:195]
	v_fmac_f64_e32 v[0:1], v[84:85], v[186:187]
	v_add_f64 v[0:1], v[0:1], 0
	v_mul_f64 v[84:85], v[84:85], v[194:195]
	s_waitcnt vmcnt(47) lgkmcnt(7)
	v_mul_f64 v[2:3], v[78:79], v[198:199]
	v_fmac_f64_e32 v[2:3], v[80:81], v[196:197]
	v_add_f64 v[0:1], v[0:1], v[2:3]
	buffer_load_dword v244, off, s[0:3], 0 offset:480
	buffer_load_dword v255, off, s[0:3], 0 offset:476
	;; [unrolled: 1-line block ×7, first 2 shown]
	s_waitcnt vmcnt(52) lgkmcnt(6)
	v_mul_f64 v[4:5], v[74:75], v[202:203]
	s_waitcnt vmcnt(50) lgkmcnt(4)
	v_mul_f64 v[8:9], v[62:63], v[212:213]
	s_waitcnt vmcnt(48)
	v_fmac_f64_e32 v[8:9], v[64:65], v[214:215]
	v_mul_f64 v[80:81], v[80:81], v[198:199]
	s_waitcnt vmcnt(46)
	v_mul_f64 v[6:7], v[70:71], v[204:205]
	v_fma_f64 v[78:79], v[78:79], v[196:197], -v[80:81]
	s_waitcnt vmcnt(44) lgkmcnt(2)
	v_mul_f64 v[12:13], v[54:55], v[104:105]
	v_mul_f64 v[64:65], v[64:65], v[212:213]
	s_waitcnt vmcnt(42)
	v_fmac_f64_e32 v[12:13], v[56:57], v[108:109]
	v_fma_f64 v[212:213], v[62:63], v[214:215], -v[64:65]
	s_waitcnt vmcnt(40)
	v_mul_f64 v[10:11], v[50:51], v[112:113]
	v_mul_f64 v[56:57], v[56:57], v[104:105]
	s_waitcnt vmcnt(38) lgkmcnt(1)
	v_mul_f64 v[14:15], v[58:59], v[106:107]
	s_waitcnt vmcnt(36)
	v_fmac_f64_e32 v[4:5], v[76:77], v[200:201]
	v_add_f64 v[0:1], v[0:1], v[4:5]
	s_waitcnt vmcnt(34)
	v_fmac_f64_e32 v[6:7], v[72:73], v[116:117]
	v_add_f64 v[0:1], v[0:1], v[6:7]
	v_add_f64 v[0:1], v[0:1], v[8:9]
	s_waitcnt vmcnt(32)
	v_fmac_f64_e32 v[10:11], v[52:53], v[114:115]
	v_add_f64 v[0:1], v[0:1], v[10:11]
	;; [unrolled: 4-line block ×3, first 2 shown]
	v_mul_f64 v[76:77], v[76:77], v[202:203]
	v_fma_f64 v[80:81], v[74:75], v[200:201], -v[76:77]
	v_mul_f64 v[72:73], v[72:73], v[204:205]
	v_mul_f64 v[52:53], v[52:53], v[112:113]
	;; [unrolled: 1-line block ×3, first 2 shown]
	v_fma_f64 v[116:117], v[70:71], v[116:117], -v[72:73]
	s_waitcnt vmcnt(0)
	v_pk_mov_b32 v[4:5], v[2:3], v[2:3] op_sel:[0,1]
	buffer_load_dword v3, off, s[0:3], 0 offset:516
	buffer_load_dword v2, off, s[0:3], 0 offset:512
	v_accvgpr_write_b32 a179, v5
	v_accvgpr_write_b32 a178, v4
	s_waitcnt vmcnt(0)
	v_pk_mov_b32 v[8:9], v[2:3], v[2:3] op_sel:[0,1]
	buffer_load_dword v125, off, s[0:3], 0 offset:508
	buffer_load_dword v124, off, s[0:3], 0 offset:504
	;; [unrolled: 1-line block ×6, first 2 shown]
	v_accvgpr_write_b32 a181, v9
	v_accvgpr_write_b32 a180, v8
	s_waitcnt vmcnt(0)
	v_pk_mov_b32 v[12:13], v[2:3], v[2:3] op_sel:[0,1]
	buffer_load_dword v3, off, s[0:3], 0 offset:548
	buffer_load_dword v2, off, s[0:3], 0 offset:544
	v_accvgpr_write_b32 a183, v13
	v_accvgpr_write_b32 a182, v12
	s_waitcnt vmcnt(0)
	v_pk_mov_b32 v[24:25], v[2:3], v[2:3] op_sel:[0,1]
	buffer_load_dword v145, off, s[0:3], 0 offset:540
	buffer_load_dword v144, off, s[0:3], 0 offset:536
	;; [unrolled: 1-line block ×6, first 2 shown]
	v_accvgpr_write_b32 a185, v25
	v_accvgpr_write_b32 a184, v24
	s_waitcnt vmcnt(0)
	v_pk_mov_b32 v[32:33], v[2:3], v[2:3] op_sel:[0,1]
	buffer_load_dword v3, off, s[0:3], 0 offset:580
	buffer_load_dword v2, off, s[0:3], 0 offset:576
	v_accvgpr_write_b32 a187, v33
	v_accvgpr_write_b32 a186, v32
	s_waitcnt vmcnt(0)
	v_pk_mov_b32 v[34:35], v[2:3], v[2:3] op_sel:[0,1]
	buffer_load_dword v153, off, s[0:3], 0 offset:572
	buffer_load_dword v152, off, s[0:3], 0 offset:568
	buffer_load_dword v157, off, s[0:3], 0 offset:564
	buffer_load_dword v156, off, s[0:3], 0 offset:560
	buffer_load_dword v3, off, s[0:3], 0 offset:620
	buffer_load_dword v2, off, s[0:3], 0 offset:616
	buffer_load_dword v235, off, s[0:3], 0 offset:612
	buffer_load_dword v234, off, s[0:3], 0 offset:608
	buffer_load_dword v161, off, s[0:3], 0 offset:604
	buffer_load_dword v160, off, s[0:3], 0 offset:600
	buffer_load_dword v163, off, s[0:3], 0 offset:596
	buffer_load_dword v162, off, s[0:3], 0 offset:592
	buffer_load_dword v139, off, s[0:3], 0 offset:652
	buffer_load_dword v138, off, s[0:3], 0 offset:648
	buffer_load_dword v143, off, s[0:3], 0 offset:644
	buffer_load_dword v142, off, s[0:3], 0 offset:640
	buffer_load_dword v165, off, s[0:3], 0 offset:636
	buffer_load_dword v164, off, s[0:3], 0 offset:632
	buffer_load_dword v167, off, s[0:3], 0 offset:628
	buffer_load_dword v166, off, s[0:3], 0 offset:624
	buffer_load_dword v147, off, s[0:3], 0 offset:684
	buffer_load_dword v146, off, s[0:3], 0 offset:680
	buffer_load_dword v151, off, s[0:3], 0 offset:676
	buffer_load_dword v150, off, s[0:3], 0 offset:672
	buffer_load_dword v169, off, s[0:3], 0 offset:668
	buffer_load_dword v168, off, s[0:3], 0 offset:664
	buffer_load_dword v171, off, s[0:3], 0 offset:660
	buffer_load_dword v170, off, s[0:3], 0 offset:656
	buffer_load_dword v155, off, s[0:3], 0 offset:716
	buffer_load_dword v154, off, s[0:3], 0 offset:712
	buffer_load_dword v159, off, s[0:3], 0 offset:708
	buffer_load_dword v158, off, s[0:3], 0 offset:704
	buffer_load_dword v173, off, s[0:3], 0 offset:700
	buffer_load_dword v172, off, s[0:3], 0 offset:696
	buffer_load_dword v175, off, s[0:3], 0 offset:692
	buffer_load_dword v174, off, s[0:3], 0 offset:688
	ds_read_b128 v[230:233], v228 offset:1328
	ds_read_b128 v[118:121], v228 offset:1344
	;; [unrolled: 1-line block ×9, first 2 shown]
	v_accvgpr_write_b32 a189, v35
	s_waitcnt lgkmcnt(3)
	v_mul_f64 v[6:7], v[98:99], v[242:243]
	v_fmac_f64_e32 v[6:7], v[100:101], v[244:245]
	s_waitcnt lgkmcnt(2)
	v_mul_f64 v[10:11], v[130:131], v[124:125]
	v_fmac_f64_e32 v[10:11], v[132:133], v[140:141]
	;; [unrolled: 3-line block ×3, first 2 shown]
	v_accvgpr_write_b32 a188, v34
	v_fma_f64 v[8:9], v[54:55], v[108:109], -v[56:57]
	v_mul_f64 v[70:71], v[232:233], v[238:239]
	v_mul_f64 v[100:101], v[100:101], v[242:243]
	s_waitcnt vmcnt(30)
	v_pk_mov_b32 v[40:41], v[2:3], v[2:3] op_sel:[0,1]
	v_mul_f64 v[2:3], v[66:67], v[102:103]
	v_fmac_f64_e32 v[2:3], v[68:69], v[224:225]
	v_add_f64 v[0:1], v[0:1], v[2:3]
	v_mul_f64 v[2:3], v[230:231], v[238:239]
	v_fmac_f64_e32 v[2:3], v[232:233], v[240:241]
	v_add_f64 v[0:1], v[0:1], v[2:3]
	v_mul_f64 v[2:3], v[118:119], v[226:227]
	v_fmac_f64_e32 v[2:3], v[120:121], v[236:237]
	v_add_f64 v[0:1], v[0:1], v[2:3]
	v_mul_f64 v[2:3], v[86:87], v[250:251]
	v_fmac_f64_e32 v[2:3], v[88:89], v[252:253]
	v_add_f64 v[0:1], v[0:1], v[2:3]
	v_mul_f64 v[2:3], v[90:91], v[246:247]
	v_fmac_f64_e32 v[2:3], v[92:93], v[248:249]
	v_add_f64 v[0:1], v[0:1], v[2:3]
	v_mul_f64 v[2:3], v[94:95], v[254:255]
	v_fmac_f64_e32 v[2:3], v[96:97], v[176:177]
	v_add_f64 v[0:1], v[0:1], v[2:3]
	v_add_f64 v[0:1], v[0:1], v[6:7]
	v_add_f64 v[0:1], v[0:1], v[10:11]
	;; [unrolled: 1-line block ×3, first 2 shown]
	ds_read_b128 v[14:17], v228 offset:1472
	s_waitcnt lgkmcnt(1)
	v_mul_f64 v[18:19], v[134:135], v[144:145]
	v_fmac_f64_e32 v[18:19], v[136:137], v[148:149]
	v_add_f64 v[0:1], v[0:1], v[18:19]
	ds_read_b128 v[18:21], v228 offset:1488
	s_waitcnt lgkmcnt(1)
	v_mul_f64 v[22:23], v[14:15], v[12:13]
	v_fmac_f64_e32 v[22:23], v[16:17], v[24:25]
	v_add_f64 v[0:1], v[0:1], v[22:23]
	;; [unrolled: 5-line block ×4, first 2 shown]
	ds_read_b128 v[30:33], v228 offset:1536
	s_waitcnt vmcnt(26) lgkmcnt(1)
	v_mul_f64 v[34:35], v[26:27], v[160:161]
	s_waitcnt vmcnt(24)
	v_fmac_f64_e32 v[34:35], v[28:29], v[162:163]
	v_add_f64 v[0:1], v[0:1], v[34:35]
	ds_read_b128 v[34:37], v228 offset:1552
	s_waitcnt lgkmcnt(1)
	v_mul_f64 v[38:39], v[30:31], v[40:41]
	v_accvgpr_write_b32 a191, v41
	v_fmac_f64_e32 v[38:39], v[32:33], v[234:235]
	v_accvgpr_write_b32 a190, v40
	v_add_f64 v[0:1], v[0:1], v[38:39]
	ds_read_b128 v[38:41], v228 offset:1568
	s_waitcnt vmcnt(18) lgkmcnt(1)
	v_mul_f64 v[42:43], v[34:35], v[164:165]
	s_waitcnt vmcnt(16)
	v_fmac_f64_e32 v[42:43], v[36:37], v[166:167]
	v_add_f64 v[46:47], v[0:1], v[42:43]
	ds_read_b128 v[42:45], v228 offset:1584
	buffer_load_dword v123, off, s[0:3], 0 offset:732
	buffer_load_dword v122, off, s[0:3], 0 offset:728
	;; [unrolled: 1-line block ×4, first 2 shown]
	s_waitcnt lgkmcnt(1)
	v_mul_f64 v[48:49], v[38:39], v[138:139]
	v_fmac_f64_e32 v[48:49], v[40:41], v[142:143]
	v_add_f64 v[180:181], v[46:47], v[48:49]
	ds_read_b128 v[46:49], v228 offset:1600
	buffer_load_dword v183, off, s[0:3], 0 offset:748
	buffer_load_dword v182, off, s[0:3], 0 offset:744
	;; [unrolled: 1-line block ×4, first 2 shown]
	s_waitcnt vmcnt(18) lgkmcnt(1)
	v_mul_f64 v[188:189], v[42:43], v[168:169]
	s_waitcnt vmcnt(16)
	v_fmac_f64_e32 v[188:189], v[44:45], v[170:171]
	v_add_f64 v[0:1], v[180:181], v[188:189]
	buffer_load_dword v181, off, s[0:3], 0 offset:780
	buffer_load_dword v189, off, s[0:3], 0 offset:764
	;; [unrolled: 1-line block ×8, first 2 shown]
	v_fma_f64 v[12:13], v[82:83], v[186:187], -v[84:85]
	buffer_load_dword v186, off, s[0:3], 0 offset:808
	buffer_load_dword v195, off, s[0:3], 0 offset:796
	;; [unrolled: 1-line block ×20, first 2 shown]
	v_fma_f64 v[10:11], v[50:51], v[114:115], -v[52:53]
	buffer_load_dword v215, off, s[0:3], 0 offset:876
	buffer_load_dword v214, off, s[0:3], 0 offset:872
	;; [unrolled: 1-line block ×12, first 2 shown]
	s_waitcnt lgkmcnt(0)
	v_mul_f64 v[50:51], v[46:47], v[146:147]
	v_fmac_f64_e32 v[50:51], v[48:49], v[150:151]
	v_add_f64 v[0:1], v[0:1], v[50:51]
	ds_read_b128 v[50:53], v228 offset:1616
	ds_read_b128 v[54:57], v228 offset:1632
	v_fma_f64 v[6:7], v[58:59], v[110:111], -v[60:61]
	ds_read_b128 v[58:61], v228 offset:1648
	v_mul_f64 v[68:69], v[68:69], v[102:103]
	s_waitcnt vmcnt(50) lgkmcnt(2)
	v_mul_f64 v[62:63], v[50:51], v[172:173]
	s_waitcnt vmcnt(48)
	v_fmac_f64_e32 v[62:63], v[52:53], v[174:175]
	v_add_f64 v[0:1], v[0:1], v[62:63]
	s_waitcnt lgkmcnt(1)
	v_mul_f64 v[62:63], v[54:55], v[154:155]
	v_fmac_f64_e32 v[62:63], v[56:57], v[158:159]
	v_add_f64 v[0:1], v[0:1], v[62:63]
	v_fma_f64 v[224:225], v[66:67], v[224:225], -v[68:69]
	ds_read_b128 v[66:69], v228 offset:1680
	v_fma_f64 v[240:241], v[230:231], v[240:241], -v[70:71]
	v_mul_f64 v[82:83], v[120:121], v[226:227]
	v_fma_f64 v[4:5], v[118:119], v[236:237], -v[82:83]
	v_mul_f64 v[92:93], v[92:93], v[246:247]
	v_fma_f64 v[246:247], v[90:91], v[248:249], -v[92:93]
	ds_read_b128 v[90:93], v228 offset:1776
	ds_read_b128 v[118:121], v228 offset:1792
	v_mul_f64 v[96:97], v[96:97], v[254:255]
	v_add_f64 v[12:13], v[12:13], 0
	v_add_f64 v[12:13], v[12:13], v[78:79]
	;; [unrolled: 1-line block ×11, first 2 shown]
	v_accvgpr_read_b32 v6, a180
	v_accvgpr_read_b32 v7, a181
	ds_read_b128 v[70:73], v228 offset:1696
	ds_read_b128 v[230:233], v228 offset:1728
	s_waitcnt vmcnt(46) lgkmcnt(5)
	v_mul_f64 v[62:63], v[58:59], v[122:123]
	s_waitcnt vmcnt(44)
	v_fmac_f64_e32 v[62:63], v[60:61], v[178:179]
	v_add_f64 v[0:1], v[0:1], v[62:63]
	ds_read_b128 v[62:65], v228 offset:1664
	s_waitcnt vmcnt(42) lgkmcnt(0)
	v_mul_f64 v[74:75], v[62:63], v[182:183]
	s_waitcnt vmcnt(40)
	v_fmac_f64_e32 v[74:75], v[64:65], v[184:185]
	v_add_f64 v[0:1], v[0:1], v[74:75]
	s_waitcnt vmcnt(37)
	v_mul_f64 v[74:75], v[66:67], v[188:189]
	s_waitcnt vmcnt(35)
	v_fmac_f64_e32 v[74:75], v[68:69], v[192:193]
	v_add_f64 v[0:1], v[0:1], v[74:75]
	s_waitcnt vmcnt(34)
	v_mul_f64 v[74:75], v[70:71], v[180:181]
	s_waitcnt vmcnt(32)
	v_fmac_f64_e32 v[74:75], v[72:73], v[190:191]
	v_add_f64 v[0:1], v[0:1], v[74:75]
	ds_read_b128 v[74:77], v228 offset:1712
	s_waitcnt vmcnt(29) lgkmcnt(0)
	v_mul_f64 v[82:83], v[74:75], v[194:195]
	s_waitcnt vmcnt(27)
	v_fmac_f64_e32 v[82:83], v[76:77], v[198:199]
	v_add_f64 v[0:1], v[0:1], v[82:83]
	v_mul_f64 v[82:83], v[88:89], v[250:251]
	v_fma_f64 v[2:3], v[86:87], v[252:253], -v[82:83]
	ds_read_b128 v[82:85], v228 offset:1744
	s_waitcnt vmcnt(25)
	v_mul_f64 v[86:87], v[230:231], v[186:187]
	s_waitcnt vmcnt(24)
	v_fmac_f64_e32 v[86:87], v[232:233], v[196:197]
	v_add_f64 v[0:1], v[0:1], v[86:87]
	ds_read_b128 v[86:89], v228 offset:1760
	s_waitcnt vmcnt(21) lgkmcnt(1)
	v_mul_f64 v[102:103], v[82:83], v[202:203]
	s_waitcnt vmcnt(19)
	v_fmac_f64_e32 v[102:103], v[84:85], v[208:209]
	v_add_f64 v[0:1], v[0:1], v[102:103]
	v_fma_f64 v[250:251], v[94:95], v[176:177], -v[96:97]
	s_waitcnt vmcnt(18) lgkmcnt(0)
	v_mul_f64 v[102:103], v[86:87], v[200:201]
	s_waitcnt vmcnt(16)
	v_fmac_f64_e32 v[102:103], v[88:89], v[206:207]
	v_add_f64 v[0:1], v[0:1], v[102:103]
	s_waitcnt vmcnt(14)
	v_mul_f64 v[102:103], v[90:91], v[204:205]
	ds_read_b128 v[94:97], v228 offset:1808
	s_waitcnt vmcnt(12)
	v_fmac_f64_e32 v[102:103], v[92:93], v[210:211]
	v_add_f64 v[0:1], v[0:1], v[102:103]
	ds_read_b128 v[102:105], v228 offset:1824
	v_fma_f64 v[252:253], v[98:99], v[244:245], -v[100:101]
	s_waitcnt vmcnt(10)
	v_mul_f64 v[98:99], v[118:119], v[214:215]
	s_waitcnt vmcnt(8)
	v_fmac_f64_e32 v[98:99], v[120:121], v[216:217]
	v_add_f64 v[0:1], v[0:1], v[98:99]
	s_waitcnt vmcnt(5) lgkmcnt(1)
	v_mul_f64 v[98:99], v[94:95], v[220:221]
	s_waitcnt vmcnt(3)
	v_fmac_f64_e32 v[98:99], v[96:97], v[222:223]
	v_add_f64 v[0:1], v[0:1], v[98:99]
	s_waitcnt vmcnt(1) lgkmcnt(0)
	v_mul_f64 v[98:99], v[102:103], v[114:115]
	s_waitcnt vmcnt(0)
	v_fmac_f64_e32 v[98:99], v[104:105], v[218:219]
	v_add_f64 v[98:99], v[0:1], v[98:99]
	buffer_load_dword v1, off, s[0:3], 0 offset:924
	buffer_load_dword v0, off, s[0:3], 0 offset:920
	;; [unrolled: 1-line block ×4, first 2 shown]
	ds_read_b128 v[106:109], v228 offset:1840
	buffer_load_dword v236, off, s[0:3], 0 offset:936
	buffer_load_dword v237, off, s[0:3], 0 offset:940
	;; [unrolled: 1-line block ×4, first 2 shown]
	ds_read_b128 v[110:113], v228 offset:1856
	buffer_load_dword v243, off, s[0:3], 0 offset:956
	buffer_load_dword v242, off, s[0:3], 0 offset:952
	;; [unrolled: 1-line block ×4, first 2 shown]
	v_add_f64 v[2:3], v[4:5], v[2:3]
	v_add_f64 v[254:255], v[2:3], v[246:247]
	;; [unrolled: 1-line block ×3, first 2 shown]
	v_mul_f64 v[4:5], v[132:133], v[124:125]
	v_add_f64 v[2:3], v[2:3], v[252:253]
	v_fma_f64 v[4:5], v[130:131], v[140:141], -v[4:5]
	v_add_f64 v[2:3], v[2:3], v[4:5]
	v_accvgpr_read_b32 v4, a178
	v_accvgpr_read_b32 v5, a179
	v_mul_f64 v[4:5], v[128:129], v[4:5]
	v_fma_f64 v[4:5], v[126:127], v[6:7], -v[4:5]
	v_add_f64 v[2:3], v[2:3], v[4:5]
	v_mul_f64 v[4:5], v[136:137], v[144:145]
	v_fma_f64 v[4:5], v[134:135], v[148:149], -v[4:5]
	v_add_f64 v[2:3], v[2:3], v[4:5]
	v_accvgpr_read_b32 v4, a182
	v_accvgpr_read_b32 v5, a183
	;; [unrolled: 1-line block ×3, first 2 shown]
	v_mul_f64 v[4:5], v[16:17], v[4:5]
	v_accvgpr_read_b32 v7, a185
	v_fma_f64 v[4:5], v[14:15], v[6:7], -v[4:5]
	v_add_f64 v[2:3], v[2:3], v[4:5]
	v_mul_f64 v[4:5], v[20:21], v[152:153]
	v_fma_f64 v[4:5], v[18:19], v[156:157], -v[4:5]
	v_add_f64 v[2:3], v[2:3], v[4:5]
	v_accvgpr_read_b32 v4, a186
	v_accvgpr_read_b32 v5, a187
	;; [unrolled: 1-line block ×3, first 2 shown]
	v_mul_f64 v[4:5], v[24:25], v[4:5]
	v_accvgpr_read_b32 v7, a189
	v_fma_f64 v[4:5], v[22:23], v[6:7], -v[4:5]
	v_add_f64 v[2:3], v[2:3], v[4:5]
	v_mul_f64 v[4:5], v[28:29], v[160:161]
	v_fma_f64 v[4:5], v[26:27], v[162:163], -v[4:5]
	v_add_f64 v[2:3], v[2:3], v[4:5]
	v_accvgpr_read_b32 v4, a190
	v_accvgpr_read_b32 v5, a191
	v_mul_f64 v[4:5], v[32:33], v[4:5]
	v_fma_f64 v[4:5], v[30:31], v[234:235], -v[4:5]
	v_add_f64 v[2:3], v[2:3], v[4:5]
	v_mul_f64 v[4:5], v[36:37], v[164:165]
	v_fma_f64 v[4:5], v[34:35], v[166:167], -v[4:5]
	v_add_f64 v[2:3], v[2:3], v[4:5]
	;; [unrolled: 3-line block ×12, first 2 shown]
	s_waitcnt vmcnt(10) lgkmcnt(1)
	v_mul_f64 v[100:101], v[106:107], v[0:1]
	v_mul_f64 v[4:5], v[232:233], v[186:187]
	s_waitcnt vmcnt(8)
	v_fmac_f64_e32 v[100:101], v[108:109], v[226:227]
	v_add_f64 v[98:99], v[98:99], v[100:101]
	s_waitcnt vmcnt(6) lgkmcnt(0)
	v_mul_f64 v[100:101], v[110:111], v[236:237]
	s_waitcnt vmcnt(4)
	v_fmac_f64_e32 v[100:101], v[112:113], v[238:239]
	v_add_f64 v[176:177], v[98:99], v[100:101]
	ds_read_b128 v[98:101], v228 offset:1872
	buffer_load_dword v248, off, s[0:3], 0 offset:240
	buffer_load_dword v249, off, s[0:3], 0 offset:244
	buffer_load_dword v246, off, s[0:3], 0 offset:248
	buffer_load_dword v247, off, s[0:3], 0 offset:252
	v_fma_f64 v[4:5], v[230:231], v[196:197], -v[4:5]
	v_add_f64 v[2:3], v[2:3], v[4:5]
	v_mul_f64 v[4:5], v[84:85], v[202:203]
	v_fma_f64 v[4:5], v[82:83], v[208:209], -v[4:5]
	v_add_f64 v[2:3], v[2:3], v[4:5]
	v_mul_f64 v[4:5], v[88:89], v[200:201]
	;; [unrolled: 3-line block ×6, first 2 shown]
	v_fma_f64 v[4:5], v[102:103], v[218:219], -v[4:5]
	v_mul_f64 v[0:1], v[108:109], v[0:1]
	v_add_f64 v[2:3], v[2:3], v[4:5]
	v_fma_f64 v[0:1], v[106:107], v[226:227], -v[0:1]
	v_add_f64 v[0:1], v[2:3], v[0:1]
	v_mul_f64 v[2:3], v[112:113], v[236:237]
	v_fma_f64 v[2:3], v[110:111], v[238:239], -v[2:3]
	s_waitcnt vmcnt(6) lgkmcnt(0)
	v_mul_f64 v[228:229], v[98:99], v[242:243]
	v_add_f64 v[0:1], v[0:1], v[2:3]
	v_mul_f64 v[2:3], v[100:101], v[242:243]
	s_waitcnt vmcnt(4)
	v_fmac_f64_e32 v[228:229], v[100:101], v[244:245]
	v_fma_f64 v[2:3], v[98:99], v[244:245], -v[2:3]
	v_add_f64 v[176:177], v[176:177], v[228:229]
	v_add_f64 v[0:1], v[0:1], v[2:3]
	v_accvgpr_read_b32 v229, a176
	v_cmp_lt_u32_e32 vcc, 13, v229
	s_waitcnt vmcnt(2)
	v_add_f64 v[0:1], v[248:249], -v[0:1]
	s_waitcnt vmcnt(0)
	v_add_f64 v[2:3], v[246:247], -v[176:177]
	buffer_store_dword v1, off, s[0:3], 0 offset:244
	buffer_store_dword v0, off, s[0:3], 0 offset:240
	;; [unrolled: 1-line block ×4, first 2 shown]
	s_and_saveexec_b64 s[4:5], vcc
	s_cbranch_execz .LBB58_341
; %bb.340:
	v_accvgpr_read_b32 v0, a163
	buffer_load_dword v2, v0, s[0:3], 0 offen
	buffer_load_dword v3, v0, s[0:3], 0 offen offset:4
	buffer_load_dword v4, v0, s[0:3], 0 offen offset:8
	;; [unrolled: 1-line block ×3, first 2 shown]
	v_mov_b32_e32 v0, 0
	v_accvgpr_read_b32 v1, a177
	buffer_store_dword v0, off, s[0:3], 0 offset:224
	buffer_store_dword v0, off, s[0:3], 0 offset:228
	;; [unrolled: 1-line block ×4, first 2 shown]
	s_waitcnt vmcnt(4)
	ds_write_b128 v1, v[2:5]
.LBB58_341:
	s_or_b64 exec, exec, s[4:5]
	s_waitcnt lgkmcnt(0)
	; wave barrier
	s_waitcnt lgkmcnt(0)
	buffer_load_dword v56, off, s[0:3], 0 offset:240
	buffer_load_dword v57, off, s[0:3], 0 offset:244
	;; [unrolled: 1-line block ×36, first 2 shown]
	v_mov_b32_e32 v228, 0
	buffer_load_dword v87, off, s[0:3], 0 offset:412
	buffer_load_dword v86, off, s[0:3], 0 offset:408
	;; [unrolled: 1-line block ×18, first 2 shown]
	ds_read_b128 v[110:113], v228 offset:1168
	ds_read_b128 v[114:117], v228 offset:1184
	;; [unrolled: 1-line block ×9, first 2 shown]
	v_cmp_lt_u32_e32 vcc, 12, v229
	s_waitcnt vmcnt(50) lgkmcnt(8)
	v_mul_f64 v[0:1], v[110:111], v[58:59]
	v_fmac_f64_e32 v[0:1], v[112:113], v[56:57]
	v_add_f64 v[0:1], v[0:1], 0
	v_mul_f64 v[58:59], v[112:113], v[58:59]
	s_waitcnt vmcnt(46) lgkmcnt(7)
	v_mul_f64 v[2:3], v[114:115], v[54:55]
	v_fmac_f64_e32 v[2:3], v[116:117], v[52:53]
	v_add_f64 v[0:1], v[0:1], v[2:3]
	buffer_load_dword v105, off, s[0:3], 0 offset:468
	buffer_load_dword v104, off, s[0:3], 0 offset:464
	;; [unrolled: 1-line block ×8, first 2 shown]
	s_waitcnt vmcnt(52) lgkmcnt(6)
	v_mul_f64 v[4:5], v[196:197], v[50:51]
	s_waitcnt vmcnt(50) lgkmcnt(4)
	v_mul_f64 v[8:9], v[204:205], v[60:61]
	s_waitcnt vmcnt(48)
	v_fmac_f64_e32 v[8:9], v[206:207], v[212:213]
	v_mul_f64 v[50:51], v[198:199], v[50:51]
	s_waitcnt vmcnt(46)
	v_mul_f64 v[6:7], v[200:201], v[64:65]
	v_mul_f64 v[54:55], v[116:117], v[54:55]
	s_waitcnt vmcnt(44) lgkmcnt(2)
	v_mul_f64 v[12:13], v[214:215], v[74:75]
	v_fma_f64 v[218:219], v[114:115], v[52:53], -v[54:55]
	s_waitcnt vmcnt(42)
	v_fmac_f64_e32 v[12:13], v[216:217], v[72:73]
	s_waitcnt vmcnt(40)
	v_mul_f64 v[10:11], v[208:209], v[76:77]
	v_mul_f64 v[54:55], v[210:211], v[76:77]
	s_waitcnt vmcnt(38) lgkmcnt(1)
	v_mul_f64 v[14:15], v[220:221], v[68:69]
	s_waitcnt vmcnt(36)
	v_fmac_f64_e32 v[4:5], v[198:199], v[82:83]
	v_add_f64 v[0:1], v[0:1], v[4:5]
	s_waitcnt vmcnt(34)
	v_fmac_f64_e32 v[6:7], v[202:203], v[80:81]
	v_add_f64 v[0:1], v[0:1], v[6:7]
	v_add_f64 v[0:1], v[0:1], v[8:9]
	s_waitcnt vmcnt(32)
	v_fmac_f64_e32 v[10:11], v[210:211], v[78:79]
	v_add_f64 v[0:1], v[0:1], v[10:11]
	v_add_f64 v[0:1], v[0:1], v[12:13]
	s_waitcnt vmcnt(30)
	v_fmac_f64_e32 v[14:15], v[222:223], v[70:71]
	v_add_f64 v[0:1], v[0:1], v[14:15]
	s_waitcnt vmcnt(0)
	v_pk_mov_b32 v[4:5], v[2:3], v[2:3] op_sel:[0,1]
	buffer_load_dword v3, off, s[0:3], 0 offset:500
	buffer_load_dword v2, off, s[0:3], 0 offset:496
	v_accvgpr_write_b32 a179, v5
	v_accvgpr_write_b32 a178, v4
	s_waitcnt vmcnt(0)
	v_pk_mov_b32 v[8:9], v[2:3], v[2:3] op_sel:[0,1]
	buffer_load_dword v107, off, s[0:3], 0 offset:492
	buffer_load_dword v106, off, s[0:3], 0 offset:488
	;; [unrolled: 1-line block ×6, first 2 shown]
	v_accvgpr_write_b32 a181, v9
	v_accvgpr_write_b32 a180, v8
	s_waitcnt vmcnt(0)
	v_pk_mov_b32 v[12:13], v[2:3], v[2:3] op_sel:[0,1]
	buffer_load_dword v3, off, s[0:3], 0 offset:532
	buffer_load_dword v2, off, s[0:3], 0 offset:528
	v_accvgpr_write_b32 a183, v13
	v_accvgpr_write_b32 a182, v12
	s_waitcnt vmcnt(0)
	v_pk_mov_b32 v[20:21], v[2:3], v[2:3] op_sel:[0,1]
	buffer_load_dword v141, off, s[0:3], 0 offset:524
	buffer_load_dword v140, off, s[0:3], 0 offset:520
	;; [unrolled: 1-line block ×6, first 2 shown]
	v_accvgpr_write_b32 a185, v21
	v_accvgpr_write_b32 a184, v20
	s_waitcnt vmcnt(0)
	v_pk_mov_b32 v[28:29], v[2:3], v[2:3] op_sel:[0,1]
	buffer_load_dword v3, off, s[0:3], 0 offset:564
	buffer_load_dword v2, off, s[0:3], 0 offset:560
	v_accvgpr_write_b32 a187, v29
	v_accvgpr_write_b32 a186, v28
	s_waitcnt vmcnt(0)
	v_pk_mov_b32 v[30:31], v[2:3], v[2:3] op_sel:[0,1]
	buffer_load_dword v149, off, s[0:3], 0 offset:556
	buffer_load_dword v148, off, s[0:3], 0 offset:552
	;; [unrolled: 1-line block ×36, first 2 shown]
	ds_read_b128 v[230:233], v228 offset:1312
	ds_read_b128 v[234:237], v228 offset:1328
	;; [unrolled: 1-line block ×11, first 2 shown]
	s_waitcnt lgkmcnt(4)
	v_mul_f64 v[6:7], v[118:119], v[106:107]
	v_fmac_f64_e32 v[6:7], v[120:121], v[108:109]
	s_waitcnt lgkmcnt(3)
	v_mul_f64 v[10:11], v[122:123], v[4:5]
	v_fmac_f64_e32 v[10:11], v[124:125], v[8:9]
	;; [unrolled: 3-line block ×4, first 2 shown]
	v_accvgpr_write_b32 a189, v31
	v_accvgpr_write_b32 a188, v30
	v_fma_f64 v[12:13], v[110:111], v[56:57], -v[58:59]
	v_fma_f64 v[110:111], v[196:197], v[82:83], -v[50:51]
	v_mul_f64 v[50:51], v[202:203], v[64:65]
	v_fma_f64 v[112:113], v[200:201], v[80:81], -v[50:51]
	v_mul_f64 v[50:51], v[206:207], v[60:61]
	;; [unrolled: 2-line block ×3, first 2 shown]
	v_mul_f64 v[56:57], v[222:223], v[68:69]
	v_fma_f64 v[4:5], v[220:221], v[70:71], -v[56:57]
	v_mul_f64 v[58:59], v[226:227], v[66:67]
	v_mul_f64 v[70:71], v[236:237], v[86:87]
	;; [unrolled: 1-line block ×3, first 2 shown]
	v_add_f64 v[12:13], v[12:13], 0
	v_add_f64 v[12:13], v[12:13], v[218:219]
	;; [unrolled: 1-line block ×4, first 2 shown]
	s_waitcnt vmcnt(30)
	v_pk_mov_b32 v[36:37], v[2:3], v[2:3] op_sel:[0,1]
	v_mul_f64 v[2:3], v[224:225], v[66:67]
	v_fmac_f64_e32 v[2:3], v[226:227], v[84:85]
	v_add_f64 v[0:1], v[0:1], v[2:3]
	v_mul_f64 v[2:3], v[230:231], v[90:91]
	v_fmac_f64_e32 v[2:3], v[232:233], v[92:93]
	v_add_f64 v[0:1], v[0:1], v[2:3]
	;; [unrolled: 3-line block ×7, first 2 shown]
	v_add_f64 v[0:1], v[0:1], v[6:7]
	v_add_f64 v[0:1], v[0:1], v[10:11]
	;; [unrolled: 1-line block ×4, first 2 shown]
	ds_read_b128 v[18:21], v228 offset:1488
	s_waitcnt lgkmcnt(1)
	v_mul_f64 v[22:23], v[134:135], v[148:149]
	v_fmac_f64_e32 v[22:23], v[136:137], v[152:153]
	v_add_f64 v[0:1], v[0:1], v[22:23]
	ds_read_b128 v[22:25], v228 offset:1504
	s_waitcnt lgkmcnt(1)
	v_mul_f64 v[26:27], v[18:19], v[28:29]
	v_fmac_f64_e32 v[26:27], v[20:21], v[30:31]
	v_add_f64 v[0:1], v[0:1], v[26:27]
	ds_read_b128 v[26:29], v228 offset:1520
	s_waitcnt vmcnt(26) lgkmcnt(1)
	v_mul_f64 v[30:31], v[22:23], v[156:157]
	s_waitcnt vmcnt(24)
	v_fmac_f64_e32 v[30:31], v[24:25], v[158:159]
	v_add_f64 v[0:1], v[0:1], v[30:31]
	ds_read_b128 v[30:33], v228 offset:1536
	s_waitcnt lgkmcnt(1)
	v_mul_f64 v[34:35], v[26:27], v[36:37]
	v_accvgpr_write_b32 a191, v37
	v_fmac_f64_e32 v[34:35], v[28:29], v[16:17]
	v_accvgpr_write_b32 a190, v36
	v_add_f64 v[0:1], v[0:1], v[34:35]
	ds_read_b128 v[34:37], v228 offset:1552
	s_waitcnt vmcnt(18) lgkmcnt(1)
	v_mul_f64 v[38:39], v[30:31], v[160:161]
	s_waitcnt vmcnt(16)
	v_fmac_f64_e32 v[38:39], v[32:33], v[162:163]
	v_add_f64 v[0:1], v[0:1], v[38:39]
	ds_read_b128 v[38:41], v228 offset:1568
	s_waitcnt lgkmcnt(1)
	v_mul_f64 v[42:43], v[34:35], v[254:255]
	v_fmac_f64_e32 v[42:43], v[36:37], v[138:139]
	v_add_f64 v[0:1], v[0:1], v[42:43]
	ds_read_b128 v[42:45], v228 offset:1584
	s_waitcnt vmcnt(10) lgkmcnt(1)
	v_mul_f64 v[46:47], v[38:39], v[164:165]
	s_waitcnt vmcnt(8)
	v_fmac_f64_e32 v[46:47], v[40:41], v[166:167]
	v_add_f64 v[174:175], v[0:1], v[46:47]
	ds_read_b128 v[46:49], v228 offset:1600
	buffer_load_dword v15, off, s[0:3], 0 offset:716
	buffer_load_dword v14, off, s[0:3], 0 offset:712
	;; [unrolled: 1-line block ×4, first 2 shown]
	s_waitcnt lgkmcnt(1)
	v_mul_f64 v[178:179], v[42:43], v[142:143]
	v_fmac_f64_e32 v[178:179], v[44:45], v[146:147]
	v_add_f64 v[0:1], v[174:175], v[178:179]
	buffer_load_dword v179, off, s[0:3], 0 offset:732
	buffer_load_dword v178, off, s[0:3], 0 offset:728
	;; [unrolled: 1-line block ×24, first 2 shown]
	v_fma_f64 v[10:11], v[204:205], v[212:213], -v[50:51]
	buffer_load_dword v201, off, s[0:3], 0 offset:828
	buffer_load_dword v200, off, s[0:3], 0 offset:824
	;; [unrolled: 1-line block ×8, first 2 shown]
	ds_read_b128 v[50:53], v228 offset:1616
	buffer_load_dword v211, off, s[0:3], 0 offset:860
	buffer_load_dword v210, off, s[0:3], 0 offset:856
	;; [unrolled: 1-line block ×4, first 2 shown]
	v_fma_f64 v[6:7], v[214:215], v[72:73], -v[54:55]
	buffer_load_dword v208, off, s[0:3], 0 offset:888
	buffer_load_dword v217, off, s[0:3], 0 offset:876
	;; [unrolled: 1-line block ×12, first 2 shown]
	s_waitcnt vmcnt(54) lgkmcnt(1)
	v_mul_f64 v[54:55], v[46:47], v[168:169]
	s_waitcnt vmcnt(52)
	v_fmac_f64_e32 v[54:55], v[48:49], v[170:171]
	v_add_f64 v[0:1], v[0:1], v[54:55]
	s_waitcnt lgkmcnt(0)
	v_mul_f64 v[54:55], v[50:51], v[150:151]
	v_fmac_f64_e32 v[54:55], v[52:53], v[154:155]
	v_add_f64 v[0:1], v[0:1], v[54:55]
	ds_read_b128 v[54:57], v228 offset:1632
	v_fma_f64 v[224:225], v[224:225], v[84:85], -v[58:59]
	ds_read_b128 v[58:61], v228 offset:1648
	v_fma_f64 v[234:235], v[234:235], v[88:89], -v[70:71]
	;; [unrolled: 2-line block ×3, first 2 shown]
	v_mul_f64 v[86:87], v[248:249], v[172:173]
	v_fma_f64 v[246:247], v[246:247], v[62:63], -v[86:87]
	ds_read_b128 v[86:89], v228 offset:1760
	v_mul_f64 v[98:99], v[120:121], v[106:107]
	v_add_f64 v[10:11], v[12:13], v[10:11]
	v_add_f64 v[8:9], v[10:11], v[8:9]
	;; [unrolled: 1-line block ×5, first 2 shown]
	v_accvgpr_read_b32 v6, a180
	v_accvgpr_read_b32 v7, a181
	ds_read_b128 v[82:85], v228 offset:1744
	s_waitcnt vmcnt(50) lgkmcnt(4)
	v_mul_f64 v[66:67], v[54:55], v[14:15]
	s_waitcnt vmcnt(48)
	v_fmac_f64_e32 v[66:67], v[56:57], v[176:177]
	v_add_f64 v[0:1], v[0:1], v[66:67]
	v_mul_f64 v[66:67], v[232:233], v[90:91]
	v_fma_f64 v[226:227], v[230:231], v[92:93], -v[66:67]
	ds_read_b128 v[230:233], v228 offset:1664
	s_waitcnt vmcnt(46) lgkmcnt(4)
	v_mul_f64 v[66:67], v[58:59], v[178:179]
	s_waitcnt vmcnt(44)
	v_fmac_f64_e32 v[66:67], v[60:61], v[180:181]
	v_add_f64 v[0:1], v[0:1], v[66:67]
	ds_read_b128 v[66:69], v228 offset:1680
	s_waitcnt vmcnt(41) lgkmcnt(1)
	v_mul_f64 v[74:75], v[230:231], v[184:185]
	s_waitcnt vmcnt(39)
	v_fmac_f64_e32 v[74:75], v[232:233], v[188:189]
	v_add_f64 v[0:1], v[0:1], v[74:75]
	v_mul_f64 v[74:75], v[240:241], v[100:101]
	v_fma_f64 v[240:241], v[238:239], v[102:103], -v[74:75]
	ds_read_b128 v[74:77], v228 offset:1712
	s_waitcnt vmcnt(38) lgkmcnt(1)
	v_mul_f64 v[78:79], v[66:67], v[174:175]
	s_waitcnt vmcnt(36)
	v_fmac_f64_e32 v[78:79], v[68:69], v[186:187]
	v_add_f64 v[0:1], v[0:1], v[78:79]
	s_waitcnt vmcnt(33)
	v_mul_f64 v[78:79], v[70:71], v[192:193]
	s_waitcnt vmcnt(31)
	v_fmac_f64_e32 v[78:79], v[72:73], v[194:195]
	v_add_f64 v[0:1], v[0:1], v[78:79]
	s_waitcnt vmcnt(29) lgkmcnt(0)
	v_mul_f64 v[78:79], v[74:75], v[182:183]
	s_waitcnt vmcnt(28)
	v_fmac_f64_e32 v[78:79], v[76:77], v[190:191]
	v_add_f64 v[0:1], v[0:1], v[78:79]
	ds_read_b128 v[78:81], v228 offset:1728
	s_waitcnt vmcnt(22)
	v_mul_f64 v[62:63], v[82:83], v[200:201]
	s_waitcnt vmcnt(20)
	v_fmac_f64_e32 v[62:63], v[84:85], v[204:205]
	v_add_f64 v[4:5], v[4:5], v[226:227]
	v_add_f64 v[4:5], v[4:5], v[234:235]
	s_waitcnt lgkmcnt(0)
	v_mul_f64 v[90:91], v[78:79], v[196:197]
	v_fmac_f64_e32 v[90:91], v[80:81], v[198:199]
	v_add_f64 v[0:1], v[0:1], v[90:91]
	v_add_f64 v[0:1], v[0:1], v[62:63]
	ds_read_b128 v[90:93], v228 offset:1776
	s_waitcnt vmcnt(18)
	v_mul_f64 v[62:63], v[86:87], v[202:203]
	s_waitcnt vmcnt(16)
	v_fmac_f64_e32 v[62:63], v[88:89], v[206:207]
	v_add_f64 v[0:1], v[0:1], v[62:63]
	v_mul_f64 v[62:63], v[252:253], v[94:95]
	ds_read_b128 v[94:97], v228 offset:1792
	v_fma_f64 v[252:253], v[250:251], v[104:105], -v[62:63]
	v_fma_f64 v[250:251], v[118:119], v[108:109], -v[98:99]
	ds_read_b128 v[98:101], v228 offset:1808
	s_waitcnt vmcnt(14) lgkmcnt(2)
	v_mul_f64 v[62:63], v[90:91], v[210:211]
	s_waitcnt vmcnt(12)
	v_fmac_f64_e32 v[62:63], v[92:93], v[212:213]
	ds_read_b128 v[102:105], v228 offset:1824
	v_add_f64 v[0:1], v[0:1], v[62:63]
	s_waitcnt vmcnt(9) lgkmcnt(2)
	v_mul_f64 v[62:63], v[94:95], v[216:217]
	s_waitcnt vmcnt(7)
	v_fmac_f64_e32 v[62:63], v[96:97], v[64:65]
	v_add_f64 v[0:1], v[0:1], v[62:63]
	s_waitcnt vmcnt(5) lgkmcnt(1)
	v_mul_f64 v[62:63], v[98:99], v[208:209]
	s_waitcnt vmcnt(4)
	v_fmac_f64_e32 v[62:63], v[100:101], v[214:215]
	;; [unrolled: 5-line block ×3, first 2 shown]
	v_add_f64 v[114:115], v[0:1], v[62:63]
	buffer_load_dword v0, off, s[0:3], 0 offset:920
	buffer_load_dword v1, off, s[0:3], 0 offset:924
	;; [unrolled: 1-line block ×4, first 2 shown]
	ds_read_b128 v[106:109], v228 offset:1840
	buffer_load_dword v237, off, s[0:3], 0 offset:940
	buffer_load_dword v236, off, s[0:3], 0 offset:936
	;; [unrolled: 1-line block ×4, first 2 shown]
	ds_read_b128 v[118:121], v228 offset:1856
	buffer_load_dword v242, off, s[0:3], 0 offset:952
	buffer_load_dword v243, off, s[0:3], 0 offset:956
	buffer_load_dword v244, off, s[0:3], 0 offset:944
	buffer_load_dword v245, off, s[0:3], 0 offset:948
	v_add_f64 v[4:5], v[4:5], v[240:241]
	v_add_f64 v[2:3], v[4:5], v[2:3]
	;; [unrolled: 1-line block ×3, first 2 shown]
	v_accvgpr_read_b32 v4, a178
	v_accvgpr_read_b32 v5, a179
	v_add_f64 v[252:253], v[2:3], v[252:253]
	v_mul_f64 v[4:5], v[124:125], v[4:5]
	v_add_f64 v[2:3], v[252:253], v[250:251]
	v_fma_f64 v[4:5], v[122:123], v[6:7], -v[4:5]
	v_add_f64 v[2:3], v[2:3], v[4:5]
	v_mul_f64 v[4:5], v[128:129], v[140:141]
	v_fma_f64 v[4:5], v[126:127], v[144:145], -v[4:5]
	v_add_f64 v[2:3], v[2:3], v[4:5]
	v_accvgpr_read_b32 v4, a182
	v_accvgpr_read_b32 v5, a183
	;; [unrolled: 1-line block ×3, first 2 shown]
	v_mul_f64 v[4:5], v[132:133], v[4:5]
	v_accvgpr_read_b32 v7, a185
	v_fma_f64 v[4:5], v[130:131], v[6:7], -v[4:5]
	v_add_f64 v[2:3], v[2:3], v[4:5]
	v_mul_f64 v[4:5], v[136:137], v[148:149]
	v_fma_f64 v[4:5], v[134:135], v[152:153], -v[4:5]
	v_add_f64 v[2:3], v[2:3], v[4:5]
	v_accvgpr_read_b32 v4, a186
	v_accvgpr_read_b32 v5, a187
	;; [unrolled: 1-line block ×3, first 2 shown]
	v_mul_f64 v[4:5], v[20:21], v[4:5]
	v_accvgpr_read_b32 v7, a189
	v_fma_f64 v[4:5], v[18:19], v[6:7], -v[4:5]
	v_add_f64 v[2:3], v[2:3], v[4:5]
	v_mul_f64 v[4:5], v[24:25], v[156:157]
	v_fma_f64 v[4:5], v[22:23], v[158:159], -v[4:5]
	v_add_f64 v[2:3], v[2:3], v[4:5]
	v_accvgpr_read_b32 v4, a190
	v_accvgpr_read_b32 v5, a191
	v_mul_f64 v[4:5], v[28:29], v[4:5]
	v_fma_f64 v[4:5], v[26:27], v[16:17], -v[4:5]
	v_add_f64 v[2:3], v[2:3], v[4:5]
	v_mul_f64 v[4:5], v[32:33], v[160:161]
	v_fma_f64 v[4:5], v[30:31], v[162:163], -v[4:5]
	v_add_f64 v[2:3], v[2:3], v[4:5]
	;; [unrolled: 3-line block ×12, first 2 shown]
	v_mul_f64 v[4:5], v[76:77], v[182:183]
	v_fma_f64 v[4:5], v[74:75], v[190:191], -v[4:5]
	s_waitcnt vmcnt(10) lgkmcnt(1)
	v_mul_f64 v[116:117], v[106:107], v[0:1]
	v_add_f64 v[2:3], v[2:3], v[4:5]
	s_waitcnt vmcnt(8)
	v_fmac_f64_e32 v[116:117], v[108:109], v[62:63]
	v_add_f64 v[114:115], v[114:115], v[116:117]
	s_waitcnt vmcnt(6) lgkmcnt(0)
	v_mul_f64 v[116:117], v[118:119], v[236:237]
	s_waitcnt vmcnt(4)
	v_fmac_f64_e32 v[116:117], v[120:121], v[238:239]
	v_add_f64 v[172:173], v[114:115], v[116:117]
	ds_read_b128 v[114:117], v228 offset:1872
	v_mul_f64 v[4:5], v[80:81], v[196:197]
	v_fma_f64 v[4:5], v[78:79], v[198:199], -v[4:5]
	v_add_f64 v[2:3], v[2:3], v[4:5]
	v_mul_f64 v[4:5], v[84:85], v[200:201]
	s_waitcnt vmcnt(2) lgkmcnt(0)
	v_mul_f64 v[248:249], v[114:115], v[242:243]
	s_waitcnt vmcnt(0)
	v_fmac_f64_e32 v[248:249], v[116:117], v[244:245]
	v_add_f64 v[172:173], v[172:173], v[248:249]
	buffer_load_dword v248, off, s[0:3], 0 offset:224
	buffer_load_dword v249, off, s[0:3], 0 offset:228
	;; [unrolled: 1-line block ×4, first 2 shown]
	v_fma_f64 v[4:5], v[82:83], v[204:205], -v[4:5]
	v_add_f64 v[2:3], v[2:3], v[4:5]
	v_mul_f64 v[4:5], v[88:89], v[202:203]
	v_fma_f64 v[4:5], v[86:87], v[206:207], -v[4:5]
	v_add_f64 v[2:3], v[2:3], v[4:5]
	v_mul_f64 v[4:5], v[92:93], v[210:211]
	;; [unrolled: 3-line block ×5, first 2 shown]
	v_fma_f64 v[4:5], v[102:103], v[222:223], -v[4:5]
	v_mul_f64 v[0:1], v[108:109], v[0:1]
	v_add_f64 v[2:3], v[2:3], v[4:5]
	v_fma_f64 v[0:1], v[106:107], v[62:63], -v[0:1]
	v_add_f64 v[0:1], v[2:3], v[0:1]
	v_mul_f64 v[2:3], v[120:121], v[236:237]
	v_fma_f64 v[2:3], v[118:119], v[238:239], -v[2:3]
	v_add_f64 v[0:1], v[0:1], v[2:3]
	v_mul_f64 v[2:3], v[116:117], v[242:243]
	v_fma_f64 v[2:3], v[114:115], v[244:245], -v[2:3]
	v_add_f64 v[0:1], v[0:1], v[2:3]
	s_waitcnt vmcnt(2)
	v_add_f64 v[0:1], v[248:249], -v[0:1]
	s_waitcnt vmcnt(0)
	v_add_f64 v[2:3], v[246:247], -v[172:173]
	buffer_store_dword v1, off, s[0:3], 0 offset:228
	buffer_store_dword v0, off, s[0:3], 0 offset:224
	;; [unrolled: 1-line block ×4, first 2 shown]
	s_and_saveexec_b64 s[4:5], vcc
	s_cbranch_execz .LBB58_343
; %bb.342:
	v_accvgpr_read_b32 v0, a164
	buffer_load_dword v2, v0, s[0:3], 0 offen
	buffer_load_dword v3, v0, s[0:3], 0 offen offset:4
	buffer_load_dword v4, v0, s[0:3], 0 offen offset:8
	;; [unrolled: 1-line block ×3, first 2 shown]
	v_accvgpr_read_b32 v0, a177
	buffer_store_dword v228, off, s[0:3], 0 offset:208
	buffer_store_dword v228, off, s[0:3], 0 offset:212
	;; [unrolled: 1-line block ×4, first 2 shown]
	s_waitcnt vmcnt(4)
	ds_write_b128 v0, v[2:5]
.LBB58_343:
	s_or_b64 exec, exec, s[4:5]
	s_waitcnt lgkmcnt(0)
	; wave barrier
	s_waitcnt lgkmcnt(0)
	buffer_load_dword v60, off, s[0:3], 0 offset:224
	buffer_load_dword v61, off, s[0:3], 0 offset:228
	buffer_load_dword v66, off, s[0:3], 0 offset:232
	buffer_load_dword v67, off, s[0:3], 0 offset:236
	buffer_load_dword v50, off, s[0:3], 0 offset:240
	buffer_load_dword v51, off, s[0:3], 0 offset:244
	buffer_load_dword v58, off, s[0:3], 0 offset:248
	buffer_load_dword v59, off, s[0:3], 0 offset:252
	buffer_load_dword v52, off, s[0:3], 0 offset:264
	buffer_load_dword v53, off, s[0:3], 0 offset:268
	buffer_load_dword v69, off, s[0:3], 0 offset:300
	buffer_load_dword v68, off, s[0:3], 0 offset:296
	buffer_load_dword v71, off, s[0:3], 0 offset:292
	buffer_load_dword v70, off, s[0:3], 0 offset:288
	buffer_load_dword v73, off, s[0:3], 0 offset:284
	buffer_load_dword v72, off, s[0:3], 0 offset:280
	buffer_load_dword v217, off, s[0:3], 0 offset:332
	buffer_load_dword v216, off, s[0:3], 0 offset:328
	buffer_load_dword v77, off, s[0:3], 0 offset:324
	buffer_load_dword v76, off, s[0:3], 0 offset:320
	buffer_load_dword v79, off, s[0:3], 0 offset:316
	buffer_load_dword v78, off, s[0:3], 0 offset:312
	buffer_load_dword v83, off, s[0:3], 0 offset:364
	buffer_load_dword v82, off, s[0:3], 0 offset:360
	buffer_load_dword v84, off, s[0:3], 0 offset:352
	buffer_load_dword v87, off, s[0:3], 0 offset:348
	buffer_load_dword v86, off, s[0:3], 0 offset:344
	buffer_load_dword v81, off, s[0:3], 0 offset:380
	buffer_load_dword v80, off, s[0:3], 0 offset:376
	buffer_load_dword v96, off, s[0:3], 0 offset:256
	buffer_load_dword v97, off, s[0:3], 0 offset:260
	buffer_load_dword v93, off, s[0:3], 0 offset:276
	buffer_load_dword v92, off, s[0:3], 0 offset:272
	buffer_load_dword v91, off, s[0:3], 0 offset:308
	buffer_load_dword v90, off, s[0:3], 0 offset:304
	buffer_load_dword v89, off, s[0:3], 0 offset:340
	buffer_load_dword v88, off, s[0:3], 0 offset:336
	buffer_load_dword v85, off, s[0:3], 0 offset:356
	buffer_load_dword v94, off, s[0:3], 0 offset:392
	buffer_load_dword v98, off, s[0:3], 0 offset:384
	buffer_load_dword v99, off, s[0:3], 0 offset:388
	buffer_load_dword v95, off, s[0:3], 0 offset:396
	ds_read_b128 v[114:117], v228 offset:1152
	ds_read_b128 v[182:185], v228 offset:1168
	;; [unrolled: 1-line block ×10, first 2 shown]
	buffer_load_dword v1, off, s[0:3], 0 offset:372
	buffer_load_dword v0, off, s[0:3], 0 offset:368
	ds_read_b128 v[62:65], v228 offset:1312
	buffer_load_dword v101, off, s[0:3], 0 offset:428
	buffer_load_dword v100, off, s[0:3], 0 offset:424
	;; [unrolled: 1-line block ×6, first 2 shown]
	s_waitcnt vmcnt(46) lgkmcnt(10)
	v_mul_f64 v[2:3], v[114:115], v[66:67]
	v_fmac_f64_e32 v[2:3], v[116:117], v[60:61]
	v_add_f64 v[2:3], v[2:3], 0
	s_waitcnt vmcnt(42) lgkmcnt(9)
	v_mul_f64 v[4:5], v[182:183], v[58:59]
	v_fmac_f64_e32 v[4:5], v[184:185], v[50:51]
	v_add_f64 v[2:3], v[2:3], v[4:5]
	buffer_load_dword v119, off, s[0:3], 0 offset:404
	buffer_load_dword v118, off, s[0:3], 0 offset:400
	;; [unrolled: 1-line block ×20, first 2 shown]
	s_waitcnt vmcnt(60) lgkmcnt(8)
	v_mul_f64 v[6:7], v[186:187], v[52:53]
	s_waitcnt vmcnt(58) lgkmcnt(6)
	v_mul_f64 v[10:11], v[200:201], v[68:69]
	s_waitcnt vmcnt(56)
	v_fmac_f64_e32 v[10:11], v[202:203], v[70:71]
	v_mul_f64 v[58:59], v[184:185], v[58:59]
	s_waitcnt vmcnt(54)
	v_mul_f64 v[8:9], v[194:195], v[72:73]
	v_fma_f64 v[218:219], v[182:183], v[50:51], -v[58:59]
	s_waitcnt vmcnt(52) lgkmcnt(4)
	v_mul_f64 v[14:15], v[208:209], v[216:217]
	v_mul_f64 v[50:51], v[188:189], v[52:53]
	s_waitcnt vmcnt(50)
	v_fmac_f64_e32 v[14:15], v[210:211], v[76:77]
	s_waitcnt vmcnt(48)
	v_mul_f64 v[12:13], v[204:205], v[78:79]
	s_waitcnt vmcnt(46) lgkmcnt(2)
	v_mul_f64 v[18:19], v[220:221], v[82:83]
	s_waitcnt vmcnt(43)
	v_mul_f64 v[16:17], v[212:213], v[86:87]
	s_waitcnt vmcnt(41) lgkmcnt(1)
	v_mul_f64 v[20:21], v[54:55], v[80:81]
	s_waitcnt vmcnt(39)
	v_fmac_f64_e32 v[6:7], v[188:189], v[96:97]
	v_add_f64 v[2:3], v[2:3], v[6:7]
	s_waitcnt vmcnt(37)
	v_fmac_f64_e32 v[8:9], v[196:197], v[92:93]
	v_add_f64 v[2:3], v[2:3], v[8:9]
	;; [unrolled: 3-line block ×3, first 2 shown]
	v_add_f64 v[2:3], v[2:3], v[12:13]
	s_waitcnt vmcnt(33)
	v_fmac_f64_e32 v[16:17], v[214:215], v[88:89]
	v_add_f64 v[2:3], v[2:3], v[14:15]
	s_waitcnt vmcnt(32)
	v_fmac_f64_e32 v[18:19], v[222:223], v[84:85]
	v_add_f64 v[2:3], v[2:3], v[16:17]
	v_add_f64 v[2:3], v[2:3], v[18:19]
	v_fma_f64 v[58:59], v[186:187], v[96:97], -v[50:51]
	s_waitcnt vmcnt(26)
	v_fmac_f64_e32 v[20:21], v[56:57], v[0:1]
	v_add_f64 v[2:3], v[2:3], v[20:21]
	v_mul_f64 v[50:51], v[196:197], v[72:73]
	v_mul_f64 v[56:57], v[56:57], v[80:81]
	v_fma_f64 v[0:1], v[54:55], v[0:1], -v[56:57]
	s_waitcnt vmcnt(0)
	v_pk_mov_b32 v[18:19], v[4:5], v[4:5] op_sel:[0,1]
	buffer_load_dword v5, off, s[0:3], 0 offset:516
	buffer_load_dword v4, off, s[0:3], 0 offset:512
	v_accvgpr_write_b32 a181, v19
	v_accvgpr_write_b32 a180, v18
	s_waitcnt vmcnt(0)
	v_pk_mov_b32 v[22:23], v[4:5], v[4:5] op_sel:[0,1]
	buffer_load_dword v5, off, s[0:3], 0 offset:508
	buffer_load_dword v4, off, s[0:3], 0 offset:504
	v_accvgpr_write_b32 a183, v23
	v_accvgpr_write_b32 a182, v22
	s_waitcnt vmcnt(0)
	v_pk_mov_b32 v[14:15], v[4:5], v[4:5] op_sel:[0,1]
	buffer_load_dword v141, off, s[0:3], 0 offset:500
	buffer_load_dword v140, off, s[0:3], 0 offset:496
	buffer_load_dword v5, off, s[0:3], 0 offset:556
	buffer_load_dword v4, off, s[0:3], 0 offset:552
	v_accvgpr_write_b32 a179, v15
	v_accvgpr_write_b32 a178, v14
	s_waitcnt vmcnt(0)
	v_pk_mov_b32 v[26:27], v[4:5], v[4:5] op_sel:[0,1]
	buffer_load_dword v5, off, s[0:3], 0 offset:548
	buffer_load_dword v4, off, s[0:3], 0 offset:544
	v_accvgpr_write_b32 a185, v27
	v_accvgpr_write_b32 a184, v26
	s_waitcnt vmcnt(0)
	v_pk_mov_b32 v[28:29], v[4:5], v[4:5] op_sel:[0,1]
	buffer_load_dword v145, off, s[0:3], 0 offset:540
	buffer_load_dword v144, off, s[0:3], 0 offset:536
	buffer_load_dword v149, off, s[0:3], 0 offset:532
	buffer_load_dword v148, off, s[0:3], 0 offset:528
	buffer_load_dword v5, off, s[0:3], 0 offset:588
	buffer_load_dword v4, off, s[0:3], 0 offset:584
	v_accvgpr_write_b32 a187, v29
	v_accvgpr_write_b32 a186, v28
	s_waitcnt vmcnt(0)
	v_pk_mov_b32 v[34:35], v[4:5], v[4:5] op_sel:[0,1]
	buffer_load_dword v5, off, s[0:3], 0 offset:580
	buffer_load_dword v4, off, s[0:3], 0 offset:576
	v_accvgpr_write_b32 a189, v35
	v_accvgpr_write_b32 a188, v34
	s_waitcnt vmcnt(0)
	v_pk_mov_b32 v[36:37], v[4:5], v[4:5] op_sel:[0,1]
	buffer_load_dword v153, off, s[0:3], 0 offset:572
	buffer_load_dword v152, off, s[0:3], 0 offset:568
	;; [unrolled: 16-line block ×3, first 2 shown]
	buffer_load_dword v163, off, s[0:3], 0 offset:596
	buffer_load_dword v162, off, s[0:3], 0 offset:592
	;; [unrolled: 1-line block ×26, first 2 shown]
	ds_read_b128 v[224:227], v228 offset:1328
	ds_read_b128 v[230:233], v228 offset:1344
	;; [unrolled: 1-line block ×10, first 2 shown]
	s_waitcnt lgkmcnt(4)
	v_mul_f64 v[8:9], v[246:247], v[106:107]
	v_fmac_f64_e32 v[8:9], v[248:249], v[108:109]
	s_waitcnt lgkmcnt(3)
	v_mul_f64 v[12:13], v[136:137], v[14:15]
	v_fmac_f64_e32 v[12:13], v[138:139], v[140:141]
	;; [unrolled: 3-line block ×4, first 2 shown]
	ds_read_b128 v[120:123], v228 offset:1488
	s_waitcnt lgkmcnt(1)
	v_mul_f64 v[24:25], v[124:125], v[26:27]
	v_fmac_f64_e32 v[24:25], v[126:127], v[28:29]
	v_accvgpr_write_b32 a195, v45
	v_accvgpr_write_b32 a194, v44
	s_waitcnt vmcnt(22)
	v_pk_mov_b32 v[176:177], v[4:5], v[4:5] op_sel:[0,1]
	v_mul_f64 v[4:5], v[62:63], v[94:95]
	v_fmac_f64_e32 v[4:5], v[64:65], v[98:99]
	v_add_f64 v[2:3], v[2:3], v[4:5]
	v_mul_f64 v[4:5], v[224:225], v[104:105]
	v_fmac_f64_e32 v[4:5], v[226:227], v[118:119]
	v_add_f64 v[2:3], v[2:3], v[4:5]
	v_mul_f64 v[4:5], v[230:231], v[100:101]
	v_fmac_f64_e32 v[4:5], v[232:233], v[102:103]
	v_add_f64 v[2:3], v[2:3], v[4:5]
	v_mul_f64 v[4:5], v[234:235], v[250:251]
	v_fmac_f64_e32 v[4:5], v[236:237], v[252:253]
	v_add_f64 v[2:3], v[2:3], v[4:5]
	v_mul_f64 v[4:5], v[238:239], v[110:111]
	v_fmac_f64_e32 v[4:5], v[240:241], v[112:113]
	v_add_f64 v[2:3], v[2:3], v[4:5]
	v_mul_f64 v[4:5], v[242:243], v[254:255]
	v_fmac_f64_e32 v[4:5], v[244:245], v[74:75]
	v_add_f64 v[6:7], v[2:3], v[4:5]
	v_add_f64 v[10:11], v[6:7], v[8:9]
	v_add_f64 v[14:15], v[10:11], v[12:13]
	;; [unrolled: 1-line block ×5, first 2 shown]
	ds_read_b128 v[22:25], v228 offset:1504
	s_waitcnt lgkmcnt(1)
	v_mul_f64 v[28:29], v[120:121], v[152:153]
	v_fmac_f64_e32 v[28:29], v[122:123], v[156:157]
	v_add_f64 v[30:31], v[26:27], v[28:29]
	ds_read_b128 v[26:29], v228 offset:1520
	s_waitcnt lgkmcnt(1)
	v_mul_f64 v[32:33], v[22:23], v[34:35]
	v_fmac_f64_e32 v[32:33], v[24:25], v[36:37]
	v_add_f64 v[34:35], v[30:31], v[32:33]
	;; [unrolled: 5-line block ×4, first 2 shown]
	ds_read_b128 v[38:41], v228 offset:1568
	ds_read_b128 v[42:45], v228 offset:1584
	s_waitcnt vmcnt(18) lgkmcnt(2)
	v_mul_f64 v[48:49], v[34:35], v[164:165]
	s_waitcnt vmcnt(16)
	v_fmac_f64_e32 v[48:49], v[36:37], v[166:167]
	v_add_f64 v[46:47], v[46:47], v[48:49]
	s_waitcnt lgkmcnt(1)
	v_mul_f64 v[48:49], v[38:39], v[176:177]
	v_fmac_f64_e32 v[48:49], v[40:41], v[142:143]
	v_add_f64 v[46:47], v[46:47], v[48:49]
	s_waitcnt vmcnt(10) lgkmcnt(0)
	v_mul_f64 v[48:49], v[42:43], v[168:169]
	v_accvgpr_write_b32 a197, v177
	s_waitcnt vmcnt(8)
	v_fmac_f64_e32 v[48:49], v[44:45], v[170:171]
	v_accvgpr_write_b32 a196, v176
	v_add_f64 v[2:3], v[46:47], v[48:49]
	ds_read_b128 v[46:49], v228 offset:1600
	buffer_load_dword v177, off, s[0:3], 0 offset:732
	buffer_load_dword v176, off, s[0:3], 0 offset:728
	buffer_load_dword v181, off, s[0:3], 0 offset:724
	buffer_load_dword v180, off, s[0:3], 0 offset:720
	buffer_load_dword v178, off, s[0:3], 0 offset:744
	buffer_load_dword v182, off, s[0:3], 0 offset:736
	buffer_load_dword v179, off, s[0:3], 0 offset:748
	buffer_load_dword v183, off, s[0:3], 0 offset:740
	buffer_load_dword v187, off, s[0:3], 0 offset:764
	buffer_load_dword v186, off, s[0:3], 0 offset:760
	buffer_load_dword v191, off, s[0:3], 0 offset:756
	buffer_load_dword v190, off, s[0:3], 0 offset:752
	buffer_load_dword v189, off, s[0:3], 0 offset:780
	buffer_load_dword v188, off, s[0:3], 0 offset:776
	buffer_load_dword v193, off, s[0:3], 0 offset:772
	buffer_load_dword v192, off, s[0:3], 0 offset:768
	v_mul_f64 v[4:5], v[116:117], v[66:67]
	v_fma_f64 v[14:15], v[114:115], v[60:61], -v[4:5]
	v_fma_f64 v[60:61], v[194:195], v[92:93], -v[50:51]
	buffer_load_dword v184, off, s[0:3], 0 offset:808
	buffer_load_dword v197, off, s[0:3], 0 offset:796
	;; [unrolled: 1-line block ×8, first 2 shown]
	v_mul_f64 v[50:51], v[202:203], v[68:69]
	v_fma_f64 v[10:11], v[200:201], v[70:71], -v[50:51]
	buffer_load_dword v201, off, s[0:3], 0 offset:828
	buffer_load_dword v200, off, s[0:3], 0 offset:824
	;; [unrolled: 1-line block ×4, first 2 shown]
	v_mul_f64 v[50:51], v[210:211], v[216:217]
	v_mul_f64 v[8:9], v[206:207], v[78:79]
	v_fma_f64 v[6:7], v[208:209], v[76:77], -v[50:51]
	buffer_load_dword v206, off, s[0:3], 0 offset:840
	buffer_load_dword v208, off, s[0:3], 0 offset:832
	;; [unrolled: 1-line block ×4, first 2 shown]
	v_mul_f64 v[12:13], v[214:215], v[86:87]
	v_fma_f64 v[8:9], v[204:205], v[90:91], -v[8:9]
	v_fma_f64 v[12:13], v[212:213], v[88:89], -v[12:13]
	buffer_load_dword v205, off, s[0:3], 0 offset:876
	buffer_load_dword v211, off, s[0:3], 0 offset:860
	;; [unrolled: 1-line block ×12, first 2 shown]
	v_mul_f64 v[66:67], v[222:223], v[82:83]
	ds_read_b128 v[50:53], v228 offset:1616
	v_fma_f64 v[4:5], v[220:221], v[84:85], -v[66:67]
	buffer_load_dword v220, off, s[0:3], 0 offset:904
	buffer_load_dword v222, off, s[0:3], 0 offset:896
	;; [unrolled: 1-line block ×4, first 2 shown]
	ds_read_b128 v[54:57], v228 offset:1632
	s_waitcnt lgkmcnt(2)
	v_mul_f64 v[16:17], v[46:47], v[146:147]
	v_fmac_f64_e32 v[16:17], v[48:49], v[150:151]
	v_add_f64 v[2:3], v[2:3], v[16:17]
	s_waitcnt vmcnt(50) lgkmcnt(1)
	v_mul_f64 v[16:17], v[50:51], v[172:173]
	s_waitcnt vmcnt(48)
	v_fmac_f64_e32 v[16:17], v[52:53], v[174:175]
	v_mul_f64 v[20:21], v[64:65], v[94:95]
	v_add_f64 v[2:3], v[2:3], v[16:17]
	v_fma_f64 v[20:21], v[62:63], v[98:99], -v[20:21]
	ds_read_b128 v[62:65], v228 offset:1664
	s_waitcnt lgkmcnt(1)
	v_mul_f64 v[16:17], v[54:55], v[154:155]
	v_fmac_f64_e32 v[16:17], v[56:57], v[158:159]
	v_add_f64 v[2:3], v[2:3], v[16:17]
	ds_read_b128 v[16:19], v228 offset:1648
	v_mul_f64 v[86:87], v[240:241], v[110:111]
	v_fma_f64 v[240:241], v[238:239], v[112:113], -v[86:87]
	ds_read_b128 v[86:89], v228 offset:1760
	v_mul_f64 v[78:79], v[232:233], v[100:101]
	v_add_f64 v[14:15], v[14:15], 0
	v_add_f64 v[14:15], v[14:15], v[218:219]
	;; [unrolled: 1-line block ×11, first 2 shown]
	v_accvgpr_read_b32 v4, a178
	v_accvgpr_read_b32 v5, a179
	v_mul_f64 v[4:5], v[138:139], v[4:5]
	v_fma_f64 v[4:5], v[136:137], v[140:141], -v[4:5]
	v_accvgpr_read_b32 v6, a182
	v_accvgpr_read_b32 v7, a183
	ds_read_b128 v[94:97], v228 offset:1792
	ds_read_b128 v[98:101], v228 offset:1808
	s_waitcnt vmcnt(46) lgkmcnt(3)
	v_mul_f64 v[66:67], v[16:17], v[176:177]
	s_waitcnt vmcnt(44)
	v_fmac_f64_e32 v[66:67], v[18:19], v[180:181]
	v_add_f64 v[2:3], v[2:3], v[66:67]
	v_mul_f64 v[66:67], v[226:227], v[104:105]
	v_fma_f64 v[118:119], v[224:225], v[118:119], -v[66:67]
	ds_read_b128 v[66:69], v228 offset:1680
	s_waitcnt vmcnt(41)
	v_mul_f64 v[70:71], v[62:63], v[178:179]
	s_waitcnt vmcnt(40)
	v_fmac_f64_e32 v[70:71], v[64:65], v[182:183]
	v_add_f64 v[2:3], v[2:3], v[70:71]
	ds_read_b128 v[70:73], v228 offset:1696
	v_fma_f64 v[224:225], v[230:231], v[102:103], -v[78:79]
	s_waitcnt vmcnt(38) lgkmcnt(1)
	v_mul_f64 v[78:79], v[66:67], v[186:187]
	s_waitcnt vmcnt(36)
	v_fmac_f64_e32 v[78:79], v[68:69], v[190:191]
	ds_read_b128 v[230:233], v228 offset:1712
	v_add_f64 v[2:3], v[2:3], v[78:79]
	v_mul_f64 v[78:79], v[236:237], v[250:251]
	v_fma_f64 v[234:235], v[234:235], v[252:253], -v[78:79]
	ds_read_b128 v[78:81], v228 offset:1728
	s_waitcnt vmcnt(34) lgkmcnt(2)
	v_mul_f64 v[82:83], v[70:71], v[188:189]
	s_waitcnt vmcnt(32)
	v_fmac_f64_e32 v[82:83], v[72:73], v[192:193]
	v_add_f64 v[2:3], v[2:3], v[82:83]
	s_waitcnt vmcnt(29) lgkmcnt(1)
	v_mul_f64 v[82:83], v[230:231], v[196:197]
	s_waitcnt vmcnt(27)
	v_fmac_f64_e32 v[82:83], v[232:233], v[198:199]
	v_add_f64 v[2:3], v[2:3], v[82:83]
	;; [unrolled: 5-line block ×3, first 2 shown]
	ds_read_b128 v[82:85], v228 offset:1744
	ds_read_b128 v[102:105], v228 offset:1824
	v_add_f64 v[0:1], v[0:1], v[118:119]
	v_add_f64 v[0:1], v[0:1], v[224:225]
	;; [unrolled: 1-line block ×3, first 2 shown]
	s_waitcnt vmcnt(22) lgkmcnt(1)
	v_mul_f64 v[90:91], v[82:83], v[200:201]
	s_waitcnt vmcnt(20)
	v_fmac_f64_e32 v[90:91], v[84:85], v[202:203]
	v_add_f64 v[2:3], v[2:3], v[90:91]
	v_mul_f64 v[90:91], v[244:245], v[254:255]
	v_fma_f64 v[250:251], v[242:243], v[74:75], -v[90:91]
	ds_read_b128 v[90:93], v228 offset:1776
	s_waitcnt vmcnt(17)
	v_mul_f64 v[74:75], v[86:87], v[206:207]
	s_waitcnt vmcnt(16)
	v_fmac_f64_e32 v[74:75], v[88:89], v[208:209]
	v_add_f64 v[2:3], v[2:3], v[74:75]
	v_mul_f64 v[74:75], v[248:249], v[106:107]
	v_fma_f64 v[252:253], v[246:247], v[108:109], -v[74:75]
	s_waitcnt vmcnt(13) lgkmcnt(0)
	v_mul_f64 v[74:75], v[90:91], v[210:211]
	s_waitcnt vmcnt(11)
	v_fmac_f64_e32 v[74:75], v[92:93], v[216:217]
	v_add_f64 v[2:3], v[2:3], v[74:75]
	s_waitcnt vmcnt(10)
	v_mul_f64 v[74:75], v[94:95], v[204:205]
	s_waitcnt vmcnt(8)
	v_fmac_f64_e32 v[74:75], v[96:97], v[214:215]
	v_add_f64 v[2:3], v[2:3], v[74:75]
	s_waitcnt vmcnt(6)
	;; [unrolled: 5-line block ×3, first 2 shown]
	v_mul_f64 v[74:75], v[102:103], v[220:221]
	s_waitcnt vmcnt(0)
	v_fmac_f64_e32 v[74:75], v[104:105], v[222:223]
	v_add_f64 v[74:75], v[2:3], v[74:75]
	buffer_load_dword v3, off, s[0:3], 0 offset:924
	buffer_load_dword v2, off, s[0:3], 0 offset:920
	;; [unrolled: 1-line block ×4, first 2 shown]
	ds_read_b128 v[106:109], v228 offset:1840
	buffer_load_dword v236, off, s[0:3], 0 offset:936
	buffer_load_dword v237, off, s[0:3], 0 offset:940
	;; [unrolled: 1-line block ×4, first 2 shown]
	v_add_f64 v[254:255], v[0:1], v[240:241]
	v_add_f64 v[0:1], v[254:255], v[250:251]
	;; [unrolled: 1-line block ×4, first 2 shown]
	v_accvgpr_read_b32 v4, a180
	v_accvgpr_read_b32 v5, a181
	v_mul_f64 v[4:5], v[134:135], v[4:5]
	v_fma_f64 v[4:5], v[132:133], v[6:7], -v[4:5]
	v_add_f64 v[0:1], v[0:1], v[4:5]
	v_mul_f64 v[4:5], v[130:131], v[144:145]
	v_fma_f64 v[4:5], v[128:129], v[148:149], -v[4:5]
	v_add_f64 v[0:1], v[0:1], v[4:5]
	v_accvgpr_read_b32 v4, a184
	v_accvgpr_read_b32 v5, a185
	v_accvgpr_read_b32 v6, a186
	v_mul_f64 v[4:5], v[126:127], v[4:5]
	v_accvgpr_read_b32 v7, a187
	v_fma_f64 v[4:5], v[124:125], v[6:7], -v[4:5]
	v_add_f64 v[0:1], v[0:1], v[4:5]
	v_mul_f64 v[4:5], v[122:123], v[152:153]
	v_fma_f64 v[4:5], v[120:121], v[156:157], -v[4:5]
	v_add_f64 v[0:1], v[0:1], v[4:5]
	v_accvgpr_read_b32 v4, a188
	v_accvgpr_read_b32 v5, a189
	v_accvgpr_read_b32 v6, a190
	v_mul_f64 v[4:5], v[24:25], v[4:5]
	v_accvgpr_read_b32 v7, a191
	;; [unrolled: 10-line block ×3, first 2 shown]
	v_fma_f64 v[4:5], v[30:31], v[6:7], -v[4:5]
	v_add_f64 v[0:1], v[0:1], v[4:5]
	v_mul_f64 v[4:5], v[36:37], v[164:165]
	v_fma_f64 v[4:5], v[34:35], v[166:167], -v[4:5]
	v_add_f64 v[0:1], v[0:1], v[4:5]
	v_accvgpr_read_b32 v4, a196
	v_accvgpr_read_b32 v5, a197
	v_mul_f64 v[4:5], v[40:41], v[4:5]
	v_fma_f64 v[4:5], v[38:39], v[142:143], -v[4:5]
	v_add_f64 v[0:1], v[0:1], v[4:5]
	v_mul_f64 v[4:5], v[44:45], v[168:169]
	v_fma_f64 v[4:5], v[42:43], v[170:171], -v[4:5]
	v_add_f64 v[0:1], v[0:1], v[4:5]
	;; [unrolled: 3-line block ×10, first 2 shown]
	v_mul_f64 v[4:5], v[80:81], v[184:185]
	s_waitcnt vmcnt(6) lgkmcnt(0)
	v_mul_f64 v[110:111], v[106:107], v[2:3]
	v_fma_f64 v[4:5], v[78:79], v[194:195], -v[4:5]
	s_waitcnt vmcnt(4)
	v_fmac_f64_e32 v[110:111], v[108:109], v[226:227]
	v_add_f64 v[74:75], v[74:75], v[110:111]
	ds_read_b128 v[110:113], v228 offset:1856
	buffer_load_dword v243, off, s[0:3], 0 offset:956
	buffer_load_dword v242, off, s[0:3], 0 offset:952
	;; [unrolled: 1-line block ×4, first 2 shown]
	v_add_f64 v[0:1], v[0:1], v[4:5]
	v_mul_f64 v[4:5], v[84:85], v[200:201]
	v_fma_f64 v[4:5], v[82:83], v[202:203], -v[4:5]
	s_waitcnt vmcnt(6) lgkmcnt(0)
	v_mul_f64 v[114:115], v[110:111], v[236:237]
	s_waitcnt vmcnt(4)
	v_fmac_f64_e32 v[114:115], v[112:113], v[238:239]
	v_add_f64 v[74:75], v[74:75], v[114:115]
	ds_read_b128 v[114:117], v228 offset:1872
	buffer_load_dword v248, off, s[0:3], 0 offset:208
	buffer_load_dword v249, off, s[0:3], 0 offset:212
	;; [unrolled: 1-line block ×4, first 2 shown]
	v_add_f64 v[0:1], v[0:1], v[4:5]
	v_mul_f64 v[4:5], v[88:89], v[206:207]
	v_fma_f64 v[4:5], v[86:87], v[208:209], -v[4:5]
	v_add_f64 v[0:1], v[0:1], v[4:5]
	v_mul_f64 v[4:5], v[92:93], v[210:211]
	v_fma_f64 v[4:5], v[90:91], v[216:217], -v[4:5]
	;; [unrolled: 3-line block ×5, first 2 shown]
	v_mul_f64 v[2:3], v[108:109], v[2:3]
	v_add_f64 v[0:1], v[0:1], v[4:5]
	v_fma_f64 v[2:3], v[106:107], v[226:227], -v[2:3]
	v_add_f64 v[0:1], v[0:1], v[2:3]
	v_mul_f64 v[2:3], v[112:113], v[236:237]
	v_fma_f64 v[2:3], v[110:111], v[238:239], -v[2:3]
	v_add_f64 v[0:1], v[0:1], v[2:3]
	s_waitcnt vmcnt(6) lgkmcnt(0)
	v_mul_f64 v[228:229], v[114:115], v[242:243]
	v_mul_f64 v[2:3], v[116:117], v[242:243]
	s_waitcnt vmcnt(4)
	v_fmac_f64_e32 v[228:229], v[116:117], v[244:245]
	v_fma_f64 v[2:3], v[114:115], v[244:245], -v[2:3]
	v_add_f64 v[74:75], v[74:75], v[228:229]
	v_add_f64 v[0:1], v[0:1], v[2:3]
	v_accvgpr_read_b32 v229, a176
	v_cmp_lt_u32_e32 vcc, 11, v229
	s_waitcnt vmcnt(2)
	v_add_f64 v[0:1], v[248:249], -v[0:1]
	s_waitcnt vmcnt(0)
	v_add_f64 v[2:3], v[246:247], -v[74:75]
	buffer_store_dword v1, off, s[0:3], 0 offset:212
	buffer_store_dword v0, off, s[0:3], 0 offset:208
	;; [unrolled: 1-line block ×4, first 2 shown]
	s_and_saveexec_b64 s[4:5], vcc
	s_cbranch_execz .LBB58_345
; %bb.344:
	v_accvgpr_read_b32 v0, a165
	buffer_load_dword v2, v0, s[0:3], 0 offen
	buffer_load_dword v3, v0, s[0:3], 0 offen offset:4
	buffer_load_dword v4, v0, s[0:3], 0 offen offset:8
	;; [unrolled: 1-line block ×3, first 2 shown]
	v_mov_b32_e32 v0, 0
	v_accvgpr_read_b32 v1, a177
	buffer_store_dword v0, off, s[0:3], 0 offset:192
	buffer_store_dword v0, off, s[0:3], 0 offset:196
	;; [unrolled: 1-line block ×4, first 2 shown]
	s_waitcnt vmcnt(4)
	ds_write_b128 v1, v[2:5]
.LBB58_345:
	s_or_b64 exec, exec, s[4:5]
	s_waitcnt lgkmcnt(0)
	; wave barrier
	s_waitcnt lgkmcnt(0)
	buffer_load_dword v48, off, s[0:3], 0 offset:208
	buffer_load_dword v49, off, s[0:3], 0 offset:212
	;; [unrolled: 1-line block ×42, first 2 shown]
	v_mov_b32_e32 v228, 0
	buffer_load_dword v99, off, s[0:3], 0 offset:356
	buffer_load_dword v98, off, s[0:3], 0 offset:352
	;; [unrolled: 1-line block ×7, first 2 shown]
	ds_read_b128 v[112:115], v228 offset:1136
	ds_read_b128 v[116:119], v228 offset:1152
	;; [unrolled: 1-line block ×11, first 2 shown]
	v_cmp_lt_u32_e32 vcc, 10, v229
	s_waitcnt vmcnt(45) lgkmcnt(10)
	v_mul_f64 v[0:1], v[112:113], v[52:53]
	v_fmac_f64_e32 v[0:1], v[114:115], v[48:49]
	v_add_f64 v[0:1], v[0:1], 0
	s_waitcnt vmcnt(41) lgkmcnt(9)
	v_mul_f64 v[2:3], v[116:117], v[54:55]
	v_fmac_f64_e32 v[2:3], v[118:119], v[50:51]
	s_waitcnt vmcnt(39) lgkmcnt(8)
	v_mul_f64 v[4:5], v[180:181], v[46:47]
	v_add_f64 v[0:1], v[0:1], v[2:3]
	s_waitcnt vmcnt(37) lgkmcnt(6)
	v_mul_f64 v[8:9], v[190:191], v[62:63]
	v_mul_f64 v[46:47], v[182:183], v[46:47]
	s_waitcnt vmcnt(35)
	v_fmac_f64_e32 v[8:9], v[192:193], v[56:57]
	s_waitcnt vmcnt(33)
	v_mul_f64 v[6:7], v[184:185], v[64:65]
	s_waitcnt vmcnt(31) lgkmcnt(4)
	v_mul_f64 v[12:13], v[200:201], v[66:67]
	s_waitcnt vmcnt(29)
	v_fmac_f64_e32 v[12:13], v[202:203], v[68:69]
	s_waitcnt vmcnt(27)
	v_mul_f64 v[10:11], v[196:197], v[208:209]
	s_waitcnt vmcnt(25) lgkmcnt(2)
	v_mul_f64 v[16:17], v[214:215], v[76:77]
	s_waitcnt vmcnt(22)
	v_mul_f64 v[14:15], v[204:205], v[78:79]
	s_waitcnt vmcnt(20) lgkmcnt(1)
	v_mul_f64 v[18:19], v[220:221], v[72:73]
	s_waitcnt vmcnt(18)
	v_fmac_f64_e32 v[4:5], v[182:183], v[90:91]
	v_add_f64 v[0:1], v[0:1], v[4:5]
	s_waitcnt vmcnt(16)
	v_fmac_f64_e32 v[6:7], v[186:187], v[88:89]
	v_add_f64 v[0:1], v[0:1], v[6:7]
	;; [unrolled: 3-line block ×3, first 2 shown]
	v_add_f64 v[0:1], v[0:1], v[10:11]
	s_waitcnt vmcnt(12)
	v_fmac_f64_e32 v[14:15], v[206:207], v[80:81]
	v_add_f64 v[0:1], v[0:1], v[12:13]
	s_waitcnt vmcnt(11)
	v_fmac_f64_e32 v[16:17], v[216:217], v[74:75]
	v_add_f64 v[0:1], v[0:1], v[14:15]
	v_add_f64 v[2:3], v[0:1], v[16:17]
	buffer_load_dword v96, off, s[0:3], 0 offset:392
	buffer_load_dword v255, off, s[0:3], 0 offset:388
	buffer_load_dword v254, off, s[0:3], 0 offset:384
	buffer_load_dword v109, off, s[0:3], 0 offset:444
	buffer_load_dword v108, off, s[0:3], 0 offset:440
	buffer_load_dword v111, off, s[0:3], 0 offset:436
	buffer_load_dword v110, off, s[0:3], 0 offset:432
	buffer_load_dword v173, off, s[0:3], 0 offset:428
	buffer_load_dword v172, off, s[0:3], 0 offset:424
	buffer_load_dword v175, off, s[0:3], 0 offset:420
	buffer_load_dword v174, off, s[0:3], 0 offset:416
	buffer_load_dword v101, off, s[0:3], 0 offset:476
	buffer_load_dword v100, off, s[0:3], 0 offset:472
	buffer_load_dword v103, off, s[0:3], 0 offset:468
	buffer_load_dword v102, off, s[0:3], 0 offset:464
	buffer_load_dword v1, off, s[0:3], 0 offset:460
	buffer_load_dword v0, off, s[0:3], 0 offset:456
	buffer_load_dword v71, off, s[0:3], 0 offset:452
	buffer_load_dword v70, off, s[0:3], 0 offset:448
	buffer_load_dword v5, off, s[0:3], 0 offset:508
	buffer_load_dword v4, off, s[0:3], 0 offset:504
	s_waitcnt vmcnt(26)
	v_fmac_f64_e32 v[18:19], v[222:223], v[98:99]
	v_add_f64 v[2:3], v[2:3], v[18:19]
	v_fma_f64 v[90:91], v[180:181], v[90:91], -v[46:47]
	v_mul_f64 v[46:47], v[186:187], v[64:65]
	v_fma_f64 v[88:89], v[184:185], v[88:89], -v[46:47]
	v_mul_f64 v[46:47], v[192:193], v[62:63]
	s_waitcnt vmcnt(0)
	v_pk_mov_b32 v[8:9], v[4:5], v[4:5] op_sel:[0,1]
	buffer_load_dword v5, off, s[0:3], 0 offset:500
	buffer_load_dword v4, off, s[0:3], 0 offset:496
	v_accvgpr_write_b32 a179, v9
	v_accvgpr_write_b32 a178, v8
	s_waitcnt vmcnt(0)
	v_pk_mov_b32 v[12:13], v[4:5], v[4:5] op_sel:[0,1]
	buffer_load_dword v105, off, s[0:3], 0 offset:492
	buffer_load_dword v104, off, s[0:3], 0 offset:488
	buffer_load_dword v107, off, s[0:3], 0 offset:484
	buffer_load_dword v106, off, s[0:3], 0 offset:480
	buffer_load_dword v5, off, s[0:3], 0 offset:540
	buffer_load_dword v4, off, s[0:3], 0 offset:536
	v_accvgpr_write_b32 a181, v13
	v_accvgpr_write_b32 a180, v12
	s_waitcnt vmcnt(0)
	v_pk_mov_b32 v[16:17], v[4:5], v[4:5] op_sel:[0,1]
	buffer_load_dword v5, off, s[0:3], 0 offset:532
	buffer_load_dword v4, off, s[0:3], 0 offset:528
	v_accvgpr_write_b32 a183, v17
	v_accvgpr_write_b32 a182, v16
	s_waitcnt vmcnt(0)
	v_pk_mov_b32 v[22:23], v[4:5], v[4:5] op_sel:[0,1]
	buffer_load_dword v141, off, s[0:3], 0 offset:524
	buffer_load_dword v140, off, s[0:3], 0 offset:520
	buffer_load_dword v145, off, s[0:3], 0 offset:516
	buffer_load_dword v144, off, s[0:3], 0 offset:512
	buffer_load_dword v5, off, s[0:3], 0 offset:572
	buffer_load_dword v4, off, s[0:3], 0 offset:568
	v_accvgpr_write_b32 a185, v23
	v_accvgpr_write_b32 a184, v22
	;; [unrolled: 16-line block ×3, first 2 shown]
	s_waitcnt vmcnt(0)
	v_pk_mov_b32 v[36:37], v[4:5], v[4:5] op_sel:[0,1]
	buffer_load_dword v5, off, s[0:3], 0 offset:596
	buffer_load_dword v4, off, s[0:3], 0 offset:592
	;; [unrolled: 1-line block ×30, first 2 shown]
	ds_read_b128 v[224:227], v228 offset:1312
	ds_read_b128 v[230:233], v228 offset:1328
	;; [unrolled: 1-line block ×12, first 2 shown]
	s_waitcnt lgkmcnt(4)
	v_mul_f64 v[10:11], v[120:121], v[8:9]
	v_fmac_f64_e32 v[10:11], v[122:123], v[12:13]
	s_waitcnt lgkmcnt(3)
	v_mul_f64 v[14:15], v[124:125], v[140:141]
	v_fmac_f64_e32 v[14:15], v[126:127], v[144:145]
	;; [unrolled: 3-line block ×5, first 2 shown]
	v_accvgpr_write_b32 a191, v37
	v_accvgpr_write_b32 a190, v36
	s_waitcnt vmcnt(28)
	v_accvgpr_write_b32 a193, v5
	v_accvgpr_write_b32 a192, v4
	s_waitcnt vmcnt(20)
	v_pk_mov_b32 v[44:45], v[6:7], v[6:7] op_sel:[0,1]
	v_mul_f64 v[6:7], v[58:59], v[84:85]
	v_fmac_f64_e32 v[6:7], v[60:61], v[86:87]
	v_add_f64 v[2:3], v[2:3], v[6:7]
	v_mul_f64 v[6:7], v[224:225], v[96:97]
	v_fmac_f64_e32 v[6:7], v[226:227], v[254:255]
	v_add_f64 v[2:3], v[2:3], v[6:7]
	;; [unrolled: 3-line block ×8, first 2 shown]
	v_add_f64 v[2:3], v[2:3], v[10:11]
	v_add_f64 v[2:3], v[2:3], v[14:15]
	;; [unrolled: 1-line block ×4, first 2 shown]
	ds_read_b128 v[22:25], v228 offset:1504
	v_add_f64 v[2:3], v[2:3], v[26:27]
	ds_read_b128 v[26:29], v228 offset:1520
	v_accvgpr_write_b32 a195, v45
	v_accvgpr_write_b32 a194, v44
	s_waitcnt lgkmcnt(1)
	v_mul_f64 v[30:31], v[22:23], v[156:157]
	v_fmac_f64_e32 v[30:31], v[24:25], v[158:159]
	s_waitcnt lgkmcnt(0)
	v_mul_f64 v[34:35], v[26:27], v[36:37]
	v_add_f64 v[2:3], v[2:3], v[30:31]
	ds_read_b128 v[30:33], v228 offset:1536
	v_fmac_f64_e32 v[34:35], v[28:29], v[4:5]
	v_add_f64 v[2:3], v[2:3], v[34:35]
	ds_read_b128 v[34:37], v228 offset:1552
	v_mul_f64 v[6:7], v[118:119], v[54:55]
	s_waitcnt vmcnt(18) lgkmcnt(1)
	v_mul_f64 v[38:39], v[30:31], v[160:161]
	s_waitcnt vmcnt(16)
	v_fmac_f64_e32 v[38:39], v[32:33], v[162:163]
	v_add_f64 v[2:3], v[2:3], v[38:39]
	s_waitcnt lgkmcnt(0)
	v_mul_f64 v[42:43], v[34:35], v[20:21]
	v_fmac_f64_e32 v[42:43], v[36:37], v[44:45]
	ds_read_b128 v[38:41], v228 offset:1568
	v_add_f64 v[2:3], v[2:3], v[42:43]
	ds_read_b128 v[42:45], v228 offset:1584
	buffer_load_dword v19, off, s[0:3], 0 offset:716
	buffer_load_dword v18, off, s[0:3], 0 offset:712
	;; [unrolled: 1-line block ×16, first 2 shown]
	v_fma_f64 v[14:15], v[190:191], v[56:57], -v[46:47]
	buffer_load_dword v182, off, s[0:3], 0 offset:792
	buffer_load_dword v193, off, s[0:3], 0 offset:780
	;; [unrolled: 1-line block ×8, first 2 shown]
	v_mul_f64 v[4:5], v[114:115], v[52:53]
	v_fma_f64 v[16:17], v[112:113], v[48:49], -v[4:5]
	v_fma_f64 v[112:113], v[116:117], v[50:51], -v[6:7]
	v_mul_f64 v[50:51], v[198:199], v[208:209]
	ds_read_b128 v[46:49], v228 offset:1600
	v_fma_f64 v[12:13], v[196:197], v[82:83], -v[50:51]
	buffer_load_dword v197, off, s[0:3], 0 offset:812
	buffer_load_dword v196, off, s[0:3], 0 offset:808
	;; [unrolled: 1-line block ×4, first 2 shown]
	v_mul_f64 v[50:51], v[202:203], v[66:67]
	v_fma_f64 v[10:11], v[200:201], v[68:69], -v[50:51]
	buffer_load_dword v200, off, s[0:3], 0 offset:824
	buffer_load_dword v202, off, s[0:3], 0 offset:816
	;; [unrolled: 1-line block ×4, first 2 shown]
	v_mul_f64 v[50:51], v[206:207], v[78:79]
	buffer_load_dword v207, off, s[0:3], 0 offset:844
	buffer_load_dword v206, off, s[0:3], 0 offset:840
	;; [unrolled: 1-line block ×8, first 2 shown]
	s_waitcnt vmcnt(50) lgkmcnt(2)
	v_mul_f64 v[52:53], v[38:39], v[164:165]
	v_fma_f64 v[8:9], v[204:205], v[80:81], -v[50:51]
	v_mul_f64 v[50:51], v[216:217], v[76:77]
	s_waitcnt vmcnt(48)
	v_fmac_f64_e32 v[52:53], v[40:41], v[166:167]
	v_fma_f64 v[6:7], v[214:215], v[74:75], -v[50:51]
	v_mul_f64 v[50:51], v[222:223], v[72:73]
	buffer_load_dword v204, off, s[0:3], 0 offset:888
	buffer_load_dword v217, off, s[0:3], 0 offset:876
	;; [unrolled: 1-line block ×8, first 2 shown]
	v_add_f64 v[2:3], v[2:3], v[52:53]
	v_fma_f64 v[220:221], v[220:221], v[98:99], -v[50:51]
	ds_read_b128 v[50:53], v228 offset:1616
	s_waitcnt lgkmcnt(2)
	v_mul_f64 v[54:55], v[42:43], v[142:143]
	v_fmac_f64_e32 v[54:55], v[44:45], v[146:147]
	v_add_f64 v[2:3], v[2:3], v[54:55]
	s_waitcnt vmcnt(50) lgkmcnt(1)
	v_mul_f64 v[54:55], v[46:47], v[168:169]
	s_waitcnt vmcnt(48)
	v_fmac_f64_e32 v[54:55], v[48:49], v[170:171]
	v_mul_f64 v[60:61], v[60:61], v[84:85]
	v_add_f64 v[2:3], v[2:3], v[54:55]
	v_fma_f64 v[86:87], v[58:59], v[86:87], -v[60:61]
	ds_read_b128 v[58:61], v228 offset:1648
	s_waitcnt lgkmcnt(1)
	v_mul_f64 v[54:55], v[50:51], v[150:151]
	v_fmac_f64_e32 v[54:55], v[52:53], v[154:155]
	v_add_f64 v[2:3], v[2:3], v[54:55]
	ds_read_b128 v[54:57], v228 offset:1632
	v_mul_f64 v[72:73], v[232:233], v[92:93]
	v_fma_f64 v[92:93], v[230:231], v[94:95], -v[72:73]
	ds_read_b128 v[230:233], v228 offset:1696
	v_mul_f64 v[74:75], v[236:237], v[172:173]
	v_fma_f64 v[234:235], v[234:235], v[174:175], -v[74:75]
	ds_read_b128 v[74:77], v228 offset:1712
	ds_read_b128 v[78:81], v228 offset:1728
	;; [unrolled: 1-line block ×4, first 2 shown]
	v_mul_f64 v[0:1], v[244:245], v[0:1]
	v_fma_f64 v[0:1], v[242:243], v[70:71], -v[0:1]
	v_mul_f64 v[94:95], v[248:249], v[100:101]
	v_fma_f64 v[246:247], v[246:247], v[102:103], -v[94:95]
	v_add_f64 v[16:17], v[16:17], 0
	v_add_f64 v[16:17], v[16:17], v[112:113]
	;; [unrolled: 1-line block ×11, first 2 shown]
	s_waitcnt vmcnt(46) lgkmcnt(5)
	v_mul_f64 v[62:63], v[54:55], v[18:19]
	s_waitcnt vmcnt(44)
	v_fmac_f64_e32 v[62:63], v[56:57], v[178:179]
	v_add_f64 v[2:3], v[2:3], v[62:63]
	v_mul_f64 v[62:63], v[226:227], v[96:97]
	v_fma_f64 v[254:255], v[224:225], v[254:255], -v[62:63]
	ds_read_b128 v[62:65], v228 offset:1664
	s_waitcnt vmcnt(41)
	v_mul_f64 v[66:67], v[58:59], v[118:119]
	s_waitcnt vmcnt(40)
	v_fmac_f64_e32 v[66:67], v[60:61], v[176:177]
	v_add_f64 v[2:3], v[2:3], v[66:67]
	ds_read_b128 v[66:69], v228 offset:1680
	s_waitcnt vmcnt(37) lgkmcnt(1)
	v_mul_f64 v[72:73], v[62:63], v[184:185]
	s_waitcnt vmcnt(35)
	v_fmac_f64_e32 v[72:73], v[64:65], v[186:187]
	v_add_f64 v[2:3], v[2:3], v[72:73]
	ds_read_b128 v[94:97], v228 offset:1792
	s_waitcnt vmcnt(34) lgkmcnt(1)
	v_mul_f64 v[72:73], v[66:67], v[180:181]
	s_waitcnt vmcnt(32)
	v_fmac_f64_e32 v[72:73], v[68:69], v[188:189]
	v_add_f64 v[2:3], v[2:3], v[72:73]
	s_waitcnt vmcnt(29)
	v_mul_f64 v[72:73], v[230:231], v[192:193]
	s_waitcnt vmcnt(27)
	v_fmac_f64_e32 v[72:73], v[232:233], v[194:195]
	v_add_f64 v[2:3], v[2:3], v[72:73]
	s_waitcnt vmcnt(25)
	v_mul_f64 v[72:73], v[74:75], v[182:183]
	s_waitcnt vmcnt(24)
	v_fmac_f64_e32 v[72:73], v[76:77], v[190:191]
	v_add_f64 v[2:3], v[2:3], v[72:73]
	v_mul_f64 v[72:73], v[240:241], v[108:109]
	v_fma_f64 v[4:5], v[238:239], v[110:111], -v[72:73]
	s_waitcnt vmcnt(22)
	v_mul_f64 v[72:73], v[78:79], v[196:197]
	s_waitcnt vmcnt(20)
	v_fmac_f64_e32 v[72:73], v[80:81], v[198:199]
	s_waitcnt vmcnt(17)
	v_mul_f64 v[70:71], v[82:83], v[200:201]
	v_add_f64 v[2:3], v[2:3], v[72:73]
	s_waitcnt vmcnt(16)
	v_fmac_f64_e32 v[70:71], v[84:85], v[202:203]
	s_waitcnt vmcnt(14)
	v_mul_f64 v[98:99], v[172:173], v[206:207]
	v_add_f64 v[2:3], v[2:3], v[70:71]
	s_waitcnt vmcnt(12)
	v_fmac_f64_e32 v[98:99], v[174:175], v[210:211]
	ds_read_b128 v[70:73], v228 offset:1776
	v_add_f64 v[102:103], v[2:3], v[98:99]
	ds_read_b128 v[98:101], v228 offset:1808
	buffer_load_dword v111, off, s[0:3], 0 offset:908
	buffer_load_dword v110, off, s[0:3], 0 offset:904
	;; [unrolled: 1-line block ×4, first 2 shown]
	v_mul_f64 v[2:3], v[252:253], v[104:105]
	s_waitcnt vmcnt(14) lgkmcnt(1)
	v_mul_f64 v[108:109], v[70:71], v[208:209]
	s_waitcnt vmcnt(12)
	v_fmac_f64_e32 v[108:109], v[72:73], v[212:213]
	s_waitcnt vmcnt(9)
	v_mul_f64 v[104:105], v[94:95], v[216:217]
	v_add_f64 v[102:103], v[102:103], v[108:109]
	s_waitcnt vmcnt(7)
	v_fmac_f64_e32 v[104:105], v[96:97], v[218:219]
	v_add_f64 v[102:103], v[102:103], v[104:105]
	s_waitcnt vmcnt(5) lgkmcnt(0)
	v_mul_f64 v[104:105], v[98:99], v[204:205]
	s_waitcnt vmcnt(4)
	v_fmac_f64_e32 v[104:105], v[100:101], v[214:215]
	v_fma_f64 v[2:3], v[250:251], v[106:107], -v[2:3]
	v_add_f64 v[106:107], v[102:103], v[104:105]
	ds_read_b128 v[102:105], v228 offset:1824
	buffer_load_dword v224, off, s[0:3], 0 offset:920
	buffer_load_dword v225, off, s[0:3], 0 offset:924
	;; [unrolled: 1-line block ×4, first 2 shown]
	v_add_f64 v[6:7], v[6:7], v[254:255]
	v_add_f64 v[6:7], v[6:7], v[92:93]
	;; [unrolled: 1-line block ×7, first 2 shown]
	v_accvgpr_read_b32 v2, a178
	v_accvgpr_read_b32 v3, a179
	v_accvgpr_read_b32 v4, a180
	v_mul_f64 v[2:3], v[122:123], v[2:3]
	v_accvgpr_read_b32 v5, a181
	v_fma_f64 v[2:3], v[120:121], v[4:5], -v[2:3]
	v_add_f64 v[0:1], v[0:1], v[2:3]
	v_mul_f64 v[2:3], v[126:127], v[140:141]
	v_fma_f64 v[2:3], v[124:125], v[144:145], -v[2:3]
	v_add_f64 v[0:1], v[0:1], v[2:3]
	v_accvgpr_read_b32 v2, a182
	v_accvgpr_read_b32 v3, a183
	v_accvgpr_read_b32 v4, a184
	v_mul_f64 v[2:3], v[130:131], v[2:3]
	v_accvgpr_read_b32 v5, a185
	v_fma_f64 v[2:3], v[128:129], v[4:5], -v[2:3]
	v_add_f64 v[0:1], v[0:1], v[2:3]
	v_mul_f64 v[2:3], v[134:135], v[148:149]
	v_fma_f64 v[2:3], v[132:133], v[152:153], -v[2:3]
	v_add_f64 v[0:1], v[0:1], v[2:3]
	;; [unrolled: 10-line block ×3, first 2 shown]
	v_accvgpr_read_b32 v2, a190
	v_accvgpr_read_b32 v3, a191
	;; [unrolled: 1-line block ×3, first 2 shown]
	v_mul_f64 v[2:3], v[28:29], v[2:3]
	v_accvgpr_read_b32 v5, a193
	v_fma_f64 v[2:3], v[26:27], v[4:5], -v[2:3]
	v_add_f64 v[0:1], v[0:1], v[2:3]
	v_mul_f64 v[2:3], v[32:33], v[160:161]
	v_fma_f64 v[2:3], v[30:31], v[162:163], -v[2:3]
	v_accvgpr_read_b32 v4, a194
	v_add_f64 v[0:1], v[0:1], v[2:3]
	v_mul_f64 v[2:3], v[36:37], v[20:21]
	v_accvgpr_read_b32 v5, a195
	v_fma_f64 v[2:3], v[34:35], v[4:5], -v[2:3]
	v_add_f64 v[0:1], v[0:1], v[2:3]
	v_mul_f64 v[2:3], v[40:41], v[164:165]
	v_fma_f64 v[2:3], v[38:39], v[166:167], -v[2:3]
	v_add_f64 v[0:1], v[0:1], v[2:3]
	v_mul_f64 v[2:3], v[44:45], v[142:143]
	;; [unrolled: 3-line block ×4, first 2 shown]
	v_fma_f64 v[2:3], v[50:51], v[154:155], -v[2:3]
	v_add_f64 v[0:1], v[0:1], v[2:3]
	s_waitcnt vmcnt(6) lgkmcnt(0)
	v_mul_f64 v[108:109], v[102:103], v[110:111]
	v_mul_f64 v[2:3], v[56:57], v[18:19]
	s_waitcnt vmcnt(4)
	v_fmac_f64_e32 v[108:109], v[104:105], v[222:223]
	v_add_f64 v[114:115], v[106:107], v[108:109]
	ds_read_b128 v[106:109], v228 offset:1840
	buffer_load_dword v237, off, s[0:3], 0 offset:940
	buffer_load_dword v236, off, s[0:3], 0 offset:936
	;; [unrolled: 1-line block ×4, first 2 shown]
	ds_read_b128 v[250:253], v228 offset:1856
	buffer_load_dword v242, off, s[0:3], 0 offset:952
	buffer_load_dword v243, off, s[0:3], 0 offset:956
	;; [unrolled: 1-line block ×4, first 2 shown]
	v_fma_f64 v[2:3], v[54:55], v[178:179], -v[2:3]
	v_add_f64 v[0:1], v[0:1], v[2:3]
	v_mul_f64 v[2:3], v[60:61], v[118:119]
	v_fma_f64 v[2:3], v[58:59], v[176:177], -v[2:3]
	v_add_f64 v[0:1], v[0:1], v[2:3]
	s_waitcnt vmcnt(10) lgkmcnt(1)
	v_mul_f64 v[116:117], v[106:107], v[224:225]
	v_mul_f64 v[2:3], v[64:65], v[184:185]
	s_waitcnt vmcnt(8)
	v_fmac_f64_e32 v[116:117], v[108:109], v[226:227]
	v_add_f64 v[114:115], v[114:115], v[116:117]
	v_fma_f64 v[2:3], v[62:63], v[186:187], -v[2:3]
	v_add_f64 v[0:1], v[0:1], v[2:3]
	v_mul_f64 v[2:3], v[68:69], v[180:181]
	v_fma_f64 v[2:3], v[66:67], v[188:189], -v[2:3]
	v_add_f64 v[0:1], v[0:1], v[2:3]
	v_mul_f64 v[2:3], v[232:233], v[192:193]
	v_fma_f64 v[2:3], v[230:231], v[194:195], -v[2:3]
	v_add_f64 v[0:1], v[0:1], v[2:3]
	v_mul_f64 v[2:3], v[76:77], v[182:183]
	v_fma_f64 v[2:3], v[74:75], v[190:191], -v[2:3]
	v_add_f64 v[0:1], v[0:1], v[2:3]
	v_mul_f64 v[2:3], v[80:81], v[196:197]
	v_fma_f64 v[2:3], v[78:79], v[198:199], -v[2:3]
	v_add_f64 v[0:1], v[0:1], v[2:3]
	v_mul_f64 v[2:3], v[84:85], v[200:201]
	v_fma_f64 v[2:3], v[82:83], v[202:203], -v[2:3]
	v_add_f64 v[0:1], v[0:1], v[2:3]
	v_mul_f64 v[2:3], v[174:175], v[206:207]
	v_fma_f64 v[2:3], v[172:173], v[210:211], -v[2:3]
	v_add_f64 v[0:1], v[0:1], v[2:3]
	v_mul_f64 v[2:3], v[72:73], v[208:209]
	v_fma_f64 v[2:3], v[70:71], v[212:213], -v[2:3]
	v_add_f64 v[0:1], v[0:1], v[2:3]
	v_mul_f64 v[2:3], v[96:97], v[216:217]
	v_fma_f64 v[2:3], v[94:95], v[218:219], -v[2:3]
	v_add_f64 v[0:1], v[0:1], v[2:3]
	v_mul_f64 v[2:3], v[100:101], v[204:205]
	v_fma_f64 v[2:3], v[98:99], v[214:215], -v[2:3]
	v_add_f64 v[0:1], v[0:1], v[2:3]
	v_mul_f64 v[2:3], v[104:105], v[110:111]
	v_fma_f64 v[2:3], v[102:103], v[222:223], -v[2:3]
	v_add_f64 v[0:1], v[0:1], v[2:3]
	v_mul_f64 v[2:3], v[108:109], v[224:225]
	v_fma_f64 v[2:3], v[106:107], v[226:227], -v[2:3]
	v_add_f64 v[0:1], v[0:1], v[2:3]
	s_waitcnt vmcnt(6) lgkmcnt(0)
	v_mul_f64 v[116:117], v[250:251], v[236:237]
	v_mul_f64 v[2:3], v[252:253], v[236:237]
	s_waitcnt vmcnt(4)
	v_fmac_f64_e32 v[116:117], v[252:253], v[238:239]
	v_add_f64 v[240:241], v[114:115], v[116:117]
	ds_read_b128 v[114:117], v228 offset:1872
	v_fma_f64 v[2:3], v[250:251], v[238:239], -v[2:3]
	v_add_f64 v[0:1], v[0:1], v[2:3]
	s_waitcnt vmcnt(2) lgkmcnt(0)
	v_mul_f64 v[248:249], v[114:115], v[242:243]
	s_waitcnt vmcnt(0)
	v_fmac_f64_e32 v[248:249], v[116:117], v[244:245]
	v_add_f64 v[240:241], v[240:241], v[248:249]
	buffer_load_dword v248, off, s[0:3], 0 offset:192
	buffer_load_dword v249, off, s[0:3], 0 offset:196
	;; [unrolled: 1-line block ×4, first 2 shown]
	v_mul_f64 v[2:3], v[116:117], v[242:243]
	v_fma_f64 v[2:3], v[114:115], v[244:245], -v[2:3]
	v_add_f64 v[0:1], v[0:1], v[2:3]
	s_waitcnt vmcnt(2)
	v_add_f64 v[0:1], v[248:249], -v[0:1]
	s_waitcnt vmcnt(0)
	v_add_f64 v[2:3], v[246:247], -v[240:241]
	buffer_store_dword v1, off, s[0:3], 0 offset:196
	buffer_store_dword v0, off, s[0:3], 0 offset:192
	;; [unrolled: 1-line block ×4, first 2 shown]
	s_and_saveexec_b64 s[4:5], vcc
	s_cbranch_execz .LBB58_347
; %bb.346:
	v_accvgpr_read_b32 v0, a166
	buffer_load_dword v2, v0, s[0:3], 0 offen
	buffer_load_dword v3, v0, s[0:3], 0 offen offset:4
	buffer_load_dword v4, v0, s[0:3], 0 offen offset:8
	buffer_load_dword v5, v0, s[0:3], 0 offen offset:12
	v_accvgpr_read_b32 v0, a177
	buffer_store_dword v228, off, s[0:3], 0 offset:176
	buffer_store_dword v228, off, s[0:3], 0 offset:180
	;; [unrolled: 1-line block ×4, first 2 shown]
	s_waitcnt vmcnt(4)
	ds_write_b128 v0, v[2:5]
.LBB58_347:
	s_or_b64 exec, exec, s[4:5]
	s_waitcnt lgkmcnt(0)
	; wave barrier
	s_waitcnt lgkmcnt(0)
	buffer_load_dword v42, off, s[0:3], 0 offset:192
	buffer_load_dword v43, off, s[0:3], 0 offset:196
	;; [unrolled: 1-line block ×42, first 2 shown]
	ds_read_b128 v[110:113], v228 offset:1120
	ds_read_b128 v[114:117], v228 offset:1136
	;; [unrolled: 1-line block ×10, first 2 shown]
	buffer_load_dword v1, off, s[0:3], 0 offset:340
	buffer_load_dword v0, off, s[0:3], 0 offset:336
	ds_read_b128 v[50:53], v228 offset:1280
	buffer_load_dword v89, off, s[0:3], 0 offset:396
	buffer_load_dword v88, off, s[0:3], 0 offset:392
	;; [unrolled: 1-line block ×8, first 2 shown]
	s_waitcnt vmcnt(48) lgkmcnt(10)
	v_mul_f64 v[2:3], v[110:111], v[48:49]
	v_fmac_f64_e32 v[2:3], v[112:113], v[42:43]
	v_add_f64 v[2:3], v[2:3], 0
	v_mul_f64 v[48:49], v[112:113], v[48:49]
	s_waitcnt vmcnt(44) lgkmcnt(9)
	v_mul_f64 v[4:5], v[114:115], v[54:55]
	v_fmac_f64_e32 v[4:5], v[116:117], v[44:45]
	s_waitcnt vmcnt(42) lgkmcnt(8)
	v_mul_f64 v[6:7], v[176:177], v[46:47]
	v_add_f64 v[2:3], v[2:3], v[4:5]
	s_waitcnt vmcnt(40) lgkmcnt(6)
	v_mul_f64 v[10:11], v[188:189], v[58:59]
	v_mul_f64 v[46:47], v[178:179], v[46:47]
	s_waitcnt vmcnt(38)
	v_fmac_f64_e32 v[10:11], v[190:191], v[56:57]
	s_waitcnt vmcnt(36)
	v_mul_f64 v[8:9], v[180:181], v[60:61]
	s_waitcnt vmcnt(34) lgkmcnt(4)
	v_mul_f64 v[14:15], v[196:197], v[62:63]
	s_waitcnt vmcnt(32)
	v_fmac_f64_e32 v[14:15], v[198:199], v[64:65]
	s_waitcnt vmcnt(30)
	v_mul_f64 v[12:13], v[192:193], v[208:209]
	s_waitcnt vmcnt(28) lgkmcnt(2)
	v_mul_f64 v[18:19], v[204:205], v[68:69]
	s_waitcnt vmcnt(25)
	v_mul_f64 v[16:17], v[200:201], v[74:75]
	s_waitcnt vmcnt(23) lgkmcnt(1)
	v_mul_f64 v[20:21], v[210:211], v[72:73]
	s_waitcnt vmcnt(21)
	v_fmac_f64_e32 v[6:7], v[178:179], v[82:83]
	v_add_f64 v[2:3], v[2:3], v[6:7]
	s_waitcnt vmcnt(19)
	v_fmac_f64_e32 v[8:9], v[182:183], v[80:81]
	v_add_f64 v[2:3], v[2:3], v[8:9]
	;; [unrolled: 3-line block ×3, first 2 shown]
	v_add_f64 v[2:3], v[2:3], v[12:13]
	s_waitcnt vmcnt(15)
	v_fmac_f64_e32 v[16:17], v[202:203], v[76:77]
	v_add_f64 v[2:3], v[2:3], v[14:15]
	s_waitcnt vmcnt(14)
	v_fmac_f64_e32 v[18:19], v[206:207], v[70:71]
	v_add_f64 v[2:3], v[2:3], v[16:17]
	v_add_f64 v[6:7], v[2:3], v[18:19]
	buffer_load_dword v107, off, s[0:3], 0 offset:428
	buffer_load_dword v106, off, s[0:3], 0 offset:424
	;; [unrolled: 1-line block ×26, first 2 shown]
	s_waitcnt vmcnt(34)
	v_fmac_f64_e32 v[20:21], v[212:213], v[0:1]
	v_add_f64 v[6:7], v[6:7], v[20:21]
	v_fma_f64 v[216:217], v[176:177], v[82:83], -v[46:47]
	v_mul_f64 v[46:47], v[182:183], v[60:61]
	v_fma_f64 v[80:81], v[180:181], v[80:81], -v[46:47]
	v_mul_f64 v[46:47], v[190:191], v[58:59]
	;; [unrolled: 2-line block ×3, first 2 shown]
	s_waitcnt vmcnt(0)
	v_pk_mov_b32 v[18:19], v[4:5], v[4:5] op_sel:[0,1]
	buffer_load_dword v5, off, s[0:3], 0 offset:516
	buffer_load_dword v9, off, s[0:3], 0 offset:508
	;; [unrolled: 1-line block ×3, first 2 shown]
	v_accvgpr_write_b32 a183, v19
	v_accvgpr_write_b32 a182, v18
	s_waitcnt vmcnt(0)
	v_pk_mov_b32 v[14:15], v[8:9], v[8:9] op_sel:[0,1]
	buffer_load_dword v9, off, s[0:3], 0 offset:500
	buffer_load_dword v8, off, s[0:3], 0 offset:496
	;; [unrolled: 1-line block ×3, first 2 shown]
	v_accvgpr_write_b32 a179, v15
	v_accvgpr_write_b32 a178, v14
	s_waitcnt vmcnt(1)
	v_pk_mov_b32 v[16:17], v[8:9], v[8:9] op_sel:[0,1]
	s_waitcnt vmcnt(0)
	v_pk_mov_b32 v[22:23], v[4:5], v[4:5] op_sel:[0,1]
	buffer_load_dword v5, off, s[0:3], 0 offset:556
	buffer_load_dword v4, off, s[0:3], 0 offset:552
	v_accvgpr_write_b32 a181, v17
	v_accvgpr_write_b32 a180, v16
	;; [unrolled: 1-line block ×4, first 2 shown]
	s_waitcnt vmcnt(0)
	v_pk_mov_b32 v[26:27], v[4:5], v[4:5] op_sel:[0,1]
	buffer_load_dword v5, off, s[0:3], 0 offset:548
	buffer_load_dword v9, off, s[0:3], 0 offset:540
	buffer_load_dword v8, off, s[0:3], 0 offset:536
	buffer_load_dword v147, off, s[0:3], 0 offset:532
	buffer_load_dword v146, off, s[0:3], 0 offset:528
	buffer_load_dword v4, off, s[0:3], 0 offset:544
	v_accvgpr_write_b32 a189, v27
	v_accvgpr_write_b32 a188, v26
	s_waitcnt vmcnt(3)
	v_pk_mov_b32 v[24:25], v[8:9], v[8:9] op_sel:[0,1]
	s_waitcnt vmcnt(0)
	v_pk_mov_b32 v[28:29], v[4:5], v[4:5] op_sel:[0,1]
	buffer_load_dword v5, off, s[0:3], 0 offset:588
	buffer_load_dword v4, off, s[0:3], 0 offset:584
	s_waitcnt lgkmcnt(0)
	v_mul_f64 v[8:9], v[50:51], v[84:85]
	v_fmac_f64_e32 v[8:9], v[52:53], v[86:87]
	v_add_f64 v[6:7], v[6:7], v[8:9]
	v_accvgpr_write_b32 a187, v25
	v_accvgpr_write_b32 a186, v24
	;; [unrolled: 1-line block ×4, first 2 shown]
	s_waitcnt vmcnt(0)
	v_pk_mov_b32 v[34:35], v[4:5], v[4:5] op_sel:[0,1]
	buffer_load_dword v5, off, s[0:3], 0 offset:580
	buffer_load_dword v151, off, s[0:3], 0 offset:572
	;; [unrolled: 1-line block ×6, first 2 shown]
	v_accvgpr_write_b32 a193, v35
	v_accvgpr_write_b32 a192, v34
	s_waitcnt vmcnt(0)
	v_pk_mov_b32 v[36:37], v[4:5], v[4:5] op_sel:[0,1]
	buffer_load_dword v5, off, s[0:3], 0 offset:620
	buffer_load_dword v4, off, s[0:3], 0 offset:616
	v_accvgpr_write_b32 a195, v37
	v_accvgpr_write_b32 a194, v36
	s_waitcnt vmcnt(0)
	v_pk_mov_b32 v[38:39], v[4:5], v[4:5] op_sel:[0,1]
	buffer_load_dword v5, off, s[0:3], 0 offset:612
	buffer_load_dword v155, off, s[0:3], 0 offset:604
	;; [unrolled: 1-line block ×6, first 2 shown]
	v_accvgpr_write_b32 a197, v39
	v_accvgpr_write_b32 a196, v38
	s_waitcnt vmcnt(0)
	v_pk_mov_b32 v[40:41], v[4:5], v[4:5] op_sel:[0,1]
	buffer_load_dword v5, off, s[0:3], 0 offset:652
	buffer_load_dword v4, off, s[0:3], 0 offset:648
	;; [unrolled: 1-line block ×14, first 2 shown]
	ds_read_b128 v[220:223], v228 offset:1296
	ds_read_b128 v[224:227], v228 offset:1312
	ds_read_b128 v[230:233], v228 offset:1328
	ds_read_b128 v[234:237], v228 offset:1344
	ds_read_b128 v[238:241], v228 offset:1360
	ds_read_b128 v[242:245], v228 offset:1376
	s_waitcnt lgkmcnt(5)
	v_mul_f64 v[8:9], v[220:221], v[96:97]
	v_fmac_f64_e32 v[8:9], v[222:223], v[118:119]
	v_add_f64 v[6:7], v[6:7], v[8:9]
	s_waitcnt lgkmcnt(4)
	v_mul_f64 v[8:9], v[224:225], v[88:89]
	v_fmac_f64_e32 v[8:9], v[226:227], v[90:91]
	v_add_f64 v[6:7], v[6:7], v[8:9]
	;; [unrolled: 4-line block ×3, first 2 shown]
	s_waitcnt lgkmcnt(2)
	v_mul_f64 v[8:9], v[234:235], v[106:107]
	v_fmac_f64_e32 v[8:9], v[236:237], v[108:109]
	ds_read_b128 v[246:249], v228 offset:1392
	ds_read_b128 v[252:255], v228 offset:1408
	v_add_f64 v[6:7], v[6:7], v[8:9]
	s_waitcnt lgkmcnt(3)
	v_mul_f64 v[8:9], v[238:239], v[2:3]
	v_fmac_f64_e32 v[8:9], v[240:241], v[66:67]
	v_add_f64 v[6:7], v[6:7], v[8:9]
	s_waitcnt lgkmcnt(2)
	v_mul_f64 v[8:9], v[242:243], v[92:93]
	ds_read_b128 v[140:143], v228 offset:1424
	ds_read_b128 v[136:139], v228 offset:1440
	v_fmac_f64_e32 v[8:9], v[244:245], v[94:95]
	v_add_f64 v[6:7], v[6:7], v[8:9]
	s_waitcnt lgkmcnt(3)
	v_mul_f64 v[8:9], v[246:247], v[102:103]
	ds_read_b128 v[132:135], v228 offset:1456
	ds_read_b128 v[128:131], v228 offset:1472
	;; [unrolled: 6-line block ×3, first 2 shown]
	v_fmac_f64_e32 v[8:9], v[254:255], v[100:101]
	s_waitcnt lgkmcnt(5)
	v_mul_f64 v[12:13], v[140:141], v[14:15]
	v_add_f64 v[10:11], v[6:7], v[8:9]
	v_fmac_f64_e32 v[12:13], v[142:143], v[16:17]
	s_waitcnt lgkmcnt(4)
	v_mul_f64 v[16:17], v[136:137], v[18:19]
	v_add_f64 v[14:15], v[10:11], v[12:13]
	;; [unrolled: 4-line block ×5, first 2 shown]
	v_fmac_f64_e32 v[28:29], v[126:127], v[152:153]
	v_add_f64 v[30:31], v[26:27], v[28:29]
	ds_read_b128 v[26:29], v228 offset:1520
	s_waitcnt lgkmcnt(1)
	v_mul_f64 v[32:33], v[120:121], v[34:35]
	v_fmac_f64_e32 v[32:33], v[122:123], v[36:37]
	v_add_f64 v[34:35], v[30:31], v[32:33]
	ds_read_b128 v[30:33], v228 offset:1536
	s_waitcnt lgkmcnt(1)
	v_mul_f64 v[36:37], v[26:27], v[154:155]
	;; [unrolled: 5-line block ×3, first 2 shown]
	v_accvgpr_write_b32 a199, v41
	v_fmac_f64_e32 v[168:169], v[32:33], v[40:41]
	v_accvgpr_write_b32 a198, v40
	ds_read_b128 v[38:41], v228 offset:1568
	v_add_f64 v[166:167], v[166:167], v[168:169]
	s_waitcnt vmcnt(12)
	v_accvgpr_write_b32 a201, v5
	v_accvgpr_write_b32 a200, v4
	s_waitcnt vmcnt(9) lgkmcnt(1)
	v_mul_f64 v[168:169], v[34:35], v[158:159]
	v_mul_f64 v[8:9], v[116:117], v[54:55]
	s_waitcnt vmcnt(7)
	v_fmac_f64_e32 v[168:169], v[36:37], v[162:163]
	v_add_f64 v[166:167], v[166:167], v[168:169]
	s_waitcnt lgkmcnt(0)
	v_mul_f64 v[168:169], v[38:39], v[4:5]
	s_waitcnt vmcnt(6)
	v_fmac_f64_e32 v[168:169], v[40:41], v[144:145]
	v_add_f64 v[4:5], v[166:167], v[168:169]
	buffer_load_dword v169, off, s[0:3], 0 offset:676
	buffer_load_dword v168, off, s[0:3], 0 offset:672
	;; [unrolled: 1-line block ×10, first 2 shown]
	v_fma_f64 v[18:19], v[110:111], v[42:43], -v[48:49]
	v_fma_f64 v[14:15], v[114:115], v[44:45], -v[8:9]
	ds_read_b128 v[42:45], v228 offset:1584
	buffer_load_dword v177, off, s[0:3], 0 offset:732
	buffer_load_dword v176, off, s[0:3], 0 offset:728
	;; [unrolled: 1-line block ×13, first 2 shown]
	v_fma_f64 v[10:11], v[192:193], v[78:79], -v[46:47]
	buffer_load_dword v192, off, s[0:3], 0 offset:768
	buffer_load_dword v189, off, s[0:3], 0 offset:780
	;; [unrolled: 1-line block ×3, first 2 shown]
	v_mul_f64 v[12:13], v[198:199], v[62:63]
	v_fma_f64 v[12:13], v[196:197], v[64:65], -v[12:13]
	buffer_load_dword v78, off, s[0:3], 0 offset:808
	buffer_load_dword v197, off, s[0:3], 0 offset:796
	;; [unrolled: 1-line block ×8, first 2 shown]
	v_mul_f64 v[48:49], v[202:203], v[74:75]
	v_fma_f64 v[8:9], v[200:201], v[76:77], -v[48:49]
	buffer_load_dword v201, off, s[0:3], 0 offset:828
	buffer_load_dword v200, off, s[0:3], 0 offset:824
	;; [unrolled: 1-line block ×4, first 2 shown]
	v_mul_f64 v[16:17], v[206:207], v[68:69]
	buffer_load_dword v207, off, s[0:3], 0 offset:844
	buffer_load_dword v206, off, s[0:3], 0 offset:840
	;; [unrolled: 1-line block ×4, first 2 shown]
	v_mul_f64 v[48:49], v[212:213], v[72:73]
	v_fma_f64 v[16:17], v[204:205], v[70:71], -v[16:17]
	v_fma_f64 v[6:7], v[210:211], v[0:1], -v[48:49]
	buffer_load_dword v204, off, s[0:3], 0 offset:872
	buffer_load_dword v213, off, s[0:3], 0 offset:860
	;; [unrolled: 1-line block ×12, first 2 shown]
	s_waitcnt vmcnt(56) lgkmcnt(0)
	v_mul_f64 v[46:47], v[42:43], v[160:161]
	s_waitcnt vmcnt(54)
	v_fmac_f64_e32 v[46:47], v[44:45], v[164:165]
	v_add_f64 v[4:5], v[4:5], v[46:47]
	ds_read_b128 v[46:49], v228 offset:1600
	v_mul_f64 v[20:21], v[52:53], v[84:85]
	v_fma_f64 v[20:21], v[50:51], v[86:87], -v[20:21]
	ds_read_b128 v[50:53], v228 offset:1616
	v_mul_f64 v[54:55], v[222:223], v[96:97]
	v_fma_f64 v[118:119], v[220:221], v[118:119], -v[54:55]
	ds_read_b128 v[54:57], v228 offset:1632
	s_waitcnt lgkmcnt(2)
	v_mul_f64 v[58:59], v[46:47], v[148:149]
	v_mul_f64 v[62:63], v[226:227], v[88:89]
	v_fma_f64 v[220:221], v[224:225], v[90:91], -v[62:63]
	ds_read_b128 v[62:65], v228 offset:1664
	v_mul_f64 v[72:73], v[232:233], v[250:251]
	v_fma_f64 v[214:215], v[230:231], v[214:215], -v[72:73]
	v_mul_f64 v[2:3], v[240:241], v[2:3]
	v_fma_f64 v[240:241], v[238:239], v[66:67], -v[2:3]
	;; [unrolled: 2-line block ×4, first 2 shown]
	ds_read_b128 v[94:97], v228 offset:1792
	v_add_f64 v[18:19], v[18:19], 0
	v_add_f64 v[14:15], v[18:19], v[14:15]
	;; [unrolled: 1-line block ×14, first 2 shown]
	v_accvgpr_read_b32 v8, a180
	v_accvgpr_read_b32 v9, a181
	ds_read_b128 v[230:233], v228 offset:1680
	ds_read_b128 v[74:77], v228 offset:1712
	;; [unrolled: 1-line block ×4, first 2 shown]
	s_waitcnt vmcnt(52)
	v_fmac_f64_e32 v[58:59], v[48:49], v[168:169]
	v_add_f64 v[4:5], v[4:5], v[58:59]
	s_waitcnt vmcnt(49) lgkmcnt(7)
	v_mul_f64 v[58:59], v[50:51], v[172:173]
	s_waitcnt vmcnt(47)
	v_fmac_f64_e32 v[58:59], v[52:53], v[174:175]
	v_add_f64 v[4:5], v[4:5], v[58:59]
	s_waitcnt vmcnt(45) lgkmcnt(6)
	v_mul_f64 v[58:59], v[54:55], v[166:167]
	s_waitcnt vmcnt(44)
	v_fmac_f64_e32 v[58:59], v[56:57], v[170:171]
	v_add_f64 v[4:5], v[4:5], v[58:59]
	ds_read_b128 v[58:61], v228 offset:1648
	s_waitcnt vmcnt(42) lgkmcnt(0)
	v_mul_f64 v[70:71], v[58:59], v[176:177]
	s_waitcnt vmcnt(40)
	v_fmac_f64_e32 v[70:71], v[60:61], v[178:179]
	v_add_f64 v[4:5], v[4:5], v[70:71]
	s_waitcnt vmcnt(38)
	v_mul_f64 v[70:71], v[62:63], v[180:181]
	s_waitcnt vmcnt(36)
	v_fmac_f64_e32 v[70:71], v[64:65], v[184:185]
	v_add_f64 v[4:5], v[4:5], v[70:71]
	s_waitcnt vmcnt(34)
	v_mul_f64 v[70:71], v[230:231], v[182:183]
	s_waitcnt vmcnt(32)
	v_fmac_f64_e32 v[70:71], v[232:233], v[186:187]
	v_add_f64 v[82:83], v[4:5], v[70:71]
	ds_read_b128 v[70:73], v228 offset:1696
	v_mul_f64 v[4:5], v[236:237], v[106:107]
	v_fma_f64 v[234:235], v[234:235], v[108:109], -v[4:5]
	ds_read_b128 v[2:5], v228 offset:1728
	v_add_f64 v[6:7], v[6:7], v[234:235]
	s_waitcnt vmcnt(29) lgkmcnt(1)
	v_mul_f64 v[84:85], v[70:71], v[188:189]
	s_waitcnt vmcnt(28)
	v_fmac_f64_e32 v[84:85], v[72:73], v[192:193]
	v_add_f64 v[66:67], v[82:83], v[84:85]
	s_waitcnt vmcnt(25)
	v_mul_f64 v[82:83], v[74:75], v[196:197]
	s_waitcnt vmcnt(23)
	v_fmac_f64_e32 v[82:83], v[76:77], v[198:199]
	v_add_f64 v[66:67], v[66:67], v[82:83]
	s_waitcnt vmcnt(21) lgkmcnt(0)
	v_mul_f64 v[82:83], v[2:3], v[78:79]
	s_waitcnt vmcnt(20)
	v_fmac_f64_e32 v[82:83], v[4:5], v[194:195]
	v_add_f64 v[66:67], v[66:67], v[82:83]
	ds_read_b128 v[82:85], v228 offset:1744
	v_add_f64 v[6:7], v[6:7], v[240:241]
	v_mul_f64 v[4:5], v[4:5], v[78:79]
	v_fma_f64 v[2:3], v[2:3], v[194:195], -v[4:5]
	s_waitcnt vmcnt(18) lgkmcnt(0)
	v_mul_f64 v[24:25], v[82:83], v[200:201]
	s_waitcnt vmcnt(16)
	v_fmac_f64_e32 v[24:25], v[84:85], v[202:203]
	v_add_f64 v[24:25], v[66:67], v[24:25]
	s_waitcnt vmcnt(14)
	v_mul_f64 v[66:67], v[86:87], v[206:207]
	s_waitcnt vmcnt(12)
	v_fmac_f64_e32 v[66:67], v[88:89], v[208:209]
	v_add_f64 v[24:25], v[24:25], v[66:67]
	v_mul_f64 v[66:67], v[254:255], v[98:99]
	v_fma_f64 v[252:253], v[252:253], v[100:101], -v[66:67]
	ds_read_b128 v[98:101], v228 offset:1808
	s_waitcnt vmcnt(9)
	v_mul_f64 v[66:67], v[90:91], v[212:213]
	s_waitcnt vmcnt(7)
	v_fmac_f64_e32 v[66:67], v[92:93], v[68:69]
	v_add_f64 v[24:25], v[24:25], v[66:67]
	s_waitcnt vmcnt(5)
	v_mul_f64 v[66:67], v[94:95], v[204:205]
	s_waitcnt vmcnt(4)
	v_fmac_f64_e32 v[66:67], v[96:97], v[210:211]
	v_add_f64 v[24:25], v[24:25], v[66:67]
	s_waitcnt vmcnt(2) lgkmcnt(0)
	v_mul_f64 v[66:67], v[98:99], v[22:23]
	s_waitcnt vmcnt(0)
	v_fmac_f64_e32 v[66:67], v[100:101], v[218:219]
	v_add_f64 v[24:25], v[24:25], v[66:67]
	buffer_load_dword v66, off, s[0:3], 0 offset:904
	buffer_load_dword v67, off, s[0:3], 0 offset:908
	;; [unrolled: 1-line block ×4, first 2 shown]
	ds_read_b128 v[102:105], v228 offset:1824
	buffer_load_dword v225, off, s[0:3], 0 offset:924
	buffer_load_dword v224, off, s[0:3], 0 offset:920
	;; [unrolled: 1-line block ×4, first 2 shown]
	v_add_f64 v[254:255], v[6:7], v[0:1]
	v_accvgpr_read_b32 v6, a178
	v_accvgpr_read_b32 v7, a179
	v_add_f64 v[0:1], v[254:255], v[250:251]
	v_mul_f64 v[6:7], v[142:143], v[6:7]
	v_add_f64 v[0:1], v[0:1], v[252:253]
	v_fma_f64 v[6:7], v[140:141], v[8:9], -v[6:7]
	v_add_f64 v[0:1], v[0:1], v[6:7]
	v_accvgpr_read_b32 v6, a182
	v_accvgpr_read_b32 v7, a183
	v_accvgpr_read_b32 v8, a184
	v_mul_f64 v[6:7], v[138:139], v[6:7]
	v_accvgpr_read_b32 v9, a185
	v_fma_f64 v[6:7], v[136:137], v[8:9], -v[6:7]
	v_add_f64 v[0:1], v[0:1], v[6:7]
	v_accvgpr_read_b32 v6, a186
	v_accvgpr_read_b32 v7, a187
	v_mul_f64 v[6:7], v[134:135], v[6:7]
	v_fma_f64 v[6:7], v[132:133], v[146:147], -v[6:7]
	v_add_f64 v[0:1], v[0:1], v[6:7]
	v_accvgpr_read_b32 v6, a188
	v_accvgpr_read_b32 v7, a189
	v_accvgpr_read_b32 v8, a190
	v_mul_f64 v[6:7], v[130:131], v[6:7]
	v_accvgpr_read_b32 v9, a191
	v_fma_f64 v[6:7], v[128:129], v[8:9], -v[6:7]
	v_add_f64 v[0:1], v[0:1], v[6:7]
	v_mul_f64 v[6:7], v[126:127], v[150:151]
	v_fma_f64 v[6:7], v[124:125], v[152:153], -v[6:7]
	v_add_f64 v[0:1], v[0:1], v[6:7]
	v_accvgpr_read_b32 v6, a192
	v_accvgpr_read_b32 v7, a193
	v_accvgpr_read_b32 v8, a194
	v_mul_f64 v[6:7], v[122:123], v[6:7]
	v_accvgpr_read_b32 v9, a195
	v_fma_f64 v[6:7], v[120:121], v[8:9], -v[6:7]
	v_add_f64 v[0:1], v[0:1], v[6:7]
	;; [unrolled: 10-line block ×3, first 2 shown]
	v_mul_f64 v[6:7], v[36:37], v[158:159]
	v_fma_f64 v[6:7], v[34:35], v[162:163], -v[6:7]
	v_add_f64 v[0:1], v[0:1], v[6:7]
	v_accvgpr_read_b32 v6, a200
	v_accvgpr_read_b32 v7, a201
	v_mul_f64 v[6:7], v[40:41], v[6:7]
	v_fma_f64 v[6:7], v[38:39], v[144:145], -v[6:7]
	v_add_f64 v[0:1], v[0:1], v[6:7]
	v_mul_f64 v[6:7], v[44:45], v[160:161]
	v_fma_f64 v[6:7], v[42:43], v[164:165], -v[6:7]
	v_add_f64 v[0:1], v[0:1], v[6:7]
	;; [unrolled: 3-line block ×7, first 2 shown]
	v_mul_f64 v[6:7], v[232:233], v[182:183]
	v_fma_f64 v[6:7], v[230:231], v[186:187], -v[6:7]
	s_waitcnt vmcnt(6) lgkmcnt(0)
	v_mul_f64 v[106:107], v[102:103], v[66:67]
	v_add_f64 v[0:1], v[0:1], v[6:7]
	s_waitcnt vmcnt(4)
	v_fmac_f64_e32 v[106:107], v[104:105], v[222:223]
	v_add_f64 v[24:25], v[24:25], v[106:107]
	ds_read_b128 v[106:109], v228 offset:1840
	buffer_load_dword v236, off, s[0:3], 0 offset:936
	buffer_load_dword v237, off, s[0:3], 0 offset:940
	;; [unrolled: 1-line block ×4, first 2 shown]
	v_mul_f64 v[6:7], v[72:73], v[188:189]
	v_fma_f64 v[6:7], v[70:71], v[192:193], -v[6:7]
	v_add_f64 v[0:1], v[0:1], v[6:7]
	s_waitcnt vmcnt(6) lgkmcnt(0)
	v_mul_f64 v[110:111], v[106:107], v[224:225]
	s_waitcnt vmcnt(4)
	v_fmac_f64_e32 v[110:111], v[108:109], v[226:227]
	v_add_f64 v[24:25], v[24:25], v[110:111]
	ds_read_b128 v[110:113], v228 offset:1856
	buffer_load_dword v243, off, s[0:3], 0 offset:956
	buffer_load_dword v242, off, s[0:3], 0 offset:952
	;; [unrolled: 1-line block ×4, first 2 shown]
	v_mul_f64 v[6:7], v[76:77], v[196:197]
	v_fma_f64 v[6:7], v[74:75], v[198:199], -v[6:7]
	v_add_f64 v[0:1], v[0:1], v[6:7]
	v_add_f64 v[0:1], v[0:1], v[2:3]
	v_mul_f64 v[2:3], v[84:85], v[200:201]
	v_fma_f64 v[2:3], v[82:83], v[202:203], -v[2:3]
	v_add_f64 v[0:1], v[0:1], v[2:3]
	v_mul_f64 v[2:3], v[88:89], v[206:207]
	v_fma_f64 v[2:3], v[86:87], v[208:209], -v[2:3]
	;; [unrolled: 3-line block ×7, first 2 shown]
	v_add_f64 v[0:1], v[0:1], v[2:3]
	s_waitcnt vmcnt(6) lgkmcnt(0)
	v_mul_f64 v[114:115], v[110:111], v[236:237]
	v_mul_f64 v[2:3], v[112:113], v[236:237]
	s_waitcnt vmcnt(4)
	v_fmac_f64_e32 v[114:115], v[112:113], v[238:239]
	v_add_f64 v[24:25], v[24:25], v[114:115]
	ds_read_b128 v[114:117], v228 offset:1872
	buffer_load_dword v248, off, s[0:3], 0 offset:176
	buffer_load_dword v249, off, s[0:3], 0 offset:180
	;; [unrolled: 1-line block ×4, first 2 shown]
	v_fma_f64 v[2:3], v[110:111], v[238:239], -v[2:3]
	v_add_f64 v[0:1], v[0:1], v[2:3]
	s_waitcnt vmcnt(6) lgkmcnt(0)
	v_mul_f64 v[228:229], v[114:115], v[242:243]
	s_waitcnt vmcnt(4)
	v_fmac_f64_e32 v[228:229], v[116:117], v[244:245]
	v_mul_f64 v[2:3], v[116:117], v[242:243]
	v_add_f64 v[228:229], v[24:25], v[228:229]
	v_fma_f64 v[2:3], v[114:115], v[244:245], -v[2:3]
	v_add_f64 v[0:1], v[0:1], v[2:3]
	s_waitcnt vmcnt(2)
	v_add_f64 v[0:1], v[248:249], -v[0:1]
	s_waitcnt vmcnt(0)
	v_add_f64 v[2:3], v[246:247], -v[228:229]
	v_accvgpr_read_b32 v229, a176
	v_cmp_lt_u32_e32 vcc, 9, v229
	buffer_store_dword v1, off, s[0:3], 0 offset:180
	buffer_store_dword v0, off, s[0:3], 0 offset:176
	buffer_store_dword v3, off, s[0:3], 0 offset:188
	buffer_store_dword v2, off, s[0:3], 0 offset:184
	s_and_saveexec_b64 s[4:5], vcc
	s_cbranch_execz .LBB58_349
; %bb.348:
	v_accvgpr_read_b32 v0, a167
	buffer_load_dword v2, v0, s[0:3], 0 offen
	buffer_load_dword v3, v0, s[0:3], 0 offen offset:4
	buffer_load_dword v4, v0, s[0:3], 0 offen offset:8
	;; [unrolled: 1-line block ×3, first 2 shown]
	v_mov_b32_e32 v0, 0
	v_accvgpr_read_b32 v1, a177
	buffer_store_dword v0, off, s[0:3], 0 offset:160
	buffer_store_dword v0, off, s[0:3], 0 offset:164
	;; [unrolled: 1-line block ×4, first 2 shown]
	s_waitcnt vmcnt(4)
	ds_write_b128 v1, v[2:5]
.LBB58_349:
	s_or_b64 exec, exec, s[4:5]
	s_waitcnt lgkmcnt(0)
	; wave barrier
	s_waitcnt lgkmcnt(0)
	buffer_load_dword v38, off, s[0:3], 0 offset:176
	buffer_load_dword v39, off, s[0:3], 0 offset:180
	;; [unrolled: 1-line block ×42, first 2 shown]
	v_mov_b32_e32 v228, 0
	buffer_load_dword v99, off, s[0:3], 0 offset:324
	buffer_load_dword v98, off, s[0:3], 0 offset:320
	buffer_load_dword v79, off, s[0:3], 0 offset:380
	buffer_load_dword v78, off, s[0:3], 0 offset:376
	buffer_load_dword v81, off, s[0:3], 0 offset:372
	buffer_load_dword v80, off, s[0:3], 0 offset:368
	buffer_load_dword v85, off, s[0:3], 0 offset:364
	ds_read_b128 v[108:111], v228 offset:1104
	ds_read_b128 v[112:115], v228 offset:1120
	;; [unrolled: 1-line block ×11, first 2 shown]
	v_cmp_lt_u32_e32 vcc, 8, v229
	s_waitcnt vmcnt(45) lgkmcnt(10)
	v_mul_f64 v[0:1], v[108:109], v[40:41]
	v_fmac_f64_e32 v[0:1], v[110:111], v[38:39]
	v_add_f64 v[0:1], v[0:1], 0
	v_mul_f64 v[40:41], v[110:111], v[40:41]
	s_waitcnt vmcnt(41) lgkmcnt(9)
	v_mul_f64 v[2:3], v[112:113], v[46:47]
	v_fmac_f64_e32 v[2:3], v[114:115], v[44:45]
	s_waitcnt vmcnt(39) lgkmcnt(8)
	v_mul_f64 v[4:5], v[116:117], v[42:43]
	v_add_f64 v[0:1], v[0:1], v[2:3]
	s_waitcnt vmcnt(37) lgkmcnt(6)
	v_mul_f64 v[8:9], v[182:183], v[48:49]
	v_mul_f64 v[42:43], v[118:119], v[42:43]
	s_waitcnt vmcnt(35)
	v_fmac_f64_e32 v[8:9], v[184:185], v[50:51]
	s_waitcnt vmcnt(33)
	v_mul_f64 v[6:7], v[172:173], v[52:53]
	s_waitcnt vmcnt(31) lgkmcnt(4)
	v_mul_f64 v[12:13], v[192:193], v[56:57]
	s_waitcnt vmcnt(29)
	v_fmac_f64_e32 v[12:13], v[194:195], v[54:55]
	s_waitcnt vmcnt(27)
	v_mul_f64 v[10:11], v[186:187], v[58:59]
	s_waitcnt vmcnt(25) lgkmcnt(2)
	v_mul_f64 v[16:17], v[200:201], v[64:65]
	s_waitcnt vmcnt(22)
	v_mul_f64 v[14:15], v[196:197], v[212:213]
	s_waitcnt vmcnt(20) lgkmcnt(1)
	v_mul_f64 v[18:19], v[204:205], v[60:61]
	s_waitcnt vmcnt(18)
	v_fmac_f64_e32 v[4:5], v[118:119], v[74:75]
	v_add_f64 v[0:1], v[0:1], v[4:5]
	s_waitcnt vmcnt(16)
	v_fmac_f64_e32 v[6:7], v[174:175], v[72:73]
	v_add_f64 v[0:1], v[0:1], v[6:7]
	s_waitcnt vmcnt(14)
	v_fmac_f64_e32 v[10:11], v[188:189], v[70:71]
	v_add_f64 v[0:1], v[0:1], v[8:9]
	v_add_f64 v[0:1], v[0:1], v[10:11]
	s_waitcnt vmcnt(12)
	v_fmac_f64_e32 v[14:15], v[198:199], v[68:69]
	v_add_f64 v[0:1], v[0:1], v[12:13]
	s_waitcnt vmcnt(11)
	v_fmac_f64_e32 v[16:17], v[202:203], v[62:63]
	v_add_f64 v[0:1], v[0:1], v[14:15]
	v_add_f64 v[2:3], v[0:1], v[16:17]
	buffer_load_dword v84, off, s[0:3], 0 offset:360
	buffer_load_dword v255, off, s[0:3], 0 offset:356
	;; [unrolled: 1-line block ×29, first 2 shown]
	s_waitcnt vmcnt(34)
	v_fmac_f64_e32 v[18:19], v[206:207], v[98:99]
	s_waitcnt lgkmcnt(0)
	v_mul_f64 v[6:7], v[208:209], v[76:77]
	v_add_f64 v[2:3], v[2:3], v[18:19]
	v_fmac_f64_e32 v[6:7], v[210:211], v[82:83]
	v_add_f64 v[2:3], v[2:3], v[6:7]
	v_fma_f64 v[214:215], v[116:117], v[74:75], -v[42:43]
	v_mul_f64 v[42:43], v[174:175], v[52:53]
	v_mul_f64 v[52:53], v[206:207], v[60:61]
	s_waitcnt vmcnt(0)
	v_pk_mov_b32 v[8:9], v[4:5], v[4:5] op_sel:[0,1]
	buffer_load_dword v5, off, s[0:3], 0 offset:500
	buffer_load_dword v4, off, s[0:3], 0 offset:496
	v_accvgpr_write_b32 a179, v9
	v_accvgpr_write_b32 a178, v8
	s_waitcnt vmcnt(0)
	v_pk_mov_b32 v[12:13], v[4:5], v[4:5] op_sel:[0,1]
	buffer_load_dword v95, off, s[0:3], 0 offset:492
	buffer_load_dword v94, off, s[0:3], 0 offset:488
	;; [unrolled: 1-line block ×6, first 2 shown]
	v_accvgpr_write_b32 a181, v13
	v_accvgpr_write_b32 a180, v12
	s_waitcnt vmcnt(0)
	v_pk_mov_b32 v[16:17], v[4:5], v[4:5] op_sel:[0,1]
	buffer_load_dword v5, off, s[0:3], 0 offset:532
	buffer_load_dword v4, off, s[0:3], 0 offset:528
	v_accvgpr_write_b32 a185, v17
	v_accvgpr_write_b32 a184, v16
	s_waitcnt vmcnt(0)
	v_pk_mov_b32 v[20:21], v[4:5], v[4:5] op_sel:[0,1]
	buffer_load_dword v5, off, s[0:3], 0 offset:524
	buffer_load_dword v4, off, s[0:3], 0 offset:520
	;; [unrolled: 6-line block ×3, first 2 shown]
	buffer_load_dword v5, off, s[0:3], 0 offset:572
	buffer_load_dword v4, off, s[0:3], 0 offset:568
	v_accvgpr_write_b32 a183, v23
	v_accvgpr_write_b32 a182, v22
	s_waitcnt vmcnt(0)
	v_pk_mov_b32 v[24:25], v[4:5], v[4:5] op_sel:[0,1]
	buffer_load_dword v5, off, s[0:3], 0 offset:564
	buffer_load_dword v4, off, s[0:3], 0 offset:560
	v_accvgpr_write_b32 a189, v25
	v_accvgpr_write_b32 a188, v24
	s_waitcnt vmcnt(0)
	v_pk_mov_b32 v[28:29], v[4:5], v[4:5] op_sel:[0,1]
	buffer_load_dword v149, off, s[0:3], 0 offset:556
	buffer_load_dword v148, off, s[0:3], 0 offset:552
	buffer_load_dword v151, off, s[0:3], 0 offset:548
	buffer_load_dword v150, off, s[0:3], 0 offset:544
	buffer_load_dword v5, off, s[0:3], 0 offset:604
	buffer_load_dword v4, off, s[0:3], 0 offset:600
	v_accvgpr_write_b32 a191, v29
	v_accvgpr_write_b32 a190, v28
	s_waitcnt vmcnt(0)
	v_pk_mov_b32 v[36:37], v[4:5], v[4:5] op_sel:[0,1]
	buffer_load_dword v5, off, s[0:3], 0 offset:596
	buffer_load_dword v4, off, s[0:3], 0 offset:592
	v_accvgpr_write_b32 a193, v37
	v_accvgpr_write_b32 a192, v36
	s_waitcnt vmcnt(0)
	v_pk_mov_b32 v[166:167], v[4:5], v[4:5] op_sel:[0,1]
	buffer_load_dword v153, off, s[0:3], 0 offset:588
	buffer_load_dword v152, off, s[0:3], 0 offset:584
	buffer_load_dword v155, off, s[0:3], 0 offset:580
	buffer_load_dword v154, off, s[0:3], 0 offset:576
	;; [unrolled: 16-line block ×3, first 2 shown]
	buffer_load_dword v5, off, s[0:3], 0 offset:668
	buffer_load_dword v4, off, s[0:3], 0 offset:664
	;; [unrolled: 1-line block ×8, first 2 shown]
	ds_read_b128 v[216:219], v228 offset:1280
	ds_read_b128 v[220:223], v228 offset:1296
	;; [unrolled: 1-line block ×6, first 2 shown]
	s_waitcnt lgkmcnt(5)
	v_mul_f64 v[6:7], v[216:217], v[84:85]
	v_fmac_f64_e32 v[6:7], v[218:219], v[254:255]
	v_add_f64 v[2:3], v[2:3], v[6:7]
	s_waitcnt lgkmcnt(4)
	v_mul_f64 v[6:7], v[220:221], v[78:79]
	v_fmac_f64_e32 v[6:7], v[222:223], v[80:81]
	v_add_f64 v[2:3], v[2:3], v[6:7]
	;; [unrolled: 4-line block ×3, first 2 shown]
	s_waitcnt lgkmcnt(2)
	v_mul_f64 v[6:7], v[230:231], v[104:105]
	v_fmac_f64_e32 v[6:7], v[232:233], v[106:107]
	ds_read_b128 v[242:245], v228 offset:1376
	ds_read_b128 v[246:249], v228 offset:1392
	v_add_f64 v[2:3], v[2:3], v[6:7]
	s_waitcnt lgkmcnt(3)
	v_mul_f64 v[6:7], v[234:235], v[0:1]
	v_fmac_f64_e32 v[6:7], v[236:237], v[66:67]
	v_add_f64 v[2:3], v[2:3], v[6:7]
	s_waitcnt lgkmcnt(2)
	v_mul_f64 v[6:7], v[238:239], v[86:87]
	v_fmac_f64_e32 v[6:7], v[240:241], v[88:89]
	ds_read_b128 v[250:253], v228 offset:1408
	ds_read_b128 v[120:123], v228 offset:1424
	v_add_f64 v[2:3], v[2:3], v[6:7]
	s_waitcnt lgkmcnt(3)
	v_mul_f64 v[6:7], v[242:243], v[100:101]
	v_fmac_f64_e32 v[6:7], v[244:245], v[102:103]
	ds_read_b128 v[124:127], v228 offset:1440
	ds_read_b128 v[128:131], v228 offset:1456
	;; [unrolled: 6-line block ×3, first 2 shown]
	v_add_f64 v[2:3], v[2:3], v[6:7]
	s_waitcnt lgkmcnt(5)
	v_mul_f64 v[6:7], v[250:251], v[94:95]
	v_fmac_f64_e32 v[6:7], v[252:253], v[96:97]
	s_waitcnt lgkmcnt(4)
	v_mul_f64 v[10:11], v[120:121], v[8:9]
	v_add_f64 v[2:3], v[2:3], v[6:7]
	v_fmac_f64_e32 v[10:11], v[122:123], v[12:13]
	s_waitcnt lgkmcnt(3)
	v_mul_f64 v[14:15], v[124:125], v[22:23]
	v_add_f64 v[2:3], v[2:3], v[10:11]
	;; [unrolled: 4-line block ×5, first 2 shown]
	ds_read_b128 v[140:143], v228 offset:1504
	v_fmac_f64_e32 v[26:27], v[138:139], v[28:29]
	v_add_f64 v[2:3], v[2:3], v[26:27]
	ds_read_b128 v[26:29], v228 offset:1520
	v_fma_f64 v[22:23], v[108:109], v[38:39], -v[40:41]
	s_waitcnt lgkmcnt(1)
	v_mul_f64 v[30:31], v[140:141], v[152:153]
	v_fmac_f64_e32 v[30:31], v[142:143], v[154:155]
	v_add_f64 v[2:3], v[2:3], v[30:31]
	s_waitcnt lgkmcnt(0)
	v_mul_f64 v[34:35], v[26:27], v[36:37]
	ds_read_b128 v[30:33], v228 offset:1536
	v_fmac_f64_e32 v[34:35], v[28:29], v[166:167]
	v_add_f64 v[2:3], v[2:3], v[34:35]
	ds_read_b128 v[34:37], v228 offset:1552
	ds_read_b128 v[38:41], v228 offset:1568
	buffer_load_dword v25, off, s[0:3], 0 offset:684
	buffer_load_dword v24, off, s[0:3], 0 offset:680
	;; [unrolled: 1-line block ×4, first 2 shown]
	s_waitcnt vmcnt(14) lgkmcnt(2)
	v_mul_f64 v[108:109], v[30:31], v[156:157]
	v_accvgpr_write_b32 a199, v171
	s_waitcnt vmcnt(12)
	v_fmac_f64_e32 v[108:109], v[32:33], v[158:159]
	v_add_f64 v[2:3], v[2:3], v[108:109]
	s_waitcnt lgkmcnt(1)
	v_mul_f64 v[108:109], v[34:35], v[168:169]
	v_fmac_f64_e32 v[108:109], v[36:37], v[170:171]
	v_accvgpr_write_b32 a198, v170
	buffer_load_dword v168, off, s[0:3], 0 offset:696
	buffer_load_dword v170, off, s[0:3], 0 offset:688
	;; [unrolled: 1-line block ×4, first 2 shown]
	v_fma_f64 v[18:19], v[172:173], v[72:73], -v[42:43]
	buffer_load_dword v173, off, s[0:3], 0 offset:732
	buffer_load_dword v175, off, s[0:3], 0 offset:716
	;; [unrolled: 1-line block ×8, first 2 shown]
	v_add_f64 v[108:109], v[2:3], v[108:109]
	v_mul_f64 v[2:3], v[114:115], v[46:47]
	v_mul_f64 v[46:47], v[184:185], v[48:49]
	v_fma_f64 v[20:21], v[112:113], v[44:45], -v[2:3]
	ds_read_b128 v[42:45], v228 offset:1584
	v_fma_f64 v[16:17], v[182:183], v[50:51], -v[46:47]
	buffer_load_dword v118, off, s[0:3], 0 offset:760
	buffer_load_dword v183, off, s[0:3], 0 offset:748
	;; [unrolled: 1-line block ×5, first 2 shown]
	v_mul_f64 v[46:47], v[188:189], v[58:59]
	v_fma_f64 v[14:15], v[186:187], v[70:71], -v[46:47]
	buffer_load_dword v186, off, s[0:3], 0 offset:752
	buffer_load_dword v119, off, s[0:3], 0 offset:764
	;; [unrolled: 1-line block ×7, first 2 shown]
	v_mul_f64 v[46:47], v[194:195], v[56:57]
	v_fma_f64 v[12:13], v[192:193], v[54:55], -v[46:47]
	v_mul_f64 v[46:47], v[198:199], v[212:213]
	v_fma_f64 v[10:11], v[196:197], v[68:69], -v[46:47]
	buffer_load_dword v194, off, s[0:3], 0 offset:792
	buffer_load_dword v196, off, s[0:3], 0 offset:784
	;; [unrolled: 1-line block ×4, first 2 shown]
	v_mul_f64 v[46:47], v[202:203], v[64:65]
	v_fma_f64 v[8:9], v[200:201], v[62:63], -v[46:47]
	buffer_load_dword v193, off, s[0:3], 0 offset:828
	buffer_load_dword v199, off, s[0:3], 0 offset:812
	;; [unrolled: 1-line block ×8, first 2 shown]
	ds_read_b128 v[46:49], v228 offset:1600
	v_fma_f64 v[6:7], v[204:205], v[98:99], -v[52:53]
	buffer_load_dword v205, off, s[0:3], 0 offset:844
	buffer_load_dword v204, off, s[0:3], 0 offset:840
	;; [unrolled: 1-line block ×4, first 2 shown]
	s_waitcnt vmcnt(50)
	v_accvgpr_write_b32 a201, v5
	v_mul_f64 v[52:53], v[210:211], v[76:77]
	s_waitcnt lgkmcnt(1)
	v_mul_f64 v[50:51], v[42:43], v[4:5]
	v_accvgpr_write_b32 a200, v4
	v_fma_f64 v[4:5], v[208:209], v[82:83], -v[52:53]
	buffer_load_dword v208, off, s[0:3], 0 offset:856
	buffer_load_dword v210, off, s[0:3], 0 offset:848
	;; [unrolled: 1-line block ×8, first 2 shown]
	v_mul_f64 v[52:53], v[218:219], v[84:85]
	v_fma_f64 v[254:255], v[216:217], v[254:255], -v[52:53]
	buffer_load_dword v216, off, s[0:3], 0 offset:888
	buffer_load_dword v218, off, s[0:3], 0 offset:880
	;; [unrolled: 1-line block ×4, first 2 shown]
	s_waitcnt vmcnt(58)
	v_mul_f64 v[110:111], v[38:39], v[160:161]
	s_waitcnt vmcnt(56)
	v_fmac_f64_e32 v[110:111], v[40:41], v[162:163]
	v_add_f64 v[108:109], v[108:109], v[110:111]
	v_fmac_f64_e32 v[50:51], v[44:45], v[146:147]
	v_add_f64 v[50:51], v[108:109], v[50:51]
	v_mul_f64 v[54:55], v[222:223], v[78:79]
	v_fma_f64 v[220:221], v[220:221], v[80:81], -v[54:55]
	ds_read_b128 v[54:57], v228 offset:1632
	v_mul_f64 v[58:59], v[226:227], v[164:165]
	v_fma_f64 v[164:165], v[224:225], v[176:177], -v[58:59]
	ds_read_b128 v[58:61], v228 offset:1648
	v_mul_f64 v[70:71], v[232:233], v[104:105]
	v_fma_f64 v[176:177], v[230:231], v[106:107], -v[70:71]
	ds_read_b128 v[230:233], v228 offset:1680
	v_mul_f64 v[0:1], v[236:237], v[0:1]
	v_fma_f64 v[66:67], v[234:235], v[66:67], -v[0:1]
	v_mul_f64 v[78:79], v[240:241], v[86:87]
	v_fma_f64 v[234:235], v[238:239], v[88:89], -v[78:79]
	;; [unrolled: 2-line block ×3, first 2 shown]
	ds_read_b128 v[82:85], v228 offset:1744
	v_mul_f64 v[90:91], v[248:249], v[90:91]
	v_fma_f64 v[246:247], v[246:247], v[92:93], -v[90:91]
	ds_read_b128 v[90:93], v228 offset:1776
	v_mul_f64 v[94:95], v[252:253], v[94:95]
	v_fma_f64 v[250:251], v[250:251], v[96:97], -v[94:95]
	v_add_f64 v[22:23], v[22:23], 0
	v_add_f64 v[20:21], v[22:23], v[20:21]
	;; [unrolled: 1-line block ×5, first 2 shown]
	ds_read_b128 v[70:73], v228 offset:1696
	v_add_f64 v[14:15], v[16:17], v[14:15]
	v_add_f64 v[12:13], v[14:15], v[12:13]
	;; [unrolled: 1-line block ×4, first 2 shown]
	s_waitcnt vmcnt(54) lgkmcnt(6)
	v_mul_f64 v[52:53], v[46:47], v[24:25]
	v_add_f64 v[6:7], v[8:9], v[6:7]
	s_waitcnt vmcnt(52)
	v_fmac_f64_e32 v[52:53], v[48:49], v[166:167]
	v_add_f64 v[62:63], v[50:51], v[52:53]
	ds_read_b128 v[50:53], v228 offset:1616
	v_add_f64 v[4:5], v[6:7], v[4:5]
	ds_read_b128 v[78:81], v228 offset:1728
	v_add_f64 v[4:5], v[4:5], v[254:255]
	v_add_f64 v[4:5], v[4:5], v[220:221]
	s_waitcnt vmcnt(49) lgkmcnt(1)
	v_mul_f64 v[64:65], v[50:51], v[168:169]
	s_waitcnt vmcnt(48)
	v_fmac_f64_e32 v[64:65], v[52:53], v[170:171]
	v_add_f64 v[62:63], v[62:63], v[64:65]
	s_waitcnt vmcnt(45)
	v_mul_f64 v[64:65], v[54:55], v[174:175]
	s_waitcnt vmcnt(43)
	v_fmac_f64_e32 v[64:65], v[56:57], v[180:181]
	v_add_f64 v[62:63], v[62:63], v[64:65]
	s_waitcnt vmcnt(42)
	v_mul_f64 v[64:65], v[58:59], v[172:173]
	s_waitcnt vmcnt(40)
	v_fmac_f64_e32 v[64:65], v[60:61], v[178:179]
	v_add_f64 v[74:75], v[62:63], v[64:65]
	ds_read_b128 v[62:65], v228 offset:1664
	ds_read_b128 v[94:97], v228 offset:1792
	v_add_f64 v[4:5], v[4:5], v[164:165]
	v_add_f64 v[4:5], v[4:5], v[176:177]
	;; [unrolled: 1-line block ×3, first 2 shown]
	s_waitcnt vmcnt(37) lgkmcnt(1)
	v_mul_f64 v[76:77], v[62:63], v[182:183]
	s_waitcnt vmcnt(35)
	v_fmac_f64_e32 v[76:77], v[64:65], v[184:185]
	v_add_f64 v[0:1], v[74:75], v[76:77]
	s_waitcnt vmcnt(33)
	v_mul_f64 v[74:75], v[230:231], v[118:119]
	s_waitcnt vmcnt(32)
	v_fmac_f64_e32 v[74:75], v[232:233], v[186:187]
	v_add_f64 v[0:1], v[0:1], v[74:75]
	s_waitcnt vmcnt(30)
	v_mul_f64 v[74:75], v[70:71], v[188:189]
	s_waitcnt vmcnt(28)
	v_fmac_f64_e32 v[74:75], v[72:73], v[190:191]
	v_add_f64 v[0:1], v[0:1], v[74:75]
	ds_read_b128 v[74:77], v228 offset:1712
	v_add_f64 v[4:5], v[4:5], v[234:235]
	v_add_f64 v[2:3], v[4:5], v[2:3]
	;; [unrolled: 1-line block ×3, first 2 shown]
	v_accvgpr_read_b32 v4, a178
	s_waitcnt vmcnt(25) lgkmcnt(0)
	v_mul_f64 v[86:87], v[74:75], v[194:195]
	s_waitcnt vmcnt(24)
	v_fmac_f64_e32 v[86:87], v[76:77], v[196:197]
	v_add_f64 v[0:1], v[0:1], v[86:87]
	s_waitcnt vmcnt(21)
	v_mul_f64 v[86:87], v[78:79], v[198:199]
	s_waitcnt vmcnt(19)
	v_fmac_f64_e32 v[86:87], v[80:81], v[202:203]
	v_add_f64 v[0:1], v[0:1], v[86:87]
	s_waitcnt vmcnt(18)
	v_mul_f64 v[86:87], v[82:83], v[192:193]
	s_waitcnt vmcnt(16)
	v_fmac_f64_e32 v[86:87], v[84:85], v[200:201]
	v_add_f64 v[0:1], v[0:1], v[86:87]
	ds_read_b128 v[86:89], v228 offset:1760
	v_accvgpr_read_b32 v5, a179
	v_accvgpr_read_b32 v6, a180
	v_mul_f64 v[4:5], v[122:123], v[4:5]
	v_accvgpr_read_b32 v7, a181
	s_waitcnt vmcnt(14) lgkmcnt(0)
	v_mul_f64 v[98:99], v[86:87], v[204:205]
	s_waitcnt vmcnt(12)
	v_fmac_f64_e32 v[98:99], v[88:89], v[206:207]
	v_add_f64 v[0:1], v[0:1], v[98:99]
	s_waitcnt vmcnt(9)
	v_mul_f64 v[98:99], v[90:91], v[208:209]
	s_waitcnt vmcnt(8)
	v_fmac_f64_e32 v[98:99], v[92:93], v[210:211]
	v_add_f64 v[0:1], v[0:1], v[98:99]
	s_waitcnt vmcnt(6)
	v_mul_f64 v[98:99], v[94:95], v[212:213]
	s_waitcnt vmcnt(4)
	v_fmac_f64_e32 v[98:99], v[96:97], v[68:69]
	v_add_f64 v[0:1], v[0:1], v[98:99]
	ds_read_b128 v[98:101], v228 offset:1808
	v_add_f64 v[2:3], v[252:253], v[250:251]
	v_fma_f64 v[4:5], v[120:121], v[6:7], -v[4:5]
	v_add_f64 v[2:3], v[2:3], v[4:5]
	v_accvgpr_read_b32 v4, a182
	s_waitcnt vmcnt(1) lgkmcnt(0)
	v_mul_f64 v[102:103], v[98:99], v[216:217]
	s_waitcnt vmcnt(0)
	v_fmac_f64_e32 v[102:103], v[100:101], v[218:219]
	v_add_f64 v[106:107], v[0:1], v[102:103]
	buffer_load_dword v1, off, s[0:3], 0 offset:908
	buffer_load_dword v0, off, s[0:3], 0 offset:904
	buffer_load_dword v223, off, s[0:3], 0 offset:900
	buffer_load_dword v222, off, s[0:3], 0 offset:896
	ds_read_b128 v[102:105], v228 offset:1824
	buffer_load_dword v224, off, s[0:3], 0 offset:920
	buffer_load_dword v225, off, s[0:3], 0 offset:924
	;; [unrolled: 1-line block ×4, first 2 shown]
	v_accvgpr_read_b32 v5, a183
	v_mul_f64 v[4:5], v[126:127], v[4:5]
	v_fma_f64 v[4:5], v[124:125], v[144:145], -v[4:5]
	v_add_f64 v[2:3], v[2:3], v[4:5]
	v_accvgpr_read_b32 v4, a184
	v_accvgpr_read_b32 v5, a185
	v_accvgpr_read_b32 v6, a186
	v_mul_f64 v[4:5], v[130:131], v[4:5]
	v_accvgpr_read_b32 v7, a187
	v_fma_f64 v[4:5], v[128:129], v[6:7], -v[4:5]
	v_add_f64 v[2:3], v[2:3], v[4:5]
	v_mul_f64 v[4:5], v[134:135], v[148:149]
	v_fma_f64 v[4:5], v[132:133], v[150:151], -v[4:5]
	v_add_f64 v[2:3], v[2:3], v[4:5]
	v_accvgpr_read_b32 v4, a188
	v_accvgpr_read_b32 v5, a189
	v_accvgpr_read_b32 v6, a190
	v_mul_f64 v[4:5], v[138:139], v[4:5]
	v_accvgpr_read_b32 v7, a191
	v_fma_f64 v[4:5], v[136:137], v[6:7], -v[4:5]
	v_add_f64 v[2:3], v[2:3], v[4:5]
	;; [unrolled: 10-line block ×4, first 2 shown]
	v_mul_f64 v[4:5], v[40:41], v[160:161]
	v_fma_f64 v[4:5], v[38:39], v[162:163], -v[4:5]
	v_add_f64 v[2:3], v[2:3], v[4:5]
	v_accvgpr_read_b32 v4, a200
	v_accvgpr_read_b32 v5, a201
	v_mul_f64 v[4:5], v[44:45], v[4:5]
	v_fma_f64 v[4:5], v[42:43], v[146:147], -v[4:5]
	v_add_f64 v[2:3], v[2:3], v[4:5]
	v_mul_f64 v[4:5], v[48:49], v[24:25]
	v_fma_f64 v[4:5], v[46:47], v[166:167], -v[4:5]
	v_add_f64 v[2:3], v[2:3], v[4:5]
	;; [unrolled: 3-line block ×9, first 2 shown]
	v_mul_f64 v[4:5], v[80:81], v[198:199]
	v_fma_f64 v[4:5], v[78:79], v[202:203], -v[4:5]
	s_waitcnt vmcnt(6) lgkmcnt(0)
	v_mul_f64 v[108:109], v[102:103], v[0:1]
	v_add_f64 v[2:3], v[2:3], v[4:5]
	s_waitcnt vmcnt(4)
	v_fmac_f64_e32 v[108:109], v[104:105], v[222:223]
	v_add_f64 v[110:111], v[106:107], v[108:109]
	ds_read_b128 v[106:109], v228 offset:1840
	buffer_load_dword v237, off, s[0:3], 0 offset:940
	buffer_load_dword v236, off, s[0:3], 0 offset:936
	;; [unrolled: 1-line block ×4, first 2 shown]
	v_mul_f64 v[4:5], v[84:85], v[192:193]
	v_fma_f64 v[4:5], v[82:83], v[200:201], -v[4:5]
	v_add_f64 v[2:3], v[2:3], v[4:5]
	s_waitcnt vmcnt(6) lgkmcnt(0)
	v_mul_f64 v[112:113], v[106:107], v[224:225]
	s_waitcnt vmcnt(4)
	v_fmac_f64_e32 v[112:113], v[108:109], v[226:227]
	v_add_f64 v[114:115], v[110:111], v[112:113]
	ds_read_b128 v[110:113], v228 offset:1856
	buffer_load_dword v242, off, s[0:3], 0 offset:952
	buffer_load_dword v243, off, s[0:3], 0 offset:956
	;; [unrolled: 1-line block ×4, first 2 shown]
	v_mul_f64 v[4:5], v[88:89], v[204:205]
	v_fma_f64 v[4:5], v[86:87], v[206:207], -v[4:5]
	v_add_f64 v[2:3], v[2:3], v[4:5]
	v_mul_f64 v[4:5], v[92:93], v[208:209]
	v_fma_f64 v[4:5], v[90:91], v[210:211], -v[4:5]
	v_add_f64 v[2:3], v[2:3], v[4:5]
	;; [unrolled: 3-line block ×3, first 2 shown]
	v_mul_f64 v[4:5], v[100:101], v[216:217]
	v_fma_f64 v[4:5], v[98:99], v[218:219], -v[4:5]
	v_mul_f64 v[0:1], v[104:105], v[0:1]
	v_add_f64 v[2:3], v[2:3], v[4:5]
	v_fma_f64 v[0:1], v[102:103], v[222:223], -v[0:1]
	v_add_f64 v[0:1], v[2:3], v[0:1]
	v_mul_f64 v[2:3], v[108:109], v[224:225]
	v_fma_f64 v[2:3], v[106:107], v[226:227], -v[2:3]
	v_add_f64 v[0:1], v[0:1], v[2:3]
	s_waitcnt vmcnt(6) lgkmcnt(0)
	v_mul_f64 v[116:117], v[110:111], v[236:237]
	v_mul_f64 v[2:3], v[112:113], v[236:237]
	s_waitcnt vmcnt(4)
	v_fmac_f64_e32 v[116:117], v[112:113], v[238:239]
	v_add_f64 v[240:241], v[114:115], v[116:117]
	ds_read_b128 v[114:117], v228 offset:1872
	v_fma_f64 v[2:3], v[110:111], v[238:239], -v[2:3]
	v_add_f64 v[0:1], v[0:1], v[2:3]
	s_waitcnt vmcnt(2) lgkmcnt(0)
	v_mul_f64 v[248:249], v[114:115], v[242:243]
	s_waitcnt vmcnt(0)
	v_fmac_f64_e32 v[248:249], v[116:117], v[244:245]
	v_add_f64 v[240:241], v[240:241], v[248:249]
	buffer_load_dword v248, off, s[0:3], 0 offset:160
	buffer_load_dword v249, off, s[0:3], 0 offset:164
	;; [unrolled: 1-line block ×4, first 2 shown]
	v_mul_f64 v[2:3], v[116:117], v[242:243]
	v_fma_f64 v[2:3], v[114:115], v[244:245], -v[2:3]
	v_add_f64 v[0:1], v[0:1], v[2:3]
	s_waitcnt vmcnt(2)
	v_add_f64 v[0:1], v[248:249], -v[0:1]
	s_waitcnt vmcnt(0)
	v_add_f64 v[2:3], v[246:247], -v[240:241]
	buffer_store_dword v1, off, s[0:3], 0 offset:164
	buffer_store_dword v0, off, s[0:3], 0 offset:160
	;; [unrolled: 1-line block ×4, first 2 shown]
	s_and_saveexec_b64 s[4:5], vcc
	s_cbranch_execz .LBB58_351
; %bb.350:
	v_accvgpr_read_b32 v0, a168
	buffer_load_dword v2, v0, s[0:3], 0 offen
	buffer_load_dword v3, v0, s[0:3], 0 offen offset:4
	buffer_load_dword v4, v0, s[0:3], 0 offen offset:8
	;; [unrolled: 1-line block ×3, first 2 shown]
	v_accvgpr_read_b32 v0, a177
	buffer_store_dword v228, off, s[0:3], 0 offset:144
	buffer_store_dword v228, off, s[0:3], 0 offset:148
	;; [unrolled: 1-line block ×4, first 2 shown]
	s_waitcnt vmcnt(4)
	ds_write_b128 v0, v[2:5]
.LBB58_351:
	s_or_b64 exec, exec, s[4:5]
	s_waitcnt lgkmcnt(0)
	; wave barrier
	s_waitcnt lgkmcnt(0)
	buffer_load_dword v34, off, s[0:3], 0 offset:160
	buffer_load_dword v35, off, s[0:3], 0 offset:164
	buffer_load_dword v36, off, s[0:3], 0 offset:168
	buffer_load_dword v37, off, s[0:3], 0 offset:172
	buffer_load_dword v38, off, s[0:3], 0 offset:176
	buffer_load_dword v39, off, s[0:3], 0 offset:180
	buffer_load_dword v40, off, s[0:3], 0 offset:184
	buffer_load_dword v41, off, s[0:3], 0 offset:188
	buffer_load_dword v160, off, s[0:3], 0 offset:200
	buffer_load_dword v161, off, s[0:3], 0 offset:204
	buffer_load_dword v53, off, s[0:3], 0 offset:236
	buffer_load_dword v52, off, s[0:3], 0 offset:232
	buffer_load_dword v55, off, s[0:3], 0 offset:228
	buffer_load_dword v54, off, s[0:3], 0 offset:224
	buffer_load_dword v57, off, s[0:3], 0 offset:220
	buffer_load_dword v56, off, s[0:3], 0 offset:216
	buffer_load_dword v59, off, s[0:3], 0 offset:268
	buffer_load_dword v58, off, s[0:3], 0 offset:264
	buffer_load_dword v61, off, s[0:3], 0 offset:260
	buffer_load_dword v60, off, s[0:3], 0 offset:256
	buffer_load_dword v203, off, s[0:3], 0 offset:252
	buffer_load_dword v202, off, s[0:3], 0 offset:248
	buffer_load_dword v65, off, s[0:3], 0 offset:300
	buffer_load_dword v64, off, s[0:3], 0 offset:296
	buffer_load_dword v66, off, s[0:3], 0 offset:288
	buffer_load_dword v71, off, s[0:3], 0 offset:284
	buffer_load_dword v70, off, s[0:3], 0 offset:280
	buffer_load_dword v69, off, s[0:3], 0 offset:316
	buffer_load_dword v68, off, s[0:3], 0 offset:312
	buffer_load_dword v78, off, s[0:3], 0 offset:192
	buffer_load_dword v79, off, s[0:3], 0 offset:196
	buffer_load_dword v77, off, s[0:3], 0 offset:212
	buffer_load_dword v76, off, s[0:3], 0 offset:208
	buffer_load_dword v75, off, s[0:3], 0 offset:244
	buffer_load_dword v74, off, s[0:3], 0 offset:240
	buffer_load_dword v73, off, s[0:3], 0 offset:276
	buffer_load_dword v72, off, s[0:3], 0 offset:272
	buffer_load_dword v67, off, s[0:3], 0 offset:292
	buffer_load_dword v80, off, s[0:3], 0 offset:328
	buffer_load_dword v82, off, s[0:3], 0 offset:320
	buffer_load_dword v83, off, s[0:3], 0 offset:324
	buffer_load_dword v81, off, s[0:3], 0 offset:332
	ds_read_b128 v[42:45], v228 offset:1088
	ds_read_b128 v[108:111], v228 offset:1104
	;; [unrolled: 1-line block ×10, first 2 shown]
	buffer_load_dword v1, off, s[0:3], 0 offset:308
	buffer_load_dword v0, off, s[0:3], 0 offset:304
	ds_read_b128 v[46:49], v228 offset:1248
	buffer_load_dword v85, off, s[0:3], 0 offset:364
	buffer_load_dword v84, off, s[0:3], 0 offset:360
	;; [unrolled: 1-line block ×6, first 2 shown]
	s_waitcnt vmcnt(46) lgkmcnt(10)
	v_mul_f64 v[2:3], v[42:43], v[36:37]
	v_fmac_f64_e32 v[2:3], v[44:45], v[34:35]
	v_add_f64 v[2:3], v[2:3], 0
	v_mul_f64 v[36:37], v[44:45], v[36:37]
	s_waitcnt vmcnt(42) lgkmcnt(9)
	v_mul_f64 v[4:5], v[108:109], v[40:41]
	v_fmac_f64_e32 v[4:5], v[110:111], v[38:39]
	s_waitcnt vmcnt(40) lgkmcnt(8)
	v_mul_f64 v[6:7], v[112:113], v[160:161]
	v_add_f64 v[2:3], v[2:3], v[4:5]
	s_waitcnt vmcnt(38) lgkmcnt(6)
	v_mul_f64 v[10:11], v[170:171], v[52:53]
	v_mul_f64 v[52:53], v[172:173], v[52:53]
	s_waitcnt vmcnt(36)
	v_fmac_f64_e32 v[10:11], v[172:173], v[54:55]
	s_waitcnt vmcnt(34)
	v_mul_f64 v[8:9], v[116:117], v[56:57]
	v_mul_f64 v[56:57], v[118:119], v[56:57]
	s_waitcnt vmcnt(32) lgkmcnt(4)
	v_mul_f64 v[14:15], v[184:185], v[58:59]
	s_waitcnt vmcnt(30)
	v_fmac_f64_e32 v[14:15], v[186:187], v[60:61]
	s_waitcnt vmcnt(28)
	v_mul_f64 v[12:13], v[180:181], v[202:203]
	s_waitcnt vmcnt(26) lgkmcnt(2)
	v_mul_f64 v[18:19], v[192:193], v[64:65]
	s_waitcnt vmcnt(23)
	v_mul_f64 v[16:17], v[188:189], v[70:71]
	s_waitcnt vmcnt(21) lgkmcnt(1)
	v_mul_f64 v[20:21], v[196:197], v[68:69]
	s_waitcnt vmcnt(19)
	v_fmac_f64_e32 v[6:7], v[114:115], v[78:79]
	v_add_f64 v[2:3], v[2:3], v[6:7]
	s_waitcnt vmcnt(17)
	v_fmac_f64_e32 v[8:9], v[118:119], v[76:77]
	v_add_f64 v[2:3], v[2:3], v[8:9]
	;; [unrolled: 3-line block ×3, first 2 shown]
	v_add_f64 v[2:3], v[2:3], v[12:13]
	s_waitcnt vmcnt(13)
	v_fmac_f64_e32 v[16:17], v[190:191], v[72:73]
	v_add_f64 v[2:3], v[2:3], v[14:15]
	s_waitcnt vmcnt(12)
	v_fmac_f64_e32 v[18:19], v[194:195], v[66:67]
	v_add_f64 v[2:3], v[2:3], v[16:17]
	v_add_f64 v[6:7], v[2:3], v[18:19]
	buffer_load_dword v211, off, s[0:3], 0 offset:340
	buffer_load_dword v210, off, s[0:3], 0 offset:336
	;; [unrolled: 1-line block ×36, first 2 shown]
	s_waitcnt vmcnt(42)
	v_fmac_f64_e32 v[20:21], v[198:199], v[0:1]
	s_waitcnt lgkmcnt(0)
	v_mul_f64 v[8:9], v[46:47], v[80:81]
	v_add_f64 v[6:7], v[6:7], v[20:21]
	v_fmac_f64_e32 v[8:9], v[48:49], v[82:83]
	v_add_f64 v[6:7], v[6:7], v[8:9]
	v_fma_f64 v[212:213], v[116:117], v[76:77], -v[56:57]
	v_fma_f64 v[76:77], v[170:171], v[54:55], -v[52:53]
	v_mul_f64 v[52:53], v[182:183], v[202:203]
	v_fma_f64 v[74:75], v[180:181], v[74:75], -v[52:53]
	v_mul_f64 v[52:53], v[186:187], v[58:59]
	s_waitcnt vmcnt(0)
	v_pk_mov_b32 v[18:19], v[4:5], v[4:5] op_sel:[0,1]
	buffer_load_dword v5, off, s[0:3], 0 offset:516
	buffer_load_dword v4, off, s[0:3], 0 offset:512
	v_accvgpr_write_b32 a183, v19
	v_accvgpr_write_b32 a182, v18
	s_waitcnt vmcnt(0)
	v_pk_mov_b32 v[22:23], v[4:5], v[4:5] op_sel:[0,1]
	buffer_load_dword v5, off, s[0:3], 0 offset:508
	buffer_load_dword v4, off, s[0:3], 0 offset:504
	v_accvgpr_write_b32 a185, v23
	v_accvgpr_write_b32 a184, v22
	;; [unrolled: 6-line block ×9, first 2 shown]
	s_waitcnt vmcnt(0)
	v_pk_mov_b32 v[166:167], v[4:5], v[4:5] op_sel:[0,1]
	buffer_load_dword v149, off, s[0:3], 0 offset:572
	buffer_load_dword v148, off, s[0:3], 0 offset:568
	buffer_load_dword v151, off, s[0:3], 0 offset:564
	buffer_load_dword v150, off, s[0:3], 0 offset:560
	buffer_load_dword v5, off, s[0:3], 0 offset:620
	buffer_load_dword v4, off, s[0:3], 0 offset:616
	v_accvgpr_write_b32 a197, v167
	v_accvgpr_write_b32 a196, v166
	s_waitcnt vmcnt(0)
	v_pk_mov_b32 v[168:169], v[4:5], v[4:5] op_sel:[0,1]
	buffer_load_dword v5, off, s[0:3], 0 offset:612
	buffer_load_dword v4, off, s[0:3], 0 offset:608
	v_accvgpr_write_b32 a199, v169
	v_accvgpr_write_b32 a198, v168
	s_waitcnt vmcnt(0)
	v_pk_mov_b32 v[174:175], v[4:5], v[4:5] op_sel:[0,1]
	buffer_load_dword v153, off, s[0:3], 0 offset:604
	buffer_load_dword v152, off, s[0:3], 0 offset:600
	;; [unrolled: 1-line block ×6, first 2 shown]
	v_accvgpr_write_b32 a201, v175
	v_accvgpr_write_b32 a200, v174
	s_waitcnt vmcnt(0)
	v_pk_mov_b32 v[214:215], v[4:5], v[4:5] op_sel:[0,1]
	buffer_load_dword v5, off, s[0:3], 0 offset:644
	buffer_load_dword v4, off, s[0:3], 0 offset:640
	;; [unrolled: 1-line block ×6, first 2 shown]
	ds_read_b128 v[204:207], v228 offset:1264
	ds_read_b128 v[216:219], v228 offset:1280
	;; [unrolled: 1-line block ×6, first 2 shown]
	s_waitcnt lgkmcnt(5)
	v_mul_f64 v[8:9], v[204:205], v[208:209]
	v_fmac_f64_e32 v[8:9], v[206:207], v[210:211]
	v_add_f64 v[6:7], v[6:7], v[8:9]
	s_waitcnt lgkmcnt(4)
	v_mul_f64 v[8:9], v[216:217], v[84:85]
	v_fmac_f64_e32 v[8:9], v[218:219], v[86:87]
	v_add_f64 v[6:7], v[6:7], v[8:9]
	;; [unrolled: 4-line block ×3, first 2 shown]
	s_waitcnt lgkmcnt(2)
	v_mul_f64 v[8:9], v[224:225], v[250:251]
	v_fmac_f64_e32 v[8:9], v[226:227], v[162:163]
	ds_read_b128 v[238:241], v228 offset:1360
	ds_read_b128 v[242:245], v228 offset:1376
	v_add_f64 v[6:7], v[6:7], v[8:9]
	s_waitcnt lgkmcnt(3)
	v_mul_f64 v[8:9], v[230:231], v[2:3]
	v_fmac_f64_e32 v[8:9], v[232:233], v[62:63]
	v_add_f64 v[6:7], v[6:7], v[8:9]
	s_waitcnt lgkmcnt(2)
	v_mul_f64 v[8:9], v[234:235], v[100:101]
	v_fmac_f64_e32 v[8:9], v[236:237], v[102:103]
	ds_read_b128 v[246:249], v228 offset:1392
	ds_read_b128 v[252:255], v228 offset:1408
	v_add_f64 v[6:7], v[6:7], v[8:9]
	s_waitcnt lgkmcnt(3)
	v_mul_f64 v[8:9], v[238:239], v[104:105]
	v_fmac_f64_e32 v[8:9], v[240:241], v[106:107]
	v_add_f64 v[6:7], v[6:7], v[8:9]
	s_waitcnt lgkmcnt(2)
	v_mul_f64 v[8:9], v[242:243], v[88:89]
	ds_read_b128 v[144:147], v228 offset:1424
	ds_read_b128 v[140:143], v228 offset:1440
	v_fmac_f64_e32 v[8:9], v[244:245], v[92:93]
	v_add_f64 v[6:7], v[6:7], v[8:9]
	s_waitcnt lgkmcnt(3)
	v_mul_f64 v[8:9], v[246:247], v[90:91]
	ds_read_b128 v[136:139], v228 offset:1456
	ds_read_b128 v[132:135], v228 offset:1472
	;; [unrolled: 6-line block ×3, first 2 shown]
	v_fmac_f64_e32 v[8:9], v[254:255], v[96:97]
	s_waitcnt lgkmcnt(5)
	v_mul_f64 v[12:13], v[144:145], v[14:15]
	v_add_f64 v[10:11], v[6:7], v[8:9]
	v_fmac_f64_e32 v[12:13], v[146:147], v[16:17]
	s_waitcnt lgkmcnt(4)
	v_mul_f64 v[16:17], v[140:141], v[18:19]
	v_add_f64 v[14:15], v[10:11], v[12:13]
	v_fmac_f64_e32 v[16:17], v[142:143], v[22:23]
	s_waitcnt lgkmcnt(3)
	v_mul_f64 v[20:21], v[136:137], v[24:25]
	v_add_f64 v[18:19], v[14:15], v[16:17]
	v_fmac_f64_e32 v[20:21], v[138:139], v[30:31]
	s_waitcnt lgkmcnt(2)
	v_mul_f64 v[24:25], v[132:133], v[26:27]
	v_add_f64 v[22:23], v[18:19], v[20:21]
	v_fmac_f64_e32 v[24:25], v[134:135], v[28:29]
	s_waitcnt lgkmcnt(1)
	v_mul_f64 v[28:29], v[128:129], v[148:149]
	v_add_f64 v[26:27], v[22:23], v[24:25]
	v_fmac_f64_e32 v[28:29], v[130:131], v[150:151]
	s_waitcnt lgkmcnt(0)
	v_mul_f64 v[32:33], v[124:125], v[164:165]
	v_add_f64 v[30:31], v[26:27], v[28:29]
	ds_read_b128 v[120:123], v228 offset:1520
	v_fmac_f64_e32 v[32:33], v[126:127], v[166:167]
	v_add_f64 v[164:165], v[30:31], v[32:33]
	ds_read_b128 v[30:33], v228 offset:1536
	v_fma_f64 v[22:23], v[42:43], v[34:35], -v[36:37]
	ds_read_b128 v[34:37], v228 offset:1552
	s_waitcnt lgkmcnt(2)
	v_mul_f64 v[42:43], v[120:121], v[152:153]
	v_fmac_f64_e32 v[42:43], v[122:123], v[154:155]
	s_waitcnt lgkmcnt(1)
	v_mul_f64 v[44:45], v[30:31], v[168:169]
	v_add_f64 v[42:43], v[164:165], v[42:43]
	v_fmac_f64_e32 v[44:45], v[32:33], v[174:175]
	v_add_f64 v[42:43], v[42:43], v[44:45]
	v_mul_f64 v[8:9], v[110:111], v[40:41]
	v_fma_f64 v[18:19], v[108:109], v[38:39], -v[8:9]
	v_mul_f64 v[108:109], v[114:115], v[160:161]
	s_waitcnt vmcnt(2) lgkmcnt(0)
	v_mul_f64 v[44:45], v[34:35], v[156:157]
	v_fma_f64 v[14:15], v[184:185], v[60:61], -v[52:53]
	s_waitcnt vmcnt(0)
	v_fmac_f64_e32 v[44:45], v[36:37], v[158:159]
	v_add_f64 v[24:25], v[42:43], v[44:45]
	ds_read_b128 v[42:45], v228 offset:1568
	ds_read_b128 v[38:41], v228 offset:1584
	buffer_load_dword v160, off, s[0:3], 0 offset:680
	buffer_load_dword v165, off, s[0:3], 0 offset:668
	;; [unrolled: 1-line block ×28, first 2 shown]
	v_mul_f64 v[52:53], v[190:191], v[70:71]
	v_mul_f64 v[16:17], v[194:195], v[64:65]
	buffer_load_dword v190, off, s[0:3], 0 offset:776
	v_fma_f64 v[16:17], v[192:193], v[66:67], -v[16:17]
	buffer_load_dword v192, off, s[0:3], 0 offset:768
	buffer_load_dword v191, off, s[0:3], 0 offset:780
	;; [unrolled: 1-line block ×3, first 2 shown]
	v_fma_f64 v[10:11], v[188:189], v[72:73], -v[52:53]
	v_mul_f64 v[52:53], v[198:199], v[68:69]
	v_fma_f64 v[8:9], v[196:197], v[0:1], -v[52:53]
	buffer_load_dword v189, off, s[0:3], 0 offset:812
	buffer_load_dword v195, off, s[0:3], 0 offset:796
	buffer_load_dword v194, off, s[0:3], 0 offset:792
	buffer_load_dword v27, off, s[0:3], 0 offset:788
	buffer_load_dword v26, off, s[0:3], 0 offset:784
	buffer_load_dword v188, off, s[0:3], 0 offset:808
	buffer_load_dword v199, off, s[0:3], 0 offset:804
	buffer_load_dword v198, off, s[0:3], 0 offset:800
	buffer_load_dword v197, off, s[0:3], 0 offset:828
	buffer_load_dword v196, off, s[0:3], 0 offset:824
	buffer_load_dword v203, off, s[0:3], 0 offset:820
	buffer_load_dword v202, off, s[0:3], 0 offset:816
	v_mul_f64 v[20:21], v[48:49], v[80:81]
	v_accvgpr_write_b32 a202, v214
	v_fma_f64 v[20:21], v[46:47], v[82:83], -v[20:21]
	v_mul_f64 v[46:47], v[206:207], v[208:209]
	s_waitcnt lgkmcnt(1)
	v_mul_f64 v[12:13], v[42:43], v[214:215]
	v_accvgpr_write_b32 a203, v215
	v_fma_f64 v[6:7], v[204:205], v[210:211], -v[46:47]
	buffer_load_dword v206, off, s[0:3], 0 offset:840
	buffer_load_dword v208, off, s[0:3], 0 offset:832
	;; [unrolled: 1-line block ×12, first 2 shown]
	v_fmac_f64_e32 v[12:13], v[44:45], v[4:5]
	v_accvgpr_write_b32 a205, v5
	v_accvgpr_write_b32 a204, v4
	v_add_f64 v[4:5], v[24:25], v[12:13]
	v_mul_f64 v[12:13], v[218:219], v[84:85]
	v_fma_f64 v[12:13], v[216:217], v[86:87], -v[12:13]
	buffer_load_dword v217, off, s[0:3], 0 offset:892
	buffer_load_dword v216, off, s[0:3], 0 offset:888
	;; [unrolled: 1-line block ×4, first 2 shown]
	ds_read_b128 v[46:49], v228 offset:1600
	v_mul_f64 v[58:59], v[226:227], v[250:251]
	v_fma_f64 v[162:163], v[224:225], v[162:163], -v[58:59]
	v_mul_f64 v[2:3], v[232:233], v[2:3]
	ds_read_b128 v[70:73], v228 offset:1696
	v_mul_f64 v[82:83], v[244:245], v[88:89]
	v_fma_f64 v[0:1], v[242:243], v[92:93], -v[82:83]
	v_mul_f64 v[88:89], v[248:249], v[90:91]
	ds_read_b128 v[90:93], v228 offset:1760
	v_fma_f64 v[250:251], v[246:247], v[98:99], -v[88:89]
	v_mul_f64 v[94:95], v[254:255], v[94:95]
	v_fma_f64 v[252:253], v[252:253], v[96:97], -v[94:95]
	ds_read_b128 v[94:97], v228 offset:1792
	v_fma_f64 v[78:79], v[112:113], v[78:79], -v[108:109]
	v_add_f64 v[22:23], v[22:23], 0
	v_add_f64 v[18:19], v[22:23], v[18:19]
	;; [unrolled: 1-line block ×13, first 2 shown]
	v_accvgpr_read_b32 v8, a180
	v_accvgpr_read_b32 v9, a181
	ds_read_b128 v[58:61], v228 offset:1648
	ds_read_b128 v[82:85], v228 offset:1744
	s_waitcnt vmcnt(57) lgkmcnt(6)
	v_mul_f64 v[24:25], v[38:39], v[164:165]
	s_waitcnt vmcnt(55)
	v_fmac_f64_e32 v[24:25], v[40:41], v[166:167]
	v_add_f64 v[4:5], v[4:5], v[24:25]
	v_mul_f64 v[24:25], v[222:223], v[200:201]
	v_fma_f64 v[24:25], v[220:221], v[50:51], -v[24:25]
	ds_read_b128 v[50:53], v228 offset:1616
	s_waitcnt vmcnt(53) lgkmcnt(6)
	v_mul_f64 v[54:55], v[46:47], v[160:161]
	s_waitcnt vmcnt(52)
	v_fmac_f64_e32 v[54:55], v[48:49], v[168:169]
	v_add_f64 v[4:5], v[4:5], v[54:55]
	ds_read_b128 v[54:57], v228 offset:1632
	s_waitcnt vmcnt(48) lgkmcnt(1)
	v_mul_f64 v[64:65], v[50:51], v[176:177]
	s_waitcnt vmcnt(46)
	v_fmac_f64_e32 v[64:65], v[52:53], v[178:179]
	v_add_f64 v[4:5], v[4:5], v[64:65]
	v_fma_f64 v[200:201], v[230:231], v[62:63], -v[2:3]
	ds_read_b128 v[62:65], v228 offset:1664
	s_waitcnt lgkmcnt(1)
	v_mul_f64 v[66:67], v[54:55], v[118:119]
	s_waitcnt vmcnt(44)
	v_fmac_f64_e32 v[66:67], v[56:57], v[174:175]
	v_add_f64 v[2:3], v[4:5], v[66:67]
	ds_read_b128 v[66:69], v228 offset:1680
	s_waitcnt vmcnt(40)
	v_mul_f64 v[4:5], v[58:59], v[180:181]
	s_waitcnt vmcnt(38)
	v_fmac_f64_e32 v[4:5], v[60:61], v[182:183]
	v_add_f64 v[2:3], v[2:3], v[4:5]
	s_waitcnt vmcnt(37) lgkmcnt(1)
	v_mul_f64 v[4:5], v[62:63], v[170:171]
	s_waitcnt vmcnt(36)
	v_fmac_f64_e32 v[4:5], v[64:65], v[172:173]
	v_add_f64 v[2:3], v[2:3], v[4:5]
	v_mul_f64 v[4:5], v[236:237], v[100:101]
	v_fma_f64 v[234:235], v[234:235], v[102:103], -v[4:5]
	s_waitcnt vmcnt(34) lgkmcnt(0)
	v_mul_f64 v[4:5], v[66:67], v[184:185]
	s_waitcnt vmcnt(32)
	v_fmac_f64_e32 v[4:5], v[68:69], v[186:187]
	v_add_f64 v[2:3], v[2:3], v[4:5]
	v_mul_f64 v[4:5], v[240:241], v[104:105]
	v_fma_f64 v[240:241], v[238:239], v[106:107], -v[4:5]
	ds_read_b128 v[230:233], v228 offset:1712
	s_waitcnt vmcnt(29)
	v_mul_f64 v[4:5], v[70:71], v[190:191]
	s_waitcnt vmcnt(28)
	v_fmac_f64_e32 v[4:5], v[72:73], v[192:193]
	v_add_f64 v[86:87], v[2:3], v[4:5]
	ds_read_b128 v[2:5], v228 offset:1728
	s_waitcnt vmcnt(25) lgkmcnt(1)
	v_mul_f64 v[28:29], v[230:231], v[194:195]
	s_waitcnt vmcnt(23)
	v_fmac_f64_e32 v[28:29], v[232:233], v[26:27]
	v_add_f64 v[28:29], v[86:87], v[28:29]
	v_add_f64 v[6:7], v[6:7], v[24:25]
	s_waitcnt vmcnt(22) lgkmcnt(0)
	v_mul_f64 v[86:87], v[2:3], v[188:189]
	s_waitcnt vmcnt(20)
	v_fmac_f64_e32 v[86:87], v[4:5], v[198:199]
	v_add_f64 v[28:29], v[28:29], v[86:87]
	s_waitcnt vmcnt(18)
	v_mul_f64 v[86:87], v[82:83], v[196:197]
	s_waitcnt vmcnt(16)
	v_fmac_f64_e32 v[86:87], v[84:85], v[202:203]
	v_add_f64 v[28:29], v[28:29], v[86:87]
	ds_read_b128 v[86:89], v228 offset:1776
	s_waitcnt vmcnt(13)
	v_mul_f64 v[98:99], v[90:91], v[206:207]
	s_waitcnt vmcnt(12)
	v_fmac_f64_e32 v[98:99], v[92:93], v[208:209]
	v_add_f64 v[28:29], v[28:29], v[98:99]
	v_add_f64 v[6:7], v[6:7], v[162:163]
	s_waitcnt vmcnt(9) lgkmcnt(0)
	v_mul_f64 v[98:99], v[86:87], v[80:81]
	s_waitcnt vmcnt(7)
	v_fmac_f64_e32 v[98:99], v[88:89], v[214:215]
	v_add_f64 v[28:29], v[28:29], v[98:99]
	s_waitcnt vmcnt(5)
	v_mul_f64 v[98:99], v[94:95], v[204:205]
	s_waitcnt vmcnt(4)
	v_fmac_f64_e32 v[98:99], v[96:97], v[210:211]
	v_add_f64 v[28:29], v[28:29], v[98:99]
	ds_read_b128 v[98:101], v228 offset:1808
	buffer_load_dword v220, off, s[0:3], 0 offset:904
	buffer_load_dword v221, off, s[0:3], 0 offset:908
	;; [unrolled: 1-line block ×4, first 2 shown]
	v_add_f64 v[6:7], v[6:7], v[200:201]
	v_add_f64 v[6:7], v[6:7], v[234:235]
	;; [unrolled: 1-line block ×3, first 2 shown]
	s_waitcnt vmcnt(6) lgkmcnt(0)
	v_mul_f64 v[102:103], v[98:99], v[216:217]
	s_waitcnt vmcnt(4)
	v_fmac_f64_e32 v[102:103], v[100:101], v[218:219]
	v_add_f64 v[28:29], v[28:29], v[102:103]
	ds_read_b128 v[102:105], v228 offset:1824
	buffer_load_dword v225, off, s[0:3], 0 offset:924
	buffer_load_dword v224, off, s[0:3], 0 offset:920
	;; [unrolled: 1-line block ×4, first 2 shown]
	v_add_f64 v[254:255], v[6:7], v[0:1]
	v_accvgpr_read_b32 v6, a178
	v_accvgpr_read_b32 v7, a179
	v_add_f64 v[0:1], v[254:255], v[250:251]
	v_mul_f64 v[6:7], v[146:147], v[6:7]
	v_add_f64 v[0:1], v[0:1], v[252:253]
	v_fma_f64 v[6:7], v[144:145], v[8:9], -v[6:7]
	v_add_f64 v[0:1], v[0:1], v[6:7]
	v_accvgpr_read_b32 v6, a182
	v_accvgpr_read_b32 v7, a183
	v_accvgpr_read_b32 v8, a184
	v_mul_f64 v[6:7], v[142:143], v[6:7]
	v_accvgpr_read_b32 v9, a185
	v_fma_f64 v[6:7], v[140:141], v[8:9], -v[6:7]
	v_add_f64 v[0:1], v[0:1], v[6:7]
	v_accvgpr_read_b32 v6, a186
	v_accvgpr_read_b32 v7, a187
	v_accvgpr_read_b32 v8, a188
	v_mul_f64 v[6:7], v[138:139], v[6:7]
	v_accvgpr_read_b32 v9, a189
	;; [unrolled: 7-line block ×3, first 2 shown]
	v_fma_f64 v[6:7], v[132:133], v[8:9], -v[6:7]
	v_add_f64 v[0:1], v[0:1], v[6:7]
	v_mul_f64 v[6:7], v[130:131], v[148:149]
	v_fma_f64 v[6:7], v[128:129], v[150:151], -v[6:7]
	v_add_f64 v[0:1], v[0:1], v[6:7]
	v_accvgpr_read_b32 v6, a194
	v_accvgpr_read_b32 v7, a195
	v_accvgpr_read_b32 v8, a196
	v_mul_f64 v[6:7], v[126:127], v[6:7]
	v_accvgpr_read_b32 v9, a197
	v_fma_f64 v[6:7], v[124:125], v[8:9], -v[6:7]
	v_add_f64 v[0:1], v[0:1], v[6:7]
	v_mul_f64 v[6:7], v[122:123], v[152:153]
	v_fma_f64 v[6:7], v[120:121], v[154:155], -v[6:7]
	v_add_f64 v[0:1], v[0:1], v[6:7]
	v_accvgpr_read_b32 v6, a198
	v_accvgpr_read_b32 v7, a199
	v_accvgpr_read_b32 v8, a200
	v_mul_f64 v[6:7], v[32:33], v[6:7]
	v_accvgpr_read_b32 v9, a201
	;; [unrolled: 10-line block ×3, first 2 shown]
	v_fma_f64 v[6:7], v[42:43], v[8:9], -v[6:7]
	v_add_f64 v[0:1], v[0:1], v[6:7]
	v_mul_f64 v[6:7], v[40:41], v[164:165]
	v_fma_f64 v[6:7], v[38:39], v[166:167], -v[6:7]
	v_add_f64 v[0:1], v[0:1], v[6:7]
	v_mul_f64 v[6:7], v[48:49], v[160:161]
	;; [unrolled: 3-line block ×4, first 2 shown]
	s_waitcnt vmcnt(6) lgkmcnt(0)
	v_mul_f64 v[106:107], v[102:103], v[220:221]
	v_fma_f64 v[6:7], v[54:55], v[174:175], -v[6:7]
	s_waitcnt vmcnt(4)
	v_fmac_f64_e32 v[106:107], v[104:105], v[222:223]
	v_add_f64 v[28:29], v[28:29], v[106:107]
	ds_read_b128 v[106:109], v228 offset:1840
	buffer_load_dword v236, off, s[0:3], 0 offset:936
	buffer_load_dword v237, off, s[0:3], 0 offset:940
	;; [unrolled: 1-line block ×4, first 2 shown]
	v_add_f64 v[0:1], v[0:1], v[6:7]
	v_mul_f64 v[6:7], v[60:61], v[180:181]
	v_fma_f64 v[6:7], v[58:59], v[182:183], -v[6:7]
	s_waitcnt vmcnt(6) lgkmcnt(0)
	v_mul_f64 v[110:111], v[106:107], v[224:225]
	s_waitcnt vmcnt(4)
	v_fmac_f64_e32 v[110:111], v[108:109], v[226:227]
	v_add_f64 v[28:29], v[28:29], v[110:111]
	ds_read_b128 v[110:113], v228 offset:1856
	buffer_load_dword v243, off, s[0:3], 0 offset:956
	buffer_load_dword v242, off, s[0:3], 0 offset:952
	;; [unrolled: 1-line block ×4, first 2 shown]
	v_add_f64 v[0:1], v[0:1], v[6:7]
	v_mul_f64 v[6:7], v[64:65], v[170:171]
	v_fma_f64 v[6:7], v[62:63], v[172:173], -v[6:7]
	v_add_f64 v[0:1], v[0:1], v[6:7]
	v_mul_f64 v[6:7], v[68:69], v[184:185]
	v_fma_f64 v[6:7], v[66:67], v[186:187], -v[6:7]
	;; [unrolled: 3-line block ×4, first 2 shown]
	v_mul_f64 v[4:5], v[4:5], v[188:189]
	v_add_f64 v[0:1], v[0:1], v[6:7]
	v_fma_f64 v[2:3], v[2:3], v[198:199], -v[4:5]
	v_add_f64 v[0:1], v[0:1], v[2:3]
	v_mul_f64 v[2:3], v[84:85], v[196:197]
	v_fma_f64 v[2:3], v[82:83], v[202:203], -v[2:3]
	v_add_f64 v[0:1], v[0:1], v[2:3]
	v_mul_f64 v[2:3], v[92:93], v[206:207]
	;; [unrolled: 3-line block ×7, first 2 shown]
	v_fma_f64 v[2:3], v[106:107], v[226:227], -v[2:3]
	v_add_f64 v[0:1], v[0:1], v[2:3]
	s_waitcnt vmcnt(6) lgkmcnt(0)
	v_mul_f64 v[114:115], v[110:111], v[236:237]
	v_mul_f64 v[2:3], v[112:113], v[236:237]
	s_waitcnt vmcnt(4)
	v_fmac_f64_e32 v[114:115], v[112:113], v[238:239]
	v_add_f64 v[28:29], v[28:29], v[114:115]
	ds_read_b128 v[114:117], v228 offset:1872
	buffer_load_dword v248, off, s[0:3], 0 offset:144
	buffer_load_dword v249, off, s[0:3], 0 offset:148
	;; [unrolled: 1-line block ×4, first 2 shown]
	v_fma_f64 v[2:3], v[110:111], v[238:239], -v[2:3]
	v_add_f64 v[0:1], v[0:1], v[2:3]
	s_waitcnt vmcnt(6) lgkmcnt(0)
	v_mul_f64 v[2:3], v[116:117], v[242:243]
	v_mul_f64 v[228:229], v[114:115], v[242:243]
	s_waitcnt vmcnt(4)
	v_fma_f64 v[2:3], v[114:115], v[244:245], -v[2:3]
	v_fmac_f64_e32 v[228:229], v[116:117], v[244:245]
	v_add_f64 v[0:1], v[0:1], v[2:3]
	v_add_f64 v[228:229], v[28:29], v[228:229]
	s_waitcnt vmcnt(2)
	v_add_f64 v[0:1], v[248:249], -v[0:1]
	s_waitcnt vmcnt(0)
	v_add_f64 v[2:3], v[246:247], -v[228:229]
	buffer_store_dword v1, off, s[0:3], 0 offset:148
	buffer_store_dword v0, off, s[0:3], 0 offset:144
	;; [unrolled: 1-line block ×4, first 2 shown]
	v_accvgpr_read_b32 v0, a176
	v_cmp_lt_u32_e32 vcc, 7, v0
	s_and_saveexec_b64 s[4:5], vcc
	s_cbranch_execz .LBB58_353
; %bb.352:
	v_accvgpr_read_b32 v0, a169
	buffer_load_dword v2, v0, s[0:3], 0 offen
	buffer_load_dword v3, v0, s[0:3], 0 offen offset:4
	buffer_load_dword v4, v0, s[0:3], 0 offen offset:8
	;; [unrolled: 1-line block ×3, first 2 shown]
	v_mov_b32_e32 v0, 0
	v_accvgpr_read_b32 v1, a177
	buffer_store_dword v0, off, s[0:3], 0 offset:128
	buffer_store_dword v0, off, s[0:3], 0 offset:132
	;; [unrolled: 1-line block ×4, first 2 shown]
	s_waitcnt vmcnt(4)
	ds_write_b128 v1, v[2:5]
.LBB58_353:
	s_or_b64 exec, exec, s[4:5]
	s_waitcnt lgkmcnt(0)
	; wave barrier
	s_waitcnt lgkmcnt(0)
	buffer_load_dword v30, off, s[0:3], 0 offset:144
	buffer_load_dword v31, off, s[0:3], 0 offset:148
	;; [unrolled: 1-line block ×36, first 2 shown]
	v_mov_b32_e32 v154, 0
	buffer_load_dword v67, off, s[0:3], 0 offset:316
	buffer_load_dword v66, off, s[0:3], 0 offset:312
	;; [unrolled: 1-line block ×18, first 2 shown]
	ds_read_b128 v[114:117], v154 offset:1072
	ds_read_b128 v[158:161], v154 offset:1088
	;; [unrolled: 1-line block ×9, first 2 shown]
	s_waitcnt vmcnt(50) lgkmcnt(8)
	v_mul_f64 v[0:1], v[114:115], v[32:33]
	v_fmac_f64_e32 v[0:1], v[116:117], v[30:31]
	v_add_f64 v[0:1], v[0:1], 0
	v_mul_f64 v[32:33], v[116:117], v[32:33]
	s_waitcnt vmcnt(46) lgkmcnt(7)
	v_mul_f64 v[2:3], v[158:159], v[38:39]
	v_fmac_f64_e32 v[2:3], v[160:161], v[36:37]
	v_add_f64 v[0:1], v[0:1], v[2:3]
	buffer_load_dword v109, off, s[0:3], 0 offset:372
	buffer_load_dword v108, off, s[0:3], 0 offset:368
	;; [unrolled: 1-line block ×32, first 2 shown]
	s_waitcnt vmcnt(62) lgkmcnt(6)
	v_mul_f64 v[4:5], v[168:169], v[34:35]
	s_waitcnt lgkmcnt(4)
	v_mul_f64 v[8:9], v[176:177], v[40:41]
	v_fmac_f64_e32 v[8:9], v[178:179], v[42:43]
	v_mul_f64 v[38:39], v[160:161], v[38:39]
	v_mul_f64 v[6:7], v[172:173], v[44:45]
	v_fma_f64 v[212:213], v[158:159], v[36:37], -v[38:39]
	s_waitcnt lgkmcnt(2)
	v_mul_f64 v[12:13], v[184:185], v[48:49]
	v_mul_f64 v[34:35], v[170:171], v[34:35]
	v_fmac_f64_e32 v[12:13], v[186:187], v[50:51]
	v_mul_f64 v[10:11], v[180:181], v[56:57]
	s_waitcnt lgkmcnt(1)
	v_mul_f64 v[14:15], v[188:189], v[52:53]
	s_waitcnt vmcnt(60)
	v_fmac_f64_e32 v[4:5], v[170:171], v[62:63]
	v_add_f64 v[0:1], v[0:1], v[4:5]
	s_waitcnt vmcnt(58)
	v_fmac_f64_e32 v[6:7], v[174:175], v[60:61]
	v_add_f64 v[0:1], v[0:1], v[6:7]
	v_add_f64 v[0:1], v[0:1], v[8:9]
	s_waitcnt vmcnt(56)
	v_fmac_f64_e32 v[10:11], v[182:183], v[58:59]
	v_add_f64 v[0:1], v[0:1], v[10:11]
	;; [unrolled: 4-line block ×3, first 2 shown]
	s_waitcnt vmcnt(0)
	v_pk_mov_b32 v[4:5], v[2:3], v[2:3] op_sel:[0,1]
	buffer_load_dword v3, off, s[0:3], 0 offset:500
	buffer_load_dword v2, off, s[0:3], 0 offset:496
	v_accvgpr_write_b32 a179, v5
	v_accvgpr_write_b32 a178, v4
	s_waitcnt vmcnt(0)
	v_pk_mov_b32 v[8:9], v[2:3], v[2:3] op_sel:[0,1]
	buffer_load_dword v95, off, s[0:3], 0 offset:492
	buffer_load_dword v94, off, s[0:3], 0 offset:488
	;; [unrolled: 1-line block ×6, first 2 shown]
	v_accvgpr_write_b32 a181, v9
	v_accvgpr_write_b32 a180, v8
	s_waitcnt vmcnt(0)
	v_pk_mov_b32 v[12:13], v[2:3], v[2:3] op_sel:[0,1]
	buffer_load_dword v3, off, s[0:3], 0 offset:532
	buffer_load_dword v2, off, s[0:3], 0 offset:528
	v_accvgpr_write_b32 a187, v13
	v_accvgpr_write_b32 a186, v12
	s_waitcnt vmcnt(0)
	v_pk_mov_b32 v[16:17], v[2:3], v[2:3] op_sel:[0,1]
	buffer_load_dword v3, off, s[0:3], 0 offset:524
	buffer_load_dword v2, off, s[0:3], 0 offset:520
	;; [unrolled: 6-line block ×10, first 2 shown]
	buffer_load_dword v3, off, s[0:3], 0 offset:580
	buffer_load_dword v2, off, s[0:3], 0 offset:576
	ds_read_b128 v[196:199], v154 offset:1216
	ds_read_b128 v[200:203], v154 offset:1232
	;; [unrolled: 1-line block ×8, first 2 shown]
	buffer_load_dword v231, off, s[0:3], 0 offset:636
	buffer_load_dword v151, off, s[0:3], 0 offset:620
	;; [unrolled: 1-line block ×8, first 2 shown]
	ds_read_b128 v[236:239], v154 offset:1344
	ds_read_b128 v[240:243], v154 offset:1360
	;; [unrolled: 1-line block ×10, first 2 shown]
	s_waitcnt lgkmcnt(5)
	v_mul_f64 v[6:7], v[252:253], v[94:95]
	v_fmac_f64_e32 v[6:7], v[254:255], v[96:97]
	s_waitcnt lgkmcnt(4)
	v_mul_f64 v[10:11], v[120:121], v[4:5]
	v_fmac_f64_e32 v[10:11], v[122:123], v[8:9]
	s_waitcnt lgkmcnt(3)
	v_mul_f64 v[14:15], v[124:125], v[18:19]
	s_waitcnt lgkmcnt(1)
	v_mul_f64 v[26:27], v[132:133], v[140:141]
	v_fmac_f64_e32 v[14:15], v[126:127], v[24:25]
	v_mul_f64 v[18:19], v[128:129], v[12:13]
	v_fmac_f64_e32 v[26:27], v[134:135], v[142:143]
	ds_read_b128 v[140:143], v154 offset:1504
	v_fmac_f64_e32 v[18:19], v[130:131], v[16:17]
	v_fma_f64 v[24:25], v[114:115], v[30:31], -v[32:33]
	ds_read_b128 v[30:33], v154 offset:1536
	v_accvgpr_write_b32 a203, v163
	v_accvgpr_write_b32 a202, v162
	v_mul_f64 v[4:5], v[182:183], v[56:57]
	v_mul_f64 v[94:95], v[254:255], v[94:95]
	v_add_f64 v[24:25], v[24:25], 0
	v_add_f64 v[24:25], v[24:25], v[212:213]
	s_waitcnt vmcnt(8)
	v_pk_mov_b32 v[144:145], v[2:3], v[2:3] op_sel:[0,1]
	v_mul_f64 v[2:3], v[192:193], v[46:47]
	v_fmac_f64_e32 v[2:3], v[194:195], v[64:65]
	v_add_f64 v[0:1], v[0:1], v[2:3]
	v_mul_f64 v[2:3], v[196:197], v[70:71]
	v_fmac_f64_e32 v[2:3], v[198:199], v[72:73]
	v_add_f64 v[0:1], v[0:1], v[2:3]
	;; [unrolled: 3-line block ×13, first 2 shown]
	v_add_f64 v[0:1], v[0:1], v[6:7]
	v_add_f64 v[0:1], v[0:1], v[10:11]
	;; [unrolled: 1-line block ×5, first 2 shown]
	s_waitcnt lgkmcnt(2)
	v_mul_f64 v[26:27], v[136:137], v[20:21]
	v_fmac_f64_e32 v[26:27], v[138:139], v[22:23]
	v_add_f64 v[0:1], v[0:1], v[26:27]
	s_waitcnt lgkmcnt(1)
	v_mul_f64 v[26:27], v[140:141], v[28:29]
	v_accvgpr_write_b32 a199, v145
	v_fmac_f64_e32 v[26:27], v[142:143], v[144:145]
	v_accvgpr_write_b32 a198, v144
	ds_read_b128 v[144:147], v154 offset:1520
	v_add_f64 v[0:1], v[0:1], v[26:27]
	s_waitcnt vmcnt(5) lgkmcnt(1)
	v_mul_f64 v[38:39], v[30:31], v[150:151]
	s_waitcnt vmcnt(3)
	v_fmac_f64_e32 v[38:39], v[32:33], v[148:149]
	v_fma_f64 v[20:21], v[180:181], v[58:59], -v[4:5]
	s_waitcnt lgkmcnt(0)
	v_mul_f64 v[114:115], v[144:145], v[156:157]
	v_fmac_f64_e32 v[114:115], v[146:147], v[162:163]
	buffer_load_dword v157, off, s[0:3], 0 offset:668
	buffer_load_dword v156, off, s[0:3], 0 offset:664
	buffer_load_dword v159, off, s[0:3], 0 offset:660
	buffer_load_dword v158, off, s[0:3], 0 offset:656
	buffer_load_dword v163, off, s[0:3], 0 offset:652
	buffer_load_dword v162, off, s[0:3], 0 offset:648
	buffer_load_dword v167, off, s[0:3], 0 offset:644
	buffer_load_dword v166, off, s[0:3], 0 offset:640
	v_add_f64 v[0:1], v[0:1], v[114:115]
	v_fma_f64 v[114:115], v[168:169], v[62:63], -v[34:35]
	buffer_load_dword v160, off, s[0:3], 0 offset:696
	buffer_load_dword v165, off, s[0:3], 0 offset:684
	;; [unrolled: 1-line block ×5, first 2 shown]
	v_mul_f64 v[34:35], v[174:175], v[44:45]
	v_fma_f64 v[116:117], v[172:173], v[60:61], -v[34:35]
	ds_read_b128 v[34:37], v154 offset:1552
	buffer_load_dword v170, off, s[0:3], 0 offset:688
	buffer_load_dword v161, off, s[0:3], 0 offset:700
	;; [unrolled: 1-line block ×3, first 2 shown]
	v_add_f64 v[0:1], v[0:1], v[38:39]
	v_mul_f64 v[4:5], v[186:187], v[48:49]
	v_fma_f64 v[18:19], v[184:185], v[50:51], -v[4:5]
	s_waitcnt vmcnt(18) lgkmcnt(0)
	v_mul_f64 v[38:39], v[34:35], v[230:231]
	s_waitcnt vmcnt(16)
	v_fmac_f64_e32 v[38:39], v[36:37], v[152:153]
	v_add_f64 v[60:61], v[0:1], v[38:39]
	v_mul_f64 v[0:1], v[178:179], v[40:41]
	v_fma_f64 v[22:23], v[176:177], v[42:43], -v[0:1]
	buffer_load_dword v173, off, s[0:3], 0 offset:732
	buffer_load_dword v175, off, s[0:3], 0 offset:716
	;; [unrolled: 1-line block ×8, first 2 shown]
	ds_read_b128 v[38:41], v154 offset:1568
	buffer_load_dword v181, off, s[0:3], 0 offset:748
	buffer_load_dword v180, off, s[0:3], 0 offset:744
	;; [unrolled: 1-line block ×4, first 2 shown]
	v_mul_f64 v[4:5], v[190:191], v[52:53]
	v_fma_f64 v[16:17], v[188:189], v[54:55], -v[4:5]
	buffer_load_dword v185, off, s[0:3], 0 offset:764
	buffer_load_dword v184, off, s[0:3], 0 offset:760
	;; [unrolled: 1-line block ×8, first 2 shown]
	v_mul_f64 v[4:5], v[194:195], v[46:47]
	v_fma_f64 v[14:15], v[192:193], v[64:65], -v[4:5]
	buffer_load_dword v192, off, s[0:3], 0 offset:792
	buffer_load_dword v194, off, s[0:3], 0 offset:784
	;; [unrolled: 1-line block ×4, first 2 shown]
	v_mul_f64 v[4:5], v[198:199], v[70:71]
	v_fma_f64 v[12:13], v[196:197], v[72:73], -v[4:5]
	v_mul_f64 v[4:5], v[202:203], v[66:67]
	buffer_load_dword v197, off, s[0:3], 0 offset:812
	buffer_load_dword v196, off, s[0:3], 0 offset:808
	;; [unrolled: 1-line block ×4, first 2 shown]
	v_fma_f64 v[10:11], v[200:201], v[68:69], -v[4:5]
	v_mul_f64 v[4:5], v[206:207], v[100:101]
	v_fma_f64 v[8:9], v[204:205], v[104:105], -v[4:5]
	buffer_load_dword v203, off, s[0:3], 0 offset:828
	buffer_load_dword v202, off, s[0:3], 0 offset:824
	;; [unrolled: 1-line block ×4, first 2 shown]
	v_mul_f64 v[4:5], v[210:211], v[92:93]
	v_fma_f64 v[6:7], v[208:209], v[76:77], -v[4:5]
	buffer_load_dword v201, off, s[0:3], 0 offset:860
	buffer_load_dword v207, off, s[0:3], 0 offset:844
	;; [unrolled: 1-line block ×12, first 2 shown]
	ds_read_b128 v[42:45], v154 offset:1584
	v_mul_f64 v[46:47], v[218:219], v[118:119]
	v_fma_f64 v[118:119], v[216:217], v[228:229], -v[46:47]
	ds_read_b128 v[46:49], v154 offset:1600
	v_mul_f64 v[54:55], v[222:223], v[74:75]
	v_fma_f64 v[228:229], v[220:221], v[108:109], -v[54:55]
	v_mul_f64 v[58:59], v[226:227], v[110:111]
	v_fma_f64 v[218:219], v[224:225], v[112:113], -v[58:59]
	v_mul_f64 v[66:67], v[234:235], v[90:91]
	v_fma_f64 v[4:5], v[232:233], v[98:99], -v[66:67]
	ds_read_b128 v[66:69], v154 offset:1680
	ds_read_b128 v[54:57], v154 offset:1632
	v_mul_f64 v[70:71], v[238:239], v[102:103]
	v_fma_f64 v[2:3], v[236:237], v[106:107], -v[70:71]
	v_mul_f64 v[78:79], v[242:243], v[78:79]
	v_fma_f64 v[0:1], v[240:241], v[80:81], -v[78:79]
	;; [unrolled: 2-line block ×3, first 2 shown]
	ds_read_b128 v[82:85], v154 offset:1744
	v_mul_f64 v[86:87], v[250:251], v[86:87]
	v_fma_f64 v[248:249], v[248:249], v[88:89], -v[86:87]
	ds_read_b128 v[86:89], v154 offset:1760
	ds_read_b128 v[70:73], v154 offset:1696
	buffer_load_dword v216, off, s[0:3], 0 offset:888
	v_fma_f64 v[250:251], v[252:253], v[96:97], -v[94:95]
	v_add_f64 v[24:25], v[24:25], v[114:115]
	v_add_f64 v[24:25], v[24:25], v[116:117]
	v_add_f64 v[22:23], v[24:25], v[22:23]
	v_add_f64 v[20:21], v[22:23], v[20:21]
	v_add_f64 v[18:19], v[20:21], v[18:19]
	v_add_f64 v[16:17], v[18:19], v[16:17]
	v_add_f64 v[14:15], v[16:17], v[14:15]
	v_add_f64 v[12:13], v[14:15], v[12:13]
	ds_read_b128 v[78:81], v154 offset:1728
	v_add_f64 v[10:11], v[12:13], v[10:11]
	v_add_f64 v[8:9], v[10:11], v[8:9]
	;; [unrolled: 1-line block ×6, first 2 shown]
	s_waitcnt vmcnt(55) lgkmcnt(8)
	v_mul_f64 v[50:51], v[38:39], v[162:163]
	s_waitcnt lgkmcnt(7)
	v_mul_f64 v[52:53], v[42:43], v[156:157]
	s_waitcnt vmcnt(53)
	v_fmac_f64_e32 v[50:51], v[40:41], v[166:167]
	v_add_f64 v[50:51], v[60:61], v[50:51]
	v_fmac_f64_e32 v[52:53], v[44:45], v[158:159]
	v_add_f64 v[50:51], v[50:51], v[52:53]
	s_waitcnt vmcnt(50) lgkmcnt(6)
	v_mul_f64 v[52:53], v[46:47], v[164:165]
	s_waitcnt vmcnt(48)
	v_fmac_f64_e32 v[52:53], v[48:49], v[168:169]
	v_add_f64 v[62:63], v[50:51], v[52:53]
	ds_read_b128 v[50:53], v154 offset:1616
	ds_read_b128 v[58:61], v154 offset:1648
	;; [unrolled: 1-line block ×3, first 2 shown]
	v_add_f64 v[4:5], v[6:7], v[4:5]
	v_add_f64 v[2:3], v[4:5], v[2:3]
	s_waitcnt vmcnt(46) lgkmcnt(2)
	v_mul_f64 v[64:65], v[50:51], v[160:161]
	s_waitcnt vmcnt(45)
	v_fmac_f64_e32 v[64:65], v[52:53], v[170:171]
	v_add_f64 v[62:63], v[62:63], v[64:65]
	s_waitcnt vmcnt(42)
	v_mul_f64 v[64:65], v[54:55], v[174:175]
	s_waitcnt vmcnt(40)
	v_fmac_f64_e32 v[64:65], v[56:57], v[178:179]
	v_add_f64 v[62:63], v[62:63], v[64:65]
	s_waitcnt vmcnt(39) lgkmcnt(1)
	v_mul_f64 v[64:65], v[58:59], v[172:173]
	s_waitcnt vmcnt(37)
	v_fmac_f64_e32 v[64:65], v[60:61], v[176:177]
	v_add_f64 v[74:75], v[62:63], v[64:65]
	ds_read_b128 v[62:65], v154 offset:1664
	v_add_f64 v[0:1], v[2:3], v[0:1]
	v_add_f64 v[2:3], v[0:1], v[246:247]
	v_accvgpr_read_b32 v4, a178
	v_accvgpr_read_b32 v5, a179
	s_waitcnt vmcnt(35) lgkmcnt(0)
	v_mul_f64 v[76:77], v[62:63], v[180:181]
	s_waitcnt vmcnt(33)
	v_fmac_f64_e32 v[76:77], v[64:65], v[182:183]
	v_add_f64 v[74:75], v[74:75], v[76:77]
	s_waitcnt vmcnt(31)
	v_mul_f64 v[76:77], v[66:67], v[184:185]
	s_waitcnt vmcnt(29)
	v_fmac_f64_e32 v[76:77], v[68:69], v[188:189]
	v_add_f64 v[74:75], v[74:75], v[76:77]
	s_waitcnt vmcnt(27)
	v_mul_f64 v[76:77], v[70:71], v[186:187]
	s_waitcnt vmcnt(25)
	v_fmac_f64_e32 v[76:77], v[72:73], v[190:191]
	v_add_f64 v[90:91], v[74:75], v[76:77]
	ds_read_b128 v[74:77], v154 offset:1712
	s_waitcnt vmcnt(10)
	v_mul_f64 v[100:101], v[86:87], v[206:207]
	s_waitcnt vmcnt(8)
	v_fmac_f64_e32 v[100:101], v[88:89], v[26:27]
	v_accvgpr_read_b32 v6, a180
	v_mul_f64 v[4:5], v[122:123], v[4:5]
	s_waitcnt lgkmcnt(0)
	v_mul_f64 v[92:93], v[74:75], v[192:193]
	v_fmac_f64_e32 v[92:93], v[76:77], v[194:195]
	v_add_f64 v[90:91], v[90:91], v[92:93]
	v_mul_f64 v[92:93], v[78:79], v[196:197]
	v_fmac_f64_e32 v[92:93], v[80:81], v[198:199]
	v_add_f64 v[90:91], v[90:91], v[92:93]
	;; [unrolled: 3-line block ×3, first 2 shown]
	ds_read_b128 v[90:93], v154 offset:1776
	buffer_load_dword v254, off, s[0:3], 0 offset:880
	buffer_load_dword v217, off, s[0:3], 0 offset:892
	;; [unrolled: 1-line block ×3, first 2 shown]
	v_add_f64 v[98:99], v[98:99], v[100:101]
	v_accvgpr_read_b32 v7, a181
	v_fma_f64 v[4:5], v[120:121], v[6:7], -v[4:5]
	s_waitcnt vmcnt(10) lgkmcnt(0)
	v_mul_f64 v[100:101], v[90:91], v[200:201]
	s_waitcnt vmcnt(8)
	v_fmac_f64_e32 v[100:101], v[92:93], v[210:211]
	v_add_f64 v[98:99], v[98:99], v[100:101]
	s_waitcnt vmcnt(6)
	v_mul_f64 v[100:101], v[94:95], v[208:209]
	s_waitcnt vmcnt(4)
	v_fmac_f64_e32 v[100:101], v[96:97], v[214:215]
	v_add_f64 v[102:103], v[98:99], v[100:101]
	ds_read_b128 v[98:101], v154 offset:1808
	buffer_load_dword v221, off, s[0:3], 0 offset:908
	buffer_load_dword v220, off, s[0:3], 0 offset:904
	;; [unrolled: 1-line block ×4, first 2 shown]
	v_accvgpr_read_b32 v6, a184
	v_accvgpr_read_b32 v7, a185
	s_waitcnt vmcnt(5) lgkmcnt(0)
	v_mul_f64 v[104:105], v[98:99], v[216:217]
	s_waitcnt vmcnt(4)
	v_fmac_f64_e32 v[104:105], v[100:101], v[254:255]
	v_add_f64 v[106:107], v[102:103], v[104:105]
	ds_read_b128 v[102:105], v154 offset:1824
	buffer_load_dword v224, off, s[0:3], 0 offset:920
	buffer_load_dword v225, off, s[0:3], 0 offset:924
	buffer_load_dword v226, off, s[0:3], 0 offset:912
	buffer_load_dword v227, off, s[0:3], 0 offset:916
	s_waitcnt vmcnt(6) lgkmcnt(0)
	v_mul_f64 v[108:109], v[102:103], v[220:221]
	s_waitcnt vmcnt(4)
	v_fmac_f64_e32 v[108:109], v[104:105], v[222:223]
	v_add_f64 v[110:111], v[106:107], v[108:109]
	ds_read_b128 v[106:109], v154 offset:1840
	buffer_load_dword v237, off, s[0:3], 0 offset:940
	buffer_load_dword v236, off, s[0:3], 0 offset:936
	buffer_load_dword v239, off, s[0:3], 0 offset:932
	buffer_load_dword v238, off, s[0:3], 0 offset:928
	;; [unrolled: 10-line block ×4, first 2 shown]
	s_waitcnt vmcnt(6) lgkmcnt(0)
	v_mul_f64 v[252:253], v[232:233], v[242:243]
	s_waitcnt vmcnt(4)
	v_fmac_f64_e32 v[252:253], v[234:235], v[244:245]
	v_add_f64 v[240:241], v[240:241], v[252:253]
	v_add_f64 v[252:253], v[2:3], v[248:249]
	;; [unrolled: 1-line block ×4, first 2 shown]
	v_accvgpr_read_b32 v4, a182
	v_accvgpr_read_b32 v5, a183
	v_mul_f64 v[4:5], v[126:127], v[4:5]
	v_fma_f64 v[4:5], v[124:125], v[6:7], -v[4:5]
	v_add_f64 v[2:3], v[2:3], v[4:5]
	v_accvgpr_read_b32 v4, a186
	v_accvgpr_read_b32 v5, a187
	v_accvgpr_read_b32 v6, a188
	v_mul_f64 v[4:5], v[130:131], v[4:5]
	v_accvgpr_read_b32 v7, a189
	v_fma_f64 v[4:5], v[128:129], v[6:7], -v[4:5]
	v_add_f64 v[2:3], v[2:3], v[4:5]
	v_accvgpr_read_b32 v4, a190
	v_accvgpr_read_b32 v5, a191
	v_accvgpr_read_b32 v6, a192
	v_mul_f64 v[4:5], v[134:135], v[4:5]
	v_accvgpr_read_b32 v7, a193
	;; [unrolled: 7-line block ×3, first 2 shown]
	v_fma_f64 v[4:5], v[136:137], v[6:7], -v[4:5]
	v_accvgpr_read_b32 v6, a198
	v_add_f64 v[2:3], v[2:3], v[4:5]
	v_mul_f64 v[4:5], v[142:143], v[28:29]
	v_accvgpr_read_b32 v7, a199
	v_fma_f64 v[4:5], v[140:141], v[6:7], -v[4:5]
	v_add_f64 v[2:3], v[2:3], v[4:5]
	v_accvgpr_read_b32 v4, a200
	v_accvgpr_read_b32 v5, a201
	;; [unrolled: 1-line block ×3, first 2 shown]
	v_mul_f64 v[4:5], v[146:147], v[4:5]
	v_accvgpr_read_b32 v7, a203
	v_fma_f64 v[4:5], v[144:145], v[6:7], -v[4:5]
	v_add_f64 v[2:3], v[2:3], v[4:5]
	v_mul_f64 v[4:5], v[32:33], v[150:151]
	v_fma_f64 v[4:5], v[30:31], v[148:149], -v[4:5]
	v_add_f64 v[2:3], v[2:3], v[4:5]
	v_mul_f64 v[4:5], v[36:37], v[230:231]
	;; [unrolled: 3-line block ×22, first 2 shown]
	v_fma_f64 v[4:5], v[232:233], v[244:245], -v[4:5]
	v_add_f64 v[2:3], v[2:3], v[4:5]
	s_waitcnt vmcnt(2)
	v_add_f64 v[0:1], v[0:1], -v[2:3]
	s_waitcnt vmcnt(0)
	v_add_f64 v[2:3], v[246:247], -v[240:241]
	buffer_store_dword v1, off, s[0:3], 0 offset:132
	buffer_store_dword v0, off, s[0:3], 0 offset:128
	;; [unrolled: 1-line block ×4, first 2 shown]
	v_accvgpr_read_b32 v0, a176
	v_cmp_lt_u32_e32 vcc, 6, v0
	s_and_saveexec_b64 s[4:5], vcc
	s_cbranch_execz .LBB58_355
; %bb.354:
	v_accvgpr_read_b32 v0, a170
	buffer_load_dword v2, v0, s[0:3], 0 offen
	buffer_load_dword v3, v0, s[0:3], 0 offen offset:4
	buffer_load_dword v4, v0, s[0:3], 0 offen offset:8
	;; [unrolled: 1-line block ×3, first 2 shown]
	v_accvgpr_read_b32 v0, a177
	buffer_store_dword v154, off, s[0:3], 0 offset:112
	buffer_store_dword v154, off, s[0:3], 0 offset:116
	;; [unrolled: 1-line block ×4, first 2 shown]
	s_waitcnt vmcnt(4)
	ds_write_b128 v0, v[2:5]
.LBB58_355:
	s_or_b64 exec, exec, s[4:5]
	s_waitcnt lgkmcnt(0)
	; wave barrier
	s_waitcnt lgkmcnt(0)
	buffer_load_dword v22, off, s[0:3], 0 offset:128
	buffer_load_dword v23, off, s[0:3], 0 offset:132
	;; [unrolled: 1-line block ×36, first 2 shown]
	ds_read_b128 v[18:21], v154 offset:1056
	ds_read_b128 v[26:29], v154 offset:1072
	;; [unrolled: 1-line block ×9, first 2 shown]
	buffer_load_dword v91, off, s[0:3], 0 offset:300
	buffer_load_dword v90, off, s[0:3], 0 offset:296
	;; [unrolled: 1-line block ×19, first 2 shown]
	s_waitcnt vmcnt(51) lgkmcnt(8)
	v_mul_f64 v[0:1], v[18:19], v[24:25]
	v_fmac_f64_e32 v[0:1], v[20:21], v[22:23]
	v_add_f64 v[0:1], v[0:1], 0
	v_mul_f64 v[20:21], v[20:21], v[24:25]
	s_waitcnt vmcnt(47) lgkmcnt(7)
	v_mul_f64 v[2:3], v[26:27], v[162:163]
	v_fmac_f64_e32 v[2:3], v[28:29], v[160:161]
	v_add_f64 v[0:1], v[0:1], v[2:3]
	buffer_load_dword v104, off, s[0:3], 0 offset:352
	buffer_load_dword v145, off, s[0:3], 0 offset:348
	;; [unrolled: 1-line block ×39, first 2 shown]
	s_waitcnt vmcnt(62) lgkmcnt(6)
	v_mul_f64 v[4:5], v[54:55], v[158:159]
	s_waitcnt lgkmcnt(4)
	v_mul_f64 v[8:9], v[34:35], v[64:65]
	v_fmac_f64_e32 v[8:9], v[36:37], v[66:67]
	v_mul_f64 v[28:29], v[28:29], v[162:163]
	v_mul_f64 v[6:7], v[30:31], v[68:69]
	s_waitcnt lgkmcnt(2)
	v_mul_f64 v[12:13], v[50:51], v[74:75]
	v_fmac_f64_e32 v[12:13], v[52:53], v[76:77]
	v_mul_f64 v[52:53], v[52:53], v[74:75]
	v_mul_f64 v[10:11], v[38:39], v[80:81]
	s_waitcnt lgkmcnt(1)
	v_mul_f64 v[14:15], v[46:47], v[72:73]
	v_fmac_f64_e32 v[4:5], v[56:57], v[164:165]
	v_add_f64 v[0:1], v[0:1], v[4:5]
	v_fmac_f64_e32 v[6:7], v[32:33], v[166:167]
	v_add_f64 v[0:1], v[0:1], v[6:7]
	;; [unrolled: 2-line block ×3, first 2 shown]
	v_add_f64 v[0:1], v[0:1], v[10:11]
	v_fmac_f64_e32 v[14:15], v[48:49], v[78:79]
	v_add_f64 v[0:1], v[0:1], v[12:13]
	v_add_f64 v[0:1], v[0:1], v[14:15]
	v_mul_f64 v[56:57], v[56:57], v[158:159]
	v_mul_f64 v[32:33], v[32:33], v[68:69]
	;; [unrolled: 1-line block ×3, first 2 shown]
	s_waitcnt vmcnt(0)
	v_pk_mov_b32 v[122:123], v[2:3], v[2:3] op_sel:[0,1]
	buffer_load_dword v3, off, s[0:3], 0 offset:516
	buffer_load_dword v2, off, s[0:3], 0 offset:512
	v_accvgpr_write_b32 a185, v123
	v_accvgpr_write_b32 a184, v122
	s_waitcnt vmcnt(0)
	v_pk_mov_b32 v[126:127], v[2:3], v[2:3] op_sel:[0,1]
	buffer_load_dword v3, off, s[0:3], 0 offset:508
	buffer_load_dword v2, off, s[0:3], 0 offset:504
	v_accvgpr_write_b32 a187, v127
	v_accvgpr_write_b32 a186, v126
	s_waitcnt vmcnt(0)
	v_pk_mov_b32 v[16:17], v[2:3], v[2:3] op_sel:[0,1]
	buffer_load_dword v3, off, s[0:3], 0 offset:500
	buffer_load_dword v2, off, s[0:3], 0 offset:496
	v_pk_mov_b32 v[156:157], v[16:17], v[16:17] op_sel:[0,1]
	s_waitcnt vmcnt(0)
	v_pk_mov_b32 v[128:129], v[2:3], v[2:3] op_sel:[0,1]
	buffer_load_dword v3, off, s[0:3], 0 offset:556
	buffer_load_dword v2, off, s[0:3], 0 offset:552
	v_accvgpr_write_b32 a183, v129
	v_accvgpr_write_b32 a182, v128
	s_waitcnt vmcnt(0)
	v_pk_mov_b32 v[150:151], v[2:3], v[2:3] op_sel:[0,1]
	buffer_load_dword v3, off, s[0:3], 0 offset:548
	buffer_load_dword v2, off, s[0:3], 0 offset:544
	v_accvgpr_write_b32 a193, v151
	v_accvgpr_write_b32 a192, v150
	;; [unrolled: 6-line block ×7, first 2 shown]
	s_waitcnt vmcnt(0)
	v_pk_mov_b32 v[182:183], v[2:3], v[2:3] op_sel:[0,1]
	buffer_load_dword v3, off, s[0:3], 0 offset:564
	buffer_load_dword v2, off, s[0:3], 0 offset:560
	ds_read_b128 v[184:187], v154 offset:1200
	ds_read_b128 v[196:199], v154 offset:1216
	;; [unrolled: 1-line block ×9, first 2 shown]
	v_accvgpr_write_b32 a197, v183
	v_accvgpr_write_b32 a196, v182
	s_waitcnt lgkmcnt(1)
	v_mul_f64 v[4:5], v[242:243], v[220:221]
	v_fmac_f64_e32 v[4:5], v[244:245], v[222:223]
	s_waitcnt vmcnt(0)
	v_pk_mov_b32 v[190:191], v[2:3], v[2:3] op_sel:[0,1]
	v_mul_f64 v[2:3], v[42:43], v[70:71]
	v_fmac_f64_e32 v[2:3], v[44:45], v[188:189]
	v_add_f64 v[0:1], v[0:1], v[2:3]
	v_mul_f64 v[2:3], v[184:185], v[94:95]
	v_fmac_f64_e32 v[2:3], v[186:187], v[98:99]
	v_add_f64 v[0:1], v[0:1], v[2:3]
	;; [unrolled: 3-line block ×8, first 2 shown]
	buffer_load_dword v1, off, s[0:3], 0 offset:604
	buffer_load_dword v0, off, s[0:3], 0 offset:600
	;; [unrolled: 1-line block ×4, first 2 shown]
	ds_read_b128 v[250:253], v154 offset:1344
	buffer_load_dword v231, off, s[0:3], 0 offset:620
	buffer_load_dword v230, off, s[0:3], 0 offset:616
	;; [unrolled: 1-line block ×8, first 2 shown]
	ds_read_b128 v[118:121], v154 offset:1360
	ds_read_b128 v[58:61], v154 offset:1376
	v_add_f64 v[2:3], v[2:3], v[4:5]
	s_waitcnt lgkmcnt(3)
	v_mul_f64 v[4:5], v[246:247], v[224:225]
	v_fmac_f64_e32 v[4:5], v[248:249], v[226:227]
	v_add_f64 v[2:3], v[2:3], v[4:5]
	s_waitcnt lgkmcnt(2)
	v_mul_f64 v[4:5], v[250:251], v[114:115]
	v_fmac_f64_e32 v[4:5], v[252:253], v[116:117]
	ds_read_b128 v[82:85], v154 offset:1392
	ds_read_b128 v[86:89], v154 offset:1408
	v_add_f64 v[2:3], v[2:3], v[4:5]
	s_waitcnt lgkmcnt(3)
	v_mul_f64 v[4:5], v[118:119], v[216:217]
	v_fmac_f64_e32 v[4:5], v[120:121], v[218:219]
	v_add_f64 v[2:3], v[2:3], v[4:5]
	s_waitcnt lgkmcnt(2)
	v_mul_f64 v[4:5], v[58:59], v[106:107]
	v_fmac_f64_e32 v[4:5], v[60:61], v[110:111]
	;; [unrolled: 4-line block ×3, first 2 shown]
	v_add_f64 v[6:7], v[2:3], v[4:5]
	ds_read_b128 v[2:5], v154 offset:1424
	ds_read_b128 v[138:141], v154 offset:1440
	buffer_load_dword v125, off, s[0:3], 0 offset:652
	buffer_load_dword v124, off, s[0:3], 0 offset:648
	ds_read_b128 v[134:137], v154 offset:1456
	ds_read_b128 v[130:133], v154 offset:1472
	s_waitcnt lgkmcnt(4)
	v_mul_f64 v[8:9], v[86:87], v[96:97]
	s_waitcnt lgkmcnt(3)
	v_mul_f64 v[12:13], v[2:3], v[16:17]
	;; [unrolled: 2-line block ×3, first 2 shown]
	v_fmac_f64_e32 v[8:9], v[88:89], v[100:101]
	v_fmac_f64_e32 v[12:13], v[4:5], v[128:129]
	;; [unrolled: 1-line block ×3, first 2 shown]
	ds_read_b128 v[126:129], v154 offset:1488
	s_waitcnt lgkmcnt(1)
	v_mul_f64 v[24:25], v[130:131], v[150:151]
	v_add_f64 v[10:11], v[6:7], v[8:9]
	v_fmac_f64_e32 v[24:25], v[132:133], v[152:153]
	ds_read_b128 v[150:153], v154 offset:1504
	v_add_f64 v[14:15], v[10:11], v[12:13]
	v_mul_f64 v[172:173], v[134:135], v[178:179]
	v_add_f64 v[170:171], v[14:15], v[16:17]
	v_fmac_f64_e32 v[172:173], v[136:137], v[180:181]
	v_fma_f64 v[122:123], v[18:19], v[22:23], -v[20:21]
	v_add_f64 v[22:23], v[170:171], v[172:173]
	v_accvgpr_write_b32 a181, v5
	v_add_f64 v[22:23], v[22:23], v[24:25]
	s_waitcnt lgkmcnt(1)
	v_mul_f64 v[24:25], v[126:127], v[182:183]
	v_fma_f64 v[18:19], v[26:27], v[160:161], -v[28:29]
	ds_read_b128 v[26:29], v154 offset:1520
	v_accvgpr_write_b32 a180, v4
	v_accvgpr_write_b32 a179, v3
	;; [unrolled: 1-line block ×3, first 2 shown]
	v_fmac_f64_e32 v[24:25], v[128:129], v[190:191]
	s_waitcnt lgkmcnt(1)
	v_mul_f64 v[4:5], v[150:151], v[174:175]
	v_add_f64 v[170:171], v[22:23], v[24:25]
	v_fmac_f64_e32 v[4:5], v[152:153], v[176:177]
	v_add_f64 v[4:5], v[170:171], v[4:5]
	buffer_load_dword v163, off, s[0:3], 0 offset:644
	buffer_load_dword v162, off, s[0:3], 0 offset:640
	v_fma_f64 v[170:171], v[54:55], v[164:165], -v[56:57]
	buffer_load_dword v158, off, s[0:3], 0 offset:680
	buffer_load_dword v160, off, s[0:3], 0 offset:672
	;; [unrolled: 1-line block ×4, first 2 shown]
	v_fma_f64 v[14:15], v[30:31], v[166:167], -v[32:33]
	buffer_load_dword v167, off, s[0:3], 0 offset:660
	buffer_load_dword v166, off, s[0:3], 0 offset:656
	buffer_load_dword v159, off, s[0:3], 0 offset:684
	buffer_load_dword v161, off, s[0:3], 0 offset:676
	ds_read_b128 v[30:33], v154 offset:1536
	v_mul_f64 v[44:45], v[44:45], v[70:71]
	v_accvgpr_write_b32 a199, v191
	v_accvgpr_write_b32 a198, v190
	v_mul_f64 v[24:25], v[202:203], v[192:193]
	v_fma_f64 v[24:25], v[200:201], v[194:195], -v[24:25]
	v_mul_f64 v[16:17], v[48:49], v[72:73]
	v_fma_f64 v[16:17], v[46:47], v[78:79], -v[16:17]
	v_fma_f64 v[6:7], v[50:51], v[76:77], -v[52:53]
	v_mul_f64 v[50:51], v[240:241], v[236:237]
	v_fma_f64 v[228:229], v[238:239], v[228:229], -v[50:51]
	v_mul_f64 v[70:71], v[252:253], v[114:115]
	v_mul_f64 v[60:61], v[60:61], v[106:107]
	s_waitcnt vmcnt(22) lgkmcnt(1)
	v_mul_f64 v[8:9], v[26:27], v[0:1]
	v_accvgpr_write_b32 a205, v1
	s_waitcnt vmcnt(20)
	v_fmac_f64_e32 v[8:9], v[28:29], v[148:149]
	v_add_f64 v[4:5], v[4:5], v[8:9]
	v_mul_f64 v[8:9], v[36:37], v[64:65]
	v_fma_f64 v[10:11], v[34:35], v[66:67], -v[8:9]
	ds_read_b128 v[34:37], v154 offset:1552
	v_fma_f64 v[8:9], v[38:39], v[168:169], -v[40:41]
	ds_read_b128 v[38:41], v154 offset:1568
	buffer_load_dword v169, off, s[0:3], 0 offset:700
	buffer_load_dword v168, off, s[0:3], 0 offset:696
	;; [unrolled: 1-line block ×16, first 2 shown]
	s_waitcnt vmcnt(34) lgkmcnt(2)
	v_mul_f64 v[54:55], v[30:31], v[230:231]
	s_waitcnt vmcnt(32)
	v_fmac_f64_e32 v[54:55], v[32:33], v[254:255]
	s_waitcnt vmcnt(30) lgkmcnt(1)
	v_mul_f64 v[12:13], v[34:35], v[142:143]
	v_add_f64 v[4:5], v[4:5], v[54:55]
	s_waitcnt vmcnt(28)
	v_fmac_f64_e32 v[12:13], v[36:37], v[146:147]
	v_add_f64 v[12:13], v[4:5], v[12:13]
	v_fma_f64 v[4:5], v[42:43], v[188:189], -v[44:45]
	v_mul_f64 v[42:43], v[186:187], v[94:95]
	v_fma_f64 v[94:95], v[184:185], v[98:99], -v[42:43]
	buffer_load_dword v185, off, s[0:3], 0 offset:764
	buffer_load_dword v184, off, s[0:3], 0 offset:760
	;; [unrolled: 1-line block ×8, first 2 shown]
	v_mul_f64 v[42:43], v[198:199], v[90:91]
	v_fma_f64 v[2:3], v[196:197], v[92:93], -v[42:43]
	buffer_load_dword v193, off, s[0:3], 0 offset:812
	buffer_load_dword v195, off, s[0:3], 0 offset:796
	;; [unrolled: 1-line block ×12, first 2 shown]
	v_mul_f64 v[42:43], v[210:211], v[204:205]
	v_fma_f64 v[204:205], v[208:209], v[206:207], -v[42:43]
	v_mul_f64 v[42:43], v[214:215], v[144:145]
	v_accvgpr_write_b32 a204, v0
	v_fma_f64 v[0:1], v[212:213], v[62:63], -v[42:43]
	buffer_load_dword v207, off, s[0:3], 0 offset:844
	buffer_load_dword v206, off, s[0:3], 0 offset:840
	;; [unrolled: 1-line block ×12, first 2 shown]
	ds_read_b128 v[42:45], v154 offset:1584
	ds_read_b128 v[46:49], v154 offset:1600
	s_waitcnt vmcnt(58) lgkmcnt(2)
	v_mul_f64 v[20:21], v[38:39], v[124:125]
	ds_read_b128 v[50:53], v154 offset:1616
	v_mul_f64 v[62:63], v[244:245], v[220:221]
	v_fma_f64 v[240:241], v[242:243], v[222:223], -v[62:63]
	v_mul_f64 v[62:63], v[248:249], v[224:225]
	v_fma_f64 v[246:247], v[246:247], v[226:227], -v[62:63]
	v_fma_f64 v[248:249], v[250:251], v[116:117], -v[70:71]
	v_mul_f64 v[84:85], v[84:85], v[108:109]
	v_mul_f64 v[88:89], v[88:89], v[96:97]
	v_fma_f64 v[250:251], v[82:83], v[112:113], -v[84:85]
	ds_read_b128 v[82:85], v154 offset:1776
	v_fma_f64 v[252:253], v[86:87], v[100:101], -v[88:89]
	ds_read_b128 v[86:89], v154 offset:1792
	ds_read_b128 v[62:65], v154 offset:1664
	;; [unrolled: 1-line block ×3, first 2 shown]
	s_waitcnt vmcnt(56)
	v_fmac_f64_e32 v[20:21], v[40:41], v[162:163]
	v_add_f64 v[12:13], v[12:13], v[20:21]
	s_waitcnt vmcnt(52) lgkmcnt(6)
	v_mul_f64 v[54:55], v[42:43], v[164:165]
	s_waitcnt vmcnt(50)
	v_fmac_f64_e32 v[54:55], v[44:45], v[166:167]
	v_add_f64 v[12:13], v[12:13], v[54:55]
	s_waitcnt vmcnt(49) lgkmcnt(5)
	v_mul_f64 v[54:55], v[46:47], v[158:159]
	v_mul_f64 v[20:21], v[234:235], v[102:103]
	s_waitcnt vmcnt(48)
	v_fmac_f64_e32 v[54:55], v[48:49], v[160:161]
	v_fma_f64 v[20:21], v[232:233], v[104:105], -v[20:21]
	v_add_f64 v[12:13], v[12:13], v[54:55]
	ds_read_b128 v[232:235], v154 offset:1648
	s_waitcnt vmcnt(46) lgkmcnt(5)
	v_mul_f64 v[54:55], v[50:51], v[168:169]
	s_waitcnt vmcnt(44)
	v_fmac_f64_e32 v[54:55], v[52:53], v[22:23]
	v_add_f64 v[12:13], v[12:13], v[54:55]
	ds_read_b128 v[54:57], v154 offset:1632
	s_waitcnt vmcnt(42) lgkmcnt(0)
	v_mul_f64 v[66:67], v[54:55], v[174:175]
	s_waitcnt vmcnt(40)
	v_fmac_f64_e32 v[66:67], v[56:57], v[176:177]
	v_add_f64 v[12:13], v[12:13], v[66:67]
	s_waitcnt vmcnt(36)
	v_mul_f64 v[66:67], v[232:233], v[180:181]
	s_waitcnt vmcnt(34)
	v_fmac_f64_e32 v[66:67], v[234:235], v[182:183]
	v_add_f64 v[12:13], v[12:13], v[66:67]
	v_mul_f64 v[66:67], v[62:63], v[172:173]
	s_waitcnt vmcnt(32)
	v_fmac_f64_e32 v[66:67], v[64:65], v[178:179]
	v_add_f64 v[12:13], v[12:13], v[66:67]
	ds_read_b128 v[66:69], v154 offset:1680
	s_waitcnt vmcnt(25)
	v_mul_f64 v[78:79], v[70:71], v[186:187]
	s_waitcnt vmcnt(24)
	v_fmac_f64_e32 v[78:79], v[72:73], v[188:189]
	s_waitcnt lgkmcnt(0)
	v_mul_f64 v[74:75], v[66:67], v[184:185]
	v_fmac_f64_e32 v[74:75], v[68:69], v[190:191]
	v_add_f64 v[12:13], v[12:13], v[74:75]
	v_mul_f64 v[74:75], v[120:121], v[216:217]
	v_fma_f64 v[118:119], v[118:119], v[218:219], -v[74:75]
	ds_read_b128 v[74:77], v154 offset:1712
	v_add_f64 v[12:13], v[12:13], v[78:79]
	ds_read_b128 v[78:81], v154 offset:1728
	v_fma_f64 v[120:121], v[58:59], v[110:111], -v[60:61]
	ds_read_b128 v[58:61], v154 offset:1744
	s_waitcnt vmcnt(21) lgkmcnt(2)
	v_mul_f64 v[90:91], v[74:75], v[194:195]
	s_waitcnt vmcnt(19)
	v_fmac_f64_e32 v[90:91], v[76:77], v[200:201]
	v_add_f64 v[12:13], v[12:13], v[90:91]
	s_waitcnt vmcnt(18) lgkmcnt(1)
	v_mul_f64 v[90:91], v[78:79], v[192:193]
	s_waitcnt vmcnt(16)
	v_fmac_f64_e32 v[90:91], v[80:81], v[198:199]
	v_add_f64 v[12:13], v[12:13], v[90:91]
	ds_read_b128 v[90:93], v154 offset:1760
	s_waitcnt vmcnt(14) lgkmcnt(1)
	v_mul_f64 v[98:99], v[58:59], v[196:197]
	buffer_load_dword v217, off, s[0:3], 0 offset:892
	buffer_load_dword v216, off, s[0:3], 0 offset:888
	;; [unrolled: 1-line block ×4, first 2 shown]
	s_waitcnt vmcnt(16)
	v_fmac_f64_e32 v[98:99], v[60:61], v[202:203]
	v_add_f64 v[12:13], v[12:13], v[98:99]
	ds_read_b128 v[98:101], v154 offset:1808
	buffer_load_dword v220, off, s[0:3], 0 offset:904
	buffer_load_dword v221, off, s[0:3], 0 offset:908
	buffer_load_dword v222, off, s[0:3], 0 offset:896
	buffer_load_dword v223, off, s[0:3], 0 offset:900
	ds_read_b128 v[102:105], v154 offset:1824
	buffer_load_dword v225, off, s[0:3], 0 offset:924
	buffer_load_dword v224, off, s[0:3], 0 offset:920
	buffer_load_dword v227, off, s[0:3], 0 offset:916
	buffer_load_dword v226, off, s[0:3], 0 offset:912
	;; [unrolled: 5-line block ×4, first 2 shown]
	s_waitcnt vmcnt(30) lgkmcnt(4)
	v_mul_f64 v[96:97], v[90:91], v[206:207]
	s_waitcnt vmcnt(28)
	v_fmac_f64_e32 v[96:97], v[92:93], v[208:209]
	v_add_f64 v[12:13], v[12:13], v[96:97]
	s_waitcnt vmcnt(25)
	v_mul_f64 v[96:97], v[82:83], v[212:213]
	s_waitcnt vmcnt(23)
	v_fmac_f64_e32 v[96:97], v[84:85], v[214:215]
	v_add_f64 v[12:13], v[12:13], v[96:97]
	s_waitcnt vmcnt(21)
	v_mul_f64 v[96:97], v[86:87], v[144:145]
	s_waitcnt vmcnt(20)
	v_fmac_f64_e32 v[96:97], v[88:89], v[210:211]
	v_add_f64 v[12:13], v[12:13], v[96:97]
	ds_read_b128 v[114:117], v154 offset:1872
	s_waitcnt vmcnt(18) lgkmcnt(4)
	v_mul_f64 v[96:97], v[98:99], v[216:217]
	s_waitcnt vmcnt(16)
	v_fmac_f64_e32 v[96:97], v[100:101], v[218:219]
	v_add_f64 v[12:13], v[12:13], v[96:97]
	s_waitcnt vmcnt(14) lgkmcnt(3)
	v_mul_f64 v[96:97], v[102:103], v[220:221]
	s_waitcnt vmcnt(12)
	v_fmac_f64_e32 v[96:97], v[104:105], v[222:223]
	v_add_f64 v[12:13], v[12:13], v[96:97]
	;; [unrolled: 5-line block ×5, first 2 shown]
	v_add_f64 v[96:97], v[122:123], 0
	v_add_f64 v[18:19], v[96:97], v[18:19]
	v_add_f64 v[18:19], v[18:19], v[170:171]
	v_add_f64 v[14:15], v[18:19], v[14:15]
	v_add_f64 v[10:11], v[14:15], v[10:11]
	v_add_f64 v[8:9], v[10:11], v[8:9]
	v_add_f64 v[6:7], v[8:9], v[6:7]
	v_add_f64 v[6:7], v[6:7], v[16:17]
	v_add_f64 v[4:5], v[6:7], v[4:5]
	v_add_f64 v[4:5], v[4:5], v[94:95]
	v_add_f64 v[2:3], v[4:5], v[2:3]
	v_add_f64 v[2:3], v[2:3], v[24:25]
	v_add_f64 v[2:3], v[2:3], v[204:205]
	v_add_f64 v[0:1], v[2:3], v[0:1]
	v_add_f64 v[0:1], v[0:1], v[20:21]
	v_add_f64 v[0:1], v[0:1], v[228:229]
	v_add_f64 v[0:1], v[0:1], v[240:241]
	v_add_f64 v[0:1], v[0:1], v[246:247]
	v_add_f64 v[0:1], v[0:1], v[248:249]
	buffer_load_dword v248, off, s[0:3], 0 offset:112
	buffer_load_dword v249, off, s[0:3], 0 offset:116
	buffer_load_dword v246, off, s[0:3], 0 offset:120
	buffer_load_dword v247, off, s[0:3], 0 offset:124
	v_accvgpr_read_b32 v4, a178
	v_add_f64 v[0:1], v[0:1], v[118:119]
	v_accvgpr_read_b32 v6, a180
	v_accvgpr_read_b32 v7, a181
	v_add_f64 v[118:119], v[0:1], v[120:121]
	v_mul_f64 v[2:3], v[6:7], v[156:157]
	v_accvgpr_read_b32 v6, a182
	v_add_f64 v[0:1], v[118:119], v[250:251]
	v_accvgpr_read_b32 v5, a179
	v_accvgpr_read_b32 v7, a183
	v_add_f64 v[0:1], v[0:1], v[252:253]
	v_fma_f64 v[2:3], v[4:5], v[6:7], -v[2:3]
	v_add_f64 v[0:1], v[0:1], v[2:3]
	v_accvgpr_read_b32 v2, a184
	v_accvgpr_read_b32 v3, a185
	v_accvgpr_read_b32 v4, a186
	v_mul_f64 v[2:3], v[140:141], v[2:3]
	v_accvgpr_read_b32 v5, a187
	v_fma_f64 v[2:3], v[138:139], v[4:5], -v[2:3]
	v_add_f64 v[0:1], v[0:1], v[2:3]
	v_accvgpr_read_b32 v2, a188
	v_accvgpr_read_b32 v3, a189
	v_accvgpr_read_b32 v4, a190
	v_mul_f64 v[2:3], v[136:137], v[2:3]
	v_accvgpr_read_b32 v5, a191
	;; [unrolled: 7-line block ×5, first 2 shown]
	v_fma_f64 v[2:3], v[150:151], v[4:5], -v[2:3]
	v_add_f64 v[0:1], v[0:1], v[2:3]
	v_accvgpr_read_b32 v2, a204
	v_accvgpr_read_b32 v3, a205
	v_mul_f64 v[2:3], v[28:29], v[2:3]
	v_fma_f64 v[2:3], v[26:27], v[148:149], -v[2:3]
	v_add_f64 v[0:1], v[0:1], v[2:3]
	v_mul_f64 v[2:3], v[32:33], v[230:231]
	v_fma_f64 v[2:3], v[30:31], v[254:255], -v[2:3]
	v_add_f64 v[0:1], v[0:1], v[2:3]
	;; [unrolled: 3-line block ×23, first 2 shown]
	v_accvgpr_read_b32 v139, a176
	s_waitcnt vmcnt(2)
	v_add_f64 v[0:1], v[248:249], -v[0:1]
	v_cmp_lt_u32_e32 vcc, 5, v139
	s_waitcnt vmcnt(0)
	v_add_f64 v[2:3], v[246:247], -v[12:13]
	buffer_store_dword v1, off, s[0:3], 0 offset:116
	buffer_store_dword v0, off, s[0:3], 0 offset:112
	;; [unrolled: 1-line block ×4, first 2 shown]
	s_and_saveexec_b64 s[4:5], vcc
	s_cbranch_execz .LBB58_357
; %bb.356:
	v_accvgpr_read_b32 v0, a171
	buffer_load_dword v2, v0, s[0:3], 0 offen
	buffer_load_dword v3, v0, s[0:3], 0 offen offset:4
	buffer_load_dword v4, v0, s[0:3], 0 offen offset:8
	;; [unrolled: 1-line block ×3, first 2 shown]
	v_mov_b32_e32 v0, 0
	v_accvgpr_read_b32 v1, a177
	buffer_store_dword v0, off, s[0:3], 0 offset:96
	buffer_store_dword v0, off, s[0:3], 0 offset:100
	;; [unrolled: 1-line block ×4, first 2 shown]
	s_waitcnt vmcnt(4)
	ds_write_b128 v1, v[2:5]
.LBB58_357:
	s_or_b64 exec, exec, s[4:5]
	s_waitcnt lgkmcnt(0)
	; wave barrier
	s_waitcnt lgkmcnt(0)
	buffer_load_dword v132, off, s[0:3], 0 offset:112
	buffer_load_dword v133, off, s[0:3], 0 offset:116
	;; [unrolled: 1-line block ×36, first 2 shown]
	v_mov_b32_e32 v138, 0
	buffer_load_dword v55, off, s[0:3], 0 offset:284
	buffer_load_dword v54, off, s[0:3], 0 offset:280
	;; [unrolled: 1-line block ×18, first 2 shown]
	ds_read_b128 v[22:25], v138 offset:1040
	ds_read_b128 v[110:113], v138 offset:1056
	ds_read_b128 v[114:117], v138 offset:1072
	ds_read_b128 v[162:165], v138 offset:1088
	ds_read_b128 v[166:169], v138 offset:1104
	ds_read_b128 v[170:173], v138 offset:1120
	ds_read_b128 v[174:177], v138 offset:1136
	ds_read_b128 v[178:181], v138 offset:1152
	ds_read_b128 v[182:185], v138 offset:1168
	v_cmp_lt_u32_e32 vcc, 4, v139
	s_waitcnt vmcnt(50) lgkmcnt(8)
	v_mul_f64 v[0:1], v[22:23], v[16:17]
	v_fmac_f64_e32 v[0:1], v[24:25], v[132:133]
	v_add_f64 v[0:1], v[0:1], 0
	v_mul_f64 v[16:17], v[24:25], v[16:17]
	s_waitcnt vmcnt(46) lgkmcnt(7)
	v_mul_f64 v[2:3], v[110:111], v[20:21]
	v_fmac_f64_e32 v[2:3], v[112:113], v[140:141]
	v_add_f64 v[0:1], v[0:1], v[2:3]
	buffer_load_dword v109, off, s[0:3], 0 offset:340
	buffer_load_dword v108, off, s[0:3], 0 offset:336
	;; [unrolled: 1-line block ×40, first 2 shown]
	s_waitcnt vmcnt(62) lgkmcnt(6)
	v_mul_f64 v[4:5], v[114:115], v[26:27]
	s_waitcnt lgkmcnt(4)
	v_mul_f64 v[8:9], v[166:167], v[30:31]
	v_fmac_f64_e32 v[8:9], v[168:169], v[32:33]
	v_mul_f64 v[26:27], v[116:117], v[26:27]
	v_mul_f64 v[6:7], v[162:163], v[28:29]
	;; [unrolled: 1-line block ×3, first 2 shown]
	s_waitcnt lgkmcnt(2)
	v_mul_f64 v[12:13], v[174:175], v[44:45]
	v_fma_f64 v[252:253], v[110:111], v[140:141], -v[20:21]
	v_fmac_f64_e32 v[12:13], v[176:177], v[46:47]
	v_mul_f64 v[30:31], v[168:169], v[30:31]
	v_mul_f64 v[10:11], v[170:171], v[34:35]
	;; [unrolled: 1-line block ×3, first 2 shown]
	s_waitcnt lgkmcnt(1)
	v_mul_f64 v[118:119], v[178:179], v[42:43]
	v_mul_f64 v[42:43], v[180:181], v[42:43]
	v_fmac_f64_e32 v[4:5], v[116:117], v[40:41]
	v_add_f64 v[0:1], v[0:1], v[4:5]
	v_fmac_f64_e32 v[6:7], v[164:165], v[38:39]
	v_add_f64 v[0:1], v[0:1], v[6:7]
	v_add_f64 v[0:1], v[0:1], v[8:9]
	v_fmac_f64_e32 v[10:11], v[172:173], v[36:37]
	v_add_f64 v[0:1], v[0:1], v[10:11]
	;; [unrolled: 3-line block ×3, first 2 shown]
	v_fma_f64 v[254:255], v[114:115], v[40:41], -v[26:27]
	v_fma_f64 v[110:111], v[170:171], v[36:37], -v[34:35]
	s_waitcnt vmcnt(0)
	v_pk_mov_b32 v[4:5], v[2:3], v[2:3] op_sel:[0,1]
	buffer_load_dword v3, off, s[0:3], 0 offset:500
	buffer_load_dword v2, off, s[0:3], 0 offset:496
	v_accvgpr_write_b32 a187, v5
	v_accvgpr_write_b32 a186, v4
	s_waitcnt vmcnt(0)
	v_pk_mov_b32 v[6:7], v[2:3], v[2:3] op_sel:[0,1]
	buffer_load_dword v91, off, s[0:3], 0 offset:492
	buffer_load_dword v90, off, s[0:3], 0 offset:488
	;; [unrolled: 1-line block ×6, first 2 shown]
	v_accvgpr_write_b32 a189, v7
	v_accvgpr_write_b32 a188, v6
	s_waitcnt vmcnt(0)
	v_pk_mov_b32 v[8:9], v[2:3], v[2:3] op_sel:[0,1]
	buffer_load_dword v3, off, s[0:3], 0 offset:532
	buffer_load_dword v2, off, s[0:3], 0 offset:528
	v_accvgpr_write_b32 a195, v9
	v_accvgpr_write_b32 a194, v8
	s_waitcnt vmcnt(0)
	v_pk_mov_b32 v[12:13], v[2:3], v[2:3] op_sel:[0,1]
	buffer_load_dword v3, off, s[0:3], 0 offset:524
	buffer_load_dword v2, off, s[0:3], 0 offset:520
	;; [unrolled: 6-line block ×7, first 2 shown]
	ds_read_b128 v[186:189], v138 offset:1184
	ds_read_b128 v[190:193], v138 offset:1200
	;; [unrolled: 1-line block ×9, first 2 shown]
	buffer_load_dword v19, off, s[0:3], 0 offset:588
	buffer_load_dword v18, off, s[0:3], 0 offset:584
	;; [unrolled: 1-line block ×4, first 2 shown]
	ds_read_b128 v[224:227], v138 offset:1328
	buffer_load_dword v229, off, s[0:3], 0 offset:604
	buffer_load_dword v228, off, s[0:3], 0 offset:600
	;; [unrolled: 1-line block ×12, first 2 shown]
	ds_read_b128 v[230:233], v138 offset:1344
	ds_read_b128 v[234:237], v138 offset:1360
	;; [unrolled: 1-line block ×7, first 2 shown]
	v_accvgpr_write_b32 a199, v129
	v_accvgpr_write_b32 a198, v128
	ds_read_b128 v[156:159], v138 offset:1488
	s_waitcnt lgkmcnt(2)
	v_accvgpr_write_b32 a181, v147
	v_accvgpr_write_b32 a180, v146
	;; [unrolled: 1-line block ×4, first 2 shown]
	s_waitcnt lgkmcnt(0)
	v_mul_f64 v[26:27], v[156:157], v[120:121]
	v_fmac_f64_e32 v[26:27], v[158:159], v[122:123]
	s_waitcnt vmcnt(16)
	v_pk_mov_b32 v[130:131], v[2:3], v[2:3] op_sel:[0,1]
	v_mul_f64 v[2:3], v[182:183], v[48:49]
	v_fmac_f64_e32 v[2:3], v[184:185], v[52:53]
	v_add_f64 v[0:1], v[0:1], v[2:3]
	v_mul_f64 v[2:3], v[186:187], v[58:59]
	v_fmac_f64_e32 v[2:3], v[188:189], v[60:61]
	v_add_f64 v[0:1], v[0:1], v[2:3]
	;; [unrolled: 3-line block ×14, first 2 shown]
	v_mul_f64 v[2:3], v[242:243], v[86:87]
	s_waitcnt vmcnt(0)
	v_pk_mov_b32 v[152:153], v[10:11], v[10:11] op_sel:[0,1]
	v_fmac_f64_e32 v[2:3], v[244:245], v[88:89]
	v_mul_f64 v[10:11], v[246:247], v[90:91]
	v_add_f64 v[0:1], v[0:1], v[2:3]
	v_fmac_f64_e32 v[10:11], v[248:249], v[92:93]
	v_add_f64 v[0:1], v[0:1], v[10:11]
	v_mul_f64 v[10:11], v[144:145], v[4:5]
	v_fmac_f64_e32 v[10:11], v[146:147], v[6:7]
	ds_read_b128 v[144:147], v138 offset:1456
	v_add_f64 v[0:1], v[0:1], v[10:11]
	v_mul_f64 v[10:11], v[148:149], v[124:125]
	v_accvgpr_write_b32 a185, v151
	v_fmac_f64_e32 v[10:11], v[150:151], v[126:127]
	v_accvgpr_write_b32 a184, v150
	v_accvgpr_write_b32 a183, v149
	;; [unrolled: 1-line block ×3, first 2 shown]
	ds_read_b128 v[148:151], v138 offset:1472
	v_fma_f64 v[124:125], v[22:23], v[132:133], -v[16:17]
	s_waitcnt lgkmcnt(1)
	v_mul_f64 v[22:23], v[144:145], v[8:9]
	v_add_f64 v[0:1], v[0:1], v[10:11]
	v_fmac_f64_e32 v[22:23], v[146:147], v[12:13]
	v_add_f64 v[0:1], v[0:1], v[22:23]
	s_waitcnt lgkmcnt(0)
	v_mul_f64 v[22:23], v[148:149], v[128:129]
	v_fmac_f64_e32 v[22:23], v[150:151], v[130:131]
	v_accvgpr_write_b32 a201, v131
	v_add_f64 v[0:1], v[0:1], v[22:23]
	v_accvgpr_write_b32 a200, v130
	ds_read_b128 v[130:133], v138 offset:1504
	buffer_load_dword v161, off, s[0:3], 0 offset:652
	buffer_load_dword v160, off, s[0:3], 0 offset:648
	v_add_f64 v[0:1], v[0:1], v[26:27]
	v_mul_f64 v[26:27], v[164:165], v[28:29]
	buffer_load_dword v134, off, s[0:3], 0 offset:664
	buffer_load_dword v140, off, s[0:3], 0 offset:656
	v_fma_f64 v[40:41], v[162:163], v[38:39], -v[26:27]
	buffer_load_dword v163, off, s[0:3], 0 offset:644
	buffer_load_dword v162, off, s[0:3], 0 offset:640
	;; [unrolled: 1-line block ×4, first 2 shown]
	s_waitcnt lgkmcnt(0)
	v_mul_f64 v[26:27], v[130:131], v[18:19]
	ds_read_b128 v[126:129], v138 offset:1520
	ds_read_b128 v[120:123], v138 offset:1536
	v_fmac_f64_e32 v[26:27], v[132:133], v[14:15]
	v_add_f64 v[0:1], v[0:1], v[26:27]
	v_fma_f64 v[164:165], v[166:167], v[32:33], -v[30:31]
	ds_read_b128 v[34:37], v138 offset:1552
	ds_read_b128 v[30:33], v138 offset:1568
	buffer_load_dword v27, off, s[0:3], 0 offset:684
	buffer_load_dword v26, off, s[0:3], 0 offset:680
	;; [unrolled: 1-line block ×6, first 2 shown]
	s_waitcnt lgkmcnt(3)
	v_mul_f64 v[38:39], v[126:127], v[228:229]
	v_fmac_f64_e32 v[38:39], v[128:129], v[154:155]
	buffer_load_dword v173, off, s[0:3], 0 offset:692
	buffer_load_dword v172, off, s[0:3], 0 offset:688
	;; [unrolled: 1-line block ×3, first 2 shown]
	v_add_f64 v[0:1], v[0:1], v[38:39]
	s_waitcnt lgkmcnt(2)
	v_mul_f64 v[38:39], v[120:121], v[136:137]
	v_fmac_f64_e32 v[38:39], v[122:123], v[118:119]
	v_add_f64 v[0:1], v[0:1], v[38:39]
	s_waitcnt lgkmcnt(1)
	v_mul_f64 v[38:39], v[34:35], v[142:143]
	v_fmac_f64_e32 v[38:39], v[36:37], v[152:153]
	v_add_f64 v[112:113], v[0:1], v[38:39]
	v_mul_f64 v[0:1], v[176:177], v[44:45]
	v_fma_f64 v[24:25], v[174:175], v[46:47], -v[0:1]
	v_fma_f64 v[22:23], v[178:179], v[50:51], -v[42:43]
	buffer_load_dword v177, off, s[0:3], 0 offset:716
	buffer_load_dword v176, off, s[0:3], 0 offset:712
	;; [unrolled: 1-line block ×8, first 2 shown]
	v_mul_f64 v[42:43], v[184:185], v[48:49]
	v_accvgpr_write_b32 a207, v19
	v_fma_f64 v[20:21], v[182:183], v[52:53], -v[42:43]
	v_mul_f64 v[42:43], v[188:189], v[58:59]
	v_accvgpr_write_b32 a206, v18
	v_fma_f64 v[18:19], v[186:187], v[60:61], -v[42:43]
	buffer_load_dword v185, off, s[0:3], 0 offset:748
	buffer_load_dword v184, off, s[0:3], 0 offset:744
	;; [unrolled: 1-line block ×7, first 2 shown]
	v_accvgpr_write_b32 a209, v15
	v_mul_f64 v[42:43], v[192:193], v[54:55]
	v_accvgpr_write_b32 a208, v14
	v_fma_f64 v[14:15], v[190:191], v[56:57], -v[42:43]
	buffer_load_dword v189, off, s[0:3], 0 offset:780
	buffer_load_dword v188, off, s[0:3], 0 offset:776
	;; [unrolled: 1-line block ×4, first 2 shown]
	v_mul_f64 v[42:43], v[196:197], v[96:97]
	v_mul_f64 v[16:17], v[200:201], v[64:65]
	v_fma_f64 v[12:13], v[194:195], v[98:99], -v[42:43]
	v_fma_f64 v[16:17], v[198:199], v[66:67], -v[16:17]
	buffer_load_dword v193, off, s[0:3], 0 offset:796
	buffer_load_dword v192, off, s[0:3], 0 offset:792
	;; [unrolled: 1-line block ×8, first 2 shown]
	v_mul_f64 v[42:43], v[204:205], v[210:211]
	v_fma_f64 v[250:251], v[202:203], v[250:251], -v[42:43]
	buffer_load_dword v203, off, s[0:3], 0 offset:828
	buffer_load_dword v202, off, s[0:3], 0 offset:824
	;; [unrolled: 1-line block ×4, first 2 shown]
	v_mul_f64 v[42:43], v[208:209], v[62:63]
	v_fma_f64 v[10:11], v[206:207], v[108:109], -v[42:43]
	buffer_load_dword v200, off, s[0:3], 0 offset:856
	buffer_load_dword v209, off, s[0:3], 0 offset:844
	;; [unrolled: 1-line block ×8, first 2 shown]
	v_mul_f64 v[48:49], v[214:215], v[104:105]
	ds_read_b128 v[42:45], v138 offset:1584
	v_fma_f64 v[8:9], v[212:213], v[106:107], -v[48:49]
	buffer_load_dword v213, off, s[0:3], 0 offset:876
	buffer_load_dword v212, off, s[0:3], 0 offset:872
	;; [unrolled: 1-line block ×4, first 2 shown]
	v_mul_f64 v[50:51], v[218:219], v[84:85]
	v_mul_f64 v[62:63], v[226:227], v[68:69]
	v_fma_f64 v[4:5], v[224:225], v[70:71], -v[62:63]
	ds_read_b128 v[62:65], v138 offset:1664
	v_mul_f64 v[74:75], v[236:237], v[74:75]
	v_fma_f64 v[234:235], v[234:235], v[76:77], -v[74:75]
	v_mul_f64 v[78:79], v[240:241], v[78:79]
	ds_read_b128 v[74:77], v138 offset:1712
	v_fma_f64 v[0:1], v[238:239], v[80:81], -v[78:79]
	ds_read_b128 v[78:81], v138 offset:1728
	v_accvgpr_write_b32 a211, v155
	v_accvgpr_write_b32 a210, v154
	v_pk_mov_b32 v[154:155], v[118:119], v[118:119] op_sel:[0,1]
	v_add_f64 v[118:119], v[124:125], 0
	v_add_f64 v[118:119], v[118:119], v[252:253]
	v_add_f64 v[118:119], v[118:119], v[254:255]
	v_add_f64 v[40:41], v[118:119], v[40:41]
	v_add_f64 v[40:41], v[40:41], v[164:165]
	v_add_f64 v[40:41], v[40:41], v[110:111]
	v_add_f64 v[24:25], v[40:41], v[24:25]
	v_add_f64 v[22:23], v[24:25], v[22:23]
	v_add_f64 v[20:21], v[22:23], v[20:21]
	v_add_f64 v[18:19], v[20:21], v[18:19]
	s_waitcnt vmcnt(58) lgkmcnt(4)
	v_mul_f64 v[46:47], v[30:31], v[160:161]
	v_add_f64 v[14:15], v[18:19], v[14:15]
	v_add_f64 v[12:13], v[14:15], v[12:13]
	;; [unrolled: 1-line block ×3, first 2 shown]
	s_waitcnt vmcnt(54)
	v_fmac_f64_e32 v[46:47], v[32:33], v[162:163]
	s_waitcnt vmcnt(53) lgkmcnt(3)
	v_mul_f64 v[48:49], v[42:43], v[134:135]
	v_add_f64 v[46:47], v[112:113], v[46:47]
	s_waitcnt vmcnt(52)
	v_fmac_f64_e32 v[48:49], v[44:45], v[140:141]
	v_add_f64 v[54:55], v[46:47], v[48:49]
	ds_read_b128 v[46:49], v138 offset:1600
	v_fma_f64 v[112:113], v[216:217], v[94:95], -v[50:51]
	ds_read_b128 v[50:53], v138 offset:1616
	v_add_f64 v[12:13], v[12:13], v[250:251]
	v_add_f64 v[10:11], v[12:13], v[10:11]
	s_waitcnt vmcnt(50) lgkmcnt(1)
	v_mul_f64 v[56:57], v[46:47], v[26:27]
	s_waitcnt vmcnt(48)
	v_fmac_f64_e32 v[56:57], v[48:49], v[170:171]
	v_add_f64 v[58:59], v[54:55], v[56:57]
	v_mul_f64 v[54:55], v[222:223], v[100:101]
	v_fma_f64 v[6:7], v[220:221], v[102:103], -v[54:55]
	ds_read_b128 v[54:57], v138 offset:1632
	s_waitcnt vmcnt(46) lgkmcnt(1)
	v_mul_f64 v[60:61], v[50:51], v[168:169]
	s_waitcnt vmcnt(44)
	v_fmac_f64_e32 v[60:61], v[52:53], v[172:173]
	v_add_f64 v[66:67], v[58:59], v[60:61]
	ds_read_b128 v[58:61], v138 offset:1648
	s_waitcnt vmcnt(41) lgkmcnt(1)
	v_mul_f64 v[68:69], v[54:55], v[176:177]
	s_waitcnt vmcnt(39)
	v_fmac_f64_e32 v[68:69], v[56:57], v[180:181]
	v_add_f64 v[70:71], v[66:67], v[68:69]
	v_mul_f64 v[66:67], v[232:233], v[72:73]
	v_fma_f64 v[2:3], v[230:231], v[82:83], -v[66:67]
	ds_read_b128 v[66:69], v138 offset:1680
	s_waitcnt vmcnt(38) lgkmcnt(1)
	v_mul_f64 v[84:85], v[58:59], v[166:167]
	s_waitcnt vmcnt(36)
	v_fmac_f64_e32 v[84:85], v[60:61], v[178:179]
	v_add_f64 v[28:29], v[70:71], v[84:85]
	s_waitcnt vmcnt(33)
	v_mul_f64 v[70:71], v[62:63], v[184:185]
	s_waitcnt vmcnt(31)
	v_fmac_f64_e32 v[70:71], v[64:65], v[186:187]
	v_add_f64 v[28:29], v[28:29], v[70:71]
	s_waitcnt vmcnt(29) lgkmcnt(0)
	v_mul_f64 v[70:71], v[66:67], v[174:175]
	s_waitcnt vmcnt(28)
	v_fmac_f64_e32 v[70:71], v[68:69], v[182:183]
	v_add_f64 v[28:29], v[28:29], v[70:71]
	ds_read_b128 v[70:73], v138 offset:1696
	s_waitcnt vmcnt(22)
	v_mul_f64 v[38:39], v[74:75], v[192:193]
	v_add_f64 v[8:9], v[10:11], v[8:9]
	s_waitcnt vmcnt(20)
	v_fmac_f64_e32 v[38:39], v[76:77], v[196:197]
	v_add_f64 v[8:9], v[8:9], v[112:113]
	s_waitcnt lgkmcnt(0)
	v_mul_f64 v[82:83], v[70:71], v[188:189]
	v_fmac_f64_e32 v[82:83], v[72:73], v[190:191]
	v_add_f64 v[28:29], v[28:29], v[82:83]
	v_add_f64 v[28:29], v[28:29], v[38:39]
	ds_read_b128 v[82:85], v138 offset:1744
	s_waitcnt vmcnt(18)
	v_mul_f64 v[38:39], v[78:79], v[194:195]
	s_waitcnt vmcnt(16)
	v_fmac_f64_e32 v[38:39], v[80:81], v[198:199]
	v_add_f64 v[38:39], v[28:29], v[38:39]
	v_mul_f64 v[28:29], v[244:245], v[86:87]
	v_fma_f64 v[240:241], v[242:243], v[88:89], -v[28:29]
	ds_read_b128 v[86:89], v138 offset:1760
	v_mul_f64 v[28:29], v[248:249], v[90:91]
	v_fma_f64 v[28:29], v[246:247], v[92:93], -v[28:29]
	ds_read_b128 v[90:93], v138 offset:1776
	s_waitcnt vmcnt(14) lgkmcnt(2)
	v_mul_f64 v[94:95], v[82:83], v[202:203]
	s_waitcnt vmcnt(12)
	v_fmac_f64_e32 v[94:95], v[84:85], v[204:205]
	v_add_f64 v[38:39], v[38:39], v[94:95]
	s_waitcnt vmcnt(9) lgkmcnt(1)
	v_mul_f64 v[94:95], v[86:87], v[208:209]
	s_waitcnt vmcnt(7)
	v_fmac_f64_e32 v[94:95], v[88:89], v[210:211]
	v_add_f64 v[38:39], v[38:39], v[94:95]
	;; [unrolled: 5-line block ×3, first 2 shown]
	ds_read_b128 v[94:97], v138 offset:1792
	buffer_load_dword v216, off, s[0:3], 0 offset:888
	buffer_load_dword v217, off, s[0:3], 0 offset:892
	buffer_load_dword v218, off, s[0:3], 0 offset:880
	buffer_load_dword v219, off, s[0:3], 0 offset:884
	v_add_f64 v[6:7], v[8:9], v[6:7]
	v_add_f64 v[4:5], v[6:7], v[4:5]
	;; [unrolled: 1-line block ×3, first 2 shown]
	s_waitcnt vmcnt(6) lgkmcnt(0)
	v_mul_f64 v[98:99], v[94:95], v[212:213]
	s_waitcnt vmcnt(4)
	v_fmac_f64_e32 v[98:99], v[96:97], v[214:215]
	v_add_f64 v[38:39], v[38:39], v[98:99]
	ds_read_b128 v[98:101], v138 offset:1808
	buffer_load_dword v221, off, s[0:3], 0 offset:908
	buffer_load_dword v220, off, s[0:3], 0 offset:904
	;; [unrolled: 1-line block ×4, first 2 shown]
	v_add_f64 v[2:3], v[2:3], v[234:235]
	v_add_f64 v[0:1], v[2:3], v[0:1]
	v_accvgpr_read_b32 v4, a178
	v_accvgpr_read_b32 v2, a186
	;; [unrolled: 1-line block ×5, first 2 shown]
	v_mul_f64 v[2:3], v[6:7], v[2:3]
	v_accvgpr_read_b32 v6, a188
	v_add_f64 v[252:253], v[0:1], v[240:241]
	v_accvgpr_read_b32 v5, a179
	v_accvgpr_read_b32 v7, a189
	v_add_f64 v[0:1], v[252:253], v[28:29]
	v_fma_f64 v[2:3], v[4:5], v[6:7], -v[2:3]
	v_add_f64 v[0:1], v[0:1], v[2:3]
	v_accvgpr_read_b32 v4, a182
	v_accvgpr_read_b32 v2, a190
	;; [unrolled: 1-line block ×5, first 2 shown]
	v_mul_f64 v[2:3], v[6:7], v[2:3]
	v_accvgpr_read_b32 v6, a192
	v_accvgpr_read_b32 v5, a183
	;; [unrolled: 1-line block ×3, first 2 shown]
	v_fma_f64 v[2:3], v[4:5], v[6:7], -v[2:3]
	v_add_f64 v[0:1], v[0:1], v[2:3]
	v_accvgpr_read_b32 v2, a194
	v_accvgpr_read_b32 v3, a195
	v_accvgpr_read_b32 v4, a196
	v_mul_f64 v[2:3], v[146:147], v[2:3]
	v_accvgpr_read_b32 v5, a197
	v_fma_f64 v[2:3], v[144:145], v[4:5], -v[2:3]
	v_add_f64 v[0:1], v[0:1], v[2:3]
	v_accvgpr_read_b32 v2, a198
	v_accvgpr_read_b32 v3, a199
	v_accvgpr_read_b32 v4, a200
	v_mul_f64 v[2:3], v[150:151], v[2:3]
	v_accvgpr_read_b32 v5, a201
	;; [unrolled: 7-line block ×4, first 2 shown]
	v_fma_f64 v[2:3], v[130:131], v[4:5], -v[2:3]
	v_accvgpr_read_b32 v4, a210
	v_add_f64 v[0:1], v[0:1], v[2:3]
	v_mul_f64 v[2:3], v[128:129], v[228:229]
	v_accvgpr_read_b32 v5, a211
	v_fma_f64 v[2:3], v[126:127], v[4:5], -v[2:3]
	v_add_f64 v[0:1], v[0:1], v[2:3]
	v_mul_f64 v[2:3], v[122:123], v[136:137]
	v_fma_f64 v[2:3], v[120:121], v[154:155], -v[2:3]
	v_add_f64 v[0:1], v[0:1], v[2:3]
	v_mul_f64 v[2:3], v[36:37], v[142:143]
	v_fma_f64 v[2:3], v[34:35], v[152:153], -v[2:3]
	v_add_f64 v[0:1], v[0:1], v[2:3]
	v_mul_f64 v[2:3], v[32:33], v[160:161]
	v_fma_f64 v[2:3], v[30:31], v[162:163], -v[2:3]
	v_add_f64 v[0:1], v[0:1], v[2:3]
	v_mul_f64 v[2:3], v[44:45], v[134:135]
	s_waitcnt vmcnt(6) lgkmcnt(0)
	v_mul_f64 v[102:103], v[98:99], v[216:217]
	v_fma_f64 v[2:3], v[42:43], v[140:141], -v[2:3]
	s_waitcnt vmcnt(4)
	v_fmac_f64_e32 v[102:103], v[100:101], v[218:219]
	v_add_f64 v[38:39], v[38:39], v[102:103]
	ds_read_b128 v[102:105], v138 offset:1824
	buffer_load_dword v224, off, s[0:3], 0 offset:920
	buffer_load_dword v225, off, s[0:3], 0 offset:924
	buffer_load_dword v226, off, s[0:3], 0 offset:912
	buffer_load_dword v227, off, s[0:3], 0 offset:916
	v_add_f64 v[0:1], v[0:1], v[2:3]
	v_mul_f64 v[2:3], v[48:49], v[26:27]
	v_fma_f64 v[2:3], v[46:47], v[170:171], -v[2:3]
	s_waitcnt vmcnt(6) lgkmcnt(0)
	v_mul_f64 v[106:107], v[102:103], v[220:221]
	s_waitcnt vmcnt(4)
	v_fmac_f64_e32 v[106:107], v[104:105], v[222:223]
	v_add_f64 v[38:39], v[38:39], v[106:107]
	ds_read_b128 v[106:109], v138 offset:1840
	buffer_load_dword v237, off, s[0:3], 0 offset:940
	buffer_load_dword v236, off, s[0:3], 0 offset:936
	;; [unrolled: 1-line block ×4, first 2 shown]
	ds_read_b128 v[230:233], v138 offset:1856
	buffer_load_dword v242, off, s[0:3], 0 offset:952
	buffer_load_dword v243, off, s[0:3], 0 offset:956
	;; [unrolled: 1-line block ×4, first 2 shown]
	v_add_f64 v[0:1], v[0:1], v[2:3]
	v_mul_f64 v[2:3], v[52:53], v[168:169]
	v_fma_f64 v[2:3], v[50:51], v[172:173], -v[2:3]
	v_add_f64 v[0:1], v[0:1], v[2:3]
	v_mul_f64 v[2:3], v[56:57], v[176:177]
	v_fma_f64 v[2:3], v[54:55], v[180:181], -v[2:3]
	;; [unrolled: 3-line block ×14, first 2 shown]
	v_add_f64 v[0:1], v[0:1], v[2:3]
	s_waitcnt vmcnt(10) lgkmcnt(1)
	v_mul_f64 v[114:115], v[106:107], v[224:225]
	v_mul_f64 v[2:3], v[108:109], v[224:225]
	s_waitcnt vmcnt(8)
	v_fmac_f64_e32 v[114:115], v[108:109], v[226:227]
	v_add_f64 v[38:39], v[38:39], v[114:115]
	v_fma_f64 v[2:3], v[106:107], v[226:227], -v[2:3]
	v_add_f64 v[0:1], v[0:1], v[2:3]
	s_waitcnt vmcnt(6) lgkmcnt(0)
	v_mul_f64 v[114:115], v[230:231], v[236:237]
	v_mul_f64 v[2:3], v[232:233], v[236:237]
	s_waitcnt vmcnt(4)
	v_fmac_f64_e32 v[114:115], v[232:233], v[238:239]
	v_add_f64 v[38:39], v[38:39], v[114:115]
	ds_read_b128 v[114:117], v138 offset:1872
	buffer_load_dword v248, off, s[0:3], 0 offset:96
	buffer_load_dword v249, off, s[0:3], 0 offset:100
	v_fma_f64 v[2:3], v[230:231], v[238:239], -v[2:3]
	v_add_f64 v[0:1], v[0:1], v[2:3]
	s_waitcnt vmcnt(4) lgkmcnt(0)
	v_mul_f64 v[246:247], v[114:115], v[242:243]
	s_waitcnt vmcnt(2)
	v_fmac_f64_e32 v[246:247], v[116:117], v[244:245]
	v_add_f64 v[38:39], v[38:39], v[246:247]
	buffer_load_dword v246, off, s[0:3], 0 offset:104
	buffer_load_dword v247, off, s[0:3], 0 offset:108
	v_mul_f64 v[2:3], v[116:117], v[242:243]
	v_fma_f64 v[2:3], v[114:115], v[244:245], -v[2:3]
	v_add_f64 v[0:1], v[0:1], v[2:3]
	s_waitcnt vmcnt(2)
	v_add_f64 v[0:1], v[248:249], -v[0:1]
	s_waitcnt vmcnt(0)
	v_add_f64 v[2:3], v[246:247], -v[38:39]
	buffer_store_dword v1, off, s[0:3], 0 offset:100
	buffer_store_dword v0, off, s[0:3], 0 offset:96
	;; [unrolled: 1-line block ×4, first 2 shown]
	s_and_saveexec_b64 s[4:5], vcc
	s_cbranch_execz .LBB58_359
; %bb.358:
	v_accvgpr_read_b32 v0, a172
	buffer_load_dword v2, v0, s[0:3], 0 offen
	buffer_load_dword v3, v0, s[0:3], 0 offen offset:4
	buffer_load_dword v4, v0, s[0:3], 0 offen offset:8
	;; [unrolled: 1-line block ×3, first 2 shown]
	v_accvgpr_read_b32 v0, a177
	buffer_store_dword v138, off, s[0:3], 0 offset:80
	buffer_store_dword v138, off, s[0:3], 0 offset:84
	buffer_store_dword v138, off, s[0:3], 0 offset:88
	buffer_store_dword v138, off, s[0:3], 0 offset:92
	s_waitcnt vmcnt(4)
	ds_write_b128 v0, v[2:5]
.LBB58_359:
	s_or_b64 exec, exec, s[4:5]
	s_waitcnt lgkmcnt(0)
	; wave barrier
	s_waitcnt lgkmcnt(0)
	buffer_load_dword v132, off, s[0:3], 0 offset:96
	buffer_load_dword v133, off, s[0:3], 0 offset:100
	;; [unrolled: 1-line block ×42, first 2 shown]
	ds_read_b128 v[14:17], v138 offset:1024
	ds_read_b128 v[26:29], v138 offset:1040
	;; [unrolled: 1-line block ×10, first 2 shown]
	buffer_load_dword v105, off, s[0:3], 0 offset:244
	buffer_load_dword v104, off, s[0:3], 0 offset:240
	ds_read_b128 v[42:45], v138 offset:1184
	buffer_load_dword v65, off, s[0:3], 0 offset:300
	buffer_load_dword v64, off, s[0:3], 0 offset:296
	;; [unrolled: 1-line block ×6, first 2 shown]
	s_waitcnt vmcnt(46) lgkmcnt(10)
	v_mul_f64 v[2:3], v[14:15], v[8:9]
	v_fmac_f64_e32 v[2:3], v[16:17], v[132:133]
	v_add_f64 v[2:3], v[2:3], 0
	v_mul_f64 v[8:9], v[16:17], v[8:9]
	s_waitcnt vmcnt(42) lgkmcnt(9)
	v_mul_f64 v[4:5], v[26:27], v[12:13]
	v_fmac_f64_e32 v[4:5], v[28:29], v[134:135]
	s_waitcnt vmcnt(40) lgkmcnt(8)
	v_mul_f64 v[66:67], v[106:107], v[18:19]
	v_add_f64 v[2:3], v[2:3], v[4:5]
	s_waitcnt vmcnt(38) lgkmcnt(6)
	v_mul_f64 v[72:73], v[114:115], v[30:31]
	v_fma_f64 v[132:133], v[14:15], v[132:133], -v[8:9]
	s_waitcnt vmcnt(36)
	v_fmac_f64_e32 v[72:73], v[116:117], v[32:33]
	v_mul_f64 v[12:13], v[28:29], v[12:13]
	s_waitcnt vmcnt(34)
	v_mul_f64 v[68:69], v[110:111], v[22:23]
	v_mul_f64 v[18:19], v[108:109], v[18:19]
	s_waitcnt vmcnt(32) lgkmcnt(4)
	v_mul_f64 v[76:77], v[164:165], v[38:39]
	v_mul_f64 v[22:23], v[112:113], v[22:23]
	s_waitcnt vmcnt(30)
	v_fmac_f64_e32 v[76:77], v[166:167], v[40:41]
	v_mul_f64 v[30:31], v[116:117], v[30:31]
	s_waitcnt vmcnt(28)
	v_mul_f64 v[74:75], v[156:157], v[34:35]
	v_mul_f64 v[34:35], v[158:159], v[34:35]
	s_waitcnt vmcnt(26) lgkmcnt(2)
	v_mul_f64 v[80:81], v[172:173], v[52:53]
	s_waitcnt vmcnt(23)
	v_mul_f64 v[78:79], v[168:169], v[56:57]
	s_waitcnt vmcnt(21) lgkmcnt(1)
	v_mul_f64 v[118:119], v[46:47], v[50:51]
	s_waitcnt vmcnt(19)
	v_fmac_f64_e32 v[66:67], v[108:109], v[20:21]
	v_add_f64 v[2:3], v[2:3], v[66:67]
	s_waitcnt vmcnt(17)
	v_fmac_f64_e32 v[68:69], v[112:113], v[24:25]
	v_add_f64 v[2:3], v[2:3], v[68:69]
	;; [unrolled: 3-line block ×3, first 2 shown]
	v_add_f64 v[2:3], v[2:3], v[74:75]
	s_waitcnt vmcnt(13)
	v_fmac_f64_e32 v[78:79], v[170:171], v[58:59]
	v_add_f64 v[2:3], v[2:3], v[76:77]
	s_waitcnt vmcnt(12)
	v_fmac_f64_e32 v[80:81], v[174:175], v[54:55]
	v_add_f64 v[2:3], v[2:3], v[78:79]
	v_add_f64 v[2:3], v[2:3], v[80:81]
	buffer_load_dword v187, off, s[0:3], 0 offset:276
	buffer_load_dword v186, off, s[0:3], 0 offset:272
	;; [unrolled: 1-line block ×52, first 2 shown]
	s_waitcnt vmcnt(58)
	v_fmac_f64_e32 v[118:119], v[48:49], v[104:105]
	v_add_f64 v[2:3], v[2:3], v[118:119]
	v_fma_f64 v[180:181], v[106:107], v[20:21], -v[18:19]
	v_fma_f64 v[106:107], v[110:111], v[24:25], -v[22:23]
	;; [unrolled: 1-line block ×4, first 2 shown]
	s_waitcnt vmcnt(0)
	v_pk_mov_b32 v[120:121], v[4:5], v[4:5] op_sel:[0,1]
	buffer_load_dword v5, off, s[0:3], 0 offset:516
	buffer_load_dword v4, off, s[0:3], 0 offset:512
	v_accvgpr_write_b32 a187, v121
	v_accvgpr_write_b32 a186, v120
	s_waitcnt vmcnt(0)
	v_pk_mov_b32 v[122:123], v[4:5], v[4:5] op_sel:[0,1]
	buffer_load_dword v5, off, s[0:3], 0 offset:508
	buffer_load_dword v4, off, s[0:3], 0 offset:504
	v_accvgpr_write_b32 a189, v123
	v_accvgpr_write_b32 a188, v122
	;; [unrolled: 6-line block ×10, first 2 shown]
	s_waitcnt vmcnt(0)
	v_pk_mov_b32 v[184:185], v[4:5], v[4:5] op_sel:[0,1]
	buffer_load_dword v5, off, s[0:3], 0 offset:564
	buffer_load_dword v4, off, s[0:3], 0 offset:560
	ds_read_b128 v[176:179], v138 offset:1200
	ds_read_b128 v[192:195], v138 offset:1216
	ds_read_b128 v[196:199], v138 offset:1232
	ds_read_b128 v[200:203], v138 offset:1248
	ds_read_b128 v[204:207], v138 offset:1264
	ds_read_b128 v[212:215], v138 offset:1280
	ds_read_b128 v[216:219], v138 offset:1296
	buffer_load_dword v119, off, s[0:3], 0 offset:604
	buffer_load_dword v118, off, s[0:3], 0 offset:600
	;; [unrolled: 1-line block ×4, first 2 shown]
	ds_read_b128 v[220:223], v138 offset:1312
	v_accvgpr_write_b32 a203, v185
	v_accvgpr_write_b32 a202, v184
	s_waitcnt lgkmcnt(7)
	v_mul_f64 v[20:21], v[178:179], v[0:1]
	v_fma_f64 v[20:21], v[176:177], v[186:187], -v[20:21]
	s_waitcnt lgkmcnt(5)
	v_mul_f64 v[24:25], v[198:199], v[250:251]
	v_fma_f64 v[24:25], v[196:197], v[252:253], -v[24:25]
	s_waitcnt vmcnt(4)
	v_pk_mov_b32 v[188:189], v[4:5], v[4:5] op_sel:[0,1]
	v_mul_f64 v[4:5], v[42:43], v[60:61]
	v_fmac_f64_e32 v[4:5], v[44:45], v[62:63]
	v_add_f64 v[2:3], v[2:3], v[4:5]
	v_mul_f64 v[4:5], v[176:177], v[0:1]
	v_fmac_f64_e32 v[4:5], v[178:179], v[186:187]
	v_add_f64 v[2:3], v[2:3], v[4:5]
	;; [unrolled: 3-line block ×4, first 2 shown]
	s_waitcnt lgkmcnt(4)
	v_mul_f64 v[4:5], v[200:201], v[208:209]
	v_fmac_f64_e32 v[4:5], v[202:203], v[210:211]
	v_add_f64 v[2:3], v[2:3], v[4:5]
	s_waitcnt lgkmcnt(3)
	v_mul_f64 v[4:5], v[204:205], v[254:255]
	v_fmac_f64_e32 v[4:5], v[206:207], v[144:145]
	v_add_f64 v[2:3], v[2:3], v[4:5]
	s_waitcnt lgkmcnt(2)
	v_mul_f64 v[4:5], v[212:213], v[96:97]
	v_fmac_f64_e32 v[4:5], v[214:215], v[98:99]
	v_add_f64 v[2:3], v[2:3], v[4:5]
	s_waitcnt lgkmcnt(1)
	v_mul_f64 v[4:5], v[216:217], v[100:101]
	v_fmac_f64_e32 v[4:5], v[218:219], v[102:103]
	s_waitcnt vmcnt(2)
	v_pk_mov_b32 v[190:191], v[118:119], v[118:119] op_sel:[0,1]
	buffer_load_dword v118, off, s[0:3], 0 offset:616
	buffer_load_dword v119, off, s[0:3], 0 offset:620
	v_add_f64 v[2:3], v[2:3], v[4:5]
	buffer_load_dword v4, off, s[0:3], 0 offset:608
	buffer_load_dword v5, off, s[0:3], 0 offset:612
	ds_read_b128 v[224:227], v138 offset:1328
	ds_read_b128 v[230:233], v138 offset:1344
	;; [unrolled: 1-line block ×4, first 2 shown]
	buffer_load_dword v7, off, s[0:3], 0 offset:636
	buffer_load_dword v6, off, s[0:3], 0 offset:632
	;; [unrolled: 1-line block ×4, first 2 shown]
	ds_read_b128 v[242:245], v138 offset:1392
	ds_read_b128 v[246:249], v138 offset:1408
	;; [unrolled: 1-line block ×5, first 2 shown]
	s_waitcnt vmcnt(8)
	v_accvgpr_write_b32 a209, v11
	v_accvgpr_write_b32 a208, v10
	s_waitcnt lgkmcnt(2)
	v_accvgpr_write_b32 a181, v153
	v_accvgpr_write_b32 a180, v152
	;; [unrolled: 1-line block ×8, first 2 shown]
	s_waitcnt vmcnt(6)
	v_accvgpr_write_b32 a211, v119
	v_accvgpr_write_b32 a210, v118
	s_waitcnt vmcnt(4)
	v_pk_mov_b32 v[228:229], v[4:5], v[4:5] op_sel:[0,1]
	v_mul_f64 v[4:5], v[220:221], v[76:77]
	v_fmac_f64_e32 v[4:5], v[222:223], v[86:87]
	v_add_f64 v[2:3], v[2:3], v[4:5]
	v_mul_f64 v[4:5], v[224:225], v[88:89]
	v_fmac_f64_e32 v[4:5], v[226:227], v[94:95]
	v_add_f64 v[2:3], v[2:3], v[4:5]
	;; [unrolled: 3-line block ×8, first 2 shown]
	v_fma_f64 v[160:161], v[26:27], v[134:135], -v[12:13]
	ds_read_b128 v[134:137], v138 offset:1456
	ds_read_b128 v[128:131], v138 offset:1472
	s_waitcnt lgkmcnt(3)
	v_pk_mov_b32 v[28:29], v[16:17], v[16:17] op_sel:[0,1]
	v_pk_mov_b32 v[26:27], v[14:15], v[14:15] op_sel:[0,1]
	v_mul_f64 v[14:15], v[26:27], v[120:121]
	v_accvgpr_write_b32 a217, v29
	v_fmac_f64_e32 v[14:15], v[28:29], v[122:123]
	v_accvgpr_write_b32 a216, v28
	v_accvgpr_write_b32 a215, v27
	;; [unrolled: 1-line block ×3, first 2 shown]
	s_waitcnt lgkmcnt(1)
	v_mul_f64 v[26:27], v[134:135], v[146:147]
	ds_read_b128 v[150:153], v138 offset:1488
	v_add_f64 v[4:5], v[4:5], v[14:15]
	v_fmac_f64_e32 v[26:27], v[136:137], v[148:149]
	ds_read_b128 v[146:149], v138 offset:1504
	v_add_f64 v[4:5], v[4:5], v[26:27]
	s_waitcnt lgkmcnt(2)
	v_mul_f64 v[26:27], v[128:129], v[124:125]
	v_fmac_f64_e32 v[26:27], v[130:131], v[126:127]
	ds_read_b128 v[124:127], v138 offset:1520
	ds_read_b128 v[120:123], v138 offset:1536
	v_add_f64 v[4:5], v[4:5], v[26:27]
	s_waitcnt lgkmcnt(3)
	v_mul_f64 v[26:27], v[150:151], v[184:185]
	v_fmac_f64_e32 v[26:27], v[152:153], v[188:189]
	v_add_f64 v[4:5], v[4:5], v[26:27]
	s_waitcnt lgkmcnt(2)
	v_mul_f64 v[26:27], v[146:147], v[162:163]
	v_fmac_f64_e32 v[26:27], v[148:149], v[182:183]
	s_waitcnt lgkmcnt(1)
	v_mul_f64 v[110:111], v[124:125], v[190:191]
	v_add_f64 v[4:5], v[4:5], v[26:27]
	v_fmac_f64_e32 v[110:111], v[126:127], v[10:11]
	s_waitcnt lgkmcnt(0)
	v_mul_f64 v[8:9], v[120:121], v[118:119]
	v_add_f64 v[4:5], v[4:5], v[110:111]
	buffer_load_dword v157, off, s[0:3], 0 offset:652
	buffer_load_dword v156, off, s[0:3], 0 offset:648
	v_fmac_f64_e32 v[8:9], v[122:123], v[228:229]
	v_add_f64 v[8:9], v[4:5], v[8:9]
	buffer_load_dword v163, off, s[0:3], 0 offset:644
	buffer_load_dword v162, off, s[0:3], 0 offset:640
	v_mul_f64 v[4:5], v[166:167], v[38:39]
	v_fma_f64 v[182:183], v[164:165], v[40:41], -v[4:5]
	buffer_load_dword v158, off, s[0:3], 0 offset:680
	buffer_load_dword v30, off, s[0:3], 0 offset:672
	;; [unrolled: 1-line block ×8, first 2 shown]
	s_waitcnt vmcnt(14)
	v_mul_f64 v[14:15], v[34:35], v[6:7]
	s_waitcnt vmcnt(12)
	v_fmac_f64_e32 v[14:15], v[36:37], v[154:155]
	v_mul_f64 v[38:39], v[170:171], v[56:57]
	v_add_f64 v[14:15], v[8:9], v[14:15]
	v_mul_f64 v[8:9], v[174:175], v[52:53]
	v_fma_f64 v[16:17], v[168:169], v[58:59], -v[38:39]
	ds_read_b128 v[38:41], v138 offset:1568
	v_fma_f64 v[10:11], v[172:173], v[54:55], -v[8:9]
	buffer_load_dword v169, off, s[0:3], 0 offset:700
	buffer_load_dword v168, off, s[0:3], 0 offset:696
	;; [unrolled: 1-line block ×24, first 2 shown]
	v_mul_f64 v[8:9], v[48:49], v[50:51]
	v_fma_f64 v[12:13], v[46:47], v[104:105], -v[8:9]
	v_mul_f64 v[8:9], v[44:45], v[60:61]
	v_fma_f64 v[8:9], v[42:43], v[62:63], -v[8:9]
	v_mul_f64 v[42:43], v[194:195], v[64:65]
	v_pk_mov_b32 v[118:119], v[6:7], v[6:7] op_sel:[0,1]
	v_fma_f64 v[6:7], v[192:193], v[70:71], -v[42:43]
	buffer_load_dword v193, off, s[0:3], 0 offset:796
	buffer_load_dword v192, off, s[0:3], 0 offset:792
	;; [unrolled: 1-line block ×4, first 2 shown]
	v_mul_f64 v[42:43], v[202:203], v[208:209]
	v_fma_f64 v[250:251], v[200:201], v[210:211], -v[42:43]
	buffer_load_dword v198, off, s[0:3], 0 offset:808
	buffer_load_dword v200, off, s[0:3], 0 offset:800
	;; [unrolled: 1-line block ×4, first 2 shown]
	v_mul_f64 v[42:43], v[206:207], v[254:255]
	v_fma_f64 v[144:145], v[204:205], v[144:145], -v[42:43]
	buffer_load_dword v197, off, s[0:3], 0 offset:844
	buffer_load_dword v203, off, s[0:3], 0 offset:828
	;; [unrolled: 1-line block ×12, first 2 shown]
	ds_read_b128 v[42:45], v138 offset:1584
	v_mul_f64 v[46:47], v[214:215], v[96:97]
	v_fma_f64 v[254:255], v[212:213], v[98:99], -v[46:47]
	v_mul_f64 v[46:47], v[218:219], v[100:101]
	buffer_load_dword v212, off, s[0:3], 0 offset:872
	buffer_load_dword v214, off, s[0:3], 0 offset:864
	buffer_load_dword v213, off, s[0:3], 0 offset:876
	buffer_load_dword v215, off, s[0:3], 0 offset:868
	v_fma_f64 v[252:253], v[216:217], v[102:103], -v[46:47]
	ds_read_b128 v[46:49], v138 offset:1600
	v_mul_f64 v[54:55], v[222:223], v[76:77]
	v_fma_f64 v[4:5], v[220:221], v[86:87], -v[54:55]
	ds_read_b128 v[54:57], v138 offset:1632
	v_mul_f64 v[66:67], v[232:233], v[66:67]
	;; [unrolled: 3-line block ×3, first 2 shown]
	v_fma_f64 v[234:235], v[234:235], v[74:75], -v[70:71]
	ds_read_b128 v[70:73], v138 offset:1696
	ds_read_b128 v[74:77], v138 offset:1712
	v_accvgpr_write_b32 a212, v228
	v_accvgpr_write_b32 a213, v229
	s_waitcnt vmcnt(58) lgkmcnt(6)
	v_mul_f64 v[50:51], v[38:39], v[156:157]
	s_waitcnt vmcnt(56)
	v_fmac_f64_e32 v[50:51], v[40:41], v[162:163]
	v_add_f64 v[14:15], v[14:15], v[50:51]
	s_waitcnt vmcnt(52) lgkmcnt(5)
	v_mul_f64 v[50:51], v[42:43], v[164:165]
	s_waitcnt vmcnt(50)
	v_fmac_f64_e32 v[50:51], v[44:45], v[166:167]
	v_add_f64 v[14:15], v[14:15], v[50:51]
	;; [unrolled: 5-line block ×3, first 2 shown]
	ds_read_b128 v[50:53], v138 offset:1616
	s_waitcnt vmcnt(41) lgkmcnt(4)
	v_mul_f64 v[62:63], v[54:55], v[170:171]
	s_waitcnt lgkmcnt(0)
	v_mul_f64 v[58:59], v[50:51], v[168:169]
	v_fmac_f64_e32 v[58:59], v[52:53], v[172:173]
	v_add_f64 v[14:15], v[14:15], v[58:59]
	v_mul_f64 v[58:59], v[226:227], v[88:89]
	v_fma_f64 v[226:227], v[224:225], v[94:95], -v[58:59]
	ds_read_b128 v[58:61], v138 offset:1648
	s_waitcnt vmcnt(40)
	v_fmac_f64_e32 v[62:63], v[56:57], v[174:175]
	v_add_f64 v[14:15], v[14:15], v[62:63]
	ds_read_b128 v[62:65], v138 offset:1664
	ds_read_b128 v[86:89], v138 offset:1760
	s_waitcnt vmcnt(38) lgkmcnt(2)
	v_mul_f64 v[28:29], v[58:59], v[178:179]
	s_waitcnt vmcnt(36)
	v_fmac_f64_e32 v[28:29], v[60:61], v[26:27]
	v_add_f64 v[14:15], v[14:15], v[28:29]
	s_waitcnt vmcnt(34) lgkmcnt(1)
	v_mul_f64 v[28:29], v[62:63], v[22:23]
	s_waitcnt vmcnt(32)
	v_fmac_f64_e32 v[28:29], v[64:65], v[184:185]
	v_add_f64 v[14:15], v[14:15], v[28:29]
	s_waitcnt vmcnt(29)
	v_mul_f64 v[28:29], v[66:67], v[188:189]
	s_waitcnt vmcnt(27)
	v_fmac_f64_e32 v[28:29], v[68:69], v[190:191]
	v_add_f64 v[14:15], v[14:15], v[28:29]
	s_waitcnt vmcnt(25)
	v_mul_f64 v[28:29], v[70:71], v[176:177]
	s_waitcnt vmcnt(24)
	v_fmac_f64_e32 v[28:29], v[72:73], v[186:187]
	v_add_f64 v[14:15], v[14:15], v[28:29]
	v_mul_f64 v[28:29], v[240:241], v[78:79]
	v_fma_f64 v[0:1], v[238:239], v[80:81], -v[28:29]
	ds_read_b128 v[78:81], v138 offset:1728
	s_waitcnt vmcnt(22)
	v_mul_f64 v[28:29], v[74:75], v[192:193]
	s_waitcnt vmcnt(20)
	v_fmac_f64_e32 v[28:29], v[76:77], v[194:195]
	v_add_f64 v[28:29], v[14:15], v[28:29]
	v_mul_f64 v[14:15], v[244:245], v[82:83]
	v_fma_f64 v[14:15], v[242:243], v[84:85], -v[14:15]
	ds_read_b128 v[82:85], v138 offset:1744
	s_waitcnt vmcnt(17) lgkmcnt(1)
	v_mul_f64 v[32:33], v[78:79], v[198:199]
	s_waitcnt vmcnt(16)
	v_fmac_f64_e32 v[32:33], v[80:81], v[200:201]
	v_add_f64 v[32:33], v[28:29], v[32:33]
	v_mul_f64 v[28:29], v[248:249], v[90:91]
	v_fma_f64 v[28:29], v[246:247], v[92:93], -v[28:29]
	ds_read_b128 v[90:93], v138 offset:1776
	s_waitcnt vmcnt(13) lgkmcnt(1)
	v_mul_f64 v[94:95], v[82:83], v[202:203]
	s_waitcnt vmcnt(11)
	v_fmac_f64_e32 v[94:95], v[84:85], v[208:209]
	v_add_f64 v[32:33], v[32:33], v[94:95]
	s_waitcnt vmcnt(10)
	v_mul_f64 v[94:95], v[86:87], v[196:197]
	s_waitcnt vmcnt(8)
	v_fmac_f64_e32 v[94:95], v[88:89], v[206:207]
	v_add_f64 v[32:33], v[32:33], v[94:95]
	s_waitcnt vmcnt(6) lgkmcnt(0)
	v_mul_f64 v[94:95], v[90:91], v[204:205]
	s_waitcnt vmcnt(4)
	v_fmac_f64_e32 v[94:95], v[92:93], v[210:211]
	v_add_f64 v[32:33], v[32:33], v[94:95]
	ds_read_b128 v[94:97], v138 offset:1792
	buffer_load_dword v217, off, s[0:3], 0 offset:892
	buffer_load_dword v216, off, s[0:3], 0 offset:888
	buffer_load_dword v219, off, s[0:3], 0 offset:884
	buffer_load_dword v218, off, s[0:3], 0 offset:880
	s_waitcnt vmcnt(5) lgkmcnt(0)
	v_mul_f64 v[98:99], v[94:95], v[212:213]
	s_waitcnt vmcnt(4)
	v_fmac_f64_e32 v[98:99], v[96:97], v[214:215]
	v_add_f64 v[32:33], v[32:33], v[98:99]
	ds_read_b128 v[98:101], v138 offset:1808
	buffer_load_dword v220, off, s[0:3], 0 offset:904
	buffer_load_dword v221, off, s[0:3], 0 offset:908
	buffer_load_dword v222, off, s[0:3], 0 offset:896
	buffer_load_dword v223, off, s[0:3], 0 offset:900
	;; [unrolled: 10-line block ×3, first 2 shown]
	ds_read_b128 v[230:233], v138 offset:1840
	buffer_load_dword v238, off, s[0:3], 0 offset:936
	buffer_load_dword v239, off, s[0:3], 0 offset:940
	;; [unrolled: 1-line block ×4, first 2 shown]
	s_waitcnt vmcnt(10) lgkmcnt(1)
	v_mul_f64 v[110:111], v[102:103], v[220:221]
	s_waitcnt vmcnt(8)
	v_fmac_f64_e32 v[110:111], v[104:105], v[222:223]
	v_add_f64 v[32:33], v[32:33], v[110:111]
	s_waitcnt vmcnt(6) lgkmcnt(0)
	v_mul_f64 v[110:111], v[230:231], v[224:225]
	s_waitcnt vmcnt(4)
	v_fmac_f64_e32 v[110:111], v[232:233], v[236:237]
	v_add_f64 v[32:33], v[32:33], v[110:111]
	ds_read_b128 v[110:113], v138 offset:1856
	buffer_load_dword v245, off, s[0:3], 0 offset:956
	buffer_load_dword v244, off, s[0:3], 0 offset:952
	;; [unrolled: 1-line block ×4, first 2 shown]
	s_waitcnt vmcnt(6) lgkmcnt(0)
	v_mul_f64 v[114:115], v[110:111], v[238:239]
	s_waitcnt vmcnt(4)
	v_fmac_f64_e32 v[114:115], v[112:113], v[240:241]
	v_add_f64 v[32:33], v[32:33], v[114:115]
	ds_read_b128 v[114:117], v138 offset:1872
	s_waitcnt vmcnt(2) lgkmcnt(0)
	v_mul_f64 v[228:229], v[114:115], v[244:245]
	s_waitcnt vmcnt(0)
	v_fmac_f64_e32 v[228:229], v[116:117], v[246:247]
	v_add_f64 v[242:243], v[32:33], v[228:229]
	v_add_f64 v[32:33], v[132:133], 0
	;; [unrolled: 1-line block ×21, first 2 shown]
	buffer_load_dword v226, off, s[0:3], 0 offset:80
	buffer_load_dword v227, off, s[0:3], 0 offset:84
	;; [unrolled: 1-line block ×4, first 2 shown]
	v_add_f64 v[2:3], v[4:5], v[2:3]
	v_add_f64 v[2:3], v[2:3], v[234:235]
	;; [unrolled: 1-line block ×3, first 2 shown]
	v_accvgpr_read_b32 v4, a178
	v_accvgpr_read_b32 v2, a182
	;; [unrolled: 1-line block ×5, first 2 shown]
	v_mul_f64 v[2:3], v[6:7], v[2:3]
	v_accvgpr_read_b32 v6, a184
	v_add_f64 v[0:1], v[254:255], v[14:15]
	v_accvgpr_read_b32 v5, a179
	v_accvgpr_read_b32 v7, a185
	v_add_f64 v[0:1], v[0:1], v[28:29]
	v_fma_f64 v[2:3], v[4:5], v[6:7], -v[2:3]
	v_add_f64 v[0:1], v[0:1], v[2:3]
	v_accvgpr_read_b32 v2, a186
	v_accvgpr_read_b32 v6, a214
	;; [unrolled: 1-line block ×7, first 2 shown]
	v_mul_f64 v[2:3], v[8:9], v[2:3]
	v_accvgpr_read_b32 v5, a189
	v_fma_f64 v[2:3], v[6:7], v[4:5], -v[2:3]
	v_add_f64 v[0:1], v[0:1], v[2:3]
	v_accvgpr_read_b32 v2, a190
	v_accvgpr_read_b32 v3, a191
	v_accvgpr_read_b32 v4, a192
	v_mul_f64 v[2:3], v[136:137], v[2:3]
	v_accvgpr_read_b32 v5, a193
	v_fma_f64 v[2:3], v[134:135], v[4:5], -v[2:3]
	v_add_f64 v[0:1], v[0:1], v[2:3]
	v_accvgpr_read_b32 v2, a194
	v_accvgpr_read_b32 v3, a195
	v_accvgpr_read_b32 v4, a196
	;; [unrolled: 7-line block ×6, first 2 shown]
	v_mul_f64 v[2:3], v[122:123], v[2:3]
	v_accvgpr_read_b32 v5, a213
	v_fma_f64 v[2:3], v[120:121], v[4:5], -v[2:3]
	v_add_f64 v[0:1], v[0:1], v[2:3]
	v_mul_f64 v[2:3], v[36:37], v[118:119]
	v_fma_f64 v[2:3], v[34:35], v[154:155], -v[2:3]
	v_add_f64 v[0:1], v[0:1], v[2:3]
	v_mul_f64 v[2:3], v[40:41], v[156:157]
	;; [unrolled: 3-line block ×21, first 2 shown]
	v_fma_f64 v[2:3], v[114:115], v[246:247], -v[2:3]
	v_add_f64 v[0:1], v[0:1], v[2:3]
	v_accvgpr_read_b32 v145, a176
	s_waitcnt vmcnt(2)
	v_add_f64 v[0:1], v[226:227], -v[0:1]
	v_cmp_lt_u32_e32 vcc, 3, v145
	s_waitcnt vmcnt(0)
	v_add_f64 v[2:3], v[248:249], -v[242:243]
	buffer_store_dword v1, off, s[0:3], 0 offset:84
	buffer_store_dword v0, off, s[0:3], 0 offset:80
	;; [unrolled: 1-line block ×4, first 2 shown]
	s_and_saveexec_b64 s[4:5], vcc
	s_cbranch_execz .LBB58_361
; %bb.360:
	v_accvgpr_read_b32 v0, a173
	buffer_load_dword v2, v0, s[0:3], 0 offen
	buffer_load_dword v3, v0, s[0:3], 0 offen offset:4
	buffer_load_dword v4, v0, s[0:3], 0 offen offset:8
	;; [unrolled: 1-line block ×3, first 2 shown]
	v_mov_b32_e32 v0, 0
	v_accvgpr_read_b32 v1, a177
	buffer_store_dword v0, off, s[0:3], 0 offset:64
	buffer_store_dword v0, off, s[0:3], 0 offset:68
	;; [unrolled: 1-line block ×4, first 2 shown]
	s_waitcnt vmcnt(4)
	ds_write_b128 v1, v[2:5]
.LBB58_361:
	s_or_b64 exec, exec, s[4:5]
	s_waitcnt lgkmcnt(0)
	; wave barrier
	s_waitcnt lgkmcnt(0)
	buffer_load_dword v2, off, s[0:3], 0 offset:80
	buffer_load_dword v3, off, s[0:3], 0 offset:84
	;; [unrolled: 1-line block ×42, first 2 shown]
	v_mov_b32_e32 v144, 0
	buffer_load_dword v83, off, s[0:3], 0 offset:228
	buffer_load_dword v82, off, s[0:3], 0 offset:224
	;; [unrolled: 1-line block ×7, first 2 shown]
	ds_read_b128 v[10:13], v144 offset:1008
	ds_read_b128 v[22:25], v144 offset:1024
	ds_read_b128 v[98:101], v144 offset:1040
	ds_read_b128 v[102:105], v144 offset:1056
	ds_read_b128 v[106:109], v144 offset:1072
	ds_read_b128 v[110:113], v144 offset:1088
	ds_read_b128 v[114:117], v144 offset:1104
	ds_read_b128 v[156:159], v144 offset:1120
	ds_read_b128 v[160:163], v144 offset:1136
	ds_read_b128 v[166:169], v144 offset:1152
	ds_read_b128 v[170:173], v144 offset:1168
	v_cmp_lt_u32_e32 vcc, 2, v145
	s_waitcnt vmcnt(45) lgkmcnt(10)
	v_mul_f64 v[0:1], v[10:11], v[4:5]
	v_fmac_f64_e32 v[0:1], v[12:13], v[2:3]
	v_add_f64 v[0:1], v[0:1], 0
	v_mul_f64 v[4:5], v[12:13], v[4:5]
	s_waitcnt vmcnt(41) lgkmcnt(9)
	v_mul_f64 v[56:57], v[22:23], v[8:9]
	v_fmac_f64_e32 v[56:57], v[24:25], v[6:7]
	s_waitcnt vmcnt(39) lgkmcnt(8)
	v_mul_f64 v[58:59], v[98:99], v[14:15]
	v_add_f64 v[0:1], v[0:1], v[56:57]
	s_waitcnt vmcnt(37) lgkmcnt(6)
	v_mul_f64 v[62:63], v[106:107], v[26:27]
	v_mul_f64 v[8:9], v[24:25], v[8:9]
	s_waitcnt vmcnt(35)
	v_fmac_f64_e32 v[62:63], v[108:109], v[28:29]
	v_mul_f64 v[14:15], v[100:101], v[14:15]
	s_waitcnt vmcnt(33)
	v_mul_f64 v[60:61], v[102:103], v[18:19]
	v_mul_f64 v[18:19], v[104:105], v[18:19]
	s_waitcnt vmcnt(31) lgkmcnt(4)
	v_mul_f64 v[66:67], v[114:115], v[34:35]
	v_mul_f64 v[26:27], v[108:109], v[26:27]
	s_waitcnt vmcnt(29)
	v_fmac_f64_e32 v[66:67], v[116:117], v[36:37]
	v_fma_f64 v[26:27], v[106:107], v[28:29], -v[26:27]
	s_waitcnt vmcnt(27)
	v_mul_f64 v[64:65], v[110:111], v[30:31]
	v_mul_f64 v[30:31], v[112:113], v[30:31]
	s_waitcnt vmcnt(25) lgkmcnt(2)
	v_mul_f64 v[70:71], v[160:161], v[38:39]
	s_waitcnt vmcnt(22)
	v_mul_f64 v[68:69], v[156:157], v[44:45]
	s_waitcnt vmcnt(20) lgkmcnt(1)
	v_mul_f64 v[118:119], v[166:167], v[42:43]
	s_waitcnt vmcnt(18)
	v_fmac_f64_e32 v[58:59], v[100:101], v[16:17]
	v_add_f64 v[0:1], v[0:1], v[58:59]
	s_waitcnt vmcnt(16)
	v_fmac_f64_e32 v[60:61], v[104:105], v[20:21]
	v_add_f64 v[0:1], v[0:1], v[60:61]
	;; [unrolled: 3-line block ×3, first 2 shown]
	v_add_f64 v[0:1], v[0:1], v[64:65]
	s_waitcnt vmcnt(12)
	v_fmac_f64_e32 v[68:69], v[158:159], v[46:47]
	v_add_f64 v[0:1], v[0:1], v[66:67]
	s_waitcnt vmcnt(11)
	v_fmac_f64_e32 v[70:71], v[162:163], v[40:41]
	v_add_f64 v[0:1], v[0:1], v[68:69]
	v_add_f64 v[0:1], v[0:1], v[70:71]
	buffer_load_dword v72, off, s[0:3], 0 offset:264
	buffer_load_dword v195, off, s[0:3], 0 offset:260
	;; [unrolled: 1-line block ×53, first 2 shown]
	s_waitcnt vmcnt(58)
	v_fmac_f64_e32 v[118:119], v[168:169], v[82:83]
	v_add_f64 v[0:1], v[0:1], v[118:119]
	s_waitcnt lgkmcnt(0)
	v_mul_f64 v[118:119], v[170:171], v[48:49]
	v_fmac_f64_e32 v[118:119], v[172:173], v[50:51]
	v_add_f64 v[0:1], v[0:1], v[118:119]
	v_fma_f64 v[100:101], v[102:103], v[20:21], -v[18:19]
	v_fma_f64 v[98:99], v[98:99], v[16:17], -v[14:15]
	s_waitcnt vmcnt(0)
	v_pk_mov_b32 v[122:123], v[90:91], v[90:91] op_sel:[0,1]
	buffer_load_dword v91, off, s[0:3], 0 offset:500
	buffer_load_dword v90, off, s[0:3], 0 offset:496
	v_accvgpr_write_b32 a183, v123
	v_accvgpr_write_b32 a182, v122
	s_waitcnt vmcnt(0)
	v_pk_mov_b32 v[124:125], v[90:91], v[90:91] op_sel:[0,1]
	buffer_load_dword v91, off, s[0:3], 0 offset:492
	buffer_load_dword v90, off, s[0:3], 0 offset:488
	;; [unrolled: 1-line block ×6, first 2 shown]
	v_accvgpr_write_b32 a185, v125
	v_accvgpr_write_b32 a184, v124
	s_waitcnt vmcnt(0)
	v_pk_mov_b32 v[126:127], v[120:121], v[120:121] op_sel:[0,1]
	buffer_load_dword v121, off, s[0:3], 0 offset:532
	buffer_load_dword v120, off, s[0:3], 0 offset:528
	v_accvgpr_write_b32 a197, v127
	v_accvgpr_write_b32 a196, v126
	s_waitcnt vmcnt(0)
	v_pk_mov_b32 v[128:129], v[120:121], v[120:121] op_sel:[0,1]
	buffer_load_dword v121, off, s[0:3], 0 offset:524
	buffer_load_dword v120, off, s[0:3], 0 offset:520
	;; [unrolled: 6-line block ×3, first 2 shown]
	s_waitcnt vmcnt(0)
	v_pk_mov_b32 v[148:149], v[120:121], v[120:121] op_sel:[0,1]
	buffer_load_dword v121, off, s[0:3], 0 offset:572
	buffer_load_dword v120, off, s[0:3], 0 offset:568
	v_accvgpr_write_b32 a191, v149
	v_accvgpr_write_b32 a190, v148
	s_waitcnt vmcnt(0)
	v_pk_mov_b32 v[130:131], v[120:121], v[120:121] op_sel:[0,1]
	buffer_load_dword v121, off, s[0:3], 0 offset:564
	buffer_load_dword v120, off, s[0:3], 0 offset:560
	v_accvgpr_write_b32 a201, v131
	v_accvgpr_write_b32 a200, v130
	;; [unrolled: 6-line block ×3, first 2 shown]
	s_waitcnt vmcnt(0)
	v_pk_mov_b32 v[150:151], v[120:121], v[120:121] op_sel:[0,1]
	buffer_load_dword v121, off, s[0:3], 0 offset:548
	buffer_load_dword v120, off, s[0:3], 0 offset:544
	ds_read_b128 v[174:177], v144 offset:1184
	ds_read_b128 v[178:181], v144 offset:1200
	;; [unrolled: 1-line block ×6, first 2 shown]
	s_waitcnt lgkmcnt(5)
	v_mul_f64 v[118:119], v[174:175], v[72:73]
	v_fmac_f64_e32 v[118:119], v[176:177], v[194:195]
	v_add_f64 v[0:1], v[0:1], v[118:119]
	s_waitcnt lgkmcnt(4)
	v_mul_f64 v[118:119], v[178:179], v[54:55]
	v_fmac_f64_e32 v[118:119], v[180:181], v[52:53]
	v_add_f64 v[0:1], v[0:1], v[118:119]
	s_waitcnt lgkmcnt(3)
	v_mul_f64 v[118:119], v[182:183], v[204:205]
	v_fmac_f64_e32 v[118:119], v[184:185], v[226:227]
	v_add_f64 v[0:1], v[0:1], v[118:119]
	s_waitcnt lgkmcnt(2)
	v_mul_f64 v[118:119], v[186:187], v[196:197]
	v_fmac_f64_e32 v[118:119], v[188:189], v[198:199]
	v_add_f64 v[0:1], v[0:1], v[118:119]
	s_waitcnt lgkmcnt(1)
	v_mul_f64 v[118:119], v[190:191], v[254:255]
	v_fmac_f64_e32 v[118:119], v[192:193], v[134:135]
	v_add_f64 v[118:119], v[0:1], v[118:119]
	ds_read_b128 v[206:209], v144 offset:1280
	buffer_load_dword v1, off, s[0:3], 0 offset:588
	buffer_load_dword v0, off, s[0:3], 0 offset:584
	s_waitcnt lgkmcnt(1)
	v_mul_f64 v[138:139], v[200:201], v[234:235]
	v_fmac_f64_e32 v[138:139], v[202:203], v[96:97]
	v_add_f64 v[118:119], v[118:119], v[138:139]
	s_waitcnt lgkmcnt(0)
	v_mul_f64 v[140:141], v[206:207], v[84:85]
	v_fmac_f64_e32 v[140:141], v[208:209], v[94:95]
	v_add_f64 v[118:119], v[118:119], v[140:141]
	v_fma_f64 v[138:139], v[10:11], v[2:3], -v[4:5]
	v_accvgpr_write_b32 a205, v151
	v_accvgpr_write_b32 a204, v150
	v_mul_f64 v[16:17], v[176:177], v[72:73]
	v_fma_f64 v[16:17], v[174:175], v[194:195], -v[16:17]
	s_waitcnt vmcnt(2)
	v_pk_mov_b32 v[152:153], v[120:121], v[120:121] op_sel:[0,1]
	v_accvgpr_write_b32 a207, v153
	v_accvgpr_write_b32 a206, v152
	s_waitcnt vmcnt(0)
	v_pk_mov_b32 v[154:155], v[0:1], v[0:1] op_sel:[0,1]
	buffer_load_dword v1, off, s[0:3], 0 offset:580
	buffer_load_dword v0, off, s[0:3], 0 offset:576
	ds_read_b128 v[210:213], v144 offset:1296
	buffer_load_dword v120, off, s[0:3], 0 offset:600
	buffer_load_dword v121, off, s[0:3], 0 offset:604
	v_accvgpr_write_b32 a209, v155
	v_accvgpr_write_b32 a208, v154
	s_waitcnt lgkmcnt(0)
	v_mul_f64 v[142:143], v[210:211], v[56:57]
	v_fmac_f64_e32 v[142:143], v[212:213], v[58:59]
	v_add_f64 v[118:119], v[118:119], v[142:143]
	s_waitcnt vmcnt(2)
	v_accvgpr_write_b32 a211, v1
	v_accvgpr_write_b32 a210, v0
	s_waitcnt vmcnt(0)
	v_pk_mov_b32 v[164:165], v[120:121], v[120:121] op_sel:[0,1]
	buffer_load_dword v120, off, s[0:3], 0 offset:592
	buffer_load_dword v121, off, s[0:3], 0 offset:596
	ds_read_b128 v[214:217], v144 offset:1312
	ds_read_b128 v[218:221], v144 offset:1328
	;; [unrolled: 1-line block ×4, first 2 shown]
	buffer_load_dword v241, off, s[0:3], 0 offset:620
	buffer_load_dword v240, off, s[0:3], 0 offset:616
	;; [unrolled: 1-line block ×4, first 2 shown]
	s_waitcnt lgkmcnt(3)
	v_mul_f64 v[142:143], v[214:215], v[60:61]
	v_fmac_f64_e32 v[142:143], v[216:217], v[70:71]
	v_add_f64 v[118:119], v[118:119], v[142:143]
	s_waitcnt lgkmcnt(2)
	v_mul_f64 v[142:143], v[218:219], v[62:63]
	ds_read_b128 v[242:245], v144 offset:1376
	ds_read_b128 v[246:249], v144 offset:1392
	v_fmac_f64_e32 v[142:143], v[220:221], v[64:65]
	s_waitcnt lgkmcnt(3)
	v_mul_f64 v[146:147], v[222:223], v[66:67]
	v_add_f64 v[118:119], v[118:119], v[142:143]
	v_fmac_f64_e32 v[146:147], v[224:225], v[68:69]
	v_add_f64 v[118:119], v[118:119], v[146:147]
	s_waitcnt lgkmcnt(2)
	v_mul_f64 v[146:147], v[230:231], v[74:75]
	ds_read_b128 v[250:253], v144 offset:1408
	ds_read_b128 v[2:5], v144 offset:1424
	v_fmac_f64_e32 v[146:147], v[232:233], v[76:77]
	v_add_f64 v[118:119], v[118:119], v[146:147]
	s_waitcnt lgkmcnt(3)
	v_mul_f64 v[146:147], v[242:243], v[78:79]
	v_fmac_f64_e32 v[146:147], v[244:245], v[80:81]
	v_add_f64 v[118:119], v[118:119], v[146:147]
	s_waitcnt lgkmcnt(2)
	v_mul_f64 v[146:147], v[246:247], v[86:87]
	v_fmac_f64_e32 v[146:147], v[248:249], v[88:89]
	s_waitcnt lgkmcnt(1)
	v_mul_f64 v[10:11], v[250:251], v[90:91]
	v_add_f64 v[118:119], v[118:119], v[146:147]
	v_fmac_f64_e32 v[10:11], v[252:253], v[92:93]
	v_add_f64 v[10:11], v[118:119], v[10:11]
	v_fma_f64 v[118:119], v[22:23], v[6:7], -v[8:9]
	ds_read_b128 v[6:9], v144 offset:1440
	s_waitcnt lgkmcnt(1)
	v_mul_f64 v[12:13], v[2:3], v[122:123]
	v_accvgpr_write_b32 a181, v5
	v_fmac_f64_e32 v[12:13], v[4:5], v[124:125]
	v_accvgpr_write_b32 a180, v4
	v_accvgpr_write_b32 a179, v3
	v_accvgpr_write_b32 a178, v2
	ds_read_b128 v[2:5], v144 offset:1456
	ds_read_b128 v[236:239], v144 offset:1472
	;; [unrolled: 1-line block ×3, first 2 shown]
	s_waitcnt lgkmcnt(3)
	v_mul_f64 v[24:25], v[6:7], v[136:137]
	v_add_f64 v[22:23], v[10:11], v[12:13]
	v_fmac_f64_e32 v[24:25], v[8:9], v[148:149]
	v_add_f64 v[22:23], v[22:23], v[24:25]
	s_waitcnt lgkmcnt(2)
	v_mul_f64 v[24:25], v[2:3], v[126:127]
	v_fmac_f64_e32 v[24:25], v[4:5], v[128:129]
	v_add_f64 v[22:23], v[22:23], v[24:25]
	s_waitcnt lgkmcnt(1)
	v_mul_f64 v[24:25], v[236:237], v[150:151]
	;; [unrolled: 4-line block ×3, first 2 shown]
	v_fmac_f64_e32 v[24:25], v[142:143], v[132:133]
	ds_read_b128 v[130:133], v144 offset:1504
	ds_read_b128 v[126:129], v144 offset:1520
	v_accvgpr_write_b32 a195, v5
	v_accvgpr_write_b32 a194, v4
	;; [unrolled: 1-line block ×4, first 2 shown]
	s_waitcnt lgkmcnt(1)
	v_mul_f64 v[4:5], v[130:131], v[154:155]
	ds_read_b128 v[122:125], v144 offset:1536
	buffer_load_dword v147, off, s[0:3], 0 offset:636
	buffer_load_dword v146, off, s[0:3], 0 offset:632
	v_add_f64 v[102:103], v[22:23], v[24:25]
	v_fmac_f64_e32 v[4:5], v[132:133], v[0:1]
	buffer_load_dword v153, off, s[0:3], 0 offset:628
	buffer_load_dword v152, off, s[0:3], 0 offset:624
	v_add_f64 v[4:5], v[102:103], v[4:5]
	v_fma_f64 v[148:149], v[110:111], v[32:33], -v[30:31]
	s_waitcnt lgkmcnt(1)
	v_mul_f64 v[102:103], v[126:127], v[164:165]
	buffer_load_dword v30, off, s[0:3], 0 offset:664
	buffer_load_dword v150, off, s[0:3], 0 offset:656
	;; [unrolled: 1-line block ×4, first 2 shown]
	v_accvgpr_write_b32 a213, v165
	v_accvgpr_write_b32 a212, v164
	v_mul_f64 v[12:13], v[168:169], v[42:43]
	v_fma_f64 v[12:13], v[166:167], v[82:83], -v[12:13]
	v_mul_f64 v[42:43], v[184:185], v[204:205]
	v_fma_f64 v[226:227], v[182:183], v[226:227], -v[42:43]
	v_mul_f64 v[42:43], v[188:189], v[196:197]
	v_fma_f64 v[196:197], v[186:187], v[198:199], -v[42:43]
	v_mul_f64 v[42:43], v[192:193], v[254:255]
	v_fma_f64 v[254:255], v[190:191], v[134:135], -v[42:43]
	s_waitcnt vmcnt(12)
	v_fmac_f64_e32 v[102:103], v[128:129], v[120:121]
	v_add_f64 v[102:103], v[4:5], v[102:103]
	v_mul_f64 v[4:5], v[116:117], v[34:35]
	v_mul_f64 v[34:35], v[158:159], v[44:45]
	v_fma_f64 v[18:19], v[156:157], v[46:47], -v[34:35]
	buffer_load_dword v159, off, s[0:3], 0 offset:644
	buffer_load_dword v158, off, s[0:3], 0 offset:640
	buffer_load_dword v31, off, s[0:3], 0 offset:668
	buffer_load_dword v151, off, s[0:3], 0 offset:660
	v_mul_f64 v[34:35], v[162:163], v[38:39]
	v_fma_f64 v[14:15], v[160:161], v[40:41], -v[34:35]
	buffer_load_dword v156, off, s[0:3], 0 offset:696
	buffer_load_dword v161, off, s[0:3], 0 offset:684
	buffer_load_dword v160, off, s[0:3], 0 offset:680
	buffer_load_dword v165, off, s[0:3], 0 offset:676
	buffer_load_dword v164, off, s[0:3], 0 offset:672
	buffer_load_dword v162, off, s[0:3], 0 offset:688
	buffer_load_dword v157, off, s[0:3], 0 offset:700
	buffer_load_dword v163, off, s[0:3], 0 offset:692
	v_mul_f64 v[34:35], v[172:173], v[48:49]
	v_fma_f64 v[10:11], v[170:171], v[50:51], -v[34:35]
	buffer_load_dword v167, off, s[0:3], 0 offset:732
	buffer_load_dword v171, off, s[0:3], 0 offset:716
	buffer_load_dword v170, off, s[0:3], 0 offset:712
	buffer_load_dword v173, off, s[0:3], 0 offset:708
	;; [unrolled: 10-line block ×3, first 2 shown]
	buffer_load_dword v180, off, s[0:3], 0 offset:736
	buffer_load_dword v176, off, s[0:3], 0 offset:752
	;; [unrolled: 1-line block ×4, first 2 shown]
	v_fma_f64 v[22:23], v[114:115], v[36:37], -v[4:5]
	ds_read_b128 v[38:41], v144 offset:1552
	ds_read_b128 v[34:37], v144 offset:1568
	buffer_load_dword v183, off, s[0:3], 0 offset:780
	buffer_load_dword v182, off, s[0:3], 0 offset:776
	;; [unrolled: 1-line block ×8, first 2 shown]
	v_mul_f64 v[42:43], v[202:203], v[234:235]
	buffer_load_dword v193, off, s[0:3], 0 offset:812
	buffer_load_dword v192, off, s[0:3], 0 offset:808
	;; [unrolled: 1-line block ×8, first 2 shown]
	v_accvgpr_write_b32 a189, v9
	v_accvgpr_write_b32 a188, v8
	;; [unrolled: 1-line block ×4, first 2 shown]
	v_fma_f64 v[6:7], v[200:201], v[96:97], -v[42:43]
	buffer_load_dword v190, off, s[0:3], 0 offset:856
	buffer_load_dword v203, off, s[0:3], 0 offset:844
	;; [unrolled: 1-line block ×8, first 2 shown]
	v_mul_f64 v[42:43], v[208:209], v[84:85]
	s_waitcnt vmcnt(62) lgkmcnt(2)
	v_mul_f64 v[8:9], v[122:123], v[240:241]
	v_fma_f64 v[206:207], v[206:207], v[94:95], -v[42:43]
	ds_read_b128 v[42:45], v144 offset:1584
	ds_read_b128 v[46:49], v144 offset:1600
	s_waitcnt vmcnt(60)
	v_fmac_f64_e32 v[8:9], v[124:125], v[228:229]
	v_add_f64 v[8:9], v[102:103], v[8:9]
	ds_read_b128 v[50:53], v144 offset:1616
	v_mul_f64 v[66:67], v[224:225], v[66:67]
	v_fma_f64 v[224:225], v[222:223], v[68:69], -v[66:67]
	ds_read_b128 v[66:69], v144 offset:1680
	v_mul_f64 v[74:75], v[232:233], v[74:75]
	v_fma_f64 v[2:3], v[230:231], v[76:77], -v[74:75]
	ds_read_b128 v[74:77], v144 offset:1712
	v_mul_f64 v[86:87], v[248:249], v[86:87]
	v_fma_f64 v[0:1], v[246:247], v[88:89], -v[86:87]
	v_mul_f64 v[90:91], v[252:253], v[90:91]
	v_fma_f64 v[252:253], v[250:251], v[92:93], -v[90:91]
	ds_read_b128 v[90:93], v144 offset:1776
	ds_read_b128 v[86:89], v144 offset:1760
	s_waitcnt vmcnt(58) lgkmcnt(8)
	v_mul_f64 v[20:21], v[38:39], v[146:147]
	s_waitcnt vmcnt(56)
	v_fmac_f64_e32 v[20:21], v[40:41], v[152:153]
	v_add_f64 v[8:9], v[8:9], v[20:21]
	s_waitcnt vmcnt(52) lgkmcnt(7)
	v_mul_f64 v[20:21], v[34:35], v[154:155]
	s_waitcnt vmcnt(50)
	v_fmac_f64_e32 v[20:21], v[36:37], v[158:159]
	v_add_f64 v[8:9], v[8:9], v[20:21]
	s_waitcnt vmcnt(49) lgkmcnt(6)
	v_mul_f64 v[20:21], v[42:43], v[30:31]
	s_waitcnt vmcnt(48)
	v_fmac_f64_e32 v[20:21], v[44:45], v[150:151]
	s_waitcnt vmcnt(45) lgkmcnt(5)
	v_mul_f64 v[54:55], v[46:47], v[160:161]
	v_add_f64 v[8:9], v[8:9], v[20:21]
	s_waitcnt vmcnt(43)
	v_fmac_f64_e32 v[54:55], v[48:49], v[164:165]
	v_add_f64 v[8:9], v[8:9], v[54:55]
	v_mul_f64 v[54:55], v[216:217], v[60:61]
	v_mul_f64 v[20:21], v[212:213], v[56:57]
	v_fma_f64 v[4:5], v[214:215], v[70:71], -v[54:55]
	ds_read_b128 v[54:57], v144 offset:1632
	s_waitcnt vmcnt(41) lgkmcnt(5)
	v_mul_f64 v[24:25], v[50:51], v[156:157]
	v_fma_f64 v[20:21], v[210:211], v[58:59], -v[20:21]
	s_waitcnt vmcnt(40)
	v_fmac_f64_e32 v[24:25], v[52:53], v[162:163]
	ds_read_b128 v[58:61], v144 offset:1648
	v_add_f64 v[8:9], v[8:9], v[24:25]
	v_mul_f64 v[24:25], v[220:221], v[62:63]
	v_fma_f64 v[24:25], v[218:219], v[64:65], -v[24:25]
	ds_read_b128 v[62:65], v144 offset:1664
	s_waitcnt vmcnt(37) lgkmcnt(2)
	v_mul_f64 v[70:71], v[54:55], v[170:171]
	s_waitcnt vmcnt(35)
	v_fmac_f64_e32 v[70:71], v[56:57], v[172:173]
	v_add_f64 v[8:9], v[8:9], v[70:71]
	s_waitcnt vmcnt(34) lgkmcnt(1)
	v_mul_f64 v[70:71], v[58:59], v[166:167]
	s_waitcnt vmcnt(32)
	v_fmac_f64_e32 v[70:71], v[60:61], v[174:175]
	v_add_f64 v[8:9], v[8:9], v[70:71]
	;; [unrolled: 5-line block ×3, first 2 shown]
	s_waitcnt vmcnt(25)
	v_mul_f64 v[70:71], v[66:67], v[168:169]
	s_waitcnt vmcnt(24)
	v_fmac_f64_e32 v[70:71], v[68:69], v[176:177]
	v_add_f64 v[8:9], v[8:9], v[70:71]
	ds_read_b128 v[70:73], v144 offset:1696
	s_waitcnt vmcnt(17)
	v_mul_f64 v[82:83], v[74:75], v[186:187]
	s_waitcnt vmcnt(16)
	v_fmac_f64_e32 v[82:83], v[76:77], v[188:189]
	s_waitcnt lgkmcnt(0)
	v_mul_f64 v[28:29], v[70:71], v[182:183]
	v_fmac_f64_e32 v[28:29], v[72:73], v[184:185]
	v_add_f64 v[8:9], v[8:9], v[28:29]
	v_mul_f64 v[28:29], v[244:245], v[78:79]
	v_fma_f64 v[28:29], v[242:243], v[80:81], -v[28:29]
	ds_read_b128 v[78:81], v144 offset:1728
	v_add_f64 v[8:9], v[8:9], v[82:83]
	ds_read_b128 v[82:85], v144 offset:1744
	s_waitcnt vmcnt(14) lgkmcnt(1)
	v_mul_f64 v[32:33], v[78:79], v[192:193]
	s_waitcnt vmcnt(12)
	v_fmac_f64_e32 v[32:33], v[80:81], v[234:235]
	v_add_f64 v[8:9], v[8:9], v[32:33]
	s_waitcnt vmcnt(10) lgkmcnt(0)
	v_mul_f64 v[32:33], v[82:83], v[134:135]
	s_waitcnt vmcnt(8)
	v_fmac_f64_e32 v[32:33], v[84:85], v[198:199]
	v_add_f64 v[8:9], v[8:9], v[32:33]
	s_waitcnt vmcnt(5)
	v_mul_f64 v[32:33], v[86:87], v[202:203]
	s_waitcnt vmcnt(3)
	v_fmac_f64_e32 v[32:33], v[88:89], v[204:205]
	v_add_f64 v[8:9], v[8:9], v[32:33]
	s_waitcnt vmcnt(1)
	v_mul_f64 v[32:33], v[90:91], v[190:191]
	s_waitcnt vmcnt(0)
	v_fmac_f64_e32 v[32:33], v[92:93], v[200:201]
	v_add_f64 v[32:33], v[8:9], v[32:33]
	buffer_load_dword v9, off, s[0:3], 0 offset:876
	buffer_load_dword v8, off, s[0:3], 0 offset:872
	;; [unrolled: 1-line block ×4, first 2 shown]
	ds_read_b128 v[94:97], v144 offset:1792
	buffer_load_dword v210, off, s[0:3], 0 offset:888
	buffer_load_dword v211, off, s[0:3], 0 offset:892
	;; [unrolled: 1-line block ×4, first 2 shown]
	ds_read_b128 v[230:233], v144 offset:1808
	buffer_load_dword v215, off, s[0:3], 0 offset:908
	buffer_load_dword v214, off, s[0:3], 0 offset:904
	;; [unrolled: 1-line block ×4, first 2 shown]
	s_waitcnt vmcnt(10) lgkmcnt(1)
	v_mul_f64 v[102:103], v[94:95], v[8:9]
	s_waitcnt vmcnt(8)
	v_fmac_f64_e32 v[102:103], v[96:97], v[208:209]
	v_add_f64 v[32:33], v[32:33], v[102:103]
	s_waitcnt vmcnt(6) lgkmcnt(0)
	v_mul_f64 v[102:103], v[230:231], v[210:211]
	s_waitcnt vmcnt(4)
	v_fmac_f64_e32 v[102:103], v[232:233], v[212:213]
	v_add_f64 v[32:33], v[32:33], v[102:103]
	ds_read_b128 v[102:105], v144 offset:1824
	buffer_load_dword v218, off, s[0:3], 0 offset:920
	buffer_load_dword v219, off, s[0:3], 0 offset:924
	buffer_load_dword v220, off, s[0:3], 0 offset:912
	buffer_load_dword v221, off, s[0:3], 0 offset:916
	s_waitcnt vmcnt(6) lgkmcnt(0)
	v_mul_f64 v[106:107], v[102:103], v[214:215]
	s_waitcnt vmcnt(4)
	v_fmac_f64_e32 v[106:107], v[104:105], v[216:217]
	v_add_f64 v[32:33], v[32:33], v[106:107]
	ds_read_b128 v[106:109], v144 offset:1840
	buffer_load_dword v223, off, s[0:3], 0 offset:940
	buffer_load_dword v222, off, s[0:3], 0 offset:936
	buffer_load_dword v243, off, s[0:3], 0 offset:932
	buffer_load_dword v242, off, s[0:3], 0 offset:928
	;; [unrolled: 10-line block ×3, first 2 shown]
	s_waitcnt vmcnt(6) lgkmcnt(0)
	v_mul_f64 v[114:115], v[110:111], v[222:223]
	s_waitcnt vmcnt(4)
	v_fmac_f64_e32 v[114:115], v[112:113], v[242:243]
	v_add_f64 v[32:33], v[32:33], v[114:115]
	ds_read_b128 v[114:117], v144 offset:1872
	buffer_load_dword v250, off, s[0:3], 0 offset:64
	buffer_load_dword v251, off, s[0:3], 0 offset:68
	s_waitcnt vmcnt(4) lgkmcnt(0)
	v_mul_f64 v[244:245], v[114:115], v[246:247]
	s_waitcnt vmcnt(2)
	v_fmac_f64_e32 v[244:245], v[116:117], v[248:249]
	v_add_f64 v[244:245], v[32:33], v[244:245]
	v_add_f64 v[32:33], v[138:139], 0
	;; [unrolled: 1-line block ×23, first 2 shown]
	buffer_load_dword v224, off, s[0:3], 0 offset:72
	buffer_load_dword v225, off, s[0:3], 0 offset:76
	v_add_f64 v[2:3], v[4:5], v[2:3]
	v_add_f64 v[2:3], v[2:3], v[28:29]
	v_add_f64 v[254:255], v[2:3], v[0:1]
	v_accvgpr_read_b32 v4, a178
	v_accvgpr_read_b32 v2, a182
	;; [unrolled: 1-line block ×5, first 2 shown]
	v_mul_f64 v[2:3], v[6:7], v[2:3]
	v_accvgpr_read_b32 v6, a184
	v_accvgpr_read_b32 v5, a179
	;; [unrolled: 1-line block ×3, first 2 shown]
	v_fma_f64 v[2:3], v[4:5], v[6:7], -v[2:3]
	v_accvgpr_read_b32 v4, a186
	v_add_f64 v[0:1], v[254:255], v[252:253]
	v_accvgpr_read_b32 v6, a188
	v_accvgpr_read_b32 v7, a189
	v_add_f64 v[0:1], v[0:1], v[2:3]
	v_mul_f64 v[2:3], v[6:7], v[136:137]
	v_accvgpr_read_b32 v6, a190
	v_accvgpr_read_b32 v5, a187
	;; [unrolled: 1-line block ×3, first 2 shown]
	v_fma_f64 v[2:3], v[4:5], v[6:7], -v[2:3]
	v_add_f64 v[0:1], v[0:1], v[2:3]
	v_accvgpr_read_b32 v4, a192
	v_accvgpr_read_b32 v2, a196
	;; [unrolled: 1-line block ×5, first 2 shown]
	v_mul_f64 v[2:3], v[6:7], v[2:3]
	v_accvgpr_read_b32 v6, a198
	v_accvgpr_read_b32 v5, a193
	;; [unrolled: 1-line block ×3, first 2 shown]
	v_fma_f64 v[2:3], v[4:5], v[6:7], -v[2:3]
	v_add_f64 v[0:1], v[0:1], v[2:3]
	v_accvgpr_read_b32 v2, a204
	v_accvgpr_read_b32 v3, a205
	v_accvgpr_read_b32 v4, a206
	v_mul_f64 v[2:3], v[238:239], v[2:3]
	v_accvgpr_read_b32 v5, a207
	v_fma_f64 v[2:3], v[236:237], v[4:5], -v[2:3]
	v_add_f64 v[0:1], v[0:1], v[2:3]
	v_accvgpr_read_b32 v2, a200
	v_accvgpr_read_b32 v3, a201
	v_accvgpr_read_b32 v4, a202
	v_mul_f64 v[2:3], v[142:143], v[2:3]
	v_accvgpr_read_b32 v5, a203
	;; [unrolled: 7-line block ×3, first 2 shown]
	v_fma_f64 v[2:3], v[130:131], v[4:5], -v[2:3]
	v_add_f64 v[0:1], v[0:1], v[2:3]
	v_accvgpr_read_b32 v2, a212
	v_accvgpr_read_b32 v3, a213
	v_mul_f64 v[2:3], v[128:129], v[2:3]
	v_fma_f64 v[2:3], v[126:127], v[120:121], -v[2:3]
	v_add_f64 v[0:1], v[0:1], v[2:3]
	v_mul_f64 v[2:3], v[124:125], v[240:241]
	v_fma_f64 v[2:3], v[122:123], v[228:229], -v[2:3]
	v_add_f64 v[0:1], v[0:1], v[2:3]
	;; [unrolled: 3-line block ×23, first 2 shown]
	s_waitcnt vmcnt(2)
	v_add_f64 v[0:1], v[250:251], -v[0:1]
	s_waitcnt vmcnt(0)
	v_add_f64 v[2:3], v[224:225], -v[244:245]
	buffer_store_dword v1, off, s[0:3], 0 offset:68
	buffer_store_dword v0, off, s[0:3], 0 offset:64
	;; [unrolled: 1-line block ×4, first 2 shown]
	s_and_saveexec_b64 s[4:5], vcc
	s_cbranch_execz .LBB58_363
; %bb.362:
	v_accvgpr_read_b32 v0, a174
	buffer_load_dword v2, v0, s[0:3], 0 offen
	buffer_load_dword v3, v0, s[0:3], 0 offen offset:4
	buffer_load_dword v4, v0, s[0:3], 0 offen offset:8
	;; [unrolled: 1-line block ×3, first 2 shown]
	v_accvgpr_read_b32 v0, a177
	buffer_store_dword v144, off, s[0:3], 0 offset:48
	buffer_store_dword v144, off, s[0:3], 0 offset:52
	;; [unrolled: 1-line block ×4, first 2 shown]
	s_waitcnt vmcnt(4)
	ds_write_b128 v0, v[2:5]
.LBB58_363:
	s_or_b64 exec, exec, s[4:5]
	s_waitcnt lgkmcnt(0)
	; wave barrier
	s_waitcnt lgkmcnt(0)
	buffer_load_dword v4, off, s[0:3], 0 offset:64
	buffer_load_dword v5, off, s[0:3], 0 offset:68
	;; [unrolled: 1-line block ×42, first 2 shown]
	ds_read_b128 v[102:105], v144 offset:992
	ds_read_b128 v[106:109], v144 offset:1008
	;; [unrolled: 1-line block ×10, first 2 shown]
	buffer_load_dword v1, off, s[0:3], 0 offset:212
	buffer_load_dword v0, off, s[0:3], 0 offset:208
	ds_read_b128 v[38:41], v144 offset:1152
	buffer_load_dword v87, off, s[0:3], 0 offset:268
	buffer_load_dword v86, off, s[0:3], 0 offset:264
	;; [unrolled: 1-line block ×6, first 2 shown]
	s_waitcnt vmcnt(46) lgkmcnt(10)
	v_mul_f64 v[56:57], v[102:103], v[10:11]
	v_fmac_f64_e32 v[56:57], v[104:105], v[4:5]
	v_add_f64 v[56:57], v[56:57], 0
	v_mul_f64 v[10:11], v[104:105], v[10:11]
	s_waitcnt vmcnt(42) lgkmcnt(9)
	v_mul_f64 v[58:59], v[106:107], v[8:9]
	v_fmac_f64_e32 v[58:59], v[108:109], v[2:3]
	s_waitcnt vmcnt(40) lgkmcnt(8)
	v_mul_f64 v[62:63], v[110:111], v[6:7]
	v_add_f64 v[56:57], v[56:57], v[58:59]
	s_waitcnt vmcnt(38) lgkmcnt(6)
	v_mul_f64 v[66:67], v[152:153], v[14:15]
	v_fma_f64 v[226:227], v[102:103], v[4:5], -v[10:11]
	s_waitcnt vmcnt(36)
	v_fmac_f64_e32 v[66:67], v[154:155], v[142:143]
	v_mul_f64 v[8:9], v[108:109], v[8:9]
	s_waitcnt vmcnt(34)
	v_mul_f64 v[64:65], v[114:115], v[148:149]
	v_fma_f64 v[250:251], v[106:107], v[2:3], -v[8:9]
	s_waitcnt vmcnt(32) lgkmcnt(4)
	v_mul_f64 v[70:71], v[160:161], v[26:27]
	v_mul_f64 v[6:7], v[112:113], v[6:7]
	s_waitcnt vmcnt(30)
	v_fmac_f64_e32 v[70:71], v[162:163], v[28:29]
	v_mul_f64 v[10:11], v[116:117], v[148:149]
	s_waitcnt vmcnt(28)
	v_mul_f64 v[68:69], v[156:157], v[18:19]
	v_mul_f64 v[14:15], v[154:155], v[14:15]
	s_waitcnt vmcnt(26) lgkmcnt(2)
	v_mul_f64 v[74:75], v[42:43], v[46:47]
	v_mul_f64 v[26:27], v[162:163], v[26:27]
	;; [unrolled: 1-line block ×3, first 2 shown]
	s_waitcnt vmcnt(23)
	v_mul_f64 v[72:73], v[164:165], v[30:31]
	s_waitcnt vmcnt(21) lgkmcnt(1)
	v_mul_f64 v[118:119], v[34:35], v[50:51]
	s_waitcnt vmcnt(19)
	v_fmac_f64_e32 v[62:63], v[112:113], v[24:25]
	v_add_f64 v[56:57], v[56:57], v[62:63]
	s_waitcnt vmcnt(17)
	v_fmac_f64_e32 v[64:65], v[116:117], v[22:23]
	v_add_f64 v[56:57], v[56:57], v[64:65]
	;; [unrolled: 3-line block ×3, first 2 shown]
	v_add_f64 v[56:57], v[56:57], v[68:69]
	s_waitcnt vmcnt(13)
	v_fmac_f64_e32 v[72:73], v[166:167], v[32:33]
	v_add_f64 v[56:57], v[56:57], v[70:71]
	s_waitcnt vmcnt(12)
	v_fmac_f64_e32 v[74:75], v[44:45], v[48:49]
	v_add_f64 v[56:57], v[56:57], v[72:73]
	v_add_f64 v[136:137], v[56:57], v[74:75]
	buffer_load_dword v177, off, s[0:3], 0 offset:244
	buffer_load_dword v176, off, s[0:3], 0 offset:240
	buffer_load_dword v201, off, s[0:3], 0 offset:300
	buffer_load_dword v200, off, s[0:3], 0 offset:296
	buffer_load_dword v207, off, s[0:3], 0 offset:292
	buffer_load_dword v206, off, s[0:3], 0 offset:288
	buffer_load_dword v209, off, s[0:3], 0 offset:284
	buffer_load_dword v208, off, s[0:3], 0 offset:280
	buffer_load_dword v211, off, s[0:3], 0 offset:276
	buffer_load_dword v210, off, s[0:3], 0 offset:272
	buffer_load_dword v97, off, s[0:3], 0 offset:332
	buffer_load_dword v96, off, s[0:3], 0 offset:328
	buffer_load_dword v101, off, s[0:3], 0 offset:324
	buffer_load_dword v100, off, s[0:3], 0 offset:320
	buffer_load_dword v225, off, s[0:3], 0 offset:316
	buffer_load_dword v224, off, s[0:3], 0 offset:312
	buffer_load_dword v247, off, s[0:3], 0 offset:308
	buffer_load_dword v246, off, s[0:3], 0 offset:304
	buffer_load_dword v75, off, s[0:3], 0 offset:364
	buffer_load_dword v74, off, s[0:3], 0 offset:360
	buffer_load_dword v77, off, s[0:3], 0 offset:356
	buffer_load_dword v76, off, s[0:3], 0 offset:352
	buffer_load_dword v249, off, s[0:3], 0 offset:348
	buffer_load_dword v248, off, s[0:3], 0 offset:344
	buffer_load_dword v253, off, s[0:3], 0 offset:340
	buffer_load_dword v252, off, s[0:3], 0 offset:336
	buffer_load_dword v57, off, s[0:3], 0 offset:396
	buffer_load_dword v56, off, s[0:3], 0 offset:392
	buffer_load_dword v59, off, s[0:3], 0 offset:388
	buffer_load_dword v58, off, s[0:3], 0 offset:384
	buffer_load_dword v89, off, s[0:3], 0 offset:380
	buffer_load_dword v88, off, s[0:3], 0 offset:376
	buffer_load_dword v95, off, s[0:3], 0 offset:372
	buffer_load_dword v94, off, s[0:3], 0 offset:368
	buffer_load_dword v67, off, s[0:3], 0 offset:428
	buffer_load_dword v66, off, s[0:3], 0 offset:424
	buffer_load_dword v69, off, s[0:3], 0 offset:420
	buffer_load_dword v68, off, s[0:3], 0 offset:416
	buffer_load_dword v63, off, s[0:3], 0 offset:412
	buffer_load_dword v62, off, s[0:3], 0 offset:408
	buffer_load_dword v65, off, s[0:3], 0 offset:404
	buffer_load_dword v64, off, s[0:3], 0 offset:400
	buffer_load_dword v79, off, s[0:3], 0 offset:460
	buffer_load_dword v78, off, s[0:3], 0 offset:456
	buffer_load_dword v81, off, s[0:3], 0 offset:452
	buffer_load_dword v80, off, s[0:3], 0 offset:448
	buffer_load_dword v71, off, s[0:3], 0 offset:444
	buffer_load_dword v70, off, s[0:3], 0 offset:440
	buffer_load_dword v73, off, s[0:3], 0 offset:436
	buffer_load_dword v72, off, s[0:3], 0 offset:432
	buffer_load_dword v91, off, s[0:3], 0 offset:492
	buffer_load_dword v90, off, s[0:3], 0 offset:488
	buffer_load_dword v93, off, s[0:3], 0 offset:484
	buffer_load_dword v92, off, s[0:3], 0 offset:480
	buffer_load_dword v83, off, s[0:3], 0 offset:476
	buffer_load_dword v82, off, s[0:3], 0 offset:472
	buffer_load_dword v85, off, s[0:3], 0 offset:468
	buffer_load_dword v84, off, s[0:3], 0 offset:464
	buffer_load_dword v121, off, s[0:3], 0 offset:524
	buffer_load_dword v120, off, s[0:3], 0 offset:520
	s_waitcnt vmcnt(62)
	v_fmac_f64_e32 v[118:119], v[36:37], v[0:1]
	v_add_f64 v[118:119], v[136:137], v[118:119]
	s_waitcnt lgkmcnt(0)
	v_mul_f64 v[136:137], v[38:39], v[52:53]
	v_fmac_f64_e32 v[136:137], v[40:41], v[54:55]
	v_add_f64 v[118:119], v[118:119], v[136:137]
	v_fma_f64 v[254:255], v[110:111], v[24:25], -v[6:7]
	v_fma_f64 v[116:117], v[114:115], v[22:23], -v[10:11]
	;; [unrolled: 1-line block ×3, first 2 shown]
	v_mul_f64 v[44:45], v[44:45], v[46:47]
	s_waitcnt vmcnt(0)
	v_pk_mov_b32 v[122:123], v[120:121], v[120:121] op_sel:[0,1]
	buffer_load_dword v121, off, s[0:3], 0 offset:516
	buffer_load_dword v120, off, s[0:3], 0 offset:512
	v_accvgpr_write_b32 a193, v123
	v_accvgpr_write_b32 a192, v122
	s_waitcnt vmcnt(0)
	v_pk_mov_b32 v[124:125], v[120:121], v[120:121] op_sel:[0,1]
	buffer_load_dword v121, off, s[0:3], 0 offset:508
	buffer_load_dword v120, off, s[0:3], 0 offset:504
	v_accvgpr_write_b32 a195, v125
	v_accvgpr_write_b32 a194, v124
	s_waitcnt vmcnt(0)
	v_pk_mov_b32 v[128:129], v[120:121], v[120:121] op_sel:[0,1]
	buffer_load_dword v121, off, s[0:3], 0 offset:500
	buffer_load_dword v120, off, s[0:3], 0 offset:496
	v_pk_mov_b32 v[150:151], v[128:129], v[128:129] op_sel:[0,1]
	s_waitcnt vmcnt(0)
	v_pk_mov_b32 v[132:133], v[120:121], v[120:121] op_sel:[0,1]
	buffer_load_dword v121, off, s[0:3], 0 offset:556
	buffer_load_dword v120, off, s[0:3], 0 offset:552
	v_accvgpr_write_b32 a183, v133
	v_accvgpr_write_b32 a182, v132
	s_waitcnt vmcnt(0)
	v_pk_mov_b32 v[126:127], v[120:121], v[120:121] op_sel:[0,1]
	buffer_load_dword v121, off, s[0:3], 0 offset:548
	buffer_load_dword v120, off, s[0:3], 0 offset:544
	;; [unrolled: 1-line block ×4, first 2 shown]
	v_accvgpr_write_b32 a201, v127
	v_accvgpr_write_b32 a200, v126
	s_waitcnt vmcnt(2)
	v_accvgpr_write_b32 a203, v121
	v_accvgpr_write_b32 a202, v120
	s_waitcnt vmcnt(0)
	v_pk_mov_b32 v[134:135], v[130:131], v[130:131] op_sel:[0,1]
	buffer_load_dword v131, off, s[0:3], 0 offset:532
	buffer_load_dword v130, off, s[0:3], 0 offset:528
	ds_read_b128 v[172:175], v144 offset:1168
	ds_read_b128 v[180:183], v144 offset:1184
	;; [unrolled: 1-line block ×6, first 2 shown]
	s_waitcnt lgkmcnt(5)
	v_mul_f64 v[136:137], v[172:173], v[98:99]
	v_fmac_f64_e32 v[136:137], v[174:175], v[176:177]
	v_add_f64 v[118:119], v[118:119], v[136:137]
	s_waitcnt lgkmcnt(4)
	v_mul_f64 v[136:137], v[180:181], v[86:87]
	v_fmac_f64_e32 v[136:137], v[182:183], v[60:61]
	v_add_f64 v[118:119], v[118:119], v[136:137]
	;; [unrolled: 4-line block ×3, first 2 shown]
	s_waitcnt lgkmcnt(2)
	v_mul_f64 v[136:137], v[188:189], v[200:201]
	v_fmac_f64_e32 v[136:137], v[190:191], v[206:207]
	ds_read_b128 v[202:205], v144 offset:1264
	ds_read_b128 v[212:215], v144 offset:1280
	v_add_f64 v[118:119], v[118:119], v[136:137]
	s_waitcnt lgkmcnt(3)
	v_mul_f64 v[136:137], v[192:193], v[224:225]
	v_fmac_f64_e32 v[136:137], v[194:195], v[246:247]
	v_add_f64 v[118:119], v[118:119], v[136:137]
	s_waitcnt lgkmcnt(2)
	v_mul_f64 v[136:137], v[196:197], v[96:97]
	v_fmac_f64_e32 v[136:137], v[198:199], v[100:101]
	;; [unrolled: 4-line block ×4, first 2 shown]
	ds_read_b128 v[216:219], v144 offset:1296
	v_add_f64 v[118:119], v[118:119], v[136:137]
	buffer_load_dword v137, off, s[0:3], 0 offset:572
	buffer_load_dword v136, off, s[0:3], 0 offset:568
	v_accvgpr_write_b32 a197, v135
	v_accvgpr_write_b32 a196, v134
	s_waitcnt lgkmcnt(0)
	v_mul_f64 v[140:141], v[216:217], v[88:89]
	v_fmac_f64_e32 v[140:141], v[218:219], v[94:95]
	v_add_f64 v[118:119], v[118:119], v[140:141]
	v_mul_f64 v[46:47], v[218:219], v[88:89]
	v_fma_f64 v[10:11], v[216:217], v[94:95], -v[46:47]
	s_waitcnt vmcnt(2)
	v_accvgpr_write_b32 a199, v131
	v_accvgpr_write_b32 a198, v130
	s_waitcnt vmcnt(0)
	v_pk_mov_b32 v[170:171], v[136:137], v[136:137] op_sel:[0,1]
	buffer_load_dword v137, off, s[0:3], 0 offset:564
	buffer_load_dword v136, off, s[0:3], 0 offset:560
	ds_read_b128 v[220:223], v144 offset:1312
	buffer_load_dword v16, off, s[0:3], 0 offset:584
	buffer_load_dword v138, off, s[0:3], 0 offset:576
	;; [unrolled: 1-line block ×4, first 2 shown]
	ds_read_b128 v[230:233], v144 offset:1328
	v_accvgpr_write_b32 a205, v171
	v_accvgpr_write_b32 a204, v170
	s_waitcnt lgkmcnt(1)
	v_mul_f64 v[168:169], v[220:221], v[56:57]
	v_fmac_f64_e32 v[168:169], v[222:223], v[58:59]
	v_add_f64 v[118:119], v[118:119], v[168:169]
	s_waitcnt lgkmcnt(0)
	v_mul_f64 v[168:169], v[230:231], v[62:63]
	v_fmac_f64_e32 v[168:169], v[232:233], v[64:65]
	v_add_f64 v[118:119], v[118:119], v[168:169]
	s_waitcnt vmcnt(4)
	v_pk_mov_b32 v[178:179], v[136:137], v[136:137] op_sel:[0,1]
	buffer_load_dword v137, off, s[0:3], 0 offset:620
	buffer_load_dword v13, off, s[0:3], 0 offset:604
	;; [unrolled: 1-line block ×8, first 2 shown]
	ds_read_b128 v[234:237], v144 offset:1344
	ds_read_b128 v[238:241], v144 offset:1360
	;; [unrolled: 1-line block ×6, first 2 shown]
	s_waitcnt lgkmcnt(5)
	v_mul_f64 v[168:169], v[234:235], v[66:67]
	v_fmac_f64_e32 v[168:169], v[236:237], v[68:69]
	v_add_f64 v[118:119], v[118:119], v[168:169]
	s_waitcnt lgkmcnt(4)
	v_mul_f64 v[168:169], v[238:239], v[70:71]
	v_fmac_f64_e32 v[168:169], v[240:241], v[72:73]
	s_waitcnt lgkmcnt(3)
	v_mul_f64 v[4:5], v[242:243], v[78:79]
	v_add_f64 v[118:119], v[118:119], v[168:169]
	v_fmac_f64_e32 v[4:5], v[244:245], v[80:81]
	v_add_f64 v[2:3], v[118:119], v[4:5]
	s_waitcnt lgkmcnt(2)
	v_mul_f64 v[4:5], v[102:103], v[82:83]
	v_fmac_f64_e32 v[4:5], v[104:105], v[84:85]
	v_add_f64 v[2:3], v[2:3], v[4:5]
	s_waitcnt lgkmcnt(1)
	v_mul_f64 v[4:5], v[106:107], v[90:91]
	v_fmac_f64_e32 v[4:5], v[108:109], v[92:93]
	v_add_f64 v[118:119], v[2:3], v[4:5]
	ds_read_b128 v[2:5], v144 offset:1424
	ds_read_b128 v[110:113], v144 offset:1456
	s_waitcnt lgkmcnt(2)
	v_mul_f64 v[22:23], v[6:7], v[122:123]
	v_fmac_f64_e32 v[22:23], v[8:9], v[124:125]
	v_accvgpr_write_b32 a187, v9
	s_waitcnt lgkmcnt(1)
	v_mul_f64 v[24:25], v[2:3], v[128:129]
	v_fmac_f64_e32 v[24:25], v[4:5], v[132:133]
	v_accvgpr_write_b32 a181, v5
	v_accvgpr_write_b32 a180, v4
	;; [unrolled: 1-line block ×4, first 2 shown]
	v_add_f64 v[4:5], v[118:119], v[24:25]
	v_fma_f64 v[118:119], v[152:153], v[142:143], -v[14:15]
	ds_read_b128 v[152:155], v144 offset:1472
	v_add_f64 v[4:5], v[4:5], v[22:23]
	s_waitcnt lgkmcnt(1)
	v_mul_f64 v[22:23], v[110:111], v[134:135]
	v_fmac_f64_e32 v[22:23], v[112:113], v[130:131]
	buffer_load_dword v131, off, s[0:3], 0 offset:636
	buffer_load_dword v130, off, s[0:3], 0 offset:632
	;; [unrolled: 1-line block ×4, first 2 shown]
	ds_read_b128 v[146:149], v144 offset:1488
	ds_read_b128 v[132:135], v144 offset:1504
	v_add_f64 v[4:5], v[4:5], v[22:23]
	s_waitcnt lgkmcnt(2)
	v_mul_f64 v[22:23], v[152:153], v[126:127]
	ds_read_b128 v[124:127], v144 offset:1520
	v_fmac_f64_e32 v[22:23], v[154:155], v[120:121]
	ds_read_b128 v[120:123], v144 offset:1536
	v_accvgpr_write_b32 a191, v113
	v_add_f64 v[4:5], v[4:5], v[22:23]
	s_waitcnt lgkmcnt(3)
	v_mul_f64 v[22:23], v[146:147], v[170:171]
	v_accvgpr_write_b32 a190, v112
	v_accvgpr_write_b32 a189, v111
	v_accvgpr_write_b32 a188, v110
	v_fmac_f64_e32 v[22:23], v[148:149], v[178:179]
	s_waitcnt vmcnt(13) lgkmcnt(2)
	v_mul_f64 v[112:113], v[132:133], v[16:17]
	v_add_f64 v[4:5], v[4:5], v[22:23]
	s_waitcnt vmcnt(12)
	v_fmac_f64_e32 v[112:113], v[134:135], v[138:139]
	buffer_load_dword v128, off, s[0:3], 0 offset:648
	v_fma_f64 v[110:111], v[160:161], v[28:29], -v[26:27]
	v_add_f64 v[112:113], v[4:5], v[112:113]
	buffer_load_dword v160, off, s[0:3], 0 offset:640
	buffer_load_dword v129, off, s[0:3], 0 offset:652
	;; [unrolled: 1-line block ×3, first 2 shown]
	v_mul_f64 v[4:5], v[166:167], v[30:31]
	v_fma_f64 v[158:159], v[164:165], v[32:33], -v[4:5]
	v_accvgpr_write_b32 a186, v8
	v_accvgpr_write_b32 a185, v7
	;; [unrolled: 1-line block ×3, first 2 shown]
	v_mul_f64 v[8:9], v[36:37], v[50:51]
	v_fma_f64 v[30:31], v[34:35], v[0:1], -v[8:9]
	v_mul_f64 v[0:1], v[40:41], v[52:53]
	v_fma_f64 v[28:29], v[38:39], v[54:55], -v[0:1]
	v_mul_f64 v[38:39], v[174:175], v[98:99]
	v_fma_f64 v[26:27], v[172:173], v[176:177], -v[38:39]
	v_accvgpr_write_b32 a207, v179
	v_accvgpr_write_b32 a206, v178
	;; [unrolled: 1-line block ×3, first 2 shown]
	s_waitcnt vmcnt(13) lgkmcnt(1)
	v_mul_f64 v[114:115], v[124:125], v[12:13]
	v_accvgpr_write_b32 a210, v138
	s_waitcnt vmcnt(11)
	v_fmac_f64_e32 v[114:115], v[126:127], v[228:229]
	v_add_f64 v[112:113], v[112:113], v[114:115]
	s_waitcnt vmcnt(10) lgkmcnt(0)
	v_mul_f64 v[114:115], v[120:121], v[136:137]
	s_waitcnt vmcnt(8)
	v_fmac_f64_e32 v[114:115], v[122:123], v[140:141]
	v_add_f64 v[114:115], v[112:113], v[114:115]
	buffer_load_dword v112, off, s[0:3], 0 offset:680
	buffer_load_dword v165, off, s[0:3], 0 offset:668
	buffer_load_dword v164, off, s[0:3], 0 offset:664
	buffer_load_dword v167, off, s[0:3], 0 offset:660
	buffer_load_dword v166, off, s[0:3], 0 offset:656
	buffer_load_dword v162, off, s[0:3], 0 offset:672
	buffer_load_dword v113, off, s[0:3], 0 offset:684
	buffer_load_dword v163, off, s[0:3], 0 offset:676
	ds_read_b128 v[34:37], v144 offset:1552
	buffer_load_dword v169, off, s[0:3], 0 offset:700
	buffer_load_dword v168, off, s[0:3], 0 offset:696
	;; [unrolled: 1-line block ×12, first 2 shown]
	v_pk_mov_b32 v[138:139], v[12:13], v[12:13] op_sel:[0,1]
	v_mul_f64 v[12:13], v[182:183], v[86:87]
	v_fma_f64 v[24:25], v[180:181], v[60:61], -v[12:13]
	buffer_load_dword v180, off, s[0:3], 0 offset:744
	v_mul_f64 v[38:39], v[186:187], v[208:209]
	v_fma_f64 v[22:23], v[184:185], v[210:211], -v[38:39]
	buffer_load_dword v184, off, s[0:3], 0 offset:736
	buffer_load_dword v181, off, s[0:3], 0 offset:748
	;; [unrolled: 1-line block ×3, first 2 shown]
	v_mul_f64 v[38:39], v[190:191], v[200:201]
	v_fma_f64 v[18:19], v[188:189], v[206:207], -v[38:39]
	buffer_load_dword v182, off, s[0:3], 0 offset:776
	buffer_load_dword v189, off, s[0:3], 0 offset:764
	;; [unrolled: 1-line block ×8, first 2 shown]
	v_accvgpr_write_b32 a209, v17
	v_accvgpr_write_b32 a208, v16
	v_mul_f64 v[16:17], v[194:195], v[224:225]
	v_fma_f64 v[20:21], v[192:193], v[246:247], -v[16:17]
	buffer_load_dword v193, off, s[0:3], 0 offset:796
	buffer_load_dword v192, off, s[0:3], 0 offset:792
	;; [unrolled: 1-line block ×4, first 2 shown]
	v_mul_f64 v[16:17], v[198:199], v[96:97]
	buffer_load_dword v199, off, s[0:3], 0 offset:812
	buffer_load_dword v198, off, s[0:3], 0 offset:808
	;; [unrolled: 1-line block ×4, first 2 shown]
	v_fma_f64 v[224:225], v[196:197], v[100:101], -v[16:17]
	v_mul_f64 v[16:17], v[204:205], v[248:249]
	v_fma_f64 v[252:253], v[202:203], v[252:253], -v[16:17]
	buffer_load_dword v196, off, s[0:3], 0 offset:840
	buffer_load_dword v205, off, s[0:3], 0 offset:828
	;; [unrolled: 1-line block ×12, first 2 shown]
	ds_read_b128 v[38:41], v144 offset:1568
	v_fma_f64 v[32:33], v[42:43], v[48:49], -v[44:45]
	ds_read_b128 v[42:45], v144 offset:1584
	v_mul_f64 v[16:17], v[214:215], v[74:75]
	ds_read_b128 v[46:49], v144 offset:1600
	ds_read_b128 v[50:53], v144 offset:1616
	v_fma_f64 v[12:13], v[212:213], v[76:77], -v[16:17]
	v_mul_f64 v[70:71], v[240:241], v[70:71]
	s_waitcnt vmcnt(58) lgkmcnt(4)
	v_mul_f64 v[14:15], v[34:35], v[130:131]
	v_fma_f64 v[2:3], v[238:239], v[72:73], -v[70:71]
	s_waitcnt vmcnt(56)
	v_fmac_f64_e32 v[14:15], v[36:37], v[142:143]
	v_add_f64 v[14:15], v[114:115], v[14:15]
	ds_read_b128 v[70:73], v144 offset:1696
	ds_read_b128 v[74:77], v144 offset:1712
	v_mul_f64 v[82:83], v[104:105], v[82:83]
	v_fma_f64 v[114:115], v[102:103], v[84:85], -v[82:83]
	ds_read_b128 v[86:89], v144 offset:1760
	v_accvgpr_write_b32 a212, v228
	v_accvgpr_write_b32 a213, v229
	ds_read_b128 v[82:85], v144 offset:1744
	s_waitcnt vmcnt(53) lgkmcnt(7)
	v_mul_f64 v[16:17], v[38:39], v[128:129]
	s_waitcnt vmcnt(52)
	v_fmac_f64_e32 v[16:17], v[40:41], v[160:161]
	v_add_f64 v[14:15], v[14:15], v[16:17]
	s_waitcnt vmcnt(49) lgkmcnt(6)
	v_mul_f64 v[16:17], v[42:43], v[164:165]
	s_waitcnt vmcnt(47)
	v_fmac_f64_e32 v[16:17], v[44:45], v[166:167]
	v_add_f64 v[14:15], v[14:15], v[16:17]
	;; [unrolled: 5-line block ×3, first 2 shown]
	v_mul_f64 v[16:17], v[222:223], v[56:57]
	ds_read_b128 v[54:57], v144 offset:1632
	v_fma_f64 v[8:9], v[220:221], v[58:59], -v[16:17]
	v_mul_f64 v[58:59], v[232:233], v[62:63]
	v_fma_f64 v[6:7], v[230:231], v[64:65], -v[58:59]
	ds_read_b128 v[58:61], v144 offset:1648
	s_waitcnt vmcnt(42) lgkmcnt(6)
	v_mul_f64 v[16:17], v[50:51], v[168:169]
	s_waitcnt vmcnt(40)
	v_fmac_f64_e32 v[16:17], v[52:53], v[170:171]
	v_add_f64 v[14:15], v[14:15], v[16:17]
	s_waitcnt vmcnt(38) lgkmcnt(1)
	v_mul_f64 v[16:17], v[54:55], v[172:173]
	s_waitcnt vmcnt(36)
	v_fmac_f64_e32 v[16:17], v[56:57], v[176:177]
	v_add_f64 v[14:15], v[14:15], v[16:17]
	s_waitcnt vmcnt(34) lgkmcnt(0)
	v_mul_f64 v[16:17], v[58:59], v[174:175]
	s_waitcnt vmcnt(32)
	v_fmac_f64_e32 v[16:17], v[60:61], v[178:179]
	ds_read_b128 v[62:65], v144 offset:1664
	v_add_f64 v[14:15], v[14:15], v[16:17]
	v_mul_f64 v[16:17], v[236:237], v[66:67]
	v_fma_f64 v[4:5], v[234:235], v[68:69], -v[16:17]
	ds_read_b128 v[66:69], v144 offset:1680
	s_waitcnt vmcnt(29) lgkmcnt(1)
	v_mul_f64 v[16:17], v[62:63], v[180:181]
	s_waitcnt vmcnt(28)
	v_fmac_f64_e32 v[16:17], v[64:65], v[184:185]
	v_add_f64 v[14:15], v[14:15], v[16:17]
	s_waitcnt vmcnt(25) lgkmcnt(0)
	v_mul_f64 v[16:17], v[66:67], v[188:189]
	s_waitcnt vmcnt(23)
	v_fmac_f64_e32 v[16:17], v[68:69], v[190:191]
	v_add_f64 v[14:15], v[14:15], v[16:17]
	s_waitcnt vmcnt(21)
	v_mul_f64 v[16:17], v[70:71], v[182:183]
	s_waitcnt vmcnt(20)
	v_fmac_f64_e32 v[16:17], v[72:73], v[186:187]
	v_add_f64 v[14:15], v[14:15], v[16:17]
	v_mul_f64 v[16:17], v[244:245], v[78:79]
	v_fma_f64 v[244:245], v[242:243], v[80:81], -v[16:17]
	ds_read_b128 v[78:81], v144 offset:1728
	s_waitcnt vmcnt(18)
	v_mul_f64 v[16:17], v[74:75], v[192:193]
	s_waitcnt vmcnt(16)
	v_fmac_f64_e32 v[16:17], v[76:77], v[194:195]
	v_add_f64 v[14:15], v[14:15], v[16:17]
	s_waitcnt vmcnt(14) lgkmcnt(0)
	v_mul_f64 v[16:17], v[78:79], v[198:199]
	s_waitcnt vmcnt(12)
	v_fmac_f64_e32 v[16:17], v[80:81], v[200:201]
	v_add_f64 v[14:15], v[14:15], v[16:17]
	v_mul_f64 v[16:17], v[108:109], v[90:91]
	v_fma_f64 v[234:235], v[106:107], v[92:93], -v[16:17]
	ds_read_b128 v[90:93], v144 offset:1776
	buffer_load_dword v212, off, s[0:3], 0 offset:872
	buffer_load_dword v213, off, s[0:3], 0 offset:876
	buffer_load_dword v214, off, s[0:3], 0 offset:864
	buffer_load_dword v215, off, s[0:3], 0 offset:868
	ds_read_b128 v[94:97], v144 offset:1792
	buffer_load_dword v217, off, s[0:3], 0 offset:892
	buffer_load_dword v216, off, s[0:3], 0 offset:888
	buffer_load_dword v219, off, s[0:3], 0 offset:884
	buffer_load_dword v218, off, s[0:3], 0 offset:880
	;; [unrolled: 5-line block ×6, first 2 shown]
	s_waitcnt vmcnt(33)
	v_mul_f64 v[16:17], v[82:83], v[204:205]
	s_waitcnt vmcnt(31)
	v_fmac_f64_e32 v[16:17], v[84:85], v[208:209]
	v_add_f64 v[14:15], v[14:15], v[16:17]
	s_waitcnt vmcnt(29)
	v_mul_f64 v[16:17], v[86:87], v[196:197]
	s_waitcnt vmcnt(28)
	v_fmac_f64_e32 v[16:17], v[88:89], v[202:203]
	v_add_f64 v[14:15], v[14:15], v[16:17]
	s_waitcnt vmcnt(26) lgkmcnt(5)
	v_mul_f64 v[16:17], v[90:91], v[206:207]
	s_waitcnt vmcnt(24)
	v_fmac_f64_e32 v[16:17], v[92:93], v[210:211]
	v_add_f64 v[14:15], v[14:15], v[16:17]
	s_waitcnt vmcnt(22) lgkmcnt(4)
	;; [unrolled: 5-line block ×6, first 2 shown]
	v_mul_f64 v[16:17], v[230:231], v[240:241]
	s_waitcnt vmcnt(4)
	v_fmac_f64_e32 v[16:17], v[232:233], v[242:243]
	v_add_f64 v[0:1], v[14:15], v[16:17]
	ds_read_b128 v[14:17], v144 offset:1872
	s_waitcnt vmcnt(2) lgkmcnt(0)
	v_mul_f64 v[228:229], v[14:15], v[246:247]
	s_waitcnt vmcnt(0)
	v_fmac_f64_e32 v[228:229], v[16:17], v[248:249]
	v_add_f64 v[228:229], v[0:1], v[228:229]
	v_add_f64 v[0:1], v[226:227], 0
	;; [unrolled: 1-line block ×19, first 2 shown]
	buffer_load_dword v252, off, s[0:3], 0 offset:48
	buffer_load_dword v253, off, s[0:3], 0 offset:52
	;; [unrolled: 1-line block ×4, first 2 shown]
	v_add_f64 v[0:1], v[0:1], v[12:13]
	v_add_f64 v[0:1], v[0:1], v[10:11]
	;; [unrolled: 1-line block ×5, first 2 shown]
	v_accvgpr_read_b32 v4, a178
	v_add_f64 v[0:1], v[0:1], v[2:3]
	v_accvgpr_read_b32 v6, a180
	v_accvgpr_read_b32 v7, a181
	v_add_f64 v[226:227], v[0:1], v[244:245]
	v_mul_f64 v[2:3], v[6:7], v[150:151]
	v_accvgpr_read_b32 v6, a182
	v_add_f64 v[0:1], v[226:227], v[114:115]
	v_accvgpr_read_b32 v5, a179
	v_accvgpr_read_b32 v7, a183
	v_add_f64 v[0:1], v[0:1], v[234:235]
	v_fma_f64 v[2:3], v[4:5], v[6:7], -v[2:3]
	v_add_f64 v[0:1], v[0:1], v[2:3]
	v_accvgpr_read_b32 v4, a184
	v_accvgpr_read_b32 v2, a192
	;; [unrolled: 1-line block ×5, first 2 shown]
	v_mul_f64 v[2:3], v[6:7], v[2:3]
	v_accvgpr_read_b32 v6, a194
	v_accvgpr_read_b32 v5, a185
	;; [unrolled: 1-line block ×3, first 2 shown]
	v_fma_f64 v[2:3], v[4:5], v[6:7], -v[2:3]
	v_add_f64 v[0:1], v[0:1], v[2:3]
	v_accvgpr_read_b32 v4, a188
	v_accvgpr_read_b32 v2, a196
	;; [unrolled: 1-line block ×5, first 2 shown]
	v_mul_f64 v[2:3], v[6:7], v[2:3]
	v_accvgpr_read_b32 v6, a198
	v_accvgpr_read_b32 v5, a189
	;; [unrolled: 1-line block ×3, first 2 shown]
	v_fma_f64 v[2:3], v[4:5], v[6:7], -v[2:3]
	v_add_f64 v[0:1], v[0:1], v[2:3]
	v_accvgpr_read_b32 v2, a200
	v_accvgpr_read_b32 v3, a201
	v_accvgpr_read_b32 v4, a202
	v_mul_f64 v[2:3], v[154:155], v[2:3]
	v_accvgpr_read_b32 v5, a203
	v_fma_f64 v[2:3], v[152:153], v[4:5], -v[2:3]
	v_add_f64 v[0:1], v[0:1], v[2:3]
	v_accvgpr_read_b32 v2, a204
	v_accvgpr_read_b32 v3, a205
	v_accvgpr_read_b32 v4, a206
	v_mul_f64 v[2:3], v[148:149], v[2:3]
	v_accvgpr_read_b32 v5, a207
	;; [unrolled: 7-line block ×3, first 2 shown]
	v_fma_f64 v[2:3], v[132:133], v[4:5], -v[2:3]
	v_accvgpr_read_b32 v4, a212
	v_add_f64 v[0:1], v[0:1], v[2:3]
	v_mul_f64 v[2:3], v[126:127], v[138:139]
	v_accvgpr_read_b32 v5, a213
	v_fma_f64 v[2:3], v[124:125], v[4:5], -v[2:3]
	v_add_f64 v[0:1], v[0:1], v[2:3]
	v_mul_f64 v[2:3], v[122:123], v[136:137]
	v_fma_f64 v[2:3], v[120:121], v[140:141], -v[2:3]
	v_add_f64 v[0:1], v[0:1], v[2:3]
	v_mul_f64 v[2:3], v[36:37], v[130:131]
	;; [unrolled: 3-line block ×22, first 2 shown]
	v_fma_f64 v[2:3], v[14:15], v[248:249], -v[2:3]
	v_add_f64 v[0:1], v[0:1], v[2:3]
	s_waitcnt vmcnt(2)
	v_add_f64 v[0:1], v[252:253], -v[0:1]
	s_waitcnt vmcnt(0)
	v_add_f64 v[2:3], v[250:251], -v[228:229]
	buffer_store_dword v1, off, s[0:3], 0 offset:52
	buffer_store_dword v0, off, s[0:3], 0 offset:48
	buffer_store_dword v3, off, s[0:3], 0 offset:60
	buffer_store_dword v2, off, s[0:3], 0 offset:56
	v_accvgpr_read_b32 v0, a176
	v_cmp_lt_u32_e32 vcc, 1, v0
	s_and_saveexec_b64 s[4:5], vcc
	s_cbranch_execz .LBB58_365
; %bb.364:
	v_accvgpr_read_b32 v0, a175
	buffer_load_dword v2, v0, s[0:3], 0 offen
	buffer_load_dword v3, v0, s[0:3], 0 offen offset:4
	buffer_load_dword v4, v0, s[0:3], 0 offen offset:8
	;; [unrolled: 1-line block ×3, first 2 shown]
	v_mov_b32_e32 v0, 0
	v_accvgpr_read_b32 v1, a177
	buffer_store_dword v0, off, s[0:3], 0 offset:32
	buffer_store_dword v0, off, s[0:3], 0 offset:36
	;; [unrolled: 1-line block ×4, first 2 shown]
	s_waitcnt vmcnt(4)
	ds_write_b128 v1, v[2:5]
.LBB58_365:
	s_or_b64 exec, exec, s[4:5]
	s_waitcnt lgkmcnt(0)
	; wave barrier
	s_waitcnt lgkmcnt(0)
	buffer_load_dword v6, off, s[0:3], 0 offset:48
	buffer_load_dword v7, off, s[0:3], 0 offset:52
	;; [unrolled: 1-line block ×42, first 2 shown]
	v_mov_b32_e32 v250, 0
	buffer_load_dword v91, off, s[0:3], 0 offset:196
	buffer_load_dword v90, off, s[0:3], 0 offset:192
	;; [unrolled: 1-line block ×7, first 2 shown]
	ds_read_b128 v[104:107], v250 offset:976
	ds_read_b128 v[108:111], v250 offset:992
	;; [unrolled: 1-line block ×11, first 2 shown]
	s_waitcnt vmcnt(45) lgkmcnt(10)
	v_mul_f64 v[0:1], v[104:105], v[10:11]
	v_fmac_f64_e32 v[0:1], v[106:107], v[6:7]
	v_add_f64 v[0:1], v[0:1], 0
	v_mul_f64 v[10:11], v[106:107], v[10:11]
	s_waitcnt vmcnt(41) lgkmcnt(9)
	v_mul_f64 v[52:53], v[108:109], v[8:9]
	v_fmac_f64_e32 v[52:53], v[110:111], v[4:5]
	s_waitcnt vmcnt(39) lgkmcnt(8)
	v_mul_f64 v[54:55], v[112:113], v[2:3]
	v_add_f64 v[0:1], v[0:1], v[52:53]
	s_waitcnt vmcnt(37) lgkmcnt(6)
	v_mul_f64 v[58:59], v[132:133], v[224:225]
	v_fma_f64 v[240:241], v[104:105], v[6:7], -v[10:11]
	s_waitcnt vmcnt(35)
	v_fmac_f64_e32 v[58:59], v[134:135], v[14:15]
	v_mul_f64 v[8:9], v[110:111], v[8:9]
	s_waitcnt vmcnt(33)
	v_mul_f64 v[56:57], v[116:117], v[218:219]
	v_fma_f64 v[242:243], v[108:109], v[4:5], -v[8:9]
	s_waitcnt vmcnt(31) lgkmcnt(4)
	v_mul_f64 v[62:63], v[140:141], v[22:23]
	v_mul_f64 v[2:3], v[114:115], v[2:3]
	s_waitcnt vmcnt(29)
	v_fmac_f64_e32 v[62:63], v[142:143], v[238:239]
	v_mul_f64 v[10:11], v[134:135], v[224:225]
	s_waitcnt vmcnt(27)
	v_mul_f64 v[60:61], v[136:137], v[248:249]
	s_waitcnt vmcnt(25) lgkmcnt(2)
	v_mul_f64 v[66:67], v[148:149], v[30:31]
	v_mul_f64 v[30:31], v[150:151], v[30:31]
	s_waitcnt vmcnt(22)
	v_mul_f64 v[64:65], v[144:145], v[26:27]
	v_mul_f64 v[26:27], v[146:147], v[26:27]
	s_waitcnt vmcnt(20) lgkmcnt(1)
	v_mul_f64 v[120:121], v[152:153], v[38:39]
	s_waitcnt vmcnt(18)
	v_fmac_f64_e32 v[54:55], v[114:115], v[44:45]
	v_add_f64 v[0:1], v[0:1], v[54:55]
	s_waitcnt vmcnt(16)
	v_fmac_f64_e32 v[56:57], v[118:119], v[40:41]
	v_add_f64 v[0:1], v[0:1], v[56:57]
	;; [unrolled: 3-line block ×3, first 2 shown]
	v_add_f64 v[0:1], v[0:1], v[60:61]
	s_waitcnt vmcnt(12)
	v_fmac_f64_e32 v[64:65], v[146:147], v[28:29]
	v_add_f64 v[0:1], v[0:1], v[62:63]
	s_waitcnt vmcnt(11)
	v_fmac_f64_e32 v[66:67], v[150:151], v[32:33]
	v_add_f64 v[0:1], v[0:1], v[64:65]
	v_add_f64 v[0:1], v[0:1], v[66:67]
	buffer_load_dword v68, off, s[0:3], 0 offset:232
	buffer_load_dword v213, off, s[0:3], 0 offset:228
	;; [unrolled: 1-line block ×61, first 2 shown]
	s_waitcnt vmcnt(62)
	v_fmac_f64_e32 v[120:121], v[154:155], v[90:91]
	v_add_f64 v[0:1], v[0:1], v[120:121]
	s_waitcnt lgkmcnt(0)
	v_mul_f64 v[120:121], v[34:35], v[42:43]
	v_fmac_f64_e32 v[120:121], v[36:37], v[46:47]
	v_add_f64 v[0:1], v[0:1], v[120:121]
	v_fma_f64 v[220:221], v[112:113], v[44:45], -v[2:3]
	v_mul_f64 v[2:3], v[118:119], v[218:219]
	v_fma_f64 v[218:219], v[116:117], v[40:41], -v[2:3]
	v_mul_f64 v[36:37], v[36:37], v[42:43]
	s_waitcnt vmcnt(0)
	v_pk_mov_b32 v[234:235], v[86:87], v[86:87] op_sel:[0,1]
	buffer_load_dword v87, off, s[0:3], 0 offset:500
	buffer_load_dword v86, off, s[0:3], 0 offset:496
	v_accvgpr_write_b32 a184, v234
	v_accvgpr_write_b32 a185, v235
	s_waitcnt vmcnt(0)
	v_pk_mov_b32 v[124:125], v[86:87], v[86:87] op_sel:[0,1]
	buffer_load_dword v87, off, s[0:3], 0 offset:492
	buffer_load_dword v86, off, s[0:3], 0 offset:488
	;; [unrolled: 1-line block ×6, first 2 shown]
	v_accvgpr_write_b32 a183, v125
	v_accvgpr_write_b32 a182, v124
	s_waitcnt vmcnt(0)
	v_pk_mov_b32 v[126:127], v[122:123], v[122:123] op_sel:[0,1]
	buffer_load_dword v123, off, s[0:3], 0 offset:532
	buffer_load_dword v122, off, s[0:3], 0 offset:528
	v_accvgpr_write_b32 a199, v127
	v_accvgpr_write_b32 a198, v126
	s_waitcnt vmcnt(0)
	v_pk_mov_b32 v[128:129], v[122:123], v[122:123] op_sel:[0,1]
	buffer_load_dword v123, off, s[0:3], 0 offset:524
	buffer_load_dword v122, off, s[0:3], 0 offset:520
	;; [unrolled: 6-line block ×3, first 2 shown]
	ds_read_b128 v[156:159], v250 offset:1152
	ds_read_b128 v[160:163], v250 offset:1168
	ds_read_b128 v[164:167], v250 offset:1184
	ds_read_b128 v[168:171], v250 offset:1200
	ds_read_b128 v[172:175], v250 offset:1216
	ds_read_b128 v[176:179], v250 offset:1232
	ds_read_b128 v[180:183], v250 offset:1248
	ds_read_b128 v[184:187], v250 offset:1264
	ds_read_b128 v[188:191], v250 offset:1280
	ds_read_b128 v[192:195], v250 offset:1296
	s_waitcnt lgkmcnt(9)
	v_mul_f64 v[120:121], v[156:157], v[68:69]
	v_fmac_f64_e32 v[120:121], v[158:159], v[212:213]
	v_add_f64 v[0:1], v[0:1], v[120:121]
	s_waitcnt lgkmcnt(8)
	v_mul_f64 v[120:121], v[160:161], v[48:49]
	v_fmac_f64_e32 v[120:121], v[162:163], v[50:51]
	v_add_f64 v[0:1], v[0:1], v[120:121]
	;; [unrolled: 4-line block ×10, first 2 shown]
	v_accvgpr_write_b32 a191, v131
	v_accvgpr_write_b32 a190, v130
	v_mul_f64 v[42:43], v[162:163], v[48:49]
	s_waitcnt vmcnt(0)
	v_pk_mov_b32 v[236:237], v[122:123], v[122:123] op_sel:[0,1]
	buffer_load_dword v123, off, s[0:3], 0 offset:556
	buffer_load_dword v122, off, s[0:3], 0 offset:552
	v_accvgpr_write_b32 a192, v236
	v_accvgpr_write_b32 a193, v237
	s_waitcnt vmcnt(0)
	v_pk_mov_b32 v[244:245], v[122:123], v[122:123] op_sel:[0,1]
	buffer_load_dword v123, off, s[0:3], 0 offset:548
	buffer_load_dword v122, off, s[0:3], 0 offset:544
	ds_read_b128 v[196:199], v250 offset:1312
	v_accvgpr_write_b32 a202, v244
	v_accvgpr_write_b32 a203, v245
	s_waitcnt lgkmcnt(0)
	v_mul_f64 v[120:121], v[196:197], v[56:57]
	v_fmac_f64_e32 v[120:121], v[198:199], v[66:67]
	v_add_f64 v[0:1], v[0:1], v[120:121]
	s_waitcnt vmcnt(0)
	v_pk_mov_b32 v[246:247], v[122:123], v[122:123] op_sel:[0,1]
	buffer_load_dword v122, off, s[0:3], 0 offset:568
	buffer_load_dword v200, off, s[0:3], 0 offset:560
	;; [unrolled: 1-line block ×4, first 2 shown]
	ds_read_b128 v[82:85], v250 offset:1328
	buffer_load_dword v13, off, s[0:3], 0 offset:604
	buffer_load_dword v17, off, s[0:3], 0 offset:588
	buffer_load_dword v16, off, s[0:3], 0 offset:584
	buffer_load_dword v231, off, s[0:3], 0 offset:580
	buffer_load_dword v230, off, s[0:3], 0 offset:576
	buffer_load_dword v12, off, s[0:3], 0 offset:600
	buffer_load_dword v21, off, s[0:3], 0 offset:596
	buffer_load_dword v20, off, s[0:3], 0 offset:592
	buffer_load_dword v25, off, s[0:3], 0 offset:620
	buffer_load_dword v24, off, s[0:3], 0 offset:616
	buffer_load_dword v121, off, s[0:3], 0 offset:612
	buffer_load_dword v120, off, s[0:3], 0 offset:608
	ds_read_b128 v[104:107], v250 offset:1360
	ds_read_b128 v[108:111], v250 offset:1376
	;; [unrolled: 1-line block ×3, first 2 shown]
	s_waitcnt lgkmcnt(3)
	v_mul_f64 v[204:205], v[82:83], v[58:59]
	v_fmac_f64_e32 v[204:205], v[84:85], v[60:61]
	v_add_f64 v[0:1], v[0:1], v[204:205]
	ds_read_b128 v[204:207], v250 offset:1344
	s_waitcnt lgkmcnt(3)
	v_mul_f64 v[4:5], v[104:105], v[70:71]
	v_fmac_f64_e32 v[4:5], v[106:107], v[72:73]
	ds_read_b128 v[112:115], v250 offset:1408
	v_accvgpr_write_b32 a204, v246
	s_waitcnt lgkmcnt(1)
	v_mul_f64 v[6:7], v[204:205], v[62:63]
	v_fmac_f64_e32 v[6:7], v[206:207], v[64:65]
	v_add_f64 v[0:1], v[0:1], v[6:7]
	v_add_f64 v[0:1], v[0:1], v[4:5]
	v_mul_f64 v[4:5], v[108:109], v[74:75]
	v_fmac_f64_e32 v[4:5], v[110:111], v[76:77]
	v_add_f64 v[0:1], v[0:1], v[4:5]
	ds_read_b128 v[2:5], v250 offset:1424
	v_mul_f64 v[6:7], v[208:209], v[202:203]
	v_fmac_f64_e32 v[6:7], v[210:211], v[18:19]
	v_add_f64 v[0:1], v[0:1], v[6:7]
	s_waitcnt lgkmcnt(1)
	v_mul_f64 v[6:7], v[112:113], v[86:87]
	v_fmac_f64_e32 v[6:7], v[114:115], v[88:89]
	v_add_f64 v[0:1], v[0:1], v[6:7]
	s_waitcnt lgkmcnt(0)
	v_mul_f64 v[6:7], v[2:3], v[234:235]
	v_accvgpr_write_b32 a181, v5
	v_fmac_f64_e32 v[6:7], v[4:5], v[124:125]
	v_accvgpr_write_b32 a180, v4
	v_accvgpr_write_b32 a179, v3
	;; [unrolled: 1-line block ×3, first 2 shown]
	ds_read_b128 v[2:5], v250 offset:1440
	v_add_f64 v[0:1], v[0:1], v[6:7]
	ds_read_b128 v[6:9], v250 offset:1456
	v_fma_f64 v[234:235], v[132:133], v[14:15], -v[10:11]
	v_mul_f64 v[14:15], v[138:139], v[248:249]
	v_fma_f64 v[224:225], v[136:137], v[252:253], -v[14:15]
	ds_read_b128 v[252:255], v250 offset:1472
	s_waitcnt lgkmcnt(2)
	v_mul_f64 v[40:41], v[2:3], v[130:131]
	v_accvgpr_write_b32 a189, v5
	v_fmac_f64_e32 v[40:41], v[4:5], v[236:237]
	v_accvgpr_write_b32 a188, v4
	v_accvgpr_write_b32 a187, v3
	;; [unrolled: 1-line block ×3, first 2 shown]
	s_waitcnt lgkmcnt(1)
	v_mul_f64 v[4:5], v[6:7], v[126:127]
	v_add_f64 v[0:1], v[0:1], v[40:41]
	v_fmac_f64_e32 v[4:5], v[8:9], v[128:129]
	v_add_f64 v[0:1], v[0:1], v[4:5]
	s_waitcnt lgkmcnt(0)
	v_mul_f64 v[4:5], v[252:253], v[244:245]
	v_fmac_f64_e32 v[4:5], v[254:255], v[246:247]
	v_add_f64 v[0:1], v[0:1], v[4:5]
	v_mul_f64 v[4:5], v[142:143], v[22:23]
	v_accvgpr_write_b32 a205, v247
	ds_read_b128 v[246:249], v250 offset:1488
	v_fma_f64 v[118:119], v[140:141], v[238:239], -v[4:5]
	buffer_load_dword v238, off, s[0:3], 0 offset:632
	buffer_load_dword v239, off, s[0:3], 0 offset:636
	ds_read_b128 v[132:135], v250 offset:1504
	buffer_load_dword v236, off, s[0:3], 0 offset:624
	buffer_load_dword v237, off, s[0:3], 0 offset:628
	ds_read_b128 v[128:131], v250 offset:1520
	ds_read_b128 v[124:127], v250 offset:1536
	v_fma_f64 v[136:137], v[144:145], v[28:29], -v[26:27]
	v_accvgpr_write_b32 a197, v9
	v_accvgpr_write_b32 a196, v8
	;; [unrolled: 1-line block ×4, first 2 shown]
	v_mul_f64 v[8:9], v[158:159], v[68:69]
	v_fma_f64 v[40:41], v[148:149], v[32:33], -v[30:31]
	v_fma_f64 v[28:29], v[34:35], v[46:47], -v[36:37]
	;; [unrolled: 1-line block ×4, first 2 shown]
	s_waitcnt vmcnt(13) lgkmcnt(2)
	v_mul_f64 v[44:45], v[132:133], v[16:17]
	v_mul_f64 v[42:43], v[166:167], v[216:217]
	s_waitcnt vmcnt(11)
	v_fmac_f64_e32 v[44:45], v[134:135], v[230:231]
	s_waitcnt vmcnt(10)
	v_accvgpr_write_b32 a213, v13
	v_accvgpr_write_b32 a212, v12
	v_accvgpr_write_b32 a211, v17
	v_accvgpr_write_b32 a207, v123
	v_mul_f64 v[22:23], v[246:247], v[122:123]
	v_accvgpr_write_b32 a206, v122
	buffer_load_dword v123, off, s[0:3], 0 offset:652
	buffer_load_dword v122, off, s[0:3], 0 offset:648
	;; [unrolled: 1-line block ×4, first 2 shown]
	v_fmac_f64_e32 v[22:23], v[248:249], v[200:201]
	v_add_f64 v[0:1], v[0:1], v[22:23]
	v_add_f64 v[0:1], v[0:1], v[44:45]
	s_waitcnt lgkmcnt(1)
	v_mul_f64 v[44:45], v[128:129], v[12:13]
	buffer_load_dword v140, off, s[0:3], 0 offset:664
	buffer_load_dword v142, off, s[0:3], 0 offset:656
	;; [unrolled: 1-line block ×4, first 2 shown]
	s_waitcnt vmcnt(16)
	v_fmac_f64_e32 v[44:45], v[130:131], v[20:21]
	v_add_f64 v[44:45], v[0:1], v[44:45]
	v_mul_f64 v[0:1], v[154:155], v[38:39]
	v_fma_f64 v[38:39], v[152:153], v[90:91], -v[0:1]
	buffer_load_dword v145, off, s[0:3], 0 offset:700
	buffer_load_dword v147, off, s[0:3], 0 offset:684
	;; [unrolled: 1-line block ×8, first 2 shown]
	ds_read_b128 v[34:37], v250 offset:1552
	buffer_load_dword v148, off, s[0:3], 0 offset:728
	buffer_load_dword v155, off, s[0:3], 0 offset:716
	buffer_load_dword v154, off, s[0:3], 0 offset:712
	buffer_load_dword v157, off, s[0:3], 0 offset:708
	buffer_load_dword v156, off, s[0:3], 0 offset:704
	buffer_load_dword v158, off, s[0:3], 0 offset:720
	buffer_load_dword v149, off, s[0:3], 0 offset:732
	buffer_load_dword v159, off, s[0:3], 0 offset:724
	buffer_load_dword v161, off, s[0:3], 0 offset:748
	buffer_load_dword v160, off, s[0:3], 0 offset:744
	buffer_load_dword v163, off, s[0:3], 0 offset:740
	buffer_load_dword v162, off, s[0:3], 0 offset:736
	v_mul_f64 v[12:13], v[170:171], v[214:215]
	v_fma_f64 v[22:23], v[168:169], v[102:103], -v[12:13]
	buffer_load_dword v166, off, s[0:3], 0 offset:760
	buffer_load_dword v168, off, s[0:3], 0 offset:752
	;; [unrolled: 1-line block ×4, first 2 shown]
	s_waitcnt vmcnt(38)
	v_accvgpr_write_b32 a215, v25
	s_waitcnt lgkmcnt(1)
	v_mul_f64 v[116:117], v[124:125], v[24:25]
	v_accvgpr_write_b32 a214, v24
	v_fma_f64 v[24:25], v[164:165], v[222:223], -v[42:43]
	v_mul_f64 v[42:43], v[174:175], v[228:229]
	v_fma_f64 v[30:31], v[172:173], v[232:233], -v[42:43]
	buffer_load_dword v165, off, s[0:3], 0 offset:796
	buffer_load_dword v171, off, s[0:3], 0 offset:780
	;; [unrolled: 1-line block ×8, first 2 shown]
	v_accvgpr_write_b32 a210, v16
	v_mul_f64 v[16:17], v[178:179], v[226:227]
	v_fma_f64 v[16:17], v[176:177], v[100:101], -v[16:17]
	ds_read_b128 v[226:229], v250 offset:1568
	buffer_load_dword v177, off, s[0:3], 0 offset:812
	buffer_load_dword v176, off, s[0:3], 0 offset:808
	;; [unrolled: 1-line block ×4, first 2 shown]
	v_accvgpr_write_b32 a217, v21
	v_accvgpr_write_b32 a216, v20
	v_mul_f64 v[46:47], v[182:183], v[96:97]
	v_mul_f64 v[20:21], v[186:187], v[80:81]
	v_fma_f64 v[14:15], v[180:181], v[98:99], -v[46:47]
	v_fma_f64 v[20:21], v[184:185], v[94:95], -v[20:21]
	buffer_load_dword v180, off, s[0:3], 0 offset:824
	buffer_load_dword v182, off, s[0:3], 0 offset:816
	;; [unrolled: 1-line block ×8, first 2 shown]
	s_waitcnt vmcnt(56)
	v_fmac_f64_e32 v[116:117], v[126:127], v[120:121]
	v_add_f64 v[44:45], v[44:45], v[116:117]
	v_mul_f64 v[46:47], v[194:195], v[52:53]
	v_fma_f64 v[10:11], v[192:193], v[54:55], -v[46:47]
	v_mul_f64 v[50:51], v[198:199], v[56:57]
	v_fma_f64 v[8:9], v[196:197], v[66:67], -v[50:51]
	;; [unrolled: 2-line block ×8, first 2 shown]
	v_accvgpr_write_b32 a209, v201
	s_waitcnt vmcnt(54) lgkmcnt(1)
	v_mul_f64 v[42:43], v[34:35], v[238:239]
	v_accvgpr_write_b32 a208, v200
	s_waitcnt vmcnt(52)
	v_fmac_f64_e32 v[42:43], v[36:37], v[236:237]
	v_add_f64 v[42:43], v[44:45], v[42:43]
	v_mul_f64 v[44:45], v[190:191], v[78:79]
	v_fma_f64 v[12:13], v[188:189], v[92:93], -v[44:45]
	buffer_load_dword v188, off, s[0:3], 0 offset:856
	buffer_load_dword v190, off, s[0:3], 0 offset:848
	;; [unrolled: 1-line block ×4, first 2 shown]
	ds_read_b128 v[50:53], v250 offset:1616
	ds_read_b128 v[58:61], v250 offset:1648
	;; [unrolled: 1-line block ×8, first 2 shown]
	s_waitcnt vmcnt(54) lgkmcnt(8)
	v_mul_f64 v[44:45], v[226:227], v[122:123]
	s_waitcnt vmcnt(52)
	v_fmac_f64_e32 v[44:45], v[228:229], v[138:139]
	v_add_f64 v[68:69], v[42:43], v[44:45]
	ds_read_b128 v[42:45], v250 offset:1584
	s_waitcnt vmcnt(45) lgkmcnt(6)
	v_mul_f64 v[56:57], v[46:47], v[146:147]
	s_waitcnt lgkmcnt(0)
	v_mul_f64 v[54:55], v[42:43], v[140:141]
	v_fmac_f64_e32 v[54:55], v[44:45], v[142:143]
	v_add_f64 v[54:55], v[68:69], v[54:55]
	s_waitcnt vmcnt(43)
	v_fmac_f64_e32 v[56:57], v[48:49], v[152:153]
	v_add_f64 v[54:55], v[54:55], v[56:57]
	s_waitcnt vmcnt(42)
	v_mul_f64 v[56:57], v[50:51], v[144:145]
	s_waitcnt vmcnt(40)
	v_fmac_f64_e32 v[56:57], v[52:53], v[150:151]
	v_add_f64 v[66:67], v[54:55], v[56:57]
	ds_read_b128 v[54:57], v250 offset:1632
	s_waitcnt vmcnt(37) lgkmcnt(0)
	v_mul_f64 v[68:69], v[54:55], v[154:155]
	s_waitcnt vmcnt(35)
	v_fmac_f64_e32 v[68:69], v[56:57], v[156:157]
	v_add_f64 v[66:67], v[66:67], v[68:69]
	s_waitcnt vmcnt(33)
	v_mul_f64 v[68:69], v[58:59], v[148:149]
	s_waitcnt vmcnt(32)
	v_fmac_f64_e32 v[68:69], v[60:61], v[158:159]
	v_add_f64 v[66:67], v[66:67], v[68:69]
	s_waitcnt vmcnt(30)
	v_mul_f64 v[68:69], v[62:63], v[160:161]
	s_waitcnt vmcnt(28)
	v_fmac_f64_e32 v[68:69], v[64:65], v[162:163]
	v_add_f64 v[78:79], v[66:67], v[68:69]
	ds_read_b128 v[66:69], v250 offset:1680
	s_waitcnt vmcnt(25) lgkmcnt(0)
	v_mul_f64 v[80:81], v[66:67], v[166:167]
	s_waitcnt vmcnt(24)
	v_fmac_f64_e32 v[80:81], v[68:69], v[168:169]
	v_add_f64 v[78:79], v[78:79], v[80:81]
	s_waitcnt vmcnt(21)
	v_mul_f64 v[80:81], v[70:71], v[170:171]
	;; [unrolled: 16-line block ×3, first 2 shown]
	s_waitcnt vmcnt(8)
	v_fmac_f64_e32 v[90:91], v[84:85], v[182:183]
	v_add_f64 v[32:33], v[32:33], v[90:91]
	s_waitcnt vmcnt(6)
	v_mul_f64 v[90:91], v[86:87], v[184:185]
	s_waitcnt vmcnt(4)
	v_fmac_f64_e32 v[90:91], v[88:89], v[186:187]
	v_add_f64 v[32:33], v[32:33], v[90:91]
	ds_read_b128 v[90:93], v250 offset:1776
	buffer_load_dword v193, off, s[0:3], 0 offset:876
	buffer_load_dword v192, off, s[0:3], 0 offset:872
	buffer_load_dword v195, off, s[0:3], 0 offset:868
	buffer_load_dword v194, off, s[0:3], 0 offset:864
	s_waitcnt vmcnt(5) lgkmcnt(0)
	v_mul_f64 v[94:95], v[90:91], v[188:189]
	s_waitcnt vmcnt(4)
	v_fmac_f64_e32 v[94:95], v[92:93], v[190:191]
	v_add_f64 v[32:33], v[32:33], v[94:95]
	ds_read_b128 v[94:97], v250 offset:1792
	buffer_load_dword v196, off, s[0:3], 0 offset:888
	buffer_load_dword v197, off, s[0:3], 0 offset:892
	buffer_load_dword v198, off, s[0:3], 0 offset:880
	buffer_load_dword v199, off, s[0:3], 0 offset:884
	s_waitcnt vmcnt(6) lgkmcnt(0)
	;; [unrolled: 10-line block ×6, first 2 shown]
	v_mul_f64 v[114:115], v[110:111], v[208:209]
	s_waitcnt vmcnt(4)
	v_fmac_f64_e32 v[114:115], v[112:113], v[210:211]
	v_add_f64 v[32:33], v[32:33], v[114:115]
	ds_read_b128 v[114:117], v250 offset:1872
	s_waitcnt vmcnt(2) lgkmcnt(0)
	v_mul_f64 v[232:233], v[114:115], v[214:215]
	s_waitcnt vmcnt(0)
	v_fmac_f64_e32 v[232:233], v[116:117], v[216:217]
	v_add_f64 v[232:233], v[32:33], v[232:233]
	v_add_f64 v[32:33], v[240:241], 0
	;; [unrolled: 1-line block ×26, first 2 shown]
	buffer_load_dword v4, off, s[0:3], 0 offset:32
	buffer_load_dword v5, off, s[0:3], 0 offset:36
	v_add_f64 v[2:3], v[2:3], v[244:245]
	buffer_load_dword v218, off, s[0:3], 0 offset:40
	buffer_load_dword v219, off, s[0:3], 0 offset:44
	v_add_f64 v[0:1], v[2:3], v[0:1]
	v_accvgpr_read_b32 v6, a178
	v_accvgpr_read_b32 v2, a184
	v_accvgpr_read_b32 v8, a180
	v_accvgpr_read_b32 v9, a181
	v_accvgpr_read_b32 v3, a185
	v_mul_f64 v[2:3], v[8:9], v[2:3]
	v_accvgpr_read_b32 v8, a182
	v_accvgpr_read_b32 v7, a179
	;; [unrolled: 1-line block ×3, first 2 shown]
	v_add_f64 v[0:1], v[0:1], v[222:223]
	v_fma_f64 v[2:3], v[6:7], v[8:9], -v[2:3]
	v_add_f64 v[0:1], v[0:1], v[2:3]
	v_accvgpr_read_b32 v6, a186
	v_accvgpr_read_b32 v2, a190
	;; [unrolled: 1-line block ×5, first 2 shown]
	v_mul_f64 v[2:3], v[8:9], v[2:3]
	v_accvgpr_read_b32 v8, a192
	v_accvgpr_read_b32 v7, a187
	;; [unrolled: 1-line block ×3, first 2 shown]
	v_fma_f64 v[2:3], v[6:7], v[8:9], -v[2:3]
	v_add_f64 v[0:1], v[0:1], v[2:3]
	v_accvgpr_read_b32 v6, a194
	v_accvgpr_read_b32 v2, a198
	;; [unrolled: 1-line block ×5, first 2 shown]
	v_mul_f64 v[2:3], v[8:9], v[2:3]
	v_accvgpr_read_b32 v8, a200
	v_accvgpr_read_b32 v7, a195
	;; [unrolled: 1-line block ×3, first 2 shown]
	v_fma_f64 v[2:3], v[6:7], v[8:9], -v[2:3]
	v_add_f64 v[0:1], v[0:1], v[2:3]
	v_accvgpr_read_b32 v2, a202
	v_accvgpr_read_b32 v3, a203
	;; [unrolled: 1-line block ×3, first 2 shown]
	v_mul_f64 v[2:3], v[254:255], v[2:3]
	v_accvgpr_read_b32 v7, a205
	v_fma_f64 v[2:3], v[252:253], v[6:7], -v[2:3]
	v_add_f64 v[0:1], v[0:1], v[2:3]
	v_accvgpr_read_b32 v2, a206
	v_accvgpr_read_b32 v3, a207
	;; [unrolled: 1-line block ×3, first 2 shown]
	v_mul_f64 v[2:3], v[248:249], v[2:3]
	v_accvgpr_read_b32 v7, a209
	v_fma_f64 v[2:3], v[246:247], v[6:7], -v[2:3]
	v_add_f64 v[0:1], v[0:1], v[2:3]
	v_accvgpr_read_b32 v2, a210
	v_accvgpr_read_b32 v3, a211
	v_mul_f64 v[2:3], v[134:135], v[2:3]
	v_fma_f64 v[2:3], v[132:133], v[230:231], -v[2:3]
	v_add_f64 v[0:1], v[0:1], v[2:3]
	v_accvgpr_read_b32 v2, a212
	v_accvgpr_read_b32 v3, a213
	;; [unrolled: 1-line block ×3, first 2 shown]
	v_mul_f64 v[2:3], v[130:131], v[2:3]
	v_accvgpr_read_b32 v7, a217
	v_fma_f64 v[2:3], v[128:129], v[6:7], -v[2:3]
	v_add_f64 v[0:1], v[0:1], v[2:3]
	v_accvgpr_read_b32 v2, a214
	v_accvgpr_read_b32 v3, a215
	v_mul_f64 v[2:3], v[126:127], v[2:3]
	v_fma_f64 v[2:3], v[124:125], v[120:121], -v[2:3]
	v_add_f64 v[0:1], v[0:1], v[2:3]
	v_mul_f64 v[2:3], v[36:37], v[238:239]
	v_fma_f64 v[2:3], v[34:35], v[236:237], -v[2:3]
	v_add_f64 v[0:1], v[0:1], v[2:3]
	;; [unrolled: 3-line block ×22, first 2 shown]
	s_waitcnt vmcnt(2)
	v_add_f64 v[0:1], v[4:5], -v[0:1]
	s_waitcnt vmcnt(0)
	v_add_f64 v[2:3], v[218:219], -v[232:233]
	buffer_store_dword v1, off, s[0:3], 0 offset:36
	buffer_store_dword v0, off, s[0:3], 0 offset:32
	;; [unrolled: 1-line block ×4, first 2 shown]
	v_accvgpr_read_b32 v0, a176
	v_cmp_ne_u32_e32 vcc, 0, v0
	s_and_saveexec_b64 s[4:5], vcc
	s_cbranch_execz .LBB58_367
; %bb.366:
	buffer_load_dword v2, off, s[0:3], 0 offset:16
	buffer_load_dword v3, off, s[0:3], 0 offset:20
	;; [unrolled: 1-line block ×4, first 2 shown]
	v_accvgpr_read_b32 v0, a177
	buffer_store_dword v250, off, s[0:3], 0 offset:16
	buffer_store_dword v250, off, s[0:3], 0 offset:20
	;; [unrolled: 1-line block ×4, first 2 shown]
	s_waitcnt vmcnt(4)
	ds_write_b128 v0, v[2:5]
.LBB58_367:
	s_or_b64 exec, exec, s[4:5]
	s_waitcnt lgkmcnt(0)
	; wave barrier
	s_waitcnt lgkmcnt(0)
	buffer_load_dword v6, off, s[0:3], 0 offset:32
	buffer_load_dword v7, off, s[0:3], 0 offset:36
	;; [unrolled: 1-line block ×42, first 2 shown]
	ds_read_b128 v[112:115], v250 offset:960
	ds_read_b128 v[132:135], v250 offset:976
	;; [unrolled: 1-line block ×10, first 2 shown]
	buffer_load_dword v111, off, s[0:3], 0 offset:180
	buffer_load_dword v110, off, s[0:3], 0 offset:176
	ds_read_b128 v[68:71], v250 offset:1120
	buffer_load_dword v77, off, s[0:3], 0 offset:236
	buffer_load_dword v76, off, s[0:3], 0 offset:232
	;; [unrolled: 1-line block ×6, first 2 shown]
	s_and_b64 vcc, exec, s[20:21]
	s_waitcnt vmcnt(46) lgkmcnt(10)
	v_mul_f64 v[50:51], v[112:113], v[8:9]
	v_fmac_f64_e32 v[50:51], v[114:115], v[6:7]
	v_add_f64 v[50:51], v[50:51], 0
	v_mul_f64 v[114:115], v[114:115], v[8:9]
	s_waitcnt vmcnt(42) lgkmcnt(9)
	v_mul_f64 v[52:53], v[132:133], v[4:5]
	v_fmac_f64_e32 v[52:53], v[134:135], v[0:1]
	s_waitcnt vmcnt(40) lgkmcnt(8)
	v_mul_f64 v[54:55], v[136:137], v[2:3]
	v_add_f64 v[50:51], v[50:51], v[52:53]
	s_waitcnt vmcnt(38) lgkmcnt(6)
	v_mul_f64 v[58:59], v[144:145], v[120:121]
	v_fma_f64 v[6:7], v[112:113], v[6:7], -v[114:115]
	s_waitcnt vmcnt(36)
	v_fmac_f64_e32 v[58:59], v[146:147], v[248:249]
	v_accvgpr_write_b32 a227, v7
	s_waitcnt vmcnt(34)
	v_mul_f64 v[56:57], v[140:141], v[32:33]
	v_accvgpr_write_b32 a226, v6
	s_waitcnt vmcnt(32) lgkmcnt(4)
	v_mul_f64 v[62:63], v[152:153], v[16:17]
	v_mul_f64 v[4:5], v[134:135], v[4:5]
	s_waitcnt vmcnt(30)
	v_fmac_f64_e32 v[62:63], v[154:155], v[18:19]
	v_fma_f64 v[246:247], v[132:133], v[0:1], -v[4:5]
	s_waitcnt vmcnt(28)
	v_mul_f64 v[60:61], v[148:149], v[20:21]
	v_mul_f64 v[2:3], v[138:139], v[2:3]
	s_waitcnt vmcnt(26) lgkmcnt(2)
	v_mul_f64 v[66:67], v[160:161], v[22:23]
	v_mul_f64 v[4:5], v[142:143], v[32:33]
	;; [unrolled: 1-line block ×3, first 2 shown]
	s_waitcnt vmcnt(23)
	v_mul_f64 v[64:65], v[156:157], v[26:27]
	v_mul_f64 v[16:17], v[154:155], v[16:17]
	s_waitcnt vmcnt(21) lgkmcnt(1)
	v_mul_f64 v[116:117], v[28:29], v[228:229]
	v_mul_f64 v[26:27], v[158:159], v[26:27]
	s_waitcnt vmcnt(19)
	v_fmac_f64_e32 v[54:55], v[138:139], v[46:47]
	v_add_f64 v[50:51], v[50:51], v[54:55]
	s_waitcnt vmcnt(17)
	v_fmac_f64_e32 v[56:57], v[142:143], v[42:43]
	v_add_f64 v[50:51], v[50:51], v[56:57]
	s_waitcnt vmcnt(15)
	v_fmac_f64_e32 v[60:61], v[150:151], v[40:41]
	v_add_f64 v[50:51], v[50:51], v[58:59]
	v_add_f64 v[50:51], v[50:51], v[60:61]
	s_waitcnt vmcnt(13)
	v_fmac_f64_e32 v[64:65], v[158:159], v[38:39]
	v_add_f64 v[50:51], v[50:51], v[62:63]
	s_waitcnt vmcnt(12)
	v_fmac_f64_e32 v[66:67], v[162:163], v[36:37]
	v_add_f64 v[50:51], v[50:51], v[64:65]
	v_add_f64 v[118:119], v[50:51], v[66:67]
	buffer_load_dword v241, off, s[0:3], 0 offset:212
	buffer_load_dword v240, off, s[0:3], 0 offset:208
	;; [unrolled: 1-line block ×68, first 2 shown]
	s_waitcnt vmcnt(62)
	v_fmac_f64_e32 v[116:117], v[30:31], v[110:111]
	v_add_f64 v[116:117], v[118:119], v[116:117]
	s_waitcnt lgkmcnt(0)
	v_mul_f64 v[118:119], v[68:69], v[44:45]
	v_fmac_f64_e32 v[118:119], v[70:71], v[48:49]
	v_add_f64 v[116:117], v[116:117], v[118:119]
	v_fma_f64 v[132:133], v[136:137], v[46:47], -v[2:3]
	v_mul_f64 v[120:121], v[146:147], v[120:121]
	v_mul_f64 v[22:23], v[162:163], v[22:23]
	v_fma_f64 v[22:23], v[160:161], v[36:37], -v[22:23]
	v_mul_f64 v[30:31], v[30:31], v[228:229]
	v_fma_f64 v[138:139], v[28:29], v[110:111], -v[30:31]
	s_waitcnt vmcnt(0)
	v_pk_mov_b32 v[130:131], v[128:129], v[128:129] op_sel:[0,1]
	buffer_load_dword v129, off, s[0:3], 0 offset:516
	buffer_load_dword v128, off, s[0:3], 0 offset:512
	;; [unrolled: 1-line block ×4, first 2 shown]
	v_accvgpr_write_b32 a185, v131
	v_accvgpr_write_b32 a184, v130
	s_waitcnt vmcnt(2)
	v_accvgpr_write_b32 a191, v129
	v_accvgpr_write_b32 a190, v128
	s_waitcnt vmcnt(0)
	v_pk_mov_b32 v[222:223], v[164:165], v[164:165] op_sel:[0,1]
	buffer_load_dword v165, off, s[0:3], 0 offset:500
	buffer_load_dword v164, off, s[0:3], 0 offset:496
	ds_read_b128 v[172:175], v250 offset:1168
	ds_read_b128 v[176:179], v250 offset:1184
	;; [unrolled: 1-line block ×10, first 2 shown]
	v_accvgpr_write_b32 a180, v222
	v_accvgpr_write_b32 a181, v223
	ds_read_b128 v[168:171], v250 offset:1152
	s_waitcnt vmcnt(0)
	v_pk_mov_b32 v[236:237], v[164:165], v[164:165] op_sel:[0,1]
	ds_read_b128 v[164:167], v250 offset:1136
	v_accvgpr_write_b32 a182, v236
	v_accvgpr_write_b32 a183, v237
	s_waitcnt lgkmcnt(0)
	v_mul_f64 v[118:119], v[164:165], v[94:95]
	v_fmac_f64_e32 v[118:119], v[166:167], v[240:241]
	v_add_f64 v[116:117], v[116:117], v[118:119]
	v_mul_f64 v[118:119], v[168:169], v[76:77]
	v_fmac_f64_e32 v[118:119], v[170:171], v[88:89]
	v_add_f64 v[116:117], v[116:117], v[118:119]
	;; [unrolled: 3-line block ×11, first 2 shown]
	buffer_load_dword v119, off, s[0:3], 0 offset:540
	buffer_load_dword v118, off, s[0:3], 0 offset:536
	s_waitcnt vmcnt(0)
	v_pk_mov_b32 v[230:231], v[118:119], v[118:119] op_sel:[0,1]
	buffer_load_dword v119, off, s[0:3], 0 offset:532
	buffer_load_dword v118, off, s[0:3], 0 offset:528
	ds_read_b128 v[212:215], v250 offset:1328
	buffer_load_dword v122, off, s[0:3], 0 offset:552
	buffer_load_dword v123, off, s[0:3], 0 offset:556
	;; [unrolled: 1-line block ×17, first 2 shown]
	v_accvgpr_write_b32 a196, v230
	v_accvgpr_write_b32 a197, v231
	s_waitcnt vmcnt(7)
	v_accvgpr_write_b32 a216, v252
	v_accvgpr_write_b32 a201, v123
	;; [unrolled: 1-line block ×4, first 2 shown]
	v_pk_mov_b32 v[244:245], v[118:119], v[118:119] op_sel:[0,1]
	v_mul_f64 v[118:119], v[208:209], v[50:51]
	v_fmac_f64_e32 v[118:119], v[210:211], v[52:53]
	s_waitcnt vmcnt(0)
	v_pk_mov_b32 v[114:115], v[112:113], v[112:113] op_sel:[0,1]
	buffer_load_dword v112, off, s[0:3], 0 offset:608
	buffer_load_dword v7, off, s[0:3], 0 offset:620
	;; [unrolled: 1-line block ×3, first 2 shown]
	ds_read_b128 v[10:13], v250 offset:1344
	ds_read_b128 v[232:235], v250 offset:1360
	v_add_f64 v[116:117], v[116:117], v[118:119]
	s_waitcnt lgkmcnt(2)
	v_mul_f64 v[118:119], v[212:213], v[56:57]
	v_fmac_f64_e32 v[118:119], v[214:215], v[58:59]
	v_add_f64 v[8:9], v[116:117], v[118:119]
	ds_read_b128 v[116:119], v250 offset:1376
	ds_read_b128 v[32:35], v250 offset:1408
	s_waitcnt lgkmcnt(3)
	v_mul_f64 v[0:1], v[10:11], v[60:61]
	v_fmac_f64_e32 v[0:1], v[12:13], v[72:73]
	s_waitcnt lgkmcnt(2)
	v_mul_f64 v[2:3], v[232:233], v[226:227]
	v_add_f64 v[0:1], v[8:9], v[0:1]
	v_fmac_f64_e32 v[2:3], v[234:235], v[62:63]
	v_add_f64 v[0:1], v[0:1], v[2:3]
	s_waitcnt lgkmcnt(1)
	v_mul_f64 v[2:3], v[116:117], v[84:85]
	v_fmac_f64_e32 v[2:3], v[118:119], v[74:75]
	v_add_f64 v[46:47], v[0:1], v[2:3]
	ds_read_b128 v[0:3], v250 offset:1392
	ds_read_b128 v[134:137], v250 offset:1424
	v_fma_f64 v[8:9], v[140:141], v[42:43], -v[4:5]
	v_fma_f64 v[140:141], v[144:145], v[248:249], -v[120:121]
	v_accvgpr_write_b32 a198, v244
	s_waitcnt lgkmcnt(1)
	v_mul_f64 v[42:43], v[0:1], v[80:81]
	v_fmac_f64_e32 v[42:43], v[2:3], v[82:83]
	v_add_f64 v[42:43], v[46:47], v[42:43]
	v_mul_f64 v[46:47], v[32:33], v[218:219]
	v_fmac_f64_e32 v[46:47], v[34:35], v[86:87]
	v_add_f64 v[42:43], v[42:43], v[46:47]
	s_waitcnt lgkmcnt(0)
	v_mul_f64 v[46:47], v[134:135], v[222:223]
	v_accvgpr_write_b32 a179, v137
	v_fmac_f64_e32 v[46:47], v[136:137], v[236:237]
	v_accvgpr_write_b32 a178, v136
	v_accvgpr_write_b32 a177, v135
	;; [unrolled: 1-line block ×3, first 2 shown]
	ds_read_b128 v[134:137], v250 offset:1440
	v_add_f64 v[42:43], v[42:43], v[46:47]
	v_fma_f64 v[46:47], v[148:149], v[40:41], -v[20:21]
	buffer_load_dword v237, off, s[0:3], 0 offset:636
	buffer_load_dword v236, off, s[0:3], 0 offset:632
	v_fma_f64 v[20:21], v[152:153], v[18:19], -v[16:17]
	s_waitcnt lgkmcnt(0)
	v_mul_f64 v[40:41], v[134:135], v[130:131]
	v_fmac_f64_e32 v[40:41], v[136:137], v[128:129]
	ds_read_b128 v[128:131], v250 offset:1456
	v_accvgpr_write_b32 a189, v137
	v_add_f64 v[40:41], v[42:43], v[40:41]
	v_accvgpr_write_b32 a188, v136
	v_accvgpr_write_b32 a187, v135
	s_waitcnt lgkmcnt(0)
	v_mul_f64 v[18:19], v[128:129], v[230:231]
	v_fmac_f64_e32 v[18:19], v[130:131], v[244:245]
	v_accvgpr_write_b32 a195, v131
	v_accvgpr_write_b32 a186, v134
	;; [unrolled: 1-line block ×5, first 2 shown]
	ds_read_b128 v[128:131], v250 offset:1472
	v_add_f64 v[18:19], v[40:41], v[18:19]
	v_fma_f64 v[134:135], v[156:157], v[38:39], -v[26:27]
	ds_read_b128 v[38:41], v250 offset:1488
	buffer_load_dword v249, off, s[0:3], 0 offset:628
	buffer_load_dword v248, off, s[0:3], 0 offset:624
	s_waitcnt lgkmcnt(1)
	v_mul_f64 v[26:27], v[128:129], v[122:123]
	v_accvgpr_write_b32 a205, v131
	v_fmac_f64_e32 v[26:27], v[130:131], v[126:127]
	s_waitcnt lgkmcnt(0)
	v_pk_mov_b32 v[42:43], v[40:41], v[40:41] op_sel:[0,1]
	v_accvgpr_write_b32 a204, v130
	v_accvgpr_write_b32 a203, v129
	;; [unrolled: 1-line block ×3, first 2 shown]
	v_pk_mov_b32 v[40:41], v[38:39], v[38:39] op_sel:[0,1]
	ds_read_b128 v[128:131], v250 offset:1504
	v_mul_f64 v[38:39], v[40:41], v[124:125]
	v_accvgpr_write_b32 a214, v242
	v_accvgpr_write_b32 a199, v245
	v_fmac_f64_e32 v[38:39], v[42:43], v[242:243]
	v_accvgpr_write_b32 a215, v243
	ds_read_b128 v[242:245], v250 offset:1520
	v_add_f64 v[18:19], v[18:19], v[26:27]
	s_waitcnt lgkmcnt(1)
	v_mul_f64 v[36:37], v[128:129], v[252:253]
	v_accvgpr_write_b32 a211, v125
	v_add_f64 v[18:19], v[18:19], v[38:39]
	v_fmac_f64_e32 v[36:37], v[130:131], v[220:221]
	v_accvgpr_write_b32 a220, v224
	v_accvgpr_write_b32 a210, v124
	ds_read_b128 v[124:127], v250 offset:1536
	v_add_f64 v[18:19], v[18:19], v[36:37]
	s_waitcnt lgkmcnt(1)
	v_mul_f64 v[36:37], v[242:243], v[224:225]
	v_accvgpr_write_b32 a221, v225
	buffer_load_dword v222, off, s[0:3], 0 offset:648
	buffer_load_dword v224, off, s[0:3], 0 offset:640
	;; [unrolled: 1-line block ×4, first 2 shown]
	v_accvgpr_write_b32 a200, v122
	ds_read_b128 v[120:123], v250 offset:1552
	buffer_load_dword v137, off, s[0:3], 0 offset:668
	buffer_load_dword v136, off, s[0:3], 0 offset:664
	;; [unrolled: 1-line block ×12, first 2 shown]
	v_fmac_f64_e32 v[36:37], v[244:245], v[114:115]
	s_waitcnt vmcnt(21) lgkmcnt(1)
	v_mul_f64 v[38:39], v[124:125], v[6:7]
	v_accvgpr_write_b32 a209, v43
	v_add_f64 v[36:37], v[18:19], v[36:37]
	s_waitcnt vmcnt(20)
	v_fmac_f64_e32 v[38:39], v[126:127], v[112:113]
	v_accvgpr_write_b32 a208, v42
	v_accvgpr_write_b32 a207, v41
	;; [unrolled: 1-line block ×3, first 2 shown]
	v_add_f64 v[40:41], v[36:37], v[38:39]
	v_mul_f64 v[36:37], v[166:167], v[94:95]
	v_fma_f64 v[16:17], v[164:165], v[240:241], -v[36:37]
	buffer_load_dword v240, off, s[0:3], 0 offset:712
	buffer_load_dword v152, off, s[0:3], 0 offset:704
	;; [unrolled: 1-line block ×4, first 2 shown]
	v_accvgpr_write_b32 a218, v220
	v_accvgpr_write_b32 a219, v221
	buffer_load_dword v30, off, s[0:3], 0 offset:744
	buffer_load_dword v29, off, s[0:3], 0 offset:732
	;; [unrolled: 1-line block ×12, first 2 shown]
	v_mul_f64 v[18:19], v[70:71], v[44:45]
	v_mul_f64 v[26:27], v[170:171], v[76:77]
	;; [unrolled: 1-line block ×3, first 2 shown]
	v_fma_f64 v[150:151], v[68:69], v[48:49], -v[18:19]
	v_fma_f64 v[26:27], v[168:169], v[88:89], -v[26:27]
	;; [unrolled: 1-line block ×3, first 2 shown]
	v_mul_f64 v[36:37], v[178:179], v[104:105]
	buffer_load_dword v19, off, s[0:3], 0 offset:780
	buffer_load_dword v18, off, s[0:3], 0 offset:776
	buffer_load_dword v171, off, s[0:3], 0 offset:772
	buffer_load_dword v170, off, s[0:3], 0 offset:768
	buffer_load_dword v169, off, s[0:3], 0 offset:796
	buffer_load_dword v168, off, s[0:3], 0 offset:792
	buffer_load_dword v173, off, s[0:3], 0 offset:788
	buffer_load_dword v172, off, s[0:3], 0 offset:784
	v_fma_f64 v[154:155], v[176:177], v[108:109], -v[36:37]
	buffer_load_dword v176, off, s[0:3], 0 offset:808
	buffer_load_dword v178, off, s[0:3], 0 offset:800
	;; [unrolled: 1-line block ×4, first 2 shown]
	v_mul_f64 v[36:37], v[182:183], v[14:15]
	v_fma_f64 v[216:217], v[180:181], v[216:217], -v[36:37]
	v_mul_f64 v[36:37], v[186:187], v[98:99]
	v_fma_f64 v[166:167], v[184:185], v[102:103], -v[36:37]
	buffer_load_dword v174, off, s[0:3], 0 offset:840
	buffer_load_dword v183, off, s[0:3], 0 offset:828
	;; [unrolled: 1-line block ×8, first 2 shown]
	v_mul_f64 v[36:37], v[190:191], v[106:107]
	v_fma_f64 v[76:77], v[188:189], v[24:25], -v[36:37]
	v_mul_f64 v[36:37], v[194:195], v[90:91]
	v_fma_f64 v[88:89], v[192:193], v[92:93], -v[36:37]
	;; [unrolled: 2-line block ×3, first 2 shown]
	ds_read_b128 v[36:39], v250 offset:1568
	buffer_load_dword v187, off, s[0:3], 0 offset:860
	buffer_load_dword v186, off, s[0:3], 0 offset:856
	;; [unrolled: 1-line block ×4, first 2 shown]
	s_waitcnt vmcnt(58) lgkmcnt(1)
	v_mul_f64 v[42:43], v[120:121], v[236:237]
	ds_read_b128 v[156:159], v250 offset:1600
	v_mul_f64 v[48:49], v[210:211], v[50:51]
	v_fma_f64 v[210:211], v[208:209], v[52:53], -v[48:49]
	ds_read_b128 v[48:51], v250 offset:1616
	v_mul_f64 v[56:57], v[214:215], v[56:57]
	v_fma_f64 v[24:25], v[212:213], v[58:59], -v[56:57]
	ds_read_b128 v[56:59], v250 offset:1648
	v_mul_f64 v[44:45], v[206:207], v[66:67]
	s_waitcnt vmcnt(56)
	v_fmac_f64_e32 v[42:43], v[122:123], v[248:249]
	v_add_f64 v[40:41], v[40:41], v[42:43]
	v_mul_f64 v[42:43], v[202:203], v[54:55]
	v_fma_f64 v[190:191], v[200:201], v[64:65], -v[42:43]
	v_mul_f64 v[60:61], v[12:13], v[60:61]
	ds_read_b128 v[12:15], v250 offset:1664
	v_fma_f64 v[78:79], v[204:205], v[78:79], -v[44:45]
	v_mul_f64 v[68:69], v[234:235], v[226:227]
	v_fma_f64 v[192:193], v[10:11], v[72:73], -v[60:61]
	v_fma_f64 v[10:11], v[232:233], v[62:63], -v[68:69]
	ds_read_b128 v[68:71], v250 offset:1696
	v_mul_f64 v[72:73], v[118:119], v[84:85]
	v_fma_f64 v[118:119], v[116:117], v[74:75], -v[72:73]
	ds_read_b128 v[72:75], v250 offset:1712
	ds_read_b128 v[232:235], v250 offset:1728
	v_mul_f64 v[2:3], v[2:3], v[80:81]
	v_fma_f64 v[60:61], v[0:1], v[82:83], -v[2:3]
	ds_read_b128 v[80:83], v250 offset:1744
	v_mul_f64 v[0:1], v[34:35], v[218:219]
	v_fma_f64 v[116:117], v[32:33], v[86:87], -v[0:1]
	ds_read_b128 v[84:87], v250 offset:1760
	v_accvgpr_write_b32 a217, v253
	v_pk_mov_b32 v[252:253], v[6:7], v[6:7] op_sel:[0,1]
	v_accvgpr_write_b32 a223, v113
	v_accvgpr_write_b32 a222, v112
	v_accvgpr_write_b32 a225, v115
	s_waitcnt vmcnt(53) lgkmcnt(9)
	v_mul_f64 v[42:43], v[36:37], v[222:223]
	s_waitcnt vmcnt(52)
	v_fmac_f64_e32 v[42:43], v[38:39], v[224:225]
	v_add_f64 v[54:55], v[40:41], v[42:43]
	ds_read_b128 v[40:43], v250 offset:1584
	v_accvgpr_write_b32 a224, v114
	s_waitcnt vmcnt(50) lgkmcnt(0)
	v_mul_f64 v[64:65], v[40:41], v[136:137]
	s_waitcnt vmcnt(48)
	v_fmac_f64_e32 v[64:65], v[42:43], v[142:143]
	v_add_f64 v[52:53], v[54:55], v[64:65]
	s_waitcnt vmcnt(46)
	v_mul_f64 v[54:55], v[156:157], v[228:229]
	s_waitcnt vmcnt(44)
	v_fmac_f64_e32 v[54:55], v[158:159], v[146:147]
	v_add_f64 v[52:53], v[52:53], v[54:55]
	s_waitcnt vmcnt(42)
	v_mul_f64 v[54:55], v[48:49], v[144:145]
	s_waitcnt vmcnt(40)
	v_fmac_f64_e32 v[54:55], v[50:51], v[148:149]
	v_add_f64 v[64:65], v[52:53], v[54:55]
	ds_read_b128 v[52:55], v250 offset:1632
	s_waitcnt vmcnt(37) lgkmcnt(0)
	v_mul_f64 v[44:45], v[52:53], v[240:241]
	s_waitcnt vmcnt(36)
	v_fmac_f64_e32 v[44:45], v[54:55], v[152:153]
	v_add_f64 v[44:45], v[64:65], v[44:45]
	s_waitcnt vmcnt(33)
	v_mul_f64 v[64:65], v[56:57], v[28:29]
	s_waitcnt vmcnt(31)
	v_fmac_f64_e32 v[64:65], v[58:59], v[160:161]
	v_add_f64 v[44:45], v[44:45], v[64:65]
	s_waitcnt vmcnt(29)
	v_mul_f64 v[64:65], v[12:13], v[30:31]
	s_waitcnt vmcnt(28)
	v_fmac_f64_e32 v[64:65], v[14:15], v[220:221]
	v_add_f64 v[44:45], v[44:45], v[64:65]
	ds_read_b128 v[64:67], v250 offset:1680
	s_waitcnt vmcnt(13)
	v_mul_f64 v[2:3], v[232:233], v[176:177]
	s_waitcnt vmcnt(12)
	v_fmac_f64_e32 v[2:3], v[234:235], v[178:179]
	s_waitcnt vmcnt(9)
	v_mul_f64 v[4:5], v[80:81], v[182:183]
	s_waitcnt vmcnt(7)
	v_fmac_f64_e32 v[4:5], v[82:83], v[184:185]
	s_waitcnt lgkmcnt(0)
	v_mul_f64 v[92:93], v[64:65], v[162:163]
	v_fmac_f64_e32 v[92:93], v[66:67], v[164:165]
	v_add_f64 v[44:45], v[44:45], v[92:93]
	v_mul_f64 v[92:93], v[68:69], v[18:19]
	v_fmac_f64_e32 v[92:93], v[70:71], v[170:171]
	v_add_f64 v[44:45], v[44:45], v[92:93]
	;; [unrolled: 3-line block ×3, first 2 shown]
	v_add_f64 v[2:3], v[44:45], v[2:3]
	v_add_f64 v[2:3], v[2:3], v[4:5]
	s_waitcnt vmcnt(5)
	v_mul_f64 v[4:5], v[84:85], v[174:175]
	s_waitcnt vmcnt(4)
	v_fmac_f64_e32 v[4:5], v[86:87], v[180:181]
	v_add_f64 v[6:7], v[2:3], v[4:5]
	ds_read_b128 v[2:5], v250 offset:1776
	s_waitcnt vmcnt(2) lgkmcnt(0)
	v_mul_f64 v[44:45], v[2:3], v[186:187]
	s_waitcnt vmcnt(0)
	v_fmac_f64_e32 v[44:45], v[4:5], v[188:189]
	v_add_f64 v[96:97], v[6:7], v[44:45]
	buffer_load_dword v6, off, s[0:3], 0 offset:872
	buffer_load_dword v7, off, s[0:3], 0 offset:876
	buffer_load_dword v44, off, s[0:3], 0 offset:864
	buffer_load_dword v45, off, s[0:3], 0 offset:868
	ds_read_b128 v[92:95], v250 offset:1792
	buffer_load_dword v195, off, s[0:3], 0 offset:892
	buffer_load_dword v194, off, s[0:3], 0 offset:888
	;; [unrolled: 1-line block ×4, first 2 shown]
	v_mul_f64 v[4:5], v[4:5], v[186:187]
	v_fma_f64 v[2:3], v[2:3], v[188:189], -v[4:5]
	s_waitcnt vmcnt(6) lgkmcnt(0)
	v_mul_f64 v[98:99], v[92:93], v[6:7]
	s_waitcnt vmcnt(4)
	v_fmac_f64_e32 v[98:99], v[94:95], v[44:45]
	v_add_f64 v[100:101], v[96:97], v[98:99]
	ds_read_b128 v[96:99], v250 offset:1808
	buffer_load_dword v198, off, s[0:3], 0 offset:904
	buffer_load_dword v199, off, s[0:3], 0 offset:908
	buffer_load_dword v200, off, s[0:3], 0 offset:896
	buffer_load_dword v201, off, s[0:3], 0 offset:900
	s_waitcnt vmcnt(6) lgkmcnt(0)
	v_mul_f64 v[102:103], v[96:97], v[194:195]
	s_waitcnt vmcnt(4)
	v_fmac_f64_e32 v[102:103], v[98:99], v[196:197]
	v_add_f64 v[104:105], v[100:101], v[102:103]
	ds_read_b128 v[100:103], v250 offset:1824
	buffer_load_dword v203, off, s[0:3], 0 offset:924
	buffer_load_dword v202, off, s[0:3], 0 offset:920
	buffer_load_dword v205, off, s[0:3], 0 offset:916
	buffer_load_dword v204, off, s[0:3], 0 offset:912
	;; [unrolled: 10-line block ×4, first 2 shown]
	s_waitcnt vmcnt(6) lgkmcnt(0)
	v_mul_f64 v[114:115], v[108:109], v[206:207]
	s_waitcnt vmcnt(4)
	v_fmac_f64_e32 v[114:115], v[110:111], v[208:209]
	v_add_f64 v[0:1], v[112:113], v[114:115]
	ds_read_b128 v[112:115], v250 offset:1872
	s_waitcnt vmcnt(2) lgkmcnt(0)
	v_mul_f64 v[230:231], v[112:113], v[212:213]
	s_waitcnt vmcnt(0)
	v_fmac_f64_e32 v[230:231], v[114:115], v[214:215]
	v_add_f64 v[230:231], v[0:1], v[230:231]
	v_accvgpr_read_b32 v0, a226
	v_accvgpr_read_b32 v1, a227
	v_add_f64 v[0:1], v[0:1], 0
	v_add_f64 v[0:1], v[0:1], v[246:247]
	v_add_f64 v[0:1], v[0:1], v[132:133]
	v_add_f64 v[0:1], v[0:1], v[8:9]
	v_add_f64 v[0:1], v[0:1], v[140:141]
	v_add_f64 v[0:1], v[0:1], v[46:47]
	v_add_f64 v[0:1], v[0:1], v[20:21]
	v_add_f64 v[0:1], v[0:1], v[134:135]
	v_add_f64 v[0:1], v[0:1], v[22:23]
	v_add_f64 v[0:1], v[0:1], v[138:139]
	v_add_f64 v[0:1], v[0:1], v[150:151]
	v_add_f64 v[0:1], v[0:1], v[16:17]
	v_add_f64 v[0:1], v[0:1], v[26:27]
	v_add_f64 v[0:1], v[0:1], v[254:255]
	v_add_f64 v[0:1], v[0:1], v[154:155]
	v_add_f64 v[0:1], v[0:1], v[216:217]
	v_add_f64 v[0:1], v[0:1], v[166:167]
	v_add_f64 v[0:1], v[0:1], v[76:77]
	v_add_f64 v[0:1], v[0:1], v[88:89]
	v_add_f64 v[0:1], v[0:1], v[90:91]
	v_add_f64 v[0:1], v[0:1], v[190:191]
	v_add_f64 v[0:1], v[0:1], v[78:79]
	v_add_f64 v[0:1], v[0:1], v[210:211]
	v_add_f64 v[0:1], v[0:1], v[24:25]
	v_add_f64 v[0:1], v[0:1], v[192:193]
	v_add_f64 v[0:1], v[0:1], v[10:11]
	buffer_load_dword v10, off, s[0:3], 0 offset:16
	buffer_load_dword v11, off, s[0:3], 0 offset:20
	;; [unrolled: 1-line block ×4, first 2 shown]
	v_accvgpr_read_b32 v20, a176
	v_accvgpr_read_b32 v8, a180
	v_add_f64 v[0:1], v[0:1], v[118:119]
	v_accvgpr_read_b32 v22, a178
	v_accvgpr_read_b32 v23, a179
	;; [unrolled: 1-line block ×4, first 2 shown]
	v_add_f64 v[0:1], v[0:1], v[60:61]
	v_accvgpr_read_b32 v21, a177
	v_mul_f64 v[8:9], v[22:23], v[8:9]
	v_accvgpr_read_b32 v17, a183
	v_add_f64 v[0:1], v[0:1], v[116:117]
	v_fma_f64 v[8:9], v[20:21], v[16:17], -v[8:9]
	v_add_f64 v[0:1], v[0:1], v[8:9]
	v_accvgpr_read_b32 v8, a184
	v_accvgpr_read_b32 v20, a186
	v_accvgpr_read_b32 v9, a185
	v_accvgpr_read_b32 v22, a188
	v_accvgpr_read_b32 v23, a189
	v_accvgpr_read_b32 v16, a190
	v_accvgpr_read_b32 v21, a187
	v_mul_f64 v[8:9], v[22:23], v[8:9]
	v_accvgpr_read_b32 v17, a191
	v_fma_f64 v[8:9], v[20:21], v[16:17], -v[8:9]
	v_add_f64 v[0:1], v[0:1], v[8:9]
	v_accvgpr_read_b32 v20, a192
	v_accvgpr_read_b32 v8, a196
	v_accvgpr_read_b32 v22, a194
	v_accvgpr_read_b32 v23, a195
	v_accvgpr_read_b32 v9, a197
	v_accvgpr_read_b32 v16, a198
	v_accvgpr_read_b32 v21, a193
	v_mul_f64 v[8:9], v[22:23], v[8:9]
	v_accvgpr_read_b32 v17, a199
	;; [unrolled: 11-line block ×4, first 2 shown]
	v_fma_f64 v[8:9], v[20:21], v[16:17], -v[8:9]
	v_add_f64 v[0:1], v[0:1], v[8:9]
	v_accvgpr_read_b32 v8, a216
	v_accvgpr_read_b32 v9, a217
	;; [unrolled: 1-line block ×3, first 2 shown]
	v_mul_f64 v[8:9], v[130:131], v[8:9]
	v_accvgpr_read_b32 v17, a219
	v_fma_f64 v[8:9], v[128:129], v[16:17], -v[8:9]
	v_add_f64 v[0:1], v[0:1], v[8:9]
	v_accvgpr_read_b32 v8, a220
	v_accvgpr_read_b32 v9, a221
	;; [unrolled: 1-line block ×3, first 2 shown]
	v_mul_f64 v[8:9], v[244:245], v[8:9]
	v_accvgpr_read_b32 v17, a225
	v_fma_f64 v[8:9], v[242:243], v[16:17], -v[8:9]
	v_accvgpr_read_b32 v16, a222
	v_add_f64 v[0:1], v[0:1], v[8:9]
	v_mul_f64 v[8:9], v[126:127], v[252:253]
	v_accvgpr_read_b32 v17, a223
	v_fma_f64 v[8:9], v[124:125], v[16:17], -v[8:9]
	v_add_f64 v[0:1], v[0:1], v[8:9]
	v_mul_f64 v[8:9], v[122:123], v[236:237]
	v_fma_f64 v[8:9], v[120:121], v[248:249], -v[8:9]
	v_add_f64 v[0:1], v[0:1], v[8:9]
	v_mul_f64 v[8:9], v[38:39], v[222:223]
	;; [unrolled: 3-line block ×14, first 2 shown]
	v_fma_f64 v[8:9], v[84:85], v[180:181], -v[8:9]
	v_add_f64 v[0:1], v[0:1], v[8:9]
	v_add_f64 v[0:1], v[0:1], v[2:3]
	v_mul_f64 v[2:3], v[94:95], v[6:7]
	v_fma_f64 v[2:3], v[92:93], v[44:45], -v[2:3]
	v_add_f64 v[0:1], v[0:1], v[2:3]
	v_mul_f64 v[2:3], v[98:99], v[194:195]
	v_fma_f64 v[2:3], v[96:97], v[196:197], -v[2:3]
	;; [unrolled: 3-line block ×6, first 2 shown]
	v_add_f64 v[0:1], v[0:1], v[2:3]
	s_waitcnt vmcnt(2)
	v_add_f64 v[0:1], v[10:11], -v[0:1]
	s_waitcnt vmcnt(0)
	v_add_f64 v[2:3], v[218:219], -v[230:231]
	buffer_store_dword v1, off, s[0:3], 0 offset:20
	buffer_store_dword v0, off, s[0:3], 0 offset:16
	buffer_store_dword v3, off, s[0:3], 0 offset:28
	buffer_store_dword v2, off, s[0:3], 0 offset:24
	s_cbranch_vccz .LBB58_485
; %bb.368:
	v_pk_mov_b32 v[0:1], s[10:11], s[10:11] op_sel:[0,1]
	flat_load_dword v0, v[0:1] offset:228
	s_waitcnt vmcnt(0) lgkmcnt(0)
	v_add_u32_e32 v0, -1, v0
	v_cmp_ne_u32_e32 vcc, 57, v0
	s_and_saveexec_b64 s[4:5], vcc
	s_cbranch_execz .LBB58_370
; %bb.369:
	v_mov_b32_e32 v1, 16
	v_accvgpr_read_b32 v9, a119
	v_lshl_add_u32 v0, v0, 4, v1
	buffer_load_dword v1, v9, s[0:3], 0 offen offset:4
	buffer_load_dword v2, v9, s[0:3], 0 offen offset:8
	buffer_load_dword v3, v9, s[0:3], 0 offen offset:12
	buffer_load_dword v4, v0, s[0:3], 0 offen
	buffer_load_dword v5, v0, s[0:3], 0 offen offset:4
	buffer_load_dword v6, v0, s[0:3], 0 offen offset:8
	buffer_load_dword v7, v0, s[0:3], 0 offen offset:12
	buffer_load_dword v8, v9, s[0:3], 0 offen
	s_waitcnt vmcnt(4)
	buffer_store_dword v4, v9, s[0:3], 0 offen
	s_waitcnt vmcnt(4)
	buffer_store_dword v5, v9, s[0:3], 0 offen offset:4
	s_waitcnt vmcnt(4)
	buffer_store_dword v6, v9, s[0:3], 0 offen offset:8
	s_waitcnt vmcnt(4)
	buffer_store_dword v7, v9, s[0:3], 0 offen offset:12
	buffer_store_dword v3, v0, s[0:3], 0 offen offset:12
	buffer_store_dword v2, v0, s[0:3], 0 offen offset:8
	buffer_store_dword v1, v0, s[0:3], 0 offen offset:4
	s_waitcnt vmcnt(7)
	buffer_store_dword v8, v0, s[0:3], 0 offen
.LBB58_370:
	s_or_b64 exec, exec, s[4:5]
	v_pk_mov_b32 v[0:1], s[10:11], s[10:11] op_sel:[0,1]
	flat_load_dword v0, v[0:1] offset:224
	s_waitcnt vmcnt(0) lgkmcnt(0)
	v_add_u32_e32 v0, -1, v0
	v_cmp_ne_u32_e32 vcc, 56, v0
	s_and_saveexec_b64 s[4:5], vcc
	s_cbranch_execz .LBB58_372
; %bb.371:
	v_mov_b32_e32 v1, 16
	v_accvgpr_read_b32 v9, a120
	v_lshl_add_u32 v0, v0, 4, v1
	buffer_load_dword v1, v9, s[0:3], 0 offen offset:4
	buffer_load_dword v2, v9, s[0:3], 0 offen offset:8
	buffer_load_dword v3, v9, s[0:3], 0 offen offset:12
	buffer_load_dword v4, v0, s[0:3], 0 offen
	buffer_load_dword v5, v0, s[0:3], 0 offen offset:4
	buffer_load_dword v6, v0, s[0:3], 0 offen offset:8
	buffer_load_dword v7, v0, s[0:3], 0 offen offset:12
	buffer_load_dword v8, v9, s[0:3], 0 offen
	s_waitcnt vmcnt(4)
	buffer_store_dword v4, v9, s[0:3], 0 offen
	s_waitcnt vmcnt(4)
	buffer_store_dword v5, v9, s[0:3], 0 offen offset:4
	s_waitcnt vmcnt(4)
	buffer_store_dword v6, v9, s[0:3], 0 offen offset:8
	s_waitcnt vmcnt(4)
	buffer_store_dword v7, v9, s[0:3], 0 offen offset:12
	buffer_store_dword v3, v0, s[0:3], 0 offen offset:12
	buffer_store_dword v2, v0, s[0:3], 0 offen offset:8
	buffer_store_dword v1, v0, s[0:3], 0 offen offset:4
	s_waitcnt vmcnt(7)
	buffer_store_dword v8, v0, s[0:3], 0 offen
.LBB58_372:
	s_or_b64 exec, exec, s[4:5]
	;; [unrolled: 34-line block ×57, first 2 shown]
	v_pk_mov_b32 v[0:1], s[10:11], s[10:11] op_sel:[0,1]
	flat_load_dword v0, v[0:1]
	s_waitcnt vmcnt(0) lgkmcnt(0)
	v_add_u32_e32 v0, -1, v0
	v_cmp_ne_u32_e32 vcc, 0, v0
	s_and_saveexec_b64 s[4:5], vcc
	s_cbranch_execz .LBB58_484
; %bb.483:
	v_mov_b32_e32 v1, 16
	v_lshl_add_u32 v0, v0, 4, v1
	buffer_load_dword v1, v0, s[0:3], 0 offen
	buffer_load_dword v2, v0, s[0:3], 0 offen offset:4
	buffer_load_dword v3, v0, s[0:3], 0 offen offset:8
	;; [unrolled: 1-line block ×3, first 2 shown]
	buffer_load_dword v5, off, s[0:3], 0 offset:28
	buffer_load_dword v6, off, s[0:3], 0 offset:24
	;; [unrolled: 1-line block ×4, first 2 shown]
	s_waitcnt vmcnt(7)
	buffer_store_dword v1, off, s[0:3], 0 offset:16
	s_waitcnt vmcnt(7)
	buffer_store_dword v2, off, s[0:3], 0 offset:20
	;; [unrolled: 2-line block ×4, first 2 shown]
	s_waitcnt vmcnt(7)
	buffer_store_dword v5, v0, s[0:3], 0 offen offset:12
	s_waitcnt vmcnt(7)
	buffer_store_dword v6, v0, s[0:3], 0 offen offset:8
	;; [unrolled: 2-line block ×3, first 2 shown]
	s_waitcnt vmcnt(7)
	buffer_store_dword v8, v0, s[0:3], 0 offen
.LBB58_484:
	s_or_b64 exec, exec, s[4:5]
.LBB58_485:
	buffer_load_dword v0, off, s[0:3], 0 offset:16
	buffer_load_dword v1, off, s[0:3], 0 offset:20
	;; [unrolled: 1-line block ×4, first 2 shown]
	v_accvgpr_read_b32 v5, a1
	v_accvgpr_read_b32 v4, a0
	s_waitcnt vmcnt(0)
	global_store_dwordx4 v[4:5], v[0:3], off
	s_nop 0
	v_accvgpr_read_b32 v3, a175
	buffer_load_dword v0, v3, s[0:3], 0 offen
	buffer_load_dword v1, v3, s[0:3], 0 offen offset:4
	buffer_load_dword v2, v3, s[0:3], 0 offen offset:8
	s_nop 0
	buffer_load_dword v3, v3, s[0:3], 0 offen offset:12
	v_accvgpr_read_b32 v5, a3
	v_accvgpr_read_b32 v4, a2
	s_waitcnt vmcnt(0)
	global_store_dwordx4 v[4:5], v[0:3], off
	s_nop 0
	v_accvgpr_read_b32 v3, a174
	buffer_load_dword v0, v3, s[0:3], 0 offen
	buffer_load_dword v1, v3, s[0:3], 0 offen offset:4
	buffer_load_dword v2, v3, s[0:3], 0 offen offset:8
	s_nop 0
	buffer_load_dword v3, v3, s[0:3], 0 offen offset:12
	;; [unrolled: 11-line block ×17, first 2 shown]
	v_accvgpr_read_b32 v4, a34
	v_accvgpr_read_b32 v5, a35
	s_waitcnt vmcnt(0)
	global_store_dwordx4 v[4:5], v[0:3], off
	v_accvgpr_read_b32 v4, a158
	buffer_load_dword v0, v4, s[0:3], 0 offen
	buffer_load_dword v1, v4, s[0:3], 0 offen offset:4
	buffer_load_dword v2, v4, s[0:3], 0 offen offset:8
	buffer_load_dword v3, v4, s[0:3], 0 offen offset:12
	v_accvgpr_read_b32 v4, a36
	v_accvgpr_read_b32 v5, a37
	s_waitcnt vmcnt(0)
	global_store_dwordx4 v[4:5], v[0:3], off
	v_accvgpr_read_b32 v4, a157
	buffer_load_dword v0, v4, s[0:3], 0 offen
	buffer_load_dword v1, v4, s[0:3], 0 offen offset:4
	buffer_load_dword v2, v4, s[0:3], 0 offen offset:8
	buffer_load_dword v3, v4, s[0:3], 0 offen offset:12
	;; [unrolled: 9-line block ×41, first 2 shown]
	v_accvgpr_read_b32 v4, a78
	v_accvgpr_read_b32 v5, a79
	s_waitcnt vmcnt(0)
	global_store_dwordx4 v[4:5], v[0:3], off
	s_endpgm
	.section	.rodata,"a",@progbits
	.p2align	6, 0x0
	.amdhsa_kernel _ZN9rocsolver6v33100L18getri_kernel_smallILi59E19rocblas_complex_numIdEPS3_EEvT1_iilPiilS6_bb
		.amdhsa_group_segment_fixed_size 1896
		.amdhsa_private_segment_fixed_size 976
		.amdhsa_kernarg_size 60
		.amdhsa_user_sgpr_count 8
		.amdhsa_user_sgpr_private_segment_buffer 1
		.amdhsa_user_sgpr_dispatch_ptr 0
		.amdhsa_user_sgpr_queue_ptr 0
		.amdhsa_user_sgpr_kernarg_segment_ptr 1
		.amdhsa_user_sgpr_dispatch_id 0
		.amdhsa_user_sgpr_flat_scratch_init 1
		.amdhsa_user_sgpr_kernarg_preload_length 0
		.amdhsa_user_sgpr_kernarg_preload_offset 0
		.amdhsa_user_sgpr_private_segment_size 0
		.amdhsa_uses_dynamic_stack 0
		.amdhsa_system_sgpr_private_segment_wavefront_offset 1
		.amdhsa_system_sgpr_workgroup_id_x 1
		.amdhsa_system_sgpr_workgroup_id_y 0
		.amdhsa_system_sgpr_workgroup_id_z 0
		.amdhsa_system_sgpr_workgroup_info 0
		.amdhsa_system_vgpr_workitem_id 0
		.amdhsa_next_free_vgpr 484
		.amdhsa_next_free_sgpr 23
		.amdhsa_accum_offset 256
		.amdhsa_reserve_vcc 1
		.amdhsa_reserve_flat_scratch 1
		.amdhsa_float_round_mode_32 0
		.amdhsa_float_round_mode_16_64 0
		.amdhsa_float_denorm_mode_32 3
		.amdhsa_float_denorm_mode_16_64 3
		.amdhsa_dx10_clamp 1
		.amdhsa_ieee_mode 1
		.amdhsa_fp16_overflow 0
		.amdhsa_tg_split 0
		.amdhsa_exception_fp_ieee_invalid_op 0
		.amdhsa_exception_fp_denorm_src 0
		.amdhsa_exception_fp_ieee_div_zero 0
		.amdhsa_exception_fp_ieee_overflow 0
		.amdhsa_exception_fp_ieee_underflow 0
		.amdhsa_exception_fp_ieee_inexact 0
		.amdhsa_exception_int_div_zero 0
	.end_amdhsa_kernel
	.section	.text._ZN9rocsolver6v33100L18getri_kernel_smallILi59E19rocblas_complex_numIdEPS3_EEvT1_iilPiilS6_bb,"axG",@progbits,_ZN9rocsolver6v33100L18getri_kernel_smallILi59E19rocblas_complex_numIdEPS3_EEvT1_iilPiilS6_bb,comdat
.Lfunc_end58:
	.size	_ZN9rocsolver6v33100L18getri_kernel_smallILi59E19rocblas_complex_numIdEPS3_EEvT1_iilPiilS6_bb, .Lfunc_end58-_ZN9rocsolver6v33100L18getri_kernel_smallILi59E19rocblas_complex_numIdEPS3_EEvT1_iilPiilS6_bb
                                        ; -- End function
	.section	.AMDGPU.csdata,"",@progbits
; Kernel info:
; codeLenInByte = 216428
; NumSgprs: 29
; NumVgprs: 256
; NumAgprs: 228
; TotalNumVgprs: 484
; ScratchSize: 976
; MemoryBound: 0
; FloatMode: 240
; IeeeMode: 1
; LDSByteSize: 1896 bytes/workgroup (compile time only)
; SGPRBlocks: 3
; VGPRBlocks: 60
; NumSGPRsForWavesPerEU: 29
; NumVGPRsForWavesPerEU: 484
; AccumOffset: 256
; Occupancy: 1
; WaveLimiterHint : 1
; COMPUTE_PGM_RSRC2:SCRATCH_EN: 1
; COMPUTE_PGM_RSRC2:USER_SGPR: 8
; COMPUTE_PGM_RSRC2:TRAP_HANDLER: 0
; COMPUTE_PGM_RSRC2:TGID_X_EN: 1
; COMPUTE_PGM_RSRC2:TGID_Y_EN: 0
; COMPUTE_PGM_RSRC2:TGID_Z_EN: 0
; COMPUTE_PGM_RSRC2:TIDIG_COMP_CNT: 0
; COMPUTE_PGM_RSRC3_GFX90A:ACCUM_OFFSET: 63
; COMPUTE_PGM_RSRC3_GFX90A:TG_SPLIT: 0
	.section	.text._ZN9rocsolver6v33100L18getri_kernel_smallILi60E19rocblas_complex_numIdEPS3_EEvT1_iilPiilS6_bb,"axG",@progbits,_ZN9rocsolver6v33100L18getri_kernel_smallILi60E19rocblas_complex_numIdEPS3_EEvT1_iilPiilS6_bb,comdat
	.globl	_ZN9rocsolver6v33100L18getri_kernel_smallILi60E19rocblas_complex_numIdEPS3_EEvT1_iilPiilS6_bb ; -- Begin function _ZN9rocsolver6v33100L18getri_kernel_smallILi60E19rocblas_complex_numIdEPS3_EEvT1_iilPiilS6_bb
	.p2align	8
	.type	_ZN9rocsolver6v33100L18getri_kernel_smallILi60E19rocblas_complex_numIdEPS3_EEvT1_iilPiilS6_bb,@function
_ZN9rocsolver6v33100L18getri_kernel_smallILi60E19rocblas_complex_numIdEPS3_EEvT1_iilPiilS6_bb: ; @_ZN9rocsolver6v33100L18getri_kernel_smallILi60E19rocblas_complex_numIdEPS3_EEvT1_iilPiilS6_bb
; %bb.0:
	s_add_u32 flat_scratch_lo, s6, s9
	s_addc_u32 flat_scratch_hi, s7, 0
	s_add_u32 s0, s0, s9
	v_mov_b32_e32 v254, v0
	s_addc_u32 s1, s1, 0
	v_cmp_gt_u32_e32 vcc, 60, v254
	s_and_saveexec_b64 s[6:7], vcc
	s_cbranch_execz .LBB59_254
; %bb.1:
	s_load_dword s22, s[4:5], 0x38
	s_load_dwordx4 s[16:19], s[4:5], 0x10
	s_load_dwordx4 s[12:15], s[4:5], 0x28
                                        ; implicit-def: $sgpr10_sgpr11
	s_waitcnt lgkmcnt(0)
	s_bitcmp1_b32 s22, 8
	s_cselect_b64 s[20:21], -1, 0
	s_ashr_i32 s9, s8, 31
	s_bfe_u32 s6, s22, 0x10008
	s_cmp_eq_u32 s6, 0
	s_cbranch_scc1 .LBB59_3
; %bb.2:
	s_load_dword s6, s[4:5], 0x20
	s_mul_i32 s7, s8, s13
	s_mul_hi_u32 s10, s8, s12
	s_mul_i32 s11, s9, s12
	s_add_i32 s10, s10, s7
	s_add_i32 s11, s10, s11
	s_mul_i32 s10, s8, s12
	s_waitcnt lgkmcnt(0)
	s_ashr_i32 s7, s6, 31
	s_lshl_b64 s[10:11], s[10:11], 2
	s_add_u32 s10, s18, s10
	s_addc_u32 s11, s19, s11
	s_lshl_b64 s[6:7], s[6:7], 2
	s_add_u32 s10, s10, s6
	s_addc_u32 s11, s11, s7
.LBB59_3:
	s_load_dwordx4 s[4:7], s[4:5], 0x0
	s_mul_i32 s12, s8, s17
	s_mul_hi_u32 s13, s8, s16
	s_add_i32 s17, s13, s12
	v_lshlrev_b32_e32 v1, 4, v254
	s_waitcnt lgkmcnt(0)
	s_ashr_i32 s13, s6, 31
	s_mov_b32 s12, s6
	s_mul_i32 s6, s9, s16
	s_add_i32 s17, s17, s6
	s_mul_i32 s16, s8, s16
	s_lshl_b64 s[16:17], s[16:17], 4
	s_add_u32 s6, s4, s16
	s_addc_u32 s16, s5, s17
	s_lshl_b64 s[4:5], s[12:13], 4
	s_add_u32 s4, s6, s4
	s_addc_u32 s5, s16, s5
	s_add_i32 s6, s7, s7
	v_add_u32_e32 v4, s6, v254
	v_add_u32_e32 v2, s7, v4
	;; [unrolled: 1-line block ×53, first 2 shown]
	v_ashrrev_i32_e32 v5, 31, v4
	v_add_u32_e32 v108, s7, v106
	v_lshlrev_b64 v[4:5], 4, v[4:5]
	v_add_u32_e32 v110, s7, v108
	v_mov_b32_e32 v0, s5
	v_add_co_u32_e32 v4, vcc, s4, v4
	v_add_u32_e32 v112, s7, v110
	v_addc_co_u32_e32 v5, vcc, v0, v5, vcc
	v_add_u32_e32 v114, s7, v112
	global_load_dwordx4 v[116:119], v1, s[4:5]
	v_add_co_u32_e32 v122, vcc, s4, v1
	s_ashr_i32 s13, s7, 31
	s_mov_b32 s12, s7
	v_add_u32_e32 v164, s7, v114
	v_addc_co_u32_e32 v123, vcc, 0, v0, vcc
	s_lshl_b64 s[6:7], s[12:13], 4
	v_mov_b32_e32 v0, s7
	v_add_co_u32_e32 v120, vcc, s6, v122
	v_accvgpr_write_b32 a118, v122
	v_addc_co_u32_e32 v121, vcc, v123, v0, vcc
	v_accvgpr_write_b32 a116, v120
	v_accvgpr_write_b32 a119, v123
	;; [unrolled: 1-line block ×3, first 2 shown]
	global_load_dwordx4 v[120:123], v[120:121], off
	v_ashrrev_i32_e32 v3, 31, v2
	global_load_dwordx4 v[124:127], v[4:5], off
	v_accvgpr_write_b32 a99, v5
	v_lshlrev_b64 v[2:3], 4, v[2:3]
	v_accvgpr_write_b32 a98, v4
	v_mov_b32_e32 v0, s5
	v_add_co_u32_e32 v4, vcc, s4, v2
	v_addc_co_u32_e32 v5, vcc, v0, v3, vcc
	v_ashrrev_i32_e32 v7, 31, v6
	global_load_dwordx4 v[128:131], v[4:5], off
	v_lshlrev_b64 v[2:3], 4, v[6:7]
	v_add_co_u32_e32 v2, vcc, s4, v2
	v_addc_co_u32_e32 v3, vcc, v0, v3, vcc
	v_accvgpr_write_b32 a105, v3
	global_load_dwordx4 v[132:135], v[2:3], off
	v_ashrrev_i32_e32 v9, 31, v8
	v_accvgpr_write_b32 a109, v5
	v_accvgpr_write_b32 a104, v2
	v_lshlrev_b64 v[2:3], 4, v[8:9]
	v_accvgpr_write_b32 a108, v4
	v_add_co_u32_e32 v4, vcc, s4, v2
	v_addc_co_u32_e32 v5, vcc, v0, v3, vcc
	v_ashrrev_i32_e32 v11, 31, v10
	global_load_dwordx4 v[6:9], v[4:5], off
	v_lshlrev_b64 v[2:3], 4, v[10:11]
	v_add_co_u32_e32 v2, vcc, s4, v2
	v_addc_co_u32_e32 v3, vcc, v0, v3, vcc
	global_load_dwordx4 v[136:139], v[2:3], off
	v_accvgpr_write_b32 a93, v3
	v_ashrrev_i32_e32 v13, 31, v12
	v_accvgpr_write_b32 a107, v5
	v_accvgpr_write_b32 a92, v2
	v_lshlrev_b64 v[2:3], 4, v[12:13]
	v_accvgpr_write_b32 a106, v4
	v_add_co_u32_e32 v4, vcc, s4, v2
	v_addc_co_u32_e32 v5, vcc, v0, v3, vcc
	v_ashrrev_i32_e32 v21, 31, v20
	global_load_dwordx4 v[140:143], v[4:5], off
	v_lshlrev_b64 v[2:3], 4, v[20:21]
	v_add_co_u32_e32 v2, vcc, s4, v2
	v_addc_co_u32_e32 v3, vcc, v0, v3, vcc
	global_load_dwordx4 v[144:147], v[2:3], off
	v_accvgpr_write_b32 a81, v3
	;; [unrolled: 14-line block ×6, first 2 shown]
	v_ashrrev_i32_e32 v61, 31, v60
	v_accvgpr_write_b32 a55, v5
	v_accvgpr_write_b32 a40, v2
	v_lshlrev_b64 v[2:3], 4, v[60:61]
	v_accvgpr_write_b32 a54, v4
	v_add_co_u32_e32 v4, vcc, s4, v2
	v_addc_co_u32_e32 v5, vcc, v0, v3, vcc
	v_ashrrev_i32_e32 v71, 31, v70
	global_load_dwordx4 v[58:61], v[4:5], off
	v_lshlrev_b64 v[2:3], 4, v[70:71]
	v_add_co_u32_e32 v2, vcc, s4, v2
	v_addc_co_u32_e32 v3, vcc, v0, v3, vcc
	global_load_dwordx4 v[10:13], v[2:3], off
	v_ashrrev_i32_e32 v165, 31, v164
	v_accvgpr_write_b32 a35, v3
	v_accvgpr_write_b32 a34, v2
	v_lshlrev_b64 v[2:3], 4, v[164:165]
	v_add_co_u32_e32 v2, vcc, s4, v2
	v_accvgpr_write_b32 a43, v5
	v_addc_co_u32_e32 v3, vcc, v0, v3, vcc
	v_accvgpr_write_b32 a0, v2
	v_ashrrev_i32_e32 v15, 31, v14
	v_accvgpr_write_b32 a42, v4
	v_accvgpr_write_b32 a1, v3
	global_load_dwordx4 v[2:5], v[2:3], off
	s_waitcnt vmcnt(19)
	buffer_store_dword v119, off, s[0:3], 0 offset:28
	buffer_store_dword v118, off, s[0:3], 0 offset:24
	buffer_store_dword v117, off, s[0:3], 0 offset:20
	buffer_store_dword v116, off, s[0:3], 0 offset:16
	s_waitcnt vmcnt(22)
	buffer_store_dword v123, off, s[0:3], 0 offset:44
	buffer_store_dword v122, off, s[0:3], 0 offset:40
	buffer_store_dword v121, off, s[0:3], 0 offset:36
	buffer_store_dword v120, off, s[0:3], 0 offset:32
	;; [unrolled: 5-line block ×16, first 2 shown]
	buffer_store_dword v163, off, s[0:3], 0 offset:284
	buffer_store_dword v162, off, s[0:3], 0 offset:280
	;; [unrolled: 1-line block ×8, first 2 shown]
	s_waitcnt vmcnt(62)
	buffer_store_dword v13, off, s[0:3], 0 offset:316
	v_lshlrev_b64 v[6:7], 4, v[14:15]
	v_add_co_u32_e32 v8, vcc, s4, v6
	v_addc_co_u32_e32 v9, vcc, v0, v7, vcc
	v_ashrrev_i32_e32 v17, 31, v16
	v_lshlrev_b64 v[6:7], 4, v[16:17]
	global_load_dwordx4 v[14:17], v[8:9], off
	v_add_co_u32_e32 v6, vcc, s4, v6
	v_addc_co_u32_e32 v7, vcc, v0, v7, vcc
	global_load_dwordx4 v[20:23], v[6:7], off
	v_accvgpr_write_b32 a111, v7
	v_ashrrev_i32_e32 v19, 31, v18
	v_accvgpr_write_b32 a115, v9
	v_accvgpr_write_b32 a110, v6
	v_lshlrev_b64 v[6:7], 4, v[18:19]
	v_accvgpr_write_b32 a114, v8
	v_add_co_u32_e32 v8, vcc, s4, v6
	v_addc_co_u32_e32 v9, vcc, v0, v7, vcc
	v_ashrrev_i32_e32 v25, 31, v24
	global_load_dwordx4 v[28:31], v[8:9], off
	v_lshlrev_b64 v[6:7], 4, v[24:25]
	v_add_co_u32_e32 v6, vcc, s4, v6
	v_addc_co_u32_e32 v7, vcc, v0, v7, vcc
	global_load_dwordx4 v[36:39], v[6:7], off
	v_accvgpr_write_b32 a101, v7
	v_ashrrev_i32_e32 v27, 31, v26
	v_accvgpr_write_b32 a113, v9
	v_accvgpr_write_b32 a100, v6
	v_lshlrev_b64 v[6:7], 4, v[26:27]
	v_accvgpr_write_b32 a112, v8
	v_add_co_u32_e32 v8, vcc, s4, v6
	v_addc_co_u32_e32 v9, vcc, v0, v7, vcc
	v_ashrrev_i32_e32 v33, 31, v32
	global_load_dwordx4 v[24:27], v[8:9], off
	v_lshlrev_b64 v[6:7], 4, v[32:33]
	;; [unrolled: 14-line block ×8, first 2 shown]
	v_add_co_u32_e32 v6, vcc, s4, v6
	v_addc_co_u32_e32 v7, vcc, v0, v7, vcc
	global_load_dwordx4 v[132:135], v[6:7], off
	v_accvgpr_write_b32 a19, v7
	v_ashrrev_i32_e32 v95, 31, v94
	v_accvgpr_write_b32 a29, v9
	v_accvgpr_write_b32 a18, v6
	v_lshlrev_b64 v[6:7], 4, v[94:95]
	v_accvgpr_write_b32 a28, v8
	v_add_co_u32_e32 v8, vcc, s4, v6
	v_addc_co_u32_e32 v9, vcc, v0, v7, vcc
	v_ashrrev_i32_e32 v101, 31, v100
	v_lshlrev_b64 v[6:7], 4, v[100:101]
	global_load_dwordx4 v[92:95], v[8:9], off
	v_add_co_u32_e32 v6, vcc, s4, v6
	v_addc_co_u32_e32 v7, vcc, v0, v7, vcc
	v_accvgpr_write_b32 a21, v9
	v_accvgpr_write_b32 a13, v7
	;; [unrolled: 1-line block ×4, first 2 shown]
	global_load_dwordx4 v[6:9], v[6:7], off
	v_ashrrev_i32_e32 v41, 31, v40
	buffer_store_dword v12, off, s[0:3], 0 offset:312
	buffer_store_dword v11, off, s[0:3], 0 offset:308
	buffer_store_dword v10, off, s[0:3], 0 offset:304
	s_waitcnt vmcnt(22)
	buffer_store_dword v17, off, s[0:3], 0 offset:332
	buffer_store_dword v16, off, s[0:3], 0 offset:328
	buffer_store_dword v15, off, s[0:3], 0 offset:324
	buffer_store_dword v14, off, s[0:3], 0 offset:320
	s_waitcnt vmcnt(25)
	buffer_store_dword v23, off, s[0:3], 0 offset:348
	;; [unrolled: 5-line block ×15, first 2 shown]
	buffer_store_dword v78, off, s[0:3], 0 offset:552
	buffer_store_dword v77, off, s[0:3], 0 offset:548
	;; [unrolled: 1-line block ×11, first 2 shown]
	s_waitcnt vmcnt(62)
	buffer_store_dword v135, off, s[0:3], 0 offset:604
	buffer_store_dword v134, off, s[0:3], 0 offset:600
	;; [unrolled: 1-line block ×9, first 2 shown]
	v_lshlrev_b64 v[10:11], 4, v[40:41]
	v_add_co_u32_e32 v12, vcc, s4, v10
	v_ashrrev_i32_e32 v51, 31, v50
	v_addc_co_u32_e32 v13, vcc, v0, v11, vcc
	v_lshlrev_b64 v[10:11], 4, v[50:51]
	v_add_co_u32_e32 v14, vcc, s4, v10
	v_accvgpr_write_b32 a97, v13
	v_addc_co_u32_e32 v15, vcc, v0, v11, vcc
	v_accvgpr_write_b32 a96, v12
	global_load_dwordx4 v[10:13], v[12:13], off
	v_accvgpr_write_b32 a85, v15
	v_ashrrev_i32_e32 v53, 31, v52
	v_accvgpr_write_b32 a84, v14
	global_load_dwordx4 v[14:17], v[14:15], off
	v_lshlrev_b64 v[18:19], 4, v[52:53]
	v_add_co_u32_e32 v20, vcc, s4, v18
	v_ashrrev_i32_e32 v63, 31, v62
	v_addc_co_u32_e32 v21, vcc, v0, v19, vcc
	v_lshlrev_b64 v[18:19], 4, v[62:63]
	v_add_co_u32_e32 v22, vcc, s4, v18
	v_accvgpr_write_b32 a87, v21
	v_addc_co_u32_e32 v23, vcc, v0, v19, vcc
	v_accvgpr_write_b32 a86, v20
	global_load_dwordx4 v[18:21], v[20:21], off
	v_accvgpr_write_b32 a71, v23
	v_ashrrev_i32_e32 v65, 31, v64
	v_accvgpr_write_b32 a70, v22
	global_load_dwordx4 v[22:25], v[22:23], off
	;; [unrolled: 14-line block ×8, first 2 shown]
	v_lshlrev_b64 v[74:75], 4, v[108:109]
	v_add_co_u32_e32 v76, vcc, s4, v74
	v_ashrrev_i32_e32 v111, 31, v110
	v_addc_co_u32_e32 v77, vcc, v0, v75, vcc
	v_lshlrev_b64 v[74:75], 4, v[110:111]
	v_add_co_u32_e32 v78, vcc, s4, v74
	v_accvgpr_write_b32 a10, v76
	v_addc_co_u32_e32 v79, vcc, v0, v75, vcc
	v_accvgpr_write_b32 a11, v77
	global_load_dwordx4 v[74:77], v[76:77], off
	v_accvgpr_write_b32 a4, v78
	v_accvgpr_write_b32 a5, v79
	global_load_dwordx4 v[78:81], v[78:79], off
	v_ashrrev_i32_e32 v113, 31, v112
	v_lshlrev_b64 v[82:83], 4, v[112:113]
	v_add_co_u32_e32 v82, vcc, s4, v82
	v_addc_co_u32_e32 v83, vcc, v0, v83, vcc
	v_accvgpr_write_b32 a6, v82
	v_ashrrev_i32_e32 v115, 31, v114
	v_accvgpr_write_b32 a7, v83
	global_load_dwordx4 v[82:85], v[82:83], off
	v_lshlrev_b64 v[86:87], 4, v[114:115]
	v_add_co_u32_e32 v86, vcc, s4, v86
	v_addc_co_u32_e32 v87, vcc, v0, v87, vcc
	v_accvgpr_write_b32 a2, v86
	v_accvgpr_write_b32 a3, v87
	global_load_dwordx4 v[86:89], v[86:87], off
	v_mov_b32_e32 v0, 16
	buffer_store_dword v8, off, s[0:3], 0 offset:632
	buffer_store_dword v7, off, s[0:3], 0 offset:628
	buffer_store_dword v6, off, s[0:3], 0 offset:624
	s_waitcnt vmcnt(22)
	buffer_store_dword v13, off, s[0:3], 0 offset:652
	buffer_store_dword v12, off, s[0:3], 0 offset:648
	buffer_store_dword v11, off, s[0:3], 0 offset:644
	buffer_store_dword v10, off, s[0:3], 0 offset:640
	s_waitcnt vmcnt(25)
	buffer_store_dword v17, off, s[0:3], 0 offset:668
	;; [unrolled: 5-line block ×15, first 2 shown]
	buffer_store_dword v68, off, s[0:3], 0 offset:872
	buffer_store_dword v67, off, s[0:3], 0 offset:868
	;; [unrolled: 1-line block ×11, first 2 shown]
	s_waitcnt vmcnt(62)
	buffer_store_dword v81, off, s[0:3], 0 offset:924
	buffer_store_dword v80, off, s[0:3], 0 offset:920
	;; [unrolled: 1-line block ×16, first 2 shown]
	v_add_u32_e32 v2, 16, v0
	v_accvgpr_write_b32 a178, v2
	v_add_u32_e32 v2, 32, v0
	v_accvgpr_write_b32 a177, v2
	;; [unrolled: 2-line block ×57, first 2 shown]
	v_add_u32_e32 v2, 0x3a0, v0
	v_add_u32_e32 v0, 0x3b0, v0
	s_bitcmp0_b32 s22, 0
	v_accvgpr_write_b32 a121, v2
	v_accvgpr_write_b32 a120, v0
	s_mov_b64 s[6:7], -1
	s_cbranch_scc1 .LBB59_252
; %bb.4:
	v_cmp_eq_u32_e64 s[4:5], 0, v254
	s_and_saveexec_b64 s[6:7], s[4:5]
	s_cbranch_execz .LBB59_6
; %bb.5:
	v_mov_b32_e32 v0, 0
	ds_write_b32 v0, v0 offset:1920
.LBB59_6:
	s_or_b64 exec, exec, s[6:7]
	v_mov_b32_e32 v0, 16
	v_lshl_add_u32 v12, v254, 4, v0
	s_waitcnt lgkmcnt(0)
	; wave barrier
	s_waitcnt lgkmcnt(0)
	buffer_load_dword v2, v12, s[0:3], 0 offen
	buffer_load_dword v3, v12, s[0:3], 0 offen offset:4
	buffer_load_dword v4, v12, s[0:3], 0 offen offset:8
	buffer_load_dword v5, v12, s[0:3], 0 offen offset:12
	s_waitcnt vmcnt(2)
	v_cmp_eq_f64_e32 vcc, 0, v[2:3]
	s_waitcnt vmcnt(0)
	v_cmp_eq_f64_e64 s[6:7], 0, v[4:5]
	s_and_b64 s[6:7], vcc, s[6:7]
	s_and_saveexec_b64 s[12:13], s[6:7]
	s_cbranch_execz .LBB59_10
; %bb.7:
	v_mov_b32_e32 v2, 0
	ds_read_b32 v0, v2 offset:1920
	v_add_u32_e32 v3, 1, v254
	s_waitcnt lgkmcnt(0)
	v_readfirstlane_b32 s6, v0
	s_cmp_eq_u32 s6, 0
	s_cselect_b64 s[16:17], -1, 0
	v_cmp_gt_i32_e32 vcc, s6, v3
	s_or_b64 s[16:17], s[16:17], vcc
	s_and_b64 exec, exec, s[16:17]
	s_cbranch_execz .LBB59_10
; %bb.8:
	s_mov_b64 s[16:17], 0
	v_mov_b32_e32 v4, s6
.LBB59_9:                               ; =>This Inner Loop Header: Depth=1
	ds_cmpst_rtn_b32 v4, v2, v4, v3 offset:1920
	s_waitcnt lgkmcnt(0)
	v_cmp_ne_u32_e32 vcc, 0, v4
	v_cmp_le_i32_e64 s[6:7], v4, v3
	s_and_b64 s[6:7], vcc, s[6:7]
	s_and_b64 s[6:7], exec, s[6:7]
	s_or_b64 s[16:17], s[6:7], s[16:17]
	s_andn2_b64 exec, exec, s[16:17]
	s_cbranch_execnz .LBB59_9
.LBB59_10:
	s_or_b64 exec, exec, s[12:13]
	v_mov_b32_e32 v3, 0
	s_waitcnt lgkmcnt(0)
	; wave barrier
	ds_read_b32 v2, v3 offset:1920
	s_and_saveexec_b64 s[6:7], s[4:5]
	s_cbranch_execz .LBB59_12
; %bb.11:
	s_lshl_b64 s[12:13], s[8:9], 2
	s_add_u32 s12, s14, s12
	s_addc_u32 s13, s15, s13
	s_waitcnt lgkmcnt(0)
	global_store_dword v3, v2, s[12:13]
.LBB59_12:
	s_or_b64 exec, exec, s[6:7]
	s_waitcnt lgkmcnt(0)
	v_cmp_ne_u32_e32 vcc, 0, v2
	s_mov_b64 s[6:7], 0
	s_cbranch_vccnz .LBB59_252
; %bb.13:
	buffer_load_dword v7, v12, s[0:3], 0 offen offset:4
	buffer_load_dword v6, v12, s[0:3], 0 offen
	buffer_load_dword v9, v12, s[0:3], 0 offen offset:12
	buffer_load_dword v8, v12, s[0:3], 0 offen offset:8
                                        ; implicit-def: $vgpr10_vgpr11
	s_waitcnt vmcnt(3)
	v_xor_b32_e32 v0, 0x80000000, v7
	s_waitcnt vmcnt(2)
	v_cmp_gt_f64_e32 vcc, 0, v[6:7]
	s_waitcnt vmcnt(1)
	v_xor_b32_e32 v4, 0x80000000, v9
	v_cndmask_b32_e32 v3, v7, v0, vcc
	s_waitcnt vmcnt(0)
	v_cmp_gt_f64_e32 vcc, 0, v[8:9]
	v_mov_b32_e32 v2, v6
	v_cndmask_b32_e32 v5, v9, v4, vcc
	v_mov_b32_e32 v4, v8
	v_cmp_ngt_f64_e32 vcc, v[2:3], v[4:5]
                                        ; implicit-def: $vgpr4_vgpr5
	s_and_saveexec_b64 s[6:7], vcc
	s_xor_b64 s[6:7], exec, s[6:7]
	s_cbranch_execz .LBB59_15
; %bb.14:
	v_div_scale_f64 v[2:3], s[12:13], v[8:9], v[8:9], v[6:7]
	v_rcp_f64_e32 v[4:5], v[2:3]
	v_div_scale_f64 v[10:11], vcc, v[6:7], v[8:9], v[6:7]
	v_fma_f64 v[14:15], -v[2:3], v[4:5], 1.0
	v_fmac_f64_e32 v[4:5], v[4:5], v[14:15]
	v_fma_f64 v[14:15], -v[2:3], v[4:5], 1.0
	v_fmac_f64_e32 v[4:5], v[4:5], v[14:15]
	v_mul_f64 v[14:15], v[10:11], v[4:5]
	v_fma_f64 v[2:3], -v[2:3], v[14:15], v[10:11]
	v_div_fmas_f64 v[2:3], v[2:3], v[4:5], v[14:15]
	v_div_fixup_f64 v[2:3], v[2:3], v[8:9], v[6:7]
	v_fmac_f64_e32 v[8:9], v[6:7], v[2:3]
	v_div_scale_f64 v[4:5], s[12:13], v[8:9], v[8:9], 1.0
	v_rcp_f64_e32 v[6:7], v[4:5]
	v_fma_f64 v[10:11], -v[4:5], v[6:7], 1.0
	v_fmac_f64_e32 v[6:7], v[6:7], v[10:11]
	v_fma_f64 v[10:11], -v[4:5], v[6:7], 1.0
	v_fmac_f64_e32 v[6:7], v[6:7], v[10:11]
	v_div_scale_f64 v[10:11], vcc, 1.0, v[8:9], 1.0
	v_mul_f64 v[14:15], v[10:11], v[6:7]
	v_fma_f64 v[4:5], -v[4:5], v[14:15], v[10:11]
	s_nop 1
	v_div_fmas_f64 v[4:5], v[4:5], v[6:7], v[14:15]
	v_div_fixup_f64 v[4:5], v[4:5], v[8:9], 1.0
	v_mul_f64 v[10:11], v[2:3], v[4:5]
	v_xor_b32_e32 v5, 0x80000000, v5
	v_xor_b32_e32 v3, 0x80000000, v11
	v_mov_b32_e32 v2, v10
                                        ; implicit-def: $vgpr6_vgpr7
                                        ; implicit-def: $vgpr8_vgpr9
.LBB59_15:
	s_andn2_saveexec_b64 s[6:7], s[6:7]
	s_cbranch_execz .LBB59_17
; %bb.16:
	v_div_scale_f64 v[2:3], s[12:13], v[6:7], v[6:7], v[8:9]
	v_rcp_f64_e32 v[4:5], v[2:3]
	v_div_scale_f64 v[10:11], vcc, v[8:9], v[6:7], v[8:9]
	v_fma_f64 v[14:15], -v[2:3], v[4:5], 1.0
	v_fmac_f64_e32 v[4:5], v[4:5], v[14:15]
	v_fma_f64 v[14:15], -v[2:3], v[4:5], 1.0
	v_fmac_f64_e32 v[4:5], v[4:5], v[14:15]
	v_mul_f64 v[14:15], v[10:11], v[4:5]
	v_fma_f64 v[2:3], -v[2:3], v[14:15], v[10:11]
	v_div_fmas_f64 v[2:3], v[2:3], v[4:5], v[14:15]
	v_div_fixup_f64 v[4:5], v[2:3], v[6:7], v[8:9]
	v_fmac_f64_e32 v[6:7], v[8:9], v[4:5]
	v_div_scale_f64 v[2:3], s[12:13], v[6:7], v[6:7], 1.0
	v_rcp_f64_e32 v[8:9], v[2:3]
	v_fma_f64 v[10:11], -v[2:3], v[8:9], 1.0
	v_fmac_f64_e32 v[8:9], v[8:9], v[10:11]
	v_fma_f64 v[10:11], -v[2:3], v[8:9], 1.0
	v_fmac_f64_e32 v[8:9], v[8:9], v[10:11]
	v_div_scale_f64 v[10:11], vcc, 1.0, v[6:7], 1.0
	v_mul_f64 v[14:15], v[10:11], v[8:9]
	v_fma_f64 v[2:3], -v[2:3], v[14:15], v[10:11]
	s_nop 1
	v_div_fmas_f64 v[2:3], v[2:3], v[8:9], v[14:15]
	v_div_fixup_f64 v[10:11], v[2:3], v[6:7], 1.0
	v_xor_b32_e32 v3, 0x80000000, v11
	v_mov_b32_e32 v2, v10
	v_mul_f64 v[4:5], v[4:5], -v[10:11]
.LBB59_17:
	s_or_b64 exec, exec, s[6:7]
	buffer_store_dword v11, v12, s[0:3], 0 offen offset:4
	buffer_store_dword v10, v12, s[0:3], 0 offen
	buffer_store_dword v5, v12, s[0:3], 0 offen offset:12
	buffer_store_dword v4, v12, s[0:3], 0 offen offset:8
	v_accvgpr_read_b32 v0, a178
	buffer_load_dword v11, v0, s[0:3], 0 offen offset:12
	buffer_load_dword v10, v0, s[0:3], 0 offen offset:8
	;; [unrolled: 1-line block ×3, first 2 shown]
	buffer_load_dword v8, v0, s[0:3], 0 offen
	v_xor_b32_e32 v5, 0x80000000, v5
	v_add_u32_e32 v6, 0x3c0, v1
	ds_write_b128 v1, v[2:5]
	s_waitcnt vmcnt(0)
	ds_write_b128 v1, v[8:11] offset:960
	s_waitcnt lgkmcnt(0)
	; wave barrier
	s_waitcnt lgkmcnt(0)
	s_and_saveexec_b64 s[6:7], s[4:5]
	s_cbranch_execz .LBB59_19
; %bb.18:
	buffer_load_dword v14, v12, s[0:3], 0 offen offset:8
	buffer_load_dword v15, v12, s[0:3], 0 offen offset:12
	buffer_load_dword v16, v12, s[0:3], 0 offen
	buffer_load_dword v17, v12, s[0:3], 0 offen offset:4
	ds_read_b128 v[2:5], v6
	v_mov_b32_e32 v0, 0
	ds_read_b128 v[8:11], v0 offset:16
	s_waitcnt vmcnt(2) lgkmcnt(1)
	v_mul_f64 v[18:19], v[4:5], v[14:15]
	v_mul_f64 v[14:15], v[2:3], v[14:15]
	s_waitcnt vmcnt(0)
	v_fmac_f64_e32 v[14:15], v[4:5], v[16:17]
	v_fma_f64 v[2:3], v[2:3], v[16:17], -v[18:19]
	v_add_f64 v[4:5], v[14:15], 0
	v_add_f64 v[2:3], v[2:3], 0
	s_waitcnt lgkmcnt(0)
	v_mul_f64 v[14:15], v[4:5], v[10:11]
	v_mul_f64 v[10:11], v[2:3], v[10:11]
	v_fma_f64 v[2:3], v[2:3], v[8:9], -v[14:15]
	v_fmac_f64_e32 v[10:11], v[4:5], v[8:9]
	buffer_store_dword v2, off, s[0:3], 0 offset:32
	buffer_store_dword v3, off, s[0:3], 0 offset:36
	buffer_store_dword v10, off, s[0:3], 0 offset:40
	buffer_store_dword v11, off, s[0:3], 0 offset:44
.LBB59_19:
	s_or_b64 exec, exec, s[6:7]
	v_accvgpr_read_b32 v0, a177
	s_waitcnt lgkmcnt(0)
	; wave barrier
	buffer_load_dword v2, v0, s[0:3], 0 offen
	buffer_load_dword v3, v0, s[0:3], 0 offen offset:4
	buffer_load_dword v4, v0, s[0:3], 0 offen offset:8
	;; [unrolled: 1-line block ×3, first 2 shown]
	v_cmp_gt_u32_e32 vcc, 2, v254
	s_waitcnt vmcnt(0)
	ds_write_b128 v6, v[2:5]
	s_waitcnt lgkmcnt(0)
	; wave barrier
	s_waitcnt lgkmcnt(0)
	s_and_saveexec_b64 s[6:7], vcc
	s_cbranch_execz .LBB59_23
; %bb.20:
	buffer_load_dword v8, v12, s[0:3], 0 offen offset:8
	buffer_load_dword v9, v12, s[0:3], 0 offen offset:12
	buffer_load_dword v10, v12, s[0:3], 0 offen
	buffer_load_dword v11, v12, s[0:3], 0 offen offset:4
	ds_read_b128 v[2:5], v6
	s_waitcnt vmcnt(2) lgkmcnt(0)
	v_mul_f64 v[12:13], v[4:5], v[8:9]
	v_mul_f64 v[8:9], v[2:3], v[8:9]
	s_waitcnt vmcnt(0)
	v_fma_f64 v[2:3], v[2:3], v[10:11], -v[12:13]
	v_fmac_f64_e32 v[8:9], v[4:5], v[10:11]
	v_add_f64 v[4:5], v[2:3], 0
	v_add_f64 v[2:3], v[8:9], 0
	s_and_saveexec_b64 s[12:13], s[4:5]
	s_cbranch_execz .LBB59_22
; %bb.21:
	buffer_load_dword v12, off, s[0:3], 0 offset:40
	buffer_load_dword v13, off, s[0:3], 0 offset:44
	;; [unrolled: 1-line block ×4, first 2 shown]
	v_mov_b32_e32 v0, 0
	ds_read_b128 v[8:11], v0 offset:976
	s_waitcnt vmcnt(2) lgkmcnt(0)
	v_mul_f64 v[16:17], v[8:9], v[12:13]
	v_mul_f64 v[12:13], v[10:11], v[12:13]
	s_waitcnt vmcnt(0)
	v_fmac_f64_e32 v[16:17], v[10:11], v[14:15]
	v_fma_f64 v[8:9], v[8:9], v[14:15], -v[12:13]
	v_add_f64 v[2:3], v[2:3], v[16:17]
	v_add_f64 v[4:5], v[4:5], v[8:9]
.LBB59_22:
	s_or_b64 exec, exec, s[12:13]
	v_mov_b32_e32 v0, 0
	ds_read_b128 v[8:11], v0 offset:32
	s_waitcnt lgkmcnt(0)
	v_mul_f64 v[12:13], v[2:3], v[10:11]
	v_mul_f64 v[10:11], v[4:5], v[10:11]
	v_fma_f64 v[4:5], v[4:5], v[8:9], -v[12:13]
	v_fmac_f64_e32 v[10:11], v[2:3], v[8:9]
	buffer_store_dword v5, off, s[0:3], 0 offset:52
	buffer_store_dword v4, off, s[0:3], 0 offset:48
	;; [unrolled: 1-line block ×4, first 2 shown]
.LBB59_23:
	s_or_b64 exec, exec, s[6:7]
	v_accvgpr_read_b32 v0, a176
	s_waitcnt lgkmcnt(0)
	; wave barrier
	buffer_load_dword v2, v0, s[0:3], 0 offen
	buffer_load_dword v3, v0, s[0:3], 0 offen offset:4
	buffer_load_dword v4, v0, s[0:3], 0 offen offset:8
	;; [unrolled: 1-line block ×3, first 2 shown]
	v_cmp_gt_u32_e32 vcc, 3, v254
	v_add_u32_e32 v7, -1, v254
	s_waitcnt vmcnt(0)
	ds_write_b128 v6, v[2:5]
	s_waitcnt lgkmcnt(0)
	; wave barrier
	s_waitcnt lgkmcnt(0)
	s_and_saveexec_b64 s[4:5], vcc
	s_cbranch_execz .LBB59_27
; %bb.24:
	v_pk_mov_b32 v[2:3], 0, 0
	v_add_u32_e32 v8, -1, v254
	v_add_u32_e32 v9, 0x3c0, v1
	v_add_u32_e32 v10, 16, v1
	s_mov_b64 s[6:7], 0
	v_pk_mov_b32 v[4:5], v[2:3], v[2:3] op_sel:[0,1]
.LBB59_25:                              ; =>This Inner Loop Header: Depth=1
	buffer_load_dword v16, v10, s[0:3], 0 offen offset:8
	buffer_load_dword v17, v10, s[0:3], 0 offen offset:12
	buffer_load_dword v18, v10, s[0:3], 0 offen
	buffer_load_dword v19, v10, s[0:3], 0 offen offset:4
	ds_read_b128 v[12:15], v9
	v_add_u32_e32 v8, 1, v8
	v_cmp_lt_u32_e32 vcc, 1, v8
	v_add_u32_e32 v9, 16, v9
	v_add_u32_e32 v10, 16, v10
	s_or_b64 s[6:7], vcc, s[6:7]
	s_waitcnt vmcnt(2) lgkmcnt(0)
	v_mul_f64 v[20:21], v[14:15], v[16:17]
	v_mul_f64 v[16:17], v[12:13], v[16:17]
	s_waitcnt vmcnt(0)
	v_fma_f64 v[12:13], v[12:13], v[18:19], -v[20:21]
	v_fmac_f64_e32 v[16:17], v[14:15], v[18:19]
	v_add_f64 v[4:5], v[4:5], v[12:13]
	v_add_f64 v[2:3], v[2:3], v[16:17]
	s_andn2_b64 exec, exec, s[6:7]
	s_cbranch_execnz .LBB59_25
; %bb.26:
	s_or_b64 exec, exec, s[6:7]
	v_mov_b32_e32 v0, 0
	ds_read_b128 v[8:11], v0 offset:48
	s_waitcnt lgkmcnt(0)
	v_mul_f64 v[12:13], v[2:3], v[10:11]
	v_mul_f64 v[10:11], v[4:5], v[10:11]
	v_fma_f64 v[4:5], v[4:5], v[8:9], -v[12:13]
	v_fmac_f64_e32 v[10:11], v[2:3], v[8:9]
	buffer_store_dword v5, off, s[0:3], 0 offset:68
	buffer_store_dword v4, off, s[0:3], 0 offset:64
	buffer_store_dword v11, off, s[0:3], 0 offset:76
	buffer_store_dword v10, off, s[0:3], 0 offset:72
.LBB59_27:
	s_or_b64 exec, exec, s[4:5]
	v_accvgpr_read_b32 v0, a175
	s_waitcnt lgkmcnt(0)
	; wave barrier
	buffer_load_dword v2, v0, s[0:3], 0 offen
	buffer_load_dword v3, v0, s[0:3], 0 offen offset:4
	buffer_load_dword v4, v0, s[0:3], 0 offen offset:8
	buffer_load_dword v5, v0, s[0:3], 0 offen offset:12
	v_cmp_gt_u32_e32 vcc, 4, v254
	s_waitcnt vmcnt(0)
	ds_write_b128 v6, v[2:5]
	s_waitcnt lgkmcnt(0)
	; wave barrier
	s_waitcnt lgkmcnt(0)
	s_and_saveexec_b64 s[4:5], vcc
	s_cbranch_execz .LBB59_31
; %bb.28:
	v_pk_mov_b32 v[2:3], 0, 0
	v_add_u32_e32 v8, -1, v254
	v_add_u32_e32 v9, 0x3c0, v1
	v_add_u32_e32 v10, 16, v1
	s_mov_b64 s[6:7], 0
	v_pk_mov_b32 v[4:5], v[2:3], v[2:3] op_sel:[0,1]
.LBB59_29:                              ; =>This Inner Loop Header: Depth=1
	buffer_load_dword v16, v10, s[0:3], 0 offen offset:8
	buffer_load_dword v17, v10, s[0:3], 0 offen offset:12
	buffer_load_dword v18, v10, s[0:3], 0 offen
	buffer_load_dword v19, v10, s[0:3], 0 offen offset:4
	ds_read_b128 v[12:15], v9
	v_add_u32_e32 v8, 1, v8
	v_cmp_lt_u32_e32 vcc, 2, v8
	v_add_u32_e32 v9, 16, v9
	v_add_u32_e32 v10, 16, v10
	s_or_b64 s[6:7], vcc, s[6:7]
	s_waitcnt vmcnt(2) lgkmcnt(0)
	v_mul_f64 v[20:21], v[14:15], v[16:17]
	v_mul_f64 v[16:17], v[12:13], v[16:17]
	s_waitcnt vmcnt(0)
	v_fma_f64 v[12:13], v[12:13], v[18:19], -v[20:21]
	v_fmac_f64_e32 v[16:17], v[14:15], v[18:19]
	v_add_f64 v[4:5], v[4:5], v[12:13]
	v_add_f64 v[2:3], v[2:3], v[16:17]
	s_andn2_b64 exec, exec, s[6:7]
	s_cbranch_execnz .LBB59_29
; %bb.30:
	s_or_b64 exec, exec, s[6:7]
	v_mov_b32_e32 v0, 0
	ds_read_b128 v[8:11], v0 offset:64
	s_waitcnt lgkmcnt(0)
	v_mul_f64 v[12:13], v[2:3], v[10:11]
	v_mul_f64 v[10:11], v[4:5], v[10:11]
	v_fma_f64 v[4:5], v[4:5], v[8:9], -v[12:13]
	v_fmac_f64_e32 v[10:11], v[2:3], v[8:9]
	buffer_store_dword v5, off, s[0:3], 0 offset:84
	buffer_store_dword v4, off, s[0:3], 0 offset:80
	buffer_store_dword v11, off, s[0:3], 0 offset:92
	buffer_store_dword v10, off, s[0:3], 0 offset:88
.LBB59_31:
	s_or_b64 exec, exec, s[4:5]
	v_accvgpr_read_b32 v0, a174
	s_waitcnt lgkmcnt(0)
	; wave barrier
	buffer_load_dword v2, v0, s[0:3], 0 offen
	buffer_load_dword v3, v0, s[0:3], 0 offen offset:4
	buffer_load_dword v4, v0, s[0:3], 0 offen offset:8
	buffer_load_dword v5, v0, s[0:3], 0 offen offset:12
	v_cmp_gt_u32_e32 vcc, 5, v254
	;; [unrolled: 58-line block ×19, first 2 shown]
	s_waitcnt vmcnt(0)
	ds_write_b128 v6, v[2:5]
	s_waitcnt lgkmcnt(0)
	; wave barrier
	s_waitcnt lgkmcnt(0)
	s_and_saveexec_b64 s[4:5], vcc
	s_cbranch_execz .LBB59_103
; %bb.100:
	v_pk_mov_b32 v[2:3], 0, 0
	v_add_u32_e32 v8, -1, v254
	v_add_u32_e32 v9, 0x3c0, v1
	v_add_u32_e32 v10, 16, v1
	s_mov_b64 s[6:7], 0
	v_pk_mov_b32 v[4:5], v[2:3], v[2:3] op_sel:[0,1]
.LBB59_101:                             ; =>This Inner Loop Header: Depth=1
	buffer_load_dword v16, v10, s[0:3], 0 offen offset:8
	buffer_load_dword v17, v10, s[0:3], 0 offen offset:12
	buffer_load_dword v18, v10, s[0:3], 0 offen
	buffer_load_dword v19, v10, s[0:3], 0 offen offset:4
	ds_read_b128 v[12:15], v9
	v_add_u32_e32 v8, 1, v8
	v_cmp_lt_u32_e32 vcc, 20, v8
	v_add_u32_e32 v9, 16, v9
	v_add_u32_e32 v10, 16, v10
	s_or_b64 s[6:7], vcc, s[6:7]
	s_waitcnt vmcnt(2) lgkmcnt(0)
	v_mul_f64 v[20:21], v[14:15], v[16:17]
	v_mul_f64 v[16:17], v[12:13], v[16:17]
	s_waitcnt vmcnt(0)
	v_fma_f64 v[12:13], v[12:13], v[18:19], -v[20:21]
	v_fmac_f64_e32 v[16:17], v[14:15], v[18:19]
	v_add_f64 v[4:5], v[4:5], v[12:13]
	v_add_f64 v[2:3], v[2:3], v[16:17]
	s_andn2_b64 exec, exec, s[6:7]
	s_cbranch_execnz .LBB59_101
; %bb.102:
	s_or_b64 exec, exec, s[6:7]
	v_mov_b32_e32 v0, 0
	ds_read_b128 v[8:11], v0 offset:352
	s_waitcnt lgkmcnt(0)
	v_mul_f64 v[12:13], v[2:3], v[10:11]
	v_mul_f64 v[10:11], v[4:5], v[10:11]
	v_fma_f64 v[4:5], v[4:5], v[8:9], -v[12:13]
	v_fmac_f64_e32 v[10:11], v[2:3], v[8:9]
	buffer_store_dword v5, off, s[0:3], 0 offset:372
	buffer_store_dword v4, off, s[0:3], 0 offset:368
	buffer_store_dword v11, off, s[0:3], 0 offset:380
	buffer_store_dword v10, off, s[0:3], 0 offset:376
.LBB59_103:
	s_or_b64 exec, exec, s[4:5]
	v_accvgpr_read_b32 v0, a156
	s_waitcnt lgkmcnt(0)
	; wave barrier
	buffer_load_dword v2, v0, s[0:3], 0 offen
	buffer_load_dword v3, v0, s[0:3], 0 offen offset:4
	buffer_load_dword v4, v0, s[0:3], 0 offen offset:8
	buffer_load_dword v5, v0, s[0:3], 0 offen offset:12
	v_cmp_gt_u32_e32 vcc, 23, v254
	s_waitcnt vmcnt(0)
	ds_write_b128 v6, v[2:5]
	s_waitcnt lgkmcnt(0)
	; wave barrier
	s_waitcnt lgkmcnt(0)
	s_and_saveexec_b64 s[4:5], vcc
	s_cbranch_execz .LBB59_107
; %bb.104:
	v_pk_mov_b32 v[2:3], 0, 0
	v_add_u32_e32 v8, -1, v254
	v_add_u32_e32 v9, 0x3c0, v1
	v_add_u32_e32 v10, 16, v1
	s_mov_b64 s[6:7], 0
	v_pk_mov_b32 v[4:5], v[2:3], v[2:3] op_sel:[0,1]
.LBB59_105:                             ; =>This Inner Loop Header: Depth=1
	buffer_load_dword v16, v10, s[0:3], 0 offen offset:8
	buffer_load_dword v17, v10, s[0:3], 0 offen offset:12
	buffer_load_dword v18, v10, s[0:3], 0 offen
	buffer_load_dword v19, v10, s[0:3], 0 offen offset:4
	ds_read_b128 v[12:15], v9
	v_add_u32_e32 v8, 1, v8
	v_cmp_lt_u32_e32 vcc, 21, v8
	v_add_u32_e32 v9, 16, v9
	v_add_u32_e32 v10, 16, v10
	s_or_b64 s[6:7], vcc, s[6:7]
	s_waitcnt vmcnt(2) lgkmcnt(0)
	v_mul_f64 v[20:21], v[14:15], v[16:17]
	v_mul_f64 v[16:17], v[12:13], v[16:17]
	s_waitcnt vmcnt(0)
	v_fma_f64 v[12:13], v[12:13], v[18:19], -v[20:21]
	v_fmac_f64_e32 v[16:17], v[14:15], v[18:19]
	v_add_f64 v[4:5], v[4:5], v[12:13]
	v_add_f64 v[2:3], v[2:3], v[16:17]
	s_andn2_b64 exec, exec, s[6:7]
	s_cbranch_execnz .LBB59_105
; %bb.106:
	s_or_b64 exec, exec, s[6:7]
	v_mov_b32_e32 v0, 0
	ds_read_b128 v[8:11], v0 offset:368
	s_waitcnt lgkmcnt(0)
	v_mul_f64 v[12:13], v[2:3], v[10:11]
	v_mul_f64 v[10:11], v[4:5], v[10:11]
	v_fma_f64 v[4:5], v[4:5], v[8:9], -v[12:13]
	v_fmac_f64_e32 v[10:11], v[2:3], v[8:9]
	buffer_store_dword v5, off, s[0:3], 0 offset:388
	buffer_store_dword v4, off, s[0:3], 0 offset:384
	buffer_store_dword v11, off, s[0:3], 0 offset:396
	buffer_store_dword v10, off, s[0:3], 0 offset:392
.LBB59_107:
	s_or_b64 exec, exec, s[4:5]
	v_accvgpr_read_b32 v0, a155
	s_waitcnt lgkmcnt(0)
	; wave barrier
	buffer_load_dword v2, v0, s[0:3], 0 offen
	buffer_load_dword v3, v0, s[0:3], 0 offen offset:4
	buffer_load_dword v4, v0, s[0:3], 0 offen offset:8
	buffer_load_dword v5, v0, s[0:3], 0 offen offset:12
	v_cmp_gt_u32_e32 vcc, 24, v254
	;; [unrolled: 58-line block ×36, first 2 shown]
	s_waitcnt vmcnt(0)
	ds_write_b128 v6, v[2:5]
	s_waitcnt lgkmcnt(0)
	; wave barrier
	s_waitcnt lgkmcnt(0)
	s_and_saveexec_b64 s[4:5], vcc
	s_cbranch_execz .LBB59_247
; %bb.244:
	v_pk_mov_b32 v[2:3], 0, 0
	v_add_u32_e32 v8, -1, v254
	v_add_u32_e32 v9, 0x3c0, v1
	v_add_u32_e32 v10, 16, v1
	s_mov_b64 s[6:7], 0
	v_pk_mov_b32 v[4:5], v[2:3], v[2:3] op_sel:[0,1]
.LBB59_245:                             ; =>This Inner Loop Header: Depth=1
	buffer_load_dword v16, v10, s[0:3], 0 offen offset:8
	buffer_load_dword v17, v10, s[0:3], 0 offen offset:12
	buffer_load_dword v18, v10, s[0:3], 0 offen
	buffer_load_dword v19, v10, s[0:3], 0 offen offset:4
	ds_read_b128 v[12:15], v9
	v_add_u32_e32 v8, 1, v8
	v_cmp_lt_u32_e32 vcc, 56, v8
	v_add_u32_e32 v9, 16, v9
	v_add_u32_e32 v10, 16, v10
	s_or_b64 s[6:7], vcc, s[6:7]
	s_waitcnt vmcnt(2) lgkmcnt(0)
	v_mul_f64 v[20:21], v[14:15], v[16:17]
	v_mul_f64 v[16:17], v[12:13], v[16:17]
	s_waitcnt vmcnt(0)
	v_fma_f64 v[12:13], v[12:13], v[18:19], -v[20:21]
	v_fmac_f64_e32 v[16:17], v[14:15], v[18:19]
	v_add_f64 v[4:5], v[4:5], v[12:13]
	v_add_f64 v[2:3], v[2:3], v[16:17]
	s_andn2_b64 exec, exec, s[6:7]
	s_cbranch_execnz .LBB59_245
; %bb.246:
	s_or_b64 exec, exec, s[6:7]
	v_mov_b32_e32 v0, 0
	ds_read_b128 v[8:11], v0 offset:928
	s_waitcnt lgkmcnt(0)
	v_mul_f64 v[12:13], v[2:3], v[10:11]
	v_mul_f64 v[10:11], v[4:5], v[10:11]
	v_fma_f64 v[4:5], v[4:5], v[8:9], -v[12:13]
	v_fmac_f64_e32 v[10:11], v[2:3], v[8:9]
	buffer_store_dword v5, off, s[0:3], 0 offset:948
	buffer_store_dword v4, off, s[0:3], 0 offset:944
	;; [unrolled: 1-line block ×4, first 2 shown]
.LBB59_247:
	s_or_b64 exec, exec, s[4:5]
	v_accvgpr_read_b32 v0, a120
	s_waitcnt lgkmcnt(0)
	; wave barrier
	buffer_load_dword v2, v0, s[0:3], 0 offen
	buffer_load_dword v3, v0, s[0:3], 0 offen offset:4
	buffer_load_dword v4, v0, s[0:3], 0 offen offset:8
	;; [unrolled: 1-line block ×3, first 2 shown]
	v_cmp_ne_u32_e32 vcc, 59, v254
	s_waitcnt vmcnt(0)
	ds_write_b128 v6, v[2:5]
	s_waitcnt lgkmcnt(0)
	; wave barrier
	s_waitcnt lgkmcnt(0)
	s_and_saveexec_b64 s[4:5], vcc
	s_cbranch_execz .LBB59_251
; %bb.248:
	v_pk_mov_b32 v[2:3], 0, 0
	v_add_u32_e32 v6, 0x3c0, v1
	v_add_u32_e32 v1, 16, v1
	s_mov_b64 s[6:7], 0
	v_pk_mov_b32 v[4:5], v[2:3], v[2:3] op_sel:[0,1]
.LBB59_249:                             ; =>This Inner Loop Header: Depth=1
	buffer_load_dword v12, v1, s[0:3], 0 offen offset:8
	buffer_load_dword v13, v1, s[0:3], 0 offen offset:12
	buffer_load_dword v14, v1, s[0:3], 0 offen
	buffer_load_dword v15, v1, s[0:3], 0 offen offset:4
	ds_read_b128 v[8:11], v6
	v_add_u32_e32 v7, 1, v7
	v_cmp_lt_u32_e32 vcc, 57, v7
	v_add_u32_e32 v6, 16, v6
	v_add_u32_e32 v1, 16, v1
	s_or_b64 s[6:7], vcc, s[6:7]
	s_waitcnt vmcnt(2) lgkmcnt(0)
	v_mul_f64 v[16:17], v[10:11], v[12:13]
	v_mul_f64 v[12:13], v[8:9], v[12:13]
	s_waitcnt vmcnt(0)
	v_fma_f64 v[8:9], v[8:9], v[14:15], -v[16:17]
	v_fmac_f64_e32 v[12:13], v[10:11], v[14:15]
	v_add_f64 v[4:5], v[4:5], v[8:9]
	v_add_f64 v[2:3], v[2:3], v[12:13]
	s_andn2_b64 exec, exec, s[6:7]
	s_cbranch_execnz .LBB59_249
; %bb.250:
	s_or_b64 exec, exec, s[6:7]
	v_mov_b32_e32 v0, 0
	ds_read_b128 v[6:9], v0 offset:944
	s_waitcnt lgkmcnt(0)
	v_mul_f64 v[10:11], v[2:3], v[8:9]
	v_mul_f64 v[8:9], v[4:5], v[8:9]
	v_fma_f64 v[4:5], v[4:5], v[6:7], -v[10:11]
	v_fmac_f64_e32 v[8:9], v[2:3], v[6:7]
	buffer_store_dword v5, off, s[0:3], 0 offset:964
	buffer_store_dword v4, off, s[0:3], 0 offset:960
	;; [unrolled: 1-line block ×4, first 2 shown]
.LBB59_251:
	s_or_b64 exec, exec, s[4:5]
	s_mov_b64 s[6:7], -1
	s_waitcnt lgkmcnt(0)
	; wave barrier
.LBB59_252:
	s_and_b64 vcc, exec, s[6:7]
	s_cbranch_vccz .LBB59_254
; %bb.253:
	s_lshl_b64 s[4:5], s[8:9], 2
	s_add_u32 s4, s14, s4
	s_addc_u32 s5, s15, s5
	v_mov_b32_e32 v0, 0
	global_load_dword v0, v0, s[4:5]
	s_waitcnt vmcnt(0)
	v_cmp_ne_u32_e32 vcc, 0, v0
	s_cbranch_vccz .LBB59_255
.LBB59_254:
	s_endpgm
.LBB59_255:
	v_mov_b32_e32 v0, 0x3c0
	v_lshl_add_u32 v0, v254, 4, v0
	v_accvgpr_write_b32 a180, v0
	v_cmp_eq_u32_e32 vcc, 59, v254
	s_and_saveexec_b64 s[4:5], vcc
	s_cbranch_execz .LBB59_257
; %bb.256:
	v_accvgpr_read_b32 v0, a121
	buffer_load_dword v2, v0, s[0:3], 0 offen
	buffer_load_dword v3, v0, s[0:3], 0 offen offset:4
	buffer_load_dword v4, v0, s[0:3], 0 offen offset:8
	;; [unrolled: 1-line block ×3, first 2 shown]
	v_mov_b32_e32 v0, 0
	v_accvgpr_read_b32 v1, a180
	buffer_store_dword v0, off, s[0:3], 0 offset:944
	buffer_store_dword v0, off, s[0:3], 0 offset:948
	;; [unrolled: 1-line block ×4, first 2 shown]
	s_waitcnt vmcnt(4)
	ds_write_b128 v1, v[2:5]
.LBB59_257:
	s_or_b64 exec, exec, s[4:5]
	s_waitcnt lgkmcnt(0)
	; wave barrier
	s_waitcnt lgkmcnt(0)
	buffer_load_dword v6, off, s[0:3], 0 offset:968
	buffer_load_dword v7, off, s[0:3], 0 offset:972
	;; [unrolled: 1-line block ×8, first 2 shown]
	v_mov_b32_e32 v1, 0
	ds_read_b128 v[2:5], v1 offset:1904
	v_cmp_lt_u32_e32 vcc, 57, v254
	s_waitcnt vmcnt(6) lgkmcnt(0)
	v_mul_f64 v[14:15], v[2:3], v[6:7]
	v_mul_f64 v[6:7], v[4:5], v[6:7]
	s_waitcnt vmcnt(4)
	v_fma_f64 v[2:3], v[2:3], v[8:9], -v[6:7]
	v_fmac_f64_e32 v[14:15], v[4:5], v[8:9]
	v_add_f64 v[2:3], v[2:3], 0
	v_add_f64 v[4:5], v[14:15], 0
	s_waitcnt vmcnt(2)
	v_add_f64 v[2:3], v[10:11], -v[2:3]
	s_waitcnt vmcnt(0)
	v_add_f64 v[4:5], v[12:13], -v[4:5]
	buffer_store_dword v2, off, s[0:3], 0 offset:944
	buffer_store_dword v3, off, s[0:3], 0 offset:948
	buffer_store_dword v4, off, s[0:3], 0 offset:952
	buffer_store_dword v5, off, s[0:3], 0 offset:956
	s_and_saveexec_b64 s[4:5], vcc
	s_cbranch_execz .LBB59_259
; %bb.258:
	v_accvgpr_read_b32 v0, a122
	buffer_load_dword v2, v0, s[0:3], 0 offen
	buffer_load_dword v3, v0, s[0:3], 0 offen offset:4
	buffer_load_dword v4, v0, s[0:3], 0 offen offset:8
	;; [unrolled: 1-line block ×3, first 2 shown]
	v_accvgpr_read_b32 v0, a180
	buffer_store_dword v1, off, s[0:3], 0 offset:928
	buffer_store_dword v1, off, s[0:3], 0 offset:932
	;; [unrolled: 1-line block ×4, first 2 shown]
	s_waitcnt vmcnt(4)
	ds_write_b128 v0, v[2:5]
.LBB59_259:
	s_or_b64 exec, exec, s[4:5]
	s_waitcnt lgkmcnt(0)
	; wave barrier
	s_waitcnt lgkmcnt(0)
	buffer_load_dword v10, off, s[0:3], 0 offset:952
	buffer_load_dword v11, off, s[0:3], 0 offset:956
	;; [unrolled: 1-line block ×12, first 2 shown]
	ds_read_b128 v[2:5], v1 offset:1888
	ds_read_b128 v[6:9], v1 offset:1904
	v_cmp_lt_u32_e32 vcc, 56, v254
	s_waitcnt vmcnt(10) lgkmcnt(1)
	v_mul_f64 v[22:23], v[2:3], v[10:11]
	v_mul_f64 v[10:11], v[4:5], v[10:11]
	s_waitcnt vmcnt(8) lgkmcnt(0)
	v_mul_f64 v[24:25], v[6:7], v[12:13]
	v_mul_f64 v[12:13], v[8:9], v[12:13]
	s_waitcnt vmcnt(6)
	v_fma_f64 v[2:3], v[2:3], v[14:15], -v[10:11]
	v_fmac_f64_e32 v[22:23], v[4:5], v[14:15]
	s_waitcnt vmcnt(4)
	v_fma_f64 v[4:5], v[6:7], v[16:17], -v[12:13]
	v_add_f64 v[2:3], v[2:3], 0
	v_fmac_f64_e32 v[24:25], v[8:9], v[16:17]
	v_add_f64 v[6:7], v[22:23], 0
	v_add_f64 v[2:3], v[2:3], v[4:5]
	;; [unrolled: 1-line block ×3, first 2 shown]
	s_waitcnt vmcnt(2)
	v_add_f64 v[2:3], v[18:19], -v[2:3]
	s_waitcnt vmcnt(0)
	v_add_f64 v[4:5], v[20:21], -v[6:7]
	buffer_store_dword v2, off, s[0:3], 0 offset:928
	buffer_store_dword v3, off, s[0:3], 0 offset:932
	;; [unrolled: 1-line block ×4, first 2 shown]
	s_and_saveexec_b64 s[4:5], vcc
	s_cbranch_execz .LBB59_261
; %bb.260:
	v_accvgpr_read_b32 v0, a123
	buffer_load_dword v2, v0, s[0:3], 0 offen
	buffer_load_dword v3, v0, s[0:3], 0 offen offset:4
	buffer_load_dword v4, v0, s[0:3], 0 offen offset:8
	;; [unrolled: 1-line block ×3, first 2 shown]
	v_mov_b32_e32 v0, 0
	v_accvgpr_read_b32 v1, a180
	buffer_store_dword v0, off, s[0:3], 0 offset:912
	buffer_store_dword v0, off, s[0:3], 0 offset:916
	;; [unrolled: 1-line block ×4, first 2 shown]
	s_waitcnt vmcnt(4)
	ds_write_b128 v1, v[2:5]
.LBB59_261:
	s_or_b64 exec, exec, s[4:5]
	s_waitcnt lgkmcnt(0)
	; wave barrier
	s_waitcnt lgkmcnt(0)
	buffer_load_dword v14, off, s[0:3], 0 offset:936
	buffer_load_dword v15, off, s[0:3], 0 offset:940
	;; [unrolled: 1-line block ×16, first 2 shown]
	v_mov_b32_e32 v1, 0
	ds_read_b128 v[2:5], v1 offset:1872
	ds_read_b128 v[6:9], v1 offset:1888
	;; [unrolled: 1-line block ×3, first 2 shown]
	v_cmp_lt_u32_e32 vcc, 55, v254
	s_waitcnt vmcnt(14) lgkmcnt(2)
	v_mul_f64 v[30:31], v[2:3], v[14:15]
	v_mul_f64 v[14:15], v[4:5], v[14:15]
	s_waitcnt vmcnt(12) lgkmcnt(1)
	v_mul_f64 v[32:33], v[6:7], v[16:17]
	v_mul_f64 v[16:17], v[8:9], v[16:17]
	;; [unrolled: 3-line block ×3, first 2 shown]
	s_waitcnt vmcnt(8)
	v_fma_f64 v[2:3], v[2:3], v[20:21], -v[14:15]
	v_fmac_f64_e32 v[30:31], v[4:5], v[20:21]
	s_waitcnt vmcnt(6)
	v_fma_f64 v[4:5], v[6:7], v[22:23], -v[16:17]
	v_add_f64 v[2:3], v[2:3], 0
	v_fmac_f64_e32 v[32:33], v[8:9], v[22:23]
	s_waitcnt vmcnt(4)
	v_fma_f64 v[6:7], v[10:11], v[24:25], -v[18:19]
	v_add_f64 v[8:9], v[30:31], 0
	v_add_f64 v[2:3], v[2:3], v[4:5]
	v_fmac_f64_e32 v[34:35], v[12:13], v[24:25]
	v_add_f64 v[8:9], v[8:9], v[32:33]
	v_add_f64 v[2:3], v[2:3], v[6:7]
	;; [unrolled: 1-line block ×3, first 2 shown]
	s_waitcnt vmcnt(2)
	v_add_f64 v[2:3], v[26:27], -v[2:3]
	s_waitcnt vmcnt(0)
	v_add_f64 v[4:5], v[28:29], -v[4:5]
	buffer_store_dword v2, off, s[0:3], 0 offset:912
	buffer_store_dword v3, off, s[0:3], 0 offset:916
	;; [unrolled: 1-line block ×4, first 2 shown]
	s_and_saveexec_b64 s[4:5], vcc
	s_cbranch_execz .LBB59_263
; %bb.262:
	v_accvgpr_read_b32 v0, a124
	buffer_load_dword v2, v0, s[0:3], 0 offen
	buffer_load_dword v3, v0, s[0:3], 0 offen offset:4
	buffer_load_dword v4, v0, s[0:3], 0 offen offset:8
	;; [unrolled: 1-line block ×3, first 2 shown]
	v_accvgpr_read_b32 v0, a180
	buffer_store_dword v1, off, s[0:3], 0 offset:896
	buffer_store_dword v1, off, s[0:3], 0 offset:900
	;; [unrolled: 1-line block ×4, first 2 shown]
	s_waitcnt vmcnt(4)
	ds_write_b128 v0, v[2:5]
.LBB59_263:
	s_or_b64 exec, exec, s[4:5]
	s_waitcnt lgkmcnt(0)
	; wave barrier
	s_waitcnt lgkmcnt(0)
	buffer_load_dword v18, off, s[0:3], 0 offset:920
	buffer_load_dword v19, off, s[0:3], 0 offset:924
	;; [unrolled: 1-line block ×20, first 2 shown]
	ds_read_b128 v[2:5], v1 offset:1856
	ds_read_b128 v[6:9], v1 offset:1872
	;; [unrolled: 1-line block ×4, first 2 shown]
	v_cmp_lt_u32_e32 vcc, 54, v254
	s_waitcnt vmcnt(18) lgkmcnt(3)
	v_mul_f64 v[38:39], v[2:3], v[18:19]
	v_mul_f64 v[18:19], v[4:5], v[18:19]
	s_waitcnt vmcnt(16) lgkmcnt(2)
	v_mul_f64 v[40:41], v[6:7], v[20:21]
	v_mul_f64 v[20:21], v[8:9], v[20:21]
	;; [unrolled: 3-line block ×4, first 2 shown]
	s_waitcnt vmcnt(10)
	v_fma_f64 v[2:3], v[2:3], v[26:27], -v[18:19]
	v_fmac_f64_e32 v[38:39], v[4:5], v[26:27]
	s_waitcnt vmcnt(8)
	v_fma_f64 v[4:5], v[6:7], v[28:29], -v[20:21]
	v_add_f64 v[2:3], v[2:3], 0
	v_fmac_f64_e32 v[40:41], v[8:9], v[28:29]
	s_waitcnt vmcnt(6)
	v_fma_f64 v[6:7], v[10:11], v[30:31], -v[22:23]
	v_add_f64 v[10:11], v[38:39], 0
	v_add_f64 v[2:3], v[2:3], v[4:5]
	v_fmac_f64_e32 v[42:43], v[12:13], v[30:31]
	s_waitcnt vmcnt(4)
	v_fma_f64 v[8:9], v[14:15], v[32:33], -v[24:25]
	v_add_f64 v[10:11], v[10:11], v[40:41]
	v_add_f64 v[2:3], v[2:3], v[6:7]
	v_fmac_f64_e32 v[44:45], v[16:17], v[32:33]
	v_add_f64 v[4:5], v[10:11], v[42:43]
	v_add_f64 v[2:3], v[2:3], v[8:9]
	;; [unrolled: 1-line block ×3, first 2 shown]
	s_waitcnt vmcnt(2)
	v_add_f64 v[2:3], v[34:35], -v[2:3]
	s_waitcnt vmcnt(0)
	v_add_f64 v[4:5], v[36:37], -v[4:5]
	buffer_store_dword v2, off, s[0:3], 0 offset:896
	buffer_store_dword v3, off, s[0:3], 0 offset:900
	;; [unrolled: 1-line block ×4, first 2 shown]
	s_and_saveexec_b64 s[4:5], vcc
	s_cbranch_execz .LBB59_265
; %bb.264:
	v_accvgpr_read_b32 v0, a125
	buffer_load_dword v2, v0, s[0:3], 0 offen
	buffer_load_dword v3, v0, s[0:3], 0 offen offset:4
	buffer_load_dword v4, v0, s[0:3], 0 offen offset:8
	;; [unrolled: 1-line block ×3, first 2 shown]
	v_mov_b32_e32 v0, 0
	v_accvgpr_read_b32 v1, a180
	buffer_store_dword v0, off, s[0:3], 0 offset:880
	buffer_store_dword v0, off, s[0:3], 0 offset:884
	;; [unrolled: 1-line block ×4, first 2 shown]
	s_waitcnt vmcnt(4)
	ds_write_b128 v1, v[2:5]
.LBB59_265:
	s_or_b64 exec, exec, s[4:5]
	s_waitcnt lgkmcnt(0)
	; wave barrier
	s_waitcnt lgkmcnt(0)
	buffer_load_dword v22, off, s[0:3], 0 offset:904
	buffer_load_dword v23, off, s[0:3], 0 offset:908
	;; [unrolled: 1-line block ×24, first 2 shown]
	v_mov_b32_e32 v1, 0
	ds_read_b128 v[2:5], v1 offset:1840
	ds_read_b128 v[6:9], v1 offset:1856
	;; [unrolled: 1-line block ×5, first 2 shown]
	v_cmp_lt_u32_e32 vcc, 53, v254
	s_waitcnt vmcnt(22) lgkmcnt(4)
	v_mul_f64 v[46:47], v[2:3], v[22:23]
	v_mul_f64 v[22:23], v[4:5], v[22:23]
	s_waitcnt vmcnt(20) lgkmcnt(3)
	v_mul_f64 v[48:49], v[6:7], v[24:25]
	v_mul_f64 v[24:25], v[8:9], v[24:25]
	s_waitcnt vmcnt(18) lgkmcnt(2)
	v_mul_f64 v[50:51], v[10:11], v[26:27]
	v_mul_f64 v[26:27], v[12:13], v[26:27]
	s_waitcnt vmcnt(14) lgkmcnt(1)
	v_mul_f64 v[52:53], v[14:15], v[32:33]
	v_mul_f64 v[32:33], v[16:17], v[32:33]
	s_waitcnt vmcnt(13) lgkmcnt(0)
	v_mul_f64 v[54:55], v[18:19], v[28:29]
	s_waitcnt vmcnt(11)
	v_fma_f64 v[2:3], v[2:3], v[34:35], -v[22:23]
	v_fmac_f64_e32 v[46:47], v[4:5], v[34:35]
	s_waitcnt vmcnt(9)
	v_fma_f64 v[4:5], v[6:7], v[36:37], -v[24:25]
	v_add_f64 v[2:3], v[2:3], 0
	v_fmac_f64_e32 v[48:49], v[8:9], v[36:37]
	s_waitcnt vmcnt(7)
	v_fmac_f64_e32 v[50:51], v[12:13], v[38:39]
	v_fma_f64 v[6:7], v[10:11], v[38:39], -v[26:27]
	v_add_f64 v[12:13], v[46:47], 0
	v_add_f64 v[2:3], v[2:3], v[4:5]
	v_mul_f64 v[28:29], v[20:21], v[28:29]
	s_waitcnt vmcnt(5)
	v_fma_f64 v[8:9], v[14:15], v[40:41], -v[32:33]
	v_add_f64 v[12:13], v[12:13], v[48:49]
	v_add_f64 v[2:3], v[2:3], v[6:7]
	v_fmac_f64_e32 v[52:53], v[16:17], v[40:41]
	s_waitcnt vmcnt(4)
	v_fma_f64 v[10:11], v[18:19], v[30:31], -v[28:29]
	v_add_f64 v[4:5], v[12:13], v[50:51]
	v_add_f64 v[2:3], v[2:3], v[8:9]
	v_fmac_f64_e32 v[54:55], v[20:21], v[30:31]
	v_add_f64 v[4:5], v[4:5], v[52:53]
	v_add_f64 v[2:3], v[2:3], v[10:11]
	;; [unrolled: 1-line block ×3, first 2 shown]
	s_waitcnt vmcnt(2)
	v_add_f64 v[2:3], v[42:43], -v[2:3]
	s_waitcnt vmcnt(0)
	v_add_f64 v[4:5], v[44:45], -v[4:5]
	buffer_store_dword v3, off, s[0:3], 0 offset:884
	buffer_store_dword v2, off, s[0:3], 0 offset:880
	;; [unrolled: 1-line block ×4, first 2 shown]
	s_and_saveexec_b64 s[4:5], vcc
	s_cbranch_execz .LBB59_267
; %bb.266:
	v_accvgpr_read_b32 v0, a126
	buffer_load_dword v2, v0, s[0:3], 0 offen
	buffer_load_dword v3, v0, s[0:3], 0 offen offset:4
	buffer_load_dword v4, v0, s[0:3], 0 offen offset:8
	;; [unrolled: 1-line block ×3, first 2 shown]
	v_accvgpr_read_b32 v0, a180
	buffer_store_dword v1, off, s[0:3], 0 offset:864
	buffer_store_dword v1, off, s[0:3], 0 offset:868
	;; [unrolled: 1-line block ×4, first 2 shown]
	s_waitcnt vmcnt(4)
	ds_write_b128 v0, v[2:5]
.LBB59_267:
	s_or_b64 exec, exec, s[4:5]
	s_waitcnt lgkmcnt(0)
	; wave barrier
	s_waitcnt lgkmcnt(0)
	buffer_load_dword v26, off, s[0:3], 0 offset:888
	buffer_load_dword v27, off, s[0:3], 0 offset:892
	;; [unrolled: 1-line block ×28, first 2 shown]
	ds_read_b128 v[2:5], v1 offset:1824
	ds_read_b128 v[6:9], v1 offset:1840
	;; [unrolled: 1-line block ×6, first 2 shown]
	v_cmp_lt_u32_e32 vcc, 52, v254
	s_waitcnt vmcnt(26) lgkmcnt(5)
	v_mul_f64 v[54:55], v[2:3], v[26:27]
	v_mul_f64 v[26:27], v[4:5], v[26:27]
	s_waitcnt vmcnt(24) lgkmcnt(4)
	v_mul_f64 v[56:57], v[6:7], v[28:29]
	v_mul_f64 v[28:29], v[8:9], v[28:29]
	;; [unrolled: 3-line block ×4, first 2 shown]
	s_waitcnt vmcnt(17)
	v_mul_f64 v[60:61], v[14:15], v[36:37]
	v_mul_f64 v[36:37], v[16:17], v[36:37]
	s_waitcnt vmcnt(15) lgkmcnt(0)
	v_mul_f64 v[64:65], v[22:23], v[38:39]
	v_mul_f64 v[38:39], v[24:25], v[38:39]
	s_waitcnt vmcnt(14)
	v_fmac_f64_e32 v[62:63], v[20:21], v[34:35]
	s_waitcnt vmcnt(12)
	v_fma_f64 v[2:3], v[2:3], v[40:41], -v[26:27]
	v_fmac_f64_e32 v[54:55], v[4:5], v[40:41]
	s_waitcnt vmcnt(10)
	v_fma_f64 v[4:5], v[6:7], v[42:43], -v[28:29]
	v_add_f64 v[2:3], v[2:3], 0
	v_fmac_f64_e32 v[56:57], v[8:9], v[42:43]
	s_waitcnt vmcnt(8)
	v_fma_f64 v[6:7], v[10:11], v[44:45], -v[30:31]
	s_waitcnt vmcnt(6)
	v_fma_f64 v[8:9], v[14:15], v[46:47], -v[36:37]
	v_add_f64 v[14:15], v[54:55], 0
	v_add_f64 v[2:3], v[2:3], v[4:5]
	v_fmac_f64_e32 v[58:59], v[12:13], v[44:45]
	v_add_f64 v[14:15], v[14:15], v[56:57]
	v_add_f64 v[2:3], v[2:3], v[6:7]
	v_fmac_f64_e32 v[60:61], v[16:17], v[46:47]
	v_fma_f64 v[10:11], v[18:19], v[34:35], -v[32:33]
	v_add_f64 v[4:5], v[14:15], v[58:59]
	v_add_f64 v[2:3], v[2:3], v[8:9]
	s_waitcnt vmcnt(4)
	v_fma_f64 v[12:13], v[22:23], v[48:49], -v[38:39]
	v_add_f64 v[4:5], v[4:5], v[60:61]
	v_add_f64 v[2:3], v[2:3], v[10:11]
	v_fmac_f64_e32 v[64:65], v[24:25], v[48:49]
	v_add_f64 v[4:5], v[4:5], v[62:63]
	v_add_f64 v[2:3], v[2:3], v[12:13]
	;; [unrolled: 1-line block ×3, first 2 shown]
	s_waitcnt vmcnt(2)
	v_add_f64 v[2:3], v[50:51], -v[2:3]
	s_waitcnt vmcnt(0)
	v_add_f64 v[4:5], v[52:53], -v[4:5]
	buffer_store_dword v3, off, s[0:3], 0 offset:868
	buffer_store_dword v2, off, s[0:3], 0 offset:864
	;; [unrolled: 1-line block ×4, first 2 shown]
	s_and_saveexec_b64 s[4:5], vcc
	s_cbranch_execz .LBB59_269
; %bb.268:
	v_accvgpr_read_b32 v0, a127
	buffer_load_dword v2, v0, s[0:3], 0 offen
	buffer_load_dword v3, v0, s[0:3], 0 offen offset:4
	buffer_load_dword v4, v0, s[0:3], 0 offen offset:8
	;; [unrolled: 1-line block ×3, first 2 shown]
	v_mov_b32_e32 v0, 0
	v_accvgpr_read_b32 v1, a180
	buffer_store_dword v0, off, s[0:3], 0 offset:848
	buffer_store_dword v0, off, s[0:3], 0 offset:852
	;; [unrolled: 1-line block ×4, first 2 shown]
	s_waitcnt vmcnt(4)
	ds_write_b128 v1, v[2:5]
.LBB59_269:
	s_or_b64 exec, exec, s[4:5]
	v_mov_b32_e32 v1, 0
	s_waitcnt lgkmcnt(0)
	; wave barrier
	s_waitcnt lgkmcnt(0)
	ds_read_b128 v[14:17], v1 offset:1808
	ds_read_b128 v[10:13], v1 offset:1824
	;; [unrolled: 1-line block ×4, first 2 shown]
	buffer_load_dword v28, off, s[0:3], 0 offset:848
	buffer_load_dword v29, off, s[0:3], 0 offset:852
	;; [unrolled: 1-line block ×20, first 2 shown]
	v_cmp_lt_u32_e32 vcc, 51, v254
	s_waitcnt vmcnt(12) lgkmcnt(3)
	v_mul_f64 v[18:19], v[14:15], v[36:37]
	v_fmac_f64_e32 v[18:19], v[16:17], v[30:31]
	v_add_f64 v[18:19], v[18:19], 0
	v_mul_f64 v[16:17], v[16:17], v[36:37]
	s_waitcnt vmcnt(8) lgkmcnt(2)
	v_mul_f64 v[20:21], v[10:11], v[38:39]
	v_fmac_f64_e32 v[20:21], v[12:13], v[32:33]
	v_add_f64 v[18:19], v[18:19], v[20:21]
	v_fma_f64 v[14:15], v[14:15], v[30:31], -v[16:17]
	s_waitcnt vmcnt(4) lgkmcnt(1)
	v_mul_f64 v[20:21], v[6:7], v[42:43]
	v_fmac_f64_e32 v[20:21], v[8:9], v[34:35]
	v_add_f64 v[18:19], v[18:19], v[20:21]
	s_waitcnt vmcnt(0) lgkmcnt(0)
	v_mul_f64 v[20:21], v[2:3], v[46:47]
	v_fmac_f64_e32 v[20:21], v[4:5], v[44:45]
	v_add_f64 v[22:23], v[18:19], v[20:21]
	ds_read_b128 v[18:21], v1 offset:1872
	buffer_load_dword v41, off, s[0:3], 0 offset:932
	buffer_load_dword v40, off, s[0:3], 0 offset:928
	buffer_load_dword v55, off, s[0:3], 0 offset:940
	buffer_load_dword v54, off, s[0:3], 0 offset:936
	ds_read_b128 v[50:53], v1 offset:1888
	buffer_load_dword v57, off, s[0:3], 0 offset:948
	buffer_load_dword v56, off, s[0:3], 0 offset:944
	buffer_load_dword v59, off, s[0:3], 0 offset:956
	buffer_load_dword v58, off, s[0:3], 0 offset:952
	v_mul_f64 v[12:13], v[12:13], v[38:39]
	v_add_f64 v[14:15], v[14:15], 0
	v_fma_f64 v[10:11], v[10:11], v[32:33], -v[12:13]
	v_mul_f64 v[8:9], v[8:9], v[42:43]
	v_add_f64 v[10:11], v[14:15], v[10:11]
	v_fma_f64 v[6:7], v[6:7], v[34:35], -v[8:9]
	;; [unrolled: 3-line block ×3, first 2 shown]
	v_add_f64 v[2:3], v[6:7], v[2:3]
	s_waitcnt vmcnt(4) lgkmcnt(1)
	v_mul_f64 v[24:25], v[18:19], v[54:55]
	v_fmac_f64_e32 v[24:25], v[20:21], v[40:41]
	v_add_f64 v[22:23], v[22:23], v[24:25]
	s_waitcnt vmcnt(0) lgkmcnt(0)
	v_mul_f64 v[24:25], v[50:51], v[58:59]
	v_fmac_f64_e32 v[24:25], v[52:53], v[56:57]
	v_add_f64 v[60:61], v[22:23], v[24:25]
	ds_read_b128 v[22:25], v1 offset:1904
	buffer_load_dword v49, off, s[0:3], 0 offset:964
	buffer_load_dword v48, off, s[0:3], 0 offset:960
	;; [unrolled: 1-line block ×4, first 2 shown]
	v_mul_f64 v[4:5], v[20:21], v[54:55]
	v_fma_f64 v[4:5], v[18:19], v[40:41], -v[4:5]
	v_add_f64 v[2:3], v[2:3], v[4:5]
	v_mul_f64 v[4:5], v[52:53], v[58:59]
	v_fma_f64 v[4:5], v[50:51], v[56:57], -v[4:5]
	v_add_f64 v[2:3], v[2:3], v[4:5]
	s_waitcnt vmcnt(0) lgkmcnt(0)
	v_mul_f64 v[4:5], v[24:25], v[62:63]
	v_mul_f64 v[64:65], v[22:23], v[62:63]
	v_fma_f64 v[4:5], v[22:23], v[48:49], -v[4:5]
	v_fmac_f64_e32 v[64:65], v[24:25], v[48:49]
	v_add_f64 v[2:3], v[2:3], v[4:5]
	v_add_f64 v[60:61], v[60:61], v[64:65]
	v_add_f64 v[2:3], v[28:29], -v[2:3]
	v_add_f64 v[4:5], v[26:27], -v[60:61]
	buffer_store_dword v3, off, s[0:3], 0 offset:852
	buffer_store_dword v2, off, s[0:3], 0 offset:848
	;; [unrolled: 1-line block ×4, first 2 shown]
	s_and_saveexec_b64 s[4:5], vcc
	s_cbranch_execz .LBB59_271
; %bb.270:
	v_accvgpr_read_b32 v0, a128
	buffer_load_dword v2, v0, s[0:3], 0 offen
	buffer_load_dword v3, v0, s[0:3], 0 offen offset:4
	buffer_load_dword v4, v0, s[0:3], 0 offen offset:8
	;; [unrolled: 1-line block ×3, first 2 shown]
	v_accvgpr_read_b32 v0, a180
	buffer_store_dword v1, off, s[0:3], 0 offset:832
	buffer_store_dword v1, off, s[0:3], 0 offset:836
	;; [unrolled: 1-line block ×4, first 2 shown]
	s_waitcnt vmcnt(4)
	ds_write_b128 v0, v[2:5]
.LBB59_271:
	s_or_b64 exec, exec, s[4:5]
	s_waitcnt lgkmcnt(0)
	; wave barrier
	s_waitcnt lgkmcnt(0)
	ds_read_b128 v[14:17], v1 offset:1792
	ds_read_b128 v[10:13], v1 offset:1808
	;; [unrolled: 1-line block ×4, first 2 shown]
	buffer_load_dword v36, off, s[0:3], 0 offset:832
	buffer_load_dword v37, off, s[0:3], 0 offset:836
	buffer_load_dword v34, off, s[0:3], 0 offset:840
	buffer_load_dword v35, off, s[0:3], 0 offset:844
	buffer_load_dword v38, off, s[0:3], 0 offset:848
	buffer_load_dword v39, off, s[0:3], 0 offset:852
	buffer_load_dword v44, off, s[0:3], 0 offset:856
	buffer_load_dword v45, off, s[0:3], 0 offset:860
	buffer_load_dword v40, off, s[0:3], 0 offset:864
	buffer_load_dword v41, off, s[0:3], 0 offset:868
	buffer_load_dword v46, off, s[0:3], 0 offset:872
	buffer_load_dword v47, off, s[0:3], 0 offset:876
	buffer_load_dword v42, off, s[0:3], 0 offset:880
	buffer_load_dword v43, off, s[0:3], 0 offset:884
	buffer_load_dword v50, off, s[0:3], 0 offset:888
	buffer_load_dword v51, off, s[0:3], 0 offset:892
	buffer_load_dword v53, off, s[0:3], 0 offset:900
	buffer_load_dword v52, off, s[0:3], 0 offset:896
	buffer_load_dword v55, off, s[0:3], 0 offset:908
	buffer_load_dword v54, off, s[0:3], 0 offset:904
	v_cmp_lt_u32_e32 vcc, 50, v254
	s_waitcnt vmcnt(12) lgkmcnt(3)
	v_mul_f64 v[18:19], v[14:15], v[44:45]
	v_fmac_f64_e32 v[18:19], v[16:17], v[38:39]
	v_add_f64 v[18:19], v[18:19], 0
	v_mul_f64 v[16:17], v[16:17], v[44:45]
	s_waitcnt vmcnt(8) lgkmcnt(2)
	v_mul_f64 v[20:21], v[10:11], v[46:47]
	v_fmac_f64_e32 v[20:21], v[12:13], v[40:41]
	v_add_f64 v[18:19], v[18:19], v[20:21]
	v_fma_f64 v[14:15], v[14:15], v[38:39], -v[16:17]
	s_waitcnt vmcnt(4) lgkmcnt(1)
	v_mul_f64 v[20:21], v[6:7], v[50:51]
	v_fmac_f64_e32 v[20:21], v[8:9], v[42:43]
	v_add_f64 v[18:19], v[18:19], v[20:21]
	s_waitcnt vmcnt(0) lgkmcnt(0)
	v_mul_f64 v[20:21], v[2:3], v[54:55]
	v_fmac_f64_e32 v[20:21], v[4:5], v[52:53]
	v_add_f64 v[22:23], v[18:19], v[20:21]
	ds_read_b128 v[18:21], v1 offset:1856
	buffer_load_dword v49, off, s[0:3], 0 offset:916
	buffer_load_dword v48, off, s[0:3], 0 offset:912
	;; [unrolled: 1-line block ×4, first 2 shown]
	ds_read_b128 v[30:33], v1 offset:1872
	buffer_load_dword v61, off, s[0:3], 0 offset:932
	buffer_load_dword v60, off, s[0:3], 0 offset:928
	;; [unrolled: 1-line block ×4, first 2 shown]
	v_mul_f64 v[12:13], v[12:13], v[46:47]
	v_add_f64 v[14:15], v[14:15], 0
	v_fma_f64 v[10:11], v[10:11], v[40:41], -v[12:13]
	v_mul_f64 v[8:9], v[8:9], v[50:51]
	v_add_f64 v[10:11], v[14:15], v[10:11]
	v_fma_f64 v[6:7], v[6:7], v[42:43], -v[8:9]
	;; [unrolled: 3-line block ×3, first 2 shown]
	v_add_f64 v[2:3], v[6:7], v[2:3]
	s_waitcnt vmcnt(4) lgkmcnt(1)
	v_mul_f64 v[24:25], v[18:19], v[64:65]
	v_fmac_f64_e32 v[24:25], v[20:21], v[48:49]
	v_add_f64 v[22:23], v[22:23], v[24:25]
	s_waitcnt vmcnt(0) lgkmcnt(0)
	v_mul_f64 v[24:25], v[30:31], v[62:63]
	v_fmac_f64_e32 v[24:25], v[32:33], v[60:61]
	v_add_f64 v[26:27], v[22:23], v[24:25]
	ds_read_b128 v[22:25], v1 offset:1888
	buffer_load_dword v57, off, s[0:3], 0 offset:948
	buffer_load_dword v56, off, s[0:3], 0 offset:944
	;; [unrolled: 1-line block ×4, first 2 shown]
	v_mul_f64 v[4:5], v[20:21], v[64:65]
	v_fma_f64 v[4:5], v[18:19], v[48:49], -v[4:5]
	v_add_f64 v[2:3], v[2:3], v[4:5]
	v_mul_f64 v[4:5], v[32:33], v[62:63]
	v_fma_f64 v[4:5], v[30:31], v[60:61], -v[4:5]
	v_add_f64 v[2:3], v[2:3], v[4:5]
	s_waitcnt vmcnt(0) lgkmcnt(0)
	v_mul_f64 v[28:29], v[22:23], v[66:67]
	v_fmac_f64_e32 v[28:29], v[24:25], v[56:57]
	v_add_f64 v[68:69], v[26:27], v[28:29]
	ds_read_b128 v[26:29], v1 offset:1904
	buffer_load_dword v59, off, s[0:3], 0 offset:964
	buffer_load_dword v58, off, s[0:3], 0 offset:960
	;; [unrolled: 1-line block ×4, first 2 shown]
	v_mul_f64 v[4:5], v[24:25], v[66:67]
	v_fma_f64 v[4:5], v[22:23], v[56:57], -v[4:5]
	v_add_f64 v[2:3], v[2:3], v[4:5]
	s_waitcnt vmcnt(0) lgkmcnt(0)
	v_mul_f64 v[4:5], v[28:29], v[70:71]
	v_mul_f64 v[72:73], v[26:27], v[70:71]
	v_fma_f64 v[4:5], v[26:27], v[58:59], -v[4:5]
	v_fmac_f64_e32 v[72:73], v[28:29], v[58:59]
	v_add_f64 v[2:3], v[2:3], v[4:5]
	v_add_f64 v[68:69], v[68:69], v[72:73]
	v_add_f64 v[2:3], v[36:37], -v[2:3]
	v_add_f64 v[4:5], v[34:35], -v[68:69]
	buffer_store_dword v3, off, s[0:3], 0 offset:836
	buffer_store_dword v2, off, s[0:3], 0 offset:832
	;; [unrolled: 1-line block ×4, first 2 shown]
	s_and_saveexec_b64 s[4:5], vcc
	s_cbranch_execz .LBB59_273
; %bb.272:
	v_accvgpr_read_b32 v0, a129
	buffer_load_dword v2, v0, s[0:3], 0 offen
	buffer_load_dword v3, v0, s[0:3], 0 offen offset:4
	buffer_load_dword v4, v0, s[0:3], 0 offen offset:8
	;; [unrolled: 1-line block ×3, first 2 shown]
	v_mov_b32_e32 v0, 0
	v_accvgpr_read_b32 v1, a180
	buffer_store_dword v0, off, s[0:3], 0 offset:816
	buffer_store_dword v0, off, s[0:3], 0 offset:820
	buffer_store_dword v0, off, s[0:3], 0 offset:824
	buffer_store_dword v0, off, s[0:3], 0 offset:828
	s_waitcnt vmcnt(4)
	ds_write_b128 v1, v[2:5]
.LBB59_273:
	s_or_b64 exec, exec, s[4:5]
	v_mov_b32_e32 v1, 0
	s_waitcnt lgkmcnt(0)
	; wave barrier
	s_waitcnt lgkmcnt(0)
	ds_read_b128 v[18:21], v1 offset:1776
	ds_read_b128 v[14:17], v1 offset:1792
	;; [unrolled: 1-line block ×4, first 2 shown]
	buffer_load_dword v40, off, s[0:3], 0 offset:816
	buffer_load_dword v41, off, s[0:3], 0 offset:820
	buffer_load_dword v38, off, s[0:3], 0 offset:824
	buffer_load_dword v39, off, s[0:3], 0 offset:828
	buffer_load_dword v44, off, s[0:3], 0 offset:832
	buffer_load_dword v45, off, s[0:3], 0 offset:836
	buffer_load_dword v56, off, s[0:3], 0 offset:840
	buffer_load_dword v57, off, s[0:3], 0 offset:844
	buffer_load_dword v50, off, s[0:3], 0 offset:848
	buffer_load_dword v51, off, s[0:3], 0 offset:852
	buffer_load_dword v54, off, s[0:3], 0 offset:856
	buffer_load_dword v55, off, s[0:3], 0 offset:860
	buffer_load_dword v48, off, s[0:3], 0 offset:864
	buffer_load_dword v49, off, s[0:3], 0 offset:868
	buffer_load_dword v52, off, s[0:3], 0 offset:872
	buffer_load_dword v53, off, s[0:3], 0 offset:876
	buffer_load_dword v47, off, s[0:3], 0 offset:884
	buffer_load_dword v46, off, s[0:3], 0 offset:880
	buffer_load_dword v59, off, s[0:3], 0 offset:892
	buffer_load_dword v58, off, s[0:3], 0 offset:888
	v_cmp_lt_u32_e32 vcc, 49, v254
	s_waitcnt vmcnt(12) lgkmcnt(3)
	v_mul_f64 v[6:7], v[18:19], v[56:57]
	v_fmac_f64_e32 v[6:7], v[20:21], v[44:45]
	v_add_f64 v[6:7], v[6:7], 0
	v_mul_f64 v[20:21], v[20:21], v[56:57]
	s_waitcnt vmcnt(8) lgkmcnt(2)
	v_mul_f64 v[8:9], v[14:15], v[54:55]
	v_fmac_f64_e32 v[8:9], v[16:17], v[50:51]
	v_add_f64 v[6:7], v[6:7], v[8:9]
	v_fma_f64 v[18:19], v[18:19], v[44:45], -v[20:21]
	s_waitcnt vmcnt(4) lgkmcnt(1)
	v_mul_f64 v[8:9], v[10:11], v[52:53]
	v_fmac_f64_e32 v[8:9], v[12:13], v[48:49]
	v_add_f64 v[6:7], v[6:7], v[8:9]
	s_waitcnt vmcnt(0) lgkmcnt(0)
	v_mul_f64 v[8:9], v[2:3], v[58:59]
	v_fmac_f64_e32 v[8:9], v[4:5], v[46:47]
	v_add_f64 v[22:23], v[6:7], v[8:9]
	ds_read_b128 v[6:9], v1 offset:1840
	buffer_load_dword v43, off, s[0:3], 0 offset:900
	buffer_load_dword v42, off, s[0:3], 0 offset:896
	;; [unrolled: 1-line block ×4, first 2 shown]
	v_mul_f64 v[16:17], v[16:17], v[54:55]
	v_add_f64 v[18:19], v[18:19], 0
	v_fma_f64 v[14:15], v[14:15], v[50:51], -v[16:17]
	v_mul_f64 v[12:13], v[12:13], v[52:53]
	v_add_f64 v[14:15], v[18:19], v[14:15]
	v_fma_f64 v[10:11], v[10:11], v[48:49], -v[12:13]
	;; [unrolled: 3-line block ×3, first 2 shown]
	v_add_f64 v[2:3], v[10:11], v[2:3]
	s_waitcnt vmcnt(0) lgkmcnt(0)
	v_mul_f64 v[24:25], v[6:7], v[60:61]
	v_fmac_f64_e32 v[24:25], v[8:9], v[42:43]
	v_add_f64 v[26:27], v[22:23], v[24:25]
	ds_read_b128 v[22:25], v1 offset:1856
	buffer_load_dword v63, off, s[0:3], 0 offset:916
	buffer_load_dword v62, off, s[0:3], 0 offset:912
	buffer_load_dword v65, off, s[0:3], 0 offset:924
	buffer_load_dword v64, off, s[0:3], 0 offset:920
	v_mul_f64 v[4:5], v[8:9], v[60:61]
	v_fma_f64 v[4:5], v[6:7], v[42:43], -v[4:5]
	v_add_f64 v[2:3], v[2:3], v[4:5]
	s_waitcnt vmcnt(0) lgkmcnt(0)
	v_mul_f64 v[28:29], v[22:23], v[64:65]
	v_fmac_f64_e32 v[28:29], v[24:25], v[62:63]
	v_add_f64 v[30:31], v[26:27], v[28:29]
	ds_read_b128 v[26:29], v1 offset:1872
	buffer_load_dword v67, off, s[0:3], 0 offset:932
	buffer_load_dword v66, off, s[0:3], 0 offset:928
	buffer_load_dword v69, off, s[0:3], 0 offset:940
	buffer_load_dword v68, off, s[0:3], 0 offset:936
	v_mul_f64 v[4:5], v[24:25], v[64:65]
	v_fma_f64 v[4:5], v[22:23], v[62:63], -v[4:5]
	;; [unrolled: 12-line block ×4, first 2 shown]
	v_add_f64 v[2:3], v[2:3], v[4:5]
	s_waitcnt vmcnt(0) lgkmcnt(0)
	v_mul_f64 v[4:5], v[36:37], v[76:77]
	v_mul_f64 v[80:81], v[34:35], v[76:77]
	v_fma_f64 v[4:5], v[34:35], v[74:75], -v[4:5]
	v_fmac_f64_e32 v[80:81], v[36:37], v[74:75]
	v_add_f64 v[2:3], v[2:3], v[4:5]
	v_add_f64 v[78:79], v[78:79], v[80:81]
	v_add_f64 v[2:3], v[40:41], -v[2:3]
	v_add_f64 v[4:5], v[38:39], -v[78:79]
	buffer_store_dword v3, off, s[0:3], 0 offset:820
	buffer_store_dword v2, off, s[0:3], 0 offset:816
	;; [unrolled: 1-line block ×4, first 2 shown]
	s_and_saveexec_b64 s[4:5], vcc
	s_cbranch_execz .LBB59_275
; %bb.274:
	v_accvgpr_read_b32 v0, a130
	buffer_load_dword v2, v0, s[0:3], 0 offen
	buffer_load_dword v3, v0, s[0:3], 0 offen offset:4
	buffer_load_dword v4, v0, s[0:3], 0 offen offset:8
	buffer_load_dword v5, v0, s[0:3], 0 offen offset:12
	v_accvgpr_read_b32 v0, a180
	buffer_store_dword v1, off, s[0:3], 0 offset:800
	buffer_store_dword v1, off, s[0:3], 0 offset:804
	;; [unrolled: 1-line block ×4, first 2 shown]
	s_waitcnt vmcnt(4)
	ds_write_b128 v0, v[2:5]
.LBB59_275:
	s_or_b64 exec, exec, s[4:5]
	s_waitcnt lgkmcnt(0)
	; wave barrier
	s_waitcnt lgkmcnt(0)
	ds_read_b128 v[18:21], v1 offset:1760
	ds_read_b128 v[10:13], v1 offset:1776
	;; [unrolled: 1-line block ×4, first 2 shown]
	buffer_load_dword v44, off, s[0:3], 0 offset:800
	buffer_load_dword v45, off, s[0:3], 0 offset:804
	;; [unrolled: 1-line block ×20, first 2 shown]
	v_cmp_lt_u32_e32 vcc, 48, v254
	s_waitcnt vmcnt(12) lgkmcnt(3)
	v_mul_f64 v[14:15], v[18:19], v[62:63]
	v_fmac_f64_e32 v[14:15], v[20:21], v[58:59]
	v_add_f64 v[14:15], v[14:15], 0
	v_mul_f64 v[20:21], v[20:21], v[62:63]
	s_waitcnt vmcnt(8) lgkmcnt(2)
	v_mul_f64 v[16:17], v[10:11], v[60:61]
	v_fmac_f64_e32 v[16:17], v[12:13], v[56:57]
	v_add_f64 v[14:15], v[14:15], v[16:17]
	v_fma_f64 v[18:19], v[18:19], v[58:59], -v[20:21]
	s_waitcnt vmcnt(4) lgkmcnt(1)
	v_mul_f64 v[16:17], v[6:7], v[48:49]
	v_fmac_f64_e32 v[16:17], v[8:9], v[46:47]
	v_add_f64 v[14:15], v[14:15], v[16:17]
	s_waitcnt vmcnt(0) lgkmcnt(0)
	v_mul_f64 v[16:17], v[2:3], v[52:53]
	v_fmac_f64_e32 v[16:17], v[4:5], v[50:51]
	v_add_f64 v[22:23], v[14:15], v[16:17]
	ds_read_b128 v[14:17], v1 offset:1824
	buffer_load_dword v55, off, s[0:3], 0 offset:884
	buffer_load_dword v54, off, s[0:3], 0 offset:880
	;; [unrolled: 1-line block ×4, first 2 shown]
	v_mul_f64 v[12:13], v[12:13], v[60:61]
	v_add_f64 v[18:19], v[18:19], 0
	v_fma_f64 v[10:11], v[10:11], v[56:57], -v[12:13]
	v_mul_f64 v[8:9], v[8:9], v[48:49]
	v_add_f64 v[10:11], v[18:19], v[10:11]
	v_fma_f64 v[6:7], v[6:7], v[46:47], -v[8:9]
	;; [unrolled: 3-line block ×3, first 2 shown]
	v_add_f64 v[2:3], v[6:7], v[2:3]
	s_waitcnt vmcnt(0) lgkmcnt(0)
	v_mul_f64 v[24:25], v[14:15], v[64:65]
	v_fmac_f64_e32 v[24:25], v[16:17], v[54:55]
	v_add_f64 v[26:27], v[22:23], v[24:25]
	ds_read_b128 v[22:25], v1 offset:1840
	buffer_load_dword v67, off, s[0:3], 0 offset:900
	buffer_load_dword v66, off, s[0:3], 0 offset:896
	buffer_load_dword v69, off, s[0:3], 0 offset:908
	buffer_load_dword v68, off, s[0:3], 0 offset:904
	v_mul_f64 v[4:5], v[16:17], v[64:65]
	v_fma_f64 v[4:5], v[14:15], v[54:55], -v[4:5]
	v_add_f64 v[2:3], v[2:3], v[4:5]
	s_waitcnt vmcnt(0) lgkmcnt(0)
	v_mul_f64 v[28:29], v[22:23], v[68:69]
	v_fmac_f64_e32 v[28:29], v[24:25], v[66:67]
	v_add_f64 v[30:31], v[26:27], v[28:29]
	ds_read_b128 v[26:29], v1 offset:1856
	buffer_load_dword v71, off, s[0:3], 0 offset:916
	buffer_load_dword v70, off, s[0:3], 0 offset:912
	buffer_load_dword v73, off, s[0:3], 0 offset:924
	buffer_load_dword v72, off, s[0:3], 0 offset:920
	v_mul_f64 v[4:5], v[24:25], v[68:69]
	v_fma_f64 v[4:5], v[22:23], v[66:67], -v[4:5]
	;; [unrolled: 12-line block ×5, first 2 shown]
	v_add_f64 v[2:3], v[2:3], v[4:5]
	s_waitcnt vmcnt(0) lgkmcnt(0)
	v_mul_f64 v[4:5], v[40:41], v[86:87]
	v_mul_f64 v[88:89], v[38:39], v[86:87]
	v_fma_f64 v[4:5], v[38:39], v[82:83], -v[4:5]
	v_fmac_f64_e32 v[88:89], v[40:41], v[82:83]
	v_add_f64 v[2:3], v[2:3], v[4:5]
	v_add_f64 v[84:85], v[84:85], v[88:89]
	v_add_f64 v[2:3], v[44:45], -v[2:3]
	v_add_f64 v[4:5], v[42:43], -v[84:85]
	buffer_store_dword v3, off, s[0:3], 0 offset:804
	buffer_store_dword v2, off, s[0:3], 0 offset:800
	;; [unrolled: 1-line block ×4, first 2 shown]
	s_and_saveexec_b64 s[4:5], vcc
	s_cbranch_execz .LBB59_277
; %bb.276:
	v_accvgpr_read_b32 v0, a131
	buffer_load_dword v2, v0, s[0:3], 0 offen
	buffer_load_dword v3, v0, s[0:3], 0 offen offset:4
	buffer_load_dword v4, v0, s[0:3], 0 offen offset:8
	;; [unrolled: 1-line block ×3, first 2 shown]
	v_mov_b32_e32 v0, 0
	v_accvgpr_read_b32 v1, a180
	buffer_store_dword v0, off, s[0:3], 0 offset:784
	buffer_store_dword v0, off, s[0:3], 0 offset:788
	;; [unrolled: 1-line block ×4, first 2 shown]
	s_waitcnt vmcnt(4)
	ds_write_b128 v1, v[2:5]
.LBB59_277:
	s_or_b64 exec, exec, s[4:5]
	v_mov_b32_e32 v1, 0
	s_waitcnt lgkmcnt(0)
	; wave barrier
	s_waitcnt lgkmcnt(0)
	ds_read_b128 v[14:17], v1 offset:1744
	ds_read_b128 v[10:13], v1 offset:1760
	;; [unrolled: 1-line block ×4, first 2 shown]
	buffer_load_dword v48, off, s[0:3], 0 offset:784
	buffer_load_dword v49, off, s[0:3], 0 offset:788
	buffer_load_dword v46, off, s[0:3], 0 offset:792
	buffer_load_dword v47, off, s[0:3], 0 offset:796
	buffer_load_dword v50, off, s[0:3], 0 offset:800
	buffer_load_dword v51, off, s[0:3], 0 offset:804
	buffer_load_dword v56, off, s[0:3], 0 offset:808
	buffer_load_dword v57, off, s[0:3], 0 offset:812
	buffer_load_dword v52, off, s[0:3], 0 offset:816
	buffer_load_dword v53, off, s[0:3], 0 offset:820
	buffer_load_dword v58, off, s[0:3], 0 offset:824
	buffer_load_dword v59, off, s[0:3], 0 offset:828
	buffer_load_dword v54, off, s[0:3], 0 offset:832
	buffer_load_dword v55, off, s[0:3], 0 offset:836
	buffer_load_dword v60, off, s[0:3], 0 offset:840
	buffer_load_dword v61, off, s[0:3], 0 offset:844
	buffer_load_dword v63, off, s[0:3], 0 offset:852
	buffer_load_dword v62, off, s[0:3], 0 offset:848
	buffer_load_dword v65, off, s[0:3], 0 offset:860
	buffer_load_dword v64, off, s[0:3], 0 offset:856
	v_cmp_lt_u32_e32 vcc, 47, v254
	s_waitcnt vmcnt(12) lgkmcnt(3)
	v_mul_f64 v[18:19], v[14:15], v[56:57]
	v_fmac_f64_e32 v[18:19], v[16:17], v[50:51]
	v_add_f64 v[18:19], v[18:19], 0
	v_mul_f64 v[16:17], v[16:17], v[56:57]
	s_waitcnt vmcnt(8) lgkmcnt(2)
	v_mul_f64 v[20:21], v[10:11], v[58:59]
	v_fmac_f64_e32 v[20:21], v[12:13], v[52:53]
	v_add_f64 v[18:19], v[18:19], v[20:21]
	v_fma_f64 v[14:15], v[14:15], v[50:51], -v[16:17]
	s_waitcnt vmcnt(4) lgkmcnt(1)
	v_mul_f64 v[20:21], v[6:7], v[60:61]
	v_fmac_f64_e32 v[20:21], v[8:9], v[54:55]
	v_add_f64 v[18:19], v[18:19], v[20:21]
	s_waitcnt vmcnt(0) lgkmcnt(0)
	v_mul_f64 v[20:21], v[2:3], v[64:65]
	v_fmac_f64_e32 v[20:21], v[4:5], v[62:63]
	v_add_f64 v[22:23], v[18:19], v[20:21]
	ds_read_b128 v[18:21], v1 offset:1808
	buffer_load_dword v67, off, s[0:3], 0 offset:868
	buffer_load_dword v66, off, s[0:3], 0 offset:864
	;; [unrolled: 1-line block ×4, first 2 shown]
	v_mul_f64 v[12:13], v[12:13], v[58:59]
	v_add_f64 v[14:15], v[14:15], 0
	v_fma_f64 v[10:11], v[10:11], v[52:53], -v[12:13]
	v_mul_f64 v[8:9], v[8:9], v[60:61]
	v_add_f64 v[10:11], v[14:15], v[10:11]
	v_fma_f64 v[6:7], v[6:7], v[54:55], -v[8:9]
	;; [unrolled: 3-line block ×3, first 2 shown]
	v_add_f64 v[2:3], v[6:7], v[2:3]
	s_waitcnt vmcnt(0) lgkmcnt(0)
	v_mul_f64 v[24:25], v[18:19], v[68:69]
	v_fmac_f64_e32 v[24:25], v[20:21], v[66:67]
	v_add_f64 v[26:27], v[22:23], v[24:25]
	ds_read_b128 v[22:25], v1 offset:1824
	buffer_load_dword v71, off, s[0:3], 0 offset:884
	buffer_load_dword v70, off, s[0:3], 0 offset:880
	buffer_load_dword v73, off, s[0:3], 0 offset:892
	buffer_load_dword v72, off, s[0:3], 0 offset:888
	v_mul_f64 v[4:5], v[20:21], v[68:69]
	v_fma_f64 v[4:5], v[18:19], v[66:67], -v[4:5]
	v_add_f64 v[2:3], v[2:3], v[4:5]
	s_waitcnt vmcnt(0) lgkmcnt(0)
	v_mul_f64 v[28:29], v[22:23], v[72:73]
	v_fmac_f64_e32 v[28:29], v[24:25], v[70:71]
	v_add_f64 v[30:31], v[26:27], v[28:29]
	ds_read_b128 v[26:29], v1 offset:1840
	buffer_load_dword v75, off, s[0:3], 0 offset:900
	buffer_load_dword v74, off, s[0:3], 0 offset:896
	buffer_load_dword v77, off, s[0:3], 0 offset:908
	buffer_load_dword v76, off, s[0:3], 0 offset:904
	v_mul_f64 v[4:5], v[24:25], v[72:73]
	v_fma_f64 v[4:5], v[22:23], v[70:71], -v[4:5]
	v_add_f64 v[2:3], v[2:3], v[4:5]
	s_waitcnt vmcnt(0) lgkmcnt(0)
	v_mul_f64 v[32:33], v[26:27], v[76:77]
	v_fmac_f64_e32 v[32:33], v[28:29], v[74:75]
	v_add_f64 v[34:35], v[30:31], v[32:33]
	ds_read_b128 v[30:33], v1 offset:1856
	buffer_load_dword v79, off, s[0:3], 0 offset:916
	buffer_load_dword v78, off, s[0:3], 0 offset:912
	buffer_load_dword v81, off, s[0:3], 0 offset:924
	buffer_load_dword v80, off, s[0:3], 0 offset:920
	v_mul_f64 v[4:5], v[28:29], v[76:77]
	v_fma_f64 v[4:5], v[26:27], v[74:75], -v[4:5]
	v_add_f64 v[2:3], v[2:3], v[4:5]
	s_waitcnt vmcnt(0) lgkmcnt(0)
	v_mul_f64 v[36:37], v[30:31], v[80:81]
	v_fmac_f64_e32 v[36:37], v[32:33], v[78:79]
	v_add_f64 v[38:39], v[34:35], v[36:37]
	ds_read_b128 v[34:37], v1 offset:1872
	buffer_load_dword v83, off, s[0:3], 0 offset:932
	buffer_load_dword v82, off, s[0:3], 0 offset:928
	buffer_load_dword v85, off, s[0:3], 0 offset:940
	buffer_load_dword v84, off, s[0:3], 0 offset:936
	v_mul_f64 v[4:5], v[32:33], v[80:81]
	v_fma_f64 v[4:5], v[30:31], v[78:79], -v[4:5]
	v_add_f64 v[2:3], v[2:3], v[4:5]
	s_waitcnt vmcnt(0) lgkmcnt(0)
	v_mul_f64 v[40:41], v[34:35], v[84:85]
	v_fmac_f64_e32 v[40:41], v[36:37], v[82:83]
	v_add_f64 v[42:43], v[38:39], v[40:41]
	ds_read_b128 v[38:41], v1 offset:1888
	buffer_load_dword v87, off, s[0:3], 0 offset:948
	buffer_load_dword v86, off, s[0:3], 0 offset:944
	buffer_load_dword v89, off, s[0:3], 0 offset:956
	buffer_load_dword v88, off, s[0:3], 0 offset:952
	v_mul_f64 v[4:5], v[36:37], v[84:85]
	v_fma_f64 v[4:5], v[34:35], v[82:83], -v[4:5]
	v_add_f64 v[2:3], v[2:3], v[4:5]
	s_waitcnt vmcnt(0) lgkmcnt(0)
	v_mul_f64 v[44:45], v[38:39], v[88:89]
	v_fmac_f64_e32 v[44:45], v[40:41], v[86:87]
	v_add_f64 v[94:95], v[42:43], v[44:45]
	ds_read_b128 v[42:45], v1 offset:1904
	buffer_load_dword v91, off, s[0:3], 0 offset:964
	buffer_load_dword v90, off, s[0:3], 0 offset:960
	buffer_load_dword v93, off, s[0:3], 0 offset:972
	buffer_load_dword v92, off, s[0:3], 0 offset:968
	v_mul_f64 v[4:5], v[40:41], v[88:89]
	v_fma_f64 v[4:5], v[38:39], v[86:87], -v[4:5]
	v_add_f64 v[2:3], v[2:3], v[4:5]
	s_waitcnt vmcnt(0) lgkmcnt(0)
	v_mul_f64 v[4:5], v[44:45], v[92:93]
	v_mul_f64 v[96:97], v[42:43], v[92:93]
	v_fma_f64 v[4:5], v[42:43], v[90:91], -v[4:5]
	v_fmac_f64_e32 v[96:97], v[44:45], v[90:91]
	v_add_f64 v[2:3], v[2:3], v[4:5]
	v_add_f64 v[94:95], v[94:95], v[96:97]
	v_add_f64 v[2:3], v[48:49], -v[2:3]
	v_add_f64 v[4:5], v[46:47], -v[94:95]
	buffer_store_dword v3, off, s[0:3], 0 offset:788
	buffer_store_dword v2, off, s[0:3], 0 offset:784
	;; [unrolled: 1-line block ×4, first 2 shown]
	s_and_saveexec_b64 s[4:5], vcc
	s_cbranch_execz .LBB59_279
; %bb.278:
	v_accvgpr_read_b32 v0, a132
	buffer_load_dword v2, v0, s[0:3], 0 offen
	buffer_load_dword v3, v0, s[0:3], 0 offen offset:4
	buffer_load_dword v4, v0, s[0:3], 0 offen offset:8
	;; [unrolled: 1-line block ×3, first 2 shown]
	v_accvgpr_read_b32 v0, a180
	buffer_store_dword v1, off, s[0:3], 0 offset:768
	buffer_store_dword v1, off, s[0:3], 0 offset:772
	buffer_store_dword v1, off, s[0:3], 0 offset:776
	buffer_store_dword v1, off, s[0:3], 0 offset:780
	s_waitcnt vmcnt(4)
	ds_write_b128 v0, v[2:5]
.LBB59_279:
	s_or_b64 exec, exec, s[4:5]
	s_waitcnt lgkmcnt(0)
	; wave barrier
	s_waitcnt lgkmcnt(0)
	ds_read_b128 v[14:17], v1 offset:1728
	ds_read_b128 v[10:13], v1 offset:1744
	;; [unrolled: 1-line block ×4, first 2 shown]
	buffer_load_dword v48, off, s[0:3], 0 offset:768
	buffer_load_dword v49, off, s[0:3], 0 offset:772
	;; [unrolled: 1-line block ×20, first 2 shown]
	v_cmp_lt_u32_e32 vcc, 46, v254
	s_waitcnt vmcnt(12) lgkmcnt(3)
	v_mul_f64 v[18:19], v[14:15], v[56:57]
	v_fmac_f64_e32 v[18:19], v[16:17], v[50:51]
	v_add_f64 v[18:19], v[18:19], 0
	v_mul_f64 v[16:17], v[16:17], v[56:57]
	s_waitcnt vmcnt(8) lgkmcnt(2)
	v_mul_f64 v[20:21], v[10:11], v[58:59]
	v_fmac_f64_e32 v[20:21], v[12:13], v[52:53]
	v_add_f64 v[18:19], v[18:19], v[20:21]
	v_fma_f64 v[14:15], v[14:15], v[50:51], -v[16:17]
	s_waitcnt vmcnt(4) lgkmcnt(1)
	v_mul_f64 v[20:21], v[6:7], v[60:61]
	v_fmac_f64_e32 v[20:21], v[8:9], v[54:55]
	v_add_f64 v[18:19], v[18:19], v[20:21]
	s_waitcnt vmcnt(0) lgkmcnt(0)
	v_mul_f64 v[20:21], v[2:3], v[64:65]
	v_fmac_f64_e32 v[20:21], v[4:5], v[62:63]
	v_add_f64 v[22:23], v[18:19], v[20:21]
	ds_read_b128 v[18:21], v1 offset:1792
	buffer_load_dword v67, off, s[0:3], 0 offset:852
	buffer_load_dword v66, off, s[0:3], 0 offset:848
	buffer_load_dword v69, off, s[0:3], 0 offset:860
	buffer_load_dword v68, off, s[0:3], 0 offset:856
	v_mul_f64 v[12:13], v[12:13], v[58:59]
	v_add_f64 v[14:15], v[14:15], 0
	v_fma_f64 v[10:11], v[10:11], v[52:53], -v[12:13]
	v_mul_f64 v[8:9], v[8:9], v[60:61]
	v_add_f64 v[10:11], v[14:15], v[10:11]
	v_fma_f64 v[6:7], v[6:7], v[54:55], -v[8:9]
	;; [unrolled: 3-line block ×3, first 2 shown]
	v_add_f64 v[2:3], v[6:7], v[2:3]
	s_waitcnt vmcnt(0) lgkmcnt(0)
	v_mul_f64 v[24:25], v[18:19], v[68:69]
	v_fmac_f64_e32 v[24:25], v[20:21], v[66:67]
	v_add_f64 v[26:27], v[22:23], v[24:25]
	ds_read_b128 v[22:25], v1 offset:1808
	buffer_load_dword v71, off, s[0:3], 0 offset:868
	buffer_load_dword v70, off, s[0:3], 0 offset:864
	buffer_load_dword v73, off, s[0:3], 0 offset:876
	buffer_load_dword v72, off, s[0:3], 0 offset:872
	v_mul_f64 v[4:5], v[20:21], v[68:69]
	v_fma_f64 v[4:5], v[18:19], v[66:67], -v[4:5]
	v_add_f64 v[2:3], v[2:3], v[4:5]
	s_waitcnt vmcnt(0) lgkmcnt(0)
	v_mul_f64 v[28:29], v[22:23], v[72:73]
	v_fmac_f64_e32 v[28:29], v[24:25], v[70:71]
	v_add_f64 v[30:31], v[26:27], v[28:29]
	ds_read_b128 v[26:29], v1 offset:1824
	buffer_load_dword v75, off, s[0:3], 0 offset:884
	buffer_load_dword v74, off, s[0:3], 0 offset:880
	buffer_load_dword v77, off, s[0:3], 0 offset:892
	buffer_load_dword v76, off, s[0:3], 0 offset:888
	v_mul_f64 v[4:5], v[24:25], v[72:73]
	v_fma_f64 v[4:5], v[22:23], v[70:71], -v[4:5]
	;; [unrolled: 12-line block ×7, first 2 shown]
	v_add_f64 v[2:3], v[2:3], v[4:5]
	s_waitcnt vmcnt(0) lgkmcnt(0)
	v_mul_f64 v[4:5], v[96:97], v[102:103]
	v_mul_f64 v[104:105], v[94:95], v[102:103]
	v_fma_f64 v[4:5], v[94:95], v[100:101], -v[4:5]
	v_fmac_f64_e32 v[104:105], v[96:97], v[100:101]
	v_add_f64 v[2:3], v[2:3], v[4:5]
	v_add_f64 v[98:99], v[98:99], v[104:105]
	v_add_f64 v[2:3], v[48:49], -v[2:3]
	v_add_f64 v[4:5], v[46:47], -v[98:99]
	buffer_store_dword v3, off, s[0:3], 0 offset:772
	buffer_store_dword v2, off, s[0:3], 0 offset:768
	;; [unrolled: 1-line block ×4, first 2 shown]
	s_and_saveexec_b64 s[4:5], vcc
	s_cbranch_execz .LBB59_281
; %bb.280:
	v_accvgpr_read_b32 v0, a133
	buffer_load_dword v2, v0, s[0:3], 0 offen
	buffer_load_dword v3, v0, s[0:3], 0 offen offset:4
	buffer_load_dword v4, v0, s[0:3], 0 offen offset:8
	;; [unrolled: 1-line block ×3, first 2 shown]
	v_mov_b32_e32 v0, 0
	v_accvgpr_read_b32 v1, a180
	buffer_store_dword v0, off, s[0:3], 0 offset:752
	buffer_store_dword v0, off, s[0:3], 0 offset:756
	;; [unrolled: 1-line block ×4, first 2 shown]
	s_waitcnt vmcnt(4)
	ds_write_b128 v1, v[2:5]
.LBB59_281:
	s_or_b64 exec, exec, s[4:5]
	s_waitcnt lgkmcnt(0)
	; wave barrier
	s_waitcnt lgkmcnt(0)
	buffer_load_dword v2, off, s[0:3], 0 offset:768
	buffer_load_dword v3, off, s[0:3], 0 offset:772
	;; [unrolled: 1-line block ×56, first 2 shown]
	v_mov_b32_e32 v1, 0
	ds_read_b128 v[30:33], v1 offset:1712
	ds_read_b128 v[34:37], v1 offset:1728
	;; [unrolled: 1-line block ×9, first 2 shown]
	v_cmp_lt_u32_e32 vcc, 45, v254
	s_waitcnt vmcnt(52) lgkmcnt(8)
	v_mul_f64 v[62:63], v[30:31], v[6:7]
	v_fmac_f64_e32 v[62:63], v[32:33], v[2:3]
	v_mul_f64 v[6:7], v[32:33], v[6:7]
	v_add_f64 v[62:63], v[62:63], 0
	s_waitcnt vmcnt(48) lgkmcnt(7)
	v_mul_f64 v[64:65], v[34:35], v[8:9]
	v_fmac_f64_e32 v[64:65], v[36:37], v[4:5]
	s_waitcnt vmcnt(46) lgkmcnt(6)
	v_mul_f64 v[66:67], v[38:39], v[10:11]
	v_fma_f64 v[2:3], v[30:31], v[2:3], -v[6:7]
	v_mul_f64 v[6:7], v[36:37], v[8:9]
	s_waitcnt vmcnt(44) lgkmcnt(5)
	v_mul_f64 v[68:69], v[42:43], v[12:13]
	v_add_f64 v[62:63], v[62:63], v[64:65]
	v_add_f64 v[2:3], v[2:3], 0
	v_fma_f64 v[4:5], v[34:35], v[4:5], -v[6:7]
	v_add_f64 v[2:3], v[2:3], v[4:5]
	v_mul_f64 v[4:5], v[40:41], v[10:11]
	s_waitcnt vmcnt(37) lgkmcnt(4)
	v_mul_f64 v[70:71], v[46:47], v[20:21]
	s_waitcnt lgkmcnt(3)
	v_mul_f64 v[72:73], v[50:51], v[18:19]
	s_waitcnt vmcnt(35)
	v_fmac_f64_e32 v[70:71], v[48:49], v[22:23]
	s_waitcnt lgkmcnt(2)
	v_mul_f64 v[74:75], v[54:55], v[14:15]
	s_waitcnt vmcnt(33)
	v_fmac_f64_e32 v[66:67], v[40:41], v[28:29]
	v_add_f64 v[62:63], v[62:63], v[66:67]
	s_waitcnt vmcnt(31)
	v_fmac_f64_e32 v[68:69], v[44:45], v[26:27]
	v_add_f64 v[62:63], v[62:63], v[68:69]
	v_fma_f64 v[4:5], v[38:39], v[28:29], -v[4:5]
	s_waitcnt vmcnt(29)
	v_fmac_f64_e32 v[72:73], v[52:53], v[24:25]
	v_add_f64 v[62:63], v[62:63], v[70:71]
	v_add_f64 v[2:3], v[2:3], v[4:5]
	v_mul_f64 v[4:5], v[44:45], v[12:13]
	s_waitcnt vmcnt(28)
	v_fmac_f64_e32 v[74:75], v[56:57], v[16:17]
	v_add_f64 v[62:63], v[62:63], v[72:73]
	v_fma_f64 v[4:5], v[42:43], v[26:27], -v[4:5]
	v_add_f64 v[66:67], v[62:63], v[74:75]
	ds_read_b128 v[62:65], v1 offset:1840
	s_waitcnt vmcnt(24) lgkmcnt(2)
	v_mul_f64 v[68:69], v[58:59], v[86:87]
	v_add_f64 v[2:3], v[2:3], v[4:5]
	v_mul_f64 v[4:5], v[48:49], v[20:21]
	s_waitcnt vmcnt(22)
	v_fmac_f64_e32 v[68:69], v[60:61], v[88:89]
	v_fma_f64 v[4:5], v[46:47], v[22:23], -v[4:5]
	v_add_f64 v[70:71], v[66:67], v[68:69]
	ds_read_b128 v[66:69], v1 offset:1856
	v_add_f64 v[2:3], v[2:3], v[4:5]
	v_mul_f64 v[4:5], v[52:53], v[18:19]
	v_fma_f64 v[4:5], v[50:51], v[24:25], -v[4:5]
	v_add_f64 v[2:3], v[2:3], v[4:5]
	v_mul_f64 v[4:5], v[56:57], v[14:15]
	s_waitcnt vmcnt(21) lgkmcnt(1)
	v_mul_f64 v[72:73], v[62:63], v[82:83]
	v_fma_f64 v[4:5], v[54:55], v[16:17], -v[4:5]
	s_waitcnt vmcnt(20)
	v_fmac_f64_e32 v[72:73], v[64:65], v[84:85]
	v_add_f64 v[2:3], v[2:3], v[4:5]
	v_mul_f64 v[4:5], v[60:61], v[86:87]
	v_add_f64 v[74:75], v[70:71], v[72:73]
	ds_read_b128 v[70:73], v1 offset:1872
	s_waitcnt vmcnt(16) lgkmcnt(1)
	v_mul_f64 v[76:77], v[66:67], v[94:95]
	v_fma_f64 v[4:5], v[58:59], v[88:89], -v[4:5]
	s_waitcnt vmcnt(14)
	v_fmac_f64_e32 v[76:77], v[68:69], v[96:97]
	v_add_f64 v[2:3], v[2:3], v[4:5]
	v_mul_f64 v[4:5], v[64:65], v[82:83]
	v_add_f64 v[110:111], v[74:75], v[76:77]
	ds_read_b128 v[74:77], v1 offset:1888
	v_fma_f64 v[4:5], v[62:63], v[84:85], -v[4:5]
	v_add_f64 v[2:3], v[2:3], v[4:5]
	v_mul_f64 v[4:5], v[68:69], v[94:95]
	v_fma_f64 v[4:5], v[66:67], v[96:97], -v[4:5]
	v_add_f64 v[2:3], v[2:3], v[4:5]
	s_waitcnt vmcnt(13) lgkmcnt(1)
	v_mul_f64 v[4:5], v[72:73], v[90:91]
	v_mul_f64 v[112:113], v[70:71], v[90:91]
	s_waitcnt vmcnt(12)
	v_fma_f64 v[4:5], v[70:71], v[92:93], -v[4:5]
	v_fmac_f64_e32 v[112:113], v[72:73], v[92:93]
	v_add_f64 v[2:3], v[2:3], v[4:5]
	s_waitcnt vmcnt(8) lgkmcnt(0)
	v_mul_f64 v[4:5], v[76:77], v[102:103]
	v_add_f64 v[110:111], v[110:111], v[112:113]
	v_mul_f64 v[112:113], v[74:75], v[102:103]
	s_waitcnt vmcnt(6)
	v_fma_f64 v[4:5], v[74:75], v[104:105], -v[4:5]
	v_fmac_f64_e32 v[112:113], v[76:77], v[104:105]
	v_add_f64 v[2:3], v[2:3], v[4:5]
	s_waitcnt vmcnt(5)
	v_mul_f64 v[4:5], v[80:81], v[98:99]
	v_add_f64 v[110:111], v[110:111], v[112:113]
	v_mul_f64 v[112:113], v[78:79], v[98:99]
	s_waitcnt vmcnt(4)
	v_fma_f64 v[4:5], v[78:79], v[100:101], -v[4:5]
	v_fmac_f64_e32 v[112:113], v[80:81], v[100:101]
	v_add_f64 v[2:3], v[2:3], v[4:5]
	v_add_f64 v[110:111], v[110:111], v[112:113]
	s_waitcnt vmcnt(2)
	v_add_f64 v[2:3], v[106:107], -v[2:3]
	s_waitcnt vmcnt(0)
	v_add_f64 v[4:5], v[108:109], -v[110:111]
	buffer_store_dword v3, off, s[0:3], 0 offset:756
	buffer_store_dword v2, off, s[0:3], 0 offset:752
	;; [unrolled: 1-line block ×4, first 2 shown]
	s_and_saveexec_b64 s[4:5], vcc
	s_cbranch_execz .LBB59_283
; %bb.282:
	v_accvgpr_read_b32 v0, a134
	buffer_load_dword v2, v0, s[0:3], 0 offen
	buffer_load_dword v3, v0, s[0:3], 0 offen offset:4
	buffer_load_dword v4, v0, s[0:3], 0 offen offset:8
	;; [unrolled: 1-line block ×3, first 2 shown]
	v_accvgpr_read_b32 v0, a180
	buffer_store_dword v1, off, s[0:3], 0 offset:736
	buffer_store_dword v1, off, s[0:3], 0 offset:740
	;; [unrolled: 1-line block ×4, first 2 shown]
	s_waitcnt vmcnt(4)
	ds_write_b128 v0, v[2:5]
.LBB59_283:
	s_or_b64 exec, exec, s[4:5]
	s_waitcnt lgkmcnt(0)
	; wave barrier
	s_waitcnt lgkmcnt(0)
	buffer_load_dword v2, off, s[0:3], 0 offset:752
	buffer_load_dword v3, off, s[0:3], 0 offset:756
	;; [unrolled: 1-line block ×60, first 2 shown]
	ds_read_b128 v[30:33], v1 offset:1696
	ds_read_b128 v[34:37], v1 offset:1712
	;; [unrolled: 1-line block ×8, first 2 shown]
	v_cmp_lt_u32_e32 vcc, 44, v254
	ds_read_b128 v[82:85], v1 offset:1904
	s_waitcnt vmcnt(56) lgkmcnt(8)
	v_mul_f64 v[62:63], v[30:31], v[6:7]
	v_fmac_f64_e32 v[62:63], v[32:33], v[2:3]
	v_add_f64 v[62:63], v[62:63], 0
	v_mul_f64 v[6:7], v[32:33], v[6:7]
	s_waitcnt vmcnt(52) lgkmcnt(7)
	v_mul_f64 v[64:65], v[34:35], v[8:9]
	v_fmac_f64_e32 v[64:65], v[36:37], v[4:5]
	s_waitcnt vmcnt(50) lgkmcnt(6)
	v_mul_f64 v[66:67], v[38:39], v[10:11]
	v_add_f64 v[62:63], v[62:63], v[64:65]
	s_waitcnt vmcnt(48) lgkmcnt(4)
	v_mul_f64 v[70:71], v[46:47], v[12:13]
	v_fma_f64 v[2:3], v[30:31], v[2:3], -v[6:7]
	s_waitcnt vmcnt(46)
	v_fmac_f64_e32 v[70:71], v[48:49], v[14:15]
	v_mul_f64 v[6:7], v[36:37], v[8:9]
	s_waitcnt vmcnt(44)
	v_mul_f64 v[68:69], v[42:43], v[16:17]
	v_add_f64 v[2:3], v[2:3], 0
	v_fma_f64 v[4:5], v[34:35], v[4:5], -v[6:7]
	v_add_f64 v[2:3], v[2:3], v[4:5]
	s_waitcnt vmcnt(40) lgkmcnt(3)
	v_mul_f64 v[72:73], v[50:51], v[22:23]
	v_mul_f64 v[4:5], v[40:41], v[10:11]
	s_waitcnt vmcnt(38)
	v_fmac_f64_e32 v[66:67], v[40:41], v[28:29]
	v_add_f64 v[62:63], v[62:63], v[66:67]
	s_waitcnt vmcnt(36)
	v_fmac_f64_e32 v[68:69], v[44:45], v[26:27]
	v_add_f64 v[62:63], v[62:63], v[68:69]
	s_waitcnt vmcnt(34)
	v_fmac_f64_e32 v[72:73], v[52:53], v[24:25]
	v_add_f64 v[62:63], v[62:63], v[70:71]
	s_waitcnt vmcnt(33) lgkmcnt(2)
	v_mul_f64 v[64:65], v[54:55], v[18:19]
	v_add_f64 v[62:63], v[62:63], v[72:73]
	s_waitcnt vmcnt(32)
	v_fmac_f64_e32 v[64:65], v[56:57], v[20:21]
	v_add_f64 v[66:67], v[62:63], v[64:65]
	ds_read_b128 v[62:65], v1 offset:1824
	v_fma_f64 v[4:5], v[38:39], v[28:29], -v[4:5]
	v_add_f64 v[2:3], v[2:3], v[4:5]
	v_mul_f64 v[4:5], v[44:45], v[16:17]
	v_fma_f64 v[4:5], v[42:43], v[26:27], -v[4:5]
	s_waitcnt vmcnt(28) lgkmcnt(2)
	v_mul_f64 v[68:69], v[58:59], v[90:91]
	v_add_f64 v[2:3], v[2:3], v[4:5]
	v_mul_f64 v[4:5], v[48:49], v[12:13]
	s_waitcnt vmcnt(26)
	v_fmac_f64_e32 v[68:69], v[60:61], v[92:93]
	v_fma_f64 v[4:5], v[46:47], v[14:15], -v[4:5]
	v_add_f64 v[70:71], v[66:67], v[68:69]
	ds_read_b128 v[66:69], v1 offset:1840
	s_waitcnt vmcnt(25) lgkmcnt(1)
	v_mul_f64 v[72:73], v[62:63], v[86:87]
	v_add_f64 v[2:3], v[2:3], v[4:5]
	v_mul_f64 v[4:5], v[52:53], v[22:23]
	s_waitcnt vmcnt(24)
	v_fmac_f64_e32 v[72:73], v[64:65], v[88:89]
	v_fma_f64 v[4:5], v[50:51], v[24:25], -v[4:5]
	v_add_f64 v[74:75], v[70:71], v[72:73]
	ds_read_b128 v[70:73], v1 offset:1856
	v_add_f64 v[2:3], v[2:3], v[4:5]
	v_mul_f64 v[4:5], v[56:57], v[18:19]
	v_fma_f64 v[4:5], v[54:55], v[20:21], -v[4:5]
	v_add_f64 v[2:3], v[2:3], v[4:5]
	v_mul_f64 v[4:5], v[60:61], v[90:91]
	s_waitcnt vmcnt(20) lgkmcnt(1)
	v_mul_f64 v[76:77], v[66:67], v[98:99]
	v_fma_f64 v[4:5], v[58:59], v[92:93], -v[4:5]
	s_waitcnt vmcnt(18)
	v_fmac_f64_e32 v[76:77], v[68:69], v[100:101]
	v_add_f64 v[2:3], v[2:3], v[4:5]
	v_mul_f64 v[4:5], v[64:65], v[86:87]
	v_add_f64 v[78:79], v[74:75], v[76:77]
	ds_read_b128 v[74:77], v1 offset:1872
	s_waitcnt vmcnt(17) lgkmcnt(1)
	v_mul_f64 v[80:81], v[70:71], v[94:95]
	v_fma_f64 v[4:5], v[62:63], v[88:89], -v[4:5]
	s_waitcnt vmcnt(16)
	v_fmac_f64_e32 v[80:81], v[72:73], v[96:97]
	v_add_f64 v[2:3], v[2:3], v[4:5]
	v_mul_f64 v[4:5], v[68:69], v[98:99]
	v_add_f64 v[118:119], v[78:79], v[80:81]
	ds_read_b128 v[78:81], v1 offset:1888
	v_fma_f64 v[4:5], v[66:67], v[100:101], -v[4:5]
	v_add_f64 v[2:3], v[2:3], v[4:5]
	v_mul_f64 v[4:5], v[72:73], v[94:95]
	v_fma_f64 v[4:5], v[70:71], v[96:97], -v[4:5]
	v_add_f64 v[2:3], v[2:3], v[4:5]
	s_waitcnt vmcnt(12) lgkmcnt(1)
	v_mul_f64 v[4:5], v[76:77], v[106:107]
	v_mul_f64 v[120:121], v[74:75], v[106:107]
	s_waitcnt vmcnt(10)
	v_fma_f64 v[4:5], v[74:75], v[108:109], -v[4:5]
	v_fmac_f64_e32 v[120:121], v[76:77], v[108:109]
	v_add_f64 v[2:3], v[2:3], v[4:5]
	s_waitcnt vmcnt(9) lgkmcnt(0)
	v_mul_f64 v[4:5], v[80:81], v[102:103]
	v_add_f64 v[118:119], v[118:119], v[120:121]
	v_mul_f64 v[120:121], v[78:79], v[102:103]
	s_waitcnt vmcnt(8)
	v_fma_f64 v[4:5], v[78:79], v[104:105], -v[4:5]
	v_fmac_f64_e32 v[120:121], v[80:81], v[104:105]
	v_add_f64 v[2:3], v[2:3], v[4:5]
	s_waitcnt vmcnt(6)
	v_mul_f64 v[4:5], v[84:85], v[110:111]
	v_add_f64 v[118:119], v[118:119], v[120:121]
	v_mul_f64 v[120:121], v[82:83], v[110:111]
	s_waitcnt vmcnt(4)
	v_fma_f64 v[4:5], v[82:83], v[112:113], -v[4:5]
	v_fmac_f64_e32 v[120:121], v[84:85], v[112:113]
	v_add_f64 v[2:3], v[2:3], v[4:5]
	v_add_f64 v[118:119], v[118:119], v[120:121]
	s_waitcnt vmcnt(2)
	v_add_f64 v[2:3], v[114:115], -v[2:3]
	s_waitcnt vmcnt(0)
	v_add_f64 v[4:5], v[116:117], -v[118:119]
	buffer_store_dword v3, off, s[0:3], 0 offset:740
	buffer_store_dword v2, off, s[0:3], 0 offset:736
	;; [unrolled: 1-line block ×4, first 2 shown]
	s_and_saveexec_b64 s[4:5], vcc
	s_cbranch_execz .LBB59_285
; %bb.284:
	v_accvgpr_read_b32 v0, a135
	buffer_load_dword v2, v0, s[0:3], 0 offen
	buffer_load_dword v3, v0, s[0:3], 0 offen offset:4
	buffer_load_dword v4, v0, s[0:3], 0 offen offset:8
	;; [unrolled: 1-line block ×3, first 2 shown]
	v_mov_b32_e32 v0, 0
	v_accvgpr_read_b32 v1, a180
	buffer_store_dword v0, off, s[0:3], 0 offset:720
	buffer_store_dword v0, off, s[0:3], 0 offset:724
	;; [unrolled: 1-line block ×4, first 2 shown]
	s_waitcnt vmcnt(4)
	ds_write_b128 v1, v[2:5]
.LBB59_285:
	s_or_b64 exec, exec, s[4:5]
	s_waitcnt lgkmcnt(0)
	; wave barrier
	s_waitcnt lgkmcnt(0)
	buffer_load_dword v2, off, s[0:3], 0 offset:736
	buffer_load_dword v3, off, s[0:3], 0 offset:740
	;; [unrolled: 1-line block ×64, first 2 shown]
	v_mov_b32_e32 v1, 0
	ds_read_b128 v[38:41], v1 offset:1680
	ds_read_b128 v[42:45], v1 offset:1696
	ds_read_b128 v[46:49], v1 offset:1712
	ds_read_b128 v[50:53], v1 offset:1728
	ds_read_b128 v[54:57], v1 offset:1744
	ds_read_b128 v[58:61], v1 offset:1760
	ds_read_b128 v[94:97], v1 offset:1904
	v_cmp_lt_u32_e32 vcc, 43, v254
	s_waitcnt vmcnt(60) lgkmcnt(6)
	v_mul_f64 v[62:63], v[38:39], v[4:5]
	v_fmac_f64_e32 v[62:63], v[40:41], v[2:3]
	s_waitcnt vmcnt(58) lgkmcnt(5)
	v_mul_f64 v[64:65], v[42:43], v[6:7]
	v_add_f64 v[62:63], v[62:63], 0
	s_waitcnt vmcnt(56) lgkmcnt(4)
	v_mul_f64 v[66:67], v[46:47], v[8:9]
	v_mul_f64 v[4:5], v[40:41], v[4:5]
	s_waitcnt vmcnt(54) lgkmcnt(2)
	v_mul_f64 v[70:71], v[54:55], v[10:11]
	v_fma_f64 v[2:3], v[38:39], v[2:3], -v[4:5]
	v_mul_f64 v[4:5], v[44:45], v[6:7]
	s_waitcnt vmcnt(51)
	v_mul_f64 v[68:69], v[50:51], v[14:15]
	v_add_f64 v[2:3], v[2:3], 0
	s_waitcnt vmcnt(49)
	v_fmac_f64_e32 v[64:65], v[44:45], v[20:21]
	v_add_f64 v[62:63], v[62:63], v[64:65]
	s_waitcnt vmcnt(47)
	v_fmac_f64_e32 v[66:67], v[48:49], v[18:19]
	;; [unrolled: 3-line block ×4, first 2 shown]
	v_add_f64 v[66:67], v[62:63], v[70:71]
	ds_read_b128 v[62:65], v1 offset:1776
	s_waitcnt vmcnt(40) lgkmcnt(2)
	v_mul_f64 v[68:69], v[58:59], v[26:27]
	v_fma_f64 v[4:5], v[42:43], v[20:21], -v[4:5]
	s_waitcnt vmcnt(38)
	v_fmac_f64_e32 v[68:69], v[60:61], v[28:29]
	v_add_f64 v[70:71], v[66:67], v[68:69]
	ds_read_b128 v[66:69], v1 offset:1792
	s_waitcnt vmcnt(37) lgkmcnt(1)
	v_mul_f64 v[72:73], v[62:63], v[22:23]
	s_waitcnt vmcnt(36)
	v_fmac_f64_e32 v[72:73], v[64:65], v[24:25]
	v_add_f64 v[2:3], v[2:3], v[4:5]
	v_mul_f64 v[4:5], v[48:49], v[8:9]
	v_add_f64 v[74:75], v[70:71], v[72:73]
	ds_read_b128 v[70:73], v1 offset:1808
	s_waitcnt vmcnt(32) lgkmcnt(1)
	v_mul_f64 v[76:77], v[66:67], v[34:35]
	v_fma_f64 v[4:5], v[46:47], v[18:19], -v[4:5]
	s_waitcnt vmcnt(30)
	v_fmac_f64_e32 v[76:77], v[68:69], v[36:37]
	v_add_f64 v[2:3], v[2:3], v[4:5]
	v_mul_f64 v[4:5], v[52:53], v[14:15]
	v_add_f64 v[78:79], v[74:75], v[76:77]
	ds_read_b128 v[74:77], v1 offset:1824
	v_fma_f64 v[4:5], v[50:51], v[16:17], -v[4:5]
	v_add_f64 v[2:3], v[2:3], v[4:5]
	v_mul_f64 v[4:5], v[56:57], v[10:11]
	v_fma_f64 v[4:5], v[54:55], v[12:13], -v[4:5]
	s_waitcnt vmcnt(29) lgkmcnt(1)
	v_mul_f64 v[80:81], v[70:71], v[30:31]
	v_add_f64 v[2:3], v[2:3], v[4:5]
	v_mul_f64 v[4:5], v[60:61], v[26:27]
	s_waitcnt vmcnt(28)
	v_fmac_f64_e32 v[80:81], v[72:73], v[32:33]
	v_fma_f64 v[4:5], v[58:59], v[28:29], -v[4:5]
	v_add_f64 v[82:83], v[78:79], v[80:81]
	ds_read_b128 v[78:81], v1 offset:1840
	s_waitcnt vmcnt(24) lgkmcnt(1)
	v_mul_f64 v[84:85], v[74:75], v[102:103]
	v_add_f64 v[2:3], v[2:3], v[4:5]
	v_mul_f64 v[4:5], v[64:65], v[22:23]
	s_waitcnt vmcnt(22)
	v_fmac_f64_e32 v[84:85], v[76:77], v[104:105]
	v_fma_f64 v[4:5], v[62:63], v[24:25], -v[4:5]
	v_add_f64 v[86:87], v[82:83], v[84:85]
	ds_read_b128 v[82:85], v1 offset:1856
	v_add_f64 v[2:3], v[2:3], v[4:5]
	v_mul_f64 v[4:5], v[68:69], v[34:35]
	v_fma_f64 v[4:5], v[66:67], v[36:37], -v[4:5]
	v_add_f64 v[2:3], v[2:3], v[4:5]
	v_mul_f64 v[4:5], v[72:73], v[30:31]
	s_waitcnt vmcnt(21) lgkmcnt(1)
	v_mul_f64 v[88:89], v[78:79], v[98:99]
	v_fma_f64 v[4:5], v[70:71], v[32:33], -v[4:5]
	s_waitcnt vmcnt(20)
	v_fmac_f64_e32 v[88:89], v[80:81], v[100:101]
	v_add_f64 v[2:3], v[2:3], v[4:5]
	v_mul_f64 v[4:5], v[76:77], v[102:103]
	v_add_f64 v[90:91], v[86:87], v[88:89]
	ds_read_b128 v[86:89], v1 offset:1872
	s_waitcnt vmcnt(16) lgkmcnt(1)
	v_mul_f64 v[92:93], v[82:83], v[110:111]
	v_fma_f64 v[4:5], v[74:75], v[104:105], -v[4:5]
	s_waitcnt vmcnt(14)
	v_fmac_f64_e32 v[92:93], v[84:85], v[112:113]
	v_add_f64 v[2:3], v[2:3], v[4:5]
	v_mul_f64 v[4:5], v[80:81], v[98:99]
	v_add_f64 v[126:127], v[90:91], v[92:93]
	ds_read_b128 v[90:93], v1 offset:1888
	v_fma_f64 v[4:5], v[78:79], v[100:101], -v[4:5]
	v_add_f64 v[2:3], v[2:3], v[4:5]
	v_mul_f64 v[4:5], v[84:85], v[110:111]
	v_fma_f64 v[4:5], v[82:83], v[112:113], -v[4:5]
	v_add_f64 v[2:3], v[2:3], v[4:5]
	s_waitcnt vmcnt(13) lgkmcnt(1)
	v_mul_f64 v[4:5], v[88:89], v[106:107]
	v_mul_f64 v[128:129], v[86:87], v[106:107]
	s_waitcnt vmcnt(12)
	v_fma_f64 v[4:5], v[86:87], v[108:109], -v[4:5]
	v_fmac_f64_e32 v[128:129], v[88:89], v[108:109]
	v_add_f64 v[2:3], v[2:3], v[4:5]
	s_waitcnt vmcnt(8) lgkmcnt(0)
	v_mul_f64 v[4:5], v[92:93], v[118:119]
	v_add_f64 v[126:127], v[126:127], v[128:129]
	v_mul_f64 v[128:129], v[90:91], v[118:119]
	s_waitcnt vmcnt(6)
	v_fma_f64 v[4:5], v[90:91], v[120:121], -v[4:5]
	v_fmac_f64_e32 v[128:129], v[92:93], v[120:121]
	v_add_f64 v[2:3], v[2:3], v[4:5]
	s_waitcnt vmcnt(5)
	v_mul_f64 v[4:5], v[96:97], v[114:115]
	v_add_f64 v[126:127], v[126:127], v[128:129]
	v_mul_f64 v[128:129], v[94:95], v[114:115]
	s_waitcnt vmcnt(4)
	v_fma_f64 v[4:5], v[94:95], v[116:117], -v[4:5]
	v_fmac_f64_e32 v[128:129], v[96:97], v[116:117]
	v_add_f64 v[2:3], v[2:3], v[4:5]
	v_add_f64 v[126:127], v[126:127], v[128:129]
	s_waitcnt vmcnt(2)
	v_add_f64 v[2:3], v[122:123], -v[2:3]
	s_waitcnt vmcnt(0)
	v_add_f64 v[4:5], v[124:125], -v[126:127]
	buffer_store_dword v3, off, s[0:3], 0 offset:724
	buffer_store_dword v2, off, s[0:3], 0 offset:720
	;; [unrolled: 1-line block ×4, first 2 shown]
	s_and_saveexec_b64 s[4:5], vcc
	s_cbranch_execz .LBB59_287
; %bb.286:
	v_accvgpr_read_b32 v0, a136
	buffer_load_dword v2, v0, s[0:3], 0 offen
	buffer_load_dword v3, v0, s[0:3], 0 offen offset:4
	buffer_load_dword v4, v0, s[0:3], 0 offen offset:8
	;; [unrolled: 1-line block ×3, first 2 shown]
	v_accvgpr_read_b32 v0, a180
	buffer_store_dword v1, off, s[0:3], 0 offset:704
	buffer_store_dword v1, off, s[0:3], 0 offset:708
	;; [unrolled: 1-line block ×4, first 2 shown]
	s_waitcnt vmcnt(4)
	ds_write_b128 v0, v[2:5]
.LBB59_287:
	s_or_b64 exec, exec, s[4:5]
	s_waitcnt lgkmcnt(0)
	; wave barrier
	s_waitcnt lgkmcnt(0)
	buffer_load_dword v2, off, s[0:3], 0 offset:720
	buffer_load_dword v3, off, s[0:3], 0 offset:724
	;; [unrolled: 1-line block ×64, first 2 shown]
	ds_read_b128 v[46:49], v1 offset:1664
	ds_read_b128 v[50:53], v1 offset:1680
	;; [unrolled: 1-line block ×4, first 2 shown]
	buffer_load_dword v130, off, s[0:3], 0 offset:704
	buffer_load_dword v131, off, s[0:3], 0 offset:708
	;; [unrolled: 1-line block ×4, first 2 shown]
	v_cmp_lt_u32_e32 vcc, 42, v254
	ds_read_b128 v[106:109], v1 offset:1904
	s_waitcnt vmcnt(62) lgkmcnt(4)
	v_mul_f64 v[62:63], v[46:47], v[4:5]
	v_fmac_f64_e32 v[62:63], v[48:49], v[2:3]
	v_add_f64 v[62:63], v[62:63], 0
	s_waitcnt lgkmcnt(2)
	v_mul_f64 v[66:67], v[54:55], v[6:7]
	v_mul_f64 v[4:5], v[48:49], v[4:5]
	v_fma_f64 v[2:3], v[46:47], v[2:3], -v[4:5]
	s_waitcnt vmcnt(58) lgkmcnt(1)
	v_mul_f64 v[68:69], v[58:59], v[12:13]
	v_add_f64 v[2:3], v[2:3], 0
	s_waitcnt vmcnt(56)
	v_mul_f64 v[64:65], v[50:51], v[18:19]
	v_mul_f64 v[4:5], v[52:53], v[18:19]
	s_waitcnt vmcnt(53)
	v_fmac_f64_e32 v[66:67], v[56:57], v[16:17]
	s_waitcnt vmcnt(52)
	v_fmac_f64_e32 v[64:65], v[52:53], v[20:21]
	v_add_f64 v[70:71], v[62:63], v[64:65]
	ds_read_b128 v[62:65], v1 offset:1728
	v_add_f64 v[66:67], v[70:71], v[66:67]
	s_waitcnt vmcnt(50)
	v_fmac_f64_e32 v[68:69], v[60:61], v[14:15]
	v_add_f64 v[70:71], v[66:67], v[68:69]
	ds_read_b128 v[66:69], v1 offset:1744
	s_waitcnt vmcnt(49) lgkmcnt(1)
	v_mul_f64 v[72:73], v[62:63], v[8:9]
	s_waitcnt vmcnt(48)
	v_fmac_f64_e32 v[72:73], v[64:65], v[10:11]
	v_add_f64 v[74:75], v[70:71], v[72:73]
	ds_read_b128 v[70:73], v1 offset:1760
	s_waitcnt vmcnt(44) lgkmcnt(1)
	v_mul_f64 v[76:77], v[66:67], v[26:27]
	;; [unrolled: 6-line block ×3, first 2 shown]
	s_waitcnt vmcnt(40)
	v_fmac_f64_e32 v[80:81], v[72:73], v[24:25]
	v_add_f64 v[82:83], v[78:79], v[80:81]
	ds_read_b128 v[78:81], v1 offset:1792
	v_fma_f64 v[4:5], v[50:51], v[20:21], -v[4:5]
	v_add_f64 v[2:3], v[2:3], v[4:5]
	v_mul_f64 v[4:5], v[56:57], v[6:7]
	s_waitcnt vmcnt(36) lgkmcnt(1)
	v_mul_f64 v[84:85], v[74:75], v[34:35]
	v_fma_f64 v[4:5], v[54:55], v[16:17], -v[4:5]
	s_waitcnt vmcnt(34)
	v_fmac_f64_e32 v[84:85], v[76:77], v[36:37]
	v_add_f64 v[2:3], v[2:3], v[4:5]
	v_mul_f64 v[4:5], v[60:61], v[12:13]
	v_add_f64 v[86:87], v[82:83], v[84:85]
	ds_read_b128 v[82:85], v1 offset:1808
	s_waitcnt vmcnt(33) lgkmcnt(1)
	v_mul_f64 v[88:89], v[78:79], v[30:31]
	v_fma_f64 v[4:5], v[58:59], v[14:15], -v[4:5]
	s_waitcnt vmcnt(32)
	v_fmac_f64_e32 v[88:89], v[80:81], v[32:33]
	v_add_f64 v[2:3], v[2:3], v[4:5]
	v_mul_f64 v[4:5], v[64:65], v[8:9]
	v_add_f64 v[90:91], v[86:87], v[88:89]
	ds_read_b128 v[86:89], v1 offset:1824
	v_fma_f64 v[4:5], v[62:63], v[10:11], -v[4:5]
	v_add_f64 v[2:3], v[2:3], v[4:5]
	v_mul_f64 v[4:5], v[68:69], v[26:27]
	v_fma_f64 v[4:5], v[66:67], v[28:29], -v[4:5]
	s_waitcnt vmcnt(28) lgkmcnt(1)
	v_mul_f64 v[92:93], v[82:83], v[42:43]
	v_add_f64 v[2:3], v[2:3], v[4:5]
	v_mul_f64 v[4:5], v[72:73], v[22:23]
	s_waitcnt vmcnt(26)
	v_fmac_f64_e32 v[92:93], v[84:85], v[44:45]
	v_fma_f64 v[4:5], v[70:71], v[24:25], -v[4:5]
	v_add_f64 v[94:95], v[90:91], v[92:93]
	ds_read_b128 v[90:93], v1 offset:1840
	s_waitcnt vmcnt(25) lgkmcnt(1)
	v_mul_f64 v[96:97], v[86:87], v[38:39]
	v_add_f64 v[2:3], v[2:3], v[4:5]
	v_mul_f64 v[4:5], v[76:77], v[34:35]
	s_waitcnt vmcnt(24)
	v_fmac_f64_e32 v[96:97], v[88:89], v[40:41]
	v_fma_f64 v[4:5], v[74:75], v[36:37], -v[4:5]
	v_add_f64 v[98:99], v[94:95], v[96:97]
	ds_read_b128 v[94:97], v1 offset:1856
	v_add_f64 v[2:3], v[2:3], v[4:5]
	v_mul_f64 v[4:5], v[80:81], v[30:31]
	v_fma_f64 v[4:5], v[78:79], v[32:33], -v[4:5]
	v_add_f64 v[2:3], v[2:3], v[4:5]
	v_mul_f64 v[4:5], v[84:85], v[42:43]
	s_waitcnt vmcnt(20) lgkmcnt(1)
	v_mul_f64 v[100:101], v[90:91], v[114:115]
	v_fma_f64 v[4:5], v[82:83], v[44:45], -v[4:5]
	s_waitcnt vmcnt(18)
	v_fmac_f64_e32 v[100:101], v[92:93], v[116:117]
	v_add_f64 v[2:3], v[2:3], v[4:5]
	v_mul_f64 v[4:5], v[88:89], v[38:39]
	v_add_f64 v[102:103], v[98:99], v[100:101]
	ds_read_b128 v[98:101], v1 offset:1872
	s_waitcnt vmcnt(17) lgkmcnt(1)
	v_mul_f64 v[104:105], v[94:95], v[110:111]
	v_fma_f64 v[4:5], v[86:87], v[40:41], -v[4:5]
	s_waitcnt vmcnt(16)
	v_fmac_f64_e32 v[104:105], v[96:97], v[112:113]
	v_add_f64 v[2:3], v[2:3], v[4:5]
	v_mul_f64 v[4:5], v[92:93], v[114:115]
	v_add_f64 v[134:135], v[102:103], v[104:105]
	ds_read_b128 v[102:105], v1 offset:1888
	v_fma_f64 v[4:5], v[90:91], v[116:117], -v[4:5]
	v_add_f64 v[2:3], v[2:3], v[4:5]
	v_mul_f64 v[4:5], v[96:97], v[110:111]
	v_fma_f64 v[4:5], v[94:95], v[112:113], -v[4:5]
	v_add_f64 v[2:3], v[2:3], v[4:5]
	s_waitcnt vmcnt(12) lgkmcnt(1)
	v_mul_f64 v[4:5], v[100:101], v[122:123]
	v_mul_f64 v[136:137], v[98:99], v[122:123]
	s_waitcnt vmcnt(10)
	v_fma_f64 v[4:5], v[98:99], v[124:125], -v[4:5]
	v_fmac_f64_e32 v[136:137], v[100:101], v[124:125]
	v_add_f64 v[2:3], v[2:3], v[4:5]
	s_waitcnt vmcnt(9) lgkmcnt(0)
	v_mul_f64 v[4:5], v[104:105], v[118:119]
	v_add_f64 v[134:135], v[134:135], v[136:137]
	v_mul_f64 v[136:137], v[102:103], v[118:119]
	s_waitcnt vmcnt(8)
	v_fma_f64 v[4:5], v[102:103], v[120:121], -v[4:5]
	v_fmac_f64_e32 v[136:137], v[104:105], v[120:121]
	v_add_f64 v[2:3], v[2:3], v[4:5]
	s_waitcnt vmcnt(6)
	v_mul_f64 v[4:5], v[108:109], v[126:127]
	v_add_f64 v[134:135], v[134:135], v[136:137]
	v_mul_f64 v[136:137], v[106:107], v[126:127]
	s_waitcnt vmcnt(4)
	v_fma_f64 v[4:5], v[106:107], v[128:129], -v[4:5]
	v_fmac_f64_e32 v[136:137], v[108:109], v[128:129]
	v_add_f64 v[2:3], v[2:3], v[4:5]
	v_add_f64 v[134:135], v[134:135], v[136:137]
	s_waitcnt vmcnt(2)
	v_add_f64 v[2:3], v[130:131], -v[2:3]
	s_waitcnt vmcnt(0)
	v_add_f64 v[4:5], v[132:133], -v[134:135]
	buffer_store_dword v3, off, s[0:3], 0 offset:708
	buffer_store_dword v2, off, s[0:3], 0 offset:704
	;; [unrolled: 1-line block ×4, first 2 shown]
	s_and_saveexec_b64 s[4:5], vcc
	s_cbranch_execz .LBB59_289
; %bb.288:
	v_accvgpr_read_b32 v0, a137
	buffer_load_dword v2, v0, s[0:3], 0 offen
	buffer_load_dword v3, v0, s[0:3], 0 offen offset:4
	buffer_load_dword v4, v0, s[0:3], 0 offen offset:8
	;; [unrolled: 1-line block ×3, first 2 shown]
	v_mov_b32_e32 v0, 0
	v_accvgpr_read_b32 v1, a180
	buffer_store_dword v0, off, s[0:3], 0 offset:688
	buffer_store_dword v0, off, s[0:3], 0 offset:692
	;; [unrolled: 1-line block ×4, first 2 shown]
	s_waitcnt vmcnt(4)
	ds_write_b128 v1, v[2:5]
.LBB59_289:
	s_or_b64 exec, exec, s[4:5]
	s_waitcnt lgkmcnt(0)
	; wave barrier
	s_waitcnt lgkmcnt(0)
	buffer_load_dword v2, off, s[0:3], 0 offset:704
	buffer_load_dword v3, off, s[0:3], 0 offset:708
	;; [unrolled: 1-line block ×68, first 2 shown]
	v_mov_b32_e32 v1, 0
	buffer_load_dword v138, off, s[0:3], 0 offset:688
	buffer_load_dword v139, off, s[0:3], 0 offset:692
	;; [unrolled: 1-line block ×3, first 2 shown]
	ds_read_b128 v[46:49], v1 offset:1648
	ds_read_b128 v[50:53], v1 offset:1664
	buffer_load_dword v141, off, s[0:3], 0 offset:700
	ds_read_b128 v[54:57], v1 offset:1680
	ds_read_b128 v[58:61], v1 offset:1696
	;; [unrolled: 1-line block ×3, first 2 shown]
	v_cmp_lt_u32_e32 vcc, 41, v254
	s_waitcnt vmcnt(62) lgkmcnt(4)
	v_mul_f64 v[62:63], v[46:47], v[6:7]
	v_fmac_f64_e32 v[62:63], v[48:49], v[2:3]
	v_add_f64 v[62:63], v[62:63], 0
	v_mul_f64 v[6:7], v[48:49], v[6:7]
	s_waitcnt lgkmcnt(3)
	v_mul_f64 v[64:65], v[50:51], v[10:11]
	v_fmac_f64_e32 v[64:65], v[52:53], v[4:5]
	v_add_f64 v[62:63], v[62:63], v[64:65]
	v_fma_f64 v[2:3], v[46:47], v[2:3], -v[6:7]
	s_waitcnt vmcnt(60) lgkmcnt(2)
	v_mul_f64 v[64:65], v[54:55], v[12:13]
	v_fmac_f64_e32 v[64:65], v[56:57], v[8:9]
	v_add_f64 v[66:67], v[62:63], v[64:65]
	ds_read_b128 v[62:65], v1 offset:1712
	s_waitcnt vmcnt(56) lgkmcnt(2)
	v_mul_f64 v[68:69], v[58:59], v[18:19]
	v_mul_f64 v[6:7], v[52:53], v[10:11]
	s_waitcnt vmcnt(54)
	v_fmac_f64_e32 v[68:69], v[60:61], v[20:21]
	v_add_f64 v[70:71], v[66:67], v[68:69]
	ds_read_b128 v[66:69], v1 offset:1728
	s_waitcnt vmcnt(53) lgkmcnt(1)
	v_mul_f64 v[72:73], v[62:63], v[14:15]
	s_waitcnt vmcnt(52)
	v_fmac_f64_e32 v[72:73], v[64:65], v[16:17]
	v_add_f64 v[74:75], v[70:71], v[72:73]
	ds_read_b128 v[70:73], v1 offset:1744
	s_waitcnt vmcnt(48) lgkmcnt(1)
	;; [unrolled: 6-line block ×4, first 2 shown]
	v_mul_f64 v[84:85], v[74:75], v[34:35]
	s_waitcnt vmcnt(38)
	v_fmac_f64_e32 v[84:85], v[76:77], v[36:37]
	v_add_f64 v[2:3], v[2:3], 0
	v_fma_f64 v[4:5], v[50:51], v[4:5], -v[6:7]
	v_add_f64 v[86:87], v[82:83], v[84:85]
	ds_read_b128 v[82:85], v1 offset:1792
	v_add_f64 v[2:3], v[2:3], v[4:5]
	v_mul_f64 v[4:5], v[56:57], v[12:13]
	v_fma_f64 v[4:5], v[54:55], v[8:9], -v[4:5]
	v_add_f64 v[2:3], v[2:3], v[4:5]
	v_mul_f64 v[4:5], v[60:61], v[18:19]
	s_waitcnt vmcnt(37) lgkmcnt(1)
	v_mul_f64 v[88:89], v[78:79], v[30:31]
	v_fma_f64 v[4:5], v[58:59], v[20:21], -v[4:5]
	s_waitcnt vmcnt(36)
	v_fmac_f64_e32 v[88:89], v[80:81], v[32:33]
	v_add_f64 v[2:3], v[2:3], v[4:5]
	v_mul_f64 v[4:5], v[64:65], v[14:15]
	v_add_f64 v[90:91], v[86:87], v[88:89]
	ds_read_b128 v[86:89], v1 offset:1808
	s_waitcnt vmcnt(32) lgkmcnt(1)
	v_mul_f64 v[92:93], v[82:83], v[42:43]
	v_fma_f64 v[4:5], v[62:63], v[16:17], -v[4:5]
	s_waitcnt vmcnt(30)
	v_fmac_f64_e32 v[92:93], v[84:85], v[44:45]
	v_add_f64 v[2:3], v[2:3], v[4:5]
	v_mul_f64 v[4:5], v[68:69], v[26:27]
	v_add_f64 v[94:95], v[90:91], v[92:93]
	ds_read_b128 v[90:93], v1 offset:1824
	v_fma_f64 v[4:5], v[66:67], v[28:29], -v[4:5]
	v_add_f64 v[2:3], v[2:3], v[4:5]
	v_mul_f64 v[4:5], v[72:73], v[22:23]
	v_fma_f64 v[4:5], v[70:71], v[24:25], -v[4:5]
	s_waitcnt vmcnt(29) lgkmcnt(1)
	v_mul_f64 v[96:97], v[86:87], v[38:39]
	v_add_f64 v[2:3], v[2:3], v[4:5]
	v_mul_f64 v[4:5], v[76:77], v[34:35]
	s_waitcnt vmcnt(28)
	v_fmac_f64_e32 v[96:97], v[88:89], v[40:41]
	v_fma_f64 v[4:5], v[74:75], v[36:37], -v[4:5]
	v_add_f64 v[98:99], v[94:95], v[96:97]
	ds_read_b128 v[94:97], v1 offset:1840
	s_waitcnt vmcnt(24) lgkmcnt(1)
	v_mul_f64 v[100:101], v[90:91], v[118:119]
	v_add_f64 v[2:3], v[2:3], v[4:5]
	v_mul_f64 v[4:5], v[80:81], v[30:31]
	s_waitcnt vmcnt(22)
	v_fmac_f64_e32 v[100:101], v[92:93], v[120:121]
	v_fma_f64 v[4:5], v[78:79], v[32:33], -v[4:5]
	v_add_f64 v[102:103], v[98:99], v[100:101]
	ds_read_b128 v[98:101], v1 offset:1856
	v_add_f64 v[2:3], v[2:3], v[4:5]
	v_mul_f64 v[4:5], v[84:85], v[42:43]
	v_fma_f64 v[4:5], v[82:83], v[44:45], -v[4:5]
	v_add_f64 v[2:3], v[2:3], v[4:5]
	v_mul_f64 v[4:5], v[88:89], v[38:39]
	s_waitcnt vmcnt(21) lgkmcnt(1)
	v_mul_f64 v[104:105], v[94:95], v[114:115]
	v_fma_f64 v[4:5], v[86:87], v[40:41], -v[4:5]
	s_waitcnt vmcnt(20)
	v_fmac_f64_e32 v[104:105], v[96:97], v[116:117]
	v_add_f64 v[2:3], v[2:3], v[4:5]
	v_mul_f64 v[4:5], v[92:93], v[118:119]
	v_add_f64 v[106:107], v[102:103], v[104:105]
	ds_read_b128 v[102:105], v1 offset:1872
	s_waitcnt vmcnt(16) lgkmcnt(1)
	v_mul_f64 v[108:109], v[98:99], v[126:127]
	v_fma_f64 v[4:5], v[90:91], v[120:121], -v[4:5]
	s_waitcnt vmcnt(14)
	v_fmac_f64_e32 v[108:109], v[100:101], v[128:129]
	v_add_f64 v[2:3], v[2:3], v[4:5]
	v_mul_f64 v[4:5], v[96:97], v[114:115]
	v_add_f64 v[142:143], v[106:107], v[108:109]
	ds_read_b128 v[106:109], v1 offset:1888
	v_fma_f64 v[4:5], v[94:95], v[116:117], -v[4:5]
	v_add_f64 v[2:3], v[2:3], v[4:5]
	v_mul_f64 v[4:5], v[100:101], v[126:127]
	v_fma_f64 v[4:5], v[98:99], v[128:129], -v[4:5]
	v_add_f64 v[2:3], v[2:3], v[4:5]
	s_waitcnt vmcnt(13) lgkmcnt(1)
	v_mul_f64 v[4:5], v[104:105], v[122:123]
	v_mul_f64 v[144:145], v[102:103], v[122:123]
	s_waitcnt vmcnt(12)
	v_fma_f64 v[4:5], v[102:103], v[124:125], -v[4:5]
	v_fmac_f64_e32 v[144:145], v[104:105], v[124:125]
	v_add_f64 v[2:3], v[2:3], v[4:5]
	s_waitcnt vmcnt(8) lgkmcnt(0)
	v_mul_f64 v[4:5], v[108:109], v[134:135]
	v_add_f64 v[142:143], v[142:143], v[144:145]
	v_mul_f64 v[144:145], v[106:107], v[134:135]
	s_waitcnt vmcnt(6)
	v_fma_f64 v[4:5], v[106:107], v[136:137], -v[4:5]
	v_fmac_f64_e32 v[144:145], v[108:109], v[136:137]
	v_add_f64 v[2:3], v[2:3], v[4:5]
	s_waitcnt vmcnt(5)
	v_mul_f64 v[4:5], v[112:113], v[130:131]
	v_add_f64 v[142:143], v[142:143], v[144:145]
	v_mul_f64 v[144:145], v[110:111], v[130:131]
	s_waitcnt vmcnt(4)
	v_fma_f64 v[4:5], v[110:111], v[132:133], -v[4:5]
	v_fmac_f64_e32 v[144:145], v[112:113], v[132:133]
	v_add_f64 v[2:3], v[2:3], v[4:5]
	v_add_f64 v[142:143], v[142:143], v[144:145]
	s_waitcnt vmcnt(2)
	v_add_f64 v[2:3], v[138:139], -v[2:3]
	s_waitcnt vmcnt(0)
	v_add_f64 v[4:5], v[140:141], -v[142:143]
	buffer_store_dword v3, off, s[0:3], 0 offset:692
	buffer_store_dword v2, off, s[0:3], 0 offset:688
	;; [unrolled: 1-line block ×4, first 2 shown]
	s_and_saveexec_b64 s[4:5], vcc
	s_cbranch_execz .LBB59_291
; %bb.290:
	v_accvgpr_read_b32 v0, a138
	buffer_load_dword v2, v0, s[0:3], 0 offen
	buffer_load_dword v3, v0, s[0:3], 0 offen offset:4
	buffer_load_dword v4, v0, s[0:3], 0 offen offset:8
	;; [unrolled: 1-line block ×3, first 2 shown]
	v_accvgpr_read_b32 v0, a180
	buffer_store_dword v1, off, s[0:3], 0 offset:672
	buffer_store_dword v1, off, s[0:3], 0 offset:676
	;; [unrolled: 1-line block ×4, first 2 shown]
	s_waitcnt vmcnt(4)
	ds_write_b128 v0, v[2:5]
.LBB59_291:
	s_or_b64 exec, exec, s[4:5]
	s_waitcnt lgkmcnt(0)
	; wave barrier
	s_waitcnt lgkmcnt(0)
	buffer_load_dword v2, off, s[0:3], 0 offset:688
	buffer_load_dword v3, off, s[0:3], 0 offset:692
	;; [unrolled: 1-line block ×72, first 2 shown]
	ds_read_b128 v[52:55], v1 offset:1632
	buffer_load_dword v146, off, s[0:3], 0 offset:672
	buffer_load_dword v147, off, s[0:3], 0 offset:676
	;; [unrolled: 1-line block ×4, first 2 shown]
	ds_read_b128 v[56:59], v1 offset:1648
	ds_read_b128 v[60:63], v1 offset:1664
	;; [unrolled: 1-line block ×3, first 2 shown]
	v_cmp_lt_u32_e32 vcc, 40, v254
	ds_read_b128 v[120:123], v1 offset:1904
	s_waitcnt vmcnt(62) lgkmcnt(4)
	v_mul_f64 v[68:69], v[52:53], v[8:9]
	v_fmac_f64_e32 v[68:69], v[54:55], v[2:3]
	v_add_f64 v[68:69], v[68:69], 0
	v_mul_f64 v[8:9], v[54:55], v[8:9]
	s_waitcnt lgkmcnt(3)
	v_mul_f64 v[70:71], v[56:57], v[10:11]
	v_fmac_f64_e32 v[70:71], v[58:59], v[4:5]
	v_add_f64 v[68:69], v[68:69], v[70:71]
	v_fma_f64 v[2:3], v[52:53], v[2:3], -v[8:9]
	s_waitcnt lgkmcnt(2)
	v_mul_f64 v[70:71], v[60:61], v[12:13]
	v_fmac_f64_e32 v[70:71], v[62:63], v[6:7]
	v_add_f64 v[72:73], v[68:69], v[70:71]
	ds_read_b128 v[68:71], v1 offset:1696
	s_waitcnt vmcnt(60) lgkmcnt(2)
	v_mul_f64 v[74:75], v[64:65], v[18:19]
	v_mul_f64 v[8:9], v[58:59], v[10:11]
	s_waitcnt vmcnt(58)
	v_fmac_f64_e32 v[74:75], v[66:67], v[20:21]
	v_add_f64 v[76:77], v[72:73], v[74:75]
	ds_read_b128 v[72:75], v1 offset:1712
	s_waitcnt vmcnt(57) lgkmcnt(1)
	v_mul_f64 v[78:79], v[68:69], v[14:15]
	s_waitcnt vmcnt(56)
	v_fmac_f64_e32 v[78:79], v[70:71], v[16:17]
	v_add_f64 v[80:81], v[76:77], v[78:79]
	ds_read_b128 v[76:79], v1 offset:1728
	s_waitcnt vmcnt(52) lgkmcnt(1)
	;; [unrolled: 6-line block ×4, first 2 shown]
	v_mul_f64 v[90:91], v[80:81], v[34:35]
	s_waitcnt vmcnt(42)
	v_fmac_f64_e32 v[90:91], v[82:83], v[36:37]
	v_add_f64 v[2:3], v[2:3], 0
	v_fma_f64 v[4:5], v[56:57], v[4:5], -v[8:9]
	v_add_f64 v[92:93], v[88:89], v[90:91]
	ds_read_b128 v[88:91], v1 offset:1776
	s_waitcnt vmcnt(41) lgkmcnt(1)
	v_mul_f64 v[94:95], v[84:85], v[30:31]
	v_add_f64 v[2:3], v[2:3], v[4:5]
	v_mul_f64 v[4:5], v[62:63], v[12:13]
	s_waitcnt vmcnt(40)
	v_fmac_f64_e32 v[94:95], v[86:87], v[32:33]
	v_fma_f64 v[4:5], v[60:61], v[6:7], -v[4:5]
	v_add_f64 v[96:97], v[92:93], v[94:95]
	ds_read_b128 v[92:95], v1 offset:1792
	v_add_f64 v[2:3], v[2:3], v[4:5]
	v_mul_f64 v[4:5], v[66:67], v[18:19]
	v_fma_f64 v[4:5], v[64:65], v[20:21], -v[4:5]
	v_add_f64 v[2:3], v[2:3], v[4:5]
	v_mul_f64 v[4:5], v[70:71], v[14:15]
	s_waitcnt vmcnt(36) lgkmcnt(1)
	v_mul_f64 v[98:99], v[88:89], v[42:43]
	v_fma_f64 v[4:5], v[68:69], v[16:17], -v[4:5]
	s_waitcnt vmcnt(34)
	v_fmac_f64_e32 v[98:99], v[90:91], v[44:45]
	v_add_f64 v[2:3], v[2:3], v[4:5]
	v_mul_f64 v[4:5], v[74:75], v[26:27]
	v_add_f64 v[100:101], v[96:97], v[98:99]
	ds_read_b128 v[96:99], v1 offset:1808
	s_waitcnt vmcnt(33) lgkmcnt(1)
	v_mul_f64 v[102:103], v[92:93], v[38:39]
	v_fma_f64 v[4:5], v[72:73], v[28:29], -v[4:5]
	s_waitcnt vmcnt(32)
	v_fmac_f64_e32 v[102:103], v[94:95], v[40:41]
	v_add_f64 v[2:3], v[2:3], v[4:5]
	v_mul_f64 v[4:5], v[78:79], v[22:23]
	v_add_f64 v[104:105], v[100:101], v[102:103]
	ds_read_b128 v[100:103], v1 offset:1824
	v_fma_f64 v[4:5], v[76:77], v[24:25], -v[4:5]
	v_add_f64 v[2:3], v[2:3], v[4:5]
	v_mul_f64 v[4:5], v[82:83], v[34:35]
	v_fma_f64 v[4:5], v[80:81], v[36:37], -v[4:5]
	s_waitcnt vmcnt(28) lgkmcnt(1)
	v_mul_f64 v[106:107], v[96:97], v[50:51]
	v_add_f64 v[2:3], v[2:3], v[4:5]
	v_mul_f64 v[4:5], v[86:87], v[30:31]
	s_waitcnt vmcnt(26)
	v_fmac_f64_e32 v[106:107], v[98:99], v[124:125]
	v_fma_f64 v[4:5], v[84:85], v[32:33], -v[4:5]
	v_add_f64 v[108:109], v[104:105], v[106:107]
	ds_read_b128 v[104:107], v1 offset:1840
	s_waitcnt vmcnt(25) lgkmcnt(1)
	v_mul_f64 v[110:111], v[100:101], v[46:47]
	v_add_f64 v[2:3], v[2:3], v[4:5]
	v_mul_f64 v[4:5], v[90:91], v[42:43]
	s_waitcnt vmcnt(24)
	v_fmac_f64_e32 v[110:111], v[102:103], v[48:49]
	v_fma_f64 v[4:5], v[88:89], v[44:45], -v[4:5]
	v_add_f64 v[112:113], v[108:109], v[110:111]
	ds_read_b128 v[108:111], v1 offset:1856
	v_add_f64 v[2:3], v[2:3], v[4:5]
	v_mul_f64 v[4:5], v[94:95], v[38:39]
	v_fma_f64 v[4:5], v[92:93], v[40:41], -v[4:5]
	v_add_f64 v[2:3], v[2:3], v[4:5]
	v_mul_f64 v[4:5], v[98:99], v[50:51]
	s_waitcnt vmcnt(20) lgkmcnt(1)
	v_mul_f64 v[114:115], v[104:105], v[130:131]
	v_fma_f64 v[4:5], v[96:97], v[124:125], -v[4:5]
	s_waitcnt vmcnt(18)
	v_fmac_f64_e32 v[114:115], v[106:107], v[132:133]
	v_add_f64 v[2:3], v[2:3], v[4:5]
	v_mul_f64 v[4:5], v[102:103], v[46:47]
	v_add_f64 v[116:117], v[112:113], v[114:115]
	ds_read_b128 v[112:115], v1 offset:1872
	s_waitcnt vmcnt(17) lgkmcnt(1)
	v_mul_f64 v[118:119], v[108:109], v[126:127]
	v_fma_f64 v[4:5], v[100:101], v[48:49], -v[4:5]
	s_waitcnt vmcnt(16)
	v_fmac_f64_e32 v[118:119], v[110:111], v[128:129]
	v_add_f64 v[2:3], v[2:3], v[4:5]
	v_mul_f64 v[4:5], v[106:107], v[130:131]
	v_add_f64 v[150:151], v[116:117], v[118:119]
	ds_read_b128 v[116:119], v1 offset:1888
	v_fma_f64 v[4:5], v[104:105], v[132:133], -v[4:5]
	v_add_f64 v[2:3], v[2:3], v[4:5]
	v_mul_f64 v[4:5], v[110:111], v[126:127]
	v_fma_f64 v[4:5], v[108:109], v[128:129], -v[4:5]
	v_add_f64 v[2:3], v[2:3], v[4:5]
	s_waitcnt vmcnt(12) lgkmcnt(1)
	v_mul_f64 v[4:5], v[114:115], v[138:139]
	v_mul_f64 v[152:153], v[112:113], v[138:139]
	s_waitcnt vmcnt(10)
	v_fma_f64 v[4:5], v[112:113], v[140:141], -v[4:5]
	v_fmac_f64_e32 v[152:153], v[114:115], v[140:141]
	v_add_f64 v[2:3], v[2:3], v[4:5]
	s_waitcnt vmcnt(9) lgkmcnt(0)
	v_mul_f64 v[4:5], v[118:119], v[134:135]
	v_add_f64 v[150:151], v[150:151], v[152:153]
	v_mul_f64 v[152:153], v[116:117], v[134:135]
	s_waitcnt vmcnt(8)
	v_fma_f64 v[4:5], v[116:117], v[136:137], -v[4:5]
	v_fmac_f64_e32 v[152:153], v[118:119], v[136:137]
	v_add_f64 v[2:3], v[2:3], v[4:5]
	s_waitcnt vmcnt(6)
	v_mul_f64 v[4:5], v[122:123], v[142:143]
	v_add_f64 v[150:151], v[150:151], v[152:153]
	v_mul_f64 v[152:153], v[120:121], v[142:143]
	s_waitcnt vmcnt(4)
	v_fma_f64 v[4:5], v[120:121], v[144:145], -v[4:5]
	v_fmac_f64_e32 v[152:153], v[122:123], v[144:145]
	v_add_f64 v[2:3], v[2:3], v[4:5]
	v_add_f64 v[150:151], v[150:151], v[152:153]
	s_waitcnt vmcnt(2)
	v_add_f64 v[2:3], v[146:147], -v[2:3]
	s_waitcnt vmcnt(0)
	v_add_f64 v[4:5], v[148:149], -v[150:151]
	buffer_store_dword v3, off, s[0:3], 0 offset:676
	buffer_store_dword v2, off, s[0:3], 0 offset:672
	;; [unrolled: 1-line block ×4, first 2 shown]
	s_and_saveexec_b64 s[4:5], vcc
	s_cbranch_execz .LBB59_293
; %bb.292:
	v_accvgpr_read_b32 v0, a139
	buffer_load_dword v2, v0, s[0:3], 0 offen
	buffer_load_dword v3, v0, s[0:3], 0 offen offset:4
	buffer_load_dword v4, v0, s[0:3], 0 offen offset:8
	;; [unrolled: 1-line block ×3, first 2 shown]
	v_mov_b32_e32 v0, 0
	v_accvgpr_read_b32 v1, a180
	buffer_store_dword v0, off, s[0:3], 0 offset:656
	buffer_store_dword v0, off, s[0:3], 0 offset:660
	;; [unrolled: 1-line block ×4, first 2 shown]
	s_waitcnt vmcnt(4)
	ds_write_b128 v1, v[2:5]
.LBB59_293:
	s_or_b64 exec, exec, s[4:5]
	s_waitcnt lgkmcnt(0)
	; wave barrier
	s_waitcnt lgkmcnt(0)
	buffer_load_dword v2, off, s[0:3], 0 offset:672
	buffer_load_dword v3, off, s[0:3], 0 offset:676
	;; [unrolled: 1-line block ×76, first 2 shown]
	v_mov_b32_e32 v1, 0
	ds_read_b128 v[54:57], v1 offset:1616
	buffer_load_dword v154, off, s[0:3], 0 offset:656
	buffer_load_dword v155, off, s[0:3], 0 offset:660
	;; [unrolled: 1-line block ×4, first 2 shown]
	ds_read_b128 v[58:61], v1 offset:1632
	ds_read_b128 v[62:65], v1 offset:1648
	;; [unrolled: 1-line block ×4, first 2 shown]
	v_cmp_lt_u32_e32 vcc, 39, v254
	s_waitcnt vmcnt(62) lgkmcnt(4)
	v_mul_f64 v[70:71], v[54:55], v[8:9]
	v_fmac_f64_e32 v[70:71], v[56:57], v[2:3]
	v_add_f64 v[70:71], v[70:71], 0
	v_mul_f64 v[8:9], v[56:57], v[8:9]
	s_waitcnt lgkmcnt(3)
	v_mul_f64 v[72:73], v[58:59], v[10:11]
	v_fmac_f64_e32 v[72:73], v[60:61], v[4:5]
	v_add_f64 v[70:71], v[70:71], v[72:73]
	v_fma_f64 v[2:3], v[54:55], v[2:3], -v[8:9]
	s_waitcnt lgkmcnt(2)
	v_mul_f64 v[72:73], v[62:63], v[12:13]
	v_fmac_f64_e32 v[72:73], v[64:65], v[6:7]
	v_add_f64 v[74:75], v[70:71], v[72:73]
	ds_read_b128 v[70:73], v1 offset:1680
	s_waitcnt lgkmcnt(2)
	v_mul_f64 v[76:77], v[66:67], v[18:19]
	v_mul_f64 v[8:9], v[60:61], v[10:11]
	v_fmac_f64_e32 v[76:77], v[68:69], v[20:21]
	v_add_f64 v[78:79], v[74:75], v[76:77]
	ds_read_b128 v[74:77], v1 offset:1696
	s_waitcnt vmcnt(61) lgkmcnt(1)
	v_mul_f64 v[80:81], v[70:71], v[14:15]
	s_waitcnt vmcnt(60)
	v_fmac_f64_e32 v[80:81], v[72:73], v[16:17]
	v_add_f64 v[82:83], v[78:79], v[80:81]
	ds_read_b128 v[78:81], v1 offset:1712
	s_waitcnt vmcnt(56) lgkmcnt(1)
	v_mul_f64 v[84:85], v[74:75], v[26:27]
	s_waitcnt vmcnt(54)
	;; [unrolled: 6-line block ×4, first 2 shown]
	v_fmac_f64_e32 v[92:93], v[84:85], v[36:37]
	v_add_f64 v[94:95], v[90:91], v[92:93]
	ds_read_b128 v[90:93], v1 offset:1760
	v_add_f64 v[2:3], v[2:3], 0
	v_fma_f64 v[4:5], v[58:59], v[4:5], -v[8:9]
	s_waitcnt vmcnt(45) lgkmcnt(1)
	v_mul_f64 v[96:97], v[86:87], v[30:31]
	v_add_f64 v[2:3], v[2:3], v[4:5]
	v_mul_f64 v[4:5], v[64:65], v[12:13]
	s_waitcnt vmcnt(44)
	v_fmac_f64_e32 v[96:97], v[88:89], v[32:33]
	v_fma_f64 v[4:5], v[62:63], v[6:7], -v[4:5]
	v_add_f64 v[98:99], v[94:95], v[96:97]
	ds_read_b128 v[94:97], v1 offset:1776
	s_waitcnt vmcnt(40) lgkmcnt(1)
	v_mul_f64 v[100:101], v[90:91], v[42:43]
	v_add_f64 v[2:3], v[2:3], v[4:5]
	v_mul_f64 v[4:5], v[68:69], v[18:19]
	s_waitcnt vmcnt(38)
	v_fmac_f64_e32 v[100:101], v[92:93], v[44:45]
	v_fma_f64 v[4:5], v[66:67], v[20:21], -v[4:5]
	v_add_f64 v[102:103], v[98:99], v[100:101]
	ds_read_b128 v[98:101], v1 offset:1792
	v_add_f64 v[2:3], v[2:3], v[4:5]
	v_mul_f64 v[4:5], v[72:73], v[14:15]
	v_fma_f64 v[4:5], v[70:71], v[16:17], -v[4:5]
	v_add_f64 v[2:3], v[2:3], v[4:5]
	v_mul_f64 v[4:5], v[76:77], v[26:27]
	s_waitcnt vmcnt(37) lgkmcnt(1)
	v_mul_f64 v[104:105], v[94:95], v[38:39]
	v_fma_f64 v[4:5], v[74:75], v[28:29], -v[4:5]
	s_waitcnt vmcnt(36)
	v_fmac_f64_e32 v[104:105], v[96:97], v[40:41]
	v_add_f64 v[2:3], v[2:3], v[4:5]
	v_mul_f64 v[4:5], v[80:81], v[22:23]
	v_add_f64 v[106:107], v[102:103], v[104:105]
	ds_read_b128 v[102:105], v1 offset:1808
	s_waitcnt vmcnt(32) lgkmcnt(1)
	v_mul_f64 v[108:109], v[98:99], v[50:51]
	v_fma_f64 v[4:5], v[78:79], v[24:25], -v[4:5]
	s_waitcnt vmcnt(30)
	v_fmac_f64_e32 v[108:109], v[100:101], v[52:53]
	v_add_f64 v[2:3], v[2:3], v[4:5]
	v_mul_f64 v[4:5], v[84:85], v[34:35]
	v_add_f64 v[110:111], v[106:107], v[108:109]
	ds_read_b128 v[106:109], v1 offset:1824
	v_fma_f64 v[4:5], v[82:83], v[36:37], -v[4:5]
	v_add_f64 v[2:3], v[2:3], v[4:5]
	v_mul_f64 v[4:5], v[88:89], v[30:31]
	v_fma_f64 v[4:5], v[86:87], v[32:33], -v[4:5]
	s_waitcnt vmcnt(29) lgkmcnt(1)
	v_mul_f64 v[112:113], v[102:103], v[46:47]
	v_add_f64 v[2:3], v[2:3], v[4:5]
	v_mul_f64 v[4:5], v[92:93], v[42:43]
	s_waitcnt vmcnt(28)
	v_fmac_f64_e32 v[112:113], v[104:105], v[48:49]
	v_fma_f64 v[4:5], v[90:91], v[44:45], -v[4:5]
	v_add_f64 v[114:115], v[110:111], v[112:113]
	ds_read_b128 v[110:113], v1 offset:1840
	s_waitcnt vmcnt(24) lgkmcnt(1)
	v_mul_f64 v[116:117], v[106:107], v[134:135]
	v_add_f64 v[2:3], v[2:3], v[4:5]
	v_mul_f64 v[4:5], v[96:97], v[38:39]
	s_waitcnt vmcnt(22)
	v_fmac_f64_e32 v[116:117], v[108:109], v[136:137]
	v_fma_f64 v[4:5], v[94:95], v[40:41], -v[4:5]
	v_add_f64 v[118:119], v[114:115], v[116:117]
	ds_read_b128 v[114:117], v1 offset:1856
	v_add_f64 v[2:3], v[2:3], v[4:5]
	v_mul_f64 v[4:5], v[100:101], v[50:51]
	v_fma_f64 v[4:5], v[98:99], v[52:53], -v[4:5]
	v_add_f64 v[2:3], v[2:3], v[4:5]
	v_mul_f64 v[4:5], v[104:105], v[46:47]
	s_waitcnt vmcnt(21) lgkmcnt(1)
	v_mul_f64 v[120:121], v[110:111], v[130:131]
	v_fma_f64 v[4:5], v[102:103], v[48:49], -v[4:5]
	s_waitcnt vmcnt(20)
	v_fmac_f64_e32 v[120:121], v[112:113], v[132:133]
	v_add_f64 v[2:3], v[2:3], v[4:5]
	v_mul_f64 v[4:5], v[108:109], v[134:135]
	v_add_f64 v[122:123], v[118:119], v[120:121]
	ds_read_b128 v[118:121], v1 offset:1872
	s_waitcnt vmcnt(16) lgkmcnt(1)
	v_mul_f64 v[124:125], v[114:115], v[142:143]
	v_fma_f64 v[4:5], v[106:107], v[136:137], -v[4:5]
	s_waitcnt vmcnt(14)
	v_fmac_f64_e32 v[124:125], v[116:117], v[144:145]
	v_add_f64 v[2:3], v[2:3], v[4:5]
	v_mul_f64 v[4:5], v[112:113], v[130:131]
	v_add_f64 v[158:159], v[122:123], v[124:125]
	ds_read_b128 v[122:125], v1 offset:1888
	v_fma_f64 v[4:5], v[110:111], v[132:133], -v[4:5]
	v_add_f64 v[2:3], v[2:3], v[4:5]
	v_mul_f64 v[4:5], v[116:117], v[142:143]
	v_fma_f64 v[4:5], v[114:115], v[144:145], -v[4:5]
	v_add_f64 v[2:3], v[2:3], v[4:5]
	s_waitcnt vmcnt(13) lgkmcnt(1)
	v_mul_f64 v[4:5], v[120:121], v[138:139]
	v_mul_f64 v[160:161], v[118:119], v[138:139]
	s_waitcnt vmcnt(12)
	v_fma_f64 v[4:5], v[118:119], v[140:141], -v[4:5]
	v_fmac_f64_e32 v[160:161], v[120:121], v[140:141]
	v_add_f64 v[2:3], v[2:3], v[4:5]
	s_waitcnt vmcnt(8) lgkmcnt(0)
	v_mul_f64 v[4:5], v[124:125], v[150:151]
	v_add_f64 v[158:159], v[158:159], v[160:161]
	v_mul_f64 v[160:161], v[122:123], v[150:151]
	s_waitcnt vmcnt(6)
	v_fma_f64 v[4:5], v[122:123], v[152:153], -v[4:5]
	v_fmac_f64_e32 v[160:161], v[124:125], v[152:153]
	v_add_f64 v[2:3], v[2:3], v[4:5]
	s_waitcnt vmcnt(5)
	v_mul_f64 v[4:5], v[128:129], v[146:147]
	v_add_f64 v[158:159], v[158:159], v[160:161]
	v_mul_f64 v[160:161], v[126:127], v[146:147]
	s_waitcnt vmcnt(4)
	v_fma_f64 v[4:5], v[126:127], v[148:149], -v[4:5]
	v_fmac_f64_e32 v[160:161], v[128:129], v[148:149]
	v_add_f64 v[2:3], v[2:3], v[4:5]
	v_add_f64 v[158:159], v[158:159], v[160:161]
	s_waitcnt vmcnt(2)
	v_add_f64 v[2:3], v[154:155], -v[2:3]
	s_waitcnt vmcnt(0)
	v_add_f64 v[4:5], v[156:157], -v[158:159]
	buffer_store_dword v3, off, s[0:3], 0 offset:660
	buffer_store_dword v2, off, s[0:3], 0 offset:656
	;; [unrolled: 1-line block ×4, first 2 shown]
	s_and_saveexec_b64 s[4:5], vcc
	s_cbranch_execz .LBB59_295
; %bb.294:
	v_accvgpr_read_b32 v0, a140
	buffer_load_dword v2, v0, s[0:3], 0 offen
	buffer_load_dword v3, v0, s[0:3], 0 offen offset:4
	buffer_load_dword v4, v0, s[0:3], 0 offen offset:8
	;; [unrolled: 1-line block ×3, first 2 shown]
	v_accvgpr_read_b32 v0, a180
	buffer_store_dword v1, off, s[0:3], 0 offset:640
	buffer_store_dword v1, off, s[0:3], 0 offset:644
	;; [unrolled: 1-line block ×4, first 2 shown]
	s_waitcnt vmcnt(4)
	ds_write_b128 v0, v[2:5]
.LBB59_295:
	s_or_b64 exec, exec, s[4:5]
	s_waitcnt lgkmcnt(0)
	; wave barrier
	s_waitcnt lgkmcnt(0)
	buffer_load_dword v2, off, s[0:3], 0 offset:656
	buffer_load_dword v3, off, s[0:3], 0 offset:660
	;; [unrolled: 1-line block ×76, first 2 shown]
	ds_read_b128 v[54:57], v1 offset:1600
	buffer_load_dword v159, off, s[0:3], 0 offset:972
	buffer_load_dword v158, off, s[0:3], 0 offset:968
	;; [unrolled: 1-line block ×8, first 2 shown]
	ds_read_b128 v[58:61], v1 offset:1616
	ds_read_b128 v[62:65], v1 offset:1632
	;; [unrolled: 1-line block ×3, first 2 shown]
	v_cmp_lt_u32_e32 vcc, 38, v254
	ds_read_b128 v[130:133], v1 offset:1904
	s_waitcnt vmcnt(62) lgkmcnt(4)
	v_mul_f64 v[70:71], v[54:55], v[8:9]
	v_fmac_f64_e32 v[70:71], v[56:57], v[2:3]
	v_add_f64 v[70:71], v[70:71], 0
	v_mul_f64 v[8:9], v[56:57], v[8:9]
	s_waitcnt lgkmcnt(3)
	v_mul_f64 v[72:73], v[58:59], v[10:11]
	v_fmac_f64_e32 v[72:73], v[60:61], v[4:5]
	v_add_f64 v[70:71], v[70:71], v[72:73]
	v_fma_f64 v[2:3], v[54:55], v[2:3], -v[8:9]
	s_waitcnt lgkmcnt(2)
	v_mul_f64 v[72:73], v[62:63], v[12:13]
	v_fmac_f64_e32 v[72:73], v[64:65], v[6:7]
	v_add_f64 v[74:75], v[70:71], v[72:73]
	ds_read_b128 v[70:73], v1 offset:1664
	v_mul_f64 v[8:9], v[60:61], v[10:11]
	v_add_f64 v[2:3], v[2:3], 0
	s_waitcnt lgkmcnt(2)
	v_mul_f64 v[76:77], v[66:67], v[18:19]
	v_fma_f64 v[4:5], v[58:59], v[4:5], -v[8:9]
	v_fmac_f64_e32 v[76:77], v[68:69], v[20:21]
	v_add_f64 v[78:79], v[74:75], v[76:77]
	ds_read_b128 v[74:77], v1 offset:1680
	s_waitcnt lgkmcnt(1)
	v_mul_f64 v[80:81], v[70:71], v[14:15]
	v_fmac_f64_e32 v[80:81], v[72:73], v[16:17]
	v_add_f64 v[82:83], v[78:79], v[80:81]
	ds_read_b128 v[78:81], v1 offset:1696
	s_waitcnt vmcnt(58) lgkmcnt(1)
	v_mul_f64 v[84:85], v[74:75], v[26:27]
	s_waitcnt vmcnt(56)
	v_fmac_f64_e32 v[84:85], v[76:77], v[28:29]
	v_add_f64 v[86:87], v[82:83], v[84:85]
	ds_read_b128 v[82:85], v1 offset:1712
	s_waitcnt lgkmcnt(1)
	v_mul_f64 v[88:89], v[78:79], v[22:23]
	v_fmac_f64_e32 v[88:89], v[80:81], v[24:25]
	v_add_f64 v[90:91], v[86:87], v[88:89]
	ds_read_b128 v[86:89], v1 offset:1728
	s_waitcnt vmcnt(50) lgkmcnt(1)
	v_mul_f64 v[92:93], v[82:83], v[34:35]
	s_waitcnt vmcnt(48)
	v_fmac_f64_e32 v[92:93], v[84:85], v[36:37]
	v_add_f64 v[94:95], v[90:91], v[92:93]
	ds_read_b128 v[90:93], v1 offset:1744
	s_waitcnt lgkmcnt(1)
	v_mul_f64 v[96:97], v[86:87], v[30:31]
	v_fmac_f64_e32 v[96:97], v[88:89], v[32:33]
	v_add_f64 v[98:99], v[94:95], v[96:97]
	ds_read_b128 v[94:97], v1 offset:1760
	v_add_f64 v[2:3], v[2:3], v[4:5]
	v_mul_f64 v[4:5], v[64:65], v[12:13]
	v_fma_f64 v[4:5], v[62:63], v[6:7], -v[4:5]
	s_waitcnt vmcnt(42) lgkmcnt(1)
	v_mul_f64 v[100:101], v[90:91], v[42:43]
	v_add_f64 v[2:3], v[2:3], v[4:5]
	v_mul_f64 v[4:5], v[68:69], v[18:19]
	s_waitcnt vmcnt(40)
	v_fmac_f64_e32 v[100:101], v[92:93], v[44:45]
	v_fma_f64 v[4:5], v[66:67], v[20:21], -v[4:5]
	v_add_f64 v[102:103], v[98:99], v[100:101]
	ds_read_b128 v[98:101], v1 offset:1776
	s_waitcnt lgkmcnt(1)
	v_mul_f64 v[104:105], v[94:95], v[38:39]
	v_add_f64 v[2:3], v[2:3], v[4:5]
	v_mul_f64 v[4:5], v[72:73], v[14:15]
	v_fmac_f64_e32 v[104:105], v[96:97], v[40:41]
	v_fma_f64 v[4:5], v[70:71], v[16:17], -v[4:5]
	v_add_f64 v[106:107], v[102:103], v[104:105]
	ds_read_b128 v[102:105], v1 offset:1792
	v_add_f64 v[2:3], v[2:3], v[4:5]
	v_mul_f64 v[4:5], v[76:77], v[26:27]
	v_fma_f64 v[4:5], v[74:75], v[28:29], -v[4:5]
	v_add_f64 v[2:3], v[2:3], v[4:5]
	v_mul_f64 v[4:5], v[80:81], v[22:23]
	s_waitcnt vmcnt(34) lgkmcnt(1)
	v_mul_f64 v[108:109], v[98:99], v[50:51]
	v_fma_f64 v[4:5], v[78:79], v[24:25], -v[4:5]
	s_waitcnt vmcnt(32)
	v_fmac_f64_e32 v[108:109], v[100:101], v[52:53]
	v_add_f64 v[2:3], v[2:3], v[4:5]
	v_mul_f64 v[4:5], v[84:85], v[34:35]
	v_add_f64 v[110:111], v[106:107], v[108:109]
	ds_read_b128 v[106:109], v1 offset:1808
	s_waitcnt lgkmcnt(1)
	v_mul_f64 v[112:113], v[102:103], v[46:47]
	v_fma_f64 v[4:5], v[82:83], v[36:37], -v[4:5]
	v_fmac_f64_e32 v[112:113], v[104:105], v[48:49]
	v_add_f64 v[2:3], v[2:3], v[4:5]
	v_mul_f64 v[4:5], v[88:89], v[30:31]
	v_add_f64 v[114:115], v[110:111], v[112:113]
	ds_read_b128 v[110:113], v1 offset:1824
	v_fma_f64 v[4:5], v[86:87], v[32:33], -v[4:5]
	v_add_f64 v[2:3], v[2:3], v[4:5]
	v_mul_f64 v[4:5], v[92:93], v[42:43]
	v_fma_f64 v[4:5], v[90:91], v[44:45], -v[4:5]
	s_waitcnt vmcnt(26) lgkmcnt(1)
	v_mul_f64 v[116:117], v[106:107], v[138:139]
	v_add_f64 v[2:3], v[2:3], v[4:5]
	v_mul_f64 v[4:5], v[96:97], v[38:39]
	s_waitcnt vmcnt(24)
	v_fmac_f64_e32 v[116:117], v[108:109], v[140:141]
	v_fma_f64 v[4:5], v[94:95], v[40:41], -v[4:5]
	v_add_f64 v[118:119], v[114:115], v[116:117]
	ds_read_b128 v[114:117], v1 offset:1840
	s_waitcnt lgkmcnt(1)
	v_mul_f64 v[120:121], v[110:111], v[134:135]
	v_add_f64 v[2:3], v[2:3], v[4:5]
	v_mul_f64 v[4:5], v[100:101], v[50:51]
	v_fmac_f64_e32 v[120:121], v[112:113], v[136:137]
	v_fma_f64 v[4:5], v[98:99], v[52:53], -v[4:5]
	v_add_f64 v[122:123], v[118:119], v[120:121]
	ds_read_b128 v[118:121], v1 offset:1856
	v_add_f64 v[2:3], v[2:3], v[4:5]
	v_mul_f64 v[4:5], v[104:105], v[46:47]
	v_fma_f64 v[4:5], v[102:103], v[48:49], -v[4:5]
	v_add_f64 v[2:3], v[2:3], v[4:5]
	v_mul_f64 v[4:5], v[108:109], v[138:139]
	s_waitcnt vmcnt(18) lgkmcnt(1)
	v_mul_f64 v[124:125], v[114:115], v[146:147]
	v_fma_f64 v[4:5], v[106:107], v[140:141], -v[4:5]
	s_waitcnt vmcnt(16)
	v_fmac_f64_e32 v[124:125], v[116:117], v[148:149]
	v_add_f64 v[2:3], v[2:3], v[4:5]
	v_mul_f64 v[4:5], v[112:113], v[134:135]
	v_add_f64 v[126:127], v[122:123], v[124:125]
	ds_read_b128 v[122:125], v1 offset:1872
	s_waitcnt lgkmcnt(1)
	v_mul_f64 v[128:129], v[118:119], v[142:143]
	v_fma_f64 v[4:5], v[110:111], v[136:137], -v[4:5]
	v_fmac_f64_e32 v[128:129], v[120:121], v[144:145]
	v_add_f64 v[2:3], v[2:3], v[4:5]
	v_mul_f64 v[4:5], v[116:117], v[146:147]
	v_add_f64 v[166:167], v[126:127], v[128:129]
	ds_read_b128 v[126:129], v1 offset:1888
	v_fma_f64 v[4:5], v[114:115], v[148:149], -v[4:5]
	v_add_f64 v[2:3], v[2:3], v[4:5]
	v_mul_f64 v[4:5], v[120:121], v[142:143]
	v_fma_f64 v[4:5], v[118:119], v[144:145], -v[4:5]
	v_add_f64 v[2:3], v[2:3], v[4:5]
	s_waitcnt vmcnt(10) lgkmcnt(1)
	v_mul_f64 v[4:5], v[124:125], v[154:155]
	v_mul_f64 v[168:169], v[122:123], v[154:155]
	s_waitcnt vmcnt(8)
	v_fma_f64 v[4:5], v[122:123], v[156:157], -v[4:5]
	v_fmac_f64_e32 v[168:169], v[124:125], v[156:157]
	v_add_f64 v[2:3], v[2:3], v[4:5]
	s_waitcnt lgkmcnt(0)
	v_mul_f64 v[4:5], v[128:129], v[150:151]
	v_add_f64 v[166:167], v[166:167], v[168:169]
	v_mul_f64 v[168:169], v[126:127], v[150:151]
	v_fma_f64 v[4:5], v[126:127], v[152:153], -v[4:5]
	v_fmac_f64_e32 v[168:169], v[128:129], v[152:153]
	v_add_f64 v[2:3], v[2:3], v[4:5]
	s_waitcnt vmcnt(6)
	v_mul_f64 v[4:5], v[132:133], v[158:159]
	v_add_f64 v[166:167], v[166:167], v[168:169]
	v_mul_f64 v[168:169], v[130:131], v[158:159]
	s_waitcnt vmcnt(4)
	v_fma_f64 v[4:5], v[130:131], v[160:161], -v[4:5]
	v_fmac_f64_e32 v[168:169], v[132:133], v[160:161]
	v_add_f64 v[2:3], v[2:3], v[4:5]
	v_add_f64 v[166:167], v[166:167], v[168:169]
	s_waitcnt vmcnt(2)
	v_add_f64 v[2:3], v[162:163], -v[2:3]
	s_waitcnt vmcnt(0)
	v_add_f64 v[4:5], v[164:165], -v[166:167]
	buffer_store_dword v3, off, s[0:3], 0 offset:644
	buffer_store_dword v2, off, s[0:3], 0 offset:640
	;; [unrolled: 1-line block ×4, first 2 shown]
	s_and_saveexec_b64 s[4:5], vcc
	s_cbranch_execz .LBB59_297
; %bb.296:
	v_accvgpr_read_b32 v0, a141
	buffer_load_dword v2, v0, s[0:3], 0 offen
	buffer_load_dword v3, v0, s[0:3], 0 offen offset:4
	buffer_load_dword v4, v0, s[0:3], 0 offen offset:8
	;; [unrolled: 1-line block ×3, first 2 shown]
	v_mov_b32_e32 v0, 0
	v_accvgpr_read_b32 v1, a180
	buffer_store_dword v0, off, s[0:3], 0 offset:624
	buffer_store_dword v0, off, s[0:3], 0 offset:628
	;; [unrolled: 1-line block ×4, first 2 shown]
	s_waitcnt vmcnt(4)
	ds_write_b128 v1, v[2:5]
.LBB59_297:
	s_or_b64 exec, exec, s[4:5]
	s_waitcnt lgkmcnt(0)
	; wave barrier
	s_waitcnt lgkmcnt(0)
	buffer_load_dword v4, off, s[0:3], 0 offset:624
	buffer_load_dword v5, off, s[0:3], 0 offset:628
	;; [unrolled: 1-line block ×84, first 2 shown]
	v_mov_b32_e32 v1, 0
	ds_read_b128 v[66:69], v1 offset:1584
	buffer_load_dword v171, off, s[0:3], 0 offset:972
	buffer_load_dword v170, off, s[0:3], 0 offset:968
	;; [unrolled: 1-line block ×4, first 2 shown]
	ds_read_b128 v[70:73], v1 offset:1600
	ds_read_b128 v[74:77], v1 offset:1616
	;; [unrolled: 1-line block ×4, first 2 shown]
	v_cmp_lt_u32_e32 vcc, 37, v254
	s_waitcnt vmcnt(62) lgkmcnt(4)
	v_mul_f64 v[82:83], v[66:67], v[12:13]
	v_fmac_f64_e32 v[82:83], v[68:69], v[6:7]
	s_waitcnt lgkmcnt(3)
	v_mul_f64 v[84:85], v[70:71], v[14:15]
	v_add_f64 v[82:83], v[82:83], 0
	v_fmac_f64_e32 v[84:85], v[72:73], v[8:9]
	v_add_f64 v[82:83], v[82:83], v[84:85]
	s_waitcnt lgkmcnt(2)
	v_mul_f64 v[84:85], v[74:75], v[16:17]
	v_fmac_f64_e32 v[84:85], v[76:77], v[10:11]
	v_add_f64 v[86:87], v[82:83], v[84:85]
	ds_read_b128 v[82:85], v1 offset:1648
	v_mul_f64 v[12:13], v[68:69], v[12:13]
	s_waitcnt lgkmcnt(2)
	v_mul_f64 v[88:89], v[78:79], v[22:23]
	v_fma_f64 v[6:7], v[66:67], v[6:7], -v[12:13]
	v_fmac_f64_e32 v[88:89], v[80:81], v[24:25]
	v_add_f64 v[90:91], v[86:87], v[88:89]
	ds_read_b128 v[86:89], v1 offset:1664
	s_waitcnt lgkmcnt(1)
	v_mul_f64 v[92:93], v[82:83], v[18:19]
	v_fmac_f64_e32 v[92:93], v[84:85], v[20:21]
	v_add_f64 v[94:95], v[90:91], v[92:93]
	ds_read_b128 v[90:93], v1 offset:1680
	s_waitcnt vmcnt(58) lgkmcnt(1)
	v_mul_f64 v[96:97], v[86:87], v[30:31]
	s_waitcnt vmcnt(56)
	v_fmac_f64_e32 v[96:97], v[88:89], v[32:33]
	v_add_f64 v[98:99], v[94:95], v[96:97]
	ds_read_b128 v[94:97], v1 offset:1696
	s_waitcnt lgkmcnt(1)
	v_mul_f64 v[100:101], v[90:91], v[26:27]
	v_fmac_f64_e32 v[100:101], v[92:93], v[28:29]
	v_add_f64 v[102:103], v[98:99], v[100:101]
	ds_read_b128 v[98:101], v1 offset:1712
	s_waitcnt vmcnt(50) lgkmcnt(1)
	v_mul_f64 v[104:105], v[94:95], v[38:39]
	s_waitcnt vmcnt(48)
	v_fmac_f64_e32 v[104:105], v[96:97], v[40:41]
	v_add_f64 v[106:107], v[102:103], v[104:105]
	ds_read_b128 v[102:105], v1 offset:1728
	s_waitcnt lgkmcnt(1)
	v_mul_f64 v[108:109], v[98:99], v[34:35]
	v_fmac_f64_e32 v[108:109], v[100:101], v[36:37]
	v_mul_f64 v[12:13], v[72:73], v[14:15]
	v_add_f64 v[110:111], v[106:107], v[108:109]
	ds_read_b128 v[106:109], v1 offset:1744
	s_waitcnt vmcnt(42) lgkmcnt(1)
	v_mul_f64 v[112:113], v[102:103], v[46:47]
	v_add_f64 v[6:7], v[6:7], 0
	v_fma_f64 v[8:9], v[70:71], v[8:9], -v[12:13]
	s_waitcnt vmcnt(40)
	v_fmac_f64_e32 v[112:113], v[104:105], v[48:49]
	v_add_f64 v[6:7], v[6:7], v[8:9]
	v_mul_f64 v[8:9], v[76:77], v[16:17]
	v_add_f64 v[114:115], v[110:111], v[112:113]
	ds_read_b128 v[110:113], v1 offset:1760
	v_fma_f64 v[8:9], v[74:75], v[10:11], -v[8:9]
	v_add_f64 v[6:7], v[6:7], v[8:9]
	v_mul_f64 v[8:9], v[80:81], v[22:23]
	v_fma_f64 v[8:9], v[78:79], v[24:25], -v[8:9]
	s_waitcnt lgkmcnt(1)
	v_mul_f64 v[116:117], v[106:107], v[42:43]
	v_add_f64 v[6:7], v[6:7], v[8:9]
	v_mul_f64 v[8:9], v[84:85], v[18:19]
	v_fmac_f64_e32 v[116:117], v[108:109], v[44:45]
	v_fma_f64 v[8:9], v[82:83], v[20:21], -v[8:9]
	v_add_f64 v[118:119], v[114:115], v[116:117]
	ds_read_b128 v[114:117], v1 offset:1776
	s_waitcnt vmcnt(34) lgkmcnt(1)
	v_mul_f64 v[120:121], v[110:111], v[54:55]
	v_add_f64 v[6:7], v[6:7], v[8:9]
	v_mul_f64 v[8:9], v[88:89], v[30:31]
	s_waitcnt vmcnt(32)
	v_fmac_f64_e32 v[120:121], v[112:113], v[56:57]
	v_fma_f64 v[8:9], v[86:87], v[32:33], -v[8:9]
	v_add_f64 v[122:123], v[118:119], v[120:121]
	ds_read_b128 v[118:121], v1 offset:1792
	v_add_f64 v[6:7], v[6:7], v[8:9]
	v_mul_f64 v[8:9], v[92:93], v[26:27]
	v_fma_f64 v[8:9], v[90:91], v[28:29], -v[8:9]
	v_add_f64 v[6:7], v[6:7], v[8:9]
	v_mul_f64 v[8:9], v[96:97], v[38:39]
	s_waitcnt lgkmcnt(1)
	v_mul_f64 v[124:125], v[114:115], v[50:51]
	v_fma_f64 v[8:9], v[94:95], v[40:41], -v[8:9]
	v_fmac_f64_e32 v[124:125], v[116:117], v[52:53]
	v_add_f64 v[6:7], v[6:7], v[8:9]
	v_mul_f64 v[8:9], v[100:101], v[34:35]
	v_add_f64 v[126:127], v[122:123], v[124:125]
	ds_read_b128 v[122:125], v1 offset:1808
	s_waitcnt vmcnt(26) lgkmcnt(1)
	v_mul_f64 v[128:129], v[118:119], v[62:63]
	v_fma_f64 v[8:9], v[98:99], v[36:37], -v[8:9]
	s_waitcnt vmcnt(24)
	v_fmac_f64_e32 v[128:129], v[120:121], v[64:65]
	v_add_f64 v[6:7], v[6:7], v[8:9]
	v_mul_f64 v[8:9], v[104:105], v[46:47]
	v_add_f64 v[130:131], v[126:127], v[128:129]
	ds_read_b128 v[126:129], v1 offset:1824
	v_fma_f64 v[8:9], v[102:103], v[48:49], -v[8:9]
	v_add_f64 v[6:7], v[6:7], v[8:9]
	v_mul_f64 v[8:9], v[108:109], v[42:43]
	v_fma_f64 v[8:9], v[106:107], v[44:45], -v[8:9]
	s_waitcnt lgkmcnt(1)
	v_mul_f64 v[132:133], v[122:123], v[58:59]
	v_add_f64 v[6:7], v[6:7], v[8:9]
	v_mul_f64 v[8:9], v[112:113], v[54:55]
	v_fmac_f64_e32 v[132:133], v[124:125], v[60:61]
	v_fma_f64 v[8:9], v[110:111], v[56:57], -v[8:9]
	v_add_f64 v[134:135], v[130:131], v[132:133]
	ds_read_b128 v[130:133], v1 offset:1840
	s_waitcnt vmcnt(18) lgkmcnt(1)
	v_mul_f64 v[136:137], v[126:127], v[154:155]
	v_add_f64 v[6:7], v[6:7], v[8:9]
	v_mul_f64 v[8:9], v[116:117], v[50:51]
	s_waitcnt vmcnt(16)
	v_fmac_f64_e32 v[136:137], v[128:129], v[156:157]
	v_fma_f64 v[8:9], v[114:115], v[52:53], -v[8:9]
	v_add_f64 v[138:139], v[134:135], v[136:137]
	ds_read_b128 v[134:137], v1 offset:1856
	v_add_f64 v[6:7], v[6:7], v[8:9]
	v_mul_f64 v[8:9], v[120:121], v[62:63]
	v_fma_f64 v[8:9], v[118:119], v[64:65], -v[8:9]
	v_add_f64 v[6:7], v[6:7], v[8:9]
	v_mul_f64 v[8:9], v[124:125], v[58:59]
	s_waitcnt lgkmcnt(1)
	v_mul_f64 v[140:141], v[130:131], v[150:151]
	v_fma_f64 v[8:9], v[122:123], v[60:61], -v[8:9]
	v_fmac_f64_e32 v[140:141], v[132:133], v[152:153]
	v_add_f64 v[6:7], v[6:7], v[8:9]
	v_mul_f64 v[8:9], v[128:129], v[154:155]
	v_add_f64 v[142:143], v[138:139], v[140:141]
	ds_read_b128 v[138:141], v1 offset:1872
	s_waitcnt vmcnt(10) lgkmcnt(1)
	v_mul_f64 v[144:145], v[134:135], v[162:163]
	v_fma_f64 v[8:9], v[126:127], v[156:157], -v[8:9]
	s_waitcnt vmcnt(8)
	v_fmac_f64_e32 v[144:145], v[136:137], v[164:165]
	v_add_f64 v[6:7], v[6:7], v[8:9]
	v_mul_f64 v[8:9], v[132:133], v[150:151]
	v_add_f64 v[174:175], v[142:143], v[144:145]
	ds_read_b128 v[142:145], v1 offset:1888
	v_fma_f64 v[8:9], v[130:131], v[152:153], -v[8:9]
	v_add_f64 v[6:7], v[6:7], v[8:9]
	v_mul_f64 v[8:9], v[136:137], v[162:163]
	v_fma_f64 v[8:9], v[134:135], v[164:165], -v[8:9]
	v_add_f64 v[6:7], v[6:7], v[8:9]
	s_waitcnt lgkmcnt(1)
	v_mul_f64 v[8:9], v[140:141], v[158:159]
	v_mul_f64 v[176:177], v[138:139], v[158:159]
	v_fma_f64 v[8:9], v[138:139], v[160:161], -v[8:9]
	v_fmac_f64_e32 v[176:177], v[140:141], v[160:161]
	v_add_f64 v[6:7], v[6:7], v[8:9]
	s_waitcnt vmcnt(6) lgkmcnt(0)
	v_mul_f64 v[8:9], v[144:145], v[166:167]
	v_add_f64 v[174:175], v[174:175], v[176:177]
	v_mul_f64 v[176:177], v[142:143], v[166:167]
	s_waitcnt vmcnt(4)
	v_fma_f64 v[8:9], v[142:143], v[168:169], -v[8:9]
	v_fmac_f64_e32 v[176:177], v[144:145], v[168:169]
	v_add_f64 v[6:7], v[6:7], v[8:9]
	s_waitcnt vmcnt(2)
	v_mul_f64 v[8:9], v[148:149], v[170:171]
	v_add_f64 v[174:175], v[174:175], v[176:177]
	v_mul_f64 v[176:177], v[146:147], v[170:171]
	s_waitcnt vmcnt(0)
	v_fma_f64 v[8:9], v[146:147], v[172:173], -v[8:9]
	v_fmac_f64_e32 v[176:177], v[148:149], v[172:173]
	v_add_f64 v[6:7], v[6:7], v[8:9]
	v_add_f64 v[174:175], v[174:175], v[176:177]
	v_add_f64 v[4:5], v[4:5], -v[6:7]
	v_add_f64 v[2:3], v[2:3], -v[174:175]
	buffer_store_dword v5, off, s[0:3], 0 offset:628
	buffer_store_dword v4, off, s[0:3], 0 offset:624
	;; [unrolled: 1-line block ×4, first 2 shown]
	s_and_saveexec_b64 s[4:5], vcc
	s_cbranch_execz .LBB59_299
; %bb.298:
	v_accvgpr_read_b32 v0, a142
	buffer_load_dword v2, v0, s[0:3], 0 offen
	buffer_load_dword v3, v0, s[0:3], 0 offen offset:4
	buffer_load_dword v4, v0, s[0:3], 0 offen offset:8
	buffer_load_dword v5, v0, s[0:3], 0 offen offset:12
	v_accvgpr_read_b32 v0, a180
	buffer_store_dword v1, off, s[0:3], 0 offset:608
	buffer_store_dword v1, off, s[0:3], 0 offset:612
	;; [unrolled: 1-line block ×4, first 2 shown]
	s_waitcnt vmcnt(4)
	ds_write_b128 v0, v[2:5]
.LBB59_299:
	s_or_b64 exec, exec, s[4:5]
	s_waitcnt lgkmcnt(0)
	; wave barrier
	s_waitcnt lgkmcnt(0)
	ds_read_b128 v[14:17], v1 offset:1568
	ds_read_b128 v[10:13], v1 offset:1584
	;; [unrolled: 1-line block ×4, first 2 shown]
	buffer_load_dword v20, off, s[0:3], 0 offset:608
	buffer_load_dword v21, off, s[0:3], 0 offset:612
	;; [unrolled: 1-line block ×92, first 2 shown]
	s_waitcnt vmcnt(62) lgkmcnt(3)
	v_mul_f64 v[86:87], v[14:15], v[28:29]
	v_fmac_f64_e32 v[86:87], v[16:17], v[22:23]
	s_waitcnt lgkmcnt(2)
	v_mul_f64 v[88:89], v[10:11], v[30:31]
	v_add_f64 v[86:87], v[86:87], 0
	v_fmac_f64_e32 v[88:89], v[12:13], v[24:25]
	v_add_f64 v[86:87], v[86:87], v[88:89]
	s_waitcnt lgkmcnt(1)
	v_mul_f64 v[88:89], v[6:7], v[32:33]
	v_fmac_f64_e32 v[88:89], v[8:9], v[26:27]
	v_add_f64 v[90:91], v[86:87], v[88:89]
	ds_read_b128 v[86:89], v1 offset:1632
	v_mul_f64 v[16:17], v[16:17], v[28:29]
	v_fma_f64 v[14:15], v[14:15], v[22:23], -v[16:17]
	s_waitcnt lgkmcnt(1)
	v_mul_f64 v[92:93], v[2:3], v[38:39]
	v_mul_f64 v[12:13], v[12:13], v[30:31]
	v_fmac_f64_e32 v[92:93], v[4:5], v[40:41]
	v_add_f64 v[94:95], v[90:91], v[92:93]
	ds_read_b128 v[90:93], v1 offset:1648
	s_waitcnt lgkmcnt(1)
	v_mul_f64 v[96:97], v[86:87], v[34:35]
	v_fmac_f64_e32 v[96:97], v[88:89], v[36:37]
	v_add_f64 v[98:99], v[94:95], v[96:97]
	ds_read_b128 v[94:97], v1 offset:1664
	s_waitcnt lgkmcnt(1)
	v_mul_f64 v[100:101], v[90:91], v[46:47]
	s_waitcnt vmcnt(60)
	v_fmac_f64_e32 v[100:101], v[92:93], v[48:49]
	v_add_f64 v[102:103], v[98:99], v[100:101]
	ds_read_b128 v[98:101], v1 offset:1680
	s_waitcnt lgkmcnt(1)
	v_mul_f64 v[104:105], v[94:95], v[42:43]
	v_fmac_f64_e32 v[104:105], v[96:97], v[44:45]
	v_add_f64 v[106:107], v[102:103], v[104:105]
	ds_read_b128 v[102:105], v1 offset:1696
	s_waitcnt vmcnt(54) lgkmcnt(1)
	v_mul_f64 v[108:109], v[98:99], v[54:55]
	s_waitcnt vmcnt(52)
	v_fmac_f64_e32 v[108:109], v[100:101], v[56:57]
	v_add_f64 v[110:111], v[106:107], v[108:109]
	ds_read_b128 v[106:109], v1 offset:1712
	s_waitcnt lgkmcnt(1)
	v_mul_f64 v[112:113], v[102:103], v[50:51]
	v_fmac_f64_e32 v[112:113], v[104:105], v[52:53]
	v_add_f64 v[114:115], v[110:111], v[112:113]
	ds_read_b128 v[110:113], v1 offset:1728
	s_waitcnt vmcnt(46) lgkmcnt(1)
	v_mul_f64 v[116:117], v[106:107], v[62:63]
	s_waitcnt vmcnt(44)
	v_fmac_f64_e32 v[116:117], v[108:109], v[64:65]
	v_add_f64 v[118:119], v[114:115], v[116:117]
	ds_read_b128 v[114:117], v1 offset:1744
	s_waitcnt lgkmcnt(1)
	v_mul_f64 v[120:121], v[110:111], v[58:59]
	v_fmac_f64_e32 v[120:121], v[112:113], v[60:61]
	v_add_f64 v[14:15], v[14:15], 0
	v_fma_f64 v[10:11], v[10:11], v[24:25], -v[12:13]
	v_mul_f64 v[8:9], v[8:9], v[32:33]
	v_add_f64 v[122:123], v[118:119], v[120:121]
	ds_read_b128 v[118:121], v1 offset:1760
	v_add_f64 v[10:11], v[14:15], v[10:11]
	v_fma_f64 v[6:7], v[6:7], v[26:27], -v[8:9]
	v_mul_f64 v[4:5], v[4:5], v[38:39]
	v_add_f64 v[6:7], v[10:11], v[6:7]
	v_fma_f64 v[2:3], v[2:3], v[40:41], -v[4:5]
	v_mul_f64 v[4:5], v[88:89], v[34:35]
	v_add_f64 v[2:3], v[6:7], v[2:3]
	v_fma_f64 v[4:5], v[86:87], v[36:37], -v[4:5]
	s_waitcnt vmcnt(38) lgkmcnt(1)
	v_mul_f64 v[124:125], v[114:115], v[70:71]
	v_add_f64 v[2:3], v[2:3], v[4:5]
	v_mul_f64 v[4:5], v[92:93], v[46:47]
	s_waitcnt vmcnt(36)
	v_fmac_f64_e32 v[124:125], v[116:117], v[72:73]
	v_fma_f64 v[4:5], v[90:91], v[48:49], -v[4:5]
	v_add_f64 v[126:127], v[122:123], v[124:125]
	ds_read_b128 v[122:125], v1 offset:1776
	s_waitcnt lgkmcnt(1)
	v_mul_f64 v[128:129], v[118:119], v[66:67]
	v_add_f64 v[2:3], v[2:3], v[4:5]
	v_mul_f64 v[4:5], v[96:97], v[42:43]
	v_fmac_f64_e32 v[128:129], v[120:121], v[68:69]
	v_fma_f64 v[4:5], v[94:95], v[44:45], -v[4:5]
	v_add_f64 v[130:131], v[126:127], v[128:129]
	ds_read_b128 v[126:129], v1 offset:1792
	v_add_f64 v[2:3], v[2:3], v[4:5]
	v_mul_f64 v[4:5], v[100:101], v[54:55]
	v_fma_f64 v[4:5], v[98:99], v[56:57], -v[4:5]
	v_add_f64 v[2:3], v[2:3], v[4:5]
	v_mul_f64 v[4:5], v[104:105], v[50:51]
	s_waitcnt vmcnt(30) lgkmcnt(1)
	v_mul_f64 v[132:133], v[122:123], v[78:79]
	v_fma_f64 v[4:5], v[102:103], v[52:53], -v[4:5]
	s_waitcnt vmcnt(28)
	v_fmac_f64_e32 v[132:133], v[124:125], v[80:81]
	v_add_f64 v[2:3], v[2:3], v[4:5]
	v_mul_f64 v[4:5], v[108:109], v[62:63]
	v_add_f64 v[134:135], v[130:131], v[132:133]
	ds_read_b128 v[130:133], v1 offset:1808
	s_waitcnt lgkmcnt(1)
	v_mul_f64 v[136:137], v[126:127], v[74:75]
	v_fma_f64 v[4:5], v[106:107], v[64:65], -v[4:5]
	v_fmac_f64_e32 v[136:137], v[128:129], v[76:77]
	v_add_f64 v[2:3], v[2:3], v[4:5]
	v_mul_f64 v[4:5], v[112:113], v[58:59]
	v_add_f64 v[138:139], v[134:135], v[136:137]
	ds_read_b128 v[134:137], v1 offset:1824
	v_fma_f64 v[4:5], v[110:111], v[60:61], -v[4:5]
	v_add_f64 v[2:3], v[2:3], v[4:5]
	v_mul_f64 v[4:5], v[116:117], v[70:71]
	v_fma_f64 v[4:5], v[114:115], v[72:73], -v[4:5]
	s_waitcnt vmcnt(22) lgkmcnt(1)
	v_mul_f64 v[140:141], v[130:131], v[158:159]
	v_add_f64 v[2:3], v[2:3], v[4:5]
	v_mul_f64 v[4:5], v[120:121], v[66:67]
	s_waitcnt vmcnt(20)
	v_fmac_f64_e32 v[140:141], v[132:133], v[160:161]
	v_fma_f64 v[4:5], v[118:119], v[68:69], -v[4:5]
	v_add_f64 v[142:143], v[138:139], v[140:141]
	ds_read_b128 v[138:141], v1 offset:1840
	s_waitcnt lgkmcnt(1)
	v_mul_f64 v[144:145], v[134:135], v[82:83]
	v_add_f64 v[2:3], v[2:3], v[4:5]
	v_mul_f64 v[4:5], v[124:125], v[78:79]
	v_fmac_f64_e32 v[144:145], v[136:137], v[84:85]
	v_fma_f64 v[4:5], v[122:123], v[80:81], -v[4:5]
	v_add_f64 v[146:147], v[142:143], v[144:145]
	ds_read_b128 v[142:145], v1 offset:1856
	v_add_f64 v[2:3], v[2:3], v[4:5]
	v_mul_f64 v[4:5], v[128:129], v[74:75]
	v_fma_f64 v[4:5], v[126:127], v[76:77], -v[4:5]
	v_add_f64 v[2:3], v[2:3], v[4:5]
	v_mul_f64 v[4:5], v[132:133], v[158:159]
	s_waitcnt vmcnt(14) lgkmcnt(1)
	v_mul_f64 v[148:149], v[138:139], v[166:167]
	v_fma_f64 v[4:5], v[130:131], v[160:161], -v[4:5]
	s_waitcnt vmcnt(12)
	v_fmac_f64_e32 v[148:149], v[140:141], v[168:169]
	v_add_f64 v[2:3], v[2:3], v[4:5]
	v_mul_f64 v[4:5], v[136:137], v[82:83]
	v_add_f64 v[150:151], v[146:147], v[148:149]
	ds_read_b128 v[146:149], v1 offset:1872
	s_waitcnt lgkmcnt(1)
	v_mul_f64 v[152:153], v[142:143], v[162:163]
	v_fma_f64 v[4:5], v[134:135], v[84:85], -v[4:5]
	v_fmac_f64_e32 v[152:153], v[144:145], v[164:165]
	v_add_f64 v[2:3], v[2:3], v[4:5]
	v_mul_f64 v[4:5], v[140:141], v[166:167]
	v_add_f64 v[182:183], v[150:151], v[152:153]
	ds_read_b128 v[150:153], v1 offset:1888
	ds_read_b128 v[154:157], v1 offset:1904
	v_fma_f64 v[4:5], v[138:139], v[168:169], -v[4:5]
	v_add_f64 v[2:3], v[2:3], v[4:5]
	v_mul_f64 v[4:5], v[144:145], v[162:163]
	v_fma_f64 v[4:5], v[142:143], v[164:165], -v[4:5]
	v_add_f64 v[2:3], v[2:3], v[4:5]
	s_waitcnt vmcnt(6) lgkmcnt(2)
	v_mul_f64 v[4:5], v[148:149], v[174:175]
	v_mul_f64 v[184:185], v[146:147], v[174:175]
	s_waitcnt vmcnt(4)
	v_fma_f64 v[4:5], v[146:147], v[176:177], -v[4:5]
	v_fmac_f64_e32 v[184:185], v[148:149], v[176:177]
	v_add_f64 v[2:3], v[2:3], v[4:5]
	s_waitcnt lgkmcnt(1)
	v_mul_f64 v[4:5], v[152:153], v[170:171]
	v_add_f64 v[182:183], v[182:183], v[184:185]
	v_mul_f64 v[184:185], v[150:151], v[170:171]
	v_fma_f64 v[4:5], v[150:151], v[172:173], -v[4:5]
	v_fmac_f64_e32 v[184:185], v[152:153], v[172:173]
	v_add_f64 v[2:3], v[2:3], v[4:5]
	s_waitcnt vmcnt(2) lgkmcnt(0)
	v_mul_f64 v[4:5], v[156:157], v[178:179]
	v_add_f64 v[182:183], v[182:183], v[184:185]
	v_mul_f64 v[184:185], v[154:155], v[178:179]
	s_waitcnt vmcnt(0)
	v_fma_f64 v[4:5], v[154:155], v[180:181], -v[4:5]
	v_fmac_f64_e32 v[184:185], v[156:157], v[180:181]
	v_add_f64 v[2:3], v[2:3], v[4:5]
	v_add_f64 v[182:183], v[182:183], v[184:185]
	v_add_f64 v[2:3], v[20:21], -v[2:3]
	v_cmp_lt_u32_e32 vcc, 36, v254
	v_add_f64 v[4:5], v[18:19], -v[182:183]
	buffer_store_dword v3, off, s[0:3], 0 offset:612
	buffer_store_dword v2, off, s[0:3], 0 offset:608
	;; [unrolled: 1-line block ×4, first 2 shown]
	s_and_saveexec_b64 s[4:5], vcc
	s_cbranch_execz .LBB59_301
; %bb.300:
	v_accvgpr_read_b32 v0, a143
	buffer_load_dword v2, v0, s[0:3], 0 offen
	buffer_load_dword v3, v0, s[0:3], 0 offen offset:4
	buffer_load_dword v4, v0, s[0:3], 0 offen offset:8
	buffer_load_dword v5, v0, s[0:3], 0 offen offset:12
	v_mov_b32_e32 v0, 0
	v_accvgpr_read_b32 v1, a180
	buffer_store_dword v0, off, s[0:3], 0 offset:592
	buffer_store_dword v0, off, s[0:3], 0 offset:596
	buffer_store_dword v0, off, s[0:3], 0 offset:600
	buffer_store_dword v0, off, s[0:3], 0 offset:604
	s_waitcnt vmcnt(4)
	ds_write_b128 v1, v[2:5]
.LBB59_301:
	s_or_b64 exec, exec, s[4:5]
	s_waitcnt lgkmcnt(0)
	; wave barrier
	s_waitcnt lgkmcnt(0)
	buffer_load_dword v9, off, s[0:3], 0 offset:620
	buffer_load_dword v6, off, s[0:3], 0 offset:632
	;; [unrolled: 1-line block ×64, first 2 shown]
	v_mov_b32_e32 v1, 0
	ds_read_b128 v[74:77], v1 offset:1552
	ds_read_b128 v[78:81], v1 offset:1568
	buffer_load_dword v67, off, s[0:3], 0 offset:876
	buffer_load_dword v66, off, s[0:3], 0 offset:872
	;; [unrolled: 1-line block ×8, first 2 shown]
	ds_read_b128 v[82:85], v1 offset:1584
	ds_read_b128 v[86:89], v1 offset:1600
	buffer_load_dword v167, off, s[0:3], 0 offset:908
	buffer_load_dword v166, off, s[0:3], 0 offset:904
	;; [unrolled: 1-line block ×24, first 2 shown]
	ds_read_b128 v[162:165], v1 offset:1904
	v_cmp_lt_u32_e32 vcc, 35, v254
	s_waitcnt vmcnt(62) lgkmcnt(1)
	v_mul_f64 v[96:97], v[86:87], v[22:23]
	v_fmac_f64_e32 v[96:97], v[88:89], v[24:25]
	v_mul_f64 v[92:93], v[78:79], v[6:7]
	v_mul_f64 v[90:91], v[74:75], v[8:9]
	;; [unrolled: 1-line block ×3, first 2 shown]
	v_fmac_f64_e32 v[90:91], v[76:77], v[10:11]
	v_add_f64 v[90:91], v[90:91], 0
	v_fma_f64 v[8:9], v[74:75], v[10:11], -v[8:9]
	v_mul_f64 v[6:7], v[80:81], v[6:7]
	v_add_f64 v[8:9], v[8:9], 0
	v_fmac_f64_e32 v[92:93], v[80:81], v[14:15]
	v_add_f64 v[90:91], v[90:91], v[92:93]
	v_mul_f64 v[92:93], v[82:83], v[16:17]
	v_fmac_f64_e32 v[92:93], v[84:85], v[12:13]
	v_add_f64 v[94:95], v[90:91], v[92:93]
	ds_read_b128 v[90:93], v1 offset:1616
	v_add_f64 v[98:99], v[94:95], v[96:97]
	ds_read_b128 v[94:97], v1 offset:1632
	v_fma_f64 v[6:7], v[78:79], v[14:15], -v[6:7]
	v_add_f64 v[6:7], v[8:9], v[6:7]
	s_waitcnt lgkmcnt(1)
	v_mul_f64 v[100:101], v[90:91], v[18:19]
	v_fmac_f64_e32 v[100:101], v[92:93], v[20:21]
	v_add_f64 v[102:103], v[98:99], v[100:101]
	ds_read_b128 v[98:101], v1 offset:1648
	s_waitcnt lgkmcnt(1)
	v_mul_f64 v[104:105], v[94:95], v[30:31]
	v_fmac_f64_e32 v[104:105], v[96:97], v[32:33]
	v_add_f64 v[106:107], v[102:103], v[104:105]
	ds_read_b128 v[102:105], v1 offset:1664
	s_waitcnt lgkmcnt(1)
	v_mul_f64 v[108:109], v[98:99], v[26:27]
	v_fmac_f64_e32 v[108:109], v[100:101], v[28:29]
	v_add_f64 v[110:111], v[106:107], v[108:109]
	ds_read_b128 v[106:109], v1 offset:1680
	s_waitcnt vmcnt(58) lgkmcnt(1)
	v_mul_f64 v[112:113], v[102:103], v[38:39]
	s_waitcnt vmcnt(56)
	v_fmac_f64_e32 v[112:113], v[104:105], v[40:41]
	v_add_f64 v[114:115], v[110:111], v[112:113]
	ds_read_b128 v[110:113], v1 offset:1696
	s_waitcnt lgkmcnt(1)
	v_mul_f64 v[116:117], v[106:107], v[34:35]
	v_fmac_f64_e32 v[116:117], v[108:109], v[36:37]
	v_add_f64 v[118:119], v[114:115], v[116:117]
	ds_read_b128 v[114:117], v1 offset:1712
	s_waitcnt vmcnt(50) lgkmcnt(1)
	v_mul_f64 v[120:121], v[110:111], v[46:47]
	s_waitcnt vmcnt(48)
	v_fmac_f64_e32 v[120:121], v[112:113], v[48:49]
	v_add_f64 v[122:123], v[118:119], v[120:121]
	ds_read_b128 v[118:121], v1 offset:1728
	v_mul_f64 v[8:9], v[84:85], v[16:17]
	s_waitcnt lgkmcnt(1)
	v_mul_f64 v[124:125], v[114:115], v[42:43]
	v_fma_f64 v[8:9], v[82:83], v[12:13], -v[8:9]
	v_fmac_f64_e32 v[124:125], v[116:117], v[44:45]
	v_add_f64 v[6:7], v[6:7], v[8:9]
	v_mul_f64 v[8:9], v[88:89], v[22:23]
	v_add_f64 v[126:127], v[122:123], v[124:125]
	ds_read_b128 v[122:125], v1 offset:1744
	s_waitcnt vmcnt(42) lgkmcnt(1)
	v_mul_f64 v[128:129], v[118:119], v[54:55]
	v_fma_f64 v[8:9], v[86:87], v[24:25], -v[8:9]
	s_waitcnt vmcnt(40)
	v_fmac_f64_e32 v[128:129], v[120:121], v[56:57]
	v_add_f64 v[6:7], v[6:7], v[8:9]
	v_mul_f64 v[8:9], v[92:93], v[18:19]
	v_add_f64 v[130:131], v[126:127], v[128:129]
	ds_read_b128 v[126:129], v1 offset:1760
	v_fma_f64 v[8:9], v[90:91], v[20:21], -v[8:9]
	v_add_f64 v[6:7], v[6:7], v[8:9]
	v_mul_f64 v[8:9], v[96:97], v[30:31]
	v_fma_f64 v[8:9], v[94:95], v[32:33], -v[8:9]
	s_waitcnt lgkmcnt(1)
	v_mul_f64 v[132:133], v[122:123], v[50:51]
	v_add_f64 v[6:7], v[6:7], v[8:9]
	v_mul_f64 v[8:9], v[100:101], v[26:27]
	v_fmac_f64_e32 v[132:133], v[124:125], v[52:53]
	v_fma_f64 v[8:9], v[98:99], v[28:29], -v[8:9]
	v_add_f64 v[134:135], v[130:131], v[132:133]
	ds_read_b128 v[130:133], v1 offset:1776
	s_waitcnt vmcnt(34) lgkmcnt(1)
	v_mul_f64 v[136:137], v[126:127], v[62:63]
	v_add_f64 v[6:7], v[6:7], v[8:9]
	v_mul_f64 v[8:9], v[104:105], v[38:39]
	s_waitcnt vmcnt(32)
	v_fmac_f64_e32 v[136:137], v[128:129], v[64:65]
	v_fma_f64 v[8:9], v[102:103], v[40:41], -v[8:9]
	v_add_f64 v[138:139], v[134:135], v[136:137]
	ds_read_b128 v[134:137], v1 offset:1792
	v_add_f64 v[6:7], v[6:7], v[8:9]
	v_mul_f64 v[8:9], v[108:109], v[34:35]
	v_fma_f64 v[8:9], v[106:107], v[36:37], -v[8:9]
	v_add_f64 v[6:7], v[6:7], v[8:9]
	v_mul_f64 v[8:9], v[112:113], v[46:47]
	s_waitcnt lgkmcnt(1)
	v_mul_f64 v[140:141], v[130:131], v[58:59]
	v_fma_f64 v[8:9], v[110:111], v[48:49], -v[8:9]
	v_fmac_f64_e32 v[140:141], v[132:133], v[60:61]
	v_add_f64 v[6:7], v[6:7], v[8:9]
	v_mul_f64 v[8:9], v[116:117], v[42:43]
	v_add_f64 v[142:143], v[138:139], v[140:141]
	ds_read_b128 v[138:141], v1 offset:1808
	s_waitcnt vmcnt(26) lgkmcnt(1)
	v_mul_f64 v[144:145], v[134:135], v[70:71]
	v_fma_f64 v[8:9], v[114:115], v[44:45], -v[8:9]
	s_waitcnt vmcnt(24)
	v_fmac_f64_e32 v[144:145], v[136:137], v[72:73]
	v_add_f64 v[6:7], v[6:7], v[8:9]
	v_mul_f64 v[8:9], v[120:121], v[54:55]
	v_add_f64 v[146:147], v[142:143], v[144:145]
	ds_read_b128 v[142:145], v1 offset:1824
	v_fma_f64 v[8:9], v[118:119], v[56:57], -v[8:9]
	v_add_f64 v[6:7], v[6:7], v[8:9]
	v_mul_f64 v[8:9], v[124:125], v[50:51]
	v_fma_f64 v[8:9], v[122:123], v[52:53], -v[8:9]
	s_waitcnt lgkmcnt(1)
	v_mul_f64 v[148:149], v[138:139], v[66:67]
	v_add_f64 v[6:7], v[6:7], v[8:9]
	v_mul_f64 v[8:9], v[128:129], v[62:63]
	v_fmac_f64_e32 v[148:149], v[140:141], v[68:69]
	v_fma_f64 v[8:9], v[126:127], v[64:65], -v[8:9]
	v_add_f64 v[150:151], v[146:147], v[148:149]
	ds_read_b128 v[146:149], v1 offset:1840
	s_waitcnt vmcnt(18) lgkmcnt(1)
	v_mul_f64 v[152:153], v[142:143], v[170:171]
	v_add_f64 v[6:7], v[6:7], v[8:9]
	v_mul_f64 v[8:9], v[132:133], v[58:59]
	s_waitcnt vmcnt(16)
	v_fmac_f64_e32 v[152:153], v[144:145], v[172:173]
	v_fma_f64 v[8:9], v[130:131], v[60:61], -v[8:9]
	v_add_f64 v[154:155], v[150:151], v[152:153]
	ds_read_b128 v[150:153], v1 offset:1856
	v_add_f64 v[6:7], v[6:7], v[8:9]
	v_mul_f64 v[8:9], v[136:137], v[70:71]
	v_fma_f64 v[8:9], v[134:135], v[72:73], -v[8:9]
	v_add_f64 v[6:7], v[6:7], v[8:9]
	v_mul_f64 v[8:9], v[140:141], v[66:67]
	s_waitcnt lgkmcnt(1)
	v_mul_f64 v[156:157], v[146:147], v[166:167]
	v_fma_f64 v[8:9], v[138:139], v[68:69], -v[8:9]
	v_fmac_f64_e32 v[156:157], v[148:149], v[168:169]
	v_add_f64 v[6:7], v[6:7], v[8:9]
	v_mul_f64 v[8:9], v[144:145], v[170:171]
	v_add_f64 v[158:159], v[154:155], v[156:157]
	ds_read_b128 v[154:157], v1 offset:1872
	s_waitcnt vmcnt(10) lgkmcnt(1)
	v_mul_f64 v[160:161], v[150:151], v[178:179]
	v_fma_f64 v[8:9], v[142:143], v[172:173], -v[8:9]
	s_waitcnt vmcnt(8)
	v_fmac_f64_e32 v[160:161], v[152:153], v[180:181]
	v_add_f64 v[6:7], v[6:7], v[8:9]
	v_mul_f64 v[8:9], v[148:149], v[166:167]
	v_add_f64 v[190:191], v[158:159], v[160:161]
	ds_read_b128 v[158:161], v1 offset:1888
	v_fma_f64 v[8:9], v[146:147], v[168:169], -v[8:9]
	v_add_f64 v[6:7], v[6:7], v[8:9]
	v_mul_f64 v[8:9], v[152:153], v[178:179]
	v_fma_f64 v[8:9], v[150:151], v[180:181], -v[8:9]
	v_add_f64 v[6:7], v[6:7], v[8:9]
	s_waitcnt lgkmcnt(1)
	v_mul_f64 v[8:9], v[156:157], v[174:175]
	v_mul_f64 v[192:193], v[154:155], v[174:175]
	v_fma_f64 v[8:9], v[154:155], v[176:177], -v[8:9]
	v_fmac_f64_e32 v[192:193], v[156:157], v[176:177]
	v_add_f64 v[6:7], v[6:7], v[8:9]
	s_waitcnt vmcnt(2) lgkmcnt(0)
	v_mul_f64 v[8:9], v[160:161], v[186:187]
	v_add_f64 v[190:191], v[190:191], v[192:193]
	v_mul_f64 v[192:193], v[158:159], v[186:187]
	s_waitcnt vmcnt(0)
	v_fma_f64 v[8:9], v[158:159], v[188:189], -v[8:9]
	v_fmac_f64_e32 v[192:193], v[160:161], v[188:189]
	v_add_f64 v[6:7], v[6:7], v[8:9]
	v_mul_f64 v[8:9], v[164:165], v[182:183]
	v_add_f64 v[190:191], v[190:191], v[192:193]
	v_mul_f64 v[192:193], v[162:163], v[182:183]
	v_fma_f64 v[8:9], v[162:163], v[184:185], -v[8:9]
	v_fmac_f64_e32 v[192:193], v[164:165], v[184:185]
	v_add_f64 v[6:7], v[6:7], v[8:9]
	v_add_f64 v[190:191], v[190:191], v[192:193]
	v_add_f64 v[4:5], v[4:5], -v[6:7]
	v_add_f64 v[2:3], v[2:3], -v[190:191]
	buffer_store_dword v5, off, s[0:3], 0 offset:596
	buffer_store_dword v4, off, s[0:3], 0 offset:592
	;; [unrolled: 1-line block ×4, first 2 shown]
	s_and_saveexec_b64 s[4:5], vcc
	s_cbranch_execz .LBB59_303
; %bb.302:
	v_accvgpr_read_b32 v0, a144
	buffer_load_dword v2, v0, s[0:3], 0 offen
	buffer_load_dword v3, v0, s[0:3], 0 offen offset:4
	buffer_load_dword v4, v0, s[0:3], 0 offen offset:8
	;; [unrolled: 1-line block ×3, first 2 shown]
	v_accvgpr_read_b32 v0, a180
	buffer_store_dword v1, off, s[0:3], 0 offset:576
	buffer_store_dword v1, off, s[0:3], 0 offset:580
	;; [unrolled: 1-line block ×4, first 2 shown]
	s_waitcnt vmcnt(4)
	ds_write_b128 v0, v[2:5]
.LBB59_303:
	s_or_b64 exec, exec, s[4:5]
	s_waitcnt lgkmcnt(0)
	; wave barrier
	s_waitcnt lgkmcnt(0)
	buffer_load_dword v22, off, s[0:3], 0 offset:592
	buffer_load_dword v23, off, s[0:3], 0 offset:596
	buffer_load_dword v24, off, s[0:3], 0 offset:600
	buffer_load_dword v25, off, s[0:3], 0 offset:604
	buffer_load_dword v27, off, s[0:3], 0 offset:636
	buffer_load_dword v28, off, s[0:3], 0 offset:608
	buffer_load_dword v32, off, s[0:3], 0 offset:616
	buffer_load_dword v33, off, s[0:3], 0 offset:620
	buffer_load_dword v30, off, s[0:3], 0 offset:624
	buffer_load_dword v26, off, s[0:3], 0 offset:632
	buffer_load_dword v31, off, s[0:3], 0 offset:628
	buffer_load_dword v29, off, s[0:3], 0 offset:612
	buffer_load_dword v20, off, s[0:3], 0 offset:576
	buffer_load_dword v21, off, s[0:3], 0 offset:580
	buffer_load_dword v18, off, s[0:3], 0 offset:584
	buffer_load_dword v19, off, s[0:3], 0 offset:588
	ds_read_b128 v[2:5], v1 offset:1536
	ds_read_b128 v[6:9], v1 offset:1552
	;; [unrolled: 1-line block ×4, first 2 shown]
	buffer_load_dword v35, off, s[0:3], 0 offset:668
	buffer_load_dword v34, off, s[0:3], 0 offset:664
	;; [unrolled: 1-line block ×48, first 2 shown]
	v_cmp_lt_u32_e32 vcc, 34, v254
	s_waitcnt vmcnt(42) lgkmcnt(0)
	v_mul_f64 v[104:105], v[14:15], v[38:39]
	s_waitcnt vmcnt(40)
	v_fmac_f64_e32 v[104:105], v[16:17], v[40:41]
	v_mul_f64 v[82:83], v[2:3], v[24:25]
	v_fmac_f64_e32 v[82:83], v[4:5], v[22:23]
	v_add_f64 v[82:83], v[82:83], 0
	v_mul_f64 v[4:5], v[4:5], v[24:25]
	v_mul_f64 v[84:85], v[6:7], v[32:33]
	v_fma_f64 v[2:3], v[2:3], v[22:23], -v[4:5]
	v_mul_f64 v[98:99], v[10:11], v[26:27]
	v_fmac_f64_e32 v[98:99], v[12:13], v[30:31]
	v_fmac_f64_e32 v[84:85], v[8:9], v[28:29]
	v_add_f64 v[100:101], v[82:83], v[84:85]
	buffer_load_dword v83, off, s[0:3], 0 offset:860
	buffer_load_dword v82, off, s[0:3], 0 offset:856
	;; [unrolled: 1-line block ×32, first 2 shown]
	v_add_f64 v[102:103], v[100:101], v[98:99]
	ds_read_b128 v[98:101], v1 offset:1600
	buffer_load_dword v195, off, s[0:3], 0 offset:972
	buffer_load_dword v194, off, s[0:3], 0 offset:968
	;; [unrolled: 1-line block ×4, first 2 shown]
	v_add_f64 v[106:107], v[102:103], v[104:105]
	ds_read_b128 v[102:105], v1 offset:1616
	v_mul_f64 v[4:5], v[8:9], v[32:33]
	s_waitcnt lgkmcnt(1)
	v_mul_f64 v[108:109], v[98:99], v[34:35]
	v_fmac_f64_e32 v[108:109], v[100:101], v[36:37]
	v_add_f64 v[110:111], v[106:107], v[108:109]
	ds_read_b128 v[106:109], v1 offset:1632
	s_waitcnt vmcnt(62) lgkmcnt(1)
	v_mul_f64 v[112:113], v[102:103], v[46:47]
	v_fmac_f64_e32 v[112:113], v[104:105], v[48:49]
	v_add_f64 v[114:115], v[110:111], v[112:113]
	ds_read_b128 v[110:113], v1 offset:1648
	s_waitcnt lgkmcnt(1)
	v_mul_f64 v[116:117], v[106:107], v[42:43]
	v_fmac_f64_e32 v[116:117], v[108:109], v[44:45]
	v_add_f64 v[118:119], v[114:115], v[116:117]
	ds_read_b128 v[114:117], v1 offset:1664
	s_waitcnt lgkmcnt(1)
	v_mul_f64 v[120:121], v[110:111], v[54:55]
	s_waitcnt vmcnt(60)
	v_fmac_f64_e32 v[120:121], v[112:113], v[56:57]
	v_add_f64 v[122:123], v[118:119], v[120:121]
	ds_read_b128 v[118:121], v1 offset:1680
	s_waitcnt lgkmcnt(1)
	v_mul_f64 v[124:125], v[114:115], v[50:51]
	v_fmac_f64_e32 v[124:125], v[116:117], v[52:53]
	v_add_f64 v[126:127], v[122:123], v[124:125]
	ds_read_b128 v[122:125], v1 offset:1696
	s_waitcnt vmcnt(54) lgkmcnt(1)
	v_mul_f64 v[128:129], v[118:119], v[62:63]
	s_waitcnt vmcnt(52)
	v_fmac_f64_e32 v[128:129], v[120:121], v[64:65]
	v_add_f64 v[130:131], v[126:127], v[128:129]
	ds_read_b128 v[126:129], v1 offset:1712
	s_waitcnt lgkmcnt(1)
	v_mul_f64 v[132:133], v[122:123], v[58:59]
	v_fmac_f64_e32 v[132:133], v[124:125], v[60:61]
	v_add_f64 v[2:3], v[2:3], 0
	v_fma_f64 v[4:5], v[6:7], v[28:29], -v[4:5]
	v_add_f64 v[134:135], v[130:131], v[132:133]
	ds_read_b128 v[130:133], v1 offset:1728
	v_add_f64 v[2:3], v[2:3], v[4:5]
	v_mul_f64 v[4:5], v[12:13], v[26:27]
	v_fma_f64 v[4:5], v[10:11], v[30:31], -v[4:5]
	v_add_f64 v[2:3], v[2:3], v[4:5]
	v_mul_f64 v[4:5], v[16:17], v[38:39]
	s_waitcnt vmcnt(46) lgkmcnt(1)
	v_mul_f64 v[136:137], v[126:127], v[70:71]
	v_fma_f64 v[4:5], v[14:15], v[40:41], -v[4:5]
	s_waitcnt vmcnt(44)
	v_fmac_f64_e32 v[136:137], v[128:129], v[72:73]
	v_add_f64 v[2:3], v[2:3], v[4:5]
	v_mul_f64 v[4:5], v[100:101], v[34:35]
	v_add_f64 v[138:139], v[134:135], v[136:137]
	ds_read_b128 v[134:137], v1 offset:1744
	s_waitcnt lgkmcnt(1)
	v_mul_f64 v[140:141], v[130:131], v[66:67]
	v_fma_f64 v[4:5], v[98:99], v[36:37], -v[4:5]
	v_fmac_f64_e32 v[140:141], v[132:133], v[68:69]
	v_add_f64 v[2:3], v[2:3], v[4:5]
	v_mul_f64 v[4:5], v[104:105], v[46:47]
	v_add_f64 v[142:143], v[138:139], v[140:141]
	ds_read_b128 v[138:141], v1 offset:1760
	v_fma_f64 v[4:5], v[102:103], v[48:49], -v[4:5]
	v_add_f64 v[2:3], v[2:3], v[4:5]
	v_mul_f64 v[4:5], v[108:109], v[42:43]
	v_fma_f64 v[4:5], v[106:107], v[44:45], -v[4:5]
	s_waitcnt vmcnt(38) lgkmcnt(1)
	v_mul_f64 v[144:145], v[134:135], v[78:79]
	v_add_f64 v[2:3], v[2:3], v[4:5]
	v_mul_f64 v[4:5], v[112:113], v[54:55]
	s_waitcnt vmcnt(36)
	v_fmac_f64_e32 v[144:145], v[136:137], v[80:81]
	v_fma_f64 v[4:5], v[110:111], v[56:57], -v[4:5]
	v_add_f64 v[146:147], v[142:143], v[144:145]
	ds_read_b128 v[142:145], v1 offset:1776
	s_waitcnt lgkmcnt(1)
	v_mul_f64 v[148:149], v[138:139], v[74:75]
	v_add_f64 v[2:3], v[2:3], v[4:5]
	v_mul_f64 v[4:5], v[116:117], v[50:51]
	v_fmac_f64_e32 v[148:149], v[140:141], v[76:77]
	v_fma_f64 v[4:5], v[114:115], v[52:53], -v[4:5]
	v_add_f64 v[150:151], v[146:147], v[148:149]
	ds_read_b128 v[146:149], v1 offset:1792
	v_add_f64 v[2:3], v[2:3], v[4:5]
	v_mul_f64 v[4:5], v[120:121], v[62:63]
	v_fma_f64 v[4:5], v[118:119], v[64:65], -v[4:5]
	v_add_f64 v[2:3], v[2:3], v[4:5]
	v_mul_f64 v[4:5], v[124:125], v[58:59]
	s_waitcnt vmcnt(30) lgkmcnt(1)
	v_mul_f64 v[152:153], v[142:143], v[86:87]
	v_fma_f64 v[4:5], v[122:123], v[60:61], -v[4:5]
	s_waitcnt vmcnt(28)
	v_fmac_f64_e32 v[152:153], v[144:145], v[88:89]
	v_add_f64 v[2:3], v[2:3], v[4:5]
	v_mul_f64 v[4:5], v[128:129], v[70:71]
	v_add_f64 v[154:155], v[150:151], v[152:153]
	ds_read_b128 v[150:153], v1 offset:1808
	s_waitcnt lgkmcnt(1)
	v_mul_f64 v[156:157], v[146:147], v[82:83]
	v_fma_f64 v[4:5], v[126:127], v[72:73], -v[4:5]
	v_fmac_f64_e32 v[156:157], v[148:149], v[84:85]
	v_add_f64 v[2:3], v[2:3], v[4:5]
	v_mul_f64 v[4:5], v[132:133], v[66:67]
	v_add_f64 v[158:159], v[154:155], v[156:157]
	ds_read_b128 v[154:157], v1 offset:1824
	v_fma_f64 v[4:5], v[130:131], v[68:69], -v[4:5]
	v_add_f64 v[2:3], v[2:3], v[4:5]
	v_mul_f64 v[4:5], v[136:137], v[78:79]
	v_fma_f64 v[4:5], v[134:135], v[80:81], -v[4:5]
	s_waitcnt vmcnt(22) lgkmcnt(1)
	v_mul_f64 v[160:161], v[150:151], v[94:95]
	v_add_f64 v[2:3], v[2:3], v[4:5]
	v_mul_f64 v[4:5], v[140:141], v[74:75]
	s_waitcnt vmcnt(20)
	v_fmac_f64_e32 v[160:161], v[152:153], v[96:97]
	v_fma_f64 v[4:5], v[138:139], v[76:77], -v[4:5]
	v_add_f64 v[162:163], v[158:159], v[160:161]
	ds_read_b128 v[158:161], v1 offset:1840
	s_waitcnt lgkmcnt(1)
	v_mul_f64 v[164:165], v[154:155], v[90:91]
	v_add_f64 v[2:3], v[2:3], v[4:5]
	v_mul_f64 v[4:5], v[144:145], v[86:87]
	v_fmac_f64_e32 v[164:165], v[156:157], v[92:93]
	v_fma_f64 v[4:5], v[142:143], v[88:89], -v[4:5]
	v_add_f64 v[166:167], v[162:163], v[164:165]
	ds_read_b128 v[162:165], v1 offset:1856
	v_add_f64 v[2:3], v[2:3], v[4:5]
	v_mul_f64 v[4:5], v[148:149], v[82:83]
	v_fma_f64 v[4:5], v[146:147], v[84:85], -v[4:5]
	v_add_f64 v[2:3], v[2:3], v[4:5]
	v_mul_f64 v[4:5], v[152:153], v[94:95]
	s_waitcnt vmcnt(14) lgkmcnt(1)
	v_mul_f64 v[168:169], v[158:159], v[182:183]
	v_fma_f64 v[4:5], v[150:151], v[96:97], -v[4:5]
	s_waitcnt vmcnt(12)
	v_fmac_f64_e32 v[168:169], v[160:161], v[184:185]
	v_add_f64 v[2:3], v[2:3], v[4:5]
	v_mul_f64 v[4:5], v[156:157], v[90:91]
	v_add_f64 v[170:171], v[166:167], v[168:169]
	ds_read_b128 v[166:169], v1 offset:1872
	s_waitcnt lgkmcnt(1)
	v_mul_f64 v[172:173], v[162:163], v[178:179]
	v_fma_f64 v[4:5], v[154:155], v[92:93], -v[4:5]
	v_fmac_f64_e32 v[172:173], v[164:165], v[180:181]
	v_add_f64 v[2:3], v[2:3], v[4:5]
	v_mul_f64 v[4:5], v[160:161], v[182:183]
	v_add_f64 v[198:199], v[170:171], v[172:173]
	ds_read_b128 v[170:173], v1 offset:1888
	v_fma_f64 v[4:5], v[158:159], v[184:185], -v[4:5]
	v_add_f64 v[2:3], v[2:3], v[4:5]
	v_mul_f64 v[4:5], v[164:165], v[178:179]
	ds_read_b128 v[174:177], v1 offset:1904
	v_fma_f64 v[4:5], v[162:163], v[180:181], -v[4:5]
	v_add_f64 v[2:3], v[2:3], v[4:5]
	s_waitcnt vmcnt(6) lgkmcnt(2)
	v_mul_f64 v[4:5], v[168:169], v[190:191]
	v_mul_f64 v[200:201], v[166:167], v[190:191]
	s_waitcnt vmcnt(4)
	v_fma_f64 v[4:5], v[166:167], v[192:193], -v[4:5]
	v_fmac_f64_e32 v[200:201], v[168:169], v[192:193]
	v_add_f64 v[2:3], v[2:3], v[4:5]
	s_waitcnt lgkmcnt(1)
	v_mul_f64 v[4:5], v[172:173], v[186:187]
	v_add_f64 v[198:199], v[198:199], v[200:201]
	v_mul_f64 v[200:201], v[170:171], v[186:187]
	v_fma_f64 v[4:5], v[170:171], v[188:189], -v[4:5]
	v_fmac_f64_e32 v[200:201], v[172:173], v[188:189]
	v_add_f64 v[2:3], v[2:3], v[4:5]
	s_waitcnt vmcnt(2) lgkmcnt(0)
	v_mul_f64 v[4:5], v[176:177], v[194:195]
	v_add_f64 v[198:199], v[198:199], v[200:201]
	v_mul_f64 v[200:201], v[174:175], v[194:195]
	s_waitcnt vmcnt(0)
	v_fma_f64 v[4:5], v[174:175], v[196:197], -v[4:5]
	v_fmac_f64_e32 v[200:201], v[176:177], v[196:197]
	v_add_f64 v[2:3], v[2:3], v[4:5]
	v_add_f64 v[198:199], v[198:199], v[200:201]
	v_add_f64 v[2:3], v[20:21], -v[2:3]
	v_add_f64 v[4:5], v[18:19], -v[198:199]
	buffer_store_dword v3, off, s[0:3], 0 offset:580
	buffer_store_dword v2, off, s[0:3], 0 offset:576
	buffer_store_dword v5, off, s[0:3], 0 offset:588
	buffer_store_dword v4, off, s[0:3], 0 offset:584
	s_and_saveexec_b64 s[4:5], vcc
	s_cbranch_execz .LBB59_305
; %bb.304:
	v_accvgpr_read_b32 v0, a145
	buffer_load_dword v2, v0, s[0:3], 0 offen
	buffer_load_dword v3, v0, s[0:3], 0 offen offset:4
	buffer_load_dword v4, v0, s[0:3], 0 offen offset:8
	;; [unrolled: 1-line block ×3, first 2 shown]
	v_mov_b32_e32 v0, 0
	v_accvgpr_read_b32 v1, a180
	buffer_store_dword v0, off, s[0:3], 0 offset:560
	buffer_store_dword v0, off, s[0:3], 0 offset:564
	;; [unrolled: 1-line block ×4, first 2 shown]
	s_waitcnt vmcnt(4)
	ds_write_b128 v1, v[2:5]
.LBB59_305:
	s_or_b64 exec, exec, s[4:5]
	s_waitcnt lgkmcnt(0)
	; wave barrier
	s_waitcnt lgkmcnt(0)
	buffer_load_dword v22, off, s[0:3], 0 offset:576
	buffer_load_dword v23, off, s[0:3], 0 offset:580
	;; [unrolled: 1-line block ×64, first 2 shown]
	v_mov_b32_e32 v1, 0
	ds_read_b128 v[18:21], v1 offset:1520
	ds_read_b128 v[14:17], v1 offset:1536
	;; [unrolled: 1-line block ×5, first 2 shown]
	v_cmp_lt_u32_e32 vcc, 33, v254
	s_waitcnt vmcnt(60) lgkmcnt(4)
	v_mul_f64 v[86:87], v[18:19], v[26:27]
	v_fmac_f64_e32 v[86:87], v[20:21], v[22:23]
	v_add_f64 v[86:87], v[86:87], 0
	v_mul_f64 v[20:21], v[20:21], v[26:27]
	s_waitcnt vmcnt(56) lgkmcnt(3)
	v_mul_f64 v[88:89], v[14:15], v[28:29]
	v_fmac_f64_e32 v[88:89], v[16:17], v[24:25]
	s_waitcnt vmcnt(54) lgkmcnt(2)
	v_mul_f64 v[90:91], v[10:11], v[30:31]
	v_add_f64 v[86:87], v[86:87], v[88:89]
	v_fma_f64 v[18:19], v[18:19], v[22:23], -v[20:21]
	v_mul_f64 v[16:17], v[16:17], v[28:29]
	s_waitcnt vmcnt(50) lgkmcnt(1)
	v_mul_f64 v[102:103], v[6:7], v[40:41]
	v_add_f64 v[18:19], v[18:19], 0
	s_waitcnt vmcnt(48)
	v_fmac_f64_e32 v[90:91], v[12:13], v[44:45]
	v_add_f64 v[104:105], v[86:87], v[90:91]
	buffer_load_dword v87, off, s[0:3], 0 offset:844
	buffer_load_dword v86, off, s[0:3], 0 offset:840
	;; [unrolled: 1-line block ×40, first 2 shown]
	s_waitcnt vmcnt(62)
	v_fmac_f64_e32 v[102:103], v[8:9], v[42:43]
	v_add_f64 v[106:107], v[104:105], v[102:103]
	ds_read_b128 v[102:105], v1 offset:1600
	s_waitcnt lgkmcnt(1)
	v_mul_f64 v[108:109], v[2:3], v[36:37]
	v_fmac_f64_e32 v[108:109], v[4:5], v[38:39]
	v_add_f64 v[110:111], v[106:107], v[108:109]
	ds_read_b128 v[106:109], v1 offset:1616
	s_waitcnt lgkmcnt(1)
	v_mul_f64 v[112:113], v[102:103], v[50:51]
	;; [unrolled: 5-line block ×5, first 2 shown]
	v_fmac_f64_e32 v[124:125], v[116:117], v[56:57]
	v_add_f64 v[126:127], v[122:123], v[124:125]
	ds_read_b128 v[122:125], v1 offset:1680
	s_waitcnt vmcnt(58) lgkmcnt(1)
	v_mul_f64 v[128:129], v[118:119], v[66:67]
	s_waitcnt vmcnt(56)
	v_fmac_f64_e32 v[128:129], v[120:121], v[68:69]
	v_add_f64 v[130:131], v[126:127], v[128:129]
	ds_read_b128 v[126:129], v1 offset:1696
	s_waitcnt lgkmcnt(1)
	v_mul_f64 v[132:133], v[122:123], v[62:63]
	v_fmac_f64_e32 v[132:133], v[124:125], v[64:65]
	v_add_f64 v[134:135], v[130:131], v[132:133]
	ds_read_b128 v[130:133], v1 offset:1712
	s_waitcnt vmcnt(50) lgkmcnt(1)
	v_mul_f64 v[136:137], v[126:127], v[74:75]
	s_waitcnt vmcnt(48)
	v_fmac_f64_e32 v[136:137], v[128:129], v[76:77]
	v_add_f64 v[138:139], v[134:135], v[136:137]
	ds_read_b128 v[134:137], v1 offset:1728
	v_fma_f64 v[14:15], v[14:15], v[24:25], -v[16:17]
	v_mul_f64 v[12:13], v[12:13], v[30:31]
	v_add_f64 v[14:15], v[18:19], v[14:15]
	v_fma_f64 v[10:11], v[10:11], v[44:45], -v[12:13]
	v_mul_f64 v[8:9], v[8:9], v[40:41]
	s_waitcnt lgkmcnt(1)
	v_mul_f64 v[140:141], v[130:131], v[70:71]
	v_add_f64 v[10:11], v[14:15], v[10:11]
	v_fma_f64 v[6:7], v[6:7], v[42:43], -v[8:9]
	v_mul_f64 v[4:5], v[4:5], v[36:37]
	v_fmac_f64_e32 v[140:141], v[132:133], v[72:73]
	v_add_f64 v[6:7], v[10:11], v[6:7]
	v_fma_f64 v[2:3], v[2:3], v[38:39], -v[4:5]
	v_mul_f64 v[4:5], v[104:105], v[50:51]
	v_add_f64 v[142:143], v[138:139], v[140:141]
	ds_read_b128 v[138:141], v1 offset:1744
	s_waitcnt vmcnt(42) lgkmcnt(1)
	v_mul_f64 v[144:145], v[134:135], v[82:83]
	v_add_f64 v[2:3], v[6:7], v[2:3]
	v_fma_f64 v[4:5], v[102:103], v[52:53], -v[4:5]
	s_waitcnt vmcnt(40)
	v_fmac_f64_e32 v[144:145], v[136:137], v[84:85]
	v_add_f64 v[2:3], v[2:3], v[4:5]
	v_mul_f64 v[4:5], v[108:109], v[46:47]
	v_add_f64 v[146:147], v[142:143], v[144:145]
	ds_read_b128 v[142:145], v1 offset:1760
	v_fma_f64 v[4:5], v[106:107], v[48:49], -v[4:5]
	v_add_f64 v[2:3], v[2:3], v[4:5]
	v_mul_f64 v[4:5], v[112:113], v[58:59]
	v_fma_f64 v[4:5], v[110:111], v[60:61], -v[4:5]
	s_waitcnt lgkmcnt(1)
	v_mul_f64 v[148:149], v[138:139], v[78:79]
	v_add_f64 v[2:3], v[2:3], v[4:5]
	v_mul_f64 v[4:5], v[116:117], v[54:55]
	v_fmac_f64_e32 v[148:149], v[140:141], v[80:81]
	v_fma_f64 v[4:5], v[114:115], v[56:57], -v[4:5]
	v_add_f64 v[150:151], v[146:147], v[148:149]
	ds_read_b128 v[146:149], v1 offset:1776
	s_waitcnt vmcnt(34) lgkmcnt(1)
	v_mul_f64 v[152:153], v[142:143], v[90:91]
	v_add_f64 v[2:3], v[2:3], v[4:5]
	v_mul_f64 v[4:5], v[120:121], v[66:67]
	s_waitcnt vmcnt(32)
	v_fmac_f64_e32 v[152:153], v[144:145], v[92:93]
	v_fma_f64 v[4:5], v[118:119], v[68:69], -v[4:5]
	v_add_f64 v[154:155], v[150:151], v[152:153]
	ds_read_b128 v[150:153], v1 offset:1792
	v_add_f64 v[2:3], v[2:3], v[4:5]
	v_mul_f64 v[4:5], v[124:125], v[62:63]
	v_fma_f64 v[4:5], v[122:123], v[64:65], -v[4:5]
	v_add_f64 v[2:3], v[2:3], v[4:5]
	v_mul_f64 v[4:5], v[128:129], v[74:75]
	s_waitcnt lgkmcnt(1)
	v_mul_f64 v[156:157], v[146:147], v[86:87]
	v_fma_f64 v[4:5], v[126:127], v[76:77], -v[4:5]
	v_fmac_f64_e32 v[156:157], v[148:149], v[88:89]
	v_add_f64 v[2:3], v[2:3], v[4:5]
	v_mul_f64 v[4:5], v[132:133], v[70:71]
	v_add_f64 v[158:159], v[154:155], v[156:157]
	ds_read_b128 v[154:157], v1 offset:1808
	s_waitcnt vmcnt(26) lgkmcnt(1)
	v_mul_f64 v[160:161], v[150:151], v[98:99]
	v_fma_f64 v[4:5], v[130:131], v[72:73], -v[4:5]
	s_waitcnt vmcnt(24)
	v_fmac_f64_e32 v[160:161], v[152:153], v[100:101]
	v_add_f64 v[2:3], v[2:3], v[4:5]
	v_mul_f64 v[4:5], v[136:137], v[82:83]
	v_add_f64 v[162:163], v[158:159], v[160:161]
	ds_read_b128 v[158:161], v1 offset:1824
	v_fma_f64 v[4:5], v[134:135], v[84:85], -v[4:5]
	v_add_f64 v[2:3], v[2:3], v[4:5]
	v_mul_f64 v[4:5], v[140:141], v[78:79]
	v_fma_f64 v[4:5], v[138:139], v[80:81], -v[4:5]
	s_waitcnt lgkmcnt(1)
	v_mul_f64 v[164:165], v[154:155], v[94:95]
	v_add_f64 v[2:3], v[2:3], v[4:5]
	v_mul_f64 v[4:5], v[144:145], v[90:91]
	v_fmac_f64_e32 v[164:165], v[156:157], v[96:97]
	v_fma_f64 v[4:5], v[142:143], v[92:93], -v[4:5]
	v_add_f64 v[166:167], v[162:163], v[164:165]
	ds_read_b128 v[162:165], v1 offset:1840
	s_waitcnt vmcnt(18) lgkmcnt(1)
	v_mul_f64 v[168:169], v[158:159], v[186:187]
	v_add_f64 v[2:3], v[2:3], v[4:5]
	v_mul_f64 v[4:5], v[148:149], v[86:87]
	s_waitcnt vmcnt(16)
	v_fmac_f64_e32 v[168:169], v[160:161], v[188:189]
	v_fma_f64 v[4:5], v[146:147], v[88:89], -v[4:5]
	v_add_f64 v[170:171], v[166:167], v[168:169]
	ds_read_b128 v[166:169], v1 offset:1856
	v_add_f64 v[2:3], v[2:3], v[4:5]
	v_mul_f64 v[4:5], v[152:153], v[98:99]
	v_fma_f64 v[4:5], v[150:151], v[100:101], -v[4:5]
	v_add_f64 v[2:3], v[2:3], v[4:5]
	v_mul_f64 v[4:5], v[156:157], v[94:95]
	s_waitcnt lgkmcnt(1)
	v_mul_f64 v[172:173], v[162:163], v[182:183]
	v_fma_f64 v[4:5], v[154:155], v[96:97], -v[4:5]
	v_fmac_f64_e32 v[172:173], v[164:165], v[184:185]
	v_add_f64 v[2:3], v[2:3], v[4:5]
	v_mul_f64 v[4:5], v[160:161], v[186:187]
	v_add_f64 v[174:175], v[170:171], v[172:173]
	ds_read_b128 v[170:173], v1 offset:1872
	s_waitcnt vmcnt(10) lgkmcnt(1)
	v_mul_f64 v[176:177], v[166:167], v[194:195]
	v_fma_f64 v[4:5], v[158:159], v[188:189], -v[4:5]
	s_waitcnt vmcnt(8)
	v_fmac_f64_e32 v[176:177], v[168:169], v[196:197]
	v_add_f64 v[2:3], v[2:3], v[4:5]
	v_mul_f64 v[4:5], v[164:165], v[182:183]
	v_add_f64 v[206:207], v[174:175], v[176:177]
	ds_read_b128 v[174:177], v1 offset:1888
	ds_read_b128 v[178:181], v1 offset:1904
	v_fma_f64 v[4:5], v[162:163], v[184:185], -v[4:5]
	v_add_f64 v[2:3], v[2:3], v[4:5]
	v_mul_f64 v[4:5], v[168:169], v[194:195]
	v_fma_f64 v[4:5], v[166:167], v[196:197], -v[4:5]
	v_add_f64 v[2:3], v[2:3], v[4:5]
	s_waitcnt lgkmcnt(2)
	v_mul_f64 v[4:5], v[172:173], v[190:191]
	v_mul_f64 v[208:209], v[170:171], v[190:191]
	v_fma_f64 v[4:5], v[170:171], v[192:193], -v[4:5]
	v_fmac_f64_e32 v[208:209], v[172:173], v[192:193]
	v_add_f64 v[2:3], v[2:3], v[4:5]
	s_waitcnt vmcnt(2) lgkmcnt(1)
	v_mul_f64 v[4:5], v[176:177], v[202:203]
	v_add_f64 v[206:207], v[206:207], v[208:209]
	v_mul_f64 v[208:209], v[174:175], v[202:203]
	s_waitcnt vmcnt(0)
	v_fma_f64 v[4:5], v[174:175], v[204:205], -v[4:5]
	v_fmac_f64_e32 v[208:209], v[176:177], v[204:205]
	v_add_f64 v[2:3], v[2:3], v[4:5]
	s_waitcnt lgkmcnt(0)
	v_mul_f64 v[4:5], v[180:181], v[198:199]
	v_add_f64 v[206:207], v[206:207], v[208:209]
	v_mul_f64 v[208:209], v[178:179], v[198:199]
	v_fma_f64 v[4:5], v[178:179], v[200:201], -v[4:5]
	v_fmac_f64_e32 v[208:209], v[180:181], v[200:201]
	v_add_f64 v[2:3], v[2:3], v[4:5]
	v_add_f64 v[206:207], v[206:207], v[208:209]
	v_add_f64 v[2:3], v[34:35], -v[2:3]
	v_add_f64 v[4:5], v[32:33], -v[206:207]
	buffer_store_dword v3, off, s[0:3], 0 offset:564
	buffer_store_dword v2, off, s[0:3], 0 offset:560
	;; [unrolled: 1-line block ×4, first 2 shown]
	s_and_saveexec_b64 s[4:5], vcc
	s_cbranch_execz .LBB59_307
; %bb.306:
	v_accvgpr_read_b32 v0, a146
	buffer_load_dword v2, v0, s[0:3], 0 offen
	buffer_load_dword v3, v0, s[0:3], 0 offen offset:4
	buffer_load_dword v4, v0, s[0:3], 0 offen offset:8
	;; [unrolled: 1-line block ×3, first 2 shown]
	v_accvgpr_read_b32 v0, a180
	buffer_store_dword v1, off, s[0:3], 0 offset:544
	buffer_store_dword v1, off, s[0:3], 0 offset:548
	;; [unrolled: 1-line block ×4, first 2 shown]
	s_waitcnt vmcnt(4)
	ds_write_b128 v0, v[2:5]
.LBB59_307:
	s_or_b64 exec, exec, s[4:5]
	s_waitcnt lgkmcnt(0)
	; wave barrier
	s_waitcnt lgkmcnt(0)
	buffer_load_dword v26, off, s[0:3], 0 offset:560
	buffer_load_dword v27, off, s[0:3], 0 offset:564
	;; [unrolled: 1-line block ×24, first 2 shown]
	ds_read_b128 v[22:25], v1 offset:1504
	ds_read_b128 v[18:21], v1 offset:1520
	;; [unrolled: 1-line block ×6, first 2 shown]
	buffer_load_dword v51, off, s[0:3], 0 offset:668
	buffer_load_dword v50, off, s[0:3], 0 offset:664
	;; [unrolled: 1-line block ×40, first 2 shown]
	v_cmp_lt_u32_e32 vcc, 32, v254
	s_waitcnt vmcnt(34) lgkmcnt(0)
	v_mul_f64 v[120:121], v[14:15], v[54:55]
	s_waitcnt vmcnt(32)
	v_fmac_f64_e32 v[120:121], v[16:17], v[56:57]
	v_mul_f64 v[90:91], v[22:23], v[28:29]
	v_fmac_f64_e32 v[90:91], v[24:25], v[26:27]
	v_mul_f64 v[92:93], v[18:19], v[30:31]
	v_add_f64 v[90:91], v[90:91], 0
	v_mul_f64 v[94:95], v[10:11], v[32:33]
	v_mul_f64 v[24:25], v[24:25], v[28:29]
	v_mul_f64 v[114:115], v[2:3], v[38:39]
	v_fma_f64 v[22:23], v[22:23], v[26:27], -v[24:25]
	v_add_f64 v[22:23], v[22:23], 0
	v_mul_f64 v[96:97], v[6:7], v[42:43]
	v_fmac_f64_e32 v[92:93], v[20:21], v[48:49]
	v_add_f64 v[90:91], v[90:91], v[92:93]
	v_fmac_f64_e32 v[94:95], v[12:13], v[46:47]
	v_add_f64 v[90:91], v[90:91], v[94:95]
	;; [unrolled: 2-line block ×3, first 2 shown]
	buffer_load_dword v91, off, s[0:3], 0 offset:828
	buffer_load_dword v90, off, s[0:3], 0 offset:824
	;; [unrolled: 1-line block ×40, first 2 shown]
	v_fmac_f64_e32 v[114:115], v[4:5], v[40:41]
	v_add_f64 v[118:119], v[116:117], v[114:115]
	ds_read_b128 v[114:117], v1 offset:1600
	buffer_load_dword v211, off, s[0:3], 0 offset:972
	buffer_load_dword v210, off, s[0:3], 0 offset:968
	;; [unrolled: 1-line block ×4, first 2 shown]
	v_add_f64 v[122:123], v[118:119], v[120:121]
	ds_read_b128 v[118:121], v1 offset:1616
	v_mul_f64 v[20:21], v[20:21], v[30:31]
	s_waitcnt lgkmcnt(1)
	v_mul_f64 v[124:125], v[114:115], v[50:51]
	v_fmac_f64_e32 v[124:125], v[116:117], v[52:53]
	v_add_f64 v[126:127], v[122:123], v[124:125]
	ds_read_b128 v[122:125], v1 offset:1632
	s_waitcnt vmcnt(62) lgkmcnt(1)
	v_mul_f64 v[128:129], v[118:119], v[62:63]
	v_fmac_f64_e32 v[128:129], v[120:121], v[64:65]
	v_add_f64 v[130:131], v[126:127], v[128:129]
	ds_read_b128 v[126:129], v1 offset:1648
	s_waitcnt lgkmcnt(1)
	v_mul_f64 v[132:133], v[122:123], v[58:59]
	v_fmac_f64_e32 v[132:133], v[124:125], v[60:61]
	v_add_f64 v[134:135], v[130:131], v[132:133]
	ds_read_b128 v[130:133], v1 offset:1664
	s_waitcnt lgkmcnt(1)
	v_mul_f64 v[136:137], v[126:127], v[70:71]
	s_waitcnt vmcnt(60)
	v_fmac_f64_e32 v[136:137], v[128:129], v[72:73]
	v_add_f64 v[138:139], v[134:135], v[136:137]
	ds_read_b128 v[134:137], v1 offset:1680
	s_waitcnt lgkmcnt(1)
	v_mul_f64 v[140:141], v[130:131], v[66:67]
	v_fmac_f64_e32 v[140:141], v[132:133], v[68:69]
	v_add_f64 v[142:143], v[138:139], v[140:141]
	ds_read_b128 v[138:141], v1 offset:1696
	s_waitcnt vmcnt(54) lgkmcnt(1)
	v_mul_f64 v[144:145], v[134:135], v[78:79]
	s_waitcnt vmcnt(52)
	v_fmac_f64_e32 v[144:145], v[136:137], v[80:81]
	v_add_f64 v[146:147], v[142:143], v[144:145]
	ds_read_b128 v[142:145], v1 offset:1712
	s_waitcnt lgkmcnt(1)
	v_mul_f64 v[148:149], v[138:139], v[74:75]
	v_fmac_f64_e32 v[148:149], v[140:141], v[76:77]
	v_fma_f64 v[18:19], v[18:19], v[48:49], -v[20:21]
	v_mul_f64 v[12:13], v[12:13], v[32:33]
	v_add_f64 v[150:151], v[146:147], v[148:149]
	ds_read_b128 v[146:149], v1 offset:1728
	v_add_f64 v[18:19], v[22:23], v[18:19]
	v_fma_f64 v[10:11], v[10:11], v[46:47], -v[12:13]
	v_mul_f64 v[8:9], v[8:9], v[42:43]
	v_add_f64 v[10:11], v[18:19], v[10:11]
	v_fma_f64 v[6:7], v[6:7], v[44:45], -v[8:9]
	v_mul_f64 v[4:5], v[4:5], v[38:39]
	;; [unrolled: 3-line block ×3, first 2 shown]
	s_waitcnt vmcnt(46) lgkmcnt(1)
	v_mul_f64 v[152:153], v[142:143], v[86:87]
	v_add_f64 v[2:3], v[6:7], v[2:3]
	v_fma_f64 v[4:5], v[14:15], v[56:57], -v[4:5]
	s_waitcnt vmcnt(44)
	v_fmac_f64_e32 v[152:153], v[144:145], v[88:89]
	v_add_f64 v[2:3], v[2:3], v[4:5]
	v_mul_f64 v[4:5], v[116:117], v[50:51]
	v_add_f64 v[154:155], v[150:151], v[152:153]
	ds_read_b128 v[150:153], v1 offset:1744
	s_waitcnt lgkmcnt(1)
	v_mul_f64 v[156:157], v[146:147], v[82:83]
	v_fma_f64 v[4:5], v[114:115], v[52:53], -v[4:5]
	v_fmac_f64_e32 v[156:157], v[148:149], v[84:85]
	v_add_f64 v[2:3], v[2:3], v[4:5]
	v_mul_f64 v[4:5], v[120:121], v[62:63]
	v_add_f64 v[158:159], v[154:155], v[156:157]
	ds_read_b128 v[154:157], v1 offset:1760
	v_fma_f64 v[4:5], v[118:119], v[64:65], -v[4:5]
	v_add_f64 v[2:3], v[2:3], v[4:5]
	v_mul_f64 v[4:5], v[124:125], v[58:59]
	v_fma_f64 v[4:5], v[122:123], v[60:61], -v[4:5]
	s_waitcnt vmcnt(38) lgkmcnt(1)
	v_mul_f64 v[160:161], v[150:151], v[94:95]
	v_add_f64 v[2:3], v[2:3], v[4:5]
	v_mul_f64 v[4:5], v[128:129], v[70:71]
	s_waitcnt vmcnt(36)
	v_fmac_f64_e32 v[160:161], v[152:153], v[96:97]
	v_fma_f64 v[4:5], v[126:127], v[72:73], -v[4:5]
	v_add_f64 v[162:163], v[158:159], v[160:161]
	ds_read_b128 v[158:161], v1 offset:1776
	s_waitcnt lgkmcnt(1)
	v_mul_f64 v[164:165], v[154:155], v[90:91]
	v_add_f64 v[2:3], v[2:3], v[4:5]
	v_mul_f64 v[4:5], v[132:133], v[66:67]
	v_fmac_f64_e32 v[164:165], v[156:157], v[92:93]
	v_fma_f64 v[4:5], v[130:131], v[68:69], -v[4:5]
	v_add_f64 v[166:167], v[162:163], v[164:165]
	ds_read_b128 v[162:165], v1 offset:1792
	v_add_f64 v[2:3], v[2:3], v[4:5]
	v_mul_f64 v[4:5], v[136:137], v[78:79]
	v_fma_f64 v[4:5], v[134:135], v[80:81], -v[4:5]
	v_add_f64 v[2:3], v[2:3], v[4:5]
	v_mul_f64 v[4:5], v[140:141], v[74:75]
	s_waitcnt vmcnt(30) lgkmcnt(1)
	v_mul_f64 v[168:169], v[158:159], v[102:103]
	v_fma_f64 v[4:5], v[138:139], v[76:77], -v[4:5]
	s_waitcnt vmcnt(28)
	v_fmac_f64_e32 v[168:169], v[160:161], v[104:105]
	v_add_f64 v[2:3], v[2:3], v[4:5]
	v_mul_f64 v[4:5], v[144:145], v[86:87]
	v_add_f64 v[170:171], v[166:167], v[168:169]
	ds_read_b128 v[166:169], v1 offset:1808
	s_waitcnt lgkmcnt(1)
	v_mul_f64 v[172:173], v[162:163], v[98:99]
	v_fma_f64 v[4:5], v[142:143], v[88:89], -v[4:5]
	v_fmac_f64_e32 v[172:173], v[164:165], v[100:101]
	v_add_f64 v[2:3], v[2:3], v[4:5]
	v_mul_f64 v[4:5], v[148:149], v[82:83]
	v_add_f64 v[174:175], v[170:171], v[172:173]
	ds_read_b128 v[170:173], v1 offset:1824
	v_fma_f64 v[4:5], v[146:147], v[84:85], -v[4:5]
	v_add_f64 v[2:3], v[2:3], v[4:5]
	v_mul_f64 v[4:5], v[152:153], v[94:95]
	v_fma_f64 v[4:5], v[150:151], v[96:97], -v[4:5]
	s_waitcnt vmcnt(22) lgkmcnt(1)
	v_mul_f64 v[176:177], v[166:167], v[110:111]
	v_add_f64 v[2:3], v[2:3], v[4:5]
	v_mul_f64 v[4:5], v[156:157], v[90:91]
	s_waitcnt vmcnt(20)
	v_fmac_f64_e32 v[176:177], v[168:169], v[112:113]
	v_fma_f64 v[4:5], v[154:155], v[92:93], -v[4:5]
	v_add_f64 v[178:179], v[174:175], v[176:177]
	ds_read_b128 v[174:177], v1 offset:1840
	s_waitcnt lgkmcnt(1)
	v_mul_f64 v[180:181], v[170:171], v[106:107]
	v_add_f64 v[2:3], v[2:3], v[4:5]
	v_mul_f64 v[4:5], v[160:161], v[102:103]
	v_fmac_f64_e32 v[180:181], v[172:173], v[108:109]
	v_fma_f64 v[4:5], v[158:159], v[104:105], -v[4:5]
	v_add_f64 v[182:183], v[178:179], v[180:181]
	ds_read_b128 v[178:181], v1 offset:1856
	v_add_f64 v[2:3], v[2:3], v[4:5]
	v_mul_f64 v[4:5], v[164:165], v[98:99]
	v_fma_f64 v[4:5], v[162:163], v[100:101], -v[4:5]
	v_add_f64 v[2:3], v[2:3], v[4:5]
	v_mul_f64 v[4:5], v[168:169], v[110:111]
	s_waitcnt vmcnt(14) lgkmcnt(1)
	v_mul_f64 v[184:185], v[174:175], v[198:199]
	v_fma_f64 v[4:5], v[166:167], v[112:113], -v[4:5]
	s_waitcnt vmcnt(12)
	v_fmac_f64_e32 v[184:185], v[176:177], v[200:201]
	v_add_f64 v[2:3], v[2:3], v[4:5]
	v_mul_f64 v[4:5], v[172:173], v[106:107]
	v_add_f64 v[186:187], v[182:183], v[184:185]
	ds_read_b128 v[182:185], v1 offset:1872
	s_waitcnt lgkmcnt(1)
	v_mul_f64 v[188:189], v[178:179], v[194:195]
	v_fma_f64 v[4:5], v[170:171], v[108:109], -v[4:5]
	v_fmac_f64_e32 v[188:189], v[180:181], v[196:197]
	v_add_f64 v[2:3], v[2:3], v[4:5]
	v_mul_f64 v[4:5], v[176:177], v[198:199]
	v_add_f64 v[214:215], v[186:187], v[188:189]
	ds_read_b128 v[186:189], v1 offset:1888
	v_fma_f64 v[4:5], v[174:175], v[200:201], -v[4:5]
	v_add_f64 v[2:3], v[2:3], v[4:5]
	v_mul_f64 v[4:5], v[180:181], v[194:195]
	ds_read_b128 v[190:193], v1 offset:1904
	v_fma_f64 v[4:5], v[178:179], v[196:197], -v[4:5]
	v_add_f64 v[2:3], v[2:3], v[4:5]
	s_waitcnt vmcnt(6) lgkmcnt(2)
	v_mul_f64 v[4:5], v[184:185], v[206:207]
	v_mul_f64 v[216:217], v[182:183], v[206:207]
	s_waitcnt vmcnt(4)
	v_fma_f64 v[4:5], v[182:183], v[208:209], -v[4:5]
	v_fmac_f64_e32 v[216:217], v[184:185], v[208:209]
	v_add_f64 v[2:3], v[2:3], v[4:5]
	s_waitcnt lgkmcnt(1)
	v_mul_f64 v[4:5], v[188:189], v[202:203]
	v_add_f64 v[214:215], v[214:215], v[216:217]
	v_mul_f64 v[216:217], v[186:187], v[202:203]
	v_fma_f64 v[4:5], v[186:187], v[204:205], -v[4:5]
	v_fmac_f64_e32 v[216:217], v[188:189], v[204:205]
	v_add_f64 v[2:3], v[2:3], v[4:5]
	s_waitcnt vmcnt(2) lgkmcnt(0)
	v_mul_f64 v[4:5], v[192:193], v[210:211]
	v_add_f64 v[214:215], v[214:215], v[216:217]
	v_mul_f64 v[216:217], v[190:191], v[210:211]
	s_waitcnt vmcnt(0)
	v_fma_f64 v[4:5], v[190:191], v[212:213], -v[4:5]
	v_fmac_f64_e32 v[216:217], v[192:193], v[212:213]
	v_add_f64 v[2:3], v[2:3], v[4:5]
	v_add_f64 v[214:215], v[214:215], v[216:217]
	v_add_f64 v[2:3], v[36:37], -v[2:3]
	v_add_f64 v[4:5], v[34:35], -v[214:215]
	buffer_store_dword v3, off, s[0:3], 0 offset:548
	buffer_store_dword v2, off, s[0:3], 0 offset:544
	;; [unrolled: 1-line block ×4, first 2 shown]
	s_and_saveexec_b64 s[4:5], vcc
	s_cbranch_execz .LBB59_309
; %bb.308:
	v_accvgpr_read_b32 v0, a147
	buffer_load_dword v2, v0, s[0:3], 0 offen
	buffer_load_dword v3, v0, s[0:3], 0 offen offset:4
	buffer_load_dword v4, v0, s[0:3], 0 offen offset:8
	;; [unrolled: 1-line block ×3, first 2 shown]
	v_mov_b32_e32 v0, 0
	v_accvgpr_read_b32 v1, a180
	buffer_store_dword v0, off, s[0:3], 0 offset:528
	buffer_store_dword v0, off, s[0:3], 0 offset:532
	;; [unrolled: 1-line block ×4, first 2 shown]
	s_waitcnt vmcnt(4)
	ds_write_b128 v1, v[2:5]
.LBB59_309:
	s_or_b64 exec, exec, s[4:5]
	s_waitcnt lgkmcnt(0)
	; wave barrier
	s_waitcnt lgkmcnt(0)
	buffer_load_dword v30, off, s[0:3], 0 offset:544
	buffer_load_dword v31, off, s[0:3], 0 offset:548
	;; [unrolled: 1-line block ×56, first 2 shown]
	v_mov_b32_e32 v1, 0
	ds_read_b128 v[26:29], v1 offset:1488
	ds_read_b128 v[22:25], v1 offset:1504
	;; [unrolled: 1-line block ×7, first 2 shown]
	v_cmp_lt_u32_e32 vcc, 31, v254
	s_waitcnt vmcnt(52) lgkmcnt(6)
	v_mul_f64 v[86:87], v[26:27], v[34:35]
	v_fmac_f64_e32 v[86:87], v[28:29], v[30:31]
	v_add_f64 v[86:87], v[86:87], 0
	v_mul_f64 v[28:29], v[28:29], v[34:35]
	s_waitcnt vmcnt(48) lgkmcnt(5)
	v_mul_f64 v[88:89], v[22:23], v[36:37]
	v_fmac_f64_e32 v[88:89], v[24:25], v[32:33]
	s_waitcnt vmcnt(46) lgkmcnt(4)
	v_mul_f64 v[90:91], v[18:19], v[38:39]
	v_add_f64 v[86:87], v[86:87], v[88:89]
	s_waitcnt vmcnt(44) lgkmcnt(2)
	v_mul_f64 v[94:95], v[10:11], v[40:41]
	v_fma_f64 v[26:27], v[26:27], v[30:31], -v[28:29]
	s_waitcnt vmcnt(42)
	v_fmac_f64_e32 v[94:95], v[12:13], v[42:43]
	v_mul_f64 v[24:25], v[24:25], v[36:37]
	s_waitcnt vmcnt(40)
	v_mul_f64 v[92:93], v[14:15], v[48:49]
	v_add_f64 v[26:27], v[26:27], 0
	v_fma_f64 v[22:23], v[22:23], v[32:33], -v[24:25]
	v_add_f64 v[22:23], v[26:27], v[22:23]
	s_waitcnt vmcnt(36) lgkmcnt(1)
	v_mul_f64 v[110:111], v[6:7], v[54:55]
	v_mul_f64 v[12:13], v[12:13], v[40:41]
	s_waitcnt vmcnt(34)
	v_fmac_f64_e32 v[90:91], v[20:21], v[60:61]
	v_add_f64 v[86:87], v[86:87], v[90:91]
	s_waitcnt vmcnt(32)
	v_fmac_f64_e32 v[92:93], v[16:17], v[58:59]
	v_add_f64 v[86:87], v[86:87], v[92:93]
	v_add_f64 v[116:117], v[86:87], v[94:95]
	buffer_load_dword v87, off, s[0:3], 0 offset:780
	buffer_load_dword v86, off, s[0:3], 0 offset:776
	buffer_load_dword v89, off, s[0:3], 0 offset:772
	buffer_load_dword v88, off, s[0:3], 0 offset:768
	buffer_load_dword v91, off, s[0:3], 0 offset:764
	buffer_load_dword v90, off, s[0:3], 0 offset:760
	buffer_load_dword v93, off, s[0:3], 0 offset:756
	buffer_load_dword v92, off, s[0:3], 0 offset:752
	buffer_load_dword v95, off, s[0:3], 0 offset:812
	buffer_load_dword v94, off, s[0:3], 0 offset:808
	buffer_load_dword v97, off, s[0:3], 0 offset:804
	buffer_load_dword v96, off, s[0:3], 0 offset:800
	buffer_load_dword v99, off, s[0:3], 0 offset:796
	buffer_load_dword v98, off, s[0:3], 0 offset:792
	buffer_load_dword v101, off, s[0:3], 0 offset:788
	buffer_load_dword v100, off, s[0:3], 0 offset:784
	buffer_load_dword v103, off, s[0:3], 0 offset:844
	buffer_load_dword v102, off, s[0:3], 0 offset:840
	buffer_load_dword v105, off, s[0:3], 0 offset:836
	buffer_load_dword v104, off, s[0:3], 0 offset:832
	buffer_load_dword v107, off, s[0:3], 0 offset:828
	buffer_load_dword v106, off, s[0:3], 0 offset:824
	buffer_load_dword v109, off, s[0:3], 0 offset:820
	buffer_load_dword v108, off, s[0:3], 0 offset:816
	buffer_load_dword v113, off, s[0:3], 0 offset:876
	buffer_load_dword v112, off, s[0:3], 0 offset:872
	buffer_load_dword v115, off, s[0:3], 0 offset:868
	buffer_load_dword v114, off, s[0:3], 0 offset:864
	buffer_load_dword v119, off, s[0:3], 0 offset:860
	buffer_load_dword v118, off, s[0:3], 0 offset:856
	buffer_load_dword v121, off, s[0:3], 0 offset:852
	buffer_load_dword v120, off, s[0:3], 0 offset:848
	buffer_load_dword v123, off, s[0:3], 0 offset:908
	buffer_load_dword v122, off, s[0:3], 0 offset:904
	buffer_load_dword v205, off, s[0:3], 0 offset:900
	buffer_load_dword v204, off, s[0:3], 0 offset:896
	buffer_load_dword v207, off, s[0:3], 0 offset:892
	buffer_load_dword v206, off, s[0:3], 0 offset:888
	buffer_load_dword v209, off, s[0:3], 0 offset:884
	buffer_load_dword v208, off, s[0:3], 0 offset:880
	buffer_load_dword v211, off, s[0:3], 0 offset:940
	buffer_load_dword v210, off, s[0:3], 0 offset:936
	buffer_load_dword v213, off, s[0:3], 0 offset:932
	buffer_load_dword v212, off, s[0:3], 0 offset:928
	buffer_load_dword v215, off, s[0:3], 0 offset:924
	buffer_load_dword v214, off, s[0:3], 0 offset:920
	buffer_load_dword v217, off, s[0:3], 0 offset:916
	buffer_load_dword v216, off, s[0:3], 0 offset:912
	buffer_load_dword v219, off, s[0:3], 0 offset:972
	buffer_load_dword v218, off, s[0:3], 0 offset:968
	buffer_load_dword v221, off, s[0:3], 0 offset:964
	buffer_load_dword v220, off, s[0:3], 0 offset:960
	buffer_load_dword v223, off, s[0:3], 0 offset:956
	buffer_load_dword v222, off, s[0:3], 0 offset:952
	buffer_load_dword v225, off, s[0:3], 0 offset:948
	buffer_load_dword v224, off, s[0:3], 0 offset:944
	ds_read_b128 v[124:127], v1 offset:1600
	ds_read_b128 v[128:131], v1 offset:1616
	v_mul_f64 v[20:21], v[20:21], v[38:39]
	v_fma_f64 v[18:19], v[18:19], v[60:61], -v[20:21]
	v_mul_f64 v[16:17], v[16:17], v[48:49]
	s_waitcnt vmcnt(62)
	v_fmac_f64_e32 v[110:111], v[8:9], v[56:57]
	v_add_f64 v[18:19], v[22:23], v[18:19]
	v_fma_f64 v[14:15], v[14:15], v[58:59], -v[16:17]
	v_add_f64 v[110:111], v[116:117], v[110:111]
	s_waitcnt lgkmcnt(2)
	v_mul_f64 v[116:117], v[2:3], v[50:51]
	v_add_f64 v[14:15], v[18:19], v[14:15]
	v_fma_f64 v[10:11], v[10:11], v[42:43], -v[12:13]
	v_mul_f64 v[8:9], v[8:9], v[54:55]
	v_fmac_f64_e32 v[116:117], v[4:5], v[52:53]
	ds_read_b128 v[132:135], v1 offset:1632
	ds_read_b128 v[136:139], v1 offset:1648
	v_add_f64 v[10:11], v[14:15], v[10:11]
	v_fma_f64 v[6:7], v[6:7], v[56:57], -v[8:9]
	v_mul_f64 v[4:5], v[4:5], v[50:51]
	v_add_f64 v[6:7], v[10:11], v[6:7]
	v_fma_f64 v[2:3], v[2:3], v[52:53], -v[4:5]
	s_waitcnt lgkmcnt(3)
	v_mul_f64 v[4:5], v[126:127], v[66:67]
	v_add_f64 v[110:111], v[110:111], v[116:117]
	v_mul_f64 v[116:117], v[124:125], v[66:67]
	v_add_f64 v[2:3], v[6:7], v[2:3]
	v_fma_f64 v[4:5], v[124:125], v[68:69], -v[4:5]
	v_fmac_f64_e32 v[116:117], v[126:127], v[68:69]
	v_add_f64 v[2:3], v[2:3], v[4:5]
	s_waitcnt lgkmcnt(2)
	v_mul_f64 v[4:5], v[130:131], v[62:63]
	v_add_f64 v[110:111], v[110:111], v[116:117]
	v_mul_f64 v[116:117], v[128:129], v[62:63]
	ds_read_b128 v[140:143], v1 offset:1664
	ds_read_b128 v[144:147], v1 offset:1680
	v_fma_f64 v[4:5], v[128:129], v[64:65], -v[4:5]
	v_fmac_f64_e32 v[116:117], v[130:131], v[64:65]
	v_add_f64 v[2:3], v[2:3], v[4:5]
	s_waitcnt lgkmcnt(3)
	v_mul_f64 v[4:5], v[134:135], v[74:75]
	v_add_f64 v[110:111], v[110:111], v[116:117]
	v_mul_f64 v[116:117], v[132:133], v[74:75]
	v_fma_f64 v[4:5], v[132:133], v[76:77], -v[4:5]
	v_fmac_f64_e32 v[116:117], v[134:135], v[76:77]
	v_add_f64 v[2:3], v[2:3], v[4:5]
	s_waitcnt lgkmcnt(2)
	v_mul_f64 v[4:5], v[138:139], v[70:71]
	v_add_f64 v[110:111], v[110:111], v[116:117]
	v_mul_f64 v[116:117], v[136:137], v[70:71]
	ds_read_b128 v[148:151], v1 offset:1696
	ds_read_b128 v[152:155], v1 offset:1712
	v_fma_f64 v[4:5], v[136:137], v[72:73], -v[4:5]
	v_fmac_f64_e32 v[116:117], v[138:139], v[72:73]
	v_add_f64 v[2:3], v[2:3], v[4:5]
	s_waitcnt vmcnt(58) lgkmcnt(3)
	v_mul_f64 v[4:5], v[142:143], v[82:83]
	v_add_f64 v[110:111], v[110:111], v[116:117]
	v_mul_f64 v[116:117], v[140:141], v[82:83]
	s_waitcnt vmcnt(56)
	v_fma_f64 v[4:5], v[140:141], v[84:85], -v[4:5]
	v_fmac_f64_e32 v[116:117], v[142:143], v[84:85]
	v_add_f64 v[2:3], v[2:3], v[4:5]
	s_waitcnt lgkmcnt(2)
	v_mul_f64 v[4:5], v[146:147], v[78:79]
	v_add_f64 v[110:111], v[110:111], v[116:117]
	v_mul_f64 v[116:117], v[144:145], v[78:79]
	ds_read_b128 v[156:159], v1 offset:1728
	ds_read_b128 v[160:163], v1 offset:1744
	v_fma_f64 v[4:5], v[144:145], v[80:81], -v[4:5]
	v_fmac_f64_e32 v[116:117], v[146:147], v[80:81]
	v_add_f64 v[2:3], v[2:3], v[4:5]
	s_waitcnt vmcnt(50) lgkmcnt(3)
	v_mul_f64 v[4:5], v[150:151], v[90:91]
	v_add_f64 v[110:111], v[110:111], v[116:117]
	v_mul_f64 v[116:117], v[148:149], v[90:91]
	s_waitcnt vmcnt(48)
	v_fma_f64 v[4:5], v[148:149], v[92:93], -v[4:5]
	v_fmac_f64_e32 v[116:117], v[150:151], v[92:93]
	v_add_f64 v[2:3], v[2:3], v[4:5]
	s_waitcnt lgkmcnt(2)
	v_mul_f64 v[4:5], v[154:155], v[86:87]
	v_add_f64 v[110:111], v[110:111], v[116:117]
	v_mul_f64 v[116:117], v[152:153], v[86:87]
	ds_read_b128 v[164:167], v1 offset:1760
	ds_read_b128 v[168:171], v1 offset:1776
	v_fma_f64 v[4:5], v[152:153], v[88:89], -v[4:5]
	v_fmac_f64_e32 v[116:117], v[154:155], v[88:89]
	v_add_f64 v[2:3], v[2:3], v[4:5]
	s_waitcnt vmcnt(42) lgkmcnt(3)
	v_mul_f64 v[4:5], v[158:159], v[98:99]
	v_add_f64 v[110:111], v[110:111], v[116:117]
	v_mul_f64 v[116:117], v[156:157], v[98:99]
	s_waitcnt vmcnt(40)
	v_fma_f64 v[4:5], v[156:157], v[100:101], -v[4:5]
	v_fmac_f64_e32 v[116:117], v[158:159], v[100:101]
	v_add_f64 v[2:3], v[2:3], v[4:5]
	s_waitcnt lgkmcnt(2)
	v_mul_f64 v[4:5], v[162:163], v[94:95]
	v_add_f64 v[110:111], v[110:111], v[116:117]
	v_mul_f64 v[116:117], v[160:161], v[94:95]
	ds_read_b128 v[172:175], v1 offset:1792
	ds_read_b128 v[176:179], v1 offset:1808
	v_fma_f64 v[4:5], v[160:161], v[96:97], -v[4:5]
	v_fmac_f64_e32 v[116:117], v[162:163], v[96:97]
	v_add_f64 v[2:3], v[2:3], v[4:5]
	s_waitcnt vmcnt(34) lgkmcnt(3)
	v_mul_f64 v[4:5], v[166:167], v[106:107]
	v_add_f64 v[110:111], v[110:111], v[116:117]
	v_mul_f64 v[116:117], v[164:165], v[106:107]
	s_waitcnt vmcnt(32)
	v_fma_f64 v[4:5], v[164:165], v[108:109], -v[4:5]
	v_fmac_f64_e32 v[116:117], v[166:167], v[108:109]
	v_add_f64 v[2:3], v[2:3], v[4:5]
	s_waitcnt lgkmcnt(2)
	v_mul_f64 v[4:5], v[170:171], v[102:103]
	v_add_f64 v[110:111], v[110:111], v[116:117]
	v_mul_f64 v[116:117], v[168:169], v[102:103]
	ds_read_b128 v[180:183], v1 offset:1824
	ds_read_b128 v[184:187], v1 offset:1840
	v_fma_f64 v[4:5], v[168:169], v[104:105], -v[4:5]
	v_fmac_f64_e32 v[116:117], v[170:171], v[104:105]
	v_add_f64 v[2:3], v[2:3], v[4:5]
	s_waitcnt vmcnt(26) lgkmcnt(3)
	v_mul_f64 v[4:5], v[174:175], v[118:119]
	v_add_f64 v[110:111], v[110:111], v[116:117]
	v_mul_f64 v[116:117], v[172:173], v[118:119]
	s_waitcnt vmcnt(24)
	v_fma_f64 v[4:5], v[172:173], v[120:121], -v[4:5]
	v_fmac_f64_e32 v[116:117], v[174:175], v[120:121]
	v_add_f64 v[2:3], v[2:3], v[4:5]
	s_waitcnt lgkmcnt(2)
	v_mul_f64 v[4:5], v[178:179], v[112:113]
	v_add_f64 v[110:111], v[110:111], v[116:117]
	v_mul_f64 v[116:117], v[176:177], v[112:113]
	ds_read_b128 v[188:191], v1 offset:1856
	ds_read_b128 v[192:195], v1 offset:1872
	v_fma_f64 v[4:5], v[176:177], v[114:115], -v[4:5]
	v_fmac_f64_e32 v[116:117], v[178:179], v[114:115]
	v_add_f64 v[2:3], v[2:3], v[4:5]
	s_waitcnt vmcnt(18) lgkmcnt(3)
	v_mul_f64 v[4:5], v[182:183], v[206:207]
	v_add_f64 v[110:111], v[110:111], v[116:117]
	v_mul_f64 v[116:117], v[180:181], v[206:207]
	s_waitcnt vmcnt(16)
	v_fma_f64 v[4:5], v[180:181], v[208:209], -v[4:5]
	v_fmac_f64_e32 v[116:117], v[182:183], v[208:209]
	v_add_f64 v[2:3], v[2:3], v[4:5]
	s_waitcnt lgkmcnt(2)
	v_mul_f64 v[4:5], v[186:187], v[122:123]
	v_add_f64 v[110:111], v[110:111], v[116:117]
	v_mul_f64 v[116:117], v[184:185], v[122:123]
	ds_read_b128 v[196:199], v1 offset:1888
	ds_read_b128 v[200:203], v1 offset:1904
	v_fma_f64 v[4:5], v[184:185], v[204:205], -v[4:5]
	v_fmac_f64_e32 v[116:117], v[186:187], v[204:205]
	v_add_f64 v[2:3], v[2:3], v[4:5]
	s_waitcnt vmcnt(10) lgkmcnt(3)
	v_mul_f64 v[4:5], v[190:191], v[214:215]
	v_add_f64 v[110:111], v[110:111], v[116:117]
	v_mul_f64 v[116:117], v[188:189], v[214:215]
	s_waitcnt vmcnt(8)
	v_fma_f64 v[4:5], v[188:189], v[216:217], -v[4:5]
	v_fmac_f64_e32 v[116:117], v[190:191], v[216:217]
	v_add_f64 v[2:3], v[2:3], v[4:5]
	s_waitcnt lgkmcnt(2)
	v_mul_f64 v[4:5], v[194:195], v[210:211]
	v_add_f64 v[110:111], v[110:111], v[116:117]
	v_mul_f64 v[116:117], v[192:193], v[210:211]
	v_fma_f64 v[4:5], v[192:193], v[212:213], -v[4:5]
	v_fmac_f64_e32 v[116:117], v[194:195], v[212:213]
	v_add_f64 v[2:3], v[2:3], v[4:5]
	s_waitcnt vmcnt(2) lgkmcnt(1)
	v_mul_f64 v[4:5], v[198:199], v[222:223]
	v_add_f64 v[110:111], v[110:111], v[116:117]
	v_mul_f64 v[116:117], v[196:197], v[222:223]
	s_waitcnt vmcnt(0)
	v_fma_f64 v[4:5], v[196:197], v[224:225], -v[4:5]
	v_fmac_f64_e32 v[116:117], v[198:199], v[224:225]
	v_add_f64 v[2:3], v[2:3], v[4:5]
	s_waitcnt lgkmcnt(0)
	v_mul_f64 v[4:5], v[202:203], v[218:219]
	v_add_f64 v[110:111], v[110:111], v[116:117]
	v_mul_f64 v[116:117], v[200:201], v[218:219]
	v_fma_f64 v[4:5], v[200:201], v[220:221], -v[4:5]
	v_fmac_f64_e32 v[116:117], v[202:203], v[220:221]
	v_add_f64 v[2:3], v[2:3], v[4:5]
	v_add_f64 v[110:111], v[110:111], v[116:117]
	v_add_f64 v[2:3], v[46:47], -v[2:3]
	v_add_f64 v[4:5], v[44:45], -v[110:111]
	buffer_store_dword v3, off, s[0:3], 0 offset:532
	buffer_store_dword v2, off, s[0:3], 0 offset:528
	;; [unrolled: 1-line block ×4, first 2 shown]
	s_and_saveexec_b64 s[4:5], vcc
	s_cbranch_execz .LBB59_311
; %bb.310:
	v_accvgpr_read_b32 v0, a148
	buffer_load_dword v2, v0, s[0:3], 0 offen
	buffer_load_dword v3, v0, s[0:3], 0 offen offset:4
	buffer_load_dword v4, v0, s[0:3], 0 offen offset:8
	buffer_load_dword v5, v0, s[0:3], 0 offen offset:12
	v_accvgpr_read_b32 v0, a180
	buffer_store_dword v1, off, s[0:3], 0 offset:512
	buffer_store_dword v1, off, s[0:3], 0 offset:516
	;; [unrolled: 1-line block ×4, first 2 shown]
	s_waitcnt vmcnt(4)
	ds_write_b128 v0, v[2:5]
.LBB59_311:
	s_or_b64 exec, exec, s[4:5]
	s_waitcnt lgkmcnt(0)
	; wave barrier
	s_waitcnt lgkmcnt(0)
	buffer_load_dword v34, off, s[0:3], 0 offset:528
	buffer_load_dword v35, off, s[0:3], 0 offset:532
	;; [unrolled: 1-line block ×32, first 2 shown]
	ds_read_b128 v[30:33], v1 offset:1472
	ds_read_b128 v[26:29], v1 offset:1488
	;; [unrolled: 1-line block ×8, first 2 shown]
	buffer_load_dword v67, off, s[0:3], 0 offset:668
	buffer_load_dword v66, off, s[0:3], 0 offset:664
	;; [unrolled: 1-line block ×24, first 2 shown]
	v_cmp_lt_u32_e32 vcc, 30, v254
	s_waitcnt vmcnt(52) lgkmcnt(7)
	v_mul_f64 v[90:91], v[30:31], v[38:39]
	v_fmac_f64_e32 v[90:91], v[32:33], v[34:35]
	v_add_f64 v[90:91], v[90:91], 0
	v_mul_f64 v[32:33], v[32:33], v[38:39]
	s_waitcnt vmcnt(48) lgkmcnt(6)
	v_mul_f64 v[92:93], v[26:27], v[40:41]
	v_fmac_f64_e32 v[92:93], v[28:29], v[36:37]
	s_waitcnt vmcnt(46) lgkmcnt(5)
	v_mul_f64 v[94:95], v[22:23], v[42:43]
	v_add_f64 v[90:91], v[90:91], v[92:93]
	s_waitcnt vmcnt(44) lgkmcnt(4)
	v_mul_f64 v[96:97], v[18:19], v[48:49]
	v_fma_f64 v[30:31], v[30:31], v[34:35], -v[32:33]
	s_waitcnt vmcnt(42) lgkmcnt(1)
	v_mul_f64 v[122:123], v[2:3], v[50:51]
	v_mul_f64 v[28:29], v[28:29], v[40:41]
	s_waitcnt vmcnt(18) lgkmcnt(0)
	v_mul_f64 v[136:137], v[14:15], v[70:71]
	v_mul_f64 v[100:101], v[6:7], v[54:55]
	s_waitcnt vmcnt(16)
	v_fmac_f64_e32 v[136:137], v[16:17], v[72:73]
	v_mul_f64 v[98:99], v[10:11], v[56:57]
	v_add_f64 v[30:31], v[30:31], 0
	v_fmac_f64_e32 v[98:99], v[12:13], v[58:59]
	v_fma_f64 v[26:27], v[26:27], v[36:37], -v[28:29]
	v_fmac_f64_e32 v[94:95], v[24:25], v[64:65]
	v_add_f64 v[90:91], v[90:91], v[94:95]
	v_fmac_f64_e32 v[96:97], v[20:21], v[62:63]
	v_add_f64 v[90:91], v[90:91], v[96:97]
	;; [unrolled: 2-line block ×3, first 2 shown]
	v_add_f64 v[124:125], v[90:91], v[100:101]
	buffer_load_dword v91, off, s[0:3], 0 offset:764
	buffer_load_dword v90, off, s[0:3], 0 offset:760
	;; [unrolled: 1-line block ×56, first 2 shown]
	v_fmac_f64_e32 v[122:123], v[4:5], v[52:53]
	v_add_f64 v[134:135], v[124:125], v[122:123]
	ds_read_b128 v[122:125], v1 offset:1600
	buffer_load_dword v227, off, s[0:3], 0 offset:972
	buffer_load_dword v226, off, s[0:3], 0 offset:968
	buffer_load_dword v229, off, s[0:3], 0 offset:964
	buffer_load_dword v228, off, s[0:3], 0 offset:960
	v_add_f64 v[138:139], v[134:135], v[136:137]
	ds_read_b128 v[134:137], v1 offset:1616
	v_mul_f64 v[24:25], v[24:25], v[42:43]
	s_waitcnt lgkmcnt(1)
	v_mul_f64 v[140:141], v[122:123], v[66:67]
	v_fmac_f64_e32 v[140:141], v[124:125], v[68:69]
	v_add_f64 v[142:143], v[138:139], v[140:141]
	ds_read_b128 v[138:141], v1 offset:1632
	s_waitcnt vmcnt(62) lgkmcnt(1)
	v_mul_f64 v[144:145], v[134:135], v[78:79]
	v_fmac_f64_e32 v[144:145], v[136:137], v[80:81]
	v_add_f64 v[146:147], v[142:143], v[144:145]
	ds_read_b128 v[142:145], v1 offset:1648
	s_waitcnt lgkmcnt(1)
	v_mul_f64 v[148:149], v[138:139], v[74:75]
	v_fmac_f64_e32 v[148:149], v[140:141], v[76:77]
	v_add_f64 v[150:151], v[146:147], v[148:149]
	ds_read_b128 v[146:149], v1 offset:1664
	s_waitcnt lgkmcnt(1)
	v_mul_f64 v[152:153], v[142:143], v[86:87]
	s_waitcnt vmcnt(60)
	v_fmac_f64_e32 v[152:153], v[144:145], v[88:89]
	v_add_f64 v[154:155], v[150:151], v[152:153]
	ds_read_b128 v[150:153], v1 offset:1680
	s_waitcnt lgkmcnt(1)
	v_mul_f64 v[156:157], v[146:147], v[82:83]
	v_fmac_f64_e32 v[156:157], v[148:149], v[84:85]
	v_add_f64 v[158:159], v[154:155], v[156:157]
	ds_read_b128 v[154:157], v1 offset:1696
	v_add_f64 v[26:27], v[30:31], v[26:27]
	v_fma_f64 v[22:23], v[22:23], v[64:65], -v[24:25]
	s_waitcnt vmcnt(54) lgkmcnt(1)
	v_mul_f64 v[160:161], v[150:151], v[94:95]
	v_mul_f64 v[20:21], v[20:21], v[48:49]
	s_waitcnt vmcnt(52)
	v_fmac_f64_e32 v[160:161], v[152:153], v[96:97]
	v_add_f64 v[162:163], v[158:159], v[160:161]
	ds_read_b128 v[158:161], v1 offset:1712
	s_waitcnt lgkmcnt(1)
	v_mul_f64 v[164:165], v[154:155], v[90:91]
	v_fmac_f64_e32 v[164:165], v[156:157], v[92:93]
	v_add_f64 v[22:23], v[26:27], v[22:23]
	v_fma_f64 v[18:19], v[18:19], v[62:63], -v[20:21]
	v_mul_f64 v[12:13], v[12:13], v[56:57]
	v_add_f64 v[166:167], v[162:163], v[164:165]
	ds_read_b128 v[162:165], v1 offset:1728
	v_add_f64 v[18:19], v[22:23], v[18:19]
	v_fma_f64 v[10:11], v[10:11], v[58:59], -v[12:13]
	v_mul_f64 v[8:9], v[8:9], v[54:55]
	v_add_f64 v[10:11], v[18:19], v[10:11]
	v_fma_f64 v[6:7], v[6:7], v[60:61], -v[8:9]
	v_mul_f64 v[4:5], v[4:5], v[50:51]
	;; [unrolled: 3-line block ×3, first 2 shown]
	s_waitcnt vmcnt(46) lgkmcnt(1)
	v_mul_f64 v[168:169], v[158:159], v[102:103]
	v_add_f64 v[2:3], v[6:7], v[2:3]
	v_fma_f64 v[4:5], v[14:15], v[72:73], -v[4:5]
	s_waitcnt vmcnt(44)
	v_fmac_f64_e32 v[168:169], v[160:161], v[104:105]
	v_add_f64 v[2:3], v[2:3], v[4:5]
	v_mul_f64 v[4:5], v[124:125], v[66:67]
	v_add_f64 v[170:171], v[166:167], v[168:169]
	ds_read_b128 v[166:169], v1 offset:1744
	s_waitcnt lgkmcnt(1)
	v_mul_f64 v[172:173], v[162:163], v[98:99]
	v_fma_f64 v[4:5], v[122:123], v[68:69], -v[4:5]
	v_fmac_f64_e32 v[172:173], v[164:165], v[100:101]
	v_add_f64 v[2:3], v[2:3], v[4:5]
	v_mul_f64 v[4:5], v[136:137], v[78:79]
	v_add_f64 v[174:175], v[170:171], v[172:173]
	ds_read_b128 v[170:173], v1 offset:1760
	v_fma_f64 v[4:5], v[134:135], v[80:81], -v[4:5]
	v_add_f64 v[2:3], v[2:3], v[4:5]
	v_mul_f64 v[4:5], v[140:141], v[74:75]
	v_fma_f64 v[4:5], v[138:139], v[76:77], -v[4:5]
	s_waitcnt vmcnt(38) lgkmcnt(1)
	v_mul_f64 v[176:177], v[166:167], v[110:111]
	v_add_f64 v[2:3], v[2:3], v[4:5]
	v_mul_f64 v[4:5], v[144:145], v[86:87]
	s_waitcnt vmcnt(36)
	v_fmac_f64_e32 v[176:177], v[168:169], v[112:113]
	v_fma_f64 v[4:5], v[142:143], v[88:89], -v[4:5]
	v_add_f64 v[178:179], v[174:175], v[176:177]
	ds_read_b128 v[174:177], v1 offset:1776
	s_waitcnt lgkmcnt(1)
	v_mul_f64 v[180:181], v[170:171], v[106:107]
	v_add_f64 v[2:3], v[2:3], v[4:5]
	v_mul_f64 v[4:5], v[148:149], v[82:83]
	v_fmac_f64_e32 v[180:181], v[172:173], v[108:109]
	v_fma_f64 v[4:5], v[146:147], v[84:85], -v[4:5]
	v_add_f64 v[182:183], v[178:179], v[180:181]
	ds_read_b128 v[178:181], v1 offset:1792
	v_add_f64 v[2:3], v[2:3], v[4:5]
	v_mul_f64 v[4:5], v[152:153], v[94:95]
	v_fma_f64 v[4:5], v[150:151], v[96:97], -v[4:5]
	v_add_f64 v[2:3], v[2:3], v[4:5]
	v_mul_f64 v[4:5], v[156:157], v[90:91]
	s_waitcnt vmcnt(30) lgkmcnt(1)
	v_mul_f64 v[184:185], v[174:175], v[118:119]
	v_fma_f64 v[4:5], v[154:155], v[92:93], -v[4:5]
	s_waitcnt vmcnt(28)
	v_fmac_f64_e32 v[184:185], v[176:177], v[120:121]
	v_add_f64 v[2:3], v[2:3], v[4:5]
	v_mul_f64 v[4:5], v[160:161], v[102:103]
	v_add_f64 v[186:187], v[182:183], v[184:185]
	ds_read_b128 v[182:185], v1 offset:1808
	s_waitcnt lgkmcnt(1)
	v_mul_f64 v[188:189], v[178:179], v[114:115]
	v_fma_f64 v[4:5], v[158:159], v[104:105], -v[4:5]
	v_fmac_f64_e32 v[188:189], v[180:181], v[116:117]
	v_add_f64 v[2:3], v[2:3], v[4:5]
	v_mul_f64 v[4:5], v[164:165], v[98:99]
	v_add_f64 v[190:191], v[186:187], v[188:189]
	ds_read_b128 v[186:189], v1 offset:1824
	v_fma_f64 v[4:5], v[162:163], v[100:101], -v[4:5]
	v_add_f64 v[2:3], v[2:3], v[4:5]
	v_mul_f64 v[4:5], v[168:169], v[110:111]
	v_fma_f64 v[4:5], v[166:167], v[112:113], -v[4:5]
	s_waitcnt vmcnt(22) lgkmcnt(1)
	v_mul_f64 v[192:193], v[182:183], v[130:131]
	v_add_f64 v[2:3], v[2:3], v[4:5]
	v_mul_f64 v[4:5], v[172:173], v[106:107]
	s_waitcnt vmcnt(20)
	v_fmac_f64_e32 v[192:193], v[184:185], v[132:133]
	v_fma_f64 v[4:5], v[170:171], v[108:109], -v[4:5]
	v_add_f64 v[194:195], v[190:191], v[192:193]
	ds_read_b128 v[190:193], v1 offset:1840
	s_waitcnt lgkmcnt(1)
	v_mul_f64 v[196:197], v[186:187], v[126:127]
	v_add_f64 v[2:3], v[2:3], v[4:5]
	v_mul_f64 v[4:5], v[176:177], v[118:119]
	v_fmac_f64_e32 v[196:197], v[188:189], v[128:129]
	v_fma_f64 v[4:5], v[174:175], v[120:121], -v[4:5]
	v_add_f64 v[198:199], v[194:195], v[196:197]
	ds_read_b128 v[194:197], v1 offset:1856
	v_add_f64 v[2:3], v[2:3], v[4:5]
	v_mul_f64 v[4:5], v[180:181], v[114:115]
	v_fma_f64 v[4:5], v[178:179], v[116:117], -v[4:5]
	v_add_f64 v[2:3], v[2:3], v[4:5]
	v_mul_f64 v[4:5], v[184:185], v[130:131]
	s_waitcnt vmcnt(14) lgkmcnt(1)
	v_mul_f64 v[200:201], v[190:191], v[214:215]
	v_fma_f64 v[4:5], v[182:183], v[132:133], -v[4:5]
	s_waitcnt vmcnt(12)
	v_fmac_f64_e32 v[200:201], v[192:193], v[216:217]
	v_add_f64 v[2:3], v[2:3], v[4:5]
	v_mul_f64 v[4:5], v[188:189], v[126:127]
	v_add_f64 v[202:203], v[198:199], v[200:201]
	ds_read_b128 v[198:201], v1 offset:1872
	s_waitcnt lgkmcnt(1)
	v_mul_f64 v[204:205], v[194:195], v[210:211]
	v_fma_f64 v[4:5], v[186:187], v[128:129], -v[4:5]
	v_fmac_f64_e32 v[204:205], v[196:197], v[212:213]
	v_add_f64 v[2:3], v[2:3], v[4:5]
	v_mul_f64 v[4:5], v[192:193], v[214:215]
	v_add_f64 v[230:231], v[202:203], v[204:205]
	ds_read_b128 v[202:205], v1 offset:1888
	v_fma_f64 v[4:5], v[190:191], v[216:217], -v[4:5]
	v_add_f64 v[2:3], v[2:3], v[4:5]
	v_mul_f64 v[4:5], v[196:197], v[210:211]
	ds_read_b128 v[206:209], v1 offset:1904
	v_fma_f64 v[4:5], v[194:195], v[212:213], -v[4:5]
	v_add_f64 v[2:3], v[2:3], v[4:5]
	s_waitcnt vmcnt(6) lgkmcnt(2)
	v_mul_f64 v[4:5], v[200:201], v[222:223]
	v_mul_f64 v[232:233], v[198:199], v[222:223]
	s_waitcnt vmcnt(4)
	v_fma_f64 v[4:5], v[198:199], v[224:225], -v[4:5]
	v_fmac_f64_e32 v[232:233], v[200:201], v[224:225]
	v_add_f64 v[2:3], v[2:3], v[4:5]
	s_waitcnt lgkmcnt(1)
	v_mul_f64 v[4:5], v[204:205], v[218:219]
	v_add_f64 v[230:231], v[230:231], v[232:233]
	v_mul_f64 v[232:233], v[202:203], v[218:219]
	v_fma_f64 v[4:5], v[202:203], v[220:221], -v[4:5]
	v_fmac_f64_e32 v[232:233], v[204:205], v[220:221]
	v_add_f64 v[2:3], v[2:3], v[4:5]
	s_waitcnt vmcnt(2) lgkmcnt(0)
	v_mul_f64 v[4:5], v[208:209], v[226:227]
	v_add_f64 v[230:231], v[230:231], v[232:233]
	v_mul_f64 v[232:233], v[206:207], v[226:227]
	s_waitcnt vmcnt(0)
	v_fma_f64 v[4:5], v[206:207], v[228:229], -v[4:5]
	v_fmac_f64_e32 v[232:233], v[208:209], v[228:229]
	v_add_f64 v[2:3], v[2:3], v[4:5]
	v_add_f64 v[230:231], v[230:231], v[232:233]
	v_add_f64 v[2:3], v[46:47], -v[2:3]
	v_add_f64 v[4:5], v[44:45], -v[230:231]
	buffer_store_dword v3, off, s[0:3], 0 offset:516
	buffer_store_dword v2, off, s[0:3], 0 offset:512
	;; [unrolled: 1-line block ×4, first 2 shown]
	s_and_saveexec_b64 s[4:5], vcc
	s_cbranch_execz .LBB59_313
; %bb.312:
	v_accvgpr_read_b32 v0, a149
	buffer_load_dword v2, v0, s[0:3], 0 offen
	buffer_load_dword v3, v0, s[0:3], 0 offen offset:4
	buffer_load_dword v4, v0, s[0:3], 0 offen offset:8
	;; [unrolled: 1-line block ×3, first 2 shown]
	v_mov_b32_e32 v0, 0
	v_accvgpr_read_b32 v1, a180
	buffer_store_dword v0, off, s[0:3], 0 offset:496
	buffer_store_dword v0, off, s[0:3], 0 offset:500
	;; [unrolled: 1-line block ×4, first 2 shown]
	s_waitcnt vmcnt(4)
	ds_write_b128 v1, v[2:5]
.LBB59_313:
	s_or_b64 exec, exec, s[4:5]
	s_waitcnt lgkmcnt(0)
	; wave barrier
	s_waitcnt lgkmcnt(0)
	buffer_load_dword v38, off, s[0:3], 0 offset:512
	buffer_load_dword v39, off, s[0:3], 0 offset:516
	;; [unrolled: 1-line block ×48, first 2 shown]
	v_mov_b32_e32 v1, 0
	ds_read_b128 v[34:37], v1 offset:1456
	ds_read_b128 v[30:33], v1 offset:1472
	;; [unrolled: 1-line block ×9, first 2 shown]
	v_cmp_lt_u32_e32 vcc, 29, v254
	s_waitcnt vmcnt(44) lgkmcnt(8)
	v_mul_f64 v[86:87], v[34:35], v[42:43]
	v_fmac_f64_e32 v[86:87], v[36:37], v[38:39]
	v_add_f64 v[86:87], v[86:87], 0
	v_mul_f64 v[36:37], v[36:37], v[42:43]
	s_waitcnt vmcnt(40) lgkmcnt(7)
	v_mul_f64 v[88:89], v[30:31], v[44:45]
	v_fmac_f64_e32 v[88:89], v[32:33], v[40:41]
	s_waitcnt vmcnt(38) lgkmcnt(6)
	v_mul_f64 v[90:91], v[26:27], v[46:47]
	v_add_f64 v[86:87], v[86:87], v[88:89]
	s_waitcnt vmcnt(36) lgkmcnt(4)
	v_mul_f64 v[94:95], v[18:19], v[48:49]
	v_fma_f64 v[34:35], v[34:35], v[38:39], -v[36:37]
	s_waitcnt vmcnt(34)
	v_fmac_f64_e32 v[94:95], v[20:21], v[50:51]
	v_mul_f64 v[32:33], v[32:33], v[44:45]
	s_waitcnt vmcnt(32)
	v_mul_f64 v[92:93], v[22:23], v[52:53]
	v_add_f64 v[34:35], v[34:35], 0
	s_waitcnt vmcnt(30) lgkmcnt(2)
	v_mul_f64 v[98:99], v[10:11], v[54:55]
	v_fma_f64 v[30:31], v[30:31], v[40:41], -v[32:33]
	s_waitcnt vmcnt(28)
	v_fmac_f64_e32 v[98:99], v[12:13], v[56:57]
	v_add_f64 v[30:31], v[34:35], v[30:31]
	s_waitcnt vmcnt(26)
	v_mul_f64 v[96:97], v[14:15], v[58:59]
	v_mul_f64 v[20:21], v[20:21], v[48:49]
	v_fma_f64 v[18:19], v[18:19], v[50:51], -v[20:21]
	v_mul_f64 v[12:13], v[12:13], v[54:55]
	s_waitcnt vmcnt(22) lgkmcnt(1)
	v_mul_f64 v[110:111], v[6:7], v[68:69]
	v_fma_f64 v[10:11], v[10:11], v[56:57], -v[12:13]
	s_waitcnt vmcnt(20)
	v_fmac_f64_e32 v[90:91], v[28:29], v[76:77]
	v_add_f64 v[86:87], v[86:87], v[90:91]
	s_waitcnt vmcnt(18)
	v_fmac_f64_e32 v[92:93], v[24:25], v[74:75]
	v_add_f64 v[86:87], v[86:87], v[92:93]
	;; [unrolled: 3-line block ×3, first 2 shown]
	v_add_f64 v[86:87], v[86:87], v[96:97]
	v_add_f64 v[112:113], v[86:87], v[98:99]
	buffer_load_dword v87, off, s[0:3], 0 offset:716
	buffer_load_dword v86, off, s[0:3], 0 offset:712
	;; [unrolled: 1-line block ×72, first 2 shown]
	s_waitcnt vmcnt(62)
	v_fmac_f64_e32 v[110:111], v[8:9], v[70:71]
	v_add_f64 v[142:143], v[112:113], v[110:111]
	ds_read_b128 v[110:113], v1 offset:1600
	s_waitcnt lgkmcnt(1)
	v_mul_f64 v[144:145], v[2:3], v[64:65]
	v_fmac_f64_e32 v[144:145], v[4:5], v[66:67]
	v_add_f64 v[146:147], v[142:143], v[144:145]
	ds_read_b128 v[142:145], v1 offset:1616
	s_waitcnt lgkmcnt(1)
	v_mul_f64 v[148:149], v[110:111], v[82:83]
	;; [unrolled: 5-line block ×5, first 2 shown]
	v_fmac_f64_e32 v[160:161], v[152:153], v[88:89]
	v_add_f64 v[162:163], v[158:159], v[160:161]
	ds_read_b128 v[158:161], v1 offset:1680
	s_waitcnt vmcnt(58) lgkmcnt(1)
	v_mul_f64 v[164:165], v[154:155], v[98:99]
	s_waitcnt vmcnt(56)
	v_fmac_f64_e32 v[164:165], v[156:157], v[100:101]
	v_add_f64 v[166:167], v[162:163], v[164:165]
	ds_read_b128 v[162:165], v1 offset:1696
	s_waitcnt lgkmcnt(1)
	v_mul_f64 v[168:169], v[158:159], v[94:95]
	v_fmac_f64_e32 v[168:169], v[160:161], v[96:97]
	v_mul_f64 v[28:29], v[28:29], v[46:47]
	v_add_f64 v[170:171], v[166:167], v[168:169]
	ds_read_b128 v[166:169], v1 offset:1712
	s_waitcnt vmcnt(50) lgkmcnt(1)
	v_mul_f64 v[172:173], v[162:163], v[106:107]
	v_fma_f64 v[26:27], v[26:27], v[76:77], -v[28:29]
	v_mul_f64 v[24:25], v[24:25], v[52:53]
	s_waitcnt vmcnt(48)
	v_fmac_f64_e32 v[172:173], v[164:165], v[108:109]
	v_add_f64 v[26:27], v[30:31], v[26:27]
	v_fma_f64 v[22:23], v[22:23], v[74:75], -v[24:25]
	v_add_f64 v[174:175], v[170:171], v[172:173]
	ds_read_b128 v[170:173], v1 offset:1728
	v_add_f64 v[22:23], v[26:27], v[22:23]
	v_mul_f64 v[16:17], v[16:17], v[58:59]
	v_add_f64 v[18:19], v[22:23], v[18:19]
	v_fma_f64 v[14:15], v[14:15], v[72:73], -v[16:17]
	v_add_f64 v[14:15], v[18:19], v[14:15]
	v_mul_f64 v[8:9], v[8:9], v[68:69]
	s_waitcnt lgkmcnt(1)
	v_mul_f64 v[176:177], v[166:167], v[102:103]
	v_add_f64 v[10:11], v[14:15], v[10:11]
	v_fma_f64 v[6:7], v[6:7], v[70:71], -v[8:9]
	v_mul_f64 v[4:5], v[4:5], v[64:65]
	v_fmac_f64_e32 v[176:177], v[168:169], v[104:105]
	v_add_f64 v[6:7], v[10:11], v[6:7]
	v_fma_f64 v[2:3], v[2:3], v[66:67], -v[4:5]
	v_mul_f64 v[4:5], v[112:113], v[82:83]
	v_add_f64 v[178:179], v[174:175], v[176:177]
	ds_read_b128 v[174:177], v1 offset:1744
	s_waitcnt vmcnt(42) lgkmcnt(1)
	v_mul_f64 v[180:181], v[170:171], v[118:119]
	v_add_f64 v[2:3], v[6:7], v[2:3]
	v_fma_f64 v[4:5], v[110:111], v[84:85], -v[4:5]
	s_waitcnt vmcnt(40)
	v_fmac_f64_e32 v[180:181], v[172:173], v[120:121]
	v_add_f64 v[2:3], v[2:3], v[4:5]
	v_mul_f64 v[4:5], v[144:145], v[78:79]
	v_add_f64 v[182:183], v[178:179], v[180:181]
	ds_read_b128 v[178:181], v1 offset:1760
	v_fma_f64 v[4:5], v[142:143], v[80:81], -v[4:5]
	v_add_f64 v[2:3], v[2:3], v[4:5]
	v_mul_f64 v[4:5], v[148:149], v[90:91]
	v_fma_f64 v[4:5], v[146:147], v[92:93], -v[4:5]
	s_waitcnt lgkmcnt(1)
	v_mul_f64 v[184:185], v[174:175], v[114:115]
	v_add_f64 v[2:3], v[2:3], v[4:5]
	v_mul_f64 v[4:5], v[152:153], v[86:87]
	v_fmac_f64_e32 v[184:185], v[176:177], v[116:117]
	v_fma_f64 v[4:5], v[150:151], v[88:89], -v[4:5]
	v_add_f64 v[186:187], v[182:183], v[184:185]
	ds_read_b128 v[182:185], v1 offset:1776
	s_waitcnt vmcnt(34) lgkmcnt(1)
	v_mul_f64 v[188:189], v[178:179], v[126:127]
	v_add_f64 v[2:3], v[2:3], v[4:5]
	v_mul_f64 v[4:5], v[156:157], v[98:99]
	s_waitcnt vmcnt(32)
	v_fmac_f64_e32 v[188:189], v[180:181], v[128:129]
	v_fma_f64 v[4:5], v[154:155], v[100:101], -v[4:5]
	v_add_f64 v[190:191], v[186:187], v[188:189]
	ds_read_b128 v[186:189], v1 offset:1792
	v_add_f64 v[2:3], v[2:3], v[4:5]
	v_mul_f64 v[4:5], v[160:161], v[94:95]
	v_fma_f64 v[4:5], v[158:159], v[96:97], -v[4:5]
	v_add_f64 v[2:3], v[2:3], v[4:5]
	v_mul_f64 v[4:5], v[164:165], v[106:107]
	s_waitcnt lgkmcnt(1)
	v_mul_f64 v[192:193], v[182:183], v[122:123]
	v_fma_f64 v[4:5], v[162:163], v[108:109], -v[4:5]
	v_fmac_f64_e32 v[192:193], v[184:185], v[124:125]
	v_add_f64 v[2:3], v[2:3], v[4:5]
	v_mul_f64 v[4:5], v[168:169], v[102:103]
	v_add_f64 v[194:195], v[190:191], v[192:193]
	ds_read_b128 v[190:193], v1 offset:1808
	s_waitcnt vmcnt(26) lgkmcnt(1)
	v_mul_f64 v[196:197], v[186:187], v[134:135]
	v_fma_f64 v[4:5], v[166:167], v[104:105], -v[4:5]
	s_waitcnt vmcnt(24)
	v_fmac_f64_e32 v[196:197], v[188:189], v[136:137]
	v_add_f64 v[2:3], v[2:3], v[4:5]
	v_mul_f64 v[4:5], v[172:173], v[118:119]
	v_add_f64 v[198:199], v[194:195], v[196:197]
	ds_read_b128 v[194:197], v1 offset:1824
	v_fma_f64 v[4:5], v[170:171], v[120:121], -v[4:5]
	v_add_f64 v[2:3], v[2:3], v[4:5]
	v_mul_f64 v[4:5], v[176:177], v[114:115]
	v_fma_f64 v[4:5], v[174:175], v[116:117], -v[4:5]
	s_waitcnt lgkmcnt(1)
	v_mul_f64 v[200:201], v[190:191], v[130:131]
	v_add_f64 v[2:3], v[2:3], v[4:5]
	v_mul_f64 v[4:5], v[180:181], v[126:127]
	v_fmac_f64_e32 v[200:201], v[192:193], v[132:133]
	v_fma_f64 v[4:5], v[178:179], v[128:129], -v[4:5]
	v_add_f64 v[202:203], v[198:199], v[200:201]
	ds_read_b128 v[198:201], v1 offset:1840
	s_waitcnt vmcnt(18) lgkmcnt(1)
	v_mul_f64 v[204:205], v[194:195], v[218:219]
	v_add_f64 v[2:3], v[2:3], v[4:5]
	v_mul_f64 v[4:5], v[184:185], v[122:123]
	s_waitcnt vmcnt(16)
	v_fmac_f64_e32 v[204:205], v[196:197], v[220:221]
	v_fma_f64 v[4:5], v[182:183], v[124:125], -v[4:5]
	v_add_f64 v[206:207], v[202:203], v[204:205]
	ds_read_b128 v[202:205], v1 offset:1856
	v_add_f64 v[2:3], v[2:3], v[4:5]
	v_mul_f64 v[4:5], v[188:189], v[134:135]
	v_fma_f64 v[4:5], v[186:187], v[136:137], -v[4:5]
	v_add_f64 v[2:3], v[2:3], v[4:5]
	v_mul_f64 v[4:5], v[192:193], v[130:131]
	s_waitcnt lgkmcnt(1)
	v_mul_f64 v[208:209], v[198:199], v[138:139]
	v_fma_f64 v[4:5], v[190:191], v[132:133], -v[4:5]
	v_fmac_f64_e32 v[208:209], v[200:201], v[140:141]
	v_add_f64 v[2:3], v[2:3], v[4:5]
	v_mul_f64 v[4:5], v[196:197], v[218:219]
	v_add_f64 v[210:211], v[206:207], v[208:209]
	ds_read_b128 v[206:209], v1 offset:1872
	s_waitcnt vmcnt(10) lgkmcnt(1)
	v_mul_f64 v[212:213], v[202:203], v[226:227]
	v_fma_f64 v[4:5], v[194:195], v[220:221], -v[4:5]
	s_waitcnt vmcnt(8)
	v_fmac_f64_e32 v[212:213], v[204:205], v[228:229]
	v_add_f64 v[2:3], v[2:3], v[4:5]
	v_mul_f64 v[4:5], v[200:201], v[138:139]
	v_add_f64 v[238:239], v[210:211], v[212:213]
	ds_read_b128 v[210:213], v1 offset:1888
	ds_read_b128 v[214:217], v1 offset:1904
	v_fma_f64 v[4:5], v[198:199], v[140:141], -v[4:5]
	v_add_f64 v[2:3], v[2:3], v[4:5]
	v_mul_f64 v[4:5], v[204:205], v[226:227]
	v_fma_f64 v[4:5], v[202:203], v[228:229], -v[4:5]
	v_add_f64 v[2:3], v[2:3], v[4:5]
	s_waitcnt lgkmcnt(2)
	v_mul_f64 v[4:5], v[208:209], v[222:223]
	v_mul_f64 v[240:241], v[206:207], v[222:223]
	v_fma_f64 v[4:5], v[206:207], v[224:225], -v[4:5]
	v_fmac_f64_e32 v[240:241], v[208:209], v[224:225]
	v_add_f64 v[2:3], v[2:3], v[4:5]
	s_waitcnt vmcnt(2) lgkmcnt(1)
	v_mul_f64 v[4:5], v[212:213], v[234:235]
	v_add_f64 v[238:239], v[238:239], v[240:241]
	v_mul_f64 v[240:241], v[210:211], v[234:235]
	s_waitcnt vmcnt(0)
	v_fma_f64 v[4:5], v[210:211], v[236:237], -v[4:5]
	v_fmac_f64_e32 v[240:241], v[212:213], v[236:237]
	v_add_f64 v[2:3], v[2:3], v[4:5]
	s_waitcnt lgkmcnt(0)
	v_mul_f64 v[4:5], v[216:217], v[230:231]
	v_add_f64 v[238:239], v[238:239], v[240:241]
	v_mul_f64 v[240:241], v[214:215], v[230:231]
	v_fma_f64 v[4:5], v[214:215], v[232:233], -v[4:5]
	v_fmac_f64_e32 v[240:241], v[216:217], v[232:233]
	v_add_f64 v[2:3], v[2:3], v[4:5]
	v_add_f64 v[238:239], v[238:239], v[240:241]
	v_add_f64 v[2:3], v[62:63], -v[2:3]
	v_add_f64 v[4:5], v[60:61], -v[238:239]
	buffer_store_dword v3, off, s[0:3], 0 offset:500
	buffer_store_dword v2, off, s[0:3], 0 offset:496
	;; [unrolled: 1-line block ×4, first 2 shown]
	s_and_saveexec_b64 s[4:5], vcc
	s_cbranch_execz .LBB59_315
; %bb.314:
	v_accvgpr_read_b32 v0, a150
	buffer_load_dword v2, v0, s[0:3], 0 offen
	buffer_load_dword v3, v0, s[0:3], 0 offen offset:4
	buffer_load_dword v4, v0, s[0:3], 0 offen offset:8
	buffer_load_dword v5, v0, s[0:3], 0 offen offset:12
	v_accvgpr_read_b32 v0, a180
	buffer_store_dword v1, off, s[0:3], 0 offset:480
	buffer_store_dword v1, off, s[0:3], 0 offset:484
	;; [unrolled: 1-line block ×4, first 2 shown]
	s_waitcnt vmcnt(4)
	ds_write_b128 v0, v[2:5]
.LBB59_315:
	s_or_b64 exec, exec, s[4:5]
	s_waitcnt lgkmcnt(0)
	; wave barrier
	s_waitcnt lgkmcnt(0)
	buffer_load_dword v48, off, s[0:3], 0 offset:496
	buffer_load_dword v49, off, s[0:3], 0 offset:500
	;; [unrolled: 1-line block ×40, first 2 shown]
	ds_read_b128 v[38:41], v1 offset:1440
	ds_read_b128 v[34:37], v1 offset:1456
	;; [unrolled: 1-line block ×10, first 2 shown]
	buffer_load_dword v83, off, s[0:3], 0 offset:668
	buffer_load_dword v82, off, s[0:3], 0 offset:664
	;; [unrolled: 1-line block ×8, first 2 shown]
	v_cmp_lt_u32_e32 vcc, 28, v254
	s_waitcnt vmcnt(44) lgkmcnt(9)
	v_mul_f64 v[90:91], v[38:39], v[50:51]
	v_fmac_f64_e32 v[90:91], v[40:41], v[48:49]
	v_add_f64 v[90:91], v[90:91], 0
	v_mul_f64 v[40:41], v[40:41], v[50:51]
	s_waitcnt vmcnt(40) lgkmcnt(8)
	v_mul_f64 v[92:93], v[34:35], v[44:45]
	v_fmac_f64_e32 v[92:93], v[36:37], v[42:43]
	s_waitcnt vmcnt(38) lgkmcnt(7)
	v_mul_f64 v[94:95], v[30:31], v[46:47]
	v_add_f64 v[90:91], v[90:91], v[92:93]
	s_waitcnt vmcnt(36) lgkmcnt(5)
	v_mul_f64 v[98:99], v[22:23], v[52:53]
	v_mul_f64 v[36:37], v[36:37], v[44:45]
	s_waitcnt vmcnt(34)
	v_fmac_f64_e32 v[98:99], v[24:25], v[54:55]
	v_fma_f64 v[34:35], v[34:35], v[42:43], -v[36:37]
	s_waitcnt vmcnt(32)
	v_mul_f64 v[96:97], v[26:27], v[56:57]
	v_mul_f64 v[24:25], v[24:25], v[52:53]
	s_waitcnt vmcnt(30) lgkmcnt(4)
	v_mul_f64 v[100:101], v[18:19], v[62:63]
	v_fma_f64 v[22:23], v[22:23], v[54:55], -v[24:25]
	s_waitcnt vmcnt(28) lgkmcnt(1)
	v_mul_f64 v[122:123], v[2:3], v[64:65]
	s_waitcnt vmcnt(25)
	v_mul_f64 v[104:105], v[6:7], v[68:69]
	s_waitcnt vmcnt(23)
	;; [unrolled: 2-line block ×3, first 2 shown]
	v_fmac_f64_e32 v[102:103], v[12:13], v[72:73]
	v_mul_f64 v[12:13], v[12:13], v[70:71]
	s_waitcnt vmcnt(19)
	v_fmac_f64_e32 v[94:95], v[32:33], v[80:81]
	v_add_f64 v[90:91], v[90:91], v[94:95]
	s_waitcnt vmcnt(17)
	v_fmac_f64_e32 v[96:97], v[28:29], v[78:79]
	v_add_f64 v[90:91], v[90:91], v[96:97]
	;; [unrolled: 3-line block ×3, first 2 shown]
	v_add_f64 v[90:91], v[90:91], v[100:101]
	s_waitcnt vmcnt(13)
	v_fmac_f64_e32 v[104:105], v[8:9], v[74:75]
	v_add_f64 v[90:91], v[90:91], v[102:103]
	v_add_f64 v[124:125], v[90:91], v[104:105]
	buffer_load_dword v91, off, s[0:3], 0 offset:700
	buffer_load_dword v90, off, s[0:3], 0 offset:696
	;; [unrolled: 1-line block ×72, first 2 shown]
	s_waitcnt vmcnt(62)
	v_fmac_f64_e32 v[122:123], v[4:5], v[66:67]
	v_add_f64 v[150:151], v[124:125], v[122:123]
	ds_read_b128 v[122:125], v1 offset:1600
	s_waitcnt lgkmcnt(1)
	v_mul_f64 v[152:153], v[14:15], v[86:87]
	v_fmac_f64_e32 v[152:153], v[16:17], v[88:89]
	buffer_load_dword v235, off, s[0:3], 0 offset:972
	buffer_load_dword v234, off, s[0:3], 0 offset:968
	;; [unrolled: 1-line block ×4, first 2 shown]
	v_add_f64 v[154:155], v[150:151], v[152:153]
	s_waitcnt lgkmcnt(0)
	v_mul_f64 v[156:157], v[122:123], v[82:83]
	ds_read_b128 v[150:153], v1 offset:1616
	v_fmac_f64_e32 v[156:157], v[124:125], v[84:85]
	v_add_f64 v[158:159], v[154:155], v[156:157]
	ds_read_b128 v[154:157], v1 offset:1632
	v_mul_f64 v[32:33], v[32:33], v[46:47]
	s_waitcnt lgkmcnt(1)
	v_mul_f64 v[160:161], v[150:151], v[94:95]
	v_fma_f64 v[30:31], v[30:31], v[80:81], -v[32:33]
	v_fmac_f64_e32 v[160:161], v[152:153], v[96:97]
	s_waitcnt lgkmcnt(0)
	v_mul_f64 v[164:165], v[154:155], v[90:91]
	v_add_f64 v[162:163], v[158:159], v[160:161]
	ds_read_b128 v[158:161], v1 offset:1648
	v_fmac_f64_e32 v[164:165], v[156:157], v[92:93]
	v_add_f64 v[166:167], v[162:163], v[164:165]
	ds_read_b128 v[162:165], v1 offset:1664
	v_mul_f64 v[28:29], v[28:29], v[56:57]
	s_waitcnt vmcnt(62) lgkmcnt(1)
	v_mul_f64 v[168:169], v[158:159], v[102:103]
	s_waitcnt vmcnt(60)
	v_fmac_f64_e32 v[168:169], v[160:161], v[104:105]
	v_add_f64 v[170:171], v[166:167], v[168:169]
	s_waitcnt lgkmcnt(0)
	v_mul_f64 v[172:173], v[162:163], v[98:99]
	ds_read_b128 v[166:169], v1 offset:1680
	v_fmac_f64_e32 v[172:173], v[164:165], v[100:101]
	v_add_f64 v[174:175], v[170:171], v[172:173]
	ds_read_b128 v[170:173], v1 offset:1696
	v_fma_f64 v[26:27], v[26:27], v[78:79], -v[28:29]
	s_waitcnt vmcnt(54) lgkmcnt(1)
	v_mul_f64 v[176:177], v[166:167], v[110:111]
	s_waitcnt vmcnt(52)
	v_fmac_f64_e32 v[176:177], v[168:169], v[112:113]
	v_add_f64 v[178:179], v[174:175], v[176:177]
	s_waitcnt lgkmcnt(0)
	v_mul_f64 v[180:181], v[170:171], v[106:107]
	ds_read_b128 v[174:177], v1 offset:1712
	v_fmac_f64_e32 v[180:181], v[172:173], v[108:109]
	v_add_f64 v[182:183], v[178:179], v[180:181]
	ds_read_b128 v[178:181], v1 offset:1728
	v_mul_f64 v[20:21], v[20:21], v[62:63]
	s_waitcnt vmcnt(46) lgkmcnt(1)
	v_mul_f64 v[184:185], v[174:175], v[118:119]
	s_waitcnt vmcnt(44)
	v_fmac_f64_e32 v[184:185], v[176:177], v[120:121]
	v_add_f64 v[186:187], v[182:183], v[184:185]
	s_waitcnt lgkmcnt(0)
	v_mul_f64 v[188:189], v[178:179], v[114:115]
	ds_read_b128 v[182:185], v1 offset:1744
	v_fmac_f64_e32 v[188:189], v[180:181], v[116:117]
	v_add_f64 v[190:191], v[186:187], v[188:189]
	ds_read_b128 v[186:189], v1 offset:1760
	v_fma_f64 v[18:19], v[18:19], v[76:77], -v[20:21]
	s_waitcnt vmcnt(38) lgkmcnt(1)
	v_mul_f64 v[192:193], v[182:183], v[130:131]
	s_waitcnt vmcnt(36)
	v_fmac_f64_e32 v[192:193], v[184:185], v[132:133]
	v_add_f64 v[194:195], v[190:191], v[192:193]
	s_waitcnt lgkmcnt(0)
	v_mul_f64 v[196:197], v[186:187], v[126:127]
	ds_read_b128 v[190:193], v1 offset:1776
	v_fmac_f64_e32 v[196:197], v[188:189], v[128:129]
	v_add_f64 v[198:199], v[194:195], v[196:197]
	ds_read_b128 v[194:197], v1 offset:1792
	v_fma_f64 v[10:11], v[10:11], v[72:73], -v[12:13]
	s_waitcnt vmcnt(30) lgkmcnt(1)
	v_mul_f64 v[200:201], v[190:191], v[138:139]
	s_waitcnt vmcnt(28)
	v_fmac_f64_e32 v[200:201], v[192:193], v[140:141]
	v_add_f64 v[202:203], v[198:199], v[200:201]
	s_waitcnt lgkmcnt(0)
	v_mul_f64 v[204:205], v[194:195], v[134:135]
	ds_read_b128 v[198:201], v1 offset:1808
	v_fmac_f64_e32 v[204:205], v[196:197], v[136:137]
	v_add_f64 v[206:207], v[202:203], v[204:205]
	ds_read_b128 v[202:205], v1 offset:1824
	v_mul_f64 v[8:9], v[8:9], v[68:69]
	s_waitcnt vmcnt(22) lgkmcnt(1)
	v_mul_f64 v[208:209], v[198:199], v[146:147]
	s_waitcnt vmcnt(20)
	v_fmac_f64_e32 v[208:209], v[200:201], v[148:149]
	v_add_f64 v[210:211], v[206:207], v[208:209]
	s_waitcnt lgkmcnt(0)
	v_mul_f64 v[212:213], v[202:203], v[142:143]
	ds_read_b128 v[206:209], v1 offset:1840
	v_fmac_f64_e32 v[212:213], v[204:205], v[144:145]
	v_add_f64 v[214:215], v[210:211], v[212:213]
	ds_read_b128 v[210:213], v1 offset:1856
	v_fma_f64 v[6:7], v[6:7], v[74:75], -v[8:9]
	s_waitcnt vmcnt(14) lgkmcnt(1)
	v_mul_f64 v[216:217], v[206:207], v[222:223]
	s_waitcnt vmcnt(12)
	v_fmac_f64_e32 v[216:217], v[208:209], v[224:225]
	v_add_f64 v[238:239], v[214:215], v[216:217]
	s_waitcnt lgkmcnt(0)
	v_mul_f64 v[240:241], v[210:211], v[218:219]
	v_fmac_f64_e32 v[240:241], v[212:213], v[220:221]
	v_add_f64 v[238:239], v[238:239], v[240:241]
	v_fma_f64 v[240:241], v[38:39], v[48:49], -v[40:41]
	v_add_f64 v[240:241], v[240:241], 0
	v_add_f64 v[34:35], v[240:241], v[34:35]
	;; [unrolled: 1-line block ×7, first 2 shown]
	v_mul_f64 v[4:5], v[4:5], v[64:65]
	v_add_f64 v[6:7], v[10:11], v[6:7]
	v_fma_f64 v[2:3], v[2:3], v[66:67], -v[4:5]
	v_mul_f64 v[4:5], v[16:17], v[86:87]
	v_add_f64 v[2:3], v[6:7], v[2:3]
	v_fma_f64 v[4:5], v[14:15], v[88:89], -v[4:5]
	v_add_f64 v[2:3], v[2:3], v[4:5]
	v_mul_f64 v[4:5], v[124:125], v[82:83]
	v_fma_f64 v[4:5], v[122:123], v[84:85], -v[4:5]
	v_add_f64 v[2:3], v[2:3], v[4:5]
	v_mul_f64 v[4:5], v[152:153], v[94:95]
	v_fma_f64 v[4:5], v[150:151], v[96:97], -v[4:5]
	v_add_f64 v[2:3], v[2:3], v[4:5]
	v_mul_f64 v[4:5], v[156:157], v[90:91]
	v_fma_f64 v[4:5], v[154:155], v[92:93], -v[4:5]
	v_add_f64 v[2:3], v[2:3], v[4:5]
	v_mul_f64 v[4:5], v[160:161], v[102:103]
	v_fma_f64 v[4:5], v[158:159], v[104:105], -v[4:5]
	v_add_f64 v[2:3], v[2:3], v[4:5]
	v_mul_f64 v[4:5], v[164:165], v[98:99]
	v_fma_f64 v[4:5], v[162:163], v[100:101], -v[4:5]
	v_add_f64 v[2:3], v[2:3], v[4:5]
	v_mul_f64 v[4:5], v[168:169], v[110:111]
	v_fma_f64 v[4:5], v[166:167], v[112:113], -v[4:5]
	v_add_f64 v[2:3], v[2:3], v[4:5]
	v_mul_f64 v[4:5], v[172:173], v[106:107]
	v_fma_f64 v[4:5], v[170:171], v[108:109], -v[4:5]
	v_add_f64 v[2:3], v[2:3], v[4:5]
	v_mul_f64 v[4:5], v[176:177], v[118:119]
	v_fma_f64 v[4:5], v[174:175], v[120:121], -v[4:5]
	v_add_f64 v[2:3], v[2:3], v[4:5]
	v_mul_f64 v[4:5], v[180:181], v[114:115]
	v_fma_f64 v[4:5], v[178:179], v[116:117], -v[4:5]
	v_add_f64 v[2:3], v[2:3], v[4:5]
	v_mul_f64 v[4:5], v[184:185], v[130:131]
	v_fma_f64 v[4:5], v[182:183], v[132:133], -v[4:5]
	v_add_f64 v[2:3], v[2:3], v[4:5]
	v_mul_f64 v[4:5], v[188:189], v[126:127]
	v_fma_f64 v[4:5], v[186:187], v[128:129], -v[4:5]
	v_add_f64 v[2:3], v[2:3], v[4:5]
	v_mul_f64 v[4:5], v[192:193], v[138:139]
	v_fma_f64 v[4:5], v[190:191], v[140:141], -v[4:5]
	v_add_f64 v[2:3], v[2:3], v[4:5]
	v_mul_f64 v[4:5], v[196:197], v[134:135]
	v_fma_f64 v[4:5], v[194:195], v[136:137], -v[4:5]
	v_add_f64 v[2:3], v[2:3], v[4:5]
	v_mul_f64 v[4:5], v[200:201], v[146:147]
	v_fma_f64 v[4:5], v[198:199], v[148:149], -v[4:5]
	v_add_f64 v[2:3], v[2:3], v[4:5]
	v_mul_f64 v[4:5], v[204:205], v[142:143]
	ds_read_b128 v[214:217], v1 offset:1872
	ds_read_b128 v[38:41], v1 offset:1888
	v_fma_f64 v[4:5], v[202:203], v[144:145], -v[4:5]
	v_add_f64 v[2:3], v[2:3], v[4:5]
	v_mul_f64 v[4:5], v[208:209], v[222:223]
	v_fma_f64 v[4:5], v[206:207], v[224:225], -v[4:5]
	v_add_f64 v[2:3], v[2:3], v[4:5]
	v_mul_f64 v[4:5], v[212:213], v[218:219]
	ds_read_b128 v[48:51], v1 offset:1904
	v_fma_f64 v[4:5], v[210:211], v[220:221], -v[4:5]
	v_add_f64 v[2:3], v[2:3], v[4:5]
	s_waitcnt vmcnt(6) lgkmcnt(2)
	v_mul_f64 v[4:5], v[216:217], v[230:231]
	v_mul_f64 v[242:243], v[214:215], v[230:231]
	s_waitcnt vmcnt(4)
	v_fma_f64 v[4:5], v[214:215], v[232:233], -v[4:5]
	v_fmac_f64_e32 v[242:243], v[216:217], v[232:233]
	v_add_f64 v[2:3], v[2:3], v[4:5]
	s_waitcnt lgkmcnt(1)
	v_mul_f64 v[4:5], v[40:41], v[226:227]
	v_add_f64 v[238:239], v[238:239], v[242:243]
	v_mul_f64 v[242:243], v[38:39], v[226:227]
	v_fma_f64 v[4:5], v[38:39], v[228:229], -v[4:5]
	v_fmac_f64_e32 v[242:243], v[40:41], v[228:229]
	v_add_f64 v[2:3], v[2:3], v[4:5]
	s_waitcnt vmcnt(2) lgkmcnt(0)
	v_mul_f64 v[4:5], v[50:51], v[234:235]
	v_add_f64 v[238:239], v[238:239], v[242:243]
	v_mul_f64 v[242:243], v[48:49], v[234:235]
	s_waitcnt vmcnt(0)
	v_fma_f64 v[4:5], v[48:49], v[236:237], -v[4:5]
	v_fmac_f64_e32 v[242:243], v[50:51], v[236:237]
	v_add_f64 v[2:3], v[2:3], v[4:5]
	v_add_f64 v[238:239], v[238:239], v[242:243]
	v_add_f64 v[2:3], v[60:61], -v[2:3]
	v_add_f64 v[4:5], v[58:59], -v[238:239]
	buffer_store_dword v3, off, s[0:3], 0 offset:484
	buffer_store_dword v2, off, s[0:3], 0 offset:480
	;; [unrolled: 1-line block ×4, first 2 shown]
	s_and_saveexec_b64 s[4:5], vcc
	s_cbranch_execz .LBB59_317
; %bb.316:
	v_accvgpr_read_b32 v0, a151
	buffer_load_dword v2, v0, s[0:3], 0 offen
	buffer_load_dword v3, v0, s[0:3], 0 offen offset:4
	buffer_load_dword v4, v0, s[0:3], 0 offen offset:8
	;; [unrolled: 1-line block ×3, first 2 shown]
	v_mov_b32_e32 v0, 0
	v_accvgpr_read_b32 v1, a180
	buffer_store_dword v0, off, s[0:3], 0 offset:464
	buffer_store_dword v0, off, s[0:3], 0 offset:468
	;; [unrolled: 1-line block ×4, first 2 shown]
	s_waitcnt vmcnt(4)
	ds_write_b128 v1, v[2:5]
.LBB59_317:
	s_or_b64 exec, exec, s[4:5]
	s_waitcnt lgkmcnt(0)
	; wave barrier
	s_waitcnt lgkmcnt(0)
	buffer_load_dword v106, off, s[0:3], 0 offset:480
	buffer_load_dword v107, off, s[0:3], 0 offset:484
	;; [unrolled: 1-line block ×49, first 2 shown]
	v_mov_b32_e32 v1, 0
	ds_read_b128 v[110:113], v1 offset:1424
	ds_read_b128 v[228:231], v1 offset:1440
	;; [unrolled: 1-line block ×10, first 2 shown]
	buffer_load_dword v158, off, s[0:3], 0 offset:672
	buffer_load_dword v173, off, s[0:3], 0 offset:668
	;; [unrolled: 1-line block ×69, first 2 shown]
	v_accvgpr_write_b32 a179, v254
	v_cmp_lt_u32_e32 vcc, 27, v254
	s_waitcnt vmcnt(62) lgkmcnt(9)
	v_mul_f64 v[34:35], v[110:111], v[108:109]
	v_fmac_f64_e32 v[34:35], v[112:113], v[106:107]
	v_add_f64 v[34:35], v[34:35], 0
	v_mul_f64 v[108:109], v[112:113], v[108:109]
	s_waitcnt lgkmcnt(8)
	v_mul_f64 v[36:37], v[228:229], v[116:117]
	v_fmac_f64_e32 v[36:37], v[230:231], v[114:115]
	s_waitcnt lgkmcnt(7)
	v_mul_f64 v[38:39], v[30:31], v[118:119]
	v_add_f64 v[34:35], v[34:35], v[36:37]
	s_waitcnt lgkmcnt(5)
	v_mul_f64 v[42:43], v[22:23], v[120:121]
	v_mul_f64 v[116:117], v[230:231], v[116:117]
	v_fmac_f64_e32 v[42:43], v[24:25], v[122:123]
	v_fma_f64 v[248:249], v[110:111], v[106:107], -v[108:109]
	v_mul_f64 v[40:41], v[26:27], v[124:125]
	v_fma_f64 v[250:251], v[228:229], v[114:115], -v[116:117]
	s_waitcnt lgkmcnt(3)
	v_mul_f64 v[46:47], v[14:15], v[126:127]
	v_mul_f64 v[24:25], v[24:25], v[120:121]
	v_fmac_f64_e32 v[46:47], v[16:17], v[128:129]
	v_fma_f64 v[22:23], v[22:23], v[122:123], -v[24:25]
	v_mul_f64 v[44:45], v[18:19], v[130:131]
	v_mul_f64 v[16:17], v[16:17], v[126:127]
	s_waitcnt lgkmcnt(1)
	v_mul_f64 v[50:51], v[6:7], v[132:133]
	v_fma_f64 v[14:15], v[14:15], v[128:129], -v[16:17]
	v_fmac_f64_e32 v[50:51], v[8:9], v[134:135]
	v_mul_f64 v[8:9], v[8:9], v[132:133]
	v_mul_f64 v[48:49], v[10:11], v[140:141]
	v_fma_f64 v[6:7], v[6:7], v[134:135], -v[8:9]
	s_waitcnt lgkmcnt(0)
	v_mul_f64 v[52:53], v[2:3], v[136:137]
	v_fmac_f64_e32 v[38:39], v[32:33], v[152:153]
	v_add_f64 v[34:35], v[34:35], v[38:39]
	v_fmac_f64_e32 v[40:41], v[28:29], v[150:151]
	v_add_f64 v[34:35], v[34:35], v[40:41]
	;; [unrolled: 2-line block ×3, first 2 shown]
	v_add_f64 v[34:35], v[34:35], v[44:45]
	v_fmac_f64_e32 v[48:49], v[12:13], v[146:147]
	v_add_f64 v[34:35], v[34:35], v[46:47]
	v_add_f64 v[34:35], v[34:35], v[48:49]
	v_fmac_f64_e32 v[52:53], v[4:5], v[144:145]
	v_add_f64 v[34:35], v[34:35], v[50:51]
	v_add_f64 v[42:43], v[34:35], v[52:53]
	ds_read_b128 v[38:41], v1 offset:1584
	ds_read_b128 v[34:37], v1 offset:1600
	buffer_load_dword v221, off, s[0:3], 0 offset:972
	buffer_load_dword v220, off, s[0:3], 0 offset:968
	;; [unrolled: 1-line block ×8, first 2 shown]
	ds_read_b128 v[110:113], v1 offset:1872
	ds_read_b128 v[106:109], v1 offset:1888
	s_waitcnt lgkmcnt(3)
	v_mul_f64 v[44:45], v[38:39], v[142:143]
	v_fmac_f64_e32 v[44:45], v[40:41], v[154:155]
	v_add_f64 v[46:47], v[42:43], v[44:45]
	ds_read_b128 v[42:45], v1 offset:1616
	s_waitcnt lgkmcnt(3)
	v_mul_f64 v[48:49], v[34:35], v[172:173]
	v_fmac_f64_e32 v[48:49], v[36:37], v[176:177]
	v_add_f64 v[50:51], v[46:47], v[48:49]
	;; [unrolled: 5-line block ×3, first 2 shown]
	ds_read_b128 v[50:53], v1 offset:1648
	s_waitcnt vmcnt(62) lgkmcnt(1)
	v_mul_f64 v[56:57], v[46:47], v[180:181]
	v_fmac_f64_e32 v[56:57], v[48:49], v[184:185]
	v_add_f64 v[58:59], v[54:55], v[56:57]
	ds_read_b128 v[54:57], v1 offset:1664
	s_waitcnt lgkmcnt(1)
	v_mul_f64 v[60:61], v[50:51], v[160:161]
	v_fmac_f64_e32 v[60:61], v[52:53], v[162:163]
	v_add_f64 v[62:63], v[58:59], v[60:61]
	ds_read_b128 v[58:61], v1 offset:1680
	s_waitcnt vmcnt(58) lgkmcnt(1)
	v_mul_f64 v[64:65], v[54:55], v[188:189]
	s_waitcnt vmcnt(56)
	v_fmac_f64_e32 v[64:65], v[56:57], v[192:193]
	v_add_f64 v[66:67], v[62:63], v[64:65]
	ds_read_b128 v[62:65], v1 offset:1696
	s_waitcnt lgkmcnt(1)
	v_mul_f64 v[68:69], v[58:59], v[164:165]
	v_fmac_f64_e32 v[68:69], v[60:61], v[166:167]
	v_add_f64 v[70:71], v[66:67], v[68:69]
	ds_read_b128 v[66:69], v1 offset:1712
	s_waitcnt vmcnt(50) lgkmcnt(1)
	v_mul_f64 v[72:73], v[62:63], v[196:197]
	s_waitcnt vmcnt(48)
	;; [unrolled: 11-line block ×5, first 2 shown]
	v_fmac_f64_e32 v[96:97], v[88:89], v[218:219]
	v_add_f64 v[98:99], v[94:95], v[96:97]
	ds_read_b128 v[94:97], v1 offset:1824
	s_waitcnt lgkmcnt(1)
	v_mul_f64 v[100:101], v[90:91], v[190:191]
	v_fmac_f64_e32 v[100:101], v[92:93], v[194:195]
	v_add_f64 v[232:233], v[98:99], v[100:101]
	ds_read_b128 v[98:101], v1 offset:1840
	ds_read_b128 v[102:105], v1 offset:1856
	;; [unrolled: 1-line block ×3, first 2 shown]
	buffer_load_dword v252, off, s[0:3], 0 offset:472
	buffer_load_dword v253, off, s[0:3], 0 offset:476
	s_waitcnt vmcnt(20) lgkmcnt(3)
	v_mul_f64 v[234:235], v[94:95], v[222:223]
	s_waitcnt vmcnt(18)
	v_fmac_f64_e32 v[234:235], v[96:97], v[226:227]
	v_add_f64 v[232:233], v[232:233], v[234:235]
	s_waitcnt lgkmcnt(2)
	v_mul_f64 v[234:235], v[98:99], v[198:199]
	v_fmac_f64_e32 v[234:235], v[100:101], v[202:203]
	v_add_f64 v[232:233], v[232:233], v[234:235]
	s_waitcnt vmcnt(12) lgkmcnt(1)
	v_mul_f64 v[234:235], v[102:103], v[238:239]
	s_waitcnt vmcnt(10)
	v_fmac_f64_e32 v[234:235], v[104:105], v[240:241]
	v_mul_f64 v[228:229], v[110:111], v[206:207]
	v_add_f64 v[232:233], v[232:233], v[234:235]
	v_fmac_f64_e32 v[228:229], v[112:113], v[210:211]
	v_add_f64 v[228:229], v[232:233], v[228:229]
	s_waitcnt vmcnt(4)
	v_mul_f64 v[230:231], v[106:107], v[242:243]
	v_mul_f64 v[32:33], v[32:33], v[118:119]
	s_waitcnt vmcnt(2)
	v_fmac_f64_e32 v[230:231], v[108:109], v[244:245]
	v_add_f64 v[228:229], v[228:229], v[230:231]
	s_waitcnt lgkmcnt(0)
	v_mul_f64 v[230:231], v[114:115], v[220:221]
	v_fmac_f64_e32 v[230:231], v[116:117], v[224:225]
	v_add_f64 v[246:247], v[228:229], v[230:231]
	v_add_f64 v[228:229], v[248:249], 0
	;; [unrolled: 1-line block ×3, first 2 shown]
	v_fma_f64 v[30:31], v[30:31], v[152:153], -v[32:33]
	v_mul_f64 v[28:29], v[28:29], v[124:125]
	v_add_f64 v[30:31], v[228:229], v[30:31]
	v_fma_f64 v[26:27], v[26:27], v[150:151], -v[28:29]
	v_add_f64 v[26:27], v[30:31], v[26:27]
	v_mul_f64 v[20:21], v[20:21], v[130:131]
	v_add_f64 v[22:23], v[26:27], v[22:23]
	v_fma_f64 v[18:19], v[18:19], v[148:149], -v[20:21]
	v_add_f64 v[18:19], v[22:23], v[18:19]
	;; [unrolled: 4-line block ×3, first 2 shown]
	v_mul_f64 v[4:5], v[4:5], v[136:137]
	v_add_f64 v[6:7], v[10:11], v[6:7]
	v_fma_f64 v[2:3], v[2:3], v[144:145], -v[4:5]
	v_mul_f64 v[4:5], v[40:41], v[142:143]
	v_add_f64 v[2:3], v[6:7], v[2:3]
	v_fma_f64 v[4:5], v[38:39], v[154:155], -v[4:5]
	v_add_f64 v[2:3], v[2:3], v[4:5]
	v_mul_f64 v[4:5], v[36:37], v[172:173]
	v_fma_f64 v[4:5], v[34:35], v[176:177], -v[4:5]
	v_add_f64 v[2:3], v[2:3], v[4:5]
	v_mul_f64 v[4:5], v[44:45], v[156:157]
	v_fma_f64 v[4:5], v[42:43], v[158:159], -v[4:5]
	v_add_f64 v[2:3], v[2:3], v[4:5]
	v_mul_f64 v[4:5], v[48:49], v[180:181]
	v_fma_f64 v[4:5], v[46:47], v[184:185], -v[4:5]
	v_add_f64 v[2:3], v[2:3], v[4:5]
	v_mul_f64 v[4:5], v[52:53], v[160:161]
	v_fma_f64 v[4:5], v[50:51], v[162:163], -v[4:5]
	v_add_f64 v[2:3], v[2:3], v[4:5]
	v_mul_f64 v[4:5], v[56:57], v[188:189]
	v_fma_f64 v[4:5], v[54:55], v[192:193], -v[4:5]
	v_add_f64 v[2:3], v[2:3], v[4:5]
	v_mul_f64 v[4:5], v[60:61], v[164:165]
	v_fma_f64 v[4:5], v[58:59], v[166:167], -v[4:5]
	v_add_f64 v[2:3], v[2:3], v[4:5]
	v_mul_f64 v[4:5], v[64:65], v[196:197]
	v_fma_f64 v[4:5], v[62:63], v[200:201], -v[4:5]
	v_add_f64 v[2:3], v[2:3], v[4:5]
	v_mul_f64 v[4:5], v[68:69], v[168:169]
	v_fma_f64 v[4:5], v[66:67], v[170:171], -v[4:5]
	v_add_f64 v[2:3], v[2:3], v[4:5]
	v_mul_f64 v[4:5], v[72:73], v[204:205]
	v_fma_f64 v[4:5], v[70:71], v[208:209], -v[4:5]
	v_add_f64 v[2:3], v[2:3], v[4:5]
	v_mul_f64 v[4:5], v[76:77], v[174:175]
	v_fma_f64 v[4:5], v[74:75], v[178:179], -v[4:5]
	v_add_f64 v[2:3], v[2:3], v[4:5]
	v_mul_f64 v[4:5], v[80:81], v[212:213]
	v_fma_f64 v[4:5], v[78:79], v[214:215], -v[4:5]
	v_add_f64 v[2:3], v[2:3], v[4:5]
	v_mul_f64 v[4:5], v[84:85], v[182:183]
	v_fma_f64 v[4:5], v[82:83], v[186:187], -v[4:5]
	v_add_f64 v[2:3], v[2:3], v[4:5]
	v_mul_f64 v[4:5], v[88:89], v[216:217]
	v_fma_f64 v[4:5], v[86:87], v[218:219], -v[4:5]
	v_add_f64 v[2:3], v[2:3], v[4:5]
	v_mul_f64 v[4:5], v[92:93], v[190:191]
	v_fma_f64 v[4:5], v[90:91], v[194:195], -v[4:5]
	v_add_f64 v[2:3], v[2:3], v[4:5]
	v_mul_f64 v[4:5], v[96:97], v[222:223]
	v_fma_f64 v[4:5], v[94:95], v[226:227], -v[4:5]
	v_add_f64 v[2:3], v[2:3], v[4:5]
	v_mul_f64 v[4:5], v[100:101], v[198:199]
	v_fma_f64 v[4:5], v[98:99], v[202:203], -v[4:5]
	v_add_f64 v[2:3], v[2:3], v[4:5]
	v_mul_f64 v[4:5], v[104:105], v[238:239]
	v_fma_f64 v[4:5], v[102:103], v[240:241], -v[4:5]
	v_add_f64 v[2:3], v[2:3], v[4:5]
	v_mul_f64 v[4:5], v[112:113], v[206:207]
	v_fma_f64 v[4:5], v[110:111], v[210:211], -v[4:5]
	v_add_f64 v[2:3], v[2:3], v[4:5]
	v_mul_f64 v[4:5], v[108:109], v[242:243]
	v_fma_f64 v[4:5], v[106:107], v[244:245], -v[4:5]
	v_add_f64 v[2:3], v[2:3], v[4:5]
	v_mul_f64 v[4:5], v[116:117], v[220:221]
	v_fma_f64 v[4:5], v[114:115], v[224:225], -v[4:5]
	v_add_f64 v[2:3], v[2:3], v[4:5]
	v_add_f64 v[2:3], v[138:139], -v[2:3]
	s_waitcnt vmcnt(0)
	v_add_f64 v[4:5], v[252:253], -v[246:247]
	buffer_store_dword v3, off, s[0:3], 0 offset:468
	buffer_store_dword v2, off, s[0:3], 0 offset:464
	;; [unrolled: 1-line block ×4, first 2 shown]
	s_and_saveexec_b64 s[4:5], vcc
	s_cbranch_execz .LBB59_319
; %bb.318:
	v_accvgpr_read_b32 v0, a152
	buffer_load_dword v2, v0, s[0:3], 0 offen
	buffer_load_dword v3, v0, s[0:3], 0 offen offset:4
	buffer_load_dword v4, v0, s[0:3], 0 offen offset:8
	;; [unrolled: 1-line block ×3, first 2 shown]
	v_accvgpr_read_b32 v0, a180
	buffer_store_dword v1, off, s[0:3], 0 offset:448
	buffer_store_dword v1, off, s[0:3], 0 offset:452
	;; [unrolled: 1-line block ×4, first 2 shown]
	s_waitcnt vmcnt(4)
	ds_write_b128 v0, v[2:5]
.LBB59_319:
	s_or_b64 exec, exec, s[4:5]
	s_waitcnt lgkmcnt(0)
	; wave barrier
	s_waitcnt lgkmcnt(0)
	buffer_load_dword v112, off, s[0:3], 0 offset:464
	buffer_load_dword v113, off, s[0:3], 0 offset:468
	;; [unrolled: 1-line block ×36, first 2 shown]
	ds_read_b128 v[102:105], v1 offset:1408
	ds_read_b128 v[106:109], v1 offset:1424
	;; [unrolled: 1-line block ×9, first 2 shown]
	buffer_load_dword v143, off, s[0:3], 0 offset:636
	buffer_load_dword v142, off, s[0:3], 0 offset:632
	;; [unrolled: 1-line block ×78, first 2 shown]
	s_waitcnt vmcnt(62) lgkmcnt(8)
	v_mul_f64 v[26:27], v[102:103], v[246:247]
	v_fmac_f64_e32 v[26:27], v[104:105], v[112:113]
	v_add_f64 v[26:27], v[26:27], 0
	v_mul_f64 v[104:105], v[104:105], v[246:247]
	s_waitcnt lgkmcnt(7)
	v_mul_f64 v[28:29], v[106:107], v[248:249]
	v_fmac_f64_e32 v[28:29], v[108:109], v[110:111]
	s_waitcnt lgkmcnt(6)
	v_mul_f64 v[30:31], v[114:115], v[244:245]
	v_add_f64 v[26:27], v[26:27], v[28:29]
	s_waitcnt lgkmcnt(4)
	v_mul_f64 v[34:35], v[18:19], v[118:119]
	v_fma_f64 v[246:247], v[102:103], v[112:113], -v[104:105]
	v_fmac_f64_e32 v[34:35], v[20:21], v[120:121]
	v_mul_f64 v[108:109], v[108:109], v[248:249]
	v_mul_f64 v[32:33], v[22:23], v[122:123]
	v_fma_f64 v[248:249], v[106:107], v[110:111], -v[108:109]
	s_waitcnt lgkmcnt(2)
	v_mul_f64 v[38:39], v[10:11], v[124:125]
	v_mul_f64 v[20:21], v[20:21], v[118:119]
	v_fmac_f64_e32 v[38:39], v[12:13], v[126:127]
	v_fma_f64 v[18:19], v[18:19], v[120:121], -v[20:21]
	v_mul_f64 v[36:37], v[14:15], v[130:131]
	v_mul_f64 v[12:13], v[12:13], v[124:125]
	s_waitcnt lgkmcnt(1)
	v_mul_f64 v[40:41], v[6:7], v[128:129]
	v_fma_f64 v[10:11], v[10:11], v[126:127], -v[12:13]
	v_fmac_f64_e32 v[30:31], v[116:117], v[250:251]
	v_add_f64 v[26:27], v[26:27], v[30:31]
	v_fmac_f64_e32 v[32:33], v[24:25], v[138:139]
	v_add_f64 v[26:27], v[26:27], v[32:33]
	;; [unrolled: 2-line block ×3, first 2 shown]
	v_add_f64 v[26:27], v[26:27], v[36:37]
	v_fmac_f64_e32 v[40:41], v[8:9], v[134:135]
	v_add_f64 v[30:31], v[26:27], v[38:39]
	v_add_f64 v[30:31], v[30:31], v[40:41]
	s_waitcnt lgkmcnt(0)
	v_mul_f64 v[32:33], v[2:3], v[132:133]
	v_fmac_f64_e32 v[32:33], v[4:5], v[140:141]
	ds_read_b128 v[26:29], v1 offset:1552
	v_add_f64 v[34:35], v[30:31], v[32:33]
	ds_read_b128 v[30:33], v1 offset:1568
	buffer_load_dword v221, off, s[0:3], 0 offset:900
	buffer_load_dword v220, off, s[0:3], 0 offset:896
	v_mul_f64 v[116:117], v[116:117], v[244:245]
	s_waitcnt lgkmcnt(1)
	v_mul_f64 v[36:37], v[26:27], v[146:147]
	v_fmac_f64_e32 v[36:37], v[28:29], v[148:149]
	v_add_f64 v[38:39], v[34:35], v[36:37]
	ds_read_b128 v[34:37], v1 offset:1584
	s_waitcnt lgkmcnt(1)
	v_mul_f64 v[40:41], v[30:31], v[142:143]
	v_fmac_f64_e32 v[40:41], v[32:33], v[144:145]
	v_add_f64 v[42:43], v[38:39], v[40:41]
	ds_read_b128 v[38:41], v1 offset:1600
	;; [unrolled: 5-line block ×4, first 2 shown]
	buffer_load_dword v223, off, s[0:3], 0 offset:956
	buffer_load_dword v225, off, s[0:3], 0 offset:940
	;; [unrolled: 1-line block ×12, first 2 shown]
	s_waitcnt vmcnt(62) lgkmcnt(1)
	v_mul_f64 v[52:53], v[42:43], v[174:175]
	v_fmac_f64_e32 v[52:53], v[44:45], v[178:179]
	v_add_f64 v[54:55], v[50:51], v[52:53]
	ds_read_b128 v[50:53], v1 offset:1648
	s_waitcnt lgkmcnt(1)
	v_mul_f64 v[56:57], v[46:47], v[154:155]
	v_fmac_f64_e32 v[56:57], v[48:49], v[156:157]
	v_add_f64 v[58:59], v[54:55], v[56:57]
	ds_read_b128 v[54:57], v1 offset:1664
	s_waitcnt lgkmcnt(1)
	v_mul_f64 v[60:61], v[50:51], v[182:183]
	s_waitcnt vmcnt(60)
	v_fmac_f64_e32 v[60:61], v[52:53], v[186:187]
	v_add_f64 v[62:63], v[58:59], v[60:61]
	ds_read_b128 v[58:61], v1 offset:1680
	s_waitcnt lgkmcnt(1)
	v_mul_f64 v[64:65], v[54:55], v[162:163]
	v_fmac_f64_e32 v[64:65], v[56:57], v[164:165]
	v_add_f64 v[66:67], v[62:63], v[64:65]
	ds_read_b128 v[62:65], v1 offset:1696
	s_waitcnt vmcnt(54) lgkmcnt(1)
	v_mul_f64 v[68:69], v[58:59], v[190:191]
	s_waitcnt vmcnt(52)
	v_fmac_f64_e32 v[68:69], v[60:61], v[194:195]
	v_add_f64 v[70:71], v[66:67], v[68:69]
	ds_read_b128 v[66:69], v1 offset:1712
	s_waitcnt lgkmcnt(1)
	v_mul_f64 v[72:73], v[62:63], v[166:167]
	v_fmac_f64_e32 v[72:73], v[64:65], v[168:169]
	v_add_f64 v[74:75], v[70:71], v[72:73]
	ds_read_b128 v[70:73], v1 offset:1728
	s_waitcnt vmcnt(46) lgkmcnt(1)
	;; [unrolled: 11-line block ×4, first 2 shown]
	v_mul_f64 v[92:93], v[82:83], v[210:211]
	s_waitcnt vmcnt(28)
	v_fmac_f64_e32 v[92:93], v[84:85], v[212:213]
	v_add_f64 v[98:99], v[90:91], v[92:93]
	ds_read_b128 v[90:93], v1 offset:1808
	ds_read_b128 v[94:97], v1 offset:1824
	s_waitcnt lgkmcnt(2)
	v_mul_f64 v[100:101], v[86:87], v[184:185]
	v_fmac_f64_e32 v[100:101], v[88:89], v[188:189]
	v_add_f64 v[98:99], v[98:99], v[100:101]
	s_waitcnt vmcnt(22) lgkmcnt(1)
	v_mul_f64 v[100:101], v[90:91], v[214:215]
	s_waitcnt vmcnt(20)
	v_fmac_f64_e32 v[100:101], v[92:93], v[216:217]
	v_add_f64 v[98:99], v[98:99], v[100:101]
	s_waitcnt lgkmcnt(0)
	v_mul_f64 v[100:101], v[94:95], v[192:193]
	v_fmac_f64_e32 v[100:101], v[96:97], v[196:197]
	v_add_f64 v[228:229], v[98:99], v[100:101]
	ds_read_b128 v[98:101], v1 offset:1840
	ds_read_b128 v[102:105], v1 offset:1856
	;; [unrolled: 1-line block ×3, first 2 shown]
	v_fma_f64 v[250:251], v[114:115], v[250:251], -v[116:117]
	ds_read_b128 v[114:117], v1 offset:1904
	s_waitcnt vmcnt(14) lgkmcnt(3)
	v_mul_f64 v[112:113], v[98:99], v[218:219]
	s_waitcnt lgkmcnt(2)
	v_mul_f64 v[110:111], v[102:103], v[200:201]
	s_waitcnt vmcnt(12)
	v_fmac_f64_e32 v[112:113], v[100:101], v[220:221]
	v_add_f64 v[112:113], v[228:229], v[112:113]
	v_fmac_f64_e32 v[110:111], v[104:105], v[204:205]
	v_add_f64 v[228:229], v[112:113], v[110:111]
	ds_read_b128 v[110:113], v1 offset:1888
	buffer_load_dword v254, off, s[0:3], 0 offset:448
	buffer_load_dword v255, off, s[0:3], 0 offset:452
	;; [unrolled: 1-line block ×4, first 2 shown]
	v_mul_f64 v[24:25], v[24:25], v[122:123]
	v_fma_f64 v[22:23], v[22:23], v[138:139], -v[24:25]
	v_mul_f64 v[16:17], v[16:17], v[130:131]
	s_waitcnt vmcnt(13) lgkmcnt(2)
	v_mul_f64 v[230:231], v[106:107], v[224:225]
	v_fma_f64 v[14:15], v[14:15], v[136:137], -v[16:17]
	s_waitcnt vmcnt(11)
	v_fmac_f64_e32 v[230:231], v[108:109], v[240:241]
	v_add_f64 v[228:229], v[228:229], v[230:231]
	s_waitcnt vmcnt(10) lgkmcnt(0)
	v_mul_f64 v[230:231], v[110:111], v[222:223]
	s_waitcnt vmcnt(8)
	v_fmac_f64_e32 v[230:231], v[112:113], v[238:239]
	v_add_f64 v[228:229], v[228:229], v[230:231]
	s_waitcnt vmcnt(6)
	v_mul_f64 v[230:231], v[114:115], v[226:227]
	v_mul_f64 v[8:9], v[8:9], v[128:129]
	s_waitcnt vmcnt(4)
	v_fmac_f64_e32 v[230:231], v[116:117], v[242:243]
	v_add_f64 v[244:245], v[228:229], v[230:231]
	v_add_f64 v[228:229], v[246:247], 0
	;; [unrolled: 1-line block ×8, first 2 shown]
	v_fma_f64 v[6:7], v[6:7], v[134:135], -v[8:9]
	v_mul_f64 v[4:5], v[4:5], v[132:133]
	v_add_f64 v[6:7], v[10:11], v[6:7]
	v_fma_f64 v[2:3], v[2:3], v[140:141], -v[4:5]
	v_mul_f64 v[4:5], v[28:29], v[146:147]
	v_add_f64 v[2:3], v[6:7], v[2:3]
	v_fma_f64 v[4:5], v[26:27], v[148:149], -v[4:5]
	v_add_f64 v[2:3], v[2:3], v[4:5]
	v_mul_f64 v[4:5], v[32:33], v[142:143]
	v_fma_f64 v[4:5], v[30:31], v[144:145], -v[4:5]
	v_add_f64 v[2:3], v[2:3], v[4:5]
	v_mul_f64 v[4:5], v[36:37], v[158:159]
	;; [unrolled: 3-line block ×22, first 2 shown]
	v_fma_f64 v[4:5], v[114:115], v[242:243], -v[4:5]
	v_add_f64 v[2:3], v[2:3], v[4:5]
	s_waitcnt vmcnt(2)
	v_add_f64 v[2:3], v[254:255], -v[2:3]
	v_accvgpr_read_b32 v254, a179
	v_cmp_lt_u32_e32 vcc, 26, v254
	s_waitcnt vmcnt(0)
	v_add_f64 v[4:5], v[252:253], -v[244:245]
	buffer_store_dword v3, off, s[0:3], 0 offset:452
	buffer_store_dword v2, off, s[0:3], 0 offset:448
	;; [unrolled: 1-line block ×4, first 2 shown]
	s_and_saveexec_b64 s[4:5], vcc
	s_cbranch_execz .LBB59_321
; %bb.320:
	v_accvgpr_read_b32 v0, a153
	buffer_load_dword v2, v0, s[0:3], 0 offen
	buffer_load_dword v3, v0, s[0:3], 0 offen offset:4
	buffer_load_dword v4, v0, s[0:3], 0 offen offset:8
	;; [unrolled: 1-line block ×3, first 2 shown]
	v_mov_b32_e32 v0, 0
	v_accvgpr_read_b32 v1, a180
	buffer_store_dword v0, off, s[0:3], 0 offset:432
	buffer_store_dword v0, off, s[0:3], 0 offset:436
	;; [unrolled: 1-line block ×4, first 2 shown]
	s_waitcnt vmcnt(4)
	ds_write_b128 v1, v[2:5]
.LBB59_321:
	s_or_b64 exec, exec, s[4:5]
	s_waitcnt lgkmcnt(0)
	; wave barrier
	s_waitcnt lgkmcnt(0)
	buffer_load_dword v94, off, s[0:3], 0 offset:448
	buffer_load_dword v95, off, s[0:3], 0 offset:452
	;; [unrolled: 1-line block ×52, first 2 shown]
	v_mov_b32_e32 v1, 0
	ds_read_b128 v[102:105], v1 offset:1392
	ds_read_b128 v[114:117], v1 offset:1408
	;; [unrolled: 1-line block ×10, first 2 shown]
	v_cmp_lt_u32_e32 vcc, 25, v254
	s_waitcnt vmcnt(48) lgkmcnt(9)
	v_mul_f64 v[26:27], v[102:103], v[96:97]
	v_fmac_f64_e32 v[26:27], v[104:105], v[94:95]
	v_add_f64 v[26:27], v[26:27], 0
	v_mul_f64 v[96:97], v[104:105], v[96:97]
	s_waitcnt vmcnt(44) lgkmcnt(8)
	v_mul_f64 v[28:29], v[114:115], v[100:101]
	v_fmac_f64_e32 v[28:29], v[116:117], v[98:99]
	s_waitcnt vmcnt(42) lgkmcnt(7)
	v_mul_f64 v[30:31], v[228:229], v[106:107]
	v_add_f64 v[26:27], v[26:27], v[28:29]
	s_waitcnt vmcnt(40) lgkmcnt(5)
	v_mul_f64 v[34:35], v[22:23], v[120:121]
	v_fma_f64 v[234:235], v[102:103], v[94:95], -v[96:97]
	s_waitcnt vmcnt(38)
	v_fmac_f64_e32 v[34:35], v[24:25], v[124:125]
	v_mul_f64 v[100:101], v[116:117], v[100:101]
	s_waitcnt vmcnt(36)
	v_mul_f64 v[32:33], v[244:245], v[110:111]
	v_fma_f64 v[236:237], v[114:115], v[98:99], -v[100:101]
	s_waitcnt vmcnt(34) lgkmcnt(3)
	v_mul_f64 v[38:39], v[14:15], v[118:119]
	v_mul_f64 v[106:107], v[230:231], v[106:107]
	s_waitcnt vmcnt(32)
	v_fmac_f64_e32 v[38:39], v[16:17], v[122:123]
	v_mul_f64 v[110:111], v[246:247], v[110:111]
	s_waitcnt vmcnt(30)
	v_mul_f64 v[36:37], v[18:19], v[130:131]
	v_mul_f64 v[24:25], v[24:25], v[120:121]
	v_fma_f64 v[22:23], v[22:23], v[124:125], -v[24:25]
	s_waitcnt vmcnt(27) lgkmcnt(2)
	v_mul_f64 v[40:41], v[10:11], v[128:129]
	s_waitcnt vmcnt(26) lgkmcnt(1)
	v_mul_f64 v[42:43], v[6:7], v[126:127]
	v_mul_f64 v[16:17], v[16:17], v[118:119]
	s_waitcnt vmcnt(24)
	v_fmac_f64_e32 v[30:31], v[230:231], v[108:109]
	v_add_f64 v[26:27], v[26:27], v[30:31]
	s_waitcnt vmcnt(22)
	v_fmac_f64_e32 v[32:33], v[246:247], v[112:113]
	v_add_f64 v[26:27], v[26:27], v[32:33]
	;; [unrolled: 3-line block ×3, first 2 shown]
	v_add_f64 v[26:27], v[26:27], v[36:37]
	s_waitcnt vmcnt(18)
	v_fmac_f64_e32 v[40:41], v[12:13], v[132:133]
	v_add_f64 v[26:27], v[26:27], v[38:39]
	v_add_f64 v[26:27], v[26:27], v[40:41]
	s_waitcnt vmcnt(16)
	v_fmac_f64_e32 v[42:43], v[8:9], v[138:139]
	v_add_f64 v[34:35], v[26:27], v[42:43]
	ds_read_b128 v[26:29], v1 offset:1552
	ds_read_b128 v[30:33], v1 offset:1568
	buffer_load_dword v155, off, s[0:3], 0 offset:684
	buffer_load_dword v154, off, s[0:3], 0 offset:680
	;; [unrolled: 1-line block ×56, first 2 shown]
	s_waitcnt vmcnt(62) lgkmcnt(2)
	v_mul_f64 v[36:37], v[2:3], v[142:143]
	v_fmac_f64_e32 v[36:37], v[4:5], v[144:145]
	v_add_f64 v[34:35], v[34:35], v[36:37]
	s_waitcnt lgkmcnt(1)
	v_mul_f64 v[36:37], v[26:27], v[136:137]
	v_fmac_f64_e32 v[36:37], v[28:29], v[140:141]
	v_add_f64 v[34:35], v[34:35], v[36:37]
	s_waitcnt lgkmcnt(0)
	v_mul_f64 v[36:37], v[30:31], v[146:147]
	s_waitcnt vmcnt(60)
	v_fmac_f64_e32 v[36:37], v[32:33], v[150:151]
	v_add_f64 v[42:43], v[34:35], v[36:37]
	ds_read_b128 v[34:37], v1 offset:1584
	buffer_load_dword v199, off, s[0:3], 0 offset:908
	buffer_load_dword v198, off, s[0:3], 0 offset:904
	;; [unrolled: 1-line block ×16, first 2 shown]
	ds_read_b128 v[38:41], v1 offset:1600
	buffer_load_dword v221, off, s[0:3], 0 offset:972
	buffer_load_dword v220, off, s[0:3], 0 offset:968
	;; [unrolled: 1-line block ×8, first 2 shown]
	ds_read_b128 v[98:101], v1 offset:1840
	s_waitcnt vmcnt(62) lgkmcnt(2)
	v_mul_f64 v[44:45], v[34:35], v[148:149]
	v_fmac_f64_e32 v[44:45], v[36:37], v[152:153]
	v_add_f64 v[46:47], v[42:43], v[44:45]
	ds_read_b128 v[42:45], v1 offset:1616
	v_fma_f64 v[248:249], v[228:229], v[108:109], -v[106:107]
	ds_read_b128 v[106:109], v1 offset:1872
	v_fma_f64 v[246:247], v[244:245], v[112:113], -v[110:111]
	v_mul_f64 v[20:21], v[20:21], v[130:131]
	v_fma_f64 v[18:19], v[18:19], v[134:135], -v[20:21]
	v_fma_f64 v[14:15], v[14:15], v[122:123], -v[16:17]
	v_mul_f64 v[12:13], v[12:13], v[128:129]
	v_fma_f64 v[10:11], v[10:11], v[132:133], -v[12:13]
	v_mul_f64 v[8:9], v[8:9], v[126:127]
	;; [unrolled: 2-line block ×3, first 2 shown]
	s_waitcnt lgkmcnt(3)
	v_mul_f64 v[48:49], v[38:39], v[170:171]
	v_fma_f64 v[2:3], v[2:3], v[144:145], -v[4:5]
	v_fmac_f64_e32 v[48:49], v[40:41], v[174:175]
	v_add_f64 v[50:51], v[46:47], v[48:49]
	ds_read_b128 v[46:49], v1 offset:1632
	s_waitcnt lgkmcnt(2)
	v_mul_f64 v[52:53], v[42:43], v[154:155]
	v_fmac_f64_e32 v[52:53], v[44:45], v[156:157]
	v_add_f64 v[54:55], v[50:51], v[52:53]
	ds_read_b128 v[50:53], v1 offset:1648
	s_waitcnt lgkmcnt(1)
	v_mul_f64 v[56:57], v[46:47], v[178:179]
	;; [unrolled: 5-line block ×3, first 2 shown]
	v_fmac_f64_e32 v[60:61], v[52:53], v[160:161]
	v_add_f64 v[62:63], v[58:59], v[60:61]
	ds_read_b128 v[58:61], v1 offset:1680
	s_waitcnt vmcnt(58) lgkmcnt(1)
	v_mul_f64 v[64:65], v[54:55], v[186:187]
	s_waitcnt vmcnt(56)
	v_fmac_f64_e32 v[64:65], v[56:57], v[190:191]
	v_add_f64 v[66:67], v[62:63], v[64:65]
	ds_read_b128 v[62:65], v1 offset:1696
	s_waitcnt lgkmcnt(1)
	v_mul_f64 v[68:69], v[58:59], v[162:163]
	v_fmac_f64_e32 v[68:69], v[60:61], v[164:165]
	v_add_f64 v[70:71], v[66:67], v[68:69]
	ds_read_b128 v[66:69], v1 offset:1712
	s_waitcnt vmcnt(50) lgkmcnt(1)
	v_mul_f64 v[72:73], v[62:63], v[194:195]
	s_waitcnt vmcnt(48)
	v_fmac_f64_e32 v[72:73], v[64:65], v[196:197]
	v_add_f64 v[74:75], v[70:71], v[72:73]
	ds_read_b128 v[70:73], v1 offset:1728
	s_waitcnt lgkmcnt(1)
	v_mul_f64 v[76:77], v[66:67], v[166:167]
	;; [unrolled: 11-line block ×3, first 2 shown]
	v_fmac_f64_e32 v[84:85], v[76:77], v[176:177]
	v_add_f64 v[90:91], v[82:83], v[84:85]
	ds_read_b128 v[82:85], v1 offset:1776
	ds_read_b128 v[86:89], v1 offset:1792
	s_waitcnt vmcnt(34) lgkmcnt(2)
	v_mul_f64 v[92:93], v[78:79], v[208:209]
	s_waitcnt vmcnt(32)
	v_fmac_f64_e32 v[92:93], v[80:81], v[214:215]
	v_add_f64 v[90:91], v[90:91], v[92:93]
	s_waitcnt lgkmcnt(1)
	v_mul_f64 v[92:93], v[82:83], v[180:181]
	v_fmac_f64_e32 v[92:93], v[84:85], v[184:185]
	v_add_f64 v[90:91], v[90:91], v[92:93]
	s_waitcnt vmcnt(27) lgkmcnt(0)
	v_mul_f64 v[92:93], v[86:87], v[212:213]
	s_waitcnt vmcnt(25)
	v_fmac_f64_e32 v[92:93], v[88:89], v[216:217]
	v_add_f64 v[232:233], v[90:91], v[92:93]
	ds_read_b128 v[90:93], v1 offset:1808
	ds_read_b128 v[94:97], v1 offset:1824
	;; [unrolled: 1-line block ×3, first 2 shown]
	v_mul_f64 v[4:5], v[28:29], v[136:137]
	v_fma_f64 v[4:5], v[26:27], v[140:141], -v[4:5]
	s_waitcnt lgkmcnt(2)
	v_mul_f64 v[102:103], v[90:91], v[188:189]
	s_waitcnt vmcnt(24)
	v_fmac_f64_e32 v[102:103], v[92:93], v[192:193]
	s_waitcnt vmcnt(18) lgkmcnt(1)
	v_mul_f64 v[104:105], v[94:95], v[218:219]
	v_add_f64 v[102:103], v[232:233], v[102:103]
	s_waitcnt vmcnt(16)
	v_fmac_f64_e32 v[104:105], v[96:97], v[222:223]
	v_add_f64 v[102:103], v[102:103], v[104:105]
	v_mul_f64 v[104:105], v[98:99], v[198:199]
	v_fmac_f64_e32 v[104:105], v[100:101], v[202:203]
	v_add_f64 v[114:115], v[102:103], v[104:105]
	ds_read_b128 v[102:105], v1 offset:1856
	s_waitcnt vmcnt(10) lgkmcnt(0)
	v_mul_f64 v[116:117], v[102:103], v[226:227]
	s_waitcnt vmcnt(8)
	v_fmac_f64_e32 v[116:117], v[104:105], v[238:239]
	v_add_f64 v[114:115], v[114:115], v[116:117]
	v_mul_f64 v[116:117], v[106:107], v[206:207]
	v_fmac_f64_e32 v[116:117], v[108:109], v[210:211]
	v_add_f64 v[114:115], v[114:115], v[116:117]
	s_waitcnt vmcnt(2)
	v_mul_f64 v[116:117], v[110:111], v[240:241]
	s_waitcnt vmcnt(0)
	v_fmac_f64_e32 v[116:117], v[112:113], v[242:243]
	v_add_f64 v[228:229], v[114:115], v[116:117]
	ds_read_b128 v[114:117], v1 offset:1904
	buffer_load_dword v252, off, s[0:3], 0 offset:432
	buffer_load_dword v253, off, s[0:3], 0 offset:436
	s_waitcnt lgkmcnt(0)
	v_mul_f64 v[230:231], v[114:115], v[220:221]
	v_fmac_f64_e32 v[230:231], v[116:117], v[224:225]
	v_add_f64 v[244:245], v[228:229], v[230:231]
	v_add_f64 v[228:229], v[234:235], 0
	;; [unrolled: 1-line block ×4, first 2 shown]
	buffer_load_dword v248, off, s[0:3], 0 offset:440
	buffer_load_dword v249, off, s[0:3], 0 offset:444
	v_add_f64 v[228:229], v[228:229], v[246:247]
	v_add_f64 v[22:23], v[228:229], v[22:23]
	;; [unrolled: 1-line block ×8, first 2 shown]
	v_mul_f64 v[4:5], v[32:33], v[146:147]
	v_fma_f64 v[4:5], v[30:31], v[150:151], -v[4:5]
	v_add_f64 v[2:3], v[2:3], v[4:5]
	v_mul_f64 v[4:5], v[36:37], v[148:149]
	v_fma_f64 v[4:5], v[34:35], v[152:153], -v[4:5]
	v_add_f64 v[2:3], v[2:3], v[4:5]
	;; [unrolled: 3-line block ×22, first 2 shown]
	s_waitcnt vmcnt(2)
	v_add_f64 v[2:3], v[252:253], -v[2:3]
	s_waitcnt vmcnt(0)
	v_add_f64 v[4:5], v[248:249], -v[244:245]
	buffer_store_dword v3, off, s[0:3], 0 offset:436
	buffer_store_dword v2, off, s[0:3], 0 offset:432
	;; [unrolled: 1-line block ×4, first 2 shown]
	s_and_saveexec_b64 s[4:5], vcc
	s_cbranch_execz .LBB59_323
; %bb.322:
	v_accvgpr_read_b32 v0, a154
	buffer_load_dword v2, v0, s[0:3], 0 offen
	buffer_load_dword v3, v0, s[0:3], 0 offen offset:4
	buffer_load_dword v4, v0, s[0:3], 0 offen offset:8
	;; [unrolled: 1-line block ×3, first 2 shown]
	v_accvgpr_read_b32 v0, a180
	buffer_store_dword v1, off, s[0:3], 0 offset:416
	buffer_store_dword v1, off, s[0:3], 0 offset:420
	;; [unrolled: 1-line block ×4, first 2 shown]
	s_waitcnt vmcnt(4)
	ds_write_b128 v0, v[2:5]
.LBB59_323:
	s_or_b64 exec, exec, s[4:5]
	s_waitcnt lgkmcnt(0)
	; wave barrier
	s_waitcnt lgkmcnt(0)
	buffer_load_dword v86, off, s[0:3], 0 offset:432
	buffer_load_dword v87, off, s[0:3], 0 offset:436
	;; [unrolled: 1-line block ×42, first 2 shown]
	ds_read_b128 v[94:97], v1 offset:1376
	ds_read_b128 v[106:109], v1 offset:1392
	;; [unrolled: 1-line block ×10, first 2 shown]
	buffer_load_dword v145, off, s[0:3], 0 offset:580
	buffer_load_dword v144, off, s[0:3], 0 offset:576
	ds_read_b128 v[6:9], v1 offset:1536
	buffer_load_dword v141, off, s[0:3], 0 offset:636
	buffer_load_dword v140, off, s[0:3], 0 offset:632
	;; [unrolled: 1-line block ×80, first 2 shown]
	s_waitcnt vmcnt(62) lgkmcnt(10)
	v_mul_f64 v[26:27], v[94:95], v[88:89]
	v_fmac_f64_e32 v[26:27], v[96:97], v[86:87]
	v_add_f64 v[26:27], v[26:27], 0
	v_mul_f64 v[88:89], v[96:97], v[88:89]
	s_waitcnt lgkmcnt(9)
	v_mul_f64 v[28:29], v[106:107], v[92:93]
	v_fmac_f64_e32 v[28:29], v[108:109], v[90:91]
	s_waitcnt lgkmcnt(8)
	v_mul_f64 v[30:31], v[114:115], v[98:99]
	v_add_f64 v[26:27], v[26:27], v[28:29]
	s_waitcnt lgkmcnt(6)
	v_mul_f64 v[34:35], v[248:249], v[110:111]
	v_fma_f64 v[234:235], v[94:95], v[86:87], -v[88:89]
	v_fmac_f64_e32 v[34:35], v[250:251], v[112:113]
	v_mul_f64 v[92:93], v[108:109], v[92:93]
	v_mul_f64 v[32:33], v[228:229], v[102:103]
	;; [unrolled: 1-line block ×3, first 2 shown]
	s_waitcnt lgkmcnt(4)
	v_mul_f64 v[38:39], v[18:19], v[118:119]
	v_mul_f64 v[102:103], v[230:231], v[102:103]
	v_fmac_f64_e32 v[38:39], v[20:21], v[120:121]
	v_mul_f64 v[110:111], v[250:251], v[110:111]
	v_mul_f64 v[36:37], v[22:23], v[122:123]
	v_fma_f64 v[248:249], v[248:249], v[112:113], -v[110:111]
	s_waitcnt lgkmcnt(2)
	v_mul_f64 v[42:43], v[10:11], v[124:125]
	v_mul_f64 v[20:21], v[20:21], v[118:119]
	v_fma_f64 v[18:19], v[18:19], v[120:121], -v[20:21]
	v_mul_f64 v[40:41], v[14:15], v[130:131]
	s_waitcnt lgkmcnt(1)
	v_mul_f64 v[44:45], v[2:3], v[128:129]
	v_fmac_f64_e32 v[30:31], v[116:117], v[100:101]
	v_add_f64 v[26:27], v[26:27], v[30:31]
	v_fmac_f64_e32 v[32:33], v[230:231], v[104:105]
	v_add_f64 v[26:27], v[26:27], v[32:33]
	;; [unrolled: 2-line block ×3, first 2 shown]
	v_add_f64 v[26:27], v[26:27], v[36:37]
	v_fmac_f64_e32 v[40:41], v[16:17], v[132:133]
	v_add_f64 v[26:27], v[26:27], v[38:39]
	v_fmac_f64_e32 v[42:43], v[12:13], v[126:127]
	v_add_f64 v[26:27], v[26:27], v[40:41]
	v_add_f64 v[26:27], v[26:27], v[42:43]
	s_waitcnt lgkmcnt(0)
	v_mul_f64 v[32:33], v[6:7], v[136:137]
	v_fmac_f64_e32 v[44:45], v[4:5], v[144:145]
	v_add_f64 v[30:31], v[26:27], v[44:45]
	ds_read_b128 v[26:29], v1 offset:1552
	v_fmac_f64_e32 v[32:33], v[8:9], v[138:139]
	v_add_f64 v[34:35], v[30:31], v[32:33]
	ds_read_b128 v[30:33], v1 offset:1568
	v_fma_f64 v[236:237], v[114:115], v[100:101], -v[98:99]
	s_waitcnt lgkmcnt(1)
	v_mul_f64 v[36:37], v[26:27], v[146:147]
	v_fmac_f64_e32 v[36:37], v[28:29], v[162:163]
	v_add_f64 v[38:39], v[34:35], v[36:37]
	ds_read_b128 v[34:37], v1 offset:1584
	s_waitcnt lgkmcnt(1)
	v_mul_f64 v[40:41], v[30:31], v[140:141]
	v_fmac_f64_e32 v[40:41], v[32:33], v[142:143]
	v_add_f64 v[42:43], v[38:39], v[40:41]
	ds_read_b128 v[38:41], v1 offset:1600
	;; [unrolled: 5-line block ×4, first 2 shown]
	s_waitcnt vmcnt(58) lgkmcnt(1)
	v_mul_f64 v[52:53], v[42:43], v[174:175]
	s_waitcnt vmcnt(56)
	v_fmac_f64_e32 v[52:53], v[44:45], v[178:179]
	v_add_f64 v[54:55], v[50:51], v[52:53]
	ds_read_b128 v[50:53], v1 offset:1648
	buffer_load_dword v222, off, s[0:3], 0 offset:952
	buffer_load_dword v227, off, s[0:3], 0 offset:940
	;; [unrolled: 1-line block ×8, first 2 shown]
	s_waitcnt lgkmcnt(1)
	v_mul_f64 v[56:57], v[46:47], v[152:153]
	v_fmac_f64_e32 v[56:57], v[48:49], v[154:155]
	v_add_f64 v[58:59], v[54:55], v[56:57]
	ds_read_b128 v[54:57], v1 offset:1664
	buffer_load_dword v241, off, s[0:3], 0 offset:972
	buffer_load_dword v240, off, s[0:3], 0 offset:968
	;; [unrolled: 1-line block ×4, first 2 shown]
	s_waitcnt vmcnt(62) lgkmcnt(1)
	v_mul_f64 v[60:61], v[50:51], v[182:183]
	s_waitcnt vmcnt(60)
	v_fmac_f64_e32 v[60:61], v[52:53], v[186:187]
	v_add_f64 v[62:63], v[58:59], v[60:61]
	ds_read_b128 v[58:61], v1 offset:1680
	s_waitcnt lgkmcnt(1)
	v_mul_f64 v[64:65], v[54:55], v[156:157]
	v_fmac_f64_e32 v[64:65], v[56:57], v[158:159]
	v_add_f64 v[66:67], v[62:63], v[64:65]
	ds_read_b128 v[62:65], v1 offset:1696
	s_waitcnt vmcnt(54) lgkmcnt(1)
	v_mul_f64 v[68:69], v[58:59], v[190:191]
	s_waitcnt vmcnt(52)
	v_fmac_f64_e32 v[68:69], v[60:61], v[194:195]
	v_add_f64 v[70:71], v[66:67], v[68:69]
	ds_read_b128 v[66:69], v1 offset:1712
	s_waitcnt lgkmcnt(1)
	v_mul_f64 v[72:73], v[62:63], v[160:161]
	v_fmac_f64_e32 v[72:73], v[64:65], v[164:165]
	v_add_f64 v[74:75], v[70:71], v[72:73]
	ds_read_b128 v[70:73], v1 offset:1728
	s_waitcnt vmcnt(46) lgkmcnt(1)
	v_mul_f64 v[76:77], v[66:67], v[198:199]
	s_waitcnt vmcnt(44)
	v_fmac_f64_e32 v[76:77], v[68:69], v[202:203]
	v_add_f64 v[82:83], v[74:75], v[76:77]
	ds_read_b128 v[74:77], v1 offset:1744
	ds_read_b128 v[78:81], v1 offset:1760
	s_waitcnt lgkmcnt(2)
	v_mul_f64 v[84:85], v[70:71], v[168:169]
	v_fmac_f64_e32 v[84:85], v[72:73], v[172:173]
	v_add_f64 v[82:83], v[82:83], v[84:85]
	s_waitcnt vmcnt(38) lgkmcnt(1)
	v_mul_f64 v[84:85], v[74:75], v[206:207]
	s_waitcnt vmcnt(36)
	v_fmac_f64_e32 v[84:85], v[76:77], v[208:209]
	v_add_f64 v[82:83], v[82:83], v[84:85]
	s_waitcnt lgkmcnt(0)
	v_mul_f64 v[84:85], v[78:79], v[176:177]
	v_fmac_f64_e32 v[84:85], v[80:81], v[180:181]
	v_add_f64 v[232:233], v[82:83], v[84:85]
	ds_read_b128 v[82:85], v1 offset:1776
	ds_read_b128 v[86:89], v1 offset:1792
	;; [unrolled: 1-line block ×3, first 2 shown]
	v_fma_f64 v[246:247], v[228:229], v[104:105], -v[102:103]
	ds_read_b128 v[102:105], v1 offset:1872
	ds_read_b128 v[110:113], v1 offset:1888
	s_waitcnt vmcnt(30) lgkmcnt(4)
	v_mul_f64 v[94:95], v[82:83], v[210:211]
	s_waitcnt vmcnt(28)
	v_fmac_f64_e32 v[94:95], v[84:85], v[212:213]
	v_add_f64 v[94:95], v[232:233], v[94:95]
	v_fma_f64 v[232:233], v[106:107], v[90:91], -v[92:93]
	ds_read_b128 v[90:93], v1 offset:1808
	s_waitcnt lgkmcnt(4)
	v_mul_f64 v[96:97], v[86:87], v[184:185]
	v_fmac_f64_e32 v[96:97], v[88:89], v[188:189]
	v_add_f64 v[106:107], v[94:95], v[96:97]
	ds_read_b128 v[94:97], v1 offset:1824
	s_waitcnt vmcnt(22) lgkmcnt(1)
	v_mul_f64 v[108:109], v[90:91], v[214:215]
	s_waitcnt vmcnt(20)
	v_fmac_f64_e32 v[108:109], v[92:93], v[216:217]
	v_add_f64 v[106:107], v[106:107], v[108:109]
	v_mul_f64 v[24:25], v[24:25], v[122:123]
	s_waitcnt lgkmcnt(0)
	v_mul_f64 v[108:109], v[94:95], v[192:193]
	v_fmac_f64_e32 v[108:109], v[96:97], v[196:197]
	v_add_f64 v[114:115], v[106:107], v[108:109]
	ds_read_b128 v[106:109], v1 offset:1856
	s_waitcnt vmcnt(14)
	v_mul_f64 v[116:117], v[98:99], v[218:219]
	s_waitcnt vmcnt(12)
	v_fmac_f64_e32 v[116:117], v[100:101], v[220:221]
	v_add_f64 v[114:115], v[114:115], v[116:117]
	v_fma_f64 v[22:23], v[22:23], v[134:135], -v[24:25]
	s_waitcnt lgkmcnt(0)
	v_mul_f64 v[116:117], v[106:107], v[200:201]
	v_fmac_f64_e32 v[116:117], v[108:109], v[204:205]
	v_add_f64 v[114:115], v[114:115], v[116:117]
	v_mul_f64 v[16:17], v[16:17], v[130:131]
	v_fma_f64 v[14:15], v[14:15], v[132:133], -v[16:17]
	v_mul_f64 v[12:13], v[12:13], v[124:125]
	v_fma_f64 v[10:11], v[10:11], v[126:127], -v[12:13]
	;; [unrolled: 2-line block ×4, first 2 shown]
	s_waitcnt vmcnt(9)
	v_mul_f64 v[116:117], v[102:103], v[226:227]
	s_waitcnt vmcnt(7)
	v_fmac_f64_e32 v[116:117], v[104:105], v[238:239]
	v_add_f64 v[114:115], v[114:115], v[116:117]
	s_waitcnt vmcnt(5)
	v_mul_f64 v[116:117], v[110:111], v[222:223]
	s_waitcnt vmcnt(4)
	v_fmac_f64_e32 v[116:117], v[112:113], v[224:225]
	v_add_f64 v[228:229], v[114:115], v[116:117]
	ds_read_b128 v[114:117], v1 offset:1904
	buffer_load_dword v254, off, s[0:3], 0 offset:416
	buffer_load_dword v255, off, s[0:3], 0 offset:420
	;; [unrolled: 1-line block ×4, first 2 shown]
	s_waitcnt vmcnt(6) lgkmcnt(0)
	v_mul_f64 v[230:231], v[114:115], v[240:241]
	s_waitcnt vmcnt(4)
	v_fmac_f64_e32 v[230:231], v[116:117], v[242:243]
	v_add_f64 v[244:245], v[228:229], v[230:231]
	v_add_f64 v[228:229], v[234:235], 0
	;; [unrolled: 1-line block ×12, first 2 shown]
	v_mul_f64 v[4:5], v[28:29], v[146:147]
	v_fma_f64 v[4:5], v[26:27], v[162:163], -v[4:5]
	v_add_f64 v[2:3], v[2:3], v[4:5]
	v_mul_f64 v[4:5], v[32:33], v[140:141]
	v_fma_f64 v[4:5], v[30:31], v[142:143], -v[4:5]
	v_add_f64 v[2:3], v[2:3], v[4:5]
	;; [unrolled: 3-line block ×23, first 2 shown]
	s_waitcnt vmcnt(2)
	v_add_f64 v[2:3], v[254:255], -v[2:3]
	v_accvgpr_read_b32 v254, a179
	v_cmp_lt_u32_e32 vcc, 24, v254
	s_waitcnt vmcnt(0)
	v_add_f64 v[4:5], v[252:253], -v[244:245]
	buffer_store_dword v3, off, s[0:3], 0 offset:420
	buffer_store_dword v2, off, s[0:3], 0 offset:416
	;; [unrolled: 1-line block ×4, first 2 shown]
	s_and_saveexec_b64 s[4:5], vcc
	s_cbranch_execz .LBB59_325
; %bb.324:
	v_accvgpr_read_b32 v0, a155
	buffer_load_dword v2, v0, s[0:3], 0 offen
	buffer_load_dword v3, v0, s[0:3], 0 offen offset:4
	buffer_load_dword v4, v0, s[0:3], 0 offen offset:8
	;; [unrolled: 1-line block ×3, first 2 shown]
	v_mov_b32_e32 v0, 0
	v_accvgpr_read_b32 v1, a180
	buffer_store_dword v0, off, s[0:3], 0 offset:400
	buffer_store_dword v0, off, s[0:3], 0 offset:404
	;; [unrolled: 1-line block ×4, first 2 shown]
	s_waitcnt vmcnt(4)
	ds_write_b128 v1, v[2:5]
.LBB59_325:
	s_or_b64 exec, exec, s[4:5]
	s_waitcnt lgkmcnt(0)
	; wave barrier
	s_waitcnt lgkmcnt(0)
	buffer_load_dword v82, off, s[0:3], 0 offset:416
	buffer_load_dword v83, off, s[0:3], 0 offset:420
	;; [unrolled: 1-line block ×54, first 2 shown]
	v_mov_b32_e32 v1, 0
	ds_read_b128 v[90:93], v1 offset:1360
	ds_read_b128 v[106:109], v1 offset:1376
	;; [unrolled: 1-line block ×9, first 2 shown]
	buffer_load_dword v149, off, s[0:3], 0 offset:644
	buffer_load_dword v148, off, s[0:3], 0 offset:640
	;; [unrolled: 1-line block ×62, first 2 shown]
	v_cmp_lt_u32_e32 vcc, 23, v254
	s_waitcnt vmcnt(62) lgkmcnt(8)
	v_mul_f64 v[14:15], v[90:91], v[84:85]
	v_fmac_f64_e32 v[14:15], v[92:93], v[82:83]
	v_add_f64 v[14:15], v[14:15], 0
	v_mul_f64 v[84:85], v[92:93], v[84:85]
	s_waitcnt lgkmcnt(7)
	v_mul_f64 v[16:17], v[106:107], v[88:89]
	v_fmac_f64_e32 v[16:17], v[108:109], v[86:87]
	s_waitcnt lgkmcnt(6)
	v_mul_f64 v[18:19], v[114:115], v[94:95]
	v_add_f64 v[14:15], v[14:15], v[16:17]
	s_waitcnt lgkmcnt(4)
	v_mul_f64 v[22:23], v[242:243], v[102:103]
	v_fma_f64 v[234:235], v[90:91], v[82:83], -v[84:85]
	v_fmac_f64_e32 v[22:23], v[244:245], v[104:105]
	v_mul_f64 v[88:89], v[108:109], v[88:89]
	v_mul_f64 v[20:21], v[228:229], v[98:99]
	v_fma_f64 v[236:237], v[106:107], v[86:87], -v[88:89]
	s_waitcnt lgkmcnt(2)
	v_mul_f64 v[26:27], v[10:11], v[118:119]
	v_mul_f64 v[94:95], v[116:117], v[94:95]
	v_fmac_f64_e32 v[26:27], v[12:13], v[120:121]
	v_mul_f64 v[98:99], v[230:231], v[98:99]
	v_mul_f64 v[24:25], v[246:247], v[110:111]
	;; [unrolled: 1-line block ×3, first 2 shown]
	s_waitcnt lgkmcnt(1)
	v_mul_f64 v[28:29], v[6:7], v[122:123]
	v_mul_f64 v[110:111], v[248:249], v[110:111]
	v_fmac_f64_e32 v[18:19], v[116:117], v[96:97]
	v_add_f64 v[14:15], v[14:15], v[18:19]
	v_fmac_f64_e32 v[20:21], v[230:231], v[100:101]
	v_add_f64 v[14:15], v[14:15], v[20:21]
	;; [unrolled: 2-line block ×3, first 2 shown]
	v_add_f64 v[14:15], v[14:15], v[24:25]
	v_fmac_f64_e32 v[28:29], v[8:9], v[126:127]
	v_add_f64 v[14:15], v[14:15], v[26:27]
	v_add_f64 v[18:19], v[14:15], v[28:29]
	ds_read_b128 v[14:17], v1 offset:1504
	s_waitcnt lgkmcnt(1)
	v_mul_f64 v[20:21], v[2:3], v[124:125]
	v_fmac_f64_e32 v[20:21], v[4:5], v[128:129]
	v_add_f64 v[22:23], v[18:19], v[20:21]
	ds_read_b128 v[18:21], v1 offset:1520
	s_waitcnt lgkmcnt(1)
	v_mul_f64 v[24:25], v[14:15], v[134:135]
	v_fmac_f64_e32 v[24:25], v[16:17], v[136:137]
	;; [unrolled: 5-line block ×5, first 2 shown]
	v_add_f64 v[38:39], v[34:35], v[36:37]
	ds_read_b128 v[34:37], v1 offset:1584
	s_waitcnt vmcnt(58) lgkmcnt(1)
	v_mul_f64 v[40:41], v[30:31], v[162:163]
	s_waitcnt vmcnt(56)
	v_fmac_f64_e32 v[40:41], v[32:33], v[166:167]
	v_add_f64 v[42:43], v[38:39], v[40:41]
	ds_read_b128 v[38:41], v1 offset:1600
	s_waitcnt lgkmcnt(1)
	v_mul_f64 v[44:45], v[34:35], v[142:143]
	v_fmac_f64_e32 v[44:45], v[36:37], v[148:149]
	v_add_f64 v[46:47], v[42:43], v[44:45]
	ds_read_b128 v[42:45], v1 offset:1616
	s_waitcnt vmcnt(50) lgkmcnt(1)
	v_mul_f64 v[48:49], v[38:39], v[170:171]
	s_waitcnt vmcnt(48)
	v_fmac_f64_e32 v[48:49], v[40:41], v[174:175]
	v_add_f64 v[50:51], v[46:47], v[48:49]
	ds_read_b128 v[46:49], v1 offset:1632
	buffer_load_dword v211, off, s[0:3], 0 offset:892
	buffer_load_dword v210, off, s[0:3], 0 offset:888
	;; [unrolled: 1-line block ×8, first 2 shown]
	s_waitcnt lgkmcnt(1)
	v_mul_f64 v[52:53], v[42:43], v[150:151]
	v_fmac_f64_e32 v[52:53], v[44:45], v[152:153]
	v_add_f64 v[54:55], v[50:51], v[52:53]
	ds_read_b128 v[50:53], v1 offset:1648
	s_waitcnt vmcnt(50) lgkmcnt(1)
	v_mul_f64 v[56:57], v[46:47], v[178:179]
	s_waitcnt vmcnt(48)
	v_fmac_f64_e32 v[56:57], v[48:49], v[182:183]
	buffer_load_dword v215, off, s[0:3], 0 offset:940
	buffer_load_dword v221, off, s[0:3], 0 offset:924
	;; [unrolled: 1-line block ×12, first 2 shown]
	v_add_f64 v[58:59], v[54:55], v[56:57]
	ds_read_b128 v[54:57], v1 offset:1664
	s_waitcnt lgkmcnt(1)
	v_mul_f64 v[60:61], v[50:51], v[154:155]
	v_fmac_f64_e32 v[60:61], v[52:53], v[156:157]
	v_add_f64 v[62:63], v[58:59], v[60:61]
	ds_read_b128 v[58:61], v1 offset:1680
	s_waitcnt vmcnt(54) lgkmcnt(1)
	v_mul_f64 v[64:65], v[54:55], v[186:187]
	s_waitcnt vmcnt(52)
	v_fmac_f64_e32 v[64:65], v[56:57], v[190:191]
	v_add_f64 v[66:67], v[62:63], v[64:65]
	ds_read_b128 v[62:65], v1 offset:1696
	s_waitcnt lgkmcnt(1)
	v_mul_f64 v[68:69], v[58:59], v[158:159]
	v_fmac_f64_e32 v[68:69], v[60:61], v[160:161]
	v_add_f64 v[70:71], v[66:67], v[68:69]
	ds_read_b128 v[66:69], v1 offset:1712
	s_waitcnt vmcnt(46) lgkmcnt(1)
	v_mul_f64 v[72:73], v[62:63], v[194:195]
	s_waitcnt vmcnt(44)
	v_fmac_f64_e32 v[72:73], v[64:65], v[196:197]
	v_add_f64 v[78:79], v[70:71], v[72:73]
	ds_read_b128 v[70:73], v1 offset:1728
	ds_read_b128 v[74:77], v1 offset:1744
	s_waitcnt lgkmcnt(2)
	v_mul_f64 v[80:81], v[66:67], v[164:165]
	v_fmac_f64_e32 v[80:81], v[68:69], v[168:169]
	v_add_f64 v[78:79], v[78:79], v[80:81]
	s_waitcnt vmcnt(38) lgkmcnt(1)
	v_mul_f64 v[80:81], v[70:71], v[198:199]
	s_waitcnt vmcnt(36)
	v_fmac_f64_e32 v[80:81], v[72:73], v[200:201]
	v_add_f64 v[78:79], v[78:79], v[80:81]
	s_waitcnt lgkmcnt(0)
	v_mul_f64 v[80:81], v[74:75], v[172:173]
	v_fmac_f64_e32 v[80:81], v[76:77], v[176:177]
	v_add_f64 v[232:233], v[78:79], v[80:81]
	ds_read_b128 v[78:81], v1 offset:1760
	ds_read_b128 v[82:85], v1 offset:1776
	;; [unrolled: 1-line block ×3, first 2 shown]
	v_fma_f64 v[228:229], v[228:229], v[100:101], -v[98:99]
	ds_read_b128 v[98:101], v1 offset:1840
	s_waitcnt vmcnt(30) lgkmcnt(3)
	v_mul_f64 v[90:91], v[78:79], v[202:203]
	s_waitcnt vmcnt(28)
	v_fmac_f64_e32 v[90:91], v[80:81], v[204:205]
	s_waitcnt lgkmcnt(2)
	v_mul_f64 v[92:93], v[82:83], v[180:181]
	v_add_f64 v[90:91], v[232:233], v[90:91]
	v_fmac_f64_e32 v[92:93], v[84:85], v[184:185]
	v_add_f64 v[90:91], v[90:91], v[92:93]
	v_fma_f64 v[232:233], v[114:115], v[96:97], -v[94:95]
	ds_read_b128 v[94:97], v1 offset:1824
	s_waitcnt vmcnt(22) lgkmcnt(2)
	v_mul_f64 v[92:93], v[86:87], v[206:207]
	s_waitcnt vmcnt(20)
	v_fmac_f64_e32 v[92:93], v[88:89], v[208:209]
	v_add_f64 v[106:107], v[90:91], v[92:93]
	ds_read_b128 v[90:93], v1 offset:1808
	buffer_load_dword v240, off, s[0:3], 0 offset:968
	v_fma_f64 v[230:231], v[242:243], v[104:105], -v[102:103]
	ds_read_b128 v[102:105], v1 offset:1856
	v_fma_f64 v[250:251], v[246:247], v[112:113], -v[110:111]
	s_waitcnt lgkmcnt(1)
	v_mul_f64 v[108:109], v[90:91], v[188:189]
	v_fmac_f64_e32 v[108:109], v[92:93], v[192:193]
	v_add_f64 v[106:107], v[106:107], v[108:109]
	ds_read_b128 v[110:113], v1 offset:1888
	v_add_f64 v[234:235], v[234:235], 0
	v_add_f64 v[234:235], v[234:235], v[236:237]
	;; [unrolled: 1-line block ×5, first 2 shown]
	v_mul_f64 v[12:13], v[12:13], v[118:119]
	v_add_f64 v[228:229], v[252:253], v[250:251]
	v_fma_f64 v[10:11], v[10:11], v[120:121], -v[12:13]
	v_mul_f64 v[8:9], v[8:9], v[122:123]
	v_add_f64 v[10:11], v[228:229], v[10:11]
	v_fma_f64 v[6:7], v[6:7], v[126:127], -v[8:9]
	;; [unrolled: 3-line block ×3, first 2 shown]
	v_mul_f64 v[4:5], v[16:17], v[134:135]
	v_add_f64 v[2:3], v[6:7], v[2:3]
	s_waitcnt vmcnt(19)
	v_mul_f64 v[108:109], v[94:95], v[210:211]
	v_fma_f64 v[4:5], v[14:15], v[136:137], -v[4:5]
	s_waitcnt vmcnt(17)
	v_fmac_f64_e32 v[108:109], v[96:97], v[212:213]
	v_add_f64 v[106:107], v[106:107], v[108:109]
	s_waitcnt vmcnt(15)
	v_mul_f64 v[108:109], v[98:99], v[216:217]
	s_waitcnt vmcnt(13)
	v_fmac_f64_e32 v[108:109], v[100:101], v[218:219]
	v_add_f64 v[114:115], v[106:107], v[108:109]
	ds_read_b128 v[106:109], v1 offset:1872
	buffer_load_dword v244, off, s[0:3], 0 offset:960
	buffer_load_dword v241, off, s[0:3], 0 offset:972
	buffer_load_dword v245, off, s[0:3], 0 offset:964
	s_waitcnt vmcnt(13) lgkmcnt(2)
	v_mul_f64 v[116:117], v[102:103], v[220:221]
	s_waitcnt vmcnt(11)
	v_fmac_f64_e32 v[116:117], v[104:105], v[226:227]
	v_add_f64 v[114:115], v[114:115], v[116:117]
	s_waitcnt vmcnt(10) lgkmcnt(0)
	v_mul_f64 v[116:117], v[106:107], v[214:215]
	s_waitcnt vmcnt(8)
	v_fmac_f64_e32 v[116:117], v[108:109], v[224:225]
	v_add_f64 v[114:115], v[114:115], v[116:117]
	s_waitcnt vmcnt(6)
	v_mul_f64 v[116:117], v[110:111], v[222:223]
	s_waitcnt vmcnt(4)
	v_fmac_f64_e32 v[116:117], v[112:113], v[238:239]
	v_add_f64 v[242:243], v[114:115], v[116:117]
	ds_read_b128 v[114:117], v1 offset:1904
	buffer_load_dword v248, off, s[0:3], 0 offset:400
	buffer_load_dword v249, off, s[0:3], 0 offset:404
	v_add_f64 v[2:3], v[2:3], v[4:5]
	v_mul_f64 v[4:5], v[20:21], v[130:131]
	v_fma_f64 v[4:5], v[18:19], v[132:133], -v[4:5]
	v_add_f64 v[2:3], v[2:3], v[4:5]
	v_mul_f64 v[4:5], v[24:25], v[144:145]
	v_fma_f64 v[4:5], v[22:23], v[146:147], -v[4:5]
	;; [unrolled: 3-line block ×22, first 2 shown]
	v_add_f64 v[2:3], v[2:3], v[4:5]
	s_waitcnt vmcnt(3) lgkmcnt(0)
	v_mul_f64 v[246:247], v[114:115], v[240:241]
	s_waitcnt vmcnt(2)
	v_fmac_f64_e32 v[246:247], v[116:117], v[244:245]
	v_add_f64 v[242:243], v[242:243], v[246:247]
	buffer_load_dword v246, off, s[0:3], 0 offset:408
	buffer_load_dword v247, off, s[0:3], 0 offset:412
	v_mul_f64 v[4:5], v[108:109], v[214:215]
	v_fma_f64 v[4:5], v[106:107], v[224:225], -v[4:5]
	v_add_f64 v[2:3], v[2:3], v[4:5]
	v_mul_f64 v[4:5], v[112:113], v[222:223]
	v_fma_f64 v[4:5], v[110:111], v[238:239], -v[4:5]
	v_add_f64 v[2:3], v[2:3], v[4:5]
	;; [unrolled: 3-line block ×3, first 2 shown]
	s_waitcnt vmcnt(2)
	v_add_f64 v[2:3], v[248:249], -v[2:3]
	s_waitcnt vmcnt(0)
	v_add_f64 v[4:5], v[246:247], -v[242:243]
	buffer_store_dword v3, off, s[0:3], 0 offset:404
	buffer_store_dword v2, off, s[0:3], 0 offset:400
	;; [unrolled: 1-line block ×4, first 2 shown]
	s_and_saveexec_b64 s[4:5], vcc
	s_cbranch_execz .LBB59_327
; %bb.326:
	v_accvgpr_read_b32 v0, a156
	buffer_load_dword v2, v0, s[0:3], 0 offen
	buffer_load_dword v3, v0, s[0:3], 0 offen offset:4
	buffer_load_dword v4, v0, s[0:3], 0 offen offset:8
	;; [unrolled: 1-line block ×3, first 2 shown]
	v_accvgpr_read_b32 v0, a180
	buffer_store_dword v1, off, s[0:3], 0 offset:384
	buffer_store_dword v1, off, s[0:3], 0 offset:388
	;; [unrolled: 1-line block ×4, first 2 shown]
	s_waitcnt vmcnt(4)
	ds_write_b128 v0, v[2:5]
.LBB59_327:
	s_or_b64 exec, exec, s[4:5]
	s_waitcnt lgkmcnt(0)
	; wave barrier
	s_waitcnt lgkmcnt(0)
	buffer_load_dword v84, off, s[0:3], 0 offset:400
	buffer_load_dword v85, off, s[0:3], 0 offset:404
	;; [unrolled: 1-line block ×34, first 2 shown]
	ds_read_b128 v[74:77], v1 offset:1344
	ds_read_b128 v[78:81], v1 offset:1360
	;; [unrolled: 1-line block ×8, first 2 shown]
	buffer_load_dword v125, off, s[0:3], 0 offset:516
	buffer_load_dword v124, off, s[0:3], 0 offset:512
	ds_read_b128 v[6:9], v1 offset:1472
	buffer_load_dword v127, off, s[0:3], 0 offset:572
	buffer_load_dword v126, off, s[0:3], 0 offset:568
	;; [unrolled: 1-line block ×80, first 2 shown]
	s_waitcnt vmcnt(62) lgkmcnt(8)
	v_mul_f64 v[10:11], v[74:75], v[106:107]
	v_fmac_f64_e32 v[10:11], v[76:77], v[84:85]
	v_add_f64 v[10:11], v[10:11], 0
	v_mul_f64 v[76:77], v[76:77], v[106:107]
	s_waitcnt lgkmcnt(7)
	v_mul_f64 v[12:13], v[78:79], v[96:97]
	v_fmac_f64_e32 v[12:13], v[80:81], v[82:83]
	s_waitcnt lgkmcnt(6)
	v_mul_f64 v[14:15], v[86:87], v[94:95]
	v_add_f64 v[10:11], v[10:11], v[12:13]
	s_waitcnt lgkmcnt(4)
	v_mul_f64 v[18:19], v[98:99], v[108:109]
	v_fma_f64 v[230:231], v[74:75], v[84:85], -v[76:77]
	v_fmac_f64_e32 v[18:19], v[100:101], v[114:115]
	v_mul_f64 v[80:81], v[80:81], v[96:97]
	v_mul_f64 v[16:17], v[90:91], v[116:117]
	v_fma_f64 v[232:233], v[78:79], v[82:83], -v[80:81]
	s_waitcnt lgkmcnt(2)
	v_mul_f64 v[22:23], v[110:111], v[240:241]
	v_mul_f64 v[100:101], v[100:101], v[108:109]
	v_fma_f64 v[236:237], v[98:99], v[114:115], -v[100:101]
	v_mul_f64 v[20:21], v[102:103], v[244:245]
	v_add_f64 v[230:231], v[230:231], 0
	s_waitcnt lgkmcnt(1)
	v_mul_f64 v[24:25], v[2:3], v[118:119]
	v_add_f64 v[230:231], v[230:231], v[232:233]
	v_fmac_f64_e32 v[14:15], v[88:89], v[250:251]
	v_add_f64 v[10:11], v[10:11], v[14:15]
	v_fmac_f64_e32 v[16:17], v[92:93], v[248:249]
	;; [unrolled: 2-line block ×4, first 2 shown]
	v_add_f64 v[10:11], v[10:11], v[20:21]
	v_add_f64 v[10:11], v[10:11], v[22:23]
	s_waitcnt lgkmcnt(0)
	v_mul_f64 v[16:17], v[6:7], v[120:121]
	v_fmac_f64_e32 v[16:17], v[8:9], v[122:123]
	v_fmac_f64_e32 v[24:25], v[4:5], v[124:125]
	v_add_f64 v[14:15], v[10:11], v[24:25]
	ds_read_b128 v[10:13], v1 offset:1488
	v_add_f64 v[18:19], v[14:15], v[16:17]
	ds_read_b128 v[14:17], v1 offset:1504
	v_mul_f64 v[88:89], v[88:89], v[94:95]
	v_mul_f64 v[92:93], v[92:93], v[116:117]
	s_waitcnt lgkmcnt(1)
	v_mul_f64 v[20:21], v[10:11], v[130:131]
	v_fmac_f64_e32 v[20:21], v[12:13], v[132:133]
	s_waitcnt lgkmcnt(0)
	v_mul_f64 v[24:25], v[14:15], v[126:127]
	v_add_f64 v[22:23], v[18:19], v[20:21]
	ds_read_b128 v[18:21], v1 offset:1520
	v_fmac_f64_e32 v[24:25], v[16:17], v[128:129]
	v_add_f64 v[26:27], v[22:23], v[24:25]
	ds_read_b128 v[22:25], v1 offset:1536
	v_fma_f64 v[234:235], v[90:91], v[248:249], -v[92:93]
	s_waitcnt lgkmcnt(1)
	v_mul_f64 v[28:29], v[18:19], v[142:143]
	v_fmac_f64_e32 v[28:29], v[20:21], v[144:145]
	v_add_f64 v[30:31], v[26:27], v[28:29]
	s_waitcnt lgkmcnt(0)
	v_mul_f64 v[32:33], v[22:23], v[134:135]
	ds_read_b128 v[26:29], v1 offset:1552
	v_fmac_f64_e32 v[32:33], v[24:25], v[136:137]
	v_add_f64 v[34:35], v[30:31], v[32:33]
	ds_read_b128 v[30:33], v1 offset:1568
	v_mul_f64 v[104:105], v[104:105], v[244:245]
	s_waitcnt vmcnt(58) lgkmcnt(1)
	v_mul_f64 v[36:37], v[26:27], v[158:159]
	s_waitcnt vmcnt(56)
	v_fmac_f64_e32 v[36:37], v[28:29], v[162:163]
	v_add_f64 v[38:39], v[34:35], v[36:37]
	s_waitcnt lgkmcnt(0)
	v_mul_f64 v[40:41], v[30:31], v[138:139]
	ds_read_b128 v[34:37], v1 offset:1584
	v_fmac_f64_e32 v[40:41], v[32:33], v[140:141]
	v_add_f64 v[42:43], v[38:39], v[40:41]
	ds_read_b128 v[38:41], v1 offset:1600
	v_mul_f64 v[112:113], v[112:113], v[240:241]
	s_waitcnt vmcnt(50) lgkmcnt(1)
	v_mul_f64 v[44:45], v[34:35], v[166:167]
	s_waitcnt vmcnt(48)
	v_fmac_f64_e32 v[44:45], v[36:37], v[170:171]
	v_add_f64 v[46:47], v[42:43], v[44:45]
	s_waitcnt lgkmcnt(0)
	v_mul_f64 v[48:49], v[38:39], v[146:147]
	v_fmac_f64_e32 v[48:49], v[40:41], v[148:149]
	ds_read_b128 v[42:45], v1 offset:1616
	v_add_f64 v[50:51], v[46:47], v[48:49]
	ds_read_b128 v[46:49], v1 offset:1632
	buffer_load_dword v207, off, s[0:3], 0 offset:892
	buffer_load_dword v209, off, s[0:3], 0 offset:876
	;; [unrolled: 1-line block ×12, first 2 shown]
	v_fma_f64 v[252:253], v[110:111], v[242:243], -v[112:113]
	s_waitcnt vmcnt(54) lgkmcnt(1)
	v_mul_f64 v[52:53], v[42:43], v[174:175]
	s_waitcnt vmcnt(52)
	v_fmac_f64_e32 v[52:53], v[44:45], v[178:179]
	v_add_f64 v[54:55], v[50:51], v[52:53]
	ds_read_b128 v[50:53], v1 offset:1648
	s_waitcnt lgkmcnt(1)
	v_mul_f64 v[56:57], v[46:47], v[150:151]
	v_fmac_f64_e32 v[56:57], v[48:49], v[152:153]
	buffer_load_dword v221, off, s[0:3], 0 offset:924
	buffer_load_dword v220, off, s[0:3], 0 offset:920
	;; [unrolled: 1-line block ×12, first 2 shown]
	v_add_f64 v[58:59], v[54:55], v[56:57]
	ds_read_b128 v[54:57], v1 offset:1664
	s_waitcnt vmcnt(58) lgkmcnt(1)
	v_mul_f64 v[60:61], v[50:51], v[182:183]
	s_waitcnt vmcnt(56)
	v_fmac_f64_e32 v[60:61], v[52:53], v[186:187]
	v_add_f64 v[62:63], v[58:59], v[60:61]
	ds_read_b128 v[58:61], v1 offset:1680
	s_waitcnt lgkmcnt(1)
	v_mul_f64 v[64:65], v[54:55], v[154:155]
	v_fmac_f64_e32 v[64:65], v[56:57], v[156:157]
	v_add_f64 v[70:71], v[62:63], v[64:65]
	ds_read_b128 v[62:65], v1 offset:1696
	ds_read_b128 v[66:69], v1 offset:1712
	s_waitcnt vmcnt(50) lgkmcnt(2)
	v_mul_f64 v[72:73], v[58:59], v[190:191]
	s_waitcnt vmcnt(48)
	v_fmac_f64_e32 v[72:73], v[60:61], v[192:193]
	v_add_f64 v[70:71], v[70:71], v[72:73]
	s_waitcnt lgkmcnt(1)
	v_mul_f64 v[72:73], v[62:63], v[160:161]
	v_fmac_f64_e32 v[72:73], v[64:65], v[164:165]
	v_add_f64 v[70:71], v[70:71], v[72:73]
	s_waitcnt vmcnt(42) lgkmcnt(0)
	v_mul_f64 v[72:73], v[66:67], v[194:195]
	s_waitcnt vmcnt(40)
	v_fmac_f64_e32 v[72:73], v[68:69], v[196:197]
	v_add_f64 v[228:229], v[70:71], v[72:73]
	ds_read_b128 v[70:73], v1 offset:1728
	ds_read_b128 v[74:77], v1 offset:1744
	;; [unrolled: 1-line block ×5, first 2 shown]
	s_waitcnt lgkmcnt(4)
	v_mul_f64 v[84:85], v[70:71], v[168:169]
	v_fmac_f64_e32 v[84:85], v[72:73], v[172:173]
	v_add_f64 v[82:83], v[228:229], v[84:85]
	s_waitcnt vmcnt(34) lgkmcnt(3)
	v_mul_f64 v[84:85], v[74:75], v[198:199]
	s_waitcnt vmcnt(32)
	v_fmac_f64_e32 v[84:85], v[76:77], v[200:201]
	v_add_f64 v[82:83], v[82:83], v[84:85]
	v_fma_f64 v[228:229], v[86:87], v[250:251], -v[88:89]
	ds_read_b128 v[86:89], v1 offset:1792
	s_waitcnt lgkmcnt(3)
	v_mul_f64 v[84:85], v[78:79], v[176:177]
	v_fmac_f64_e32 v[84:85], v[80:81], v[180:181]
	v_add_f64 v[96:97], v[82:83], v[84:85]
	ds_read_b128 v[82:85], v1 offset:1776
	v_fma_f64 v[250:251], v[102:103], v[246:247], -v[104:105]
	ds_read_b128 v[110:113], v1 offset:1888
	v_add_f64 v[228:229], v[230:231], v[228:229]
	v_add_f64 v[228:229], v[228:229], v[234:235]
	s_waitcnt vmcnt(26) lgkmcnt(1)
	v_mul_f64 v[94:95], v[82:83], v[202:203]
	s_waitcnt vmcnt(24)
	v_fmac_f64_e32 v[94:95], v[84:85], v[204:205]
	v_add_f64 v[94:95], v[96:97], v[94:95]
	v_mul_f64 v[96:97], v[86:87], v[184:185]
	v_fmac_f64_e32 v[96:97], v[88:89], v[188:189]
	v_add_f64 v[106:107], v[94:95], v[96:97]
	ds_read_b128 v[94:97], v1 offset:1824
	v_add_f64 v[254:255], v[228:229], v[236:237]
	v_add_f64 v[228:229], v[254:255], v[250:251]
	v_mul_f64 v[4:5], v[4:5], v[118:119]
	v_add_f64 v[228:229], v[228:229], v[252:253]
	ds_read_b128 v[102:105], v1 offset:1872
	v_fma_f64 v[2:3], v[2:3], v[124:125], -v[4:5]
	v_mul_f64 v[4:5], v[8:9], v[120:121]
	v_add_f64 v[2:3], v[228:229], v[2:3]
	v_fma_f64 v[4:5], v[6:7], v[122:123], -v[4:5]
	v_add_f64 v[2:3], v[2:3], v[4:5]
	v_mul_f64 v[4:5], v[12:13], v[130:131]
	v_fma_f64 v[4:5], v[10:11], v[132:133], -v[4:5]
	v_add_f64 v[2:3], v[2:3], v[4:5]
	v_mul_f64 v[4:5], v[16:17], v[126:127]
	s_waitcnt vmcnt(21)
	v_mul_f64 v[108:109], v[90:91], v[208:209]
	v_fma_f64 v[4:5], v[14:15], v[128:129], -v[4:5]
	s_waitcnt vmcnt(19)
	v_fmac_f64_e32 v[108:109], v[92:93], v[214:215]
	v_add_f64 v[106:107], v[106:107], v[108:109]
	s_waitcnt vmcnt(18) lgkmcnt(1)
	v_mul_f64 v[108:109], v[94:95], v[206:207]
	s_waitcnt vmcnt(16)
	v_fmac_f64_e32 v[108:109], v[96:97], v[212:213]
	v_add_f64 v[114:115], v[106:107], v[108:109]
	ds_read_b128 v[106:109], v1 offset:1856
	buffer_load_dword v243, off, s[0:3], 0 offset:972
	buffer_load_dword v242, off, s[0:3], 0 offset:968
	;; [unrolled: 1-line block ×4, first 2 shown]
	s_waitcnt vmcnt(18)
	v_mul_f64 v[116:117], v[98:99], v[210:211]
	s_waitcnt vmcnt(16)
	v_fmac_f64_e32 v[116:117], v[100:101], v[216:217]
	v_add_f64 v[114:115], v[114:115], v[116:117]
	s_waitcnt vmcnt(14) lgkmcnt(0)
	v_mul_f64 v[116:117], v[106:107], v[220:221]
	s_waitcnt vmcnt(12)
	v_fmac_f64_e32 v[116:117], v[108:109], v[222:223]
	v_add_f64 v[114:115], v[114:115], v[116:117]
	s_waitcnt vmcnt(9)
	v_mul_f64 v[116:117], v[102:103], v[226:227]
	s_waitcnt vmcnt(7)
	v_fmac_f64_e32 v[116:117], v[104:105], v[238:239]
	v_add_f64 v[114:115], v[114:115], v[116:117]
	s_waitcnt vmcnt(5)
	v_mul_f64 v[116:117], v[110:111], v[218:219]
	s_waitcnt vmcnt(4)
	v_fmac_f64_e32 v[116:117], v[112:113], v[224:225]
	v_add_f64 v[240:241], v[114:115], v[116:117]
	ds_read_b128 v[114:117], v1 offset:1904
	v_add_f64 v[2:3], v[2:3], v[4:5]
	v_mul_f64 v[4:5], v[20:21], v[142:143]
	v_fma_f64 v[4:5], v[18:19], v[144:145], -v[4:5]
	v_add_f64 v[2:3], v[2:3], v[4:5]
	v_mul_f64 v[4:5], v[24:25], v[134:135]
	v_fma_f64 v[4:5], v[22:23], v[136:137], -v[4:5]
	;; [unrolled: 3-line block ×21, first 2 shown]
	v_add_f64 v[2:3], v[2:3], v[4:5]
	s_waitcnt vmcnt(2) lgkmcnt(0)
	v_mul_f64 v[246:247], v[114:115], v[242:243]
	v_mul_f64 v[4:5], v[108:109], v[220:221]
	s_waitcnt vmcnt(0)
	v_fmac_f64_e32 v[246:247], v[116:117], v[244:245]
	v_add_f64 v[240:241], v[240:241], v[246:247]
	buffer_load_dword v248, off, s[0:3], 0 offset:384
	buffer_load_dword v249, off, s[0:3], 0 offset:388
	;; [unrolled: 1-line block ×4, first 2 shown]
	v_fma_f64 v[4:5], v[106:107], v[222:223], -v[4:5]
	v_add_f64 v[2:3], v[2:3], v[4:5]
	v_mul_f64 v[4:5], v[104:105], v[226:227]
	v_fma_f64 v[4:5], v[102:103], v[238:239], -v[4:5]
	v_add_f64 v[2:3], v[2:3], v[4:5]
	v_mul_f64 v[4:5], v[112:113], v[218:219]
	;; [unrolled: 3-line block ×3, first 2 shown]
	v_fma_f64 v[4:5], v[114:115], v[244:245], -v[4:5]
	v_add_f64 v[2:3], v[2:3], v[4:5]
	v_accvgpr_read_b32 v254, a179
	v_cmp_lt_u32_e32 vcc, 22, v254
	s_waitcnt vmcnt(2)
	v_add_f64 v[2:3], v[248:249], -v[2:3]
	s_waitcnt vmcnt(0)
	v_add_f64 v[4:5], v[246:247], -v[240:241]
	buffer_store_dword v3, off, s[0:3], 0 offset:388
	buffer_store_dword v2, off, s[0:3], 0 offset:384
	;; [unrolled: 1-line block ×4, first 2 shown]
	s_and_saveexec_b64 s[4:5], vcc
	s_cbranch_execz .LBB59_329
; %bb.328:
	v_accvgpr_read_b32 v0, a157
	buffer_load_dword v2, v0, s[0:3], 0 offen
	buffer_load_dword v3, v0, s[0:3], 0 offen offset:4
	buffer_load_dword v4, v0, s[0:3], 0 offen offset:8
	buffer_load_dword v5, v0, s[0:3], 0 offen offset:12
	v_mov_b32_e32 v0, 0
	v_accvgpr_read_b32 v1, a180
	buffer_store_dword v0, off, s[0:3], 0 offset:368
	buffer_store_dword v0, off, s[0:3], 0 offset:372
	;; [unrolled: 1-line block ×4, first 2 shown]
	s_waitcnt vmcnt(4)
	ds_write_b128 v1, v[2:5]
.LBB59_329:
	s_or_b64 exec, exec, s[4:5]
	s_waitcnt lgkmcnt(0)
	; wave barrier
	s_waitcnt lgkmcnt(0)
	buffer_load_dword v66, off, s[0:3], 0 offset:384
	buffer_load_dword v67, off, s[0:3], 0 offset:388
	buffer_load_dword v68, off, s[0:3], 0 offset:392
	buffer_load_dword v69, off, s[0:3], 0 offset:396
	buffer_load_dword v70, off, s[0:3], 0 offset:400
	buffer_load_dword v71, off, s[0:3], 0 offset:404
	buffer_load_dword v72, off, s[0:3], 0 offset:408
	buffer_load_dword v73, off, s[0:3], 0 offset:412
	buffer_load_dword v78, off, s[0:3], 0 offset:424
	buffer_load_dword v79, off, s[0:3], 0 offset:428
	buffer_load_dword v91, off, s[0:3], 0 offset:460
	buffer_load_dword v90, off, s[0:3], 0 offset:456
	buffer_load_dword v93, off, s[0:3], 0 offset:452
	buffer_load_dword v92, off, s[0:3], 0 offset:448
	buffer_load_dword v83, off, s[0:3], 0 offset:444
	buffer_load_dword v82, off, s[0:3], 0 offset:440
	buffer_load_dword v103, off, s[0:3], 0 offset:492
	buffer_load_dword v102, off, s[0:3], 0 offset:488
	buffer_load_dword v104, off, s[0:3], 0 offset:480
	buffer_load_dword v95, off, s[0:3], 0 offset:476
	buffer_load_dword v94, off, s[0:3], 0 offset:472
	buffer_load_dword v107, off, s[0:3], 0 offset:508
	buffer_load_dword v106, off, s[0:3], 0 offset:504
	buffer_load_dword v80, off, s[0:3], 0 offset:416
	buffer_load_dword v81, off, s[0:3], 0 offset:420
	buffer_load_dword v85, off, s[0:3], 0 offset:436
	buffer_load_dword v84, off, s[0:3], 0 offset:432
	buffer_load_dword v97, off, s[0:3], 0 offset:468
	buffer_load_dword v96, off, s[0:3], 0 offset:464
	buffer_load_dword v105, off, s[0:3], 0 offset:484
	buffer_load_dword v118, off, s[0:3], 0 offset:520
	buffer_load_dword v120, off, s[0:3], 0 offset:512
	buffer_load_dword v121, off, s[0:3], 0 offset:516
	buffer_load_dword v119, off, s[0:3], 0 offset:524
	buffer_load_dword v109, off, s[0:3], 0 offset:500
	buffer_load_dword v108, off, s[0:3], 0 offset:496
	buffer_load_dword v123, off, s[0:3], 0 offset:556
	buffer_load_dword v122, off, s[0:3], 0 offset:552
	buffer_load_dword v125, off, s[0:3], 0 offset:548
	buffer_load_dword v124, off, s[0:3], 0 offset:544
	buffer_load_dword v127, off, s[0:3], 0 offset:540
	buffer_load_dword v126, off, s[0:3], 0 offset:536
	buffer_load_dword v129, off, s[0:3], 0 offset:532
	buffer_load_dword v128, off, s[0:3], 0 offset:528
	buffer_load_dword v131, off, s[0:3], 0 offset:588
	buffer_load_dword v130, off, s[0:3], 0 offset:584
	buffer_load_dword v133, off, s[0:3], 0 offset:580
	buffer_load_dword v132, off, s[0:3], 0 offset:576
	buffer_load_dword v139, off, s[0:3], 0 offset:572
	buffer_load_dword v138, off, s[0:3], 0 offset:568
	buffer_load_dword v141, off, s[0:3], 0 offset:564
	buffer_load_dword v140, off, s[0:3], 0 offset:560
	buffer_load_dword v135, off, s[0:3], 0 offset:620
	buffer_load_dword v134, off, s[0:3], 0 offset:616
	buffer_load_dword v137, off, s[0:3], 0 offset:612
	v_mov_b32_e32 v1, 0
	ds_read_b128 v[74:77], v1 offset:1328
	ds_read_b128 v[86:89], v1 offset:1344
	;; [unrolled: 1-line block ×9, first 2 shown]
	buffer_load_dword v136, off, s[0:3], 0 offset:608
	buffer_load_dword v155, off, s[0:3], 0 offset:604
	buffer_load_dword v154, off, s[0:3], 0 offset:600
	buffer_load_dword v159, off, s[0:3], 0 offset:596
	buffer_load_dword v158, off, s[0:3], 0 offset:592
	buffer_load_dword v143, off, s[0:3], 0 offset:652
	buffer_load_dword v142, off, s[0:3], 0 offset:648
	buffer_load_dword v145, off, s[0:3], 0 offset:644
	buffer_load_dword v144, off, s[0:3], 0 offset:640
	buffer_load_dword v163, off, s[0:3], 0 offset:636
	buffer_load_dword v162, off, s[0:3], 0 offset:632
	buffer_load_dword v167, off, s[0:3], 0 offset:628
	buffer_load_dword v166, off, s[0:3], 0 offset:624
	buffer_load_dword v147, off, s[0:3], 0 offset:684
	buffer_load_dword v146, off, s[0:3], 0 offset:680
	buffer_load_dword v149, off, s[0:3], 0 offset:676
	buffer_load_dword v148, off, s[0:3], 0 offset:672
	buffer_load_dword v171, off, s[0:3], 0 offset:668
	buffer_load_dword v170, off, s[0:3], 0 offset:664
	buffer_load_dword v175, off, s[0:3], 0 offset:660
	buffer_load_dword v174, off, s[0:3], 0 offset:656
	buffer_load_dword v151, off, s[0:3], 0 offset:716
	buffer_load_dword v150, off, s[0:3], 0 offset:712
	buffer_load_dword v153, off, s[0:3], 0 offset:708
	buffer_load_dword v152, off, s[0:3], 0 offset:704
	buffer_load_dword v179, off, s[0:3], 0 offset:700
	buffer_load_dword v178, off, s[0:3], 0 offset:696
	buffer_load_dword v183, off, s[0:3], 0 offset:692
	buffer_load_dword v182, off, s[0:3], 0 offset:688
	buffer_load_dword v157, off, s[0:3], 0 offset:748
	buffer_load_dword v156, off, s[0:3], 0 offset:744
	buffer_load_dword v161, off, s[0:3], 0 offset:740
	buffer_load_dword v160, off, s[0:3], 0 offset:736
	buffer_load_dword v187, off, s[0:3], 0 offset:732
	buffer_load_dword v186, off, s[0:3], 0 offset:728
	buffer_load_dword v189, off, s[0:3], 0 offset:724
	buffer_load_dword v188, off, s[0:3], 0 offset:720
	buffer_load_dword v165, off, s[0:3], 0 offset:780
	buffer_load_dword v164, off, s[0:3], 0 offset:776
	buffer_load_dword v169, off, s[0:3], 0 offset:772
	buffer_load_dword v168, off, s[0:3], 0 offset:768
	buffer_load_dword v191, off, s[0:3], 0 offset:764
	buffer_load_dword v190, off, s[0:3], 0 offset:760
	buffer_load_dword v193, off, s[0:3], 0 offset:756
	buffer_load_dword v192, off, s[0:3], 0 offset:752
	buffer_load_dword v173, off, s[0:3], 0 offset:812
	buffer_load_dword v172, off, s[0:3], 0 offset:808
	buffer_load_dword v177, off, s[0:3], 0 offset:804
	buffer_load_dword v176, off, s[0:3], 0 offset:800
	buffer_load_dword v195, off, s[0:3], 0 offset:796
	buffer_load_dword v194, off, s[0:3], 0 offset:792
	buffer_load_dword v197, off, s[0:3], 0 offset:788
	buffer_load_dword v196, off, s[0:3], 0 offset:784
	buffer_load_dword v181, off, s[0:3], 0 offset:844
	buffer_load_dword v180, off, s[0:3], 0 offset:840
	buffer_load_dword v185, off, s[0:3], 0 offset:836
	buffer_load_dword v184, off, s[0:3], 0 offset:832
	buffer_load_dword v199, off, s[0:3], 0 offset:828
	buffer_load_dword v198, off, s[0:3], 0 offset:824
	buffer_load_dword v201, off, s[0:3], 0 offset:820
	buffer_load_dword v200, off, s[0:3], 0 offset:816
	v_cmp_lt_u32_e32 vcc, 21, v254
	s_waitcnt vmcnt(62) lgkmcnt(8)
	v_mul_f64 v[6:7], v[74:75], v[68:69]
	v_fmac_f64_e32 v[6:7], v[76:77], v[66:67]
	v_add_f64 v[6:7], v[6:7], 0
	v_mul_f64 v[68:69], v[76:77], v[68:69]
	s_waitcnt lgkmcnt(7)
	v_mul_f64 v[8:9], v[86:87], v[72:73]
	v_fmac_f64_e32 v[8:9], v[88:89], v[70:71]
	s_waitcnt lgkmcnt(6)
	v_mul_f64 v[10:11], v[98:99], v[78:79]
	v_add_f64 v[6:7], v[6:7], v[8:9]
	s_waitcnt lgkmcnt(4)
	v_mul_f64 v[14:15], v[114:115], v[90:91]
	v_fma_f64 v[234:235], v[74:75], v[66:67], -v[68:69]
	v_fmac_f64_e32 v[14:15], v[116:117], v[92:93]
	v_mul_f64 v[72:73], v[88:89], v[72:73]
	v_mul_f64 v[12:13], v[110:111], v[82:83]
	;; [unrolled: 1-line block ×3, first 2 shown]
	s_waitcnt lgkmcnt(2)
	v_mul_f64 v[18:19], v[240:241], v[102:103]
	v_mul_f64 v[82:83], v[112:113], v[82:83]
	;; [unrolled: 1-line block ×4, first 2 shown]
	v_fma_f64 v[252:253], v[114:115], v[92:93], -v[90:91]
	s_waitcnt lgkmcnt(1)
	v_mul_f64 v[20:21], v[244:245], v[106:107]
	v_fmac_f64_e32 v[20:21], v[246:247], v[108:109]
	v_fmac_f64_e32 v[10:11], v[100:101], v[80:81]
	v_add_f64 v[6:7], v[6:7], v[10:11]
	v_fmac_f64_e32 v[12:13], v[112:113], v[84:85]
	v_add_f64 v[6:7], v[6:7], v[12:13]
	;; [unrolled: 2-line block ×4, first 2 shown]
	v_add_f64 v[6:7], v[6:7], v[18:19]
	v_add_f64 v[10:11], v[6:7], v[20:21]
	ds_read_b128 v[6:9], v1 offset:1472
	s_waitcnt lgkmcnt(1)
	v_mul_f64 v[12:13], v[2:3], v[118:119]
	v_fmac_f64_e32 v[12:13], v[4:5], v[120:121]
	v_add_f64 v[14:15], v[10:11], v[12:13]
	ds_read_b128 v[10:13], v1 offset:1488
	s_waitcnt lgkmcnt(1)
	v_mul_f64 v[16:17], v[6:7], v[126:127]
	v_fmac_f64_e32 v[16:17], v[8:9], v[128:129]
	;; [unrolled: 5-line block ×5, first 2 shown]
	v_add_f64 v[30:31], v[26:27], v[28:29]
	ds_read_b128 v[26:29], v1 offset:1552
	s_waitcnt vmcnt(58) lgkmcnt(1)
	v_mul_f64 v[32:33], v[22:23], v[154:155]
	s_waitcnt vmcnt(56)
	v_fmac_f64_e32 v[32:33], v[24:25], v[158:159]
	v_add_f64 v[34:35], v[30:31], v[32:33]
	ds_read_b128 v[30:33], v1 offset:1568
	s_waitcnt lgkmcnt(1)
	v_mul_f64 v[36:37], v[26:27], v[134:135]
	v_fmac_f64_e32 v[36:37], v[28:29], v[136:137]
	v_add_f64 v[38:39], v[34:35], v[36:37]
	ds_read_b128 v[34:37], v1 offset:1584
	s_waitcnt vmcnt(50) lgkmcnt(1)
	v_mul_f64 v[40:41], v[30:31], v[162:163]
	s_waitcnt vmcnt(48)
	v_fmac_f64_e32 v[40:41], v[32:33], v[166:167]
	v_add_f64 v[42:43], v[38:39], v[40:41]
	ds_read_b128 v[38:41], v1 offset:1600
	s_waitcnt lgkmcnt(1)
	v_mul_f64 v[44:45], v[34:35], v[142:143]
	v_fmac_f64_e32 v[44:45], v[36:37], v[144:145]
	v_add_f64 v[46:47], v[42:43], v[44:45]
	ds_read_b128 v[42:45], v1 offset:1616
	s_waitcnt vmcnt(42) lgkmcnt(1)
	v_mul_f64 v[48:49], v[38:39], v[170:171]
	s_waitcnt vmcnt(40)
	v_fmac_f64_e32 v[48:49], v[40:41], v[174:175]
	v_add_f64 v[50:51], v[46:47], v[48:49]
	ds_read_b128 v[46:49], v1 offset:1632
	buffer_load_dword v203, off, s[0:3], 0 offset:860
	buffer_load_dword v202, off, s[0:3], 0 offset:856
	;; [unrolled: 1-line block ×4, first 2 shown]
	s_waitcnt lgkmcnt(1)
	v_mul_f64 v[52:53], v[42:43], v[146:147]
	v_fmac_f64_e32 v[52:53], v[44:45], v[148:149]
	v_add_f64 v[54:55], v[50:51], v[52:53]
	ds_read_b128 v[50:53], v1 offset:1648
	buffer_load_dword v207, off, s[0:3], 0 offset:876
	buffer_load_dword v206, off, s[0:3], 0 offset:872
	buffer_load_dword v211, off, s[0:3], 0 offset:868
	buffer_load_dword v210, off, s[0:3], 0 offset:864
	buffer_load_dword v209, off, s[0:3], 0 offset:892
	buffer_load_dword v208, off, s[0:3], 0 offset:888
	buffer_load_dword v213, off, s[0:3], 0 offset:884
	buffer_load_dword v212, off, s[0:3], 0 offset:880
	s_waitcnt vmcnt(46) lgkmcnt(1)
	v_mul_f64 v[56:57], v[46:47], v[178:179]
	s_waitcnt vmcnt(44)
	v_fmac_f64_e32 v[56:57], v[48:49], v[182:183]
	v_add_f64 v[58:59], v[54:55], v[56:57]
	ds_read_b128 v[54:57], v1 offset:1664
	buffer_load_dword v217, off, s[0:3], 0 offset:908
	buffer_load_dword v216, off, s[0:3], 0 offset:904
	;; [unrolled: 1-line block ×12, first 2 shown]
	s_waitcnt lgkmcnt(1)
	v_mul_f64 v[60:61], v[50:51], v[150:151]
	v_fmac_f64_e32 v[60:61], v[52:53], v[152:153]
	v_add_f64 v[62:63], v[58:59], v[60:61]
	ds_read_b128 v[58:61], v1 offset:1680
	s_waitcnt vmcnt(50) lgkmcnt(1)
	v_mul_f64 v[64:65], v[54:55], v[186:187]
	s_waitcnt vmcnt(48)
	v_fmac_f64_e32 v[64:65], v[56:57], v[188:189]
	v_add_f64 v[62:63], v[62:63], v[64:65]
	buffer_load_dword v227, off, s[0:3], 0 offset:956
	buffer_load_dword v226, off, s[0:3], 0 offset:952
	;; [unrolled: 1-line block ×4, first 2 shown]
	s_waitcnt lgkmcnt(0)
	v_mul_f64 v[64:65], v[58:59], v[156:157]
	v_fmac_f64_e32 v[64:65], v[60:61], v[160:161]
	v_add_f64 v[232:233], v[62:63], v[64:65]
	ds_read_b128 v[62:65], v1 offset:1696
	ds_read_b128 v[66:69], v1 offset:1712
	v_fma_f64 v[236:237], v[98:99], v[80:81], -v[78:79]
	ds_read_b128 v[78:81], v1 offset:1760
	v_fma_f64 v[248:249], v[110:111], v[84:85], -v[82:83]
	ds_read_b128 v[82:85], v1 offset:1776
	s_waitcnt vmcnt(46) lgkmcnt(3)
	v_mul_f64 v[74:75], v[62:63], v[190:191]
	s_waitcnt vmcnt(44)
	v_fmac_f64_e32 v[74:75], v[64:65], v[192:193]
	v_add_f64 v[74:75], v[232:233], v[74:75]
	v_fma_f64 v[232:233], v[86:87], v[70:71], -v[72:73]
	ds_read_b128 v[70:73], v1 offset:1728
	s_waitcnt lgkmcnt(3)
	v_mul_f64 v[76:77], v[66:67], v[164:165]
	v_fmac_f64_e32 v[76:77], v[68:69], v[168:169]
	v_add_f64 v[86:87], v[74:75], v[76:77]
	ds_read_b128 v[74:77], v1 offset:1744
	s_waitcnt vmcnt(38) lgkmcnt(1)
	v_mul_f64 v[88:89], v[70:71], v[194:195]
	s_waitcnt vmcnt(36)
	v_fmac_f64_e32 v[88:89], v[72:73], v[196:197]
	v_add_f64 v[86:87], v[86:87], v[88:89]
	ds_read_b128 v[90:93], v1 offset:1808
	s_waitcnt lgkmcnt(1)
	v_mul_f64 v[88:89], v[74:75], v[172:173]
	v_fmac_f64_e32 v[88:89], v[76:77], v[176:177]
	v_add_f64 v[86:87], v[86:87], v[88:89]
	s_waitcnt vmcnt(30)
	v_mul_f64 v[88:89], v[78:79], v[198:199]
	s_waitcnt vmcnt(28)
	v_fmac_f64_e32 v[88:89], v[80:81], v[200:201]
	v_add_f64 v[86:87], v[86:87], v[88:89]
	v_mul_f64 v[88:89], v[82:83], v[180:181]
	v_fmac_f64_e32 v[88:89], v[84:85], v[184:185]
	v_add_f64 v[98:99], v[86:87], v[88:89]
	ds_read_b128 v[86:89], v1 offset:1792
	v_mul_f64 v[94:95], v[230:231], v[94:95]
	v_fma_f64 v[228:229], v[228:229], v[96:97], -v[94:95]
	ds_read_b128 v[94:97], v1 offset:1824
	v_mul_f64 v[102:103], v[242:243], v[102:103]
	v_fma_f64 v[230:231], v[240:241], v[104:105], -v[102:103]
	;; [unrolled: 3-line block ×3, first 2 shown]
	v_add_f64 v[234:235], v[234:235], 0
	v_add_f64 v[232:233], v[234:235], v[232:233]
	;; [unrolled: 1-line block ×7, first 2 shown]
	v_mul_f64 v[4:5], v[4:5], v[118:119]
	v_add_f64 v[228:229], v[252:253], v[250:251]
	v_fma_f64 v[2:3], v[2:3], v[120:121], -v[4:5]
	v_mul_f64 v[4:5], v[8:9], v[126:127]
	v_add_f64 v[2:3], v[228:229], v[2:3]
	v_fma_f64 v[4:5], v[6:7], v[128:129], -v[4:5]
	v_add_f64 v[2:3], v[2:3], v[4:5]
	ds_read_b128 v[106:109], v1 offset:1872
	v_mul_f64 v[4:5], v[12:13], v[122:123]
	v_fma_f64 v[4:5], v[10:11], v[124:125], -v[4:5]
	v_add_f64 v[2:3], v[2:3], v[4:5]
	s_waitcnt vmcnt(26) lgkmcnt(3)
	v_mul_f64 v[100:101], v[86:87], v[202:203]
	v_mul_f64 v[4:5], v[16:17], v[138:139]
	s_waitcnt vmcnt(24)
	v_fmac_f64_e32 v[100:101], v[88:89], v[204:205]
	v_add_f64 v[98:99], v[98:99], v[100:101]
	s_waitcnt vmcnt(22)
	v_mul_f64 v[100:101], v[90:91], v[206:207]
	s_waitcnt vmcnt(20)
	v_fmac_f64_e32 v[100:101], v[92:93], v[210:211]
	v_add_f64 v[98:99], v[98:99], v[100:101]
	s_waitcnt vmcnt(18) lgkmcnt(2)
	v_mul_f64 v[100:101], v[94:95], v[208:209]
	s_waitcnt vmcnt(16)
	v_fmac_f64_e32 v[100:101], v[96:97], v[212:213]
	v_add_f64 v[110:111], v[98:99], v[100:101]
	ds_read_b128 v[98:101], v1 offset:1840
	v_fma_f64 v[4:5], v[14:15], v[140:141], -v[4:5]
	v_add_f64 v[2:3], v[2:3], v[4:5]
	v_mul_f64 v[4:5], v[20:21], v[130:131]
	v_fma_f64 v[4:5], v[18:19], v[132:133], -v[4:5]
	s_waitcnt vmcnt(14) lgkmcnt(0)
	v_mul_f64 v[112:113], v[98:99], v[216:217]
	s_waitcnt vmcnt(12)
	v_fmac_f64_e32 v[112:113], v[100:101], v[218:219]
	v_add_f64 v[110:111], v[110:111], v[112:113]
	s_waitcnt vmcnt(9)
	v_mul_f64 v[112:113], v[102:103], v[222:223]
	s_waitcnt vmcnt(7)
	v_fmac_f64_e32 v[112:113], v[104:105], v[224:225]
	v_add_f64 v[110:111], v[110:111], v[112:113]
	s_waitcnt vmcnt(5)
	v_mul_f64 v[112:113], v[106:107], v[214:215]
	s_waitcnt vmcnt(4)
	v_fmac_f64_e32 v[112:113], v[108:109], v[220:221]
	v_add_f64 v[114:115], v[110:111], v[112:113]
	ds_read_b128 v[110:113], v1 offset:1888
	buffer_load_dword v242, off, s[0:3], 0 offset:968
	buffer_load_dword v243, off, s[0:3], 0 offset:972
	;; [unrolled: 1-line block ×4, first 2 shown]
	v_add_f64 v[2:3], v[2:3], v[4:5]
	v_mul_f64 v[4:5], v[24:25], v[154:155]
	v_fma_f64 v[4:5], v[22:23], v[158:159], -v[4:5]
	s_waitcnt vmcnt(6) lgkmcnt(0)
	v_mul_f64 v[116:117], v[110:111], v[226:227]
	s_waitcnt vmcnt(4)
	v_fmac_f64_e32 v[116:117], v[112:113], v[238:239]
	v_add_f64 v[240:241], v[114:115], v[116:117]
	ds_read_b128 v[114:117], v1 offset:1904
	buffer_load_dword v248, off, s[0:3], 0 offset:368
	buffer_load_dword v249, off, s[0:3], 0 offset:372
	v_add_f64 v[2:3], v[2:3], v[4:5]
	v_mul_f64 v[4:5], v[28:29], v[134:135]
	v_fma_f64 v[4:5], v[26:27], v[136:137], -v[4:5]
	v_add_f64 v[2:3], v[2:3], v[4:5]
	v_mul_f64 v[4:5], v[32:33], v[162:163]
	v_fma_f64 v[4:5], v[30:31], v[166:167], -v[4:5]
	;; [unrolled: 3-line block ×22, first 2 shown]
	v_add_f64 v[2:3], v[2:3], v[4:5]
	s_waitcnt vmcnt(4) lgkmcnt(0)
	v_mul_f64 v[246:247], v[114:115], v[242:243]
	v_mul_f64 v[4:5], v[116:117], v[242:243]
	s_waitcnt vmcnt(2)
	v_fmac_f64_e32 v[246:247], v[116:117], v[244:245]
	v_add_f64 v[240:241], v[240:241], v[246:247]
	buffer_load_dword v246, off, s[0:3], 0 offset:376
	buffer_load_dword v247, off, s[0:3], 0 offset:380
	v_fma_f64 v[4:5], v[114:115], v[244:245], -v[4:5]
	v_add_f64 v[2:3], v[2:3], v[4:5]
	s_waitcnt vmcnt(2)
	v_add_f64 v[2:3], v[248:249], -v[2:3]
	s_waitcnt vmcnt(0)
	v_add_f64 v[4:5], v[246:247], -v[240:241]
	buffer_store_dword v3, off, s[0:3], 0 offset:372
	buffer_store_dword v2, off, s[0:3], 0 offset:368
	;; [unrolled: 1-line block ×4, first 2 shown]
	s_and_saveexec_b64 s[4:5], vcc
	s_cbranch_execz .LBB59_331
; %bb.330:
	v_accvgpr_read_b32 v0, a158
	buffer_load_dword v2, v0, s[0:3], 0 offen
	buffer_load_dword v3, v0, s[0:3], 0 offen offset:4
	buffer_load_dword v4, v0, s[0:3], 0 offen offset:8
	;; [unrolled: 1-line block ×3, first 2 shown]
	v_accvgpr_read_b32 v0, a180
	buffer_store_dword v1, off, s[0:3], 0 offset:352
	buffer_store_dword v1, off, s[0:3], 0 offset:356
	;; [unrolled: 1-line block ×4, first 2 shown]
	s_waitcnt vmcnt(4)
	ds_write_b128 v0, v[2:5]
.LBB59_331:
	s_or_b64 exec, exec, s[4:5]
	s_waitcnt lgkmcnt(0)
	; wave barrier
	s_waitcnt lgkmcnt(0)
	buffer_load_dword v66, off, s[0:3], 0 offset:368
	buffer_load_dword v67, off, s[0:3], 0 offset:372
	;; [unrolled: 1-line block ×42, first 2 shown]
	ds_read_b128 v[78:81], v1 offset:1312
	ds_read_b128 v[90:93], v1 offset:1328
	ds_read_b128 v[102:105], v1 offset:1344
	ds_read_b128 v[110:113], v1 offset:1360
	ds_read_b128 v[114:117], v1 offset:1376
	ds_read_b128 v[228:231], v1 offset:1392
	ds_read_b128 v[240:243], v1 offset:1408
	ds_read_b128 v[244:247], v1 offset:1424
	ds_read_b128 v[252:255], v1 offset:1440
	ds_read_b128 v[118:121], v1 offset:1456
	buffer_load_dword v129, off, s[0:3], 0 offset:516
	buffer_load_dword v128, off, s[0:3], 0 offset:512
	ds_read_b128 v[6:9], v1 offset:1472
	buffer_load_dword v125, off, s[0:3], 0 offset:572
	buffer_load_dword v124, off, s[0:3], 0 offset:568
	;; [unrolled: 1-line block ×80, first 2 shown]
	s_waitcnt vmcnt(62) lgkmcnt(10)
	v_mul_f64 v[10:11], v[78:79], v[68:69]
	v_fmac_f64_e32 v[10:11], v[80:81], v[66:67]
	v_add_f64 v[10:11], v[10:11], 0
	v_mul_f64 v[68:69], v[80:81], v[68:69]
	s_waitcnt lgkmcnt(9)
	v_mul_f64 v[12:13], v[90:91], v[64:65]
	v_fmac_f64_e32 v[12:13], v[92:93], v[62:63]
	s_waitcnt lgkmcnt(8)
	v_mul_f64 v[14:15], v[102:103], v[70:71]
	v_add_f64 v[10:11], v[10:11], v[12:13]
	s_waitcnt lgkmcnt(6)
	v_mul_f64 v[18:19], v[114:115], v[82:83]
	v_mul_f64 v[64:65], v[92:93], v[64:65]
	v_fmac_f64_e32 v[18:19], v[116:117], v[84:85]
	v_fma_f64 v[236:237], v[90:91], v[62:63], -v[64:65]
	v_mul_f64 v[16:17], v[110:111], v[74:75]
	v_fma_f64 v[234:235], v[78:79], v[66:67], -v[68:69]
	s_waitcnt lgkmcnt(4)
	v_mul_f64 v[22:23], v[240:241], v[94:95]
	v_mul_f64 v[70:71], v[104:105], v[70:71]
	v_fmac_f64_e32 v[22:23], v[242:243], v[96:97]
	v_mul_f64 v[74:75], v[112:113], v[74:75]
	v_mul_f64 v[20:21], v[228:229], v[86:87]
	;; [unrolled: 1-line block ×3, first 2 shown]
	s_waitcnt lgkmcnt(2)
	v_mul_f64 v[26:27], v[252:253], v[106:107]
	v_fma_f64 v[250:251], v[114:115], v[84:85], -v[82:83]
	v_mul_f64 v[86:87], v[230:231], v[86:87]
	v_mul_f64 v[24:25], v[244:245], v[98:99]
	;; [unrolled: 1-line block ×3, first 2 shown]
	s_waitcnt lgkmcnt(1)
	v_mul_f64 v[28:29], v[118:119], v[4:5]
	v_mul_f64 v[98:99], v[246:247], v[98:99]
	v_fmac_f64_e32 v[14:15], v[104:105], v[72:73]
	v_add_f64 v[10:11], v[10:11], v[14:15]
	v_fmac_f64_e32 v[16:17], v[112:113], v[76:77]
	v_add_f64 v[10:11], v[10:11], v[16:17]
	;; [unrolled: 2-line block ×3, first 2 shown]
	v_add_f64 v[10:11], v[10:11], v[20:21]
	v_fmac_f64_e32 v[24:25], v[246:247], v[100:101]
	v_add_f64 v[10:11], v[10:11], v[22:23]
	v_fmac_f64_e32 v[26:27], v[254:255], v[108:109]
	v_add_f64 v[10:11], v[10:11], v[24:25]
	v_add_f64 v[10:11], v[10:11], v[26:27]
	s_waitcnt lgkmcnt(0)
	v_mul_f64 v[16:17], v[6:7], v[2:3]
	v_fmac_f64_e32 v[28:29], v[120:121], v[128:129]
	v_add_f64 v[14:15], v[10:11], v[28:29]
	ds_read_b128 v[10:13], v1 offset:1488
	v_fmac_f64_e32 v[16:17], v[8:9], v[122:123]
	v_add_f64 v[18:19], v[14:15], v[16:17]
	ds_read_b128 v[14:17], v1 offset:1504
	v_fma_f64 v[248:249], v[110:111], v[76:77], -v[74:75]
	s_waitcnt lgkmcnt(1)
	v_mul_f64 v[20:21], v[10:11], v[130:131]
	v_fmac_f64_e32 v[20:21], v[12:13], v[146:147]
	v_add_f64 v[22:23], v[18:19], v[20:21]
	ds_read_b128 v[18:21], v1 offset:1520
	s_waitcnt lgkmcnt(1)
	v_mul_f64 v[24:25], v[14:15], v[124:125]
	v_fmac_f64_e32 v[24:25], v[16:17], v[126:127]
	v_add_f64 v[26:27], v[22:23], v[24:25]
	ds_read_b128 v[22:25], v1 offset:1536
	;; [unrolled: 5-line block ×4, first 2 shown]
	s_waitcnt vmcnt(58) lgkmcnt(1)
	v_mul_f64 v[36:37], v[26:27], v[158:159]
	s_waitcnt vmcnt(56)
	v_fmac_f64_e32 v[36:37], v[28:29], v[162:163]
	v_add_f64 v[38:39], v[34:35], v[36:37]
	ds_read_b128 v[34:37], v1 offset:1584
	s_waitcnt lgkmcnt(1)
	v_mul_f64 v[40:41], v[30:31], v[136:137]
	v_fmac_f64_e32 v[40:41], v[32:33], v[138:139]
	v_add_f64 v[42:43], v[38:39], v[40:41]
	ds_read_b128 v[38:41], v1 offset:1600
	s_waitcnt vmcnt(50) lgkmcnt(1)
	v_mul_f64 v[44:45], v[34:35], v[166:167]
	s_waitcnt vmcnt(48)
	v_fmac_f64_e32 v[44:45], v[36:37], v[170:171]
	v_add_f64 v[46:47], v[42:43], v[44:45]
	ds_read_b128 v[42:45], v1 offset:1616
	s_waitcnt lgkmcnt(1)
	v_mul_f64 v[48:49], v[38:39], v[140:141]
	v_fmac_f64_e32 v[48:49], v[40:41], v[142:143]
	v_add_f64 v[50:51], v[46:47], v[48:49]
	ds_read_b128 v[46:49], v1 offset:1632
	s_waitcnt vmcnt(42) lgkmcnt(1)
	v_mul_f64 v[52:53], v[42:43], v[174:175]
	s_waitcnt vmcnt(40)
	v_fmac_f64_e32 v[52:53], v[44:45], v[178:179]
	v_add_f64 v[54:55], v[50:51], v[52:53]
	ds_read_b128 v[50:53], v1 offset:1648
	s_waitcnt lgkmcnt(1)
	v_mul_f64 v[56:57], v[46:47], v[144:145]
	buffer_load_dword v207, off, s[0:3], 0 offset:876
	buffer_load_dword v206, off, s[0:3], 0 offset:872
	;; [unrolled: 1-line block ×4, first 2 shown]
	v_fmac_f64_e32 v[56:57], v[48:49], v[148:149]
	v_add_f64 v[58:59], v[54:55], v[56:57]
	ds_read_b128 v[54:57], v1 offset:1664
	buffer_load_dword v212, off, s[0:3], 0 offset:888
	buffer_load_dword v214, off, s[0:3], 0 offset:880
	;; [unrolled: 1-line block ×16, first 2 shown]
	s_waitcnt vmcnt(54) lgkmcnt(1)
	v_mul_f64 v[60:61], v[50:51], v[182:183]
	s_waitcnt vmcnt(52)
	v_fmac_f64_e32 v[60:61], v[52:53], v[186:187]
	v_add_f64 v[232:233], v[58:59], v[60:61]
	ds_read_b128 v[58:61], v1 offset:1680
	buffer_load_dword v226, off, s[0:3], 0 offset:952
	buffer_load_dword v238, off, s[0:3], 0 offset:944
	;; [unrolled: 1-line block ×4, first 2 shown]
	ds_read_b128 v[62:65], v1 offset:1696
	s_waitcnt lgkmcnt(2)
	v_mul_f64 v[66:67], v[54:55], v[152:153]
	v_fmac_f64_e32 v[66:67], v[56:57], v[156:157]
	s_waitcnt vmcnt(50) lgkmcnt(1)
	v_mul_f64 v[68:69], v[58:59], v[190:191]
	v_add_f64 v[66:67], v[232:233], v[66:67]
	s_waitcnt vmcnt(48)
	v_fmac_f64_e32 v[68:69], v[60:61], v[192:193]
	v_add_f64 v[66:67], v[66:67], v[68:69]
	v_fma_f64 v[232:233], v[102:103], v[72:73], -v[70:71]
	ds_read_b128 v[70:73], v1 offset:1728
	s_waitcnt lgkmcnt(1)
	v_mul_f64 v[68:69], v[62:63], v[160:161]
	v_fmac_f64_e32 v[68:69], v[64:65], v[164:165]
	v_add_f64 v[78:79], v[66:67], v[68:69]
	ds_read_b128 v[66:69], v1 offset:1712
	ds_read_b128 v[74:77], v1 offset:1744
	;; [unrolled: 1-line block ×3, first 2 shown]
	v_fma_f64 v[230:231], v[228:229], v[88:89], -v[86:87]
	ds_read_b128 v[86:89], v1 offset:1792
	s_waitcnt vmcnt(42) lgkmcnt(3)
	v_mul_f64 v[80:81], v[66:67], v[194:195]
	s_waitcnt vmcnt(40)
	v_fmac_f64_e32 v[80:81], v[68:69], v[196:197]
	v_add_f64 v[78:79], v[78:79], v[80:81]
	v_mul_f64 v[80:81], v[70:71], v[168:169]
	v_fmac_f64_e32 v[80:81], v[72:73], v[172:173]
	v_add_f64 v[90:91], v[78:79], v[80:81]
	ds_read_b128 v[78:81], v1 offset:1760
	s_waitcnt vmcnt(34) lgkmcnt(3)
	v_mul_f64 v[92:93], v[74:75], v[198:199]
	s_waitcnt vmcnt(32)
	v_fmac_f64_e32 v[92:93], v[76:77], v[200:201]
	v_add_f64 v[90:91], v[90:91], v[92:93]
	v_accvgpr_write_b32 a183, v3
	s_waitcnt lgkmcnt(0)
	v_mul_f64 v[92:93], v[78:79], v[176:177]
	v_fmac_f64_e32 v[92:93], v[80:81], v[180:181]
	v_add_f64 v[90:91], v[90:91], v[92:93]
	s_waitcnt vmcnt(26)
	v_mul_f64 v[92:93], v[82:83], v[202:203]
	s_waitcnt vmcnt(24)
	v_fmac_f64_e32 v[92:93], v[84:85], v[204:205]
	v_accvgpr_write_b32 a182, v2
	v_add_f64 v[90:91], v[90:91], v[92:93]
	v_fma_f64 v[2:3], v[240:241], v[96:97], -v[94:95]
	ds_read_b128 v[94:97], v1 offset:1824
	v_mul_f64 v[92:93], v[86:87], v[184:185]
	v_fmac_f64_e32 v[92:93], v[88:89], v[188:189]
	v_add_f64 v[102:103], v[90:91], v[92:93]
	ds_read_b128 v[90:93], v1 offset:1808
	v_fma_f64 v[228:229], v[244:245], v[100:101], -v[98:99]
	ds_read_b128 v[98:101], v1 offset:1840
	v_mul_f64 v[106:107], v[254:255], v[106:107]
	v_fma_f64 v[252:253], v[252:253], v[108:109], -v[106:107]
	v_add_f64 v[234:235], v[234:235], 0
	v_add_f64 v[234:235], v[234:235], v[236:237]
	;; [unrolled: 1-line block ×8, first 2 shown]
	v_mul_f64 v[4:5], v[120:121], v[4:5]
	v_add_f64 v[2:3], v[2:3], v[252:253]
	v_fma_f64 v[4:5], v[118:119], v[128:129], -v[4:5]
	v_add_f64 v[2:3], v[2:3], v[4:5]
	ds_read_b128 v[106:109], v1 offset:1872
	s_waitcnt vmcnt(13) lgkmcnt(1)
	v_mul_f64 v[112:113], v[98:99], v[216:217]
	v_mul_f64 v[104:105], v[90:91], v[206:207]
	s_waitcnt vmcnt(11)
	v_fmac_f64_e32 v[112:113], v[100:101], v[222:223]
	v_fmac_f64_e32 v[104:105], v[92:93], v[208:209]
	v_add_f64 v[102:103], v[102:103], v[104:105]
	v_mul_f64 v[104:105], v[94:95], v[212:213]
	v_fmac_f64_e32 v[104:105], v[96:97], v[214:215]
	v_add_f64 v[110:111], v[102:103], v[104:105]
	ds_read_b128 v[102:105], v1 offset:1856
	v_add_f64 v[110:111], v[110:111], v[112:113]
	s_waitcnt vmcnt(10) lgkmcnt(0)
	v_mul_f64 v[112:113], v[102:103], v[210:211]
	s_waitcnt vmcnt(8)
	v_fmac_f64_e32 v[112:113], v[104:105], v[220:221]
	v_add_f64 v[110:111], v[110:111], v[112:113]
	s_waitcnt vmcnt(6)
	v_mul_f64 v[112:113], v[106:107], v[218:219]
	s_waitcnt vmcnt(4)
	v_fmac_f64_e32 v[112:113], v[108:109], v[224:225]
	v_add_f64 v[114:115], v[110:111], v[112:113]
	ds_read_b128 v[110:113], v1 offset:1888
	buffer_load_dword v243, off, s[0:3], 0 offset:972
	buffer_load_dword v242, off, s[0:3], 0 offset:968
	;; [unrolled: 1-line block ×4, first 2 shown]
	s_waitcnt vmcnt(5) lgkmcnt(0)
	v_mul_f64 v[116:117], v[110:111], v[226:227]
	s_waitcnt vmcnt(4)
	v_fmac_f64_e32 v[116:117], v[112:113], v[238:239]
	v_add_f64 v[240:241], v[114:115], v[116:117]
	ds_read_b128 v[114:117], v1 offset:1904
	v_accvgpr_read_b32 v0, a182
	v_accvgpr_read_b32 v1, a183
	v_mul_f64 v[4:5], v[8:9], v[0:1]
	v_fma_f64 v[4:5], v[6:7], v[122:123], -v[4:5]
	v_add_f64 v[2:3], v[2:3], v[4:5]
	v_mul_f64 v[4:5], v[12:13], v[130:131]
	v_fma_f64 v[4:5], v[10:11], v[146:147], -v[4:5]
	v_add_f64 v[2:3], v[2:3], v[4:5]
	;; [unrolled: 3-line block ×22, first 2 shown]
	v_mul_f64 v[4:5], v[96:97], v[212:213]
	v_fma_f64 v[4:5], v[94:95], v[214:215], -v[4:5]
	s_waitcnt vmcnt(2) lgkmcnt(0)
	v_mul_f64 v[246:247], v[114:115], v[242:243]
	v_add_f64 v[2:3], v[2:3], v[4:5]
	s_waitcnt vmcnt(0)
	v_fmac_f64_e32 v[246:247], v[116:117], v[244:245]
	v_add_f64 v[240:241], v[240:241], v[246:247]
	buffer_load_dword v248, off, s[0:3], 0 offset:352
	buffer_load_dword v249, off, s[0:3], 0 offset:356
	;; [unrolled: 1-line block ×4, first 2 shown]
	v_mul_f64 v[4:5], v[100:101], v[216:217]
	v_fma_f64 v[4:5], v[98:99], v[222:223], -v[4:5]
	v_add_f64 v[2:3], v[2:3], v[4:5]
	v_mul_f64 v[4:5], v[104:105], v[210:211]
	v_fma_f64 v[4:5], v[102:103], v[220:221], -v[4:5]
	v_add_f64 v[2:3], v[2:3], v[4:5]
	;; [unrolled: 3-line block ×5, first 2 shown]
	v_accvgpr_read_b32 v0, a179
	v_cmp_lt_u32_e32 vcc, 20, v0
	s_waitcnt vmcnt(2)
	v_add_f64 v[2:3], v[248:249], -v[2:3]
	s_waitcnt vmcnt(0)
	v_add_f64 v[4:5], v[246:247], -v[240:241]
	buffer_store_dword v3, off, s[0:3], 0 offset:356
	buffer_store_dword v2, off, s[0:3], 0 offset:352
	;; [unrolled: 1-line block ×4, first 2 shown]
	s_and_saveexec_b64 s[4:5], vcc
	s_cbranch_execz .LBB59_333
; %bb.332:
	v_accvgpr_read_b32 v0, a159
	buffer_load_dword v2, v0, s[0:3], 0 offen
	buffer_load_dword v3, v0, s[0:3], 0 offen offset:4
	buffer_load_dword v4, v0, s[0:3], 0 offen offset:8
	;; [unrolled: 1-line block ×3, first 2 shown]
	v_mov_b32_e32 v0, 0
	v_accvgpr_read_b32 v1, a180
	buffer_store_dword v0, off, s[0:3], 0 offset:336
	buffer_store_dword v0, off, s[0:3], 0 offset:340
	;; [unrolled: 1-line block ×4, first 2 shown]
	s_waitcnt vmcnt(4)
	ds_write_b128 v1, v[2:5]
.LBB59_333:
	s_or_b64 exec, exec, s[4:5]
	s_waitcnt lgkmcnt(0)
	; wave barrier
	s_waitcnt lgkmcnt(0)
	buffer_load_dword v54, off, s[0:3], 0 offset:352
	buffer_load_dword v55, off, s[0:3], 0 offset:356
	;; [unrolled: 1-line block ×49, first 2 shown]
	s_waitcnt vmcnt(7)
	v_pk_mov_b32 v[2:3], v[0:1], v[0:1] op_sel:[0,1]
	v_mov_b32_e32 v1, 0
	ds_read_b128 v[62:65], v1 offset:1296
	ds_read_b128 v[74:77], v1 offset:1312
	;; [unrolled: 1-line block ×11, first 2 shown]
	s_waitcnt lgkmcnt(10)
	v_mul_f64 v[6:7], v[62:63], v[56:57]
	s_waitcnt lgkmcnt(9)
	v_mul_f64 v[8:9], v[74:75], v[60:61]
	v_fmac_f64_e32 v[6:7], v[64:65], v[54:55]
	s_waitcnt lgkmcnt(8)
	v_mul_f64 v[10:11], v[86:87], v[66:67]
	v_fmac_f64_e32 v[8:9], v[76:77], v[58:59]
	v_add_f64 v[6:7], v[6:7], 0
	s_waitcnt lgkmcnt(7)
	v_mul_f64 v[12:13], v[98:99], v[70:71]
	v_fmac_f64_e32 v[10:11], v[88:89], v[68:69]
	v_add_f64 v[6:7], v[6:7], v[8:9]
	;; [unrolled: 4-line block ×4, first 2 shown]
	buffer_load_dword v126, off, s[0:3], 0 offset:536
	buffer_load_dword v143, off, s[0:3], 0 offset:532
	;; [unrolled: 1-line block ×75, first 2 shown]
	s_waitcnt lgkmcnt(4)
	v_mul_f64 v[18:19], v[226:227], v[90:91]
	v_fmac_f64_e32 v[16:17], v[116:117], v[84:85]
	v_add_f64 v[6:7], v[6:7], v[14:15]
	s_waitcnt lgkmcnt(3)
	v_mul_f64 v[20:21], v[238:239], v[94:95]
	v_fmac_f64_e32 v[18:19], v[228:229], v[92:93]
	v_add_f64 v[6:7], v[6:7], v[16:17]
	;; [unrolled: 4-line block ×4, first 2 shown]
	v_add_f64 v[6:7], v[6:7], v[22:23]
	s_waitcnt vmcnt(62)
	v_fmac_f64_e32 v[24:25], v[248:249], v[108:109]
	v_add_f64 v[10:11], v[6:7], v[24:25]
	ds_read_b128 v[6:9], v1 offset:1472
	s_waitcnt lgkmcnt(1)
	v_mul_f64 v[12:13], v[118:119], v[2:3]
	v_fmac_f64_e32 v[12:13], v[120:121], v[250:251]
	v_add_f64 v[14:15], v[10:11], v[12:13]
	ds_read_b128 v[10:13], v1 offset:1488
	s_waitcnt lgkmcnt(1)
	v_mul_f64 v[16:17], v[6:7], v[126:127]
	;; [unrolled: 5-line block ×5, first 2 shown]
	v_fmac_f64_e32 v[28:29], v[20:21], v[130:131]
	v_add_f64 v[30:31], v[26:27], v[28:29]
	ds_read_b128 v[26:29], v1 offset:1552
	s_waitcnt vmcnt(58) lgkmcnt(1)
	v_mul_f64 v[32:33], v[22:23], v[154:155]
	s_waitcnt vmcnt(56)
	v_fmac_f64_e32 v[32:33], v[24:25], v[158:159]
	v_add_f64 v[34:35], v[30:31], v[32:33]
	ds_read_b128 v[30:33], v1 offset:1568
	s_waitcnt lgkmcnt(1)
	v_mul_f64 v[36:37], v[26:27], v[132:133]
	v_fmac_f64_e32 v[36:37], v[28:29], v[134:135]
	v_add_f64 v[38:39], v[34:35], v[36:37]
	ds_read_b128 v[34:37], v1 offset:1584
	s_waitcnt vmcnt(50) lgkmcnt(1)
	v_mul_f64 v[40:41], v[30:31], v[162:163]
	s_waitcnt vmcnt(48)
	v_fmac_f64_e32 v[40:41], v[32:33], v[166:167]
	v_add_f64 v[42:43], v[38:39], v[40:41]
	ds_read_b128 v[38:41], v1 offset:1600
	s_waitcnt lgkmcnt(1)
	v_mul_f64 v[44:45], v[34:35], v[136:137]
	;; [unrolled: 11-line block ×3, first 2 shown]
	buffer_load_dword v203, off, s[0:3], 0 offset:860
	buffer_load_dword v202, off, s[0:3], 0 offset:856
	;; [unrolled: 1-line block ×4, first 2 shown]
	v_fmac_f64_e32 v[52:53], v[44:45], v[144:145]
	v_add_f64 v[210:211], v[50:51], v[52:53]
	ds_read_b128 v[50:53], v1 offset:1648
	buffer_load_dword v206, off, s[0:3], 0 offset:872
	buffer_load_dword v208, off, s[0:3], 0 offset:864
	;; [unrolled: 1-line block ×4, first 2 shown]
	s_waitcnt vmcnt(42) lgkmcnt(1)
	v_mul_f64 v[212:213], v[46:47], v[178:179]
	s_waitcnt vmcnt(40)
	v_fmac_f64_e32 v[212:213], v[48:49], v[182:183]
	v_add_f64 v[230:231], v[210:211], v[212:213]
	buffer_load_dword v213, off, s[0:3], 0 offset:892
	buffer_load_dword v212, off, s[0:3], 0 offset:888
	;; [unrolled: 1-line block ×16, first 2 shown]
	v_mul_f64 v[56:57], v[64:65], v[56:57]
	v_fma_f64 v[232:233], v[62:63], v[54:55], -v[56:57]
	ds_read_b128 v[54:57], v1 offset:1664
	v_mul_f64 v[60:61], v[76:77], v[60:61]
	v_fma_f64 v[234:235], v[74:75], v[58:59], -v[60:61]
	ds_read_b128 v[58:61], v1 offset:1680
	s_waitcnt lgkmcnt(2)
	v_mul_f64 v[62:63], v[50:51], v[148:149]
	v_fmac_f64_e32 v[62:63], v[52:53], v[152:153]
	s_waitcnt vmcnt(50) lgkmcnt(1)
	v_mul_f64 v[64:65], v[54:55], v[186:187]
	v_add_f64 v[62:63], v[230:231], v[62:63]
	s_waitcnt vmcnt(48)
	v_fmac_f64_e32 v[64:65], v[56:57], v[188:189]
	v_add_f64 v[62:63], v[62:63], v[64:65]
	s_waitcnt lgkmcnt(0)
	v_mul_f64 v[64:65], v[58:59], v[156:157]
	v_fmac_f64_e32 v[64:65], v[60:61], v[160:161]
	v_add_f64 v[74:75], v[62:63], v[64:65]
	ds_read_b128 v[62:65], v1 offset:1696
	v_mul_f64 v[66:67], v[88:89], v[66:67]
	v_fma_f64 v[230:231], v[86:87], v[68:69], -v[66:67]
	ds_read_b128 v[66:69], v1 offset:1712
	v_mul_f64 v[70:71], v[100:101], v[70:71]
	s_waitcnt vmcnt(42) lgkmcnt(1)
	v_mul_f64 v[76:77], v[62:63], v[190:191]
	s_waitcnt vmcnt(40)
	v_fmac_f64_e32 v[76:77], v[64:65], v[192:193]
	v_add_f64 v[74:75], v[74:75], v[76:77]
	v_fma_f64 v[236:237], v[98:99], v[72:73], -v[70:71]
	ds_read_b128 v[70:73], v1 offset:1728
	s_waitcnt lgkmcnt(1)
	v_mul_f64 v[76:77], v[66:67], v[164:165]
	v_fmac_f64_e32 v[76:77], v[68:69], v[168:169]
	v_add_f64 v[86:87], v[74:75], v[76:77]
	ds_read_b128 v[74:77], v1 offset:1744
	v_mul_f64 v[78:79], v[112:113], v[78:79]
	v_fma_f64 v[252:253], v[110:111], v[80:81], -v[78:79]
	ds_read_b128 v[78:81], v1 offset:1760
	s_waitcnt vmcnt(34) lgkmcnt(2)
	v_mul_f64 v[88:89], v[70:71], v[194:195]
	v_mul_f64 v[82:83], v[116:117], v[82:83]
	s_waitcnt vmcnt(32)
	v_fmac_f64_e32 v[88:89], v[72:73], v[196:197]
	v_fma_f64 v[254:255], v[114:115], v[84:85], -v[82:83]
	ds_read_b128 v[82:85], v1 offset:1776
	v_add_f64 v[86:87], v[86:87], v[88:89]
	s_waitcnt lgkmcnt(2)
	v_mul_f64 v[88:89], v[74:75], v[172:173]
	v_fmac_f64_e32 v[88:89], v[76:77], v[176:177]
	v_add_f64 v[86:87], v[86:87], v[88:89]
	s_waitcnt vmcnt(26) lgkmcnt(1)
	v_mul_f64 v[88:89], v[78:79], v[198:199]
	s_waitcnt vmcnt(24)
	v_fmac_f64_e32 v[88:89], v[80:81], v[200:201]
	v_add_f64 v[86:87], v[86:87], v[88:89]
	s_waitcnt lgkmcnt(0)
	v_mul_f64 v[88:89], v[82:83], v[180:181]
	v_fmac_f64_e32 v[88:89], v[84:85], v[184:185]
	v_add_f64 v[98:99], v[86:87], v[88:89]
	ds_read_b128 v[86:89], v1 offset:1792
	v_mul_f64 v[90:91], v[228:229], v[90:91]
	v_fma_f64 v[228:229], v[226:227], v[92:93], -v[90:91]
	ds_read_b128 v[90:93], v1 offset:1808
	v_mul_f64 v[94:95], v[240:241], v[94:95]
	v_fma_f64 v[4:5], v[238:239], v[96:97], -v[94:95]
	ds_read_b128 v[94:97], v1 offset:1824
	v_accvgpr_write_b32 a183, v3
	v_mul_f64 v[102:103], v[244:245], v[102:103]
	v_accvgpr_write_b32 a182, v2
	v_fma_f64 v[2:3], v[242:243], v[104:105], -v[102:103]
	ds_read_b128 v[102:105], v1 offset:1856
	v_mul_f64 v[106:107], v[248:249], v[106:107]
	v_fma_f64 v[240:241], v[246:247], v[108:109], -v[106:107]
	ds_read_b128 v[106:109], v1 offset:1872
	v_add_f64 v[232:233], v[232:233], 0
	v_add_f64 v[232:233], v[232:233], v[234:235]
	;; [unrolled: 1-line block ×6, first 2 shown]
	s_waitcnt vmcnt(22) lgkmcnt(4)
	v_mul_f64 v[100:101], v[86:87], v[202:203]
	v_add_f64 v[228:229], v[230:231], v[228:229]
	s_waitcnt vmcnt(20)
	v_fmac_f64_e32 v[100:101], v[88:89], v[204:205]
	v_add_f64 v[98:99], v[98:99], v[100:101]
	v_add_f64 v[4:5], v[228:229], v[4:5]
	s_waitcnt vmcnt(17) lgkmcnt(3)
	v_mul_f64 v[100:101], v[90:91], v[206:207]
	s_waitcnt vmcnt(16)
	v_fmac_f64_e32 v[100:101], v[92:93], v[208:209]
	v_add_f64 v[110:111], v[98:99], v[100:101]
	ds_read_b128 v[98:101], v1 offset:1840
	s_waitcnt vmcnt(14) lgkmcnt(3)
	v_mul_f64 v[112:113], v[94:95], v[212:213]
	s_waitcnt vmcnt(12)
	v_fmac_f64_e32 v[112:113], v[96:97], v[216:217]
	buffer_load_dword v227, off, s[0:3], 0 offset:956
	buffer_load_dword v226, off, s[0:3], 0 offset:952
	;; [unrolled: 1-line block ×4, first 2 shown]
	v_add_f64 v[110:111], v[110:111], v[112:113]
	s_waitcnt vmcnt(14) lgkmcnt(0)
	v_mul_f64 v[112:113], v[98:99], v[214:215]
	s_waitcnt vmcnt(12)
	v_fmac_f64_e32 v[112:113], v[100:101], v[218:219]
	v_add_f64 v[110:111], v[110:111], v[112:113]
	s_waitcnt vmcnt(9)
	v_mul_f64 v[112:113], v[102:103], v[222:223]
	s_waitcnt vmcnt(7)
	v_fmac_f64_e32 v[112:113], v[104:105], v[224:225]
	v_add_f64 v[110:111], v[110:111], v[112:113]
	s_waitcnt vmcnt(5)
	v_mul_f64 v[112:113], v[106:107], v[210:211]
	s_waitcnt vmcnt(4)
	v_fmac_f64_e32 v[112:113], v[108:109], v[220:221]
	v_add_f64 v[114:115], v[110:111], v[112:113]
	ds_read_b128 v[110:113], v1 offset:1888
	buffer_load_dword v242, off, s[0:3], 0 offset:968
	buffer_load_dword v243, off, s[0:3], 0 offset:972
	buffer_load_dword v244, off, s[0:3], 0 offset:960
	buffer_load_dword v245, off, s[0:3], 0 offset:964
	v_add_f64 v[252:253], v[4:5], v[2:3]
	v_accvgpr_read_b32 v4, a182
	v_accvgpr_read_b32 v5, a183
	v_mul_f64 v[4:5], v[120:121], v[4:5]
	v_add_f64 v[2:3], v[252:253], v[240:241]
	v_fma_f64 v[4:5], v[118:119], v[250:251], -v[4:5]
	v_add_f64 v[2:3], v[2:3], v[4:5]
	v_mul_f64 v[4:5], v[8:9], v[126:127]
	v_fma_f64 v[4:5], v[6:7], v[142:143], -v[4:5]
	v_add_f64 v[2:3], v[2:3], v[4:5]
	v_mul_f64 v[4:5], v[12:13], v[122:123]
	;; [unrolled: 3-line block ×20, first 2 shown]
	s_waitcnt vmcnt(6) lgkmcnt(0)
	v_mul_f64 v[116:117], v[110:111], v[226:227]
	v_fma_f64 v[4:5], v[82:83], v[184:185], -v[4:5]
	s_waitcnt vmcnt(4)
	v_fmac_f64_e32 v[116:117], v[112:113], v[238:239]
	v_add_f64 v[246:247], v[114:115], v[116:117]
	ds_read_b128 v[114:117], v1 offset:1904
	v_add_f64 v[2:3], v[2:3], v[4:5]
	v_mul_f64 v[4:5], v[88:89], v[202:203]
	v_fma_f64 v[4:5], v[86:87], v[204:205], -v[4:5]
	v_add_f64 v[2:3], v[2:3], v[4:5]
	v_mul_f64 v[4:5], v[92:93], v[206:207]
	v_fma_f64 v[4:5], v[90:91], v[208:209], -v[4:5]
	v_add_f64 v[2:3], v[2:3], v[4:5]
	s_waitcnt vmcnt(2) lgkmcnt(0)
	v_mul_f64 v[248:249], v[114:115], v[242:243]
	v_mul_f64 v[4:5], v[96:97], v[212:213]
	s_waitcnt vmcnt(0)
	v_fmac_f64_e32 v[248:249], v[116:117], v[244:245]
	v_add_f64 v[246:247], v[246:247], v[248:249]
	v_accvgpr_write_b32 a184, v246
	buffer_load_dword v248, off, s[0:3], 0 offset:336
	buffer_load_dword v249, off, s[0:3], 0 offset:340
	v_accvgpr_write_b32 a185, v247
	buffer_load_dword v246, off, s[0:3], 0 offset:344
	buffer_load_dword v247, off, s[0:3], 0 offset:348
	v_fma_f64 v[4:5], v[94:95], v[216:217], -v[4:5]
	v_add_f64 v[2:3], v[2:3], v[4:5]
	v_mul_f64 v[4:5], v[100:101], v[214:215]
	v_fma_f64 v[4:5], v[98:99], v[218:219], -v[4:5]
	v_add_f64 v[2:3], v[2:3], v[4:5]
	v_mul_f64 v[4:5], v[104:105], v[222:223]
	;; [unrolled: 3-line block ×5, first 2 shown]
	v_fma_f64 v[4:5], v[114:115], v[244:245], -v[4:5]
	v_add_f64 v[2:3], v[2:3], v[4:5]
	v_accvgpr_read_b32 v4, a184
	v_accvgpr_read_b32 v0, a179
	;; [unrolled: 1-line block ×3, first 2 shown]
	v_cmp_lt_u32_e32 vcc, 19, v0
	s_waitcnt vmcnt(2)
	v_add_f64 v[2:3], v[248:249], -v[2:3]
	s_waitcnt vmcnt(0)
	v_add_f64 v[4:5], v[246:247], -v[4:5]
	buffer_store_dword v3, off, s[0:3], 0 offset:340
	buffer_store_dword v2, off, s[0:3], 0 offset:336
	;; [unrolled: 1-line block ×4, first 2 shown]
	s_and_saveexec_b64 s[4:5], vcc
	s_cbranch_execz .LBB59_335
; %bb.334:
	v_accvgpr_read_b32 v0, a160
	buffer_load_dword v2, v0, s[0:3], 0 offen
	buffer_load_dword v3, v0, s[0:3], 0 offen offset:4
	buffer_load_dword v4, v0, s[0:3], 0 offen offset:8
	;; [unrolled: 1-line block ×3, first 2 shown]
	v_accvgpr_read_b32 v0, a180
	buffer_store_dword v1, off, s[0:3], 0 offset:320
	buffer_store_dword v1, off, s[0:3], 0 offset:324
	;; [unrolled: 1-line block ×4, first 2 shown]
	s_waitcnt vmcnt(4)
	ds_write_b128 v0, v[2:5]
.LBB59_335:
	s_or_b64 exec, exec, s[4:5]
	s_waitcnt lgkmcnt(0)
	; wave barrier
	s_waitcnt lgkmcnt(0)
	buffer_load_dword v56, off, s[0:3], 0 offset:336
	buffer_load_dword v57, off, s[0:3], 0 offset:340
	;; [unrolled: 1-line block ×42, first 2 shown]
	ds_read_b128 v[78:81], v1 offset:1280
	ds_read_b128 v[90:93], v1 offset:1296
	;; [unrolled: 1-line block ×10, first 2 shown]
	buffer_load_dword v105, off, s[0:3], 0 offset:484
	buffer_load_dword v104, off, s[0:3], 0 offset:480
	ds_read_b128 v[106:109], v1 offset:1440
	buffer_load_dword v3, off, s[0:3], 0 offset:540
	buffer_load_dword v2, off, s[0:3], 0 offset:536
	s_waitcnt vmcnt(38) lgkmcnt(9)
	v_mul_f64 v[4:5], v[90:91], v[62:63]
	v_fmac_f64_e32 v[4:5], v[92:93], v[54:55]
	s_waitcnt vmcnt(36) lgkmcnt(8)
	v_mul_f64 v[6:7], v[114:115], v[58:59]
	v_mul_f64 v[58:59], v[116:117], v[58:59]
	s_waitcnt vmcnt(34) lgkmcnt(6)
	v_mul_f64 v[10:11], v[238:239], v[70:71]
	v_mul_f64 v[70:71], v[240:241], v[70:71]
	s_waitcnt vmcnt(32)
	v_fmac_f64_e32 v[10:11], v[240:241], v[72:73]
	s_waitcnt vmcnt(30)
	v_mul_f64 v[8:9], v[226:227], v[64:65]
	s_waitcnt vmcnt(28) lgkmcnt(4)
	v_mul_f64 v[14:15], v[246:247], v[82:83]
	v_mul_f64 v[82:83], v[248:249], v[82:83]
	s_waitcnt vmcnt(26)
	v_fmac_f64_e32 v[14:15], v[248:249], v[84:85]
	v_fma_f64 v[246:247], v[246:247], v[84:85], -v[82:83]
	s_waitcnt vmcnt(24)
	v_mul_f64 v[12:13], v[242:243], v[74:75]
	v_mul_f64 v[74:75], v[244:245], v[74:75]
	s_waitcnt vmcnt(22) lgkmcnt(2)
	v_mul_f64 v[18:19], v[230:231], v[94:95]
	v_mul_f64 v[94:95], v[232:233], v[94:95]
	s_waitcnt vmcnt(19)
	v_mul_f64 v[16:17], v[250:251], v[86:87]
	v_mul_f64 v[86:87], v[252:253], v[86:87]
	s_waitcnt vmcnt(17) lgkmcnt(1)
	v_mul_f64 v[20:21], v[98:99], v[102:103]
	s_waitcnt vmcnt(15)
	v_fmac_f64_e32 v[6:7], v[116:117], v[68:69]
	s_waitcnt vmcnt(13)
	v_fmac_f64_e32 v[8:9], v[228:229], v[66:67]
	;; [unrolled: 2-line block ×3, first 2 shown]
	v_fma_f64 v[240:241], v[242:243], v[76:77], -v[74:75]
	s_waitcnt vmcnt(9)
	v_fmac_f64_e32 v[16:17], v[252:253], v[88:89]
	s_waitcnt vmcnt(8)
	v_fmac_f64_e32 v[18:19], v[232:233], v[96:97]
	v_fma_f64 v[248:249], v[250:251], v[88:89], -v[86:87]
	v_fma_f64 v[230:231], v[230:231], v[96:97], -v[94:95]
	s_waitcnt vmcnt(2)
	v_fmac_f64_e32 v[20:21], v[100:101], v[104:105]
	v_mul_f64 v[100:101], v[100:101], v[102:103]
	s_waitcnt vmcnt(0)
	v_pk_mov_b32 v[22:23], v[2:3], v[2:3] op_sel:[0,1]
	buffer_load_dword v3, off, s[0:3], 0 offset:532
	buffer_load_dword v2, off, s[0:3], 0 offset:528
	;; [unrolled: 1-line block ×78, first 2 shown]
	ds_read_b128 v[118:121], v1 offset:1456
	v_accvgpr_write_b32 a183, v23
	v_accvgpr_write_b32 a182, v22
	v_fma_f64 v[250:251], v[98:99], v[104:105], -v[100:101]
	s_waitcnt vmcnt(62)
	v_pk_mov_b32 v[24:25], v[2:3], v[2:3] op_sel:[0,1]
	v_mul_f64 v[2:3], v[78:79], v[60:61]
	v_fmac_f64_e32 v[2:3], v[80:81], v[56:57]
	v_add_f64 v[2:3], v[2:3], 0
	v_add_f64 v[2:3], v[2:3], v[4:5]
	;; [unrolled: 1-line block ×9, first 2 shown]
	s_waitcnt lgkmcnt(1)
	v_mul_f64 v[8:9], v[106:107], v[110:111]
	v_add_f64 v[6:7], v[2:3], v[20:21]
	v_fmac_f64_e32 v[8:9], v[108:109], v[112:113]
	v_add_f64 v[10:11], v[6:7], v[8:9]
	ds_read_b128 v[6:9], v1 offset:1472
	s_waitcnt lgkmcnt(1)
	v_mul_f64 v[12:13], v[118:119], v[122:123]
	v_fmac_f64_e32 v[12:13], v[120:121], v[138:139]
	v_add_f64 v[14:15], v[10:11], v[12:13]
	ds_read_b128 v[10:13], v1 offset:1488
	s_waitcnt lgkmcnt(1)
	v_mul_f64 v[16:17], v[6:7], v[22:23]
	;; [unrolled: 5-line block ×3, first 2 shown]
	v_fmac_f64_e32 v[20:21], v[12:13], v[146:147]
	v_add_f64 v[22:23], v[18:19], v[20:21]
	ds_read_b128 v[18:21], v1 offset:1520
	v_accvgpr_write_b32 a185, v25
	v_accvgpr_write_b32 a184, v24
	s_waitcnt lgkmcnt(1)
	v_mul_f64 v[24:25], v[14:15], v[124:125]
	v_fmac_f64_e32 v[24:25], v[16:17], v[126:127]
	v_add_f64 v[26:27], v[22:23], v[24:25]
	ds_read_b128 v[22:25], v1 offset:1536
	s_waitcnt vmcnt(58) lgkmcnt(1)
	v_mul_f64 v[28:29], v[18:19], v[150:151]
	s_waitcnt vmcnt(56)
	v_fmac_f64_e32 v[28:29], v[20:21], v[154:155]
	v_add_f64 v[30:31], v[26:27], v[28:29]
	ds_read_b128 v[26:29], v1 offset:1552
	s_waitcnt lgkmcnt(1)
	v_mul_f64 v[32:33], v[22:23], v[128:129]
	v_fmac_f64_e32 v[32:33], v[24:25], v[130:131]
	v_add_f64 v[34:35], v[30:31], v[32:33]
	ds_read_b128 v[30:33], v1 offset:1568
	s_waitcnt vmcnt(50) lgkmcnt(1)
	v_mul_f64 v[36:37], v[26:27], v[158:159]
	s_waitcnt vmcnt(48)
	v_fmac_f64_e32 v[36:37], v[28:29], v[162:163]
	v_add_f64 v[38:39], v[34:35], v[36:37]
	ds_read_b128 v[34:37], v1 offset:1584
	;; [unrolled: 11-line block ×4, first 2 shown]
	buffer_load_dword v198, off, s[0:3], 0 offset:856
	buffer_load_dword v203, off, s[0:3], 0 offset:844
	;; [unrolled: 1-line block ×8, first 2 shown]
	s_waitcnt lgkmcnt(1)
	v_mul_f64 v[208:209], v[46:47], v[144:145]
	v_fmac_f64_e32 v[208:209], v[48:49], v[148:149]
	v_add_f64 v[234:235], v[206:207], v[208:209]
	buffer_load_dword v207, off, s[0:3], 0 offset:876
	buffer_load_dword v206, off, s[0:3], 0 offset:872
	;; [unrolled: 1-line block ×20, first 2 shown]
	v_mul_f64 v[60:61], v[80:81], v[60:61]
	s_waitcnt vmcnt(54) lgkmcnt(0)
	v_mul_f64 v[236:237], v[50:51], v[182:183]
	v_fma_f64 v[254:255], v[78:79], v[56:57], -v[60:61]
	v_mul_f64 v[56:57], v[92:93], v[62:63]
	v_fma_f64 v[2:3], v[90:91], v[54:55], -v[56:57]
	s_waitcnt vmcnt(52)
	v_fmac_f64_e32 v[236:237], v[52:53], v[184:185]
	ds_read_b128 v[54:57], v1 offset:1664
	v_add_f64 v[4:5], v[234:235], v[236:237]
	v_fma_f64 v[234:235], v[114:115], v[68:69], -v[58:59]
	ds_read_b128 v[58:61], v1 offset:1680
	v_mul_f64 v[62:63], v[228:229], v[64:65]
	v_fma_f64 v[228:229], v[226:227], v[66:67], -v[62:63]
	ds_read_b128 v[62:65], v1 offset:1696
	s_waitcnt lgkmcnt(2)
	v_mul_f64 v[68:69], v[54:55], v[152:153]
	v_fmac_f64_e32 v[68:69], v[56:57], v[156:157]
	s_waitcnt vmcnt(46) lgkmcnt(1)
	v_mul_f64 v[66:67], v[58:59], v[186:187]
	v_add_f64 v[4:5], v[4:5], v[68:69]
	s_waitcnt vmcnt(44)
	v_fmac_f64_e32 v[66:67], v[60:61], v[188:189]
	v_add_f64 v[4:5], v[4:5], v[66:67]
	v_fma_f64 v[236:237], v[238:239], v[72:73], -v[70:71]
	ds_read_b128 v[70:73], v1 offset:1728
	s_waitcnt lgkmcnt(1)
	v_mul_f64 v[66:67], v[62:63], v[160:161]
	v_fmac_f64_e32 v[66:67], v[64:65], v[164:165]
	v_add_f64 v[4:5], v[4:5], v[66:67]
	ds_read_b128 v[66:69], v1 offset:1712
	ds_read_b128 v[74:77], v1 offset:1744
	;; [unrolled: 1-line block ×5, first 2 shown]
	s_waitcnt vmcnt(38) lgkmcnt(4)
	v_mul_f64 v[78:79], v[66:67], v[190:191]
	s_waitcnt vmcnt(36)
	v_fmac_f64_e32 v[78:79], v[68:69], v[192:193]
	v_add_f64 v[4:5], v[4:5], v[78:79]
	v_mul_f64 v[78:79], v[70:71], v[168:169]
	v_fmac_f64_e32 v[78:79], v[72:73], v[172:173]
	v_add_f64 v[4:5], v[4:5], v[78:79]
	s_waitcnt vmcnt(30) lgkmcnt(3)
	v_mul_f64 v[78:79], v[74:75], v[194:195]
	s_waitcnt vmcnt(28)
	v_fmac_f64_e32 v[78:79], v[76:77], v[196:197]
	v_add_f64 v[4:5], v[4:5], v[78:79]
	ds_read_b128 v[78:81], v1 offset:1760
	v_mul_f64 v[108:109], v[108:109], v[110:111]
	v_fma_f64 v[252:253], v[106:107], v[112:113], -v[108:109]
	v_mul_f64 v[120:121], v[120:121], v[122:123]
	v_fma_f64 v[118:119], v[118:119], v[138:139], -v[120:121]
	s_waitcnt lgkmcnt(0)
	v_mul_f64 v[90:91], v[78:79], v[176:177]
	v_fmac_f64_e32 v[90:91], v[80:81], v[180:181]
	v_add_f64 v[4:5], v[4:5], v[90:91]
	ds_read_b128 v[98:101], v1 offset:1840
	ds_read_b128 v[106:109], v1 offset:1872
	s_waitcnt vmcnt(25)
	v_mul_f64 v[90:91], v[82:83], v[202:203]
	s_waitcnt vmcnt(23)
	v_fmac_f64_e32 v[90:91], v[84:85], v[204:205]
	v_add_f64 v[4:5], v[4:5], v[90:91]
	s_waitcnt vmcnt(21)
	v_mul_f64 v[90:91], v[86:87], v[198:199]
	s_waitcnt vmcnt(20)
	v_fmac_f64_e32 v[90:91], v[88:89], v[200:201]
	v_add_f64 v[4:5], v[4:5], v[90:91]
	ds_read_b128 v[90:93], v1 offset:1808
	s_waitcnt vmcnt(14)
	v_mul_f64 v[102:103], v[94:95], v[212:213]
	s_waitcnt vmcnt(9) lgkmcnt(2)
	v_mul_f64 v[110:111], v[98:99], v[218:219]
	v_fmac_f64_e32 v[102:103], v[96:97], v[214:215]
	s_waitcnt vmcnt(7)
	v_fmac_f64_e32 v[110:111], v[100:101], v[222:223]
	s_waitcnt lgkmcnt(0)
	v_mul_f64 v[114:115], v[90:91], v[206:207]
	v_fmac_f64_e32 v[114:115], v[92:93], v[208:209]
	v_add_f64 v[4:5], v[4:5], v[114:115]
	v_add_f64 v[4:5], v[4:5], v[102:103]
	ds_read_b128 v[102:105], v1 offset:1856
	buffer_load_dword v226, off, s[0:3], 0 offset:952
	buffer_load_dword v227, off, s[0:3], 0 offset:956
	;; [unrolled: 1-line block ×4, first 2 shown]
	v_add_f64 v[4:5], v[4:5], v[110:111]
	s_waitcnt vmcnt(9) lgkmcnt(0)
	v_mul_f64 v[110:111], v[102:103], v[210:211]
	s_waitcnt vmcnt(8)
	v_fmac_f64_e32 v[110:111], v[104:105], v[216:217]
	v_add_f64 v[4:5], v[4:5], v[110:111]
	s_waitcnt vmcnt(6)
	v_mul_f64 v[110:111], v[106:107], v[220:221]
	s_waitcnt vmcnt(4)
	v_fmac_f64_e32 v[110:111], v[108:109], v[224:225]
	v_add_f64 v[4:5], v[4:5], v[110:111]
	ds_read_b128 v[110:113], v1 offset:1888
	buffer_load_dword v243, off, s[0:3], 0 offset:972
	buffer_load_dword v242, off, s[0:3], 0 offset:968
	;; [unrolled: 1-line block ×4, first 2 shown]
	s_waitcnt vmcnt(6) lgkmcnt(0)
	v_mul_f64 v[114:115], v[110:111], v[226:227]
	s_waitcnt vmcnt(4)
	v_fmac_f64_e32 v[114:115], v[112:113], v[238:239]
	v_add_f64 v[4:5], v[4:5], v[114:115]
	ds_read_b128 v[114:117], v1 offset:1904
	v_accvgpr_read_b32 v0, a182
	v_accvgpr_read_b32 v1, a183
	v_mul_f64 v[8:9], v[8:9], v[0:1]
	v_accvgpr_read_b32 v0, a184
	v_accvgpr_read_b32 v1, a185
	v_fma_f64 v[6:7], v[6:7], v[0:1], -v[8:9]
	s_waitcnt vmcnt(2) lgkmcnt(0)
	v_mul_f64 v[232:233], v[114:115], v[242:243]
	v_accvgpr_read_b32 v0, a179
	s_waitcnt vmcnt(0)
	v_fmac_f64_e32 v[232:233], v[116:117], v[244:245]
	v_add_f64 v[4:5], v[4:5], v[232:233]
	v_add_f64 v[232:233], v[254:255], 0
	;; [unrolled: 1-line block ×9, first 2 shown]
	buffer_load_dword v248, off, s[0:3], 0 offset:320
	buffer_load_dword v249, off, s[0:3], 0 offset:324
	;; [unrolled: 1-line block ×4, first 2 shown]
	v_add_f64 v[254:255], v[2:3], v[230:231]
	v_add_f64 v[2:3], v[254:255], v[250:251]
	;; [unrolled: 1-line block ×5, first 2 shown]
	v_mul_f64 v[6:7], v[12:13], v[142:143]
	v_fma_f64 v[6:7], v[10:11], v[146:147], -v[6:7]
	v_add_f64 v[2:3], v[2:3], v[6:7]
	v_mul_f64 v[6:7], v[16:17], v[124:125]
	v_fma_f64 v[6:7], v[14:15], v[126:127], -v[6:7]
	v_add_f64 v[2:3], v[2:3], v[6:7]
	;; [unrolled: 3-line block ×27, first 2 shown]
	s_waitcnt vmcnt(2)
	v_add_f64 v[2:3], v[248:249], -v[2:3]
	v_cmp_lt_u32_e32 vcc, 18, v0
	s_waitcnt vmcnt(0)
	v_add_f64 v[4:5], v[246:247], -v[4:5]
	buffer_store_dword v3, off, s[0:3], 0 offset:324
	buffer_store_dword v2, off, s[0:3], 0 offset:320
	;; [unrolled: 1-line block ×4, first 2 shown]
	s_and_saveexec_b64 s[4:5], vcc
	s_cbranch_execz .LBB59_337
; %bb.336:
	v_accvgpr_read_b32 v0, a161
	buffer_load_dword v2, v0, s[0:3], 0 offen
	buffer_load_dword v3, v0, s[0:3], 0 offen offset:4
	buffer_load_dword v4, v0, s[0:3], 0 offen offset:8
	;; [unrolled: 1-line block ×3, first 2 shown]
	v_mov_b32_e32 v0, 0
	v_accvgpr_read_b32 v1, a180
	buffer_store_dword v0, off, s[0:3], 0 offset:304
	buffer_store_dword v0, off, s[0:3], 0 offset:308
	;; [unrolled: 1-line block ×4, first 2 shown]
	s_waitcnt vmcnt(4)
	ds_write_b128 v1, v[2:5]
.LBB59_337:
	s_or_b64 exec, exec, s[4:5]
	s_waitcnt lgkmcnt(0)
	; wave barrier
	s_waitcnt lgkmcnt(0)
	buffer_load_dword v54, off, s[0:3], 0 offset:320
	buffer_load_dword v55, off, s[0:3], 0 offset:324
	buffer_load_dword v56, off, s[0:3], 0 offset:328
	buffer_load_dword v57, off, s[0:3], 0 offset:332
	buffer_load_dword v58, off, s[0:3], 0 offset:336
	buffer_load_dword v59, off, s[0:3], 0 offset:340
	buffer_load_dword v62, off, s[0:3], 0 offset:344
	buffer_load_dword v63, off, s[0:3], 0 offset:348
	buffer_load_dword v60, off, s[0:3], 0 offset:360
	buffer_load_dword v61, off, s[0:3], 0 offset:364
	buffer_load_dword v65, off, s[0:3], 0 offset:396
	buffer_load_dword v64, off, s[0:3], 0 offset:392
	buffer_load_dword v67, off, s[0:3], 0 offset:388
	buffer_load_dword v66, off, s[0:3], 0 offset:384
	buffer_load_dword v69, off, s[0:3], 0 offset:380
	buffer_load_dword v68, off, s[0:3], 0 offset:376
	buffer_load_dword v75, off, s[0:3], 0 offset:428
	buffer_load_dword v74, off, s[0:3], 0 offset:424
	buffer_load_dword v77, off, s[0:3], 0 offset:420
	buffer_load_dword v76, off, s[0:3], 0 offset:416
	buffer_load_dword v71, off, s[0:3], 0 offset:412
	buffer_load_dword v70, off, s[0:3], 0 offset:408
	buffer_load_dword v87, off, s[0:3], 0 offset:460
	buffer_load_dword v86, off, s[0:3], 0 offset:456
	buffer_load_dword v88, off, s[0:3], 0 offset:448
	buffer_load_dword v79, off, s[0:3], 0 offset:444
	buffer_load_dword v78, off, s[0:3], 0 offset:440
	buffer_load_dword v91, off, s[0:3], 0 offset:476
	buffer_load_dword v90, off, s[0:3], 0 offset:472
	buffer_load_dword v84, off, s[0:3], 0 offset:352
	buffer_load_dword v85, off, s[0:3], 0 offset:356
	buffer_load_dword v83, off, s[0:3], 0 offset:372
	buffer_load_dword v82, off, s[0:3], 0 offset:368
	buffer_load_dword v73, off, s[0:3], 0 offset:404
	buffer_load_dword v72, off, s[0:3], 0 offset:400
	buffer_load_dword v81, off, s[0:3], 0 offset:436
	buffer_load_dword v80, off, s[0:3], 0 offset:432
	buffer_load_dword v89, off, s[0:3], 0 offset:452
	buffer_load_dword v102, off, s[0:3], 0 offset:488
	buffer_load_dword v104, off, s[0:3], 0 offset:480
	buffer_load_dword v105, off, s[0:3], 0 offset:484
	buffer_load_dword v103, off, s[0:3], 0 offset:492
	buffer_load_dword v93, off, s[0:3], 0 offset:468
	buffer_load_dword v92, off, s[0:3], 0 offset:464
	buffer_load_dword v3, off, s[0:3], 0 offset:524
	buffer_load_dword v2, off, s[0:3], 0 offset:520
	v_mov_b32_e32 v1, 0
	v_accvgpr_read_b32 v0, a179
	v_cmp_lt_u32_e32 vcc, 17, v0
	s_waitcnt vmcnt(0)
	v_pk_mov_b32 v[22:23], v[2:3], v[2:3] op_sel:[0,1]
	buffer_load_dword v3, off, s[0:3], 0 offset:516
	buffer_load_dword v2, off, s[0:3], 0 offset:512
	buffer_load_dword v107, off, s[0:3], 0 offset:508
	ds_read_b128 v[94:97], v1 offset:1264
	ds_read_b128 v[108:111], v1 offset:1280
	;; [unrolled: 1-line block ×11, first 2 shown]
	buffer_load_dword v106, off, s[0:3], 0 offset:504
	buffer_load_dword v117, off, s[0:3], 0 offset:500
	;; [unrolled: 1-line block ×75, first 2 shown]
	s_waitcnt lgkmcnt(9)
	v_mul_f64 v[4:5], v[108:109], v[62:63]
	s_waitcnt lgkmcnt(8)
	v_mul_f64 v[6:7], v[112:113], v[60:61]
	v_fmac_f64_e32 v[4:5], v[110:111], v[58:59]
	s_waitcnt lgkmcnt(7)
	v_mul_f64 v[8:9], v[222:223], v[68:69]
	v_fmac_f64_e32 v[6:7], v[114:115], v[84:85]
	;; [unrolled: 3-line block ×5, first 2 shown]
	ds_read_b128 v[234:237], v1 offset:1440
	ds_read_b128 v[118:121], v1 offset:1456
	s_waitcnt lgkmcnt(5)
	v_mul_f64 v[16:17], v[242:243], v[78:79]
	v_fmac_f64_e32 v[14:15], v[240:241], v[76:77]
	s_waitcnt lgkmcnt(4)
	v_mul_f64 v[18:19], v[246:247], v[86:87]
	v_fmac_f64_e32 v[16:17], v[244:245], v[80:81]
	;; [unrolled: 3-line block ×3, first 2 shown]
	v_fmac_f64_e32 v[20:21], v[252:253], v[92:93]
	v_accvgpr_write_b32 a183, v23
	v_accvgpr_write_b32 a182, v22
	v_mul_f64 v[62:63], v[110:111], v[62:63]
	v_mul_f64 v[74:75], v[240:241], v[74:75]
	v_fma_f64 v[240:241], v[238:239], v[76:77], -v[74:75]
	v_mul_f64 v[78:79], v[244:245], v[78:79]
	v_fma_f64 v[238:239], v[242:243], v[80:81], -v[78:79]
	v_mul_f64 v[86:87], v[248:249], v[86:87]
	v_fma_f64 v[246:247], v[246:247], v[88:89], -v[86:87]
	v_mul_f64 v[90:91], v[252:253], v[90:91]
	v_fma_f64 v[248:249], v[250:251], v[92:93], -v[90:91]
	s_waitcnt vmcnt(62)
	v_pk_mov_b32 v[24:25], v[2:3], v[2:3] op_sel:[0,1]
	v_mul_f64 v[2:3], v[94:95], v[56:57]
	v_fmac_f64_e32 v[2:3], v[96:97], v[54:55]
	v_add_f64 v[2:3], v[2:3], 0
	v_add_f64 v[2:3], v[2:3], v[4:5]
	;; [unrolled: 1-line block ×9, first 2 shown]
	s_waitcnt lgkmcnt(2)
	v_mul_f64 v[4:5], v[98:99], v[102:103]
	v_add_f64 v[2:3], v[2:3], v[20:21]
	v_fmac_f64_e32 v[4:5], v[100:101], v[104:105]
	s_waitcnt lgkmcnt(1)
	v_mul_f64 v[8:9], v[234:235], v[106:107]
	v_add_f64 v[6:7], v[2:3], v[4:5]
	v_fmac_f64_e32 v[8:9], v[236:237], v[116:117]
	s_waitcnt lgkmcnt(0)
	v_mul_f64 v[12:13], v[118:119], v[22:23]
	v_add_f64 v[10:11], v[6:7], v[8:9]
	ds_read_b128 v[6:9], v1 offset:1472
	v_fmac_f64_e32 v[12:13], v[120:121], v[24:25]
	v_add_f64 v[14:15], v[10:11], v[12:13]
	ds_read_b128 v[10:13], v1 offset:1488
	v_accvgpr_write_b32 a185, v25
	s_waitcnt lgkmcnt(1)
	v_mul_f64 v[16:17], v[6:7], v[138:139]
	v_fmac_f64_e32 v[16:17], v[8:9], v[142:143]
	v_add_f64 v[18:19], v[14:15], v[16:17]
	s_waitcnt lgkmcnt(0)
	v_mul_f64 v[20:21], v[10:11], v[122:123]
	ds_read_b128 v[14:17], v1 offset:1504
	v_fmac_f64_e32 v[20:21], v[12:13], v[124:125]
	v_add_f64 v[22:23], v[18:19], v[20:21]
	ds_read_b128 v[18:21], v1 offset:1520
	v_accvgpr_write_b32 a184, v24
	s_waitcnt vmcnt(58) lgkmcnt(1)
	v_mul_f64 v[24:25], v[14:15], v[146:147]
	s_waitcnt vmcnt(56)
	v_fmac_f64_e32 v[24:25], v[16:17], v[150:151]
	v_add_f64 v[26:27], v[22:23], v[24:25]
	s_waitcnt lgkmcnt(0)
	v_mul_f64 v[28:29], v[18:19], v[126:127]
	ds_read_b128 v[22:25], v1 offset:1536
	v_fmac_f64_e32 v[28:29], v[20:21], v[128:129]
	v_add_f64 v[30:31], v[26:27], v[28:29]
	ds_read_b128 v[26:29], v1 offset:1552
	v_mul_f64 v[56:57], v[96:97], v[56:57]
	s_waitcnt vmcnt(50) lgkmcnt(1)
	v_mul_f64 v[32:33], v[22:23], v[154:155]
	s_waitcnt vmcnt(48)
	v_fmac_f64_e32 v[32:33], v[24:25], v[158:159]
	v_add_f64 v[34:35], v[30:31], v[32:33]
	s_waitcnt lgkmcnt(0)
	v_mul_f64 v[36:37], v[26:27], v[130:131]
	ds_read_b128 v[30:33], v1 offset:1568
	v_fmac_f64_e32 v[36:37], v[28:29], v[132:133]
	v_add_f64 v[38:39], v[34:35], v[36:37]
	ds_read_b128 v[34:37], v1 offset:1584
	v_fma_f64 v[2:3], v[94:95], v[54:55], -v[56:57]
	s_waitcnt vmcnt(42) lgkmcnt(1)
	v_mul_f64 v[40:41], v[30:31], v[162:163]
	s_waitcnt vmcnt(40)
	v_fmac_f64_e32 v[40:41], v[32:33], v[166:167]
	v_add_f64 v[42:43], v[38:39], v[40:41]
	s_waitcnt lgkmcnt(0)
	v_mul_f64 v[44:45], v[34:35], v[134:135]
	ds_read_b128 v[38:41], v1 offset:1600
	v_fmac_f64_e32 v[44:45], v[36:37], v[136:137]
	v_add_f64 v[46:47], v[42:43], v[44:45]
	ds_read_b128 v[42:45], v1 offset:1616
	v_fma_f64 v[94:95], v[108:109], v[58:59], -v[62:63]
	s_waitcnt vmcnt(34) lgkmcnt(1)
	v_mul_f64 v[48:49], v[38:39], v[170:171]
	s_waitcnt vmcnt(32)
	v_fmac_f64_e32 v[48:49], v[40:41], v[174:175]
	v_add_f64 v[50:51], v[46:47], v[48:49]
	s_waitcnt lgkmcnt(0)
	v_mul_f64 v[52:53], v[42:43], v[140:141]
	v_fmac_f64_e32 v[52:53], v[44:45], v[144:145]
	ds_read_b128 v[46:49], v1 offset:1632
	v_add_f64 v[198:199], v[50:51], v[52:53]
	ds_read_b128 v[50:53], v1 offset:1648
	buffer_load_dword v195, off, s[0:3], 0 offset:828
	buffer_load_dword v194, off, s[0:3], 0 offset:824
	buffer_load_dword v197, off, s[0:3], 0 offset:820
	buffer_load_dword v196, off, s[0:3], 0 offset:816
	v_mul_f64 v[58:59], v[114:115], v[60:61]
	s_waitcnt vmcnt(30) lgkmcnt(1)
	v_mul_f64 v[200:201], v[46:47], v[178:179]
	s_waitcnt vmcnt(28)
	v_fmac_f64_e32 v[200:201], v[48:49], v[180:181]
	v_add_f64 v[254:255], v[198:199], v[200:201]
	buffer_load_dword v200, off, s[0:3], 0 offset:840
	buffer_load_dword v202, off, s[0:3], 0 offset:832
	;; [unrolled: 1-line block ×12, first 2 shown]
	ds_read_b128 v[54:57], v1 offset:1664
	buffer_load_dword v211, off, s[0:3], 0 offset:892
	buffer_load_dword v210, off, s[0:3], 0 offset:888
	;; [unrolled: 1-line block ×4, first 2 shown]
	s_waitcnt lgkmcnt(1)
	v_mul_f64 v[4:5], v[50:51], v[148:149]
	buffer_load_dword v214, off, s[0:3], 0 offset:904
	buffer_load_dword v216, off, s[0:3], 0 offset:896
	;; [unrolled: 1-line block ×8, first 2 shown]
	v_fma_f64 v[96:97], v[112:113], v[84:85], -v[58:59]
	v_fmac_f64_e32 v[4:5], v[52:53], v[152:153]
	v_mul_f64 v[58:59], v[224:225], v[68:69]
	v_add_f64 v[4:5], v[254:255], v[4:5]
	v_fma_f64 v[254:255], v[222:223], v[82:83], -v[58:59]
	buffer_load_dword v222, off, s[0:3], 0 offset:936
	buffer_load_dword v224, off, s[0:3], 0 offset:928
	;; [unrolled: 1-line block ×4, first 2 shown]
	s_waitcnt vmcnt(50) lgkmcnt(0)
	v_mul_f64 v[58:59], v[54:55], v[182:183]
	s_waitcnt vmcnt(48)
	v_fmac_f64_e32 v[58:59], v[56:57], v[184:185]
	v_add_f64 v[4:5], v[4:5], v[58:59]
	ds_read_b128 v[58:61], v1 offset:1680
	v_mul_f64 v[62:63], v[228:229], v[64:65]
	v_fma_f64 v[108:109], v[226:227], v[66:67], -v[62:63]
	ds_read_b128 v[62:65], v1 offset:1696
	v_mul_f64 v[66:67], v[232:233], v[70:71]
	v_fma_f64 v[226:227], v[230:231], v[72:73], -v[66:67]
	ds_read_b128 v[66:69], v1 offset:1712
	ds_read_b128 v[74:77], v1 offset:1744
	s_waitcnt lgkmcnt(3)
	v_mul_f64 v[82:83], v[58:59], v[156:157]
	v_fmac_f64_e32 v[82:83], v[60:61], v[160:161]
	s_waitcnt vmcnt(42) lgkmcnt(2)
	v_mul_f64 v[70:71], v[62:63], v[186:187]
	v_add_f64 v[4:5], v[4:5], v[82:83]
	s_waitcnt vmcnt(40)
	v_fmac_f64_e32 v[70:71], v[64:65], v[188:189]
	v_add_f64 v[4:5], v[4:5], v[70:71]
	s_waitcnt lgkmcnt(1)
	v_mul_f64 v[70:71], v[66:67], v[164:165]
	v_fmac_f64_e32 v[70:71], v[68:69], v[168:169]
	v_add_f64 v[4:5], v[4:5], v[70:71]
	ds_read_b128 v[70:73], v1 offset:1728
	ds_read_b128 v[78:81], v1 offset:1760
	;; [unrolled: 1-line block ×4, first 2 shown]
	v_mul_f64 v[100:101], v[100:101], v[102:103]
	s_waitcnt vmcnt(34) lgkmcnt(3)
	v_mul_f64 v[82:83], v[70:71], v[190:191]
	s_waitcnt vmcnt(32)
	v_fmac_f64_e32 v[82:83], v[72:73], v[192:193]
	v_add_f64 v[4:5], v[4:5], v[82:83]
	v_mul_f64 v[82:83], v[74:75], v[172:173]
	v_fmac_f64_e32 v[82:83], v[76:77], v[176:177]
	v_add_f64 v[4:5], v[4:5], v[82:83]
	v_mul_f64 v[102:103], v[236:237], v[106:107]
	v_fma_f64 v[252:253], v[98:99], v[104:105], -v[100:101]
	ds_read_b128 v[98:101], v1 offset:1840
	v_fma_f64 v[102:103], v[234:235], v[116:117], -v[102:103]
	v_accvgpr_write_b32 a187, v103
	v_accvgpr_write_b32 a186, v102
	ds_read_b128 v[102:105], v1 offset:1856
	ds_read_b128 v[232:235], v1 offset:1872
	v_add_f64 v[2:3], v[2:3], 0
	ds_read_b128 v[86:89], v1 offset:1792
	v_add_f64 v[2:3], v[2:3], v[94:95]
	v_add_f64 v[2:3], v[2:3], v[96:97]
	;; [unrolled: 1-line block ×9, first 2 shown]
	v_accvgpr_read_b32 v94, a182
	v_add_f64 v[252:253], v[2:3], v[252:253]
	v_accvgpr_read_b32 v2, a186
	v_accvgpr_read_b32 v95, a183
	;; [unrolled: 1-line block ×4, first 2 shown]
	v_mul_f64 v[94:95], v[120:121], v[94:95]
	v_accvgpr_read_b32 v97, a185
	v_add_f64 v[2:3], v[252:253], v[2:3]
	v_fma_f64 v[94:95], v[118:119], v[96:97], -v[94:95]
	v_mul_f64 v[8:9], v[8:9], v[138:139]
	s_waitcnt vmcnt(30) lgkmcnt(6)
	v_mul_f64 v[82:83], v[78:79], v[194:195]
	v_add_f64 v[2:3], v[2:3], v[94:95]
	s_waitcnt vmcnt(28)
	v_fmac_f64_e32 v[82:83], v[80:81], v[196:197]
	v_add_f64 v[4:5], v[4:5], v[82:83]
	ds_read_b128 v[82:85], v1 offset:1776
	v_fma_f64 v[6:7], v[6:7], v[142:143], -v[8:9]
	v_add_f64 v[2:3], v[2:3], v[6:7]
	s_waitcnt vmcnt(9) lgkmcnt(4)
	v_mul_f64 v[106:107], v[98:99], v[214:215]
	s_waitcnt vmcnt(8)
	v_fmac_f64_e32 v[106:107], v[100:101], v[216:217]
	s_waitcnt lgkmcnt(0)
	v_mul_f64 v[110:111], v[82:83], v[200:201]
	v_fmac_f64_e32 v[110:111], v[84:85], v[202:203]
	v_add_f64 v[4:5], v[4:5], v[110:111]
	v_mul_f64 v[110:111], v[86:87], v[204:205]
	v_fmac_f64_e32 v[110:111], v[88:89], v[208:209]
	v_add_f64 v[4:5], v[4:5], v[110:111]
	;; [unrolled: 3-line block ×4, first 2 shown]
	v_add_f64 v[4:5], v[4:5], v[106:107]
	s_waitcnt vmcnt(6)
	v_mul_f64 v[106:107], v[102:103], v[218:219]
	s_waitcnt vmcnt(4)
	v_fmac_f64_e32 v[106:107], v[104:105], v[220:221]
	v_add_f64 v[4:5], v[4:5], v[106:107]
	s_waitcnt vmcnt(1)
	v_mul_f64 v[106:107], v[232:233], v[222:223]
	s_waitcnt vmcnt(0)
	v_fmac_f64_e32 v[106:107], v[234:235], v[224:225]
	v_add_f64 v[106:107], v[4:5], v[106:107]
	buffer_load_dword v5, off, s[0:3], 0 offset:956
	buffer_load_dword v4, off, s[0:3], 0 offset:952
	;; [unrolled: 1-line block ×4, first 2 shown]
	ds_read_b128 v[110:113], v1 offset:1888
	buffer_load_dword v242, off, s[0:3], 0 offset:968
	buffer_load_dword v243, off, s[0:3], 0 offset:972
	;; [unrolled: 1-line block ×4, first 2 shown]
	v_mul_f64 v[6:7], v[12:13], v[122:123]
	v_fma_f64 v[6:7], v[10:11], v[124:125], -v[6:7]
	v_add_f64 v[2:3], v[2:3], v[6:7]
	v_mul_f64 v[6:7], v[16:17], v[146:147]
	v_fma_f64 v[6:7], v[14:15], v[150:151], -v[6:7]
	v_add_f64 v[2:3], v[2:3], v[6:7]
	;; [unrolled: 3-line block ×25, first 2 shown]
	s_waitcnt vmcnt(6) lgkmcnt(0)
	v_mul_f64 v[114:115], v[110:111], v[4:5]
	v_mul_f64 v[4:5], v[112:113], v[4:5]
	s_waitcnt vmcnt(4)
	v_fmac_f64_e32 v[114:115], v[112:113], v[236:237]
	v_add_f64 v[106:107], v[106:107], v[114:115]
	ds_read_b128 v[114:117], v1 offset:1904
	buffer_load_dword v248, off, s[0:3], 0 offset:304
	buffer_load_dword v249, off, s[0:3], 0 offset:308
	;; [unrolled: 1-line block ×4, first 2 shown]
	v_fma_f64 v[4:5], v[110:111], v[236:237], -v[4:5]
	v_add_f64 v[2:3], v[2:3], v[4:5]
	s_waitcnt vmcnt(6) lgkmcnt(0)
	v_mul_f64 v[4:5], v[116:117], v[242:243]
	v_mul_f64 v[250:251], v[114:115], v[242:243]
	s_waitcnt vmcnt(4)
	v_fma_f64 v[4:5], v[114:115], v[244:245], -v[4:5]
	v_fmac_f64_e32 v[250:251], v[116:117], v[244:245]
	v_add_f64 v[2:3], v[2:3], v[4:5]
	v_add_f64 v[106:107], v[106:107], v[250:251]
	s_waitcnt vmcnt(2)
	v_add_f64 v[2:3], v[248:249], -v[2:3]
	s_waitcnt vmcnt(0)
	v_add_f64 v[4:5], v[246:247], -v[106:107]
	buffer_store_dword v3, off, s[0:3], 0 offset:308
	buffer_store_dword v2, off, s[0:3], 0 offset:304
	;; [unrolled: 1-line block ×4, first 2 shown]
	s_and_saveexec_b64 s[4:5], vcc
	s_cbranch_execz .LBB59_339
; %bb.338:
	v_accvgpr_read_b32 v0, a162
	buffer_load_dword v2, v0, s[0:3], 0 offen
	buffer_load_dword v3, v0, s[0:3], 0 offen offset:4
	buffer_load_dword v4, v0, s[0:3], 0 offen offset:8
	;; [unrolled: 1-line block ×3, first 2 shown]
	v_accvgpr_read_b32 v0, a180
	buffer_store_dword v1, off, s[0:3], 0 offset:288
	buffer_store_dword v1, off, s[0:3], 0 offset:292
	;; [unrolled: 1-line block ×4, first 2 shown]
	s_waitcnt vmcnt(4)
	ds_write_b128 v0, v[2:5]
.LBB59_339:
	s_or_b64 exec, exec, s[4:5]
	s_waitcnt lgkmcnt(0)
	; wave barrier
	s_waitcnt lgkmcnt(0)
	buffer_load_dword v58, off, s[0:3], 0 offset:304
	buffer_load_dword v59, off, s[0:3], 0 offset:308
	buffer_load_dword v60, off, s[0:3], 0 offset:312
	buffer_load_dword v61, off, s[0:3], 0 offset:316
	buffer_load_dword v56, off, s[0:3], 0 offset:320
	buffer_load_dword v57, off, s[0:3], 0 offset:324
	buffer_load_dword v62, off, s[0:3], 0 offset:328
	buffer_load_dword v63, off, s[0:3], 0 offset:332
	buffer_load_dword v218, off, s[0:3], 0 offset:344
	buffer_load_dword v219, off, s[0:3], 0 offset:348
	buffer_load_dword v65, off, s[0:3], 0 offset:380
	buffer_load_dword v64, off, s[0:3], 0 offset:376
	buffer_load_dword v67, off, s[0:3], 0 offset:372
	buffer_load_dword v66, off, s[0:3], 0 offset:368
	buffer_load_dword v69, off, s[0:3], 0 offset:364
	buffer_load_dword v68, off, s[0:3], 0 offset:360
	buffer_load_dword v71, off, s[0:3], 0 offset:412
	buffer_load_dword v70, off, s[0:3], 0 offset:408
	buffer_load_dword v73, off, s[0:3], 0 offset:404
	buffer_load_dword v72, off, s[0:3], 0 offset:400
	buffer_load_dword v75, off, s[0:3], 0 offset:396
	buffer_load_dword v74, off, s[0:3], 0 offset:392
	buffer_load_dword v79, off, s[0:3], 0 offset:444
	buffer_load_dword v78, off, s[0:3], 0 offset:440
	buffer_load_dword v80, off, s[0:3], 0 offset:432
	buffer_load_dword v77, off, s[0:3], 0 offset:428
	buffer_load_dword v76, off, s[0:3], 0 offset:424
	buffer_load_dword v87, off, s[0:3], 0 offset:460
	buffer_load_dword v86, off, s[0:3], 0 offset:456
	buffer_load_dword v100, off, s[0:3], 0 offset:336
	buffer_load_dword v101, off, s[0:3], 0 offset:340
	buffer_load_dword v99, off, s[0:3], 0 offset:356
	buffer_load_dword v98, off, s[0:3], 0 offset:352
	buffer_load_dword v95, off, s[0:3], 0 offset:388
	buffer_load_dword v94, off, s[0:3], 0 offset:384
	buffer_load_dword v89, off, s[0:3], 0 offset:420
	buffer_load_dword v88, off, s[0:3], 0 offset:416
	buffer_load_dword v81, off, s[0:3], 0 offset:436
	buffer_load_dword v96, off, s[0:3], 0 offset:472
	buffer_load_dword v102, off, s[0:3], 0 offset:464
	buffer_load_dword v103, off, s[0:3], 0 offset:468
	buffer_load_dword v97, off, s[0:3], 0 offset:476
	ds_read_b128 v[110:113], v1 offset:1248
	ds_read_b128 v[114:117], v1 offset:1264
	;; [unrolled: 1-line block ×10, first 2 shown]
	buffer_load_dword v251, off, s[0:3], 0 offset:452
	buffer_load_dword v250, off, s[0:3], 0 offset:448
	ds_read_b128 v[90:93], v1 offset:1408
	buffer_load_dword v105, off, s[0:3], 0 offset:508
	buffer_load_dword v104, off, s[0:3], 0 offset:504
	;; [unrolled: 1-line block ×6, first 2 shown]
	s_waitcnt vmcnt(46) lgkmcnt(10)
	v_mul_f64 v[2:3], v[110:111], v[60:61]
	v_fmac_f64_e32 v[2:3], v[112:113], v[58:59]
	v_add_f64 v[2:3], v[2:3], 0
	v_mul_f64 v[60:61], v[112:113], v[60:61]
	s_waitcnt vmcnt(42) lgkmcnt(9)
	v_mul_f64 v[4:5], v[114:115], v[62:63]
	v_fmac_f64_e32 v[4:5], v[116:117], v[56:57]
	v_add_f64 v[2:3], v[2:3], v[4:5]
	buffer_load_dword v253, off, s[0:3], 0 offset:484
	buffer_load_dword v252, off, s[0:3], 0 offset:480
	;; [unrolled: 1-line block ×4, first 2 shown]
	s_waitcnt vmcnt(44) lgkmcnt(8)
	v_mul_f64 v[6:7], v[210:211], v[218:219]
	s_waitcnt vmcnt(42) lgkmcnt(6)
	v_mul_f64 v[10:11], v[222:223], v[64:65]
	s_waitcnt vmcnt(40)
	v_fmac_f64_e32 v[10:11], v[224:225], v[66:67]
	s_waitcnt vmcnt(38)
	v_mul_f64 v[8:9], v[214:215], v[68:69]
	s_waitcnt vmcnt(36) lgkmcnt(4)
	v_mul_f64 v[14:15], v[230:231], v[70:71]
	s_waitcnt vmcnt(34)
	v_fmac_f64_e32 v[14:15], v[232:233], v[72:73]
	s_waitcnt vmcnt(32)
	v_mul_f64 v[12:13], v[226:227], v[74:75]
	s_waitcnt vmcnt(30) lgkmcnt(2)
	v_mul_f64 v[18:19], v[238:239], v[78:79]
	v_mul_f64 v[78:79], v[240:241], v[78:79]
	s_waitcnt vmcnt(27)
	v_mul_f64 v[16:17], v[234:235], v[76:77]
	s_waitcnt vmcnt(25) lgkmcnt(1)
	v_mul_f64 v[20:21], v[82:83], v[86:87]
	s_waitcnt vmcnt(23)
	v_fmac_f64_e32 v[6:7], v[212:213], v[100:101]
	v_add_f64 v[2:3], v[2:3], v[6:7]
	s_waitcnt vmcnt(21)
	v_fmac_f64_e32 v[8:9], v[216:217], v[98:99]
	v_add_f64 v[2:3], v[2:3], v[8:9]
	;; [unrolled: 3-line block ×3, first 2 shown]
	v_add_f64 v[2:3], v[2:3], v[12:13]
	s_waitcnt vmcnt(17)
	v_fmac_f64_e32 v[16:17], v[236:237], v[88:89]
	v_add_f64 v[2:3], v[2:3], v[14:15]
	s_waitcnt vmcnt(16)
	v_fmac_f64_e32 v[18:19], v[240:241], v[80:81]
	v_add_f64 v[2:3], v[2:3], v[16:17]
	v_add_f64 v[2:3], v[2:3], v[18:19]
	s_waitcnt vmcnt(10)
	v_fmac_f64_e32 v[20:21], v[84:85], v[250:251]
	v_add_f64 v[2:3], v[2:3], v[20:21]
	v_mul_f64 v[84:85], v[84:85], v[86:87]
	s_waitcnt vmcnt(0)
	v_pk_mov_b32 v[18:19], v[4:5], v[4:5] op_sel:[0,1]
	buffer_load_dword v5, off, s[0:3], 0 offset:532
	buffer_load_dword v4, off, s[0:3], 0 offset:528
	v_accvgpr_write_b32 a183, v19
	v_accvgpr_write_b32 a182, v18
	s_waitcnt vmcnt(0)
	v_pk_mov_b32 v[22:23], v[4:5], v[4:5] op_sel:[0,1]
	buffer_load_dword v135, off, s[0:3], 0 offset:524
	buffer_load_dword v134, off, s[0:3], 0 offset:520
	;; [unrolled: 1-line block ×6, first 2 shown]
	v_accvgpr_write_b32 a185, v23
	v_accvgpr_write_b32 a184, v22
	s_waitcnt vmcnt(0)
	v_pk_mov_b32 v[26:27], v[4:5], v[4:5] op_sel:[0,1]
	buffer_load_dword v5, off, s[0:3], 0 offset:564
	buffer_load_dword v4, off, s[0:3], 0 offset:560
	v_accvgpr_write_b32 a187, v27
	v_accvgpr_write_b32 a186, v26
	s_waitcnt vmcnt(0)
	v_pk_mov_b32 v[28:29], v[4:5], v[4:5] op_sel:[0,1]
	buffer_load_dword v143, off, s[0:3], 0 offset:556
	buffer_load_dword v142, off, s[0:3], 0 offset:552
	;; [unrolled: 1-line block ×60, first 2 shown]
	ds_read_b128 v[242:245], v1 offset:1424
	ds_read_b128 v[246:249], v1 offset:1440
	;; [unrolled: 1-line block ×5, first 2 shown]
	v_accvgpr_write_b32 a189, v29
	s_waitcnt lgkmcnt(3)
	v_mul_f64 v[8:9], v[246:247], v[104:105]
	v_fmac_f64_e32 v[8:9], v[248:249], v[106:107]
	s_waitcnt lgkmcnt(2)
	v_mul_f64 v[12:13], v[118:119], v[134:135]
	v_fmac_f64_e32 v[12:13], v[120:121], v[138:139]
	s_waitcnt lgkmcnt(1)
	v_mul_f64 v[16:17], v[190:191], v[18:19]
	v_fmac_f64_e32 v[16:17], v[192:193], v[22:23]
	v_accvgpr_write_b32 a188, v28
	s_waitcnt vmcnt(54)
	v_pk_mov_b32 v[34:35], v[4:5], v[4:5] op_sel:[0,1]
	v_mul_f64 v[4:5], v[90:91], v[96:97]
	v_fmac_f64_e32 v[4:5], v[92:93], v[102:103]
	v_add_f64 v[2:3], v[2:3], v[4:5]
	v_mul_f64 v[4:5], v[242:243], v[108:109]
	v_fmac_f64_e32 v[4:5], v[244:245], v[252:253]
	v_add_f64 v[6:7], v[2:3], v[4:5]
	v_add_f64 v[10:11], v[6:7], v[8:9]
	;; [unrolled: 1-line block ×4, first 2 shown]
	ds_read_b128 v[14:17], v1 offset:1504
	s_waitcnt lgkmcnt(1)
	v_mul_f64 v[20:21], v[122:123], v[142:143]
	v_fmac_f64_e32 v[20:21], v[124:125], v[146:147]
	v_add_f64 v[22:23], v[18:19], v[20:21]
	ds_read_b128 v[18:21], v1 offset:1520
	s_waitcnt lgkmcnt(1)
	v_mul_f64 v[24:25], v[14:15], v[26:27]
	v_fmac_f64_e32 v[24:25], v[16:17], v[28:29]
	v_add_f64 v[26:27], v[22:23], v[24:25]
	ds_read_b128 v[22:25], v1 offset:1536
	s_waitcnt vmcnt(50) lgkmcnt(1)
	v_mul_f64 v[28:29], v[18:19], v[150:151]
	s_waitcnt vmcnt(48)
	v_fmac_f64_e32 v[28:29], v[20:21], v[154:155]
	v_add_f64 v[30:31], v[26:27], v[28:29]
	ds_read_b128 v[26:29], v1 offset:1552
	s_waitcnt lgkmcnt(1)
	v_mul_f64 v[32:33], v[22:23], v[34:35]
	v_accvgpr_write_b32 a191, v35
	v_fmac_f64_e32 v[32:33], v[24:25], v[128:129]
	v_accvgpr_write_b32 a190, v34
	v_add_f64 v[34:35], v[30:31], v[32:33]
	ds_read_b128 v[30:33], v1 offset:1568
	s_waitcnt vmcnt(42) lgkmcnt(1)
	v_mul_f64 v[36:37], v[26:27], v[158:159]
	s_waitcnt vmcnt(40)
	v_fmac_f64_e32 v[36:37], v[28:29], v[162:163]
	v_add_f64 v[38:39], v[34:35], v[36:37]
	ds_read_b128 v[34:37], v1 offset:1584
	s_waitcnt lgkmcnt(1)
	v_mul_f64 v[40:41], v[30:31], v[130:131]
	v_fmac_f64_e32 v[40:41], v[32:33], v[132:133]
	v_add_f64 v[42:43], v[38:39], v[40:41]
	ds_read_b128 v[38:41], v1 offset:1600
	s_waitcnt vmcnt(34) lgkmcnt(1)
	v_mul_f64 v[44:45], v[34:35], v[166:167]
	s_waitcnt vmcnt(32)
	v_fmac_f64_e32 v[44:45], v[36:37], v[170:171]
	v_add_f64 v[46:47], v[42:43], v[44:45]
	ds_read_b128 v[42:45], v1 offset:1616
	s_waitcnt lgkmcnt(1)
	v_mul_f64 v[48:49], v[38:39], v[136:137]
	v_fmac_f64_e32 v[48:49], v[40:41], v[140:141]
	v_add_f64 v[50:51], v[46:47], v[48:49]
	ds_read_b128 v[46:49], v1 offset:1632
	s_waitcnt vmcnt(26) lgkmcnt(1)
	v_mul_f64 v[52:53], v[42:43], v[174:175]
	s_waitcnt vmcnt(24)
	v_fmac_f64_e32 v[52:53], v[44:45], v[176:177]
	v_add_f64 v[254:255], v[50:51], v[52:53]
	ds_read_b128 v[50:53], v1 offset:1648
	buffer_load_dword v13, off, s[0:3], 0 offset:812
	buffer_load_dword v12, off, s[0:3], 0 offset:808
	;; [unrolled: 1-line block ×20, first 2 shown]
	v_mul_f64 v[4:5], v[116:117], v[62:63]
	v_fma_f64 v[8:9], v[114:115], v[56:57], -v[4:5]
	v_mul_f64 v[56:57], v[212:213], v[218:219]
	v_fma_f64 v[100:101], v[210:211], v[100:101], -v[56:57]
	;; [unrolled: 2-line block ×3, first 2 shown]
	buffer_load_dword v212, off, s[0:3], 0 offset:888
	buffer_load_dword v214, off, s[0:3], 0 offset:880
	;; [unrolled: 1-line block ×12, first 2 shown]
	s_waitcnt lgkmcnt(1)
	v_mul_f64 v[54:55], v[46:47], v[144:145]
	v_fmac_f64_e32 v[54:55], v[48:49], v[148:149]
	v_fma_f64 v[10:11], v[110:111], v[58:59], -v[60:61]
	v_add_f64 v[58:59], v[254:255], v[54:55]
	v_mul_f64 v[54:55], v[224:225], v[64:65]
	v_fma_f64 v[254:255], v[222:223], v[66:67], -v[54:55]
	buffer_load_dword v223, off, s[0:3], 0 offset:940
	buffer_load_dword v222, off, s[0:3], 0 offset:936
	;; [unrolled: 1-line block ×4, first 2 shown]
	s_waitcnt vmcnt(54) lgkmcnt(0)
	v_mul_f64 v[60:61], v[50:51], v[178:179]
	ds_read_b128 v[54:57], v1 offset:1664
	s_waitcnt vmcnt(52)
	v_fmac_f64_e32 v[60:61], v[52:53], v[180:181]
	v_add_f64 v[62:63], v[58:59], v[60:61]
	v_mul_f64 v[58:59], v[228:229], v[74:75]
	v_fma_f64 v[74:75], v[226:227], v[94:95], -v[58:59]
	ds_read_b128 v[58:61], v1 offset:1680
	s_waitcnt lgkmcnt(1)
	v_mul_f64 v[64:65], v[54:55], v[152:153]
	v_fmac_f64_e32 v[64:65], v[56:57], v[156:157]
	v_add_f64 v[94:95], v[62:63], v[64:65]
	ds_read_b128 v[62:65], v1 offset:1696
	v_mul_f64 v[66:67], v[232:233], v[70:71]
	s_waitcnt vmcnt(46) lgkmcnt(1)
	v_mul_f64 v[70:71], v[58:59], v[182:183]
	v_fma_f64 v[226:227], v[230:231], v[72:73], -v[66:67]
	ds_read_b128 v[66:69], v1 offset:1712
	s_waitcnt vmcnt(44)
	v_fmac_f64_e32 v[70:71], v[60:61], v[184:185]
	v_add_f64 v[94:95], v[94:95], v[70:71]
	v_mul_f64 v[70:71], v[236:237], v[76:77]
	v_fma_f64 v[236:237], v[234:235], v[88:89], -v[70:71]
	ds_read_b128 v[70:73], v1 offset:1728
	ds_read_b128 v[232:235], v1 offset:1744
	s_waitcnt lgkmcnt(3)
	v_mul_f64 v[110:111], v[62:63], v[160:161]
	v_fmac_f64_e32 v[110:111], v[64:65], v[164:165]
	s_waitcnt vmcnt(38) lgkmcnt(2)
	v_mul_f64 v[88:89], v[66:67], v[186:187]
	v_fma_f64 v[6:7], v[238:239], v[80:81], -v[78:79]
	ds_read_b128 v[78:81], v1 offset:1760
	v_add_f64 v[76:77], v[94:95], v[110:111]
	s_waitcnt vmcnt(36)
	v_fmac_f64_e32 v[88:89], v[68:69], v[188:189]
	v_add_f64 v[76:77], v[76:77], v[88:89]
	s_waitcnt lgkmcnt(2)
	v_mul_f64 v[88:89], v[70:71], v[168:169]
	v_fmac_f64_e32 v[88:89], v[72:73], v[172:173]
	v_add_f64 v[76:77], v[76:77], v[88:89]
	v_fma_f64 v[4:5], v[82:83], v[250:251], -v[84:85]
	ds_read_b128 v[82:85], v1 offset:1776
	v_mul_f64 v[92:93], v[92:93], v[96:97]
	v_fma_f64 v[2:3], v[90:91], v[102:103], -v[92:93]
	ds_read_b128 v[228:231], v1 offset:1824
	v_mul_f64 v[96:97], v[244:245], v[108:109]
	v_fma_f64 v[250:251], v[242:243], v[252:253], -v[96:97]
	v_mul_f64 v[102:103], v[248:249], v[104:105]
	v_fma_f64 v[252:253], v[246:247], v[106:107], -v[102:103]
	ds_read_b128 v[102:105], v1 offset:1856
	v_add_f64 v[10:11], v[10:11], 0
	v_add_f64 v[8:9], v[10:11], v[8:9]
	;; [unrolled: 1-line block ×3, first 2 shown]
	ds_read_b128 v[90:93], v1 offset:1808
	v_add_f64 v[8:9], v[8:9], v[98:99]
	v_add_f64 v[8:9], v[8:9], v[254:255]
	;; [unrolled: 1-line block ×9, first 2 shown]
	v_mul_f64 v[4:5], v[120:121], v[134:135]
	s_waitcnt vmcnt(25) lgkmcnt(3)
	v_mul_f64 v[94:95], v[82:83], v[200:201]
	v_add_f64 v[2:3], v[2:3], v[252:253]
	s_waitcnt vmcnt(23)
	v_fmac_f64_e32 v[94:95], v[84:85], v[206:207]
	v_fma_f64 v[4:5], v[118:119], v[138:139], -v[4:5]
	v_mul_f64 v[88:89], v[232:233], v[12:13]
	v_add_f64 v[2:3], v[2:3], v[4:5]
	v_fmac_f64_e32 v[88:89], v[234:235], v[126:127]
	v_mul_f64 v[86:87], v[78:79], v[196:197]
	v_add_f64 v[76:77], v[76:77], v[88:89]
	v_fmac_f64_e32 v[86:87], v[80:81], v[198:199]
	v_add_f64 v[76:77], v[76:77], v[86:87]
	ds_read_b128 v[86:89], v1 offset:1792
	v_add_f64 v[76:77], v[76:77], v[94:95]
	s_waitcnt vmcnt(22) lgkmcnt(0)
	v_mul_f64 v[94:95], v[86:87], v[194:195]
	s_waitcnt vmcnt(20)
	v_fmac_f64_e32 v[94:95], v[88:89], v[204:205]
	v_add_f64 v[76:77], v[76:77], v[94:95]
	s_waitcnt vmcnt(18)
	v_mul_f64 v[94:95], v[90:91], v[202:203]
	s_waitcnt vmcnt(16)
	v_fmac_f64_e32 v[94:95], v[92:93], v[208:209]
	v_add_f64 v[76:77], v[76:77], v[94:95]
	ds_read_b128 v[94:97], v1 offset:1840
	s_waitcnt vmcnt(13)
	v_mul_f64 v[106:107], v[228:229], v[212:213]
	s_waitcnt vmcnt(12)
	v_fmac_f64_e32 v[106:107], v[230:231], v[214:215]
	v_add_f64 v[76:77], v[76:77], v[106:107]
	s_waitcnt vmcnt(9) lgkmcnt(0)
	v_mul_f64 v[106:107], v[94:95], v[218:219]
	s_waitcnt vmcnt(7)
	v_fmac_f64_e32 v[106:107], v[96:97], v[220:221]
	v_add_f64 v[76:77], v[76:77], v[106:107]
	s_waitcnt vmcnt(5)
	v_mul_f64 v[106:107], v[102:103], v[210:211]
	s_waitcnt vmcnt(4)
	v_fmac_f64_e32 v[106:107], v[104:105], v[216:217]
	v_add_f64 v[76:77], v[76:77], v[106:107]
	ds_read_b128 v[106:109], v1 offset:1872
	s_waitcnt vmcnt(2) lgkmcnt(0)
	v_mul_f64 v[110:111], v[106:107], v[222:223]
	s_waitcnt vmcnt(0)
	v_fmac_f64_e32 v[110:111], v[108:109], v[224:225]
	v_add_f64 v[114:115], v[76:77], v[110:111]
	buffer_load_dword v76, off, s[0:3], 0 offset:952
	buffer_load_dword v77, off, s[0:3], 0 offset:956
	;; [unrolled: 1-line block ×4, first 2 shown]
	ds_read_b128 v[110:113], v1 offset:1888
	buffer_load_dword v243, off, s[0:3], 0 offset:972
	buffer_load_dword v242, off, s[0:3], 0 offset:968
	;; [unrolled: 1-line block ×4, first 2 shown]
	s_waitcnt vmcnt(6) lgkmcnt(0)
	v_mul_f64 v[116:117], v[110:111], v[76:77]
	s_waitcnt vmcnt(4)
	v_fmac_f64_e32 v[116:117], v[112:113], v[238:239]
	v_add_f64 v[240:241], v[114:115], v[116:117]
	ds_read_b128 v[114:117], v1 offset:1904
	v_accvgpr_read_b32 v0, a182
	v_accvgpr_read_b32 v1, a183
	v_mul_f64 v[4:5], v[192:193], v[0:1]
	v_accvgpr_read_b32 v0, a184
	s_waitcnt vmcnt(2) lgkmcnt(0)
	v_mul_f64 v[246:247], v[114:115], v[242:243]
	s_waitcnt vmcnt(0)
	v_fmac_f64_e32 v[246:247], v[116:117], v[244:245]
	v_add_f64 v[240:241], v[240:241], v[246:247]
	buffer_load_dword v248, off, s[0:3], 0 offset:288
	buffer_load_dword v249, off, s[0:3], 0 offset:292
	buffer_load_dword v246, off, s[0:3], 0 offset:296
	buffer_load_dword v247, off, s[0:3], 0 offset:300
	v_accvgpr_read_b32 v1, a185
	v_fma_f64 v[4:5], v[190:191], v[0:1], -v[4:5]
	v_add_f64 v[2:3], v[2:3], v[4:5]
	v_mul_f64 v[4:5], v[124:125], v[142:143]
	v_accvgpr_read_b32 v0, a186
	v_fma_f64 v[4:5], v[122:123], v[146:147], -v[4:5]
	v_accvgpr_read_b32 v1, a187
	v_add_f64 v[2:3], v[2:3], v[4:5]
	v_mul_f64 v[4:5], v[16:17], v[0:1]
	v_accvgpr_read_b32 v0, a188
	v_accvgpr_read_b32 v1, a189
	v_fma_f64 v[4:5], v[14:15], v[0:1], -v[4:5]
	v_add_f64 v[2:3], v[2:3], v[4:5]
	v_mul_f64 v[4:5], v[20:21], v[150:151]
	v_accvgpr_read_b32 v0, a190
	v_fma_f64 v[4:5], v[18:19], v[154:155], -v[4:5]
	v_accvgpr_read_b32 v1, a191
	v_add_f64 v[2:3], v[2:3], v[4:5]
	v_mul_f64 v[4:5], v[24:25], v[0:1]
	v_fma_f64 v[4:5], v[22:23], v[128:129], -v[4:5]
	v_add_f64 v[2:3], v[2:3], v[4:5]
	v_mul_f64 v[4:5], v[28:29], v[158:159]
	v_fma_f64 v[4:5], v[26:27], v[162:163], -v[4:5]
	;; [unrolled: 3-line block ×24, first 2 shown]
	v_add_f64 v[2:3], v[2:3], v[4:5]
	v_accvgpr_read_b32 v0, a179
	s_waitcnt vmcnt(2)
	v_add_f64 v[2:3], v[248:249], -v[2:3]
	v_cmp_lt_u32_e32 vcc, 16, v0
	s_waitcnt vmcnt(0)
	v_add_f64 v[4:5], v[246:247], -v[240:241]
	buffer_store_dword v3, off, s[0:3], 0 offset:292
	buffer_store_dword v2, off, s[0:3], 0 offset:288
	;; [unrolled: 1-line block ×4, first 2 shown]
	s_and_saveexec_b64 s[4:5], vcc
	s_cbranch_execz .LBB59_341
; %bb.340:
	v_accvgpr_read_b32 v0, a163
	buffer_load_dword v2, v0, s[0:3], 0 offen
	buffer_load_dword v3, v0, s[0:3], 0 offen offset:4
	buffer_load_dword v4, v0, s[0:3], 0 offen offset:8
	buffer_load_dword v5, v0, s[0:3], 0 offen offset:12
	v_mov_b32_e32 v0, 0
	v_accvgpr_read_b32 v1, a180
	buffer_store_dword v0, off, s[0:3], 0 offset:272
	buffer_store_dword v0, off, s[0:3], 0 offset:276
	buffer_store_dword v0, off, s[0:3], 0 offset:280
	buffer_store_dword v0, off, s[0:3], 0 offset:284
	s_waitcnt vmcnt(4)
	ds_write_b128 v1, v[2:5]
.LBB59_341:
	s_or_b64 exec, exec, s[4:5]
	s_waitcnt lgkmcnt(0)
	; wave barrier
	s_waitcnt lgkmcnt(0)
	buffer_load_dword v50, off, s[0:3], 0 offset:288
	buffer_load_dword v51, off, s[0:3], 0 offset:292
	;; [unrolled: 1-line block ×54, first 2 shown]
	v_mov_b32_e32 v1, 0
	ds_read_b128 v[102:105], v1 offset:1232
	ds_read_b128 v[106:109], v1 offset:1248
	;; [unrolled: 1-line block ×9, first 2 shown]
	v_accvgpr_read_b32 v0, a179
	v_cmp_lt_u32_e32 vcc, 15, v0
	s_waitcnt vmcnt(46) lgkmcnt(7)
	v_mul_f64 v[4:5], v[106:107], v[58:59]
	v_fmac_f64_e32 v[4:5], v[108:109], v[52:53]
	s_waitcnt vmcnt(44) lgkmcnt(6)
	v_mul_f64 v[6:7], v[110:111], v[54:55]
	s_waitcnt vmcnt(42) lgkmcnt(4)
	v_mul_f64 v[10:11], v[206:207], v[62:63]
	s_waitcnt vmcnt(40)
	v_fmac_f64_e32 v[10:11], v[208:209], v[60:61]
	s_waitcnt vmcnt(38)
	v_mul_f64 v[8:9], v[114:115], v[64:65]
	s_waitcnt vmcnt(36) lgkmcnt(2)
	v_mul_f64 v[14:15], v[226:227], v[66:67]
	s_waitcnt vmcnt(34)
	v_fmac_f64_e32 v[14:15], v[228:229], v[70:71]
	s_waitcnt vmcnt(32)
	;; [unrolled: 6-line block ×3, first 2 shown]
	v_fmac_f64_e32 v[8:9], v[116:117], v[210:211]
	s_waitcnt vmcnt(24)
	v_fmac_f64_e32 v[12:13], v[224:225], v[78:79]
	s_waitcnt vmcnt(22)
	v_fmac_f64_e32 v[16:17], v[232:233], v[72:73]
	s_waitcnt vmcnt(0)
	v_pk_mov_b32 v[18:19], v[2:3], v[2:3] op_sel:[0,1]
	v_mul_f64 v[2:3], v[102:103], v[56:57]
	v_fmac_f64_e32 v[2:3], v[104:105], v[50:51]
	v_add_f64 v[2:3], v[2:3], 0
	v_add_f64 v[2:3], v[2:3], v[4:5]
	buffer_load_dword v5, off, s[0:3], 0 offset:516
	buffer_load_dword v4, off, s[0:3], 0 offset:512
	v_add_f64 v[2:3], v[2:3], v[6:7]
	v_add_f64 v[2:3], v[2:3], v[8:9]
	;; [unrolled: 1-line block ×6, first 2 shown]
	v_accvgpr_write_b32 a183, v19
	v_accvgpr_write_b32 a182, v18
	s_waitcnt vmcnt(0)
	v_pk_mov_b32 v[14:15], v[4:5], v[4:5] op_sel:[0,1]
	buffer_load_dword v81, off, s[0:3], 0 offset:508
	buffer_load_dword v80, off, s[0:3], 0 offset:504
	buffer_load_dword v83, off, s[0:3], 0 offset:500
	buffer_load_dword v82, off, s[0:3], 0 offset:496
	buffer_load_dword v5, off, s[0:3], 0 offset:556
	buffer_load_dword v4, off, s[0:3], 0 offset:552
	v_accvgpr_write_b32 a185, v15
	v_accvgpr_write_b32 a184, v14
	s_waitcnt vmcnt(0)
	v_pk_mov_b32 v[22:23], v[4:5], v[4:5] op_sel:[0,1]
	buffer_load_dword v5, off, s[0:3], 0 offset:548
	buffer_load_dword v4, off, s[0:3], 0 offset:544
	v_accvgpr_write_b32 a187, v23
	v_accvgpr_write_b32 a186, v22
	s_waitcnt vmcnt(0)
	v_pk_mov_b32 v[24:25], v[4:5], v[4:5] op_sel:[0,1]
	buffer_load_dword v139, off, s[0:3], 0 offset:540
	buffer_load_dword v138, off, s[0:3], 0 offset:536
	;; [unrolled: 1-line block ×52, first 2 shown]
	ds_read_b128 v[238:241], v1 offset:1376
	ds_read_b128 v[242:245], v1 offset:1392
	;; [unrolled: 1-line block ×7, first 2 shown]
	v_accvgpr_write_b32 a189, v25
	v_accvgpr_write_b32 a188, v24
	s_waitcnt lgkmcnt(2)
	v_mul_f64 v[8:9], v[118:119], v[80:81]
	v_fmac_f64_e32 v[8:9], v[120:121], v[82:83]
	s_waitcnt lgkmcnt(1)
	v_mul_f64 v[12:13], v[126:127], v[18:19]
	v_fmac_f64_e32 v[12:13], v[128:129], v[14:15]
	v_mul_f64 v[80:81], v[120:121], v[80:81]
	s_waitcnt vmcnt(44)
	v_pk_mov_b32 v[30:31], v[4:5], v[4:5] op_sel:[0,1]
	v_mul_f64 v[4:5], v[234:235], v[74:75]
	v_fmac_f64_e32 v[4:5], v[236:237], v[84:85]
	v_add_f64 v[2:3], v[2:3], v[4:5]
	v_mul_f64 v[4:5], v[238:239], v[90:91]
	v_fmac_f64_e32 v[4:5], v[240:241], v[92:93]
	v_add_f64 v[2:3], v[2:3], v[4:5]
	;; [unrolled: 3-line block ×5, first 2 shown]
	v_add_f64 v[10:11], v[6:7], v[8:9]
	v_add_f64 v[14:15], v[10:11], v[12:13]
	ds_read_b128 v[10:13], v1 offset:1488
	s_waitcnt lgkmcnt(1)
	v_mul_f64 v[16:17], v[122:123], v[138:139]
	v_fmac_f64_e32 v[16:17], v[124:125], v[142:143]
	v_add_f64 v[18:19], v[14:15], v[16:17]
	ds_read_b128 v[14:17], v1 offset:1504
	s_waitcnt lgkmcnt(1)
	v_mul_f64 v[20:21], v[10:11], v[22:23]
	v_fmac_f64_e32 v[20:21], v[12:13], v[24:25]
	v_add_f64 v[22:23], v[18:19], v[20:21]
	ds_read_b128 v[18:21], v1 offset:1520
	s_waitcnt vmcnt(42) lgkmcnt(1)
	v_mul_f64 v[24:25], v[14:15], v[146:147]
	s_waitcnt vmcnt(40)
	v_fmac_f64_e32 v[24:25], v[16:17], v[150:151]
	v_add_f64 v[26:27], v[22:23], v[24:25]
	ds_read_b128 v[22:25], v1 offset:1536
	s_waitcnt lgkmcnt(1)
	v_mul_f64 v[28:29], v[18:19], v[254:255]
	v_fmac_f64_e32 v[28:29], v[20:21], v[30:31]
	v_accvgpr_write_b32 a191, v31
	v_accvgpr_write_b32 a190, v30
	v_add_f64 v[30:31], v[26:27], v[28:29]
	ds_read_b128 v[26:29], v1 offset:1552
	s_waitcnt vmcnt(34) lgkmcnt(1)
	v_mul_f64 v[32:33], v[22:23], v[154:155]
	s_waitcnt vmcnt(32)
	v_fmac_f64_e32 v[32:33], v[24:25], v[158:159]
	v_add_f64 v[34:35], v[30:31], v[32:33]
	ds_read_b128 v[30:33], v1 offset:1568
	s_waitcnt lgkmcnt(1)
	v_mul_f64 v[36:37], v[26:27], v[130:131]
	v_fmac_f64_e32 v[36:37], v[28:29], v[132:133]
	v_add_f64 v[38:39], v[34:35], v[36:37]
	ds_read_b128 v[34:37], v1 offset:1584
	s_waitcnt vmcnt(26) lgkmcnt(1)
	v_mul_f64 v[40:41], v[30:31], v[162:163]
	s_waitcnt vmcnt(24)
	v_fmac_f64_e32 v[40:41], v[32:33], v[164:165]
	v_add_f64 v[42:43], v[38:39], v[40:41]
	ds_read_b128 v[38:41], v1 offset:1600
	s_waitcnt lgkmcnt(1)
	v_mul_f64 v[44:45], v[34:35], v[134:135]
	v_fmac_f64_e32 v[44:45], v[36:37], v[136:137]
	v_add_f64 v[46:47], v[42:43], v[44:45]
	ds_read_b128 v[42:45], v1 offset:1616
	buffer_load_dword v179, off, s[0:3], 0 offset:780
	buffer_load_dword v181, off, s[0:3], 0 offset:764
	;; [unrolled: 1-line block ×8, first 2 shown]
	s_waitcnt vmcnt(26) lgkmcnt(1)
	v_mul_f64 v[48:49], v[38:39], v[166:167]
	s_waitcnt vmcnt(24)
	v_fmac_f64_e32 v[48:49], v[40:41], v[168:169]
	v_add_f64 v[190:191], v[46:47], v[48:49]
	ds_read_b128 v[46:49], v1 offset:1632
	buffer_load_dword v187, off, s[0:3], 0 offset:796
	buffer_load_dword v186, off, s[0:3], 0 offset:792
	buffer_load_dword v189, off, s[0:3], 0 offset:788
	buffer_load_dword v188, off, s[0:3], 0 offset:784
	s_waitcnt lgkmcnt(1)
	v_mul_f64 v[192:193], v[42:43], v[140:141]
	v_fmac_f64_e32 v[192:193], v[44:45], v[144:145]
	v_add_f64 v[2:3], v[190:191], v[192:193]
	buffer_load_dword v191, off, s[0:3], 0 offset:812
	buffer_load_dword v190, off, s[0:3], 0 offset:808
	;; [unrolled: 1-line block ×8, first 2 shown]
	v_mul_f64 v[4:5], v[104:105], v[56:57]
	v_fma_f64 v[6:7], v[102:103], v[50:51], -v[4:5]
	buffer_load_dword v198, off, s[0:3], 0 offset:840
	v_mul_f64 v[50:51], v[108:109], v[58:59]
	v_fma_f64 v[102:103], v[106:107], v[52:53], -v[50:51]
	buffer_load_dword v200, off, s[0:3], 0 offset:832
	buffer_load_dword v199, off, s[0:3], 0 offset:844
	;; [unrolled: 1-line block ×3, first 2 shown]
	v_mul_f64 v[50:51], v[112:113], v[54:55]
	v_fma_f64 v[104:105], v[110:111], v[202:203], -v[50:51]
	buffer_load_dword v203, off, s[0:3], 0 offset:860
	buffer_load_dword v202, off, s[0:3], 0 offset:856
	;; [unrolled: 1-line block ×4, first 2 shown]
	v_mul_f64 v[50:51], v[116:117], v[64:65]
	v_fma_f64 v[106:107], v[114:115], v[210:211], -v[50:51]
	v_mul_f64 v[50:51], v[208:209], v[62:63]
	buffer_load_dword v209, off, s[0:3], 0 offset:876
	buffer_load_dword v208, off, s[0:3], 0 offset:872
	;; [unrolled: 1-line block ×4, first 2 shown]
	v_fma_f64 v[108:109], v[206:207], v[60:61], -v[50:51]
	buffer_load_dword v207, off, s[0:3], 0 offset:908
	buffer_load_dword v213, off, s[0:3], 0 offset:892
	;; [unrolled: 1-line block ×12, first 2 shown]
	ds_read_b128 v[50:53], v1 offset:1648
	v_mul_f64 v[54:55], v[224:225], v[76:77]
	v_fma_f64 v[222:223], v[222:223], v[78:79], -v[54:55]
	ds_read_b128 v[54:57], v1 offset:1664
	s_waitcnt vmcnt(54) lgkmcnt(2)
	v_mul_f64 v[58:59], v[46:47], v[170:171]
	s_waitcnt vmcnt(52)
	v_fmac_f64_e32 v[58:59], v[48:49], v[172:173]
	v_add_f64 v[2:3], v[2:3], v[58:59]
	s_waitcnt lgkmcnt(1)
	v_mul_f64 v[58:59], v[50:51], v[148:149]
	v_fmac_f64_e32 v[58:59], v[52:53], v[152:153]
	v_add_f64 v[2:3], v[2:3], v[58:59]
	s_waitcnt vmcnt(46) lgkmcnt(0)
	v_mul_f64 v[58:59], v[54:55], v[174:175]
	s_waitcnt vmcnt(44)
	v_fmac_f64_e32 v[58:59], v[56:57], v[176:177]
	v_add_f64 v[2:3], v[2:3], v[58:59]
	ds_read_b128 v[58:61], v1 offset:1680
	v_mul_f64 v[62:63], v[228:229], v[66:67]
	v_fma_f64 v[78:79], v[226:227], v[70:71], -v[62:63]
	ds_read_b128 v[62:65], v1 offset:1696
	v_mul_f64 v[66:67], v[232:233], v[68:69]
	v_fma_f64 v[224:225], v[230:231], v[72:73], -v[66:67]
	ds_read_b128 v[66:69], v1 offset:1712
	s_waitcnt lgkmcnt(2)
	v_mul_f64 v[70:71], v[58:59], v[156:157]
	v_fmac_f64_e32 v[70:71], v[60:61], v[160:161]
	v_add_f64 v[2:3], v[2:3], v[70:71]
	v_mul_f64 v[74:75], v[236:237], v[74:75]
	v_fma_f64 v[236:237], v[234:235], v[84:85], -v[74:75]
	ds_read_b128 v[74:77], v1 offset:1744
	ds_read_b128 v[232:235], v1 offset:1776
	v_mul_f64 v[90:91], v[240:241], v[90:91]
	v_fma_f64 v[4:5], v[238:239], v[92:93], -v[90:91]
	v_mul_f64 v[90:91], v[248:249], v[98:99]
	v_fma_f64 v[246:247], v[246:247], v[100:101], -v[90:91]
	ds_read_b128 v[90:93], v1 offset:1808
	v_mul_f64 v[94:95], v[252:253], v[94:95]
	v_fma_f64 v[252:253], v[250:251], v[96:97], -v[94:95]
	ds_read_b128 v[94:97], v1 offset:1824
	ds_read_b128 v[228:231], v1 offset:1760
	v_fma_f64 v[250:251], v[118:119], v[82:83], -v[80:81]
	v_add_f64 v[6:7], v[6:7], 0
	v_add_f64 v[6:7], v[6:7], v[102:103]
	;; [unrolled: 1-line block ×10, first 2 shown]
	v_accvgpr_read_b32 v6, a182
	v_accvgpr_read_b32 v7, a183
	v_mul_f64 v[6:7], v[128:129], v[6:7]
	s_waitcnt vmcnt(41) lgkmcnt(6)
	v_mul_f64 v[70:71], v[62:63], v[180:181]
	ds_read_b128 v[118:121], v1 offset:1856
	s_waitcnt vmcnt(39)
	v_fmac_f64_e32 v[70:71], v[64:65], v[184:185]
	v_add_f64 v[2:3], v[2:3], v[70:71]
	s_waitcnt vmcnt(38) lgkmcnt(6)
	v_mul_f64 v[70:71], v[66:67], v[178:179]
	s_waitcnt vmcnt(36)
	v_fmac_f64_e32 v[70:71], v[68:69], v[182:183]
	v_add_f64 v[2:3], v[2:3], v[70:71]
	ds_read_b128 v[70:73], v1 offset:1728
	s_waitcnt vmcnt(30) lgkmcnt(6)
	v_mul_f64 v[8:9], v[74:75], v[190:191]
	s_waitcnt vmcnt(28)
	v_fmac_f64_e32 v[8:9], v[76:77], v[194:195]
	s_waitcnt lgkmcnt(0)
	v_mul_f64 v[84:85], v[70:71], v[186:187]
	v_fmac_f64_e32 v[84:85], v[72:73], v[188:189]
	v_add_f64 v[2:3], v[2:3], v[84:85]
	v_add_f64 v[2:3], v[2:3], v[8:9]
	s_waitcnt vmcnt(26)
	v_mul_f64 v[8:9], v[228:229], v[192:193]
	s_waitcnt vmcnt(24)
	v_fmac_f64_e32 v[8:9], v[230:231], v[196:197]
	v_add_f64 v[2:3], v[2:3], v[8:9]
	v_mul_f64 v[8:9], v[244:245], v[86:87]
	v_fma_f64 v[8:9], v[242:243], v[88:89], -v[8:9]
	ds_read_b128 v[86:89], v1 offset:1792
	s_waitcnt vmcnt(21)
	v_mul_f64 v[84:85], v[232:233], v[198:199]
	s_waitcnt vmcnt(20)
	v_fmac_f64_e32 v[84:85], v[234:235], v[200:201]
	v_add_f64 v[84:85], v[2:3], v[84:85]
	s_waitcnt vmcnt(9)
	v_mul_f64 v[80:81], v[94:95], v[212:213]
	s_waitcnt lgkmcnt(0)
	v_mul_f64 v[98:99], v[86:87], v[202:203]
	v_fmac_f64_e32 v[98:99], v[88:89], v[204:205]
	v_add_f64 v[84:85], v[84:85], v[98:99]
	v_mul_f64 v[98:99], v[90:91], v[208:209]
	v_fmac_f64_e32 v[98:99], v[92:93], v[210:211]
	v_add_f64 v[84:85], v[84:85], v[98:99]
	ds_read_b128 v[98:101], v1 offset:1840
	s_waitcnt vmcnt(7)
	v_fmac_f64_e32 v[80:81], v[96:97], v[218:219]
	v_add_f64 v[80:81], v[84:85], v[80:81]
	buffer_load_dword v2, off, s[0:3], 0 offset:936
	v_add_f64 v[4:5], v[4:5], v[8:9]
	s_waitcnt vmcnt(7) lgkmcnt(0)
	v_mul_f64 v[82:83], v[98:99], v[206:207]
	s_waitcnt vmcnt(5)
	v_fmac_f64_e32 v[82:83], v[100:101], v[216:217]
	v_add_f64 v[80:81], v[80:81], v[82:83]
	s_waitcnt vmcnt(3)
	v_mul_f64 v[82:83], v[118:119], v[214:215]
	s_waitcnt vmcnt(1)
	v_fmac_f64_e32 v[82:83], v[120:121], v[220:221]
	v_add_f64 v[110:111], v[80:81], v[82:83]
	buffer_load_dword v80, off, s[0:3], 0 offset:928
	buffer_load_dword v3, off, s[0:3], 0 offset:940
	;; [unrolled: 1-line block ×3, first 2 shown]
	ds_read_b128 v[82:85], v1 offset:1872
	buffer_load_dword v227, off, s[0:3], 0 offset:956
	buffer_load_dword v226, off, s[0:3], 0 offset:952
	;; [unrolled: 1-line block ×4, first 2 shown]
	v_add_f64 v[4:5], v[4:5], v[246:247]
	v_accvgpr_read_b32 v8, a184
	v_add_f64 v[252:253], v[4:5], v[252:253]
	v_accvgpr_read_b32 v9, a185
	v_add_f64 v[4:5], v[252:253], v[250:251]
	v_fma_f64 v[6:7], v[126:127], v[8:9], -v[6:7]
	v_add_f64 v[4:5], v[4:5], v[6:7]
	v_mul_f64 v[6:7], v[124:125], v[138:139]
	v_fma_f64 v[6:7], v[122:123], v[142:143], -v[6:7]
	v_add_f64 v[4:5], v[4:5], v[6:7]
	v_accvgpr_read_b32 v6, a186
	v_accvgpr_read_b32 v7, a187
	;; [unrolled: 1-line block ×3, first 2 shown]
	v_mul_f64 v[6:7], v[12:13], v[6:7]
	v_accvgpr_read_b32 v9, a189
	v_fma_f64 v[6:7], v[10:11], v[8:9], -v[6:7]
	v_add_f64 v[4:5], v[4:5], v[6:7]
	v_mul_f64 v[6:7], v[16:17], v[146:147]
	v_fma_f64 v[6:7], v[14:15], v[150:151], -v[6:7]
	v_accvgpr_read_b32 v8, a190
	v_add_f64 v[4:5], v[4:5], v[6:7]
	v_mul_f64 v[6:7], v[20:21], v[254:255]
	v_accvgpr_read_b32 v9, a191
	v_fma_f64 v[6:7], v[18:19], v[8:9], -v[6:7]
	v_add_f64 v[4:5], v[4:5], v[6:7]
	v_mul_f64 v[6:7], v[24:25], v[154:155]
	v_fma_f64 v[6:7], v[22:23], v[158:159], -v[6:7]
	v_add_f64 v[4:5], v[4:5], v[6:7]
	v_mul_f64 v[6:7], v[28:29], v[130:131]
	;; [unrolled: 3-line block ×17, first 2 shown]
	v_fma_f64 v[6:7], v[86:87], v[204:205], -v[6:7]
	v_add_f64 v[4:5], v[4:5], v[6:7]
	s_waitcnt vmcnt(5) lgkmcnt(0)
	v_mul_f64 v[112:113], v[82:83], v[2:3]
	s_waitcnt vmcnt(4)
	v_fmac_f64_e32 v[112:113], v[84:85], v[80:81]
	v_add_f64 v[114:115], v[110:111], v[112:113]
	ds_read_b128 v[110:113], v1 offset:1888
	buffer_load_dword v242, off, s[0:3], 0 offset:968
	buffer_load_dword v243, off, s[0:3], 0 offset:972
	;; [unrolled: 1-line block ×4, first 2 shown]
	v_mul_f64 v[6:7], v[92:93], v[208:209]
	v_fma_f64 v[6:7], v[90:91], v[210:211], -v[6:7]
	v_add_f64 v[4:5], v[4:5], v[6:7]
	s_waitcnt vmcnt(6) lgkmcnt(0)
	v_mul_f64 v[116:117], v[110:111], v[226:227]
	s_waitcnt vmcnt(4)
	v_fmac_f64_e32 v[116:117], v[112:113], v[238:239]
	v_add_f64 v[240:241], v[114:115], v[116:117]
	ds_read_b128 v[114:117], v1 offset:1904
	v_mul_f64 v[6:7], v[96:97], v[212:213]
	v_fma_f64 v[6:7], v[94:95], v[218:219], -v[6:7]
	v_add_f64 v[4:5], v[4:5], v[6:7]
	v_mul_f64 v[6:7], v[100:101], v[206:207]
	v_fma_f64 v[6:7], v[98:99], v[216:217], -v[6:7]
	v_add_f64 v[4:5], v[4:5], v[6:7]
	v_mul_f64 v[6:7], v[120:121], v[214:215]
	v_fma_f64 v[6:7], v[118:119], v[220:221], -v[6:7]
	v_mul_f64 v[2:3], v[84:85], v[2:3]
	v_add_f64 v[4:5], v[4:5], v[6:7]
	v_fma_f64 v[2:3], v[82:83], v[80:81], -v[2:3]
	v_add_f64 v[2:3], v[4:5], v[2:3]
	v_mul_f64 v[4:5], v[112:113], v[226:227]
	v_fma_f64 v[4:5], v[110:111], v[238:239], -v[4:5]
	v_add_f64 v[2:3], v[2:3], v[4:5]
	s_waitcnt vmcnt(2) lgkmcnt(0)
	v_mul_f64 v[248:249], v[114:115], v[242:243]
	v_mul_f64 v[4:5], v[116:117], v[242:243]
	s_waitcnt vmcnt(0)
	v_fmac_f64_e32 v[248:249], v[116:117], v[244:245]
	v_add_f64 v[240:241], v[240:241], v[248:249]
	buffer_load_dword v248, off, s[0:3], 0 offset:272
	buffer_load_dword v249, off, s[0:3], 0 offset:276
	;; [unrolled: 1-line block ×4, first 2 shown]
	v_fma_f64 v[4:5], v[114:115], v[244:245], -v[4:5]
	v_add_f64 v[2:3], v[2:3], v[4:5]
	s_waitcnt vmcnt(2)
	v_add_f64 v[2:3], v[248:249], -v[2:3]
	s_waitcnt vmcnt(0)
	v_add_f64 v[4:5], v[246:247], -v[240:241]
	buffer_store_dword v3, off, s[0:3], 0 offset:276
	buffer_store_dword v2, off, s[0:3], 0 offset:272
	;; [unrolled: 1-line block ×4, first 2 shown]
	s_and_saveexec_b64 s[4:5], vcc
	s_cbranch_execz .LBB59_343
; %bb.342:
	v_accvgpr_read_b32 v0, a164
	buffer_load_dword v2, v0, s[0:3], 0 offen
	buffer_load_dword v3, v0, s[0:3], 0 offen offset:4
	buffer_load_dword v4, v0, s[0:3], 0 offen offset:8
	;; [unrolled: 1-line block ×3, first 2 shown]
	v_accvgpr_read_b32 v0, a180
	buffer_store_dword v1, off, s[0:3], 0 offset:256
	buffer_store_dword v1, off, s[0:3], 0 offset:260
	buffer_store_dword v1, off, s[0:3], 0 offset:264
	buffer_store_dword v1, off, s[0:3], 0 offset:268
	s_waitcnt vmcnt(4)
	ds_write_b128 v0, v[2:5]
.LBB59_343:
	s_or_b64 exec, exec, s[4:5]
	s_waitcnt lgkmcnt(0)
	; wave barrier
	s_waitcnt lgkmcnt(0)
	buffer_load_dword v184, off, s[0:3], 0 offset:272
	buffer_load_dword v185, off, s[0:3], 0 offset:276
	;; [unrolled: 1-line block ×36, first 2 shown]
	ds_read_b128 v[82:85], v1 offset:1216
	ds_read_b128 v[78:81], v1 offset:1232
	;; [unrolled: 1-line block ×9, first 2 shown]
	buffer_load_dword v225, off, s[0:3], 0 offset:444
	buffer_load_dword v224, off, s[0:3], 0 offset:440
	;; [unrolled: 1-line block ×19, first 2 shown]
	s_waitcnt vmcnt(51) lgkmcnt(8)
	v_mul_f64 v[2:3], v[82:83], v[192:193]
	v_fmac_f64_e32 v[2:3], v[84:85], v[184:185]
	v_add_f64 v[2:3], v[2:3], 0
	s_waitcnt vmcnt(47) lgkmcnt(7)
	v_mul_f64 v[4:5], v[78:79], v[196:197]
	v_fmac_f64_e32 v[4:5], v[80:81], v[194:195]
	v_add_f64 v[2:3], v[2:3], v[4:5]
	buffer_load_dword v244, off, s[0:3], 0 offset:496
	buffer_load_dword v99, off, s[0:3], 0 offset:492
	;; [unrolled: 1-line block ×7, first 2 shown]
	s_waitcnt vmcnt(52) lgkmcnt(6)
	v_mul_f64 v[6:7], v[74:75], v[200:201]
	s_waitcnt vmcnt(50) lgkmcnt(4)
	v_mul_f64 v[10:11], v[62:63], v[210:211]
	s_waitcnt vmcnt(48)
	v_fmac_f64_e32 v[10:11], v[64:65], v[212:213]
	v_mul_f64 v[80:81], v[80:81], v[196:197]
	s_waitcnt vmcnt(46)
	v_mul_f64 v[8:9], v[70:71], v[202:203]
	v_fma_f64 v[78:79], v[78:79], v[194:195], -v[80:81]
	s_waitcnt vmcnt(44) lgkmcnt(2)
	v_mul_f64 v[14:15], v[54:55], v[104:105]
	v_mul_f64 v[64:65], v[64:65], v[210:211]
	s_waitcnt vmcnt(42)
	v_fmac_f64_e32 v[14:15], v[56:57], v[108:109]
	v_fma_f64 v[210:211], v[62:63], v[212:213], -v[64:65]
	s_waitcnt vmcnt(40)
	v_mul_f64 v[12:13], v[50:51], v[112:113]
	s_waitcnt vmcnt(38) lgkmcnt(1)
	v_mul_f64 v[16:17], v[58:59], v[106:107]
	s_waitcnt vmcnt(36)
	v_fmac_f64_e32 v[6:7], v[76:77], v[198:199]
	v_add_f64 v[2:3], v[2:3], v[6:7]
	s_waitcnt vmcnt(34)
	v_fmac_f64_e32 v[8:9], v[72:73], v[116:117]
	v_add_f64 v[2:3], v[2:3], v[8:9]
	;; [unrolled: 3-line block ×3, first 2 shown]
	v_add_f64 v[2:3], v[2:3], v[12:13]
	s_waitcnt vmcnt(30)
	v_fmac_f64_e32 v[16:17], v[60:61], v[110:111]
	v_add_f64 v[2:3], v[2:3], v[14:15]
	v_add_f64 v[2:3], v[2:3], v[16:17]
	v_mul_f64 v[76:77], v[76:77], v[200:201]
	v_fma_f64 v[80:81], v[74:75], v[198:199], -v[76:77]
	v_mul_f64 v[72:73], v[72:73], v[202:203]
	v_mul_f64 v[52:53], v[52:53], v[112:113]
	v_mul_f64 v[60:61], v[60:61], v[106:107]
	v_fma_f64 v[116:117], v[70:71], v[116:117], -v[72:73]
	s_waitcnt vmcnt(0)
	v_pk_mov_b32 v[18:19], v[4:5], v[4:5] op_sel:[0,1]
	buffer_load_dword v5, off, s[0:3], 0 offset:532
	buffer_load_dword v4, off, s[0:3], 0 offset:528
	v_accvgpr_write_b32 a183, v19
	v_accvgpr_write_b32 a182, v18
	s_waitcnt vmcnt(0)
	v_pk_mov_b32 v[20:21], v[4:5], v[4:5] op_sel:[0,1]
	buffer_load_dword v135, off, s[0:3], 0 offset:524
	buffer_load_dword v134, off, s[0:3], 0 offset:520
	;; [unrolled: 1-line block ×6, first 2 shown]
	v_accvgpr_write_b32 a185, v21
	v_accvgpr_write_b32 a184, v20
	s_waitcnt vmcnt(0)
	v_pk_mov_b32 v[26:27], v[4:5], v[4:5] op_sel:[0,1]
	buffer_load_dword v5, off, s[0:3], 0 offset:564
	buffer_load_dword v4, off, s[0:3], 0 offset:560
	v_accvgpr_write_b32 a187, v27
	v_accvgpr_write_b32 a186, v26
	s_waitcnt vmcnt(0)
	v_pk_mov_b32 v[28:29], v[4:5], v[4:5] op_sel:[0,1]
	buffer_load_dword v143, off, s[0:3], 0 offset:556
	buffer_load_dword v142, off, s[0:3], 0 offset:552
	buffer_load_dword v147, off, s[0:3], 0 offset:548
	buffer_load_dword v146, off, s[0:3], 0 offset:544
	buffer_load_dword v5, off, s[0:3], 0 offset:604
	buffer_load_dword v4, off, s[0:3], 0 offset:600
	v_accvgpr_write_b32 a189, v29
	v_accvgpr_write_b32 a188, v28
	s_waitcnt vmcnt(0)
	v_pk_mov_b32 v[34:35], v[4:5], v[4:5] op_sel:[0,1]
	buffer_load_dword v5, off, s[0:3], 0 offset:596
	buffer_load_dword v4, off, s[0:3], 0 offset:592
	;; [unrolled: 1-line block ×38, first 2 shown]
	ds_read_b128 v[230:233], v1 offset:1360
	ds_read_b128 v[234:237], v1 offset:1376
	;; [unrolled: 1-line block ×9, first 2 shown]
	v_accvgpr_write_b32 a191, v35
	s_waitcnt lgkmcnt(3)
	v_mul_f64 v[8:9], v[94:95], v[242:243]
	v_fmac_f64_e32 v[8:9], v[96:97], v[244:245]
	s_waitcnt lgkmcnt(2)
	v_mul_f64 v[12:13], v[126:127], v[134:135]
	v_fmac_f64_e32 v[12:13], v[128:129], v[138:139]
	;; [unrolled: 3-line block ×3, first 2 shown]
	v_accvgpr_write_b32 a190, v34
	v_mul_f64 v[70:71], v[232:233], v[238:239]
	v_mul_f64 v[96:97], v[96:97], v[242:243]
	s_waitcnt vmcnt(36)
	v_pk_mov_b32 v[36:37], v[4:5], v[4:5] op_sel:[0,1]
	v_mul_f64 v[4:5], v[66:67], v[102:103]
	v_fmac_f64_e32 v[4:5], v[68:69], v[222:223]
	v_add_f64 v[2:3], v[2:3], v[4:5]
	v_mul_f64 v[4:5], v[230:231], v[238:239]
	v_fmac_f64_e32 v[4:5], v[232:233], v[240:241]
	v_add_f64 v[2:3], v[2:3], v[4:5]
	;; [unrolled: 3-line block ×6, first 2 shown]
	v_add_f64 v[10:11], v[6:7], v[8:9]
	v_add_f64 v[14:15], v[10:11], v[12:13]
	;; [unrolled: 1-line block ×3, first 2 shown]
	ds_read_b128 v[14:17], v1 offset:1504
	s_waitcnt lgkmcnt(1)
	v_mul_f64 v[20:21], v[118:119], v[142:143]
	v_fmac_f64_e32 v[20:21], v[120:121], v[146:147]
	v_add_f64 v[22:23], v[18:19], v[20:21]
	ds_read_b128 v[18:21], v1 offset:1520
	s_waitcnt lgkmcnt(1)
	v_mul_f64 v[24:25], v[14:15], v[26:27]
	v_fmac_f64_e32 v[24:25], v[16:17], v[28:29]
	v_add_f64 v[26:27], v[22:23], v[24:25]
	ds_read_b128 v[22:25], v1 offset:1536
	s_waitcnt vmcnt(34) lgkmcnt(1)
	v_mul_f64 v[28:29], v[18:19], v[150:151]
	s_waitcnt vmcnt(32)
	v_fmac_f64_e32 v[28:29], v[20:21], v[154:155]
	v_add_f64 v[30:31], v[26:27], v[28:29]
	ds_read_b128 v[26:29], v1 offset:1552
	s_waitcnt lgkmcnt(1)
	v_mul_f64 v[32:33], v[22:23], v[34:35]
	v_fmac_f64_e32 v[32:33], v[24:25], v[36:37]
	v_accvgpr_write_b32 a193, v37
	v_accvgpr_write_b32 a192, v36
	v_add_f64 v[34:35], v[30:31], v[32:33]
	ds_read_b128 v[30:33], v1 offset:1568
	s_waitcnt vmcnt(26) lgkmcnt(1)
	v_mul_f64 v[36:37], v[26:27], v[158:159]
	s_waitcnt vmcnt(24)
	v_fmac_f64_e32 v[36:37], v[28:29], v[160:161]
	v_add_f64 v[38:39], v[34:35], v[36:37]
	ds_read_b128 v[34:37], v1 offset:1584
	s_waitcnt lgkmcnt(1)
	v_mul_f64 v[40:41], v[30:31], v[130:131]
	v_fmac_f64_e32 v[40:41], v[32:33], v[132:133]
	v_add_f64 v[42:43], v[38:39], v[40:41]
	ds_read_b128 v[38:41], v1 offset:1600
	s_waitcnt vmcnt(18) lgkmcnt(1)
	v_mul_f64 v[44:45], v[34:35], v[162:163]
	s_waitcnt vmcnt(16)
	v_fmac_f64_e32 v[44:45], v[36:37], v[164:165]
	v_add_f64 v[46:47], v[42:43], v[44:45]
	ds_read_b128 v[42:45], v1 offset:1616
	buffer_load_dword v175, off, s[0:3], 0 offset:748
	buffer_load_dword v174, off, s[0:3], 0 offset:744
	;; [unrolled: 1-line block ×4, first 2 shown]
	s_waitcnt lgkmcnt(1)
	v_mul_f64 v[48:49], v[38:39], v[136:137]
	v_fmac_f64_e32 v[48:49], v[40:41], v[140:141]
	v_add_f64 v[178:179], v[46:47], v[48:49]
	ds_read_b128 v[46:49], v1 offset:1632
	buffer_load_dword v181, off, s[0:3], 0 offset:764
	buffer_load_dword v180, off, s[0:3], 0 offset:760
	;; [unrolled: 1-line block ×4, first 2 shown]
	s_waitcnt vmcnt(18) lgkmcnt(1)
	v_mul_f64 v[186:187], v[42:43], v[166:167]
	s_waitcnt vmcnt(16)
	v_fmac_f64_e32 v[186:187], v[44:45], v[168:169]
	v_add_f64 v[2:3], v[178:179], v[186:187]
	buffer_load_dword v179, off, s[0:3], 0 offset:796
	buffer_load_dword v187, off, s[0:3], 0 offset:780
	;; [unrolled: 1-line block ×8, first 2 shown]
	v_mul_f64 v[4:5], v[84:85], v[192:193]
	v_fma_f64 v[10:11], v[82:83], v[184:185], -v[4:5]
	buffer_load_dword v184, off, s[0:3], 0 offset:824
	buffer_load_dword v193, off, s[0:3], 0 offset:812
	buffer_load_dword v192, off, s[0:3], 0 offset:808
	buffer_load_dword v197, off, s[0:3], 0 offset:804
	buffer_load_dword v196, off, s[0:3], 0 offset:800
	buffer_load_dword v194, off, s[0:3], 0 offset:816
	buffer_load_dword v185, off, s[0:3], 0 offset:828
	buffer_load_dword v195, off, s[0:3], 0 offset:820
	buffer_load_dword v199, off, s[0:3], 0 offset:860
	buffer_load_dword v201, off, s[0:3], 0 offset:844
	buffer_load_dword v200, off, s[0:3], 0 offset:840
	buffer_load_dword v207, off, s[0:3], 0 offset:836
	buffer_load_dword v206, off, s[0:3], 0 offset:832
	buffer_load_dword v198, off, s[0:3], 0 offset:856
	buffer_load_dword v205, off, s[0:3], 0 offset:852
	buffer_load_dword v204, off, s[0:3], 0 offset:848
	buffer_load_dword v203, off, s[0:3], 0 offset:876
	buffer_load_dword v202, off, s[0:3], 0 offset:872
	buffer_load_dword v209, off, s[0:3], 0 offset:868
	buffer_load_dword v208, off, s[0:3], 0 offset:864
	s_waitcnt lgkmcnt(0)
	v_mul_f64 v[8:9], v[46:47], v[144:145]
	v_fmac_f64_e32 v[8:9], v[48:49], v[148:149]
	v_fma_f64 v[6:7], v[50:51], v[114:115], -v[52:53]
	buffer_load_dword v213, off, s[0:3], 0 offset:892
	buffer_load_dword v212, off, s[0:3], 0 offset:888
	;; [unrolled: 1-line block ×12, first 2 shown]
	v_add_f64 v[2:3], v[2:3], v[8:9]
	ds_read_b128 v[50:53], v1 offset:1648
	v_mul_f64 v[8:9], v[56:57], v[104:105]
	v_fma_f64 v[8:9], v[54:55], v[108:109], -v[8:9]
	ds_read_b128 v[54:57], v1 offset:1664
	v_fma_f64 v[4:5], v[58:59], v[110:111], -v[60:61]
	ds_read_b128 v[58:61], v1 offset:1680
	s_waitcnt vmcnt(50) lgkmcnt(2)
	v_mul_f64 v[62:63], v[50:51], v[170:171]
	s_waitcnt vmcnt(48)
	v_fmac_f64_e32 v[62:63], v[52:53], v[172:173]
	s_waitcnt lgkmcnt(1)
	v_mul_f64 v[12:13], v[54:55], v[152:153]
	v_add_f64 v[2:3], v[2:3], v[62:63]
	ds_read_b128 v[62:65], v1 offset:1696
	v_fmac_f64_e32 v[12:13], v[56:57], v[156:157]
	v_add_f64 v[2:3], v[2:3], v[12:13]
	v_fma_f64 v[240:241], v[230:231], v[240:241], -v[70:71]
	v_mul_f64 v[82:83], v[236:237], v[224:225]
	v_fma_f64 v[236:237], v[234:235], v[226:227], -v[82:83]
	v_mul_f64 v[88:89], v[88:89], v[246:247]
	v_fma_f64 v[246:247], v[86:87], v[248:249], -v[88:89]
	ds_read_b128 v[86:89], v1 offset:1808
	v_mul_f64 v[92:93], v[92:93], v[98:99]
	v_add_f64 v[10:11], v[10:11], 0
	v_add_f64 v[10:11], v[10:11], v[78:79]
	;; [unrolled: 1-line block ×8, first 2 shown]
	v_mul_f64 v[6:7], v[128:129], v[134:135]
	v_fma_f64 v[6:7], v[126:127], v[138:139], -v[6:7]
	ds_read_b128 v[70:73], v1 offset:1728
	ds_read_b128 v[232:235], v1 offset:1760
	s_waitcnt vmcnt(46) lgkmcnt(4)
	v_mul_f64 v[12:13], v[58:59], v[174:175]
	s_waitcnt vmcnt(44)
	v_fmac_f64_e32 v[12:13], v[60:61], v[176:177]
	v_add_f64 v[2:3], v[2:3], v[12:13]
	v_mul_f64 v[12:13], v[68:69], v[102:103]
	v_fma_f64 v[12:13], v[66:67], v[222:223], -v[12:13]
	ds_read_b128 v[66:69], v1 offset:1712
	s_waitcnt vmcnt(42) lgkmcnt(4)
	v_mul_f64 v[74:75], v[62:63], v[180:181]
	s_waitcnt vmcnt(40)
	v_fmac_f64_e32 v[74:75], v[64:65], v[182:183]
	v_add_f64 v[2:3], v[2:3], v[74:75]
	v_add_f64 v[4:5], v[4:5], v[12:13]
	s_waitcnt vmcnt(37) lgkmcnt(0)
	v_mul_f64 v[74:75], v[66:67], v[186:187]
	s_waitcnt vmcnt(35)
	v_fmac_f64_e32 v[74:75], v[68:69], v[190:191]
	v_add_f64 v[2:3], v[2:3], v[74:75]
	s_waitcnt vmcnt(34)
	v_mul_f64 v[74:75], v[70:71], v[178:179]
	s_waitcnt vmcnt(32)
	v_fmac_f64_e32 v[74:75], v[72:73], v[188:189]
	v_add_f64 v[2:3], v[2:3], v[74:75]
	ds_read_b128 v[74:77], v1 offset:1744
	s_waitcnt vmcnt(25)
	v_mul_f64 v[102:103], v[232:233], v[184:185]
	s_waitcnt vmcnt(24)
	v_fmac_f64_e32 v[102:103], v[234:235], v[194:195]
	v_add_f64 v[4:5], v[4:5], v[240:241]
	v_add_f64 v[4:5], v[4:5], v[236:237]
	s_waitcnt lgkmcnt(0)
	v_mul_f64 v[82:83], v[74:75], v[192:193]
	v_fmac_f64_e32 v[82:83], v[76:77], v[196:197]
	v_add_f64 v[2:3], v[2:3], v[82:83]
	v_mul_f64 v[82:83], v[254:255], v[228:229]
	v_fma_f64 v[254:255], v[252:253], v[250:251], -v[82:83]
	ds_read_b128 v[82:85], v1 offset:1776
	ds_read_b128 v[228:231], v1 offset:1792
	v_add_f64 v[2:3], v[2:3], v[102:103]
	v_fma_f64 v[250:251], v[90:91], v[100:101], -v[92:93]
	ds_read_b128 v[98:101], v1 offset:1824
	s_waitcnt vmcnt(21) lgkmcnt(2)
	v_mul_f64 v[102:103], v[82:83], v[200:201]
	s_waitcnt vmcnt(19)
	v_fmac_f64_e32 v[102:103], v[84:85], v[206:207]
	v_add_f64 v[2:3], v[2:3], v[102:103]
	s_waitcnt vmcnt(18) lgkmcnt(1)
	v_mul_f64 v[102:103], v[228:229], v[198:199]
	s_waitcnt vmcnt(16)
	v_fmac_f64_e32 v[102:103], v[230:231], v[204:205]
	v_add_f64 v[2:3], v[2:3], v[102:103]
	s_waitcnt vmcnt(14)
	v_mul_f64 v[102:103], v[86:87], v[202:203]
	s_waitcnt vmcnt(12)
	v_fmac_f64_e32 v[102:103], v[88:89], v[208:209]
	v_add_f64 v[2:3], v[2:3], v[102:103]
	ds_read_b128 v[90:93], v1 offset:1840
	ds_read_b128 v[102:105], v1 offset:1856
	buffer_load_dword v223, off, s[0:3], 0 offset:940
	buffer_load_dword v222, off, s[0:3], 0 offset:936
	;; [unrolled: 1-line block ×4, first 2 shown]
	ds_read_b128 v[106:109], v1 offset:1872
	buffer_load_dword v226, off, s[0:3], 0 offset:952
	buffer_load_dword v227, off, s[0:3], 0 offset:956
	;; [unrolled: 1-line block ×4, first 2 shown]
	v_fma_f64 v[252:253], v[94:95], v[244:245], -v[96:97]
	ds_read_b128 v[110:113], v1 offset:1888
	buffer_load_dword v243, off, s[0:3], 0 offset:972
	buffer_load_dword v242, off, s[0:3], 0 offset:968
	;; [unrolled: 1-line block ×4, first 2 shown]
	s_waitcnt vmcnt(22) lgkmcnt(4)
	v_mul_f64 v[94:95], v[98:99], v[212:213]
	s_waitcnt vmcnt(20)
	v_fmac_f64_e32 v[94:95], v[100:101], v[214:215]
	v_add_f64 v[2:3], v[2:3], v[94:95]
	s_waitcnt vmcnt(17) lgkmcnt(3)
	v_mul_f64 v[94:95], v[90:91], v[218:219]
	s_waitcnt vmcnt(15)
	v_fmac_f64_e32 v[94:95], v[92:93], v[220:221]
	v_add_f64 v[2:3], v[2:3], v[94:95]
	s_waitcnt vmcnt(13) lgkmcnt(2)
	v_mul_f64 v[94:95], v[102:103], v[114:115]
	s_waitcnt vmcnt(12)
	v_fmac_f64_e32 v[94:95], v[104:105], v[216:217]
	v_add_f64 v[2:3], v[2:3], v[94:95]
	v_add_f64 v[4:5], v[4:5], v[254:255]
	v_add_f64 v[254:255], v[4:5], v[246:247]
	;; [unrolled: 1-line block ×5, first 2 shown]
	s_waitcnt vmcnt(10) lgkmcnt(1)
	v_mul_f64 v[94:95], v[106:107], v[222:223]
	s_waitcnt vmcnt(8)
	v_fmac_f64_e32 v[94:95], v[108:109], v[224:225]
	v_add_f64 v[2:3], v[2:3], v[94:95]
	s_waitcnt vmcnt(6) lgkmcnt(0)
	v_mul_f64 v[94:95], v[110:111], v[226:227]
	s_waitcnt vmcnt(4)
	v_fmac_f64_e32 v[94:95], v[112:113], v[238:239]
	v_add_f64 v[2:3], v[2:3], v[94:95]
	ds_read_b128 v[94:97], v1 offset:1904
	v_accvgpr_read_b32 v0, a182
	v_accvgpr_read_b32 v1, a183
	v_mul_f64 v[6:7], v[124:125], v[0:1]
	v_accvgpr_read_b32 v0, a184
	s_waitcnt vmcnt(2) lgkmcnt(0)
	v_mul_f64 v[248:249], v[94:95], v[242:243]
	s_waitcnt vmcnt(0)
	v_fmac_f64_e32 v[248:249], v[96:97], v[244:245]
	v_add_f64 v[2:3], v[2:3], v[248:249]
	buffer_load_dword v248, off, s[0:3], 0 offset:256
	buffer_load_dword v249, off, s[0:3], 0 offset:260
	;; [unrolled: 1-line block ×4, first 2 shown]
	v_accvgpr_read_b32 v1, a185
	v_fma_f64 v[6:7], v[122:123], v[0:1], -v[6:7]
	v_add_f64 v[4:5], v[4:5], v[6:7]
	v_mul_f64 v[6:7], v[120:121], v[142:143]
	v_accvgpr_read_b32 v0, a186
	v_fma_f64 v[6:7], v[118:119], v[146:147], -v[6:7]
	v_accvgpr_read_b32 v1, a187
	v_add_f64 v[4:5], v[4:5], v[6:7]
	v_mul_f64 v[6:7], v[16:17], v[0:1]
	v_accvgpr_read_b32 v0, a188
	v_accvgpr_read_b32 v1, a189
	v_fma_f64 v[6:7], v[14:15], v[0:1], -v[6:7]
	v_add_f64 v[4:5], v[4:5], v[6:7]
	v_mul_f64 v[6:7], v[20:21], v[150:151]
	v_accvgpr_read_b32 v0, a190
	v_fma_f64 v[6:7], v[18:19], v[154:155], -v[6:7]
	v_accvgpr_read_b32 v1, a191
	v_add_f64 v[4:5], v[4:5], v[6:7]
	v_mul_f64 v[6:7], v[24:25], v[0:1]
	v_accvgpr_read_b32 v0, a192
	v_accvgpr_read_b32 v1, a193
	v_fma_f64 v[6:7], v[22:23], v[0:1], -v[6:7]
	v_add_f64 v[4:5], v[4:5], v[6:7]
	v_mul_f64 v[6:7], v[28:29], v[158:159]
	v_fma_f64 v[6:7], v[26:27], v[160:161], -v[6:7]
	v_add_f64 v[4:5], v[4:5], v[6:7]
	v_mul_f64 v[6:7], v[32:33], v[130:131]
	;; [unrolled: 3-line block ×23, first 2 shown]
	v_fma_f64 v[6:7], v[94:95], v[244:245], -v[6:7]
	v_add_f64 v[4:5], v[4:5], v[6:7]
	v_accvgpr_read_b32 v0, a179
	s_waitcnt vmcnt(2)
	v_add_f64 v[4:5], v[248:249], -v[4:5]
	v_cmp_lt_u32_e32 vcc, 14, v0
	s_waitcnt vmcnt(0)
	v_add_f64 v[2:3], v[246:247], -v[2:3]
	buffer_store_dword v5, off, s[0:3], 0 offset:260
	buffer_store_dword v4, off, s[0:3], 0 offset:256
	;; [unrolled: 1-line block ×4, first 2 shown]
	s_and_saveexec_b64 s[4:5], vcc
	s_cbranch_execz .LBB59_345
; %bb.344:
	v_accvgpr_read_b32 v0, a165
	buffer_load_dword v2, v0, s[0:3], 0 offen
	buffer_load_dword v3, v0, s[0:3], 0 offen offset:4
	buffer_load_dword v4, v0, s[0:3], 0 offen offset:8
	;; [unrolled: 1-line block ×3, first 2 shown]
	v_mov_b32_e32 v0, 0
	v_accvgpr_read_b32 v1, a180
	buffer_store_dword v0, off, s[0:3], 0 offset:240
	buffer_store_dword v0, off, s[0:3], 0 offset:244
	;; [unrolled: 1-line block ×4, first 2 shown]
	s_waitcnt vmcnt(4)
	ds_write_b128 v1, v[2:5]
.LBB59_345:
	s_or_b64 exec, exec, s[4:5]
	s_waitcnt lgkmcnt(0)
	; wave barrier
	s_waitcnt lgkmcnt(0)
	buffer_load_dword v56, off, s[0:3], 0 offset:256
	buffer_load_dword v57, off, s[0:3], 0 offset:260
	;; [unrolled: 1-line block ×36, first 2 shown]
	v_mov_b32_e32 v1, 0
	buffer_load_dword v87, off, s[0:3], 0 offset:428
	buffer_load_dword v86, off, s[0:3], 0 offset:424
	;; [unrolled: 1-line block ×18, first 2 shown]
	ds_read_b128 v[110:113], v1 offset:1200
	ds_read_b128 v[114:117], v1 offset:1216
	;; [unrolled: 1-line block ×9, first 2 shown]
	v_accvgpr_read_b32 v0, a179
	v_cmp_lt_u32_e32 vcc, 13, v0
	s_waitcnt vmcnt(50) lgkmcnt(8)
	v_mul_f64 v[2:3], v[110:111], v[58:59]
	v_fmac_f64_e32 v[2:3], v[112:113], v[56:57]
	v_add_f64 v[2:3], v[2:3], 0
	s_waitcnt vmcnt(46) lgkmcnt(7)
	v_mul_f64 v[4:5], v[114:115], v[54:55]
	v_fmac_f64_e32 v[4:5], v[116:117], v[52:53]
	v_add_f64 v[2:3], v[2:3], v[4:5]
	buffer_load_dword v105, off, s[0:3], 0 offset:484
	buffer_load_dword v104, off, s[0:3], 0 offset:480
	;; [unrolled: 1-line block ×8, first 2 shown]
	s_waitcnt vmcnt(52) lgkmcnt(6)
	v_mul_f64 v[6:7], v[194:195], v[50:51]
	s_waitcnt vmcnt(50) lgkmcnt(4)
	v_mul_f64 v[10:11], v[202:203], v[60:61]
	s_waitcnt vmcnt(48)
	v_fmac_f64_e32 v[10:11], v[204:205], v[62:63]
	v_mul_f64 v[50:51], v[196:197], v[50:51]
	s_waitcnt vmcnt(46)
	v_mul_f64 v[8:9], v[198:199], v[64:65]
	v_mul_f64 v[54:55], v[116:117], v[54:55]
	s_waitcnt vmcnt(44) lgkmcnt(2)
	v_mul_f64 v[14:15], v[212:213], v[74:75]
	s_waitcnt vmcnt(42)
	v_fmac_f64_e32 v[14:15], v[214:215], v[216:217]
	s_waitcnt vmcnt(40)
	v_mul_f64 v[12:13], v[206:207], v[76:77]
	s_waitcnt vmcnt(38) lgkmcnt(1)
	v_mul_f64 v[16:17], v[218:219], v[68:69]
	s_waitcnt vmcnt(36)
	v_fmac_f64_e32 v[6:7], v[196:197], v[82:83]
	v_add_f64 v[2:3], v[2:3], v[6:7]
	s_waitcnt vmcnt(34)
	v_fmac_f64_e32 v[8:9], v[200:201], v[80:81]
	v_add_f64 v[2:3], v[2:3], v[8:9]
	;; [unrolled: 3-line block ×3, first 2 shown]
	v_add_f64 v[2:3], v[2:3], v[12:13]
	v_add_f64 v[2:3], v[2:3], v[14:15]
	s_waitcnt vmcnt(30)
	v_fmac_f64_e32 v[16:17], v[220:221], v[70:71]
	v_add_f64 v[2:3], v[2:3], v[16:17]
	s_waitcnt vmcnt(0)
	v_pk_mov_b32 v[14:15], v[4:5], v[4:5] op_sel:[0,1]
	buffer_load_dword v5, off, s[0:3], 0 offset:516
	buffer_load_dword v4, off, s[0:3], 0 offset:512
	v_accvgpr_write_b32 a183, v15
	v_accvgpr_write_b32 a182, v14
	s_waitcnt vmcnt(0)
	v_pk_mov_b32 v[18:19], v[4:5], v[4:5] op_sel:[0,1]
	buffer_load_dword v107, off, s[0:3], 0 offset:508
	buffer_load_dword v106, off, s[0:3], 0 offset:504
	buffer_load_dword v109, off, s[0:3], 0 offset:500
	buffer_load_dword v108, off, s[0:3], 0 offset:496
	buffer_load_dword v5, off, s[0:3], 0 offset:556
	buffer_load_dword v4, off, s[0:3], 0 offset:552
	v_accvgpr_write_b32 a185, v19
	v_accvgpr_write_b32 a184, v18
	s_waitcnt vmcnt(0)
	v_pk_mov_b32 v[22:23], v[4:5], v[4:5] op_sel:[0,1]
	buffer_load_dword v5, off, s[0:3], 0 offset:548
	buffer_load_dword v4, off, s[0:3], 0 offset:544
	v_accvgpr_write_b32 a187, v23
	v_accvgpr_write_b32 a186, v22
	s_waitcnt vmcnt(0)
	v_pk_mov_b32 v[24:25], v[4:5], v[4:5] op_sel:[0,1]
	buffer_load_dword v139, off, s[0:3], 0 offset:540
	buffer_load_dword v138, off, s[0:3], 0 offset:536
	buffer_load_dword v143, off, s[0:3], 0 offset:532
	buffer_load_dword v142, off, s[0:3], 0 offset:528
	buffer_load_dword v5, off, s[0:3], 0 offset:588
	buffer_load_dword v4, off, s[0:3], 0 offset:584
	v_accvgpr_write_b32 a189, v25
	v_accvgpr_write_b32 a188, v24
	;; [unrolled: 16-line block ×3, first 2 shown]
	s_waitcnt vmcnt(0)
	v_pk_mov_b32 v[38:39], v[4:5], v[4:5] op_sel:[0,1]
	buffer_load_dword v5, off, s[0:3], 0 offset:612
	buffer_load_dword v4, off, s[0:3], 0 offset:608
	;; [unrolled: 1-line block ×30, first 2 shown]
	ds_read_b128 v[226:229], v1 offset:1344
	ds_read_b128 v[230:233], v1 offset:1360
	ds_read_b128 v[234:237], v1 offset:1376
	ds_read_b128 v[238:241], v1 offset:1392
	ds_read_b128 v[242:245], v1 offset:1408
	ds_read_b128 v[246:249], v1 offset:1424
	ds_read_b128 v[250:253], v1 offset:1440
	ds_read_b128 v[130:133], v1 offset:1456
	ds_read_b128 v[126:129], v1 offset:1472
	ds_read_b128 v[122:125], v1 offset:1488
	ds_read_b128 v[118:121], v1 offset:1504
	s_waitcnt lgkmcnt(4)
	v_mul_f64 v[8:9], v[250:251], v[106:107]
	v_fmac_f64_e32 v[8:9], v[252:253], v[108:109]
	s_waitcnt lgkmcnt(3)
	v_mul_f64 v[12:13], v[130:131], v[14:15]
	v_fmac_f64_e32 v[12:13], v[132:133], v[18:19]
	s_waitcnt lgkmcnt(2)
	v_mul_f64 v[16:17], v[126:127], v[138:139]
	v_fmac_f64_e32 v[16:17], v[128:129], v[142:143]
	s_waitcnt lgkmcnt(1)
	v_mul_f64 v[20:21], v[122:123], v[22:23]
	v_fmac_f64_e32 v[20:21], v[124:125], v[24:25]
	v_accvgpr_write_b32 a195, v39
	v_accvgpr_write_b32 a194, v38
	s_waitcnt vmcnt(28)
	v_pk_mov_b32 v[40:41], v[4:5], v[4:5] op_sel:[0,1]
	v_mul_f64 v[4:5], v[222:223], v[66:67]
	v_fmac_f64_e32 v[4:5], v[224:225], v[84:85]
	v_add_f64 v[2:3], v[2:3], v[4:5]
	v_mul_f64 v[4:5], v[226:227], v[90:91]
	v_fmac_f64_e32 v[4:5], v[228:229], v[92:93]
	v_add_f64 v[2:3], v[2:3], v[4:5]
	;; [unrolled: 3-line block ×7, first 2 shown]
	v_add_f64 v[10:11], v[6:7], v[8:9]
	v_add_f64 v[14:15], v[10:11], v[12:13]
	;; [unrolled: 1-line block ×4, first 2 shown]
	ds_read_b128 v[18:21], v1 offset:1520
	s_waitcnt lgkmcnt(1)
	v_mul_f64 v[24:25], v[118:119], v[146:147]
	v_fmac_f64_e32 v[24:25], v[120:121], v[150:151]
	v_add_f64 v[26:27], v[22:23], v[24:25]
	ds_read_b128 v[22:25], v1 offset:1536
	s_waitcnt lgkmcnt(1)
	v_mul_f64 v[28:29], v[18:19], v[30:31]
	v_fmac_f64_e32 v[28:29], v[20:21], v[32:33]
	v_add_f64 v[30:31], v[26:27], v[28:29]
	ds_read_b128 v[26:29], v1 offset:1552
	s_waitcnt vmcnt(26) lgkmcnt(1)
	v_mul_f64 v[32:33], v[22:23], v[154:155]
	s_waitcnt vmcnt(24)
	v_fmac_f64_e32 v[32:33], v[24:25], v[156:157]
	v_add_f64 v[34:35], v[30:31], v[32:33]
	ds_read_b128 v[30:33], v1 offset:1568
	s_waitcnt lgkmcnt(1)
	v_mul_f64 v[36:37], v[26:27], v[38:39]
	v_fmac_f64_e32 v[36:37], v[28:29], v[40:41]
	v_accvgpr_write_b32 a197, v41
	v_add_f64 v[38:39], v[34:35], v[36:37]
	ds_read_b128 v[34:37], v1 offset:1584
	v_accvgpr_write_b32 a196, v40
	s_waitcnt vmcnt(18) lgkmcnt(1)
	v_mul_f64 v[40:41], v[30:31], v[158:159]
	s_waitcnt vmcnt(16)
	v_fmac_f64_e32 v[40:41], v[32:33], v[160:161]
	v_add_f64 v[42:43], v[38:39], v[40:41]
	ds_read_b128 v[38:41], v1 offset:1600
	s_waitcnt lgkmcnt(1)
	v_mul_f64 v[44:45], v[34:35], v[134:135]
	v_fmac_f64_e32 v[44:45], v[36:37], v[136:137]
	v_add_f64 v[46:47], v[42:43], v[44:45]
	ds_read_b128 v[42:45], v1 offset:1616
	s_waitcnt vmcnt(10) lgkmcnt(1)
	v_mul_f64 v[48:49], v[38:39], v[162:163]
	s_waitcnt vmcnt(8)
	v_fmac_f64_e32 v[48:49], v[40:41], v[164:165]
	v_add_f64 v[172:173], v[46:47], v[48:49]
	ds_read_b128 v[46:49], v1 offset:1632
	buffer_load_dword v171, off, s[0:3], 0 offset:732
	buffer_load_dword v170, off, s[0:3], 0 offset:728
	;; [unrolled: 1-line block ×4, first 2 shown]
	s_waitcnt lgkmcnt(1)
	v_mul_f64 v[176:177], v[42:43], v[140:141]
	v_fmac_f64_e32 v[176:177], v[44:45], v[144:145]
	v_add_f64 v[2:3], v[172:173], v[176:177]
	buffer_load_dword v177, off, s[0:3], 0 offset:748
	buffer_load_dword v176, off, s[0:3], 0 offset:744
	;; [unrolled: 1-line block ×20, first 2 shown]
	v_mul_f64 v[4:5], v[112:113], v[58:59]
	v_fma_f64 v[112:113], v[194:195], v[82:83], -v[50:51]
	buffer_load_dword v195, off, s[0:3], 0 offset:828
	buffer_load_dword v194, off, s[0:3], 0 offset:824
	;; [unrolled: 1-line block ×4, first 2 shown]
	v_mul_f64 v[50:51], v[200:201], v[64:65]
	v_fma_f64 v[80:81], v[198:199], v[80:81], -v[50:51]
	v_mul_f64 v[50:51], v[204:205], v[60:61]
	v_fma_f64 v[210:211], v[202:203], v[62:63], -v[50:51]
	buffer_load_dword v199, off, s[0:3], 0 offset:844
	buffer_load_dword v198, off, s[0:3], 0 offset:840
	buffer_load_dword v203, off, s[0:3], 0 offset:836
	buffer_load_dword v202, off, s[0:3], 0 offset:832
	buffer_load_dword v201, off, s[0:3], 0 offset:860
	buffer_load_dword v200, off, s[0:3], 0 offset:856
	buffer_load_dword v205, off, s[0:3], 0 offset:852
	buffer_load_dword v204, off, s[0:3], 0 offset:848
	v_fma_f64 v[14:15], v[110:111], v[56:57], -v[4:5]
	v_fma_f64 v[110:111], v[114:115], v[52:53], -v[54:55]
	v_mul_f64 v[54:55], v[208:209], v[76:77]
	ds_read_b128 v[50:53], v1 offset:1648
	v_fma_f64 v[10:11], v[206:207], v[78:79], -v[54:55]
	buffer_load_dword v209, off, s[0:3], 0 offset:876
	buffer_load_dword v208, off, s[0:3], 0 offset:872
	;; [unrolled: 1-line block ×4, first 2 shown]
	v_mul_f64 v[8:9], v[214:215], v[74:75]
	v_fma_f64 v[8:9], v[212:213], v[216:217], -v[8:9]
	buffer_load_dword v206, off, s[0:3], 0 offset:904
	buffer_load_dword v215, off, s[0:3], 0 offset:892
	;; [unrolled: 1-line block ×8, first 2 shown]
	v_mul_f64 v[56:57], v[220:221], v[68:69]
	v_fma_f64 v[6:7], v[218:219], v[70:71], -v[56:57]
	buffer_load_dword v219, off, s[0:3], 0 offset:924
	buffer_load_dword v218, off, s[0:3], 0 offset:920
	;; [unrolled: 1-line block ×4, first 2 shown]
	s_waitcnt vmcnt(54) lgkmcnt(1)
	v_mul_f64 v[54:55], v[46:47], v[166:167]
	s_waitcnt vmcnt(52)
	v_fmac_f64_e32 v[54:55], v[48:49], v[168:169]
	v_add_f64 v[2:3], v[2:3], v[54:55]
	ds_read_b128 v[54:57], v1 offset:1664
	ds_read_b128 v[58:61], v1 offset:1680
	s_waitcnt lgkmcnt(2)
	v_mul_f64 v[12:13], v[50:51], v[148:149]
	v_fmac_f64_e32 v[12:13], v[52:53], v[152:153]
	v_add_f64 v[2:3], v[2:3], v[12:13]
	v_mul_f64 v[12:13], v[224:225], v[66:67]
	v_fma_f64 v[12:13], v[222:223], v[84:85], -v[12:13]
	v_mul_f64 v[70:71], v[232:233], v[86:87]
	v_fma_f64 v[224:225], v[230:231], v[88:89], -v[70:71]
	v_mul_f64 v[74:75], v[236:237], v[100:101]
	v_fma_f64 v[236:237], v[234:235], v[102:103], -v[74:75]
	ds_read_b128 v[232:235], v1 offset:1760
	ds_read_b128 v[82:85], v1 offset:1776
	;; [unrolled: 1-line block ×3, first 2 shown]
	v_add_f64 v[14:15], v[14:15], 0
	v_add_f64 v[14:15], v[14:15], v[110:111]
	;; [unrolled: 1-line block ×9, first 2 shown]
	v_accvgpr_read_b32 v8, a184
	v_accvgpr_read_b32 v9, a185
	ds_read_b128 v[74:77], v1 offset:1744
	s_waitcnt vmcnt(50) lgkmcnt(5)
	v_mul_f64 v[62:63], v[54:55], v[170:171]
	s_waitcnt vmcnt(48)
	v_fmac_f64_e32 v[62:63], v[56:57], v[174:175]
	v_add_f64 v[2:3], v[2:3], v[62:63]
	v_mul_f64 v[62:63], v[228:229], v[90:91]
	v_fma_f64 v[222:223], v[226:227], v[92:93], -v[62:63]
	ds_read_b128 v[90:93], v1 offset:1808
	ds_read_b128 v[62:65], v1 offset:1696
	s_waitcnt vmcnt(46) lgkmcnt(6)
	v_mul_f64 v[66:67], v[58:59], v[176:177]
	s_waitcnt vmcnt(44)
	v_fmac_f64_e32 v[66:67], v[60:61], v[178:179]
	v_add_f64 v[2:3], v[2:3], v[66:67]
	ds_read_b128 v[66:69], v1 offset:1712
	ds_read_b128 v[228:231], v1 offset:1728
	s_waitcnt vmcnt(41) lgkmcnt(2)
	v_mul_f64 v[70:71], v[62:63], v[182:183]
	s_waitcnt vmcnt(39)
	v_fmac_f64_e32 v[70:71], v[64:65], v[186:187]
	v_add_f64 v[2:3], v[2:3], v[70:71]
	s_waitcnt vmcnt(38) lgkmcnt(1)
	v_mul_f64 v[70:71], v[66:67], v[172:173]
	s_waitcnt vmcnt(36)
	v_fmac_f64_e32 v[70:71], v[68:69], v[184:185]
	v_add_f64 v[2:3], v[2:3], v[70:71]
	;; [unrolled: 5-line block ×3, first 2 shown]
	s_waitcnt vmcnt(29)
	v_mul_f64 v[70:71], v[74:75], v[180:181]
	s_waitcnt vmcnt(28)
	v_fmac_f64_e32 v[70:71], v[76:77], v[188:189]
	s_waitcnt vmcnt(26)
	v_mul_f64 v[16:17], v[232:233], v[194:195]
	v_add_f64 v[2:3], v[2:3], v[70:71]
	s_waitcnt vmcnt(24)
	v_fmac_f64_e32 v[16:17], v[234:235], v[196:197]
	v_add_f64 v[2:3], v[2:3], v[16:17]
	s_waitcnt vmcnt(22)
	v_mul_f64 v[16:17], v[82:83], v[198:199]
	s_waitcnt vmcnt(20)
	v_fmac_f64_e32 v[16:17], v[84:85], v[202:203]
	v_add_f64 v[2:3], v[2:3], v[16:17]
	s_waitcnt vmcnt(18)
	v_mul_f64 v[16:17], v[86:87], v[200:201]
	s_waitcnt vmcnt(16)
	v_fmac_f64_e32 v[16:17], v[88:89], v[204:205]
	v_mul_f64 v[70:71], v[240:241], v[96:97]
	v_add_f64 v[2:3], v[2:3], v[16:17]
	v_mul_f64 v[16:17], v[248:249], v[94:95]
	ds_read_b128 v[94:97], v1 offset:1824
	v_fma_f64 v[4:5], v[238:239], v[98:99], -v[70:71]
	ds_read_b128 v[98:101], v1 offset:1840
	v_fma_f64 v[246:247], v[246:247], v[104:105], -v[16:17]
	s_waitcnt vmcnt(14)
	v_mul_f64 v[16:17], v[90:91], v[208:209]
	s_waitcnt vmcnt(12)
	v_fmac_f64_e32 v[16:17], v[92:93], v[78:79]
	ds_read_b128 v[102:105], v1 offset:1856
	v_add_f64 v[2:3], v[2:3], v[16:17]
	s_waitcnt vmcnt(9) lgkmcnt(2)
	v_mul_f64 v[16:17], v[94:95], v[214:215]
	s_waitcnt vmcnt(7)
	v_fmac_f64_e32 v[16:17], v[96:97], v[216:217]
	v_add_f64 v[2:3], v[2:3], v[16:17]
	s_waitcnt vmcnt(5) lgkmcnt(1)
	v_mul_f64 v[16:17], v[98:99], v[206:207]
	s_waitcnt vmcnt(4)
	v_fmac_f64_e32 v[16:17], v[100:101], v[212:213]
	;; [unrolled: 5-line block ×3, first 2 shown]
	v_mul_f64 v[70:71], v[244:245], v[254:255]
	v_add_f64 v[16:17], v[2:3], v[16:17]
	buffer_load_dword v2, off, s[0:3], 0 offset:936
	buffer_load_dword v3, off, s[0:3], 0 offset:940
	;; [unrolled: 1-line block ×4, first 2 shown]
	v_fma_f64 v[240:241], v[242:243], v[72:73], -v[70:71]
	v_mul_f64 v[70:71], v[252:253], v[106:107]
	v_fma_f64 v[250:251], v[250:251], v[108:109], -v[70:71]
	ds_read_b128 v[106:109], v1 offset:1872
	buffer_load_dword v227, off, s[0:3], 0 offset:956
	buffer_load_dword v226, off, s[0:3], 0 offset:952
	;; [unrolled: 1-line block ×4, first 2 shown]
	v_add_f64 v[6:7], v[6:7], v[222:223]
	v_add_f64 v[6:7], v[6:7], v[224:225]
	;; [unrolled: 1-line block ×6, first 2 shown]
	v_accvgpr_read_b32 v6, a182
	v_accvgpr_read_b32 v7, a183
	v_mul_f64 v[6:7], v[132:133], v[6:7]
	v_add_f64 v[4:5], v[252:253], v[250:251]
	v_fma_f64 v[6:7], v[130:131], v[8:9], -v[6:7]
	v_add_f64 v[4:5], v[4:5], v[6:7]
	v_mul_f64 v[6:7], v[128:129], v[138:139]
	v_fma_f64 v[6:7], v[126:127], v[142:143], -v[6:7]
	v_add_f64 v[4:5], v[4:5], v[6:7]
	v_accvgpr_read_b32 v6, a186
	v_accvgpr_read_b32 v7, a187
	v_accvgpr_read_b32 v8, a188
	v_mul_f64 v[6:7], v[124:125], v[6:7]
	v_accvgpr_read_b32 v9, a189
	v_fma_f64 v[6:7], v[122:123], v[8:9], -v[6:7]
	v_add_f64 v[4:5], v[4:5], v[6:7]
	v_mul_f64 v[6:7], v[120:121], v[146:147]
	v_fma_f64 v[6:7], v[118:119], v[150:151], -v[6:7]
	v_add_f64 v[4:5], v[4:5], v[6:7]
	v_accvgpr_read_b32 v6, a190
	v_accvgpr_read_b32 v7, a191
	v_accvgpr_read_b32 v8, a192
	v_mul_f64 v[6:7], v[20:21], v[6:7]
	v_accvgpr_read_b32 v9, a193
	;; [unrolled: 10-line block ×3, first 2 shown]
	v_fma_f64 v[6:7], v[26:27], v[8:9], -v[6:7]
	v_add_f64 v[4:5], v[4:5], v[6:7]
	v_mul_f64 v[6:7], v[32:33], v[158:159]
	v_fma_f64 v[6:7], v[30:31], v[160:161], -v[6:7]
	v_add_f64 v[4:5], v[4:5], v[6:7]
	v_mul_f64 v[6:7], v[36:37], v[134:135]
	;; [unrolled: 3-line block ×10, first 2 shown]
	v_fma_f64 v[6:7], v[66:67], v[184:185], -v[6:7]
	v_add_f64 v[4:5], v[4:5], v[6:7]
	s_waitcnt vmcnt(6) lgkmcnt(0)
	v_mul_f64 v[70:71], v[106:107], v[2:3]
	v_mul_f64 v[6:7], v[230:231], v[190:191]
	s_waitcnt vmcnt(4)
	v_fmac_f64_e32 v[70:71], v[108:109], v[254:255]
	v_add_f64 v[16:17], v[16:17], v[70:71]
	ds_read_b128 v[70:73], v1 offset:1888
	buffer_load_dword v242, off, s[0:3], 0 offset:968
	buffer_load_dword v243, off, s[0:3], 0 offset:972
	;; [unrolled: 1-line block ×4, first 2 shown]
	v_fma_f64 v[6:7], v[228:229], v[192:193], -v[6:7]
	v_add_f64 v[4:5], v[4:5], v[6:7]
	v_mul_f64 v[6:7], v[76:77], v[180:181]
	s_waitcnt vmcnt(6) lgkmcnt(0)
	v_mul_f64 v[114:115], v[70:71], v[226:227]
	s_waitcnt vmcnt(4)
	v_fmac_f64_e32 v[114:115], v[72:73], v[238:239]
	v_add_f64 v[16:17], v[16:17], v[114:115]
	ds_read_b128 v[114:117], v1 offset:1904
	v_fma_f64 v[6:7], v[74:75], v[188:189], -v[6:7]
	v_add_f64 v[4:5], v[4:5], v[6:7]
	v_mul_f64 v[6:7], v[234:235], v[194:195]
	v_fma_f64 v[6:7], v[232:233], v[196:197], -v[6:7]
	v_add_f64 v[4:5], v[4:5], v[6:7]
	v_mul_f64 v[6:7], v[84:85], v[198:199]
	;; [unrolled: 3-line block ×7, first 2 shown]
	v_fma_f64 v[6:7], v[102:103], v[220:221], -v[6:7]
	v_mul_f64 v[2:3], v[108:109], v[2:3]
	v_add_f64 v[4:5], v[4:5], v[6:7]
	v_fma_f64 v[2:3], v[106:107], v[254:255], -v[2:3]
	v_add_f64 v[2:3], v[4:5], v[2:3]
	v_mul_f64 v[4:5], v[72:73], v[226:227]
	v_fma_f64 v[4:5], v[70:71], v[238:239], -v[4:5]
	v_add_f64 v[2:3], v[2:3], v[4:5]
	s_waitcnt vmcnt(2) lgkmcnt(0)
	v_mul_f64 v[248:249], v[114:115], v[242:243]
	v_mul_f64 v[4:5], v[116:117], v[242:243]
	s_waitcnt vmcnt(0)
	v_fmac_f64_e32 v[248:249], v[116:117], v[244:245]
	v_add_f64 v[16:17], v[16:17], v[248:249]
	buffer_load_dword v248, off, s[0:3], 0 offset:240
	buffer_load_dword v249, off, s[0:3], 0 offset:244
	;; [unrolled: 1-line block ×4, first 2 shown]
	v_fma_f64 v[4:5], v[114:115], v[244:245], -v[4:5]
	v_add_f64 v[2:3], v[2:3], v[4:5]
	s_waitcnt vmcnt(2)
	v_add_f64 v[2:3], v[248:249], -v[2:3]
	s_waitcnt vmcnt(0)
	v_add_f64 v[4:5], v[246:247], -v[16:17]
	buffer_store_dword v3, off, s[0:3], 0 offset:244
	buffer_store_dword v2, off, s[0:3], 0 offset:240
	;; [unrolled: 1-line block ×4, first 2 shown]
	s_and_saveexec_b64 s[4:5], vcc
	s_cbranch_execz .LBB59_347
; %bb.346:
	v_accvgpr_read_b32 v0, a166
	buffer_load_dword v2, v0, s[0:3], 0 offen
	buffer_load_dword v3, v0, s[0:3], 0 offen offset:4
	buffer_load_dword v4, v0, s[0:3], 0 offen offset:8
	buffer_load_dword v5, v0, s[0:3], 0 offen offset:12
	v_accvgpr_read_b32 v0, a180
	buffer_store_dword v1, off, s[0:3], 0 offset:224
	buffer_store_dword v1, off, s[0:3], 0 offset:228
	;; [unrolled: 1-line block ×4, first 2 shown]
	s_waitcnt vmcnt(4)
	ds_write_b128 v0, v[2:5]
.LBB59_347:
	s_or_b64 exec, exec, s[4:5]
	s_waitcnt lgkmcnt(0)
	; wave barrier
	s_waitcnt lgkmcnt(0)
	buffer_load_dword v60, off, s[0:3], 0 offset:240
	buffer_load_dword v61, off, s[0:3], 0 offset:244
	;; [unrolled: 1-line block ×42, first 2 shown]
	ds_read_b128 v[114:117], v1 offset:1184
	ds_read_b128 v[180:183], v1 offset:1200
	;; [unrolled: 1-line block ×10, first 2 shown]
	buffer_load_dword v247, off, s[0:3], 0 offset:388
	buffer_load_dword v246, off, s[0:3], 0 offset:384
	ds_read_b128 v[62:65], v1 offset:1344
	buffer_load_dword v101, off, s[0:3], 0 offset:444
	buffer_load_dword v100, off, s[0:3], 0 offset:440
	;; [unrolled: 1-line block ×6, first 2 shown]
	s_waitcnt vmcnt(46) lgkmcnt(10)
	v_mul_f64 v[2:3], v[114:115], v[66:67]
	v_fmac_f64_e32 v[2:3], v[116:117], v[60:61]
	v_add_f64 v[2:3], v[2:3], 0
	s_waitcnt vmcnt(42) lgkmcnt(9)
	v_mul_f64 v[4:5], v[180:181], v[58:59]
	v_fmac_f64_e32 v[4:5], v[182:183], v[50:51]
	v_add_f64 v[2:3], v[2:3], v[4:5]
	buffer_load_dword v249, off, s[0:3], 0 offset:420
	buffer_load_dword v248, off, s[0:3], 0 offset:416
	;; [unrolled: 1-line block ×20, first 2 shown]
	s_waitcnt vmcnt(60) lgkmcnt(8)
	v_mul_f64 v[6:7], v[184:185], v[52:53]
	s_waitcnt vmcnt(58) lgkmcnt(6)
	v_mul_f64 v[10:11], v[198:199], v[68:69]
	s_waitcnt vmcnt(56)
	v_fmac_f64_e32 v[10:11], v[200:201], v[70:71]
	v_mul_f64 v[58:59], v[182:183], v[58:59]
	s_waitcnt vmcnt(54)
	v_mul_f64 v[8:9], v[192:193], v[72:73]
	s_waitcnt vmcnt(52) lgkmcnt(4)
	v_mul_f64 v[14:15], v[206:207], v[74:75]
	s_waitcnt vmcnt(50)
	v_fmac_f64_e32 v[14:15], v[208:209], v[76:77]
	s_waitcnt vmcnt(48)
	v_mul_f64 v[12:13], v[202:203], v[214:215]
	s_waitcnt vmcnt(46) lgkmcnt(2)
	v_mul_f64 v[18:19], v[218:219], v[82:83]
	s_waitcnt vmcnt(43)
	v_mul_f64 v[16:17], v[210:211], v[86:87]
	s_waitcnt vmcnt(41) lgkmcnt(1)
	v_mul_f64 v[20:21], v[54:55], v[80:81]
	s_waitcnt vmcnt(39)
	v_fmac_f64_e32 v[6:7], v[186:187], v[96:97]
	v_add_f64 v[2:3], v[2:3], v[6:7]
	s_waitcnt vmcnt(37)
	v_fmac_f64_e32 v[8:9], v[194:195], v[92:93]
	v_add_f64 v[2:3], v[2:3], v[8:9]
	;; [unrolled: 3-line block ×3, first 2 shown]
	v_add_f64 v[2:3], v[2:3], v[12:13]
	s_waitcnt vmcnt(33)
	v_fmac_f64_e32 v[16:17], v[212:213], v[88:89]
	v_add_f64 v[2:3], v[2:3], v[14:15]
	s_waitcnt vmcnt(32)
	v_fmac_f64_e32 v[18:19], v[220:221], v[84:85]
	v_add_f64 v[2:3], v[2:3], v[16:17]
	v_add_f64 v[2:3], v[2:3], v[18:19]
	s_waitcnt vmcnt(26)
	v_fmac_f64_e32 v[20:21], v[56:57], v[246:247]
	v_add_f64 v[2:3], v[2:3], v[20:21]
	v_mul_f64 v[56:57], v[56:57], v[80:81]
	v_fma_f64 v[246:247], v[54:55], v[246:247], -v[56:57]
	s_waitcnt vmcnt(0)
	v_pk_mov_b32 v[18:19], v[4:5], v[4:5] op_sel:[0,1]
	buffer_load_dword v5, off, s[0:3], 0 offset:532
	buffer_load_dword v4, off, s[0:3], 0 offset:528
	v_accvgpr_write_b32 a183, v19
	v_accvgpr_write_b32 a182, v18
	s_waitcnt vmcnt(0)
	v_pk_mov_b32 v[22:23], v[4:5], v[4:5] op_sel:[0,1]
	buffer_load_dword v135, off, s[0:3], 0 offset:524
	buffer_load_dword v134, off, s[0:3], 0 offset:520
	buffer_load_dword v139, off, s[0:3], 0 offset:516
	buffer_load_dword v138, off, s[0:3], 0 offset:512
	buffer_load_dword v5, off, s[0:3], 0 offset:572
	buffer_load_dword v4, off, s[0:3], 0 offset:568
	v_accvgpr_write_b32 a185, v23
	v_accvgpr_write_b32 a184, v22
	s_waitcnt vmcnt(0)
	v_pk_mov_b32 v[26:27], v[4:5], v[4:5] op_sel:[0,1]
	buffer_load_dword v5, off, s[0:3], 0 offset:564
	buffer_load_dword v4, off, s[0:3], 0 offset:560
	v_accvgpr_write_b32 a187, v27
	v_accvgpr_write_b32 a186, v26
	s_waitcnt vmcnt(0)
	v_pk_mov_b32 v[28:29], v[4:5], v[4:5] op_sel:[0,1]
	buffer_load_dword v143, off, s[0:3], 0 offset:556
	buffer_load_dword v142, off, s[0:3], 0 offset:552
	buffer_load_dword v147, off, s[0:3], 0 offset:548
	buffer_load_dword v146, off, s[0:3], 0 offset:544
	buffer_load_dword v5, off, s[0:3], 0 offset:604
	buffer_load_dword v4, off, s[0:3], 0 offset:600
	v_accvgpr_write_b32 a189, v29
	v_accvgpr_write_b32 a188, v28
	;; [unrolled: 16-line block ×3, first 2 shown]
	s_waitcnt vmcnt(0)
	v_pk_mov_b32 v[42:43], v[4:5], v[4:5] op_sel:[0,1]
	buffer_load_dword v5, off, s[0:3], 0 offset:628
	buffer_load_dword v4, off, s[0:3], 0 offset:624
	;; [unrolled: 1-line block ×30, first 2 shown]
	ds_read_b128 v[222:225], v1 offset:1360
	ds_read_b128 v[226:229], v1 offset:1376
	ds_read_b128 v[230:233], v1 offset:1392
	ds_read_b128 v[234:237], v1 offset:1408
	ds_read_b128 v[238:241], v1 offset:1424
	ds_read_b128 v[242:245], v1 offset:1440
	ds_read_b128 v[130:133], v1 offset:1456
	ds_read_b128 v[126:129], v1 offset:1472
	ds_read_b128 v[122:125], v1 offset:1488
	ds_read_b128 v[118:121], v1 offset:1504
	s_waitcnt lgkmcnt(4)
	v_mul_f64 v[8:9], v[242:243], v[106:107]
	v_fmac_f64_e32 v[8:9], v[244:245], v[108:109]
	s_waitcnt lgkmcnt(3)
	v_mul_f64 v[12:13], v[130:131], v[134:135]
	v_fmac_f64_e32 v[12:13], v[132:133], v[138:139]
	;; [unrolled: 3-line block ×5, first 2 shown]
	v_accvgpr_write_b32 a195, v43
	v_accvgpr_write_b32 a194, v42
	s_waitcnt vmcnt(28)
	v_pk_mov_b32 v[44:45], v[4:5], v[4:5] op_sel:[0,1]
	v_mul_f64 v[4:5], v[62:63], v[94:95]
	v_fmac_f64_e32 v[4:5], v[64:65], v[98:99]
	v_add_f64 v[2:3], v[2:3], v[4:5]
	v_mul_f64 v[4:5], v[222:223], v[104:105]
	v_fmac_f64_e32 v[4:5], v[224:225], v[248:249]
	v_add_f64 v[2:3], v[2:3], v[4:5]
	;; [unrolled: 3-line block ×6, first 2 shown]
	v_add_f64 v[10:11], v[6:7], v[8:9]
	v_add_f64 v[14:15], v[10:11], v[12:13]
	v_add_f64 v[18:19], v[14:15], v[16:17]
	v_add_f64 v[22:23], v[18:19], v[20:21]
	ds_read_b128 v[18:21], v1 offset:1520
	v_add_f64 v[26:27], v[22:23], v[24:25]
	ds_read_b128 v[22:25], v1 offset:1536
	v_accvgpr_write_b32 a197, v45
	v_accvgpr_write_b32 a196, v44
	s_waitcnt lgkmcnt(1)
	v_mul_f64 v[28:29], v[18:19], v[150:151]
	v_fmac_f64_e32 v[28:29], v[20:21], v[154:155]
	v_add_f64 v[30:31], v[26:27], v[28:29]
	ds_read_b128 v[26:29], v1 offset:1552
	s_waitcnt lgkmcnt(1)
	v_mul_f64 v[32:33], v[22:23], v[34:35]
	v_fmac_f64_e32 v[32:33], v[24:25], v[36:37]
	v_add_f64 v[34:35], v[30:31], v[32:33]
	ds_read_b128 v[30:33], v1 offset:1568
	s_waitcnt vmcnt(26) lgkmcnt(1)
	v_mul_f64 v[36:37], v[26:27], v[158:159]
	s_waitcnt vmcnt(24)
	v_fmac_f64_e32 v[36:37], v[28:29], v[160:161]
	v_add_f64 v[38:39], v[34:35], v[36:37]
	ds_read_b128 v[34:37], v1 offset:1584
	s_waitcnt lgkmcnt(1)
	v_mul_f64 v[40:41], v[30:31], v[42:43]
	v_fmac_f64_e32 v[40:41], v[32:33], v[44:45]
	v_add_f64 v[46:47], v[38:39], v[40:41]
	ds_read_b128 v[38:41], v1 offset:1600
	ds_read_b128 v[42:45], v1 offset:1616
	s_waitcnt vmcnt(18) lgkmcnt(2)
	v_mul_f64 v[48:49], v[34:35], v[162:163]
	s_waitcnt vmcnt(16)
	v_fmac_f64_e32 v[48:49], v[36:37], v[164:165]
	v_add_f64 v[46:47], v[46:47], v[48:49]
	s_waitcnt lgkmcnt(1)
	v_mul_f64 v[48:49], v[38:39], v[136:137]
	v_fmac_f64_e32 v[48:49], v[40:41], v[140:141]
	v_add_f64 v[46:47], v[46:47], v[48:49]
	s_waitcnt vmcnt(10) lgkmcnt(0)
	v_mul_f64 v[48:49], v[42:43], v[166:167]
	s_waitcnt vmcnt(8)
	v_fmac_f64_e32 v[48:49], v[44:45], v[168:169]
	v_add_f64 v[2:3], v[46:47], v[48:49]
	ds_read_b128 v[46:49], v1 offset:1632
	v_mul_f64 v[4:5], v[116:117], v[66:67]
	buffer_load_dword v175, off, s[0:3], 0 offset:748
	buffer_load_dword v174, off, s[0:3], 0 offset:744
	buffer_load_dword v179, off, s[0:3], 0 offset:740
	buffer_load_dword v178, off, s[0:3], 0 offset:736
	buffer_load_dword v176, off, s[0:3], 0 offset:760
	v_fma_f64 v[14:15], v[114:115], v[60:61], -v[4:5]
	v_fma_f64 v[114:115], v[180:181], v[50:51], -v[58:59]
	buffer_load_dword v180, off, s[0:3], 0 offset:752
	buffer_load_dword v177, off, s[0:3], 0 offset:764
	;; [unrolled: 1-line block ×3, first 2 shown]
	v_mul_f64 v[50:51], v[186:187], v[52:53]
	v_fma_f64 v[116:117], v[184:185], v[96:97], -v[50:51]
	buffer_load_dword v185, off, s[0:3], 0 offset:780
	buffer_load_dword v184, off, s[0:3], 0 offset:776
	;; [unrolled: 1-line block ×8, first 2 shown]
	v_mul_f64 v[50:51], v[194:195], v[72:73]
	v_fma_f64 v[92:93], v[192:193], v[92:93], -v[50:51]
	buffer_load_dword v182, off, s[0:3], 0 offset:824
	buffer_load_dword v195, off, s[0:3], 0 offset:812
	;; [unrolled: 1-line block ×8, first 2 shown]
	v_mul_f64 v[50:51], v[200:201], v[68:69]
	v_fma_f64 v[198:199], v[198:199], v[70:71], -v[50:51]
	v_mul_f64 v[50:51], v[204:205], v[214:215]
	v_fma_f64 v[10:11], v[202:203], v[90:91], -v[50:51]
	buffer_load_dword v91, off, s[0:3], 0 offset:844
	buffer_load_dword v90, off, s[0:3], 0 offset:840
	buffer_load_dword v201, off, s[0:3], 0 offset:836
	buffer_load_dword v200, off, s[0:3], 0 offset:832
	v_mul_f64 v[8:9], v[208:209], v[74:75]
	v_fma_f64 v[8:9], v[206:207], v[76:77], -v[8:9]
	buffer_load_dword v204, off, s[0:3], 0 offset:856
	buffer_load_dword v206, off, s[0:3], 0 offset:848
	buffer_load_dword v205, off, s[0:3], 0 offset:860
	buffer_load_dword v207, off, s[0:3], 0 offset:852
	;; [unrolled: 6-line block ×3, first 2 shown]
	buffer_load_dword v214, off, s[0:3], 0 offset:864
	buffer_load_dword v202, off, s[0:3], 0 offset:888
	;; [unrolled: 1-line block ×8, first 2 shown]
	ds_read_b128 v[50:53], v1 offset:1648
	v_mul_f64 v[12:13], v[220:221], v[82:83]
	v_fma_f64 v[12:13], v[218:219], v[84:85], -v[12:13]
	buffer_load_dword v218, off, s[0:3], 0 offset:920
	buffer_load_dword v220, off, s[0:3], 0 offset:912
	;; [unrolled: 1-line block ×4, first 2 shown]
	ds_read_b128 v[54:57], v1 offset:1664
	s_waitcnt lgkmcnt(2)
	v_mul_f64 v[58:59], v[46:47], v[144:145]
	v_fmac_f64_e32 v[58:59], v[48:49], v[148:149]
	v_add_f64 v[2:3], v[2:3], v[58:59]
	s_waitcnt vmcnt(50) lgkmcnt(1)
	v_mul_f64 v[58:59], v[50:51], v[170:171]
	s_waitcnt vmcnt(48)
	v_fmac_f64_e32 v[58:59], v[52:53], v[172:173]
	v_mul_f64 v[64:65], v[64:65], v[94:95]
	v_add_f64 v[2:3], v[2:3], v[58:59]
	v_fma_f64 v[4:5], v[62:63], v[98:99], -v[64:65]
	ds_read_b128 v[62:65], v1 offset:1696
	s_waitcnt lgkmcnt(1)
	v_mul_f64 v[58:59], v[54:55], v[152:153]
	v_fmac_f64_e32 v[58:59], v[56:57], v[156:157]
	v_add_f64 v[2:3], v[2:3], v[58:59]
	ds_read_b128 v[58:61], v1 offset:1680
	ds_read_b128 v[66:69], v1 offset:1712
	v_mul_f64 v[74:75], v[228:229], v[100:101]
	v_mul_f64 v[82:83], v[232:233], v[250:251]
	v_fma_f64 v[250:251], v[230:231], v[252:253], -v[82:83]
	ds_read_b128 v[228:231], v1 offset:1760
	ds_read_b128 v[82:85], v1 offset:1776
	;; [unrolled: 1-line block ×5, first 2 shown]
	v_add_f64 v[14:15], v[14:15], 0
	v_add_f64 v[14:15], v[14:15], v[114:115]
	;; [unrolled: 1-line block ×11, first 2 shown]
	s_waitcnt vmcnt(46) lgkmcnt(6)
	v_mul_f64 v[16:17], v[58:59], v[174:175]
	s_waitcnt vmcnt(44)
	v_fmac_f64_e32 v[16:17], v[60:61], v[178:179]
	v_add_f64 v[2:3], v[2:3], v[16:17]
	v_mul_f64 v[16:17], v[224:225], v[104:105]
	s_waitcnt vmcnt(41)
	v_mul_f64 v[70:71], v[62:63], v[176:177]
	s_waitcnt vmcnt(40)
	v_fmac_f64_e32 v[70:71], v[64:65], v[180:181]
	v_add_f64 v[2:3], v[2:3], v[70:71]
	ds_read_b128 v[70:73], v1 offset:1728
	v_fma_f64 v[16:17], v[222:223], v[248:249], -v[16:17]
	v_fma_f64 v[248:249], v[226:227], v[102:103], -v[74:75]
	ds_read_b128 v[74:77], v1 offset:1744
	s_waitcnt vmcnt(38) lgkmcnt(7)
	v_mul_f64 v[80:81], v[66:67], v[184:185]
	s_waitcnt vmcnt(36)
	v_fmac_f64_e32 v[80:81], v[68:69], v[188:189]
	v_add_f64 v[2:3], v[2:3], v[80:81]
	s_waitcnt vmcnt(34) lgkmcnt(1)
	v_mul_f64 v[80:81], v[70:71], v[186:187]
	s_waitcnt vmcnt(32)
	v_fmac_f64_e32 v[80:81], v[72:73], v[190:191]
	v_add_f64 v[2:3], v[2:3], v[80:81]
	;; [unrolled: 5-line block ×3, first 2 shown]
	s_waitcnt vmcnt(25)
	v_mul_f64 v[80:81], v[228:229], v[182:183]
	s_waitcnt vmcnt(24)
	v_fmac_f64_e32 v[80:81], v[230:231], v[192:193]
	v_add_f64 v[2:3], v[2:3], v[80:81]
	v_mul_f64 v[80:81], v[236:237], v[110:111]
	v_fma_f64 v[236:237], v[234:235], v[112:113], -v[80:81]
	s_waitcnt vmcnt(22)
	v_mul_f64 v[80:81], v[82:83], v[90:91]
	s_waitcnt vmcnt(20)
	v_fmac_f64_e32 v[80:81], v[84:85], v[200:201]
	v_add_f64 v[80:81], v[2:3], v[80:81]
	v_mul_f64 v[2:3], v[240:241], v[254:255]
	v_fma_f64 v[2:3], v[238:239], v[78:79], -v[2:3]
	ds_read_b128 v[232:235], v1 offset:1808
	s_waitcnt vmcnt(17)
	v_mul_f64 v[78:79], v[86:87], v[204:205]
	s_waitcnt vmcnt(16)
	v_fmac_f64_e32 v[78:79], v[88:89], v[206:207]
	ds_read_b128 v[102:105], v1 offset:1856
	buffer_load_dword v223, off, s[0:3], 0 offset:940
	buffer_load_dword v222, off, s[0:3], 0 offset:936
	;; [unrolled: 1-line block ×4, first 2 shown]
	v_add_f64 v[78:79], v[80:81], v[78:79]
	v_mul_f64 v[80:81], v[244:245], v[106:107]
	v_fma_f64 v[252:253], v[242:243], v[108:109], -v[80:81]
	ds_read_b128 v[106:109], v1 offset:1872
	buffer_load_dword v226, off, s[0:3], 0 offset:952
	buffer_load_dword v227, off, s[0:3], 0 offset:956
	;; [unrolled: 1-line block ×4, first 2 shown]
	ds_read_b128 v[110:113], v1 offset:1888
	buffer_load_dword v243, off, s[0:3], 0 offset:972
	buffer_load_dword v242, off, s[0:3], 0 offset:968
	;; [unrolled: 1-line block ×4, first 2 shown]
	s_waitcnt vmcnt(25) lgkmcnt(3)
	v_mul_f64 v[80:81], v[232:233], v[208:209]
	s_waitcnt vmcnt(23)
	v_fmac_f64_e32 v[80:81], v[234:235], v[214:215]
	v_add_f64 v[78:79], v[78:79], v[80:81]
	s_waitcnt vmcnt(22)
	v_mul_f64 v[80:81], v[94:95], v[202:203]
	s_waitcnt vmcnt(20)
	v_fmac_f64_e32 v[80:81], v[96:97], v[212:213]
	v_add_f64 v[78:79], v[78:79], v[80:81]
	s_waitcnt vmcnt(18)
	v_mul_f64 v[80:81], v[98:99], v[210:211]
	s_waitcnt vmcnt(16)
	v_fmac_f64_e32 v[80:81], v[100:101], v[216:217]
	v_add_f64 v[78:79], v[78:79], v[80:81]
	s_waitcnt vmcnt(13) lgkmcnt(2)
	v_mul_f64 v[80:81], v[102:103], v[218:219]
	s_waitcnt vmcnt(12)
	v_fmac_f64_e32 v[80:81], v[104:105], v[220:221]
	v_add_f64 v[78:79], v[78:79], v[80:81]
	v_add_f64 v[4:5], v[4:5], v[16:17]
	;; [unrolled: 1-line block ×4, first 2 shown]
	s_waitcnt vmcnt(10) lgkmcnt(1)
	v_mul_f64 v[80:81], v[106:107], v[222:223]
	s_waitcnt vmcnt(8)
	v_fmac_f64_e32 v[80:81], v[108:109], v[224:225]
	v_add_f64 v[78:79], v[78:79], v[80:81]
	s_waitcnt vmcnt(6) lgkmcnt(0)
	v_mul_f64 v[80:81], v[110:111], v[226:227]
	s_waitcnt vmcnt(4)
	v_fmac_f64_e32 v[80:81], v[112:113], v[238:239]
	v_add_f64 v[240:241], v[78:79], v[80:81]
	ds_read_b128 v[78:81], v1 offset:1904
	buffer_load_dword v248, off, s[0:3], 0 offset:224
	buffer_load_dword v249, off, s[0:3], 0 offset:228
	;; [unrolled: 1-line block ×4, first 2 shown]
	v_accvgpr_read_b32 v0, a182
	v_accvgpr_read_b32 v1, a183
	s_waitcnt vmcnt(6) lgkmcnt(0)
	v_mul_f64 v[254:255], v[78:79], v[242:243]
	s_waitcnt vmcnt(4)
	v_fmac_f64_e32 v[254:255], v[80:81], v[244:245]
	v_add_f64 v[240:241], v[240:241], v[254:255]
	v_add_f64 v[254:255], v[4:5], v[236:237]
	;; [unrolled: 1-line block ×3, first 2 shown]
	v_mul_f64 v[4:5], v[132:133], v[134:135]
	v_add_f64 v[2:3], v[2:3], v[252:253]
	v_fma_f64 v[4:5], v[130:131], v[138:139], -v[4:5]
	v_add_f64 v[2:3], v[2:3], v[4:5]
	v_mul_f64 v[4:5], v[128:129], v[0:1]
	v_accvgpr_read_b32 v0, a184
	v_accvgpr_read_b32 v1, a185
	v_fma_f64 v[4:5], v[126:127], v[0:1], -v[4:5]
	v_add_f64 v[2:3], v[2:3], v[4:5]
	v_mul_f64 v[4:5], v[124:125], v[142:143]
	v_accvgpr_read_b32 v0, a186
	v_fma_f64 v[4:5], v[122:123], v[146:147], -v[4:5]
	v_accvgpr_read_b32 v1, a187
	v_add_f64 v[2:3], v[2:3], v[4:5]
	v_mul_f64 v[4:5], v[120:121], v[0:1]
	v_accvgpr_read_b32 v0, a188
	v_accvgpr_read_b32 v1, a189
	v_fma_f64 v[4:5], v[118:119], v[0:1], -v[4:5]
	v_add_f64 v[2:3], v[2:3], v[4:5]
	v_mul_f64 v[4:5], v[20:21], v[150:151]
	v_accvgpr_read_b32 v0, a190
	v_fma_f64 v[4:5], v[18:19], v[154:155], -v[4:5]
	v_accvgpr_read_b32 v1, a191
	;; [unrolled: 10-line block ×3, first 2 shown]
	v_add_f64 v[2:3], v[2:3], v[4:5]
	v_mul_f64 v[4:5], v[32:33], v[0:1]
	v_accvgpr_read_b32 v0, a196
	v_accvgpr_read_b32 v1, a197
	v_fma_f64 v[4:5], v[30:31], v[0:1], -v[4:5]
	v_add_f64 v[2:3], v[2:3], v[4:5]
	v_mul_f64 v[4:5], v[36:37], v[162:163]
	v_fma_f64 v[4:5], v[34:35], v[164:165], -v[4:5]
	v_add_f64 v[2:3], v[2:3], v[4:5]
	v_mul_f64 v[4:5], v[40:41], v[136:137]
	;; [unrolled: 3-line block ×21, first 2 shown]
	v_fma_f64 v[4:5], v[78:79], v[244:245], -v[4:5]
	v_add_f64 v[2:3], v[2:3], v[4:5]
	v_accvgpr_read_b32 v0, a179
	s_waitcnt vmcnt(2)
	v_add_f64 v[2:3], v[248:249], -v[2:3]
	v_cmp_lt_u32_e32 vcc, 12, v0
	s_waitcnt vmcnt(0)
	v_add_f64 v[4:5], v[246:247], -v[240:241]
	buffer_store_dword v3, off, s[0:3], 0 offset:228
	buffer_store_dword v2, off, s[0:3], 0 offset:224
	;; [unrolled: 1-line block ×4, first 2 shown]
	s_and_saveexec_b64 s[4:5], vcc
	s_cbranch_execz .LBB59_349
; %bb.348:
	v_accvgpr_read_b32 v0, a167
	buffer_load_dword v2, v0, s[0:3], 0 offen
	buffer_load_dword v3, v0, s[0:3], 0 offen offset:4
	buffer_load_dword v4, v0, s[0:3], 0 offen offset:8
	;; [unrolled: 1-line block ×3, first 2 shown]
	v_mov_b32_e32 v0, 0
	v_accvgpr_read_b32 v1, a180
	buffer_store_dword v0, off, s[0:3], 0 offset:208
	buffer_store_dword v0, off, s[0:3], 0 offset:212
	;; [unrolled: 1-line block ×4, first 2 shown]
	s_waitcnt vmcnt(4)
	ds_write_b128 v1, v[2:5]
.LBB59_349:
	s_or_b64 exec, exec, s[4:5]
	s_waitcnt lgkmcnt(0)
	; wave barrier
	s_waitcnt lgkmcnt(0)
	buffer_load_dword v48, off, s[0:3], 0 offset:224
	buffer_load_dword v49, off, s[0:3], 0 offset:228
	;; [unrolled: 1-line block ×42, first 2 shown]
	v_mov_b32_e32 v1, 0
	buffer_load_dword v99, off, s[0:3], 0 offset:372
	buffer_load_dword v98, off, s[0:3], 0 offset:368
	;; [unrolled: 1-line block ×7, first 2 shown]
	ds_read_b128 v[112:115], v1 offset:1168
	ds_read_b128 v[170:173], v1 offset:1184
	;; [unrolled: 1-line block ×11, first 2 shown]
	v_accvgpr_read_b32 v0, a179
	v_cmp_lt_u32_e32 vcc, 11, v0
	s_waitcnt vmcnt(45) lgkmcnt(10)
	v_mul_f64 v[2:3], v[112:113], v[52:53]
	v_fmac_f64_e32 v[2:3], v[114:115], v[48:49]
	v_add_f64 v[2:3], v[2:3], 0
	s_waitcnt vmcnt(41) lgkmcnt(9)
	v_mul_f64 v[4:5], v[170:171], v[54:55]
	v_fmac_f64_e32 v[4:5], v[172:173], v[50:51]
	v_add_f64 v[2:3], v[2:3], v[4:5]
	buffer_load_dword v96, off, s[0:3], 0 offset:408
	buffer_load_dword v117, off, s[0:3], 0 offset:404
	buffer_load_dword v116, off, s[0:3], 0 offset:400
	buffer_load_dword v109, off, s[0:3], 0 offset:460
	buffer_load_dword v108, off, s[0:3], 0 offset:456
	buffer_load_dword v111, off, s[0:3], 0 offset:452
	buffer_load_dword v110, off, s[0:3], 0 offset:448
	buffer_load_dword v251, off, s[0:3], 0 offset:444
	buffer_load_dword v250, off, s[0:3], 0 offset:440
	buffer_load_dword v253, off, s[0:3], 0 offset:436
	buffer_load_dword v252, off, s[0:3], 0 offset:432
	buffer_load_dword v101, off, s[0:3], 0 offset:492
	buffer_load_dword v100, off, s[0:3], 0 offset:488
	buffer_load_dword v103, off, s[0:3], 0 offset:484
	buffer_load_dword v102, off, s[0:3], 0 offset:480
	buffer_load_dword v255, off, s[0:3], 0 offset:476
	buffer_load_dword v254, off, s[0:3], 0 offset:472
	buffer_load_dword v75, off, s[0:3], 0 offset:468
	buffer_load_dword v74, off, s[0:3], 0 offset:464
	buffer_load_dword v5, off, s[0:3], 0 offset:524
	buffer_load_dword v4, off, s[0:3], 0 offset:520
	s_waitcnt vmcnt(60) lgkmcnt(8)
	v_mul_f64 v[6:7], v[178:179], v[46:47]
	s_waitcnt vmcnt(58) lgkmcnt(6)
	v_mul_f64 v[10:11], v[188:189], v[62:63]
	s_waitcnt vmcnt(56)
	v_fmac_f64_e32 v[10:11], v[190:191], v[56:57]
	v_mul_f64 v[46:47], v[180:181], v[46:47]
	s_waitcnt vmcnt(54)
	v_mul_f64 v[8:9], v[182:183], v[64:65]
	s_waitcnt vmcnt(52) lgkmcnt(4)
	v_mul_f64 v[14:15], v[198:199], v[66:67]
	s_waitcnt vmcnt(50)
	v_fmac_f64_e32 v[14:15], v[200:201], v[68:69]
	s_waitcnt vmcnt(48)
	v_mul_f64 v[12:13], v[194:195], v[70:71]
	s_waitcnt vmcnt(46) lgkmcnt(2)
	v_mul_f64 v[18:19], v[212:213], v[76:77]
	s_waitcnt vmcnt(43)
	v_mul_f64 v[16:17], v[202:203], v[78:79]
	s_waitcnt vmcnt(41) lgkmcnt(1)
	v_mul_f64 v[20:21], v[218:219], v[72:73]
	s_waitcnt vmcnt(39)
	v_fmac_f64_e32 v[6:7], v[180:181], v[90:91]
	v_add_f64 v[2:3], v[2:3], v[6:7]
	s_waitcnt vmcnt(37)
	v_fmac_f64_e32 v[8:9], v[184:185], v[88:89]
	v_add_f64 v[2:3], v[2:3], v[8:9]
	;; [unrolled: 3-line block ×3, first 2 shown]
	v_add_f64 v[2:3], v[2:3], v[12:13]
	v_add_f64 v[2:3], v[2:3], v[14:15]
	s_waitcnt vmcnt(33)
	v_fmac_f64_e32 v[16:17], v[204:205], v[80:81]
	v_add_f64 v[2:3], v[2:3], v[16:17]
	s_waitcnt vmcnt(32)
	v_fmac_f64_e32 v[18:19], v[214:215], v[216:217]
	;; [unrolled: 3-line block ×3, first 2 shown]
	v_add_f64 v[2:3], v[2:3], v[20:21]
	v_fma_f64 v[90:91], v[178:179], v[90:91], -v[46:47]
	v_mul_f64 v[46:47], v[184:185], v[64:65]
	s_waitcnt vmcnt(0)
	v_pk_mov_b32 v[14:15], v[4:5], v[4:5] op_sel:[0,1]
	buffer_load_dword v5, off, s[0:3], 0 offset:516
	buffer_load_dword v4, off, s[0:3], 0 offset:512
	v_accvgpr_write_b32 a183, v15
	v_accvgpr_write_b32 a182, v14
	s_waitcnt vmcnt(0)
	v_pk_mov_b32 v[16:17], v[4:5], v[4:5] op_sel:[0,1]
	buffer_load_dword v105, off, s[0:3], 0 offset:508
	buffer_load_dword v104, off, s[0:3], 0 offset:504
	buffer_load_dword v107, off, s[0:3], 0 offset:500
	buffer_load_dword v106, off, s[0:3], 0 offset:496
	buffer_load_dword v5, off, s[0:3], 0 offset:556
	buffer_load_dword v4, off, s[0:3], 0 offset:552
	v_accvgpr_write_b32 a185, v17
	v_accvgpr_write_b32 a184, v16
	s_waitcnt vmcnt(0)
	v_pk_mov_b32 v[22:23], v[4:5], v[4:5] op_sel:[0,1]
	buffer_load_dword v5, off, s[0:3], 0 offset:548
	buffer_load_dword v4, off, s[0:3], 0 offset:544
	v_accvgpr_write_b32 a187, v23
	v_accvgpr_write_b32 a186, v22
	s_waitcnt vmcnt(0)
	v_pk_mov_b32 v[24:25], v[4:5], v[4:5] op_sel:[0,1]
	buffer_load_dword v139, off, s[0:3], 0 offset:540
	buffer_load_dword v138, off, s[0:3], 0 offset:536
	buffer_load_dword v143, off, s[0:3], 0 offset:532
	buffer_load_dword v142, off, s[0:3], 0 offset:528
	buffer_load_dword v5, off, s[0:3], 0 offset:588
	buffer_load_dword v4, off, s[0:3], 0 offset:584
	v_accvgpr_write_b32 a189, v25
	v_accvgpr_write_b32 a188, v24
	;; [unrolled: 16-line block ×4, first 2 shown]
	s_waitcnt vmcnt(0)
	v_pk_mov_b32 v[174:175], v[4:5], v[4:5] op_sel:[0,1]
	buffer_load_dword v5, off, s[0:3], 0 offset:644
	buffer_load_dword v4, off, s[0:3], 0 offset:640
	buffer_load_dword v159, off, s[0:3], 0 offset:636
	buffer_load_dword v158, off, s[0:3], 0 offset:632
	buffer_load_dword v161, off, s[0:3], 0 offset:628
	buffer_load_dword v160, off, s[0:3], 0 offset:624
	buffer_load_dword v141, off, s[0:3], 0 offset:684
	buffer_load_dword v140, off, s[0:3], 0 offset:680
	buffer_load_dword v145, off, s[0:3], 0 offset:676
	buffer_load_dword v144, off, s[0:3], 0 offset:672
	buffer_load_dword v163, off, s[0:3], 0 offset:668
	buffer_load_dword v162, off, s[0:3], 0 offset:664
	buffer_load_dword v165, off, s[0:3], 0 offset:660
	buffer_load_dword v164, off, s[0:3], 0 offset:656
	buffer_load_dword v149, off, s[0:3], 0 offset:716
	buffer_load_dword v148, off, s[0:3], 0 offset:712
	buffer_load_dword v153, off, s[0:3], 0 offset:708
	buffer_load_dword v152, off, s[0:3], 0 offset:704
	buffer_load_dword v167, off, s[0:3], 0 offset:700
	buffer_load_dword v166, off, s[0:3], 0 offset:696
	buffer_load_dword v169, off, s[0:3], 0 offset:692
	buffer_load_dword v168, off, s[0:3], 0 offset:688
	ds_read_b128 v[222:225], v1 offset:1344
	ds_read_b128 v[226:229], v1 offset:1360
	;; [unrolled: 1-line block ×12, first 2 shown]
	s_waitcnt lgkmcnt(5)
	v_mul_f64 v[8:9], v[246:247], v[104:105]
	v_fmac_f64_e32 v[8:9], v[248:249], v[106:107]
	s_waitcnt lgkmcnt(4)
	v_mul_f64 v[12:13], v[134:135], v[14:15]
	v_fmac_f64_e32 v[12:13], v[136:137], v[16:17]
	;; [unrolled: 3-line block ×6, first 2 shown]
	v_accvgpr_write_b32 a199, v175
	v_accvgpr_write_b32 a198, v174
	s_waitcnt vmcnt(20)
	v_pk_mov_b32 v[176:177], v[4:5], v[4:5] op_sel:[0,1]
	v_mul_f64 v[4:5], v[58:59], v[84:85]
	v_fmac_f64_e32 v[4:5], v[60:61], v[86:87]
	v_add_f64 v[2:3], v[2:3], v[4:5]
	v_mul_f64 v[4:5], v[222:223], v[96:97]
	v_fmac_f64_e32 v[4:5], v[224:225], v[116:117]
	v_add_f64 v[2:3], v[2:3], v[4:5]
	;; [unrolled: 3-line block ×7, first 2 shown]
	v_add_f64 v[10:11], v[6:7], v[8:9]
	v_add_f64 v[14:15], v[10:11], v[12:13]
	;; [unrolled: 1-line block ×5, first 2 shown]
	ds_read_b128 v[22:25], v1 offset:1536
	v_add_f64 v[30:31], v[26:27], v[28:29]
	ds_read_b128 v[26:29], v1 offset:1552
	v_mul_f64 v[4:5], v[114:115], v[52:53]
	v_accvgpr_write_b32 a201, v177
	s_waitcnt lgkmcnt(1)
	v_mul_f64 v[32:33], v[22:23], v[154:155]
	v_fmac_f64_e32 v[32:33], v[24:25], v[156:157]
	s_waitcnt lgkmcnt(0)
	v_mul_f64 v[36:37], v[26:27], v[38:39]
	v_add_f64 v[34:35], v[30:31], v[32:33]
	ds_read_b128 v[30:33], v1 offset:1568
	v_fmac_f64_e32 v[36:37], v[28:29], v[40:41]
	v_add_f64 v[38:39], v[34:35], v[36:37]
	ds_read_b128 v[34:37], v1 offset:1584
	v_fma_f64 v[18:19], v[112:113], v[48:49], -v[4:5]
	s_waitcnt vmcnt(18) lgkmcnt(1)
	v_mul_f64 v[40:41], v[30:31], v[158:159]
	s_waitcnt vmcnt(16)
	v_fmac_f64_e32 v[40:41], v[32:33], v[160:161]
	v_add_f64 v[42:43], v[38:39], v[40:41]
	s_waitcnt lgkmcnt(0)
	v_mul_f64 v[44:45], v[34:35], v[174:175]
	v_fmac_f64_e32 v[44:45], v[36:37], v[176:177]
	v_mul_f64 v[48:49], v[172:173], v[54:55]
	ds_read_b128 v[38:41], v1 offset:1600
	v_accvgpr_write_b32 a200, v176
	v_add_f64 v[2:3], v[42:43], v[44:45]
	ds_read_b128 v[42:45], v1 offset:1616
	v_fma_f64 v[206:207], v[170:171], v[50:51], -v[48:49]
	buffer_load_dword v171, off, s[0:3], 0 offset:732
	buffer_load_dword v170, off, s[0:3], 0 offset:728
	;; [unrolled: 1-line block ×8, first 2 shown]
	v_fma_f64 v[14:15], v[182:183], v[88:89], -v[46:47]
	buffer_load_dword v179, off, s[0:3], 0 offset:780
	buffer_load_dword v183, off, s[0:3], 0 offset:764
	;; [unrolled: 1-line block ×8, first 2 shown]
	v_mul_f64 v[8:9], v[190:191], v[62:63]
	v_fma_f64 v[10:11], v[188:189], v[56:57], -v[8:9]
	buffer_load_dword v180, off, s[0:3], 0 offset:808
	buffer_load_dword v191, off, s[0:3], 0 offset:796
	;; [unrolled: 1-line block ×8, first 2 shown]
	v_mul_f64 v[50:51], v[196:197], v[70:71]
	ds_read_b128 v[46:49], v1 offset:1632
	v_fma_f64 v[8:9], v[194:195], v[82:83], -v[50:51]
	buffer_load_dword v195, off, s[0:3], 0 offset:828
	buffer_load_dword v194, off, s[0:3], 0 offset:824
	buffer_load_dword v197, off, s[0:3], 0 offset:820
	buffer_load_dword v196, off, s[0:3], 0 offset:816
	v_mul_f64 v[12:13], v[200:201], v[66:67]
	v_fma_f64 v[12:13], v[198:199], v[68:69], -v[12:13]
	buffer_load_dword v198, off, s[0:3], 0 offset:840
	buffer_load_dword v200, off, s[0:3], 0 offset:832
	;; [unrolled: 1-line block ×4, first 2 shown]
	v_mul_f64 v[50:51], v[204:205], v[78:79]
	v_mul_f64 v[16:17], v[214:215], v[76:77]
	buffer_load_dword v205, off, s[0:3], 0 offset:860
	buffer_load_dword v204, off, s[0:3], 0 offset:856
	;; [unrolled: 1-line block ×8, first 2 shown]
	v_fma_f64 v[6:7], v[202:203], v[80:81], -v[50:51]
	v_fma_f64 v[16:17], v[212:213], v[216:217], -v[16:17]
	buffer_load_dword v202, off, s[0:3], 0 offset:904
	buffer_load_dword v215, off, s[0:3], 0 offset:892
	;; [unrolled: 1-line block ×8, first 2 shown]
	s_waitcnt vmcnt(58) lgkmcnt(2)
	v_mul_f64 v[52:53], v[38:39], v[162:163]
	s_waitcnt vmcnt(56)
	v_fmac_f64_e32 v[52:53], v[40:41], v[164:165]
	v_mul_f64 v[50:51], v[220:221], v[72:73]
	v_add_f64 v[2:3], v[2:3], v[52:53]
	v_fma_f64 v[218:219], v[218:219], v[98:99], -v[50:51]
	ds_read_b128 v[50:53], v1 offset:1648
	s_waitcnt lgkmcnt(2)
	v_mul_f64 v[54:55], v[42:43], v[140:141]
	v_fmac_f64_e32 v[54:55], v[44:45], v[144:145]
	v_add_f64 v[2:3], v[2:3], v[54:55]
	s_waitcnt vmcnt(50) lgkmcnt(1)
	v_mul_f64 v[54:55], v[46:47], v[166:167]
	s_waitcnt vmcnt(48)
	v_fmac_f64_e32 v[54:55], v[48:49], v[168:169]
	v_mul_f64 v[60:61], v[60:61], v[84:85]
	v_add_f64 v[2:3], v[2:3], v[54:55]
	v_fma_f64 v[220:221], v[58:59], v[86:87], -v[60:61]
	ds_read_b128 v[58:61], v1 offset:1680
	s_waitcnt lgkmcnt(1)
	v_mul_f64 v[54:55], v[50:51], v[148:149]
	v_fmac_f64_e32 v[54:55], v[52:53], v[152:153]
	v_add_f64 v[2:3], v[2:3], v[54:55]
	ds_read_b128 v[54:57], v1 offset:1664
	v_mul_f64 v[70:71], v[228:229], v[92:93]
	v_fma_f64 v[92:93], v[226:227], v[94:95], -v[70:71]
	ds_read_b128 v[70:73], v1 offset:1728
	v_mul_f64 v[80:81], v[232:233], v[250:251]
	v_fma_f64 v[252:253], v[230:231], v[252:253], -v[80:81]
	;; [unrolled: 3-line block ×3, first 2 shown]
	ds_read_b128 v[82:85], v1 offset:1776
	v_mul_f64 v[98:99], v[248:249], v[104:105]
	v_add_f64 v[18:19], v[18:19], 0
	v_add_f64 v[18:19], v[18:19], v[206:207]
	;; [unrolled: 1-line block ×11, first 2 shown]
	v_accvgpr_read_b32 v8, a184
	v_accvgpr_read_b32 v9, a185
	ds_read_b128 v[232:235], v1 offset:1808
	s_waitcnt vmcnt(46) lgkmcnt(4)
	v_mul_f64 v[62:63], v[54:55], v[170:171]
	s_waitcnt vmcnt(44)
	v_fmac_f64_e32 v[62:63], v[56:57], v[176:177]
	v_add_f64 v[2:3], v[2:3], v[62:63]
	v_mul_f64 v[62:63], v[224:225], v[96:97]
	v_fma_f64 v[222:223], v[222:223], v[116:117], -v[62:63]
	ds_read_b128 v[62:65], v1 offset:1696
	s_waitcnt vmcnt(41)
	v_mul_f64 v[66:67], v[58:59], v[172:173]
	s_waitcnt vmcnt(40)
	v_fmac_f64_e32 v[66:67], v[60:61], v[174:175]
	v_add_f64 v[2:3], v[2:3], v[66:67]
	ds_read_b128 v[66:69], v1 offset:1712
	s_waitcnt vmcnt(37) lgkmcnt(1)
	v_mul_f64 v[78:79], v[62:63], v[182:183]
	s_waitcnt vmcnt(35)
	v_fmac_f64_e32 v[78:79], v[64:65], v[184:185]
	v_add_f64 v[2:3], v[2:3], v[78:79]
	ds_read_b128 v[94:97], v1 offset:1824
	s_waitcnt vmcnt(34) lgkmcnt(1)
	v_mul_f64 v[78:79], v[66:67], v[178:179]
	s_waitcnt vmcnt(32)
	v_fmac_f64_e32 v[78:79], v[68:69], v[186:187]
	v_add_f64 v[2:3], v[2:3], v[78:79]
	s_waitcnt vmcnt(29)
	v_mul_f64 v[78:79], v[70:71], v[190:191]
	s_waitcnt vmcnt(27)
	v_fmac_f64_e32 v[78:79], v[72:73], v[192:193]
	v_add_f64 v[2:3], v[2:3], v[78:79]
	s_waitcnt vmcnt(25)
	v_mul_f64 v[78:79], v[228:229], v[180:181]
	s_waitcnt vmcnt(24)
	v_fmac_f64_e32 v[78:79], v[230:231], v[188:189]
	v_add_f64 v[2:3], v[2:3], v[78:79]
	ds_read_b128 v[78:81], v1 offset:1760
	s_waitcnt vmcnt(17)
	v_mul_f64 v[20:21], v[82:83], v[198:199]
	s_waitcnt vmcnt(16)
	v_fmac_f64_e32 v[20:21], v[84:85], v[200:201]
	v_add_f64 v[6:7], v[6:7], v[222:223]
	v_add_f64 v[6:7], v[6:7], v[92:93]
	s_waitcnt lgkmcnt(0)
	v_mul_f64 v[86:87], v[78:79], v[194:195]
	v_fmac_f64_e32 v[86:87], v[80:81], v[196:197]
	v_add_f64 v[2:3], v[2:3], v[86:87]
	v_mul_f64 v[86:87], v[240:241], v[254:255]
	v_fma_f64 v[4:5], v[238:239], v[74:75], -v[86:87]
	ds_read_b128 v[86:89], v1 offset:1792
	v_add_f64 v[2:3], v[2:3], v[20:21]
	v_mul_f64 v[20:21], v[244:245], v[100:101]
	v_fma_f64 v[254:255], v[246:247], v[106:107], -v[98:99]
	ds_read_b128 v[98:101], v1 offset:1840
	s_waitcnt vmcnt(14) lgkmcnt(1)
	v_mul_f64 v[74:75], v[86:87], v[204:205]
	s_waitcnt vmcnt(12)
	v_fmac_f64_e32 v[74:75], v[88:89], v[208:209]
	v_add_f64 v[2:3], v[2:3], v[74:75]
	s_waitcnt vmcnt(10)
	v_mul_f64 v[74:75], v[232:233], v[76:77]
	s_waitcnt vmcnt(8)
	v_fmac_f64_e32 v[74:75], v[234:235], v[210:211]
	v_add_f64 v[2:3], v[2:3], v[74:75]
	s_waitcnt vmcnt(5)
	v_mul_f64 v[74:75], v[94:95], v[214:215]
	s_waitcnt vmcnt(3)
	v_fmac_f64_e32 v[74:75], v[96:97], v[216:217]
	v_add_f64 v[2:3], v[2:3], v[74:75]
	s_waitcnt vmcnt(1) lgkmcnt(0)
	v_mul_f64 v[74:75], v[98:99], v[202:203]
	s_waitcnt vmcnt(0)
	v_fmac_f64_e32 v[74:75], v[100:101], v[212:213]
	v_add_f64 v[106:107], v[2:3], v[74:75]
	buffer_load_dword v3, off, s[0:3], 0 offset:924
	buffer_load_dword v2, off, s[0:3], 0 offset:920
	;; [unrolled: 1-line block ×4, first 2 shown]
	v_fma_f64 v[20:21], v[242:243], v[102:103], -v[20:21]
	ds_read_b128 v[102:105], v1 offset:1856
	buffer_load_dword v236, off, s[0:3], 0 offset:936
	buffer_load_dword v237, off, s[0:3], 0 offset:940
	buffer_load_dword v224, off, s[0:3], 0 offset:928
	buffer_load_dword v225, off, s[0:3], 0 offset:932
	v_add_f64 v[6:7], v[6:7], v[252:253]
	v_add_f64 v[6:7], v[6:7], v[250:251]
	;; [unrolled: 1-line block ×3, first 2 shown]
	v_accvgpr_read_b32 v6, a182
	v_accvgpr_read_b32 v7, a183
	v_add_f64 v[252:253], v[4:5], v[20:21]
	v_mul_f64 v[6:7], v[136:137], v[6:7]
	v_add_f64 v[4:5], v[252:253], v[254:255]
	v_fma_f64 v[6:7], v[134:135], v[8:9], -v[6:7]
	v_add_f64 v[4:5], v[4:5], v[6:7]
	v_mul_f64 v[6:7], v[132:133], v[138:139]
	v_fma_f64 v[6:7], v[130:131], v[142:143], -v[6:7]
	v_add_f64 v[4:5], v[4:5], v[6:7]
	v_accvgpr_read_b32 v6, a186
	v_accvgpr_read_b32 v7, a187
	v_accvgpr_read_b32 v8, a188
	v_mul_f64 v[6:7], v[128:129], v[6:7]
	v_accvgpr_read_b32 v9, a189
	v_fma_f64 v[6:7], v[126:127], v[8:9], -v[6:7]
	v_add_f64 v[4:5], v[4:5], v[6:7]
	v_mul_f64 v[6:7], v[124:125], v[146:147]
	v_fma_f64 v[6:7], v[122:123], v[150:151], -v[6:7]
	v_add_f64 v[4:5], v[4:5], v[6:7]
	v_accvgpr_read_b32 v6, a190
	v_accvgpr_read_b32 v7, a191
	v_accvgpr_read_b32 v8, a192
	v_mul_f64 v[6:7], v[120:121], v[6:7]
	v_accvgpr_read_b32 v9, a193
	v_fma_f64 v[6:7], v[118:119], v[8:9], -v[6:7]
	v_add_f64 v[4:5], v[4:5], v[6:7]
	v_mul_f64 v[6:7], v[24:25], v[154:155]
	v_fma_f64 v[6:7], v[22:23], v[156:157], -v[6:7]
	v_add_f64 v[4:5], v[4:5], v[6:7]
	v_accvgpr_read_b32 v6, a194
	v_accvgpr_read_b32 v7, a195
	v_accvgpr_read_b32 v8, a196
	v_mul_f64 v[6:7], v[28:29], v[6:7]
	v_accvgpr_read_b32 v9, a197
	v_fma_f64 v[6:7], v[26:27], v[8:9], -v[6:7]
	v_add_f64 v[4:5], v[4:5], v[6:7]
	v_mul_f64 v[6:7], v[32:33], v[158:159]
	v_fma_f64 v[6:7], v[30:31], v[160:161], -v[6:7]
	v_add_f64 v[4:5], v[4:5], v[6:7]
	v_accvgpr_read_b32 v6, a198
	v_accvgpr_read_b32 v7, a199
	v_accvgpr_read_b32 v8, a200
	v_mul_f64 v[6:7], v[36:37], v[6:7]
	v_accvgpr_read_b32 v9, a201
	v_fma_f64 v[6:7], v[34:35], v[8:9], -v[6:7]
	v_add_f64 v[4:5], v[4:5], v[6:7]
	v_mul_f64 v[6:7], v[40:41], v[162:163]
	v_fma_f64 v[6:7], v[38:39], v[164:165], -v[6:7]
	v_add_f64 v[4:5], v[4:5], v[6:7]
	v_mul_f64 v[6:7], v[44:45], v[140:141]
	;; [unrolled: 3-line block ×8, first 2 shown]
	v_fma_f64 v[6:7], v[66:67], v[186:187], -v[6:7]
	v_add_f64 v[4:5], v[4:5], v[6:7]
	s_waitcnt vmcnt(6) lgkmcnt(0)
	v_mul_f64 v[108:109], v[102:103], v[2:3]
	v_mul_f64 v[6:7], v[72:73], v[190:191]
	s_waitcnt vmcnt(4)
	v_fmac_f64_e32 v[108:109], v[104:105], v[74:75]
	v_add_f64 v[110:111], v[106:107], v[108:109]
	ds_read_b128 v[106:109], v1 offset:1872
	buffer_load_dword v227, off, s[0:3], 0 offset:956
	buffer_load_dword v226, off, s[0:3], 0 offset:952
	;; [unrolled: 1-line block ×4, first 2 shown]
	v_fma_f64 v[6:7], v[70:71], v[192:193], -v[6:7]
	v_add_f64 v[4:5], v[4:5], v[6:7]
	v_mul_f64 v[6:7], v[230:231], v[180:181]
	s_waitcnt vmcnt(6) lgkmcnt(0)
	v_mul_f64 v[112:113], v[106:107], v[236:237]
	s_waitcnt vmcnt(4)
	v_fmac_f64_e32 v[112:113], v[108:109], v[224:225]
	v_add_f64 v[114:115], v[110:111], v[112:113]
	ds_read_b128 v[110:113], v1 offset:1888
	buffer_load_dword v242, off, s[0:3], 0 offset:968
	buffer_load_dword v243, off, s[0:3], 0 offset:972
	;; [unrolled: 1-line block ×4, first 2 shown]
	v_fma_f64 v[6:7], v[228:229], v[188:189], -v[6:7]
	v_add_f64 v[4:5], v[4:5], v[6:7]
	v_mul_f64 v[6:7], v[80:81], v[194:195]
	v_fma_f64 v[6:7], v[78:79], v[196:197], -v[6:7]
	v_add_f64 v[4:5], v[4:5], v[6:7]
	v_mul_f64 v[6:7], v[84:85], v[198:199]
	v_fma_f64 v[6:7], v[82:83], v[200:201], -v[6:7]
	v_add_f64 v[4:5], v[4:5], v[6:7]
	v_mul_f64 v[6:7], v[88:89], v[204:205]
	v_fma_f64 v[6:7], v[86:87], v[208:209], -v[6:7]
	v_add_f64 v[4:5], v[4:5], v[6:7]
	v_mul_f64 v[6:7], v[234:235], v[76:77]
	v_fma_f64 v[6:7], v[232:233], v[210:211], -v[6:7]
	v_add_f64 v[4:5], v[4:5], v[6:7]
	v_mul_f64 v[6:7], v[96:97], v[214:215]
	v_fma_f64 v[6:7], v[94:95], v[216:217], -v[6:7]
	v_add_f64 v[4:5], v[4:5], v[6:7]
	v_mul_f64 v[6:7], v[100:101], v[202:203]
	v_fma_f64 v[6:7], v[98:99], v[212:213], -v[6:7]
	v_mul_f64 v[2:3], v[104:105], v[2:3]
	v_add_f64 v[4:5], v[4:5], v[6:7]
	v_fma_f64 v[2:3], v[102:103], v[74:75], -v[2:3]
	v_add_f64 v[2:3], v[4:5], v[2:3]
	v_mul_f64 v[4:5], v[108:109], v[236:237]
	v_fma_f64 v[4:5], v[106:107], v[224:225], -v[4:5]
	v_add_f64 v[2:3], v[2:3], v[4:5]
	s_waitcnt vmcnt(6) lgkmcnt(0)
	v_mul_f64 v[116:117], v[110:111], v[226:227]
	v_mul_f64 v[4:5], v[112:113], v[226:227]
	s_waitcnt vmcnt(4)
	v_fmac_f64_e32 v[116:117], v[112:113], v[238:239]
	v_add_f64 v[240:241], v[114:115], v[116:117]
	ds_read_b128 v[114:117], v1 offset:1904
	buffer_load_dword v248, off, s[0:3], 0 offset:208
	buffer_load_dword v249, off, s[0:3], 0 offset:212
	v_fma_f64 v[4:5], v[110:111], v[238:239], -v[4:5]
	v_add_f64 v[2:3], v[2:3], v[4:5]
	s_waitcnt vmcnt(4) lgkmcnt(0)
	v_mul_f64 v[246:247], v[114:115], v[242:243]
	s_waitcnt vmcnt(2)
	v_fmac_f64_e32 v[246:247], v[116:117], v[244:245]
	v_add_f64 v[240:241], v[240:241], v[246:247]
	buffer_load_dword v246, off, s[0:3], 0 offset:216
	buffer_load_dword v247, off, s[0:3], 0 offset:220
	v_mul_f64 v[4:5], v[116:117], v[242:243]
	v_fma_f64 v[4:5], v[114:115], v[244:245], -v[4:5]
	v_add_f64 v[2:3], v[2:3], v[4:5]
	s_waitcnt vmcnt(2)
	v_add_f64 v[2:3], v[248:249], -v[2:3]
	s_waitcnt vmcnt(0)
	v_add_f64 v[4:5], v[246:247], -v[240:241]
	buffer_store_dword v3, off, s[0:3], 0 offset:212
	buffer_store_dword v2, off, s[0:3], 0 offset:208
	;; [unrolled: 1-line block ×4, first 2 shown]
	s_and_saveexec_b64 s[4:5], vcc
	s_cbranch_execz .LBB59_351
; %bb.350:
	v_accvgpr_read_b32 v0, a168
	buffer_load_dword v2, v0, s[0:3], 0 offen
	buffer_load_dword v3, v0, s[0:3], 0 offen offset:4
	buffer_load_dword v4, v0, s[0:3], 0 offen offset:8
	;; [unrolled: 1-line block ×3, first 2 shown]
	v_accvgpr_read_b32 v0, a180
	buffer_store_dword v1, off, s[0:3], 0 offset:192
	buffer_store_dword v1, off, s[0:3], 0 offset:196
	;; [unrolled: 1-line block ×4, first 2 shown]
	s_waitcnt vmcnt(4)
	ds_write_b128 v0, v[2:5]
.LBB59_351:
	s_or_b64 exec, exec, s[4:5]
	s_waitcnt lgkmcnt(0)
	; wave barrier
	s_waitcnt lgkmcnt(0)
	buffer_load_dword v42, off, s[0:3], 0 offset:208
	buffer_load_dword v43, off, s[0:3], 0 offset:212
	;; [unrolled: 1-line block ×42, first 2 shown]
	ds_read_b128 v[110:113], v1 offset:1152
	ds_read_b128 v[114:117], v1 offset:1168
	ds_read_b128 v[174:177], v1 offset:1184
	ds_read_b128 v[178:181], v1 offset:1200
	ds_read_b128 v[186:189], v1 offset:1216
	ds_read_b128 v[190:193], v1 offset:1232
	ds_read_b128 v[194:197], v1 offset:1248
	ds_read_b128 v[198:201], v1 offset:1264
	ds_read_b128 v[202:205], v1 offset:1280
	ds_read_b128 v[208:211], v1 offset:1296
	buffer_load_dword v213, off, s[0:3], 0 offset:356
	buffer_load_dword v212, off, s[0:3], 0 offset:352
	ds_read_b128 v[50:53], v1 offset:1312
	buffer_load_dword v89, off, s[0:3], 0 offset:412
	buffer_load_dword v88, off, s[0:3], 0 offset:408
	;; [unrolled: 1-line block ×8, first 2 shown]
	s_waitcnt vmcnt(48) lgkmcnt(10)
	v_mul_f64 v[2:3], v[110:111], v[48:49]
	v_fmac_f64_e32 v[2:3], v[112:113], v[42:43]
	v_add_f64 v[2:3], v[2:3], 0
	s_waitcnt vmcnt(44) lgkmcnt(9)
	v_mul_f64 v[4:5], v[114:115], v[54:55]
	v_fmac_f64_e32 v[4:5], v[116:117], v[44:45]
	v_add_f64 v[2:3], v[2:3], v[4:5]
	buffer_load_dword v107, off, s[0:3], 0 offset:444
	buffer_load_dword v106, off, s[0:3], 0 offset:440
	;; [unrolled: 1-line block ×26, first 2 shown]
	s_waitcnt vmcnt(62) lgkmcnt(8)
	v_mul_f64 v[6:7], v[174:175], v[46:47]
	s_waitcnt lgkmcnt(6)
	v_mul_f64 v[10:11], v[186:187], v[58:59]
	v_fmac_f64_e32 v[10:11], v[188:189], v[56:57]
	v_mul_f64 v[46:47], v[176:177], v[46:47]
	v_mul_f64 v[8:9], v[178:179], v[60:61]
	s_waitcnt vmcnt(60) lgkmcnt(4)
	v_mul_f64 v[14:15], v[194:195], v[62:63]
	s_waitcnt vmcnt(58)
	v_fmac_f64_e32 v[14:15], v[196:197], v[64:65]
	s_waitcnt vmcnt(56)
	v_mul_f64 v[12:13], v[190:191], v[66:67]
	s_waitcnt vmcnt(54) lgkmcnt(2)
	v_mul_f64 v[18:19], v[202:203], v[68:69]
	s_waitcnt vmcnt(51)
	v_mul_f64 v[16:17], v[198:199], v[206:207]
	s_waitcnt vmcnt(49) lgkmcnt(1)
	v_mul_f64 v[20:21], v[208:209], v[72:73]
	s_waitcnt vmcnt(47)
	v_fmac_f64_e32 v[6:7], v[176:177], v[82:83]
	v_add_f64 v[2:3], v[2:3], v[6:7]
	s_waitcnt vmcnt(45)
	v_fmac_f64_e32 v[8:9], v[180:181], v[80:81]
	v_add_f64 v[2:3], v[2:3], v[8:9]
	;; [unrolled: 3-line block ×3, first 2 shown]
	v_add_f64 v[2:3], v[2:3], v[12:13]
	s_waitcnt vmcnt(41)
	v_fmac_f64_e32 v[16:17], v[200:201], v[76:77]
	v_add_f64 v[2:3], v[2:3], v[14:15]
	s_waitcnt vmcnt(40)
	v_fmac_f64_e32 v[18:19], v[204:205], v[70:71]
	v_add_f64 v[2:3], v[2:3], v[16:17]
	v_add_f64 v[2:3], v[2:3], v[18:19]
	s_waitcnt vmcnt(34)
	v_fmac_f64_e32 v[20:21], v[210:211], v[212:213]
	v_add_f64 v[2:3], v[2:3], v[20:21]
	s_waitcnt vmcnt(0)
	v_pk_mov_b32 v[18:19], v[4:5], v[4:5] op_sel:[0,1]
	buffer_load_dword v5, off, s[0:3], 0 offset:532
	buffer_load_dword v7, off, s[0:3], 0 offset:524
	;; [unrolled: 1-line block ×3, first 2 shown]
	v_accvgpr_write_b32 a187, v19
	v_accvgpr_write_b32 a186, v18
	s_waitcnt vmcnt(0)
	v_pk_mov_b32 v[14:15], v[6:7], v[6:7] op_sel:[0,1]
	buffer_load_dword v7, off, s[0:3], 0 offset:516
	buffer_load_dword v6, off, s[0:3], 0 offset:512
	;; [unrolled: 1-line block ×3, first 2 shown]
	v_accvgpr_write_b32 a183, v15
	v_accvgpr_write_b32 a182, v14
	s_waitcnt vmcnt(1)
	v_pk_mov_b32 v[16:17], v[6:7], v[6:7] op_sel:[0,1]
	s_waitcnt vmcnt(0)
	v_pk_mov_b32 v[22:23], v[4:5], v[4:5] op_sel:[0,1]
	buffer_load_dword v5, off, s[0:3], 0 offset:572
	buffer_load_dword v4, off, s[0:3], 0 offset:568
	v_accvgpr_write_b32 a185, v17
	v_accvgpr_write_b32 a184, v16
	v_accvgpr_write_b32 a189, v23
	v_accvgpr_write_b32 a188, v22
	s_waitcnt vmcnt(0)
	v_pk_mov_b32 v[26:27], v[4:5], v[4:5] op_sel:[0,1]
	buffer_load_dword v5, off, s[0:3], 0 offset:564
	buffer_load_dword v141, off, s[0:3], 0 offset:556
	;; [unrolled: 1-line block ×6, first 2 shown]
	v_accvgpr_write_b32 a191, v27
	v_accvgpr_write_b32 a190, v26
	s_waitcnt vmcnt(0)
	v_pk_mov_b32 v[28:29], v[4:5], v[4:5] op_sel:[0,1]
	buffer_load_dword v5, off, s[0:3], 0 offset:604
	buffer_load_dword v4, off, s[0:3], 0 offset:600
	v_accvgpr_write_b32 a193, v29
	v_accvgpr_write_b32 a192, v28
	s_waitcnt vmcnt(0)
	v_pk_mov_b32 v[34:35], v[4:5], v[4:5] op_sel:[0,1]
	buffer_load_dword v5, off, s[0:3], 0 offset:596
	buffer_load_dword v149, off, s[0:3], 0 offset:588
	;; [unrolled: 1-line block ×6, first 2 shown]
	v_accvgpr_write_b32 a195, v35
	v_accvgpr_write_b32 a194, v34
	s_waitcnt vmcnt(0)
	v_pk_mov_b32 v[36:37], v[4:5], v[4:5] op_sel:[0,1]
	buffer_load_dword v5, off, s[0:3], 0 offset:636
	buffer_load_dword v4, off, s[0:3], 0 offset:632
	v_accvgpr_write_b32 a197, v37
	v_accvgpr_write_b32 a196, v36
	s_waitcnt vmcnt(0)
	v_pk_mov_b32 v[38:39], v[4:5], v[4:5] op_sel:[0,1]
	buffer_load_dword v5, off, s[0:3], 0 offset:628
	buffer_load_dword v153, off, s[0:3], 0 offset:620
	;; [unrolled: 1-line block ×20, first 2 shown]
	ds_read_b128 v[218:221], v1 offset:1328
	ds_read_b128 v[222:225], v1 offset:1344
	;; [unrolled: 1-line block ×12, first 2 shown]
	s_waitcnt lgkmcnt(4)
	v_mul_f64 v[8:9], v[246:247], v[98:99]
	v_fmac_f64_e32 v[8:9], v[248:249], v[100:101]
	s_waitcnt lgkmcnt(3)
	v_mul_f64 v[12:13], v[134:135], v[14:15]
	v_fmac_f64_e32 v[12:13], v[136:137], v[16:17]
	;; [unrolled: 3-line block ×3, first 2 shown]
	s_waitcnt lgkmcnt(1)
	v_mul_f64 v[20:21], v[126:127], v[140:141]
	ds_read_b128 v[118:121], v1 offset:1520
	v_fmac_f64_e32 v[20:21], v[128:129], v[144:145]
	s_waitcnt lgkmcnt(1)
	v_mul_f64 v[24:25], v[122:123], v[26:27]
	v_fmac_f64_e32 v[24:25], v[124:125], v[28:29]
	v_accvgpr_write_b32 a199, v39
	v_accvgpr_write_b32 a198, v38
	v_mul_f64 v[98:99], v[248:249], v[98:99]
	s_waitcnt vmcnt(14)
	v_pk_mov_b32 v[40:41], v[4:5], v[4:5] op_sel:[0,1]
	v_mul_f64 v[4:5], v[50:51], v[84:85]
	v_fmac_f64_e32 v[4:5], v[52:53], v[86:87]
	v_add_f64 v[2:3], v[2:3], v[4:5]
	v_mul_f64 v[4:5], v[218:219], v[96:97]
	v_fmac_f64_e32 v[4:5], v[220:221], v[250:251]
	v_add_f64 v[2:3], v[2:3], v[4:5]
	v_mul_f64 v[4:5], v[222:223], v[88:89]
	v_fmac_f64_e32 v[4:5], v[224:225], v[90:91]
	v_add_f64 v[2:3], v[2:3], v[4:5]
	v_mul_f64 v[4:5], v[226:227], v[252:253]
	v_fmac_f64_e32 v[4:5], v[228:229], v[254:255]
	v_add_f64 v[2:3], v[2:3], v[4:5]
	v_mul_f64 v[4:5], v[230:231], v[106:107]
	v_fmac_f64_e32 v[4:5], v[232:233], v[108:109]
	v_add_f64 v[2:3], v[2:3], v[4:5]
	v_mul_f64 v[4:5], v[234:235], v[74:75]
	v_fmac_f64_e32 v[4:5], v[236:237], v[214:215]
	v_add_f64 v[2:3], v[2:3], v[4:5]
	v_mul_f64 v[4:5], v[238:239], v[92:93]
	v_fmac_f64_e32 v[4:5], v[240:241], v[94:95]
	v_add_f64 v[2:3], v[2:3], v[4:5]
	v_mul_f64 v[4:5], v[242:243], v[102:103]
	v_fmac_f64_e32 v[4:5], v[244:245], v[104:105]
	v_add_f64 v[6:7], v[2:3], v[4:5]
	v_add_f64 v[10:11], v[6:7], v[8:9]
	v_add_f64 v[14:15], v[10:11], v[12:13]
	v_add_f64 v[18:19], v[14:15], v[16:17]
	v_add_f64 v[22:23], v[18:19], v[20:21]
	v_add_f64 v[26:27], v[22:23], v[24:25]
	ds_read_b128 v[22:25], v1 offset:1536
	s_waitcnt lgkmcnt(1)
	v_mul_f64 v[28:29], v[118:119], v[148:149]
	v_fmac_f64_e32 v[28:29], v[120:121], v[150:151]
	v_add_f64 v[30:31], v[26:27], v[28:29]
	ds_read_b128 v[26:29], v1 offset:1552
	s_waitcnt lgkmcnt(1)
	v_mul_f64 v[32:33], v[22:23], v[34:35]
	v_fmac_f64_e32 v[32:33], v[24:25], v[36:37]
	v_add_f64 v[34:35], v[30:31], v[32:33]
	;; [unrolled: 5-line block ×3, first 2 shown]
	ds_read_b128 v[34:37], v1 offset:1584
	s_waitcnt lgkmcnt(1)
	v_mul_f64 v[166:167], v[30:31], v[38:39]
	v_accvgpr_write_b32 a201, v41
	v_fmac_f64_e32 v[166:167], v[32:33], v[40:41]
	v_accvgpr_write_b32 a200, v40
	ds_read_b128 v[38:41], v1 offset:1600
	v_add_f64 v[164:165], v[164:165], v[166:167]
	s_waitcnt vmcnt(9) lgkmcnt(1)
	v_mul_f64 v[166:167], v[34:35], v[156:157]
	s_waitcnt vmcnt(7)
	v_fmac_f64_e32 v[166:167], v[36:37], v[160:161]
	v_add_f64 v[164:165], v[164:165], v[166:167]
	s_waitcnt lgkmcnt(0)
	v_mul_f64 v[166:167], v[38:39], v[138:139]
	s_waitcnt vmcnt(6)
	v_fmac_f64_e32 v[166:167], v[40:41], v[142:143]
	v_add_f64 v[2:3], v[164:165], v[166:167]
	buffer_load_dword v167, off, s[0:3], 0 offset:692
	buffer_load_dword v166, off, s[0:3], 0 offset:688
	;; [unrolled: 1-line block ×10, first 2 shown]
	v_mul_f64 v[4:5], v[112:113], v[48:49]
	v_fma_f64 v[18:19], v[110:111], v[42:43], -v[4:5]
	v_mul_f64 v[42:43], v[116:117], v[54:55]
	v_fma_f64 v[110:111], v[114:115], v[44:45], -v[42:43]
	ds_read_b128 v[42:45], v1 offset:1616
	v_fma_f64 v[112:113], v[174:175], v[82:83], -v[46:47]
	v_mul_f64 v[46:47], v[180:181], v[60:61]
	buffer_load_dword v175, off, s[0:3], 0 offset:748
	buffer_load_dword v174, off, s[0:3], 0 offset:744
	;; [unrolled: 1-line block ×4, first 2 shown]
	v_fma_f64 v[14:15], v[178:179], v[80:81], -v[46:47]
	buffer_load_dword v179, off, s[0:3], 0 offset:764
	buffer_load_dword v178, off, s[0:3], 0 offset:760
	;; [unrolled: 1-line block ×8, first 2 shown]
	v_mul_f64 v[8:9], v[188:189], v[58:59]
	v_fma_f64 v[10:11], v[186:187], v[56:57], -v[8:9]
	buffer_load_dword v186, off, s[0:3], 0 offset:792
	v_mul_f64 v[46:47], v[192:193], v[66:67]
	v_fma_f64 v[8:9], v[190:191], v[78:79], -v[46:47]
	buffer_load_dword v190, off, s[0:3], 0 offset:784
	buffer_load_dword v187, off, s[0:3], 0 offset:796
	;; [unrolled: 1-line block ×3, first 2 shown]
	v_mul_f64 v[12:13], v[196:197], v[62:63]
	v_fma_f64 v[12:13], v[194:195], v[64:65], -v[12:13]
	buffer_load_dword v188, off, s[0:3], 0 offset:824
	buffer_load_dword v195, off, s[0:3], 0 offset:812
	;; [unrolled: 1-line block ×8, first 2 shown]
	v_mul_f64 v[48:49], v[200:201], v[206:207]
	v_fma_f64 v[6:7], v[198:199], v[76:77], -v[48:49]
	buffer_load_dword v199, off, s[0:3], 0 offset:844
	buffer_load_dword v198, off, s[0:3], 0 offset:840
	;; [unrolled: 1-line block ×4, first 2 shown]
	v_mul_f64 v[16:17], v[204:205], v[68:69]
	buffer_load_dword v205, off, s[0:3], 0 offset:860
	buffer_load_dword v204, off, s[0:3], 0 offset:856
	buffer_load_dword v207, off, s[0:3], 0 offset:852
	buffer_load_dword v206, off, s[0:3], 0 offset:848
	v_mul_f64 v[48:49], v[210:211], v[72:73]
	v_fma_f64 v[16:17], v[202:203], v[70:71], -v[16:17]
	v_fma_f64 v[4:5], v[208:209], v[212:213], -v[48:49]
	buffer_load_dword v202, off, s[0:3], 0 offset:888
	buffer_load_dword v211, off, s[0:3], 0 offset:876
	buffer_load_dword v210, off, s[0:3], 0 offset:872
	buffer_load_dword v77, off, s[0:3], 0 offset:868
	buffer_load_dword v76, off, s[0:3], 0 offset:864
	buffer_load_dword v208, off, s[0:3], 0 offset:880
	buffer_load_dword v203, off, s[0:3], 0 offset:892
	buffer_load_dword v209, off, s[0:3], 0 offset:884
	buffer_load_dword v213, off, s[0:3], 0 offset:908
	buffer_load_dword v212, off, s[0:3], 0 offset:904
	buffer_load_dword v217, off, s[0:3], 0 offset:900
	buffer_load_dword v216, off, s[0:3], 0 offset:896
	s_waitcnt vmcnt(56) lgkmcnt(0)
	v_mul_f64 v[46:47], v[42:43], v[158:159]
	s_waitcnt vmcnt(54)
	v_fmac_f64_e32 v[46:47], v[44:45], v[162:163]
	v_add_f64 v[2:3], v[2:3], v[46:47]
	ds_read_b128 v[46:49], v1 offset:1632
	v_mul_f64 v[20:21], v[52:53], v[84:85]
	v_fma_f64 v[20:21], v[50:51], v[86:87], -v[20:21]
	ds_read_b128 v[50:53], v1 offset:1648
	v_mul_f64 v[54:55], v[220:221], v[96:97]
	v_fma_f64 v[250:251], v[218:219], v[250:251], -v[54:55]
	ds_read_b128 v[54:57], v1 offset:1664
	s_waitcnt lgkmcnt(2)
	v_mul_f64 v[58:59], v[46:47], v[146:147]
	v_mul_f64 v[62:63], v[224:225], v[88:89]
	v_fma_f64 v[218:219], v[222:223], v[90:91], -v[62:63]
	ds_read_b128 v[62:65], v1 offset:1696
	v_mul_f64 v[66:67], v[228:229], v[252:253]
	v_fma_f64 v[254:255], v[226:227], v[254:255], -v[66:67]
	v_mul_f64 v[78:79], v[232:233], v[106:107]
	v_fma_f64 v[252:253], v[230:231], v[108:109], -v[78:79]
	ds_read_b128 v[78:81], v1 offset:1760
	v_mul_f64 v[74:75], v[236:237], v[74:75]
	v_fma_f64 v[236:237], v[234:235], v[214:215], -v[74:75]
	ds_read_b128 v[86:89], v1 offset:1792
	v_mul_f64 v[90:91], v[244:245], v[102:103]
	v_fma_f64 v[214:215], v[246:247], v[100:101], -v[98:99]
	v_add_f64 v[18:19], v[18:19], 0
	v_add_f64 v[18:19], v[18:19], v[110:111]
	;; [unrolled: 1-line block ×3, first 2 shown]
	ds_read_b128 v[66:69], v1 offset:1712
	v_add_f64 v[14:15], v[18:19], v[14:15]
	v_add_f64 v[10:11], v[14:15], v[10:11]
	;; [unrolled: 1-line block ×10, first 2 shown]
	ds_read_b128 v[228:231], v1 offset:1744
	v_add_f64 v[4:5], v[4:5], v[254:255]
	v_add_f64 v[4:5], v[4:5], v[252:253]
	;; [unrolled: 1-line block ×3, first 2 shown]
	ds_read_b128 v[98:101], v1 offset:1840
	s_waitcnt vmcnt(52)
	v_fmac_f64_e32 v[58:59], v[48:49], v[166:167]
	v_add_f64 v[2:3], v[2:3], v[58:59]
	s_waitcnt vmcnt(49) lgkmcnt(7)
	v_mul_f64 v[58:59], v[50:51], v[170:171]
	s_waitcnt vmcnt(47)
	v_fmac_f64_e32 v[58:59], v[52:53], v[172:173]
	v_add_f64 v[2:3], v[2:3], v[58:59]
	s_waitcnt vmcnt(45) lgkmcnt(6)
	v_mul_f64 v[58:59], v[54:55], v[164:165]
	s_waitcnt vmcnt(44)
	v_fmac_f64_e32 v[58:59], v[56:57], v[168:169]
	v_add_f64 v[2:3], v[2:3], v[58:59]
	ds_read_b128 v[58:61], v1 offset:1680
	s_waitcnt vmcnt(42) lgkmcnt(0)
	v_mul_f64 v[70:71], v[58:59], v[174:175]
	s_waitcnt vmcnt(40)
	v_fmac_f64_e32 v[70:71], v[60:61], v[176:177]
	v_add_f64 v[2:3], v[2:3], v[70:71]
	s_waitcnt vmcnt(38)
	v_mul_f64 v[70:71], v[62:63], v[178:179]
	s_waitcnt vmcnt(36)
	v_fmac_f64_e32 v[70:71], v[64:65], v[182:183]
	v_add_f64 v[2:3], v[2:3], v[70:71]
	s_waitcnt vmcnt(34)
	v_mul_f64 v[70:71], v[66:67], v[180:181]
	s_waitcnt vmcnt(32)
	v_fmac_f64_e32 v[70:71], v[68:69], v[184:185]
	v_add_f64 v[2:3], v[2:3], v[70:71]
	ds_read_b128 v[70:73], v1 offset:1728
	s_waitcnt vmcnt(25)
	v_mul_f64 v[74:75], v[228:229], v[194:195]
	s_waitcnt vmcnt(23)
	v_fmac_f64_e32 v[74:75], v[230:231], v[196:197]
	s_waitcnt lgkmcnt(0)
	v_mul_f64 v[82:83], v[70:71], v[186:187]
	v_fmac_f64_e32 v[82:83], v[72:73], v[190:191]
	v_add_f64 v[2:3], v[2:3], v[82:83]
	ds_read_b128 v[82:85], v1 offset:1776
	v_add_f64 v[2:3], v[2:3], v[74:75]
	s_waitcnt vmcnt(21)
	v_mul_f64 v[74:75], v[78:79], v[188:189]
	s_waitcnt vmcnt(20)
	v_fmac_f64_e32 v[74:75], v[80:81], v[192:193]
	v_add_f64 v[74:75], v[2:3], v[74:75]
	v_mul_f64 v[2:3], v[240:241], v[92:93]
	v_fma_f64 v[2:3], v[238:239], v[94:95], -v[2:3]
	s_waitcnt vmcnt(18) lgkmcnt(0)
	v_mul_f64 v[94:95], v[82:83], v[198:199]
	s_waitcnt vmcnt(16)
	v_fmac_f64_e32 v[94:95], v[84:85], v[200:201]
	v_fma_f64 v[240:241], v[242:243], v[104:105], -v[90:91]
	ds_read_b128 v[90:93], v1 offset:1808
	v_add_f64 v[74:75], v[74:75], v[94:95]
	s_waitcnt vmcnt(14)
	v_mul_f64 v[94:95], v[86:87], v[204:205]
	s_waitcnt vmcnt(12)
	v_fmac_f64_e32 v[94:95], v[88:89], v[206:207]
	v_add_f64 v[74:75], v[74:75], v[94:95]
	ds_read_b128 v[94:97], v1 offset:1824
	s_waitcnt vmcnt(9) lgkmcnt(1)
	v_mul_f64 v[102:103], v[90:91], v[210:211]
	s_waitcnt vmcnt(7)
	v_fmac_f64_e32 v[102:103], v[92:93], v[76:77]
	v_add_f64 v[74:75], v[74:75], v[102:103]
	v_add_f64 v[254:255], v[4:5], v[2:3]
	s_waitcnt vmcnt(5) lgkmcnt(0)
	v_mul_f64 v[102:103], v[94:95], v[202:203]
	s_waitcnt vmcnt(4)
	v_fmac_f64_e32 v[102:103], v[96:97], v[208:209]
	v_add_f64 v[74:75], v[74:75], v[102:103]
	s_waitcnt vmcnt(2)
	v_mul_f64 v[102:103], v[98:99], v[212:213]
	s_waitcnt vmcnt(0)
	v_fmac_f64_e32 v[102:103], v[100:101], v[216:217]
	v_add_f64 v[106:107], v[74:75], v[102:103]
	buffer_load_dword v74, off, s[0:3], 0 offset:920
	buffer_load_dword v75, off, s[0:3], 0 offset:924
	;; [unrolled: 1-line block ×4, first 2 shown]
	ds_read_b128 v[102:105], v1 offset:1856
	buffer_load_dword v223, off, s[0:3], 0 offset:940
	buffer_load_dword v222, off, s[0:3], 0 offset:936
	;; [unrolled: 1-line block ×4, first 2 shown]
	v_add_f64 v[2:3], v[254:255], v[240:241]
	v_add_f64 v[2:3], v[2:3], v[214:215]
	s_waitcnt vmcnt(6) lgkmcnt(0)
	v_mul_f64 v[108:109], v[102:103], v[74:75]
	s_waitcnt vmcnt(4)
	v_fmac_f64_e32 v[108:109], v[104:105], v[220:221]
	v_add_f64 v[114:115], v[106:107], v[108:109]
	ds_read_b128 v[106:109], v1 offset:1872
	buffer_load_dword v226, off, s[0:3], 0 offset:952
	buffer_load_dword v227, off, s[0:3], 0 offset:956
	;; [unrolled: 1-line block ×4, first 2 shown]
	ds_read_b128 v[232:235], v1 offset:1888
	buffer_load_dword v243, off, s[0:3], 0 offset:972
	buffer_load_dword v242, off, s[0:3], 0 offset:968
	;; [unrolled: 1-line block ×4, first 2 shown]
	s_waitcnt vmcnt(10) lgkmcnt(1)
	v_mul_f64 v[116:117], v[106:107], v[222:223]
	s_waitcnt vmcnt(8)
	v_fmac_f64_e32 v[116:117], v[108:109], v[224:225]
	v_add_f64 v[114:115], v[114:115], v[116:117]
	s_waitcnt vmcnt(6) lgkmcnt(0)
	v_mul_f64 v[116:117], v[232:233], v[226:227]
	s_waitcnt vmcnt(4)
	v_fmac_f64_e32 v[116:117], v[234:235], v[238:239]
	v_add_f64 v[246:247], v[114:115], v[116:117]
	ds_read_b128 v[114:117], v1 offset:1904
	s_waitcnt vmcnt(2) lgkmcnt(0)
	v_mul_f64 v[248:249], v[114:115], v[242:243]
	s_waitcnt vmcnt(0)
	v_fmac_f64_e32 v[248:249], v[116:117], v[244:245]
	v_add_f64 v[0:1], v[246:247], v[248:249]
	buffer_load_dword v248, off, s[0:3], 0 offset:192
	buffer_load_dword v249, off, s[0:3], 0 offset:196
	;; [unrolled: 1-line block ×4, first 2 shown]
	v_accvgpr_write_b32 a203, v1
	v_accvgpr_write_b32 a202, v0
	v_accvgpr_read_b32 v0, a182
	v_accvgpr_read_b32 v1, a183
	v_mul_f64 v[4:5], v[136:137], v[0:1]
	v_accvgpr_read_b32 v0, a184
	v_accvgpr_read_b32 v1, a185
	v_fma_f64 v[4:5], v[134:135], v[0:1], -v[4:5]
	v_accvgpr_read_b32 v0, a186
	v_accvgpr_read_b32 v1, a187
	v_add_f64 v[2:3], v[2:3], v[4:5]
	v_mul_f64 v[4:5], v[132:133], v[0:1]
	v_accvgpr_read_b32 v0, a188
	v_accvgpr_read_b32 v1, a189
	v_fma_f64 v[4:5], v[130:131], v[0:1], -v[4:5]
	v_add_f64 v[2:3], v[2:3], v[4:5]
	v_mul_f64 v[4:5], v[128:129], v[140:141]
	v_accvgpr_read_b32 v0, a190
	v_fma_f64 v[4:5], v[126:127], v[144:145], -v[4:5]
	v_accvgpr_read_b32 v1, a191
	v_add_f64 v[2:3], v[2:3], v[4:5]
	v_mul_f64 v[4:5], v[124:125], v[0:1]
	v_accvgpr_read_b32 v0, a192
	v_accvgpr_read_b32 v1, a193
	v_fma_f64 v[4:5], v[122:123], v[0:1], -v[4:5]
	v_add_f64 v[2:3], v[2:3], v[4:5]
	v_mul_f64 v[4:5], v[120:121], v[148:149]
	v_accvgpr_read_b32 v0, a194
	v_fma_f64 v[4:5], v[118:119], v[150:151], -v[4:5]
	;; [unrolled: 10-line block ×3, first 2 shown]
	v_accvgpr_read_b32 v1, a199
	v_add_f64 v[2:3], v[2:3], v[4:5]
	v_mul_f64 v[4:5], v[32:33], v[0:1]
	v_accvgpr_read_b32 v0, a200
	v_accvgpr_read_b32 v1, a201
	v_fma_f64 v[4:5], v[30:31], v[0:1], -v[4:5]
	v_add_f64 v[2:3], v[2:3], v[4:5]
	v_mul_f64 v[4:5], v[36:37], v[156:157]
	v_fma_f64 v[4:5], v[34:35], v[160:161], -v[4:5]
	v_add_f64 v[2:3], v[2:3], v[4:5]
	v_mul_f64 v[4:5], v[40:41], v[138:139]
	;; [unrolled: 3-line block ×21, first 2 shown]
	v_accvgpr_read_b32 v0, a202
	v_fma_f64 v[4:5], v[114:115], v[244:245], -v[4:5]
	v_accvgpr_read_b32 v1, a203
	v_add_f64 v[2:3], v[2:3], v[4:5]
	s_waitcnt vmcnt(0)
	v_add_f64 v[4:5], v[246:247], -v[0:1]
	v_accvgpr_read_b32 v0, a179
	v_add_f64 v[2:3], v[248:249], -v[2:3]
	v_cmp_lt_u32_e32 vcc, 10, v0
	buffer_store_dword v3, off, s[0:3], 0 offset:196
	buffer_store_dword v2, off, s[0:3], 0 offset:192
	;; [unrolled: 1-line block ×4, first 2 shown]
	s_and_saveexec_b64 s[4:5], vcc
	s_cbranch_execz .LBB59_353
; %bb.352:
	v_accvgpr_read_b32 v0, a169
	buffer_load_dword v2, v0, s[0:3], 0 offen
	buffer_load_dword v3, v0, s[0:3], 0 offen offset:4
	buffer_load_dword v4, v0, s[0:3], 0 offen offset:8
	;; [unrolled: 1-line block ×3, first 2 shown]
	v_mov_b32_e32 v0, 0
	v_accvgpr_read_b32 v1, a180
	buffer_store_dword v0, off, s[0:3], 0 offset:176
	buffer_store_dword v0, off, s[0:3], 0 offset:180
	;; [unrolled: 1-line block ×4, first 2 shown]
	s_waitcnt vmcnt(4)
	ds_write_b128 v1, v[2:5]
.LBB59_353:
	s_or_b64 exec, exec, s[4:5]
	s_waitcnt lgkmcnt(0)
	; wave barrier
	s_waitcnt lgkmcnt(0)
	buffer_load_dword v38, off, s[0:3], 0 offset:192
	buffer_load_dword v39, off, s[0:3], 0 offset:196
	;; [unrolled: 1-line block ×42, first 2 shown]
	v_mov_b32_e32 v1, 0
	buffer_load_dword v99, off, s[0:3], 0 offset:340
	buffer_load_dword v98, off, s[0:3], 0 offset:336
	;; [unrolled: 1-line block ×7, first 2 shown]
	ds_read_b128 v[108:111], v1 offset:1136
	ds_read_b128 v[112:115], v1 offset:1152
	;; [unrolled: 1-line block ×11, first 2 shown]
	v_accvgpr_read_b32 v0, a179
	v_cmp_lt_u32_e32 vcc, 9, v0
	s_waitcnt vmcnt(45) lgkmcnt(10)
	v_mul_f64 v[2:3], v[108:109], v[40:41]
	v_fmac_f64_e32 v[2:3], v[110:111], v[38:39]
	v_add_f64 v[2:3], v[2:3], 0
	v_mul_f64 v[40:41], v[110:111], v[40:41]
	s_waitcnt vmcnt(41) lgkmcnt(9)
	v_mul_f64 v[4:5], v[112:113], v[46:47]
	v_fmac_f64_e32 v[4:5], v[114:115], v[44:45]
	v_add_f64 v[2:3], v[2:3], v[4:5]
	buffer_load_dword v84, off, s[0:3], 0 offset:376
	buffer_load_dword v117, off, s[0:3], 0 offset:372
	;; [unrolled: 1-line block ×29, first 2 shown]
	s_waitcnt vmcnt(62) lgkmcnt(8)
	v_mul_f64 v[6:7], v[170:171], v[42:43]
	s_waitcnt lgkmcnt(6)
	v_mul_f64 v[10:11], v[180:181], v[48:49]
	v_fmac_f64_e32 v[10:11], v[182:183], v[50:51]
	v_mul_f64 v[42:43], v[172:173], v[42:43]
	v_mul_f64 v[8:9], v[174:175], v[52:53]
	;; [unrolled: 1-line block ×3, first 2 shown]
	s_waitcnt vmcnt(60) lgkmcnt(4)
	v_mul_f64 v[14:15], v[190:191], v[56:57]
	s_waitcnt vmcnt(58)
	v_fmac_f64_e32 v[14:15], v[192:193], v[54:55]
	s_waitcnt vmcnt(56)
	v_mul_f64 v[12:13], v[184:185], v[58:59]
	s_waitcnt vmcnt(54) lgkmcnt(2)
	v_mul_f64 v[18:19], v[198:199], v[64:65]
	s_waitcnt vmcnt(51)
	v_mul_f64 v[16:17], v[194:195], v[66:67]
	s_waitcnt vmcnt(49) lgkmcnt(1)
	v_mul_f64 v[20:21], v[202:203], v[60:61]
	s_waitcnt vmcnt(47)
	v_fmac_f64_e32 v[6:7], v[172:173], v[74:75]
	v_add_f64 v[2:3], v[2:3], v[6:7]
	s_waitcnt vmcnt(45)
	v_fmac_f64_e32 v[8:9], v[176:177], v[72:73]
	v_add_f64 v[2:3], v[2:3], v[8:9]
	;; [unrolled: 3-line block ×3, first 2 shown]
	v_add_f64 v[2:3], v[2:3], v[12:13]
	v_add_f64 v[2:3], v[2:3], v[14:15]
	s_waitcnt vmcnt(41)
	v_fmac_f64_e32 v[16:17], v[196:197], v[68:69]
	v_add_f64 v[2:3], v[2:3], v[16:17]
	s_waitcnt vmcnt(40)
	v_fmac_f64_e32 v[18:19], v[200:201], v[62:63]
	;; [unrolled: 3-line block ×3, first 2 shown]
	v_add_f64 v[2:3], v[2:3], v[20:21]
	v_fma_f64 v[74:75], v[170:171], v[74:75], -v[42:43]
	v_mul_f64 v[42:43], v[176:177], v[52:53]
	v_fma_f64 v[210:211], v[174:175], v[72:73], -v[42:43]
	s_waitcnt vmcnt(0)
	v_pk_mov_b32 v[14:15], v[4:5], v[4:5] op_sel:[0,1]
	buffer_load_dword v5, off, s[0:3], 0 offset:516
	buffer_load_dword v4, off, s[0:3], 0 offset:512
	v_accvgpr_write_b32 a183, v15
	v_accvgpr_write_b32 a182, v14
	s_waitcnt vmcnt(0)
	v_pk_mov_b32 v[16:17], v[4:5], v[4:5] op_sel:[0,1]
	buffer_load_dword v95, off, s[0:3], 0 offset:508
	buffer_load_dword v94, off, s[0:3], 0 offset:504
	;; [unrolled: 1-line block ×6, first 2 shown]
	v_accvgpr_write_b32 a185, v17
	v_accvgpr_write_b32 a184, v16
	s_waitcnt vmcnt(0)
	v_pk_mov_b32 v[22:23], v[4:5], v[4:5] op_sel:[0,1]
	buffer_load_dword v5, off, s[0:3], 0 offset:548
	buffer_load_dword v4, off, s[0:3], 0 offset:544
	v_accvgpr_write_b32 a189, v23
	v_accvgpr_write_b32 a188, v22
	s_waitcnt vmcnt(0)
	v_pk_mov_b32 v[24:25], v[4:5], v[4:5] op_sel:[0,1]
	buffer_load_dword v5, off, s[0:3], 0 offset:540
	buffer_load_dword v4, off, s[0:3], 0 offset:536
	;; [unrolled: 6-line block ×3, first 2 shown]
	buffer_load_dword v5, off, s[0:3], 0 offset:588
	buffer_load_dword v4, off, s[0:3], 0 offset:584
	v_accvgpr_write_b32 a187, v19
	v_accvgpr_write_b32 a186, v18
	s_waitcnt vmcnt(0)
	v_pk_mov_b32 v[30:31], v[4:5], v[4:5] op_sel:[0,1]
	buffer_load_dword v5, off, s[0:3], 0 offset:580
	buffer_load_dword v4, off, s[0:3], 0 offset:576
	v_accvgpr_write_b32 a193, v31
	v_accvgpr_write_b32 a192, v30
	s_waitcnt vmcnt(0)
	v_pk_mov_b32 v[32:33], v[4:5], v[4:5] op_sel:[0,1]
	buffer_load_dword v147, off, s[0:3], 0 offset:572
	buffer_load_dword v146, off, s[0:3], 0 offset:568
	buffer_load_dword v149, off, s[0:3], 0 offset:564
	buffer_load_dword v148, off, s[0:3], 0 offset:560
	buffer_load_dword v5, off, s[0:3], 0 offset:620
	buffer_load_dword v4, off, s[0:3], 0 offset:616
	v_accvgpr_write_b32 a195, v33
	v_accvgpr_write_b32 a194, v32
	s_waitcnt vmcnt(0)
	v_pk_mov_b32 v[162:163], v[4:5], v[4:5] op_sel:[0,1]
	buffer_load_dword v5, off, s[0:3], 0 offset:612
	buffer_load_dword v4, off, s[0:3], 0 offset:608
	v_accvgpr_write_b32 a197, v163
	v_accvgpr_write_b32 a196, v162
	s_waitcnt vmcnt(0)
	v_pk_mov_b32 v[164:165], v[4:5], v[4:5] op_sel:[0,1]
	buffer_load_dword v151, off, s[0:3], 0 offset:604
	buffer_load_dword v150, off, s[0:3], 0 offset:600
	buffer_load_dword v153, off, s[0:3], 0 offset:596
	buffer_load_dword v152, off, s[0:3], 0 offset:592
	;; [unrolled: 16-line block ×3, first 2 shown]
	buffer_load_dword v5, off, s[0:3], 0 offset:684
	buffer_load_dword v4, off, s[0:3], 0 offset:680
	buffer_load_dword v145, off, s[0:3], 0 offset:676
	buffer_load_dword v144, off, s[0:3], 0 offset:672
	buffer_load_dword v159, off, s[0:3], 0 offset:668
	buffer_load_dword v158, off, s[0:3], 0 offset:664
	buffer_load_dword v161, off, s[0:3], 0 offset:660
	buffer_load_dword v160, off, s[0:3], 0 offset:656
	ds_read_b128 v[214:217], v1 offset:1312
	ds_read_b128 v[218:221], v1 offset:1328
	;; [unrolled: 1-line block ×14, first 2 shown]
	s_waitcnt lgkmcnt(5)
	v_mul_f64 v[8:9], v[246:247], v[94:95]
	v_fmac_f64_e32 v[8:9], v[248:249], v[96:97]
	s_waitcnt lgkmcnt(4)
	v_mul_f64 v[12:13], v[138:139], v[14:15]
	v_fmac_f64_e32 v[12:13], v[140:141], v[16:17]
	;; [unrolled: 3-line block ×5, first 2 shown]
	ds_read_b128 v[118:121], v1 offset:1536
	s_waitcnt lgkmcnt(1)
	v_mul_f64 v[28:29], v[122:123], v[30:31]
	v_fmac_f64_e32 v[28:29], v[124:125], v[32:33]
	v_accvgpr_write_b32 a203, v169
	v_accvgpr_write_b32 a202, v168
	v_mul_f64 v[72:73], v[232:233], v[254:255]
	s_waitcnt vmcnt(6)
	v_pk_mov_b32 v[212:213], v[4:5], v[4:5] op_sel:[0,1]
	v_mul_f64 v[4:5], v[206:207], v[76:77]
	v_fmac_f64_e32 v[4:5], v[208:209], v[82:83]
	v_add_f64 v[2:3], v[2:3], v[4:5]
	v_mul_f64 v[4:5], v[214:215], v[84:85]
	v_fmac_f64_e32 v[4:5], v[216:217], v[116:117]
	v_add_f64 v[2:3], v[2:3], v[4:5]
	;; [unrolled: 3-line block ×9, first 2 shown]
	v_add_f64 v[10:11], v[6:7], v[8:9]
	v_add_f64 v[14:15], v[10:11], v[12:13]
	;; [unrolled: 1-line block ×6, first 2 shown]
	ds_read_b128 v[26:29], v1 offset:1552
	s_waitcnt lgkmcnt(1)
	v_mul_f64 v[32:33], v[118:119], v[150:151]
	v_fmac_f64_e32 v[32:33], v[120:121], v[152:153]
	v_add_f64 v[34:35], v[30:31], v[32:33]
	ds_read_b128 v[30:33], v1 offset:1568
	s_waitcnt lgkmcnt(1)
	v_mul_f64 v[36:37], v[26:27], v[162:163]
	v_fmac_f64_e32 v[36:37], v[28:29], v[164:165]
	v_add_f64 v[162:163], v[34:35], v[36:37]
	ds_read_b128 v[34:37], v1 offset:1584
	s_waitcnt lgkmcnt(1)
	v_mul_f64 v[4:5], v[30:31], v[154:155]
	v_fmac_f64_e32 v[4:5], v[32:33], v[156:157]
	v_fma_f64 v[18:19], v[108:109], v[38:39], -v[40:41]
	ds_read_b128 v[38:41], v1 offset:1600
	v_add_f64 v[4:5], v[162:163], v[4:5]
	s_waitcnt lgkmcnt(1)
	v_mul_f64 v[108:109], v[34:35], v[166:167]
	buffer_load_dword v163, off, s[0:3], 0 offset:700
	buffer_load_dword v162, off, s[0:3], 0 offset:696
	;; [unrolled: 1-line block ×4, first 2 shown]
	v_fmac_f64_e32 v[108:109], v[36:37], v[168:169]
	buffer_load_dword v22, off, s[0:3], 0 offset:712
	buffer_load_dword v168, off, s[0:3], 0 offset:704
	;; [unrolled: 1-line block ×12, first 2 shown]
	v_fma_f64 v[166:167], v[112:113], v[44:45], -v[46:47]
	v_mul_f64 v[46:47], v[182:183], v[48:49]
	ds_read_b128 v[42:45], v1 offset:1616
	v_fma_f64 v[110:111], v[180:181], v[50:51], -v[46:47]
	buffer_load_dword v174, off, s[0:3], 0 offset:776
	buffer_load_dword v181, off, s[0:3], 0 offset:764
	;; [unrolled: 1-line block ×5, first 2 shown]
	v_mul_f64 v[46:47], v[186:187], v[58:59]
	v_fma_f64 v[112:113], v[184:185], v[188:189], -v[46:47]
	buffer_load_dword v184, off, s[0:3], 0 offset:768
	buffer_load_dword v175, off, s[0:3], 0 offset:780
	;; [unrolled: 1-line block ×7, first 2 shown]
	v_mul_f64 v[8:9], v[196:197], v[66:67]
	v_mul_f64 v[46:47], v[192:193], v[56:57]
	v_fma_f64 v[10:11], v[194:195], v[68:69], -v[8:9]
	buffer_load_dword v192, off, s[0:3], 0 offset:808
	buffer_load_dword v194, off, s[0:3], 0 offset:800
	;; [unrolled: 1-line block ×4, first 2 shown]
	v_fma_f64 v[14:15], v[190:191], v[54:55], -v[46:47]
	v_mul_f64 v[46:47], v[200:201], v[64:65]
	v_fma_f64 v[8:9], v[198:199], v[62:63], -v[46:47]
	buffer_load_dword v191, off, s[0:3], 0 offset:844
	buffer_load_dword v197, off, s[0:3], 0 offset:828
	;; [unrolled: 1-line block ×8, first 2 shown]
	v_mul_f64 v[50:51], v[204:205], v[60:61]
	ds_read_b128 v[46:49], v1 offset:1632
	v_fma_f64 v[6:7], v[202:203], v[98:99], -v[50:51]
	buffer_load_dword v203, off, s[0:3], 0 offset:860
	buffer_load_dword v202, off, s[0:3], 0 offset:856
	;; [unrolled: 1-line block ×4, first 2 shown]
	v_accvgpr_write_b32 a204, v212
	v_mul_f64 v[16:17], v[208:209], v[76:77]
	s_waitcnt lgkmcnt(1)
	v_mul_f64 v[12:13], v[42:43], v[212:213]
	v_accvgpr_write_b32 a205, v213
	v_fma_f64 v[16:17], v[206:207], v[82:83], -v[16:17]
	buffer_load_dword v206, off, s[0:3], 0 offset:872
	buffer_load_dword v208, off, s[0:3], 0 offset:864
	;; [unrolled: 1-line block ×8, first 2 shown]
	v_add_f64 v[4:5], v[4:5], v[108:109]
	s_waitcnt vmcnt(54)
	v_mul_f64 v[108:109], v[38:39], v[158:159]
	s_waitcnt vmcnt(52)
	v_fmac_f64_e32 v[108:109], v[40:41], v[160:161]
	v_mul_f64 v[50:51], v[216:217], v[84:85]
	v_add_f64 v[108:109], v[4:5], v[108:109]
	v_fma_f64 v[4:5], v[214:215], v[116:117], -v[50:51]
	buffer_load_dword v214, off, s[0:3], 0 offset:904
	buffer_load_dword v216, off, s[0:3], 0 offset:896
	;; [unrolled: 1-line block ×4, first 2 shown]
	ds_read_b128 v[50:53], v1 offset:1648
	ds_read_b128 v[54:57], v1 offset:1664
	v_mul_f64 v[58:59], v[224:225], v[250:251]
	v_fmac_f64_e32 v[12:13], v[44:45], v[144:145]
	v_fma_f64 v[252:253], v[222:223], v[252:253], -v[58:59]
	ds_read_b128 v[58:61], v1 offset:1680
	v_add_f64 v[12:13], v[108:109], v[12:13]
	v_mul_f64 v[66:67], v[228:229], v[104:105]
	v_fma_f64 v[250:251], v[226:227], v[106:107], -v[66:67]
	ds_read_b128 v[66:69], v1 offset:1712
	v_fma_f64 v[254:255], v[230:231], v[70:71], -v[72:73]
	ds_read_b128 v[228:231], v1 offset:1744
	v_mul_f64 v[82:83], v[240:241], v[100:101]
	v_fma_f64 v[2:3], v[238:239], v[102:103], -v[82:83]
	ds_read_b128 v[82:85], v1 offset:1776
	v_add_f64 v[18:19], v[18:19], 0
	v_add_f64 v[18:19], v[18:19], v[166:167]
	;; [unrolled: 1-line block ×6, first 2 shown]
	ds_read_b128 v[70:73], v1 offset:1728
	v_add_f64 v[14:15], v[18:19], v[14:15]
	v_add_f64 v[10:11], v[14:15], v[10:11]
	;; [unrolled: 1-line block ×6, first 2 shown]
	v_accvgpr_read_b32 v6, a184
	v_accvgpr_read_b32 v7, a185
	s_waitcnt vmcnt(54) lgkmcnt(7)
	v_mul_f64 v[20:21], v[46:47], v[162:163]
	s_waitcnt vmcnt(52)
	v_fmac_f64_e32 v[20:21], v[48:49], v[164:165]
	s_waitcnt vmcnt(49) lgkmcnt(6)
	v_mul_f64 v[62:63], v[50:51], v[22:23]
	v_add_f64 v[12:13], v[12:13], v[20:21]
	s_waitcnt vmcnt(48)
	v_fmac_f64_e32 v[62:63], v[52:53], v[168:169]
	v_add_f64 v[12:13], v[12:13], v[62:63]
	s_waitcnt vmcnt(45) lgkmcnt(5)
	v_mul_f64 v[62:63], v[54:55], v[172:173]
	s_waitcnt vmcnt(43)
	v_fmac_f64_e32 v[62:63], v[56:57], v[178:179]
	v_add_f64 v[12:13], v[12:13], v[62:63]
	s_waitcnt vmcnt(42) lgkmcnt(4)
	v_mul_f64 v[62:63], v[58:59], v[170:171]
	s_waitcnt vmcnt(40)
	v_fmac_f64_e32 v[62:63], v[60:61], v[176:177]
	v_add_f64 v[12:13], v[12:13], v[62:63]
	ds_read_b128 v[62:65], v1 offset:1696
	v_mul_f64 v[20:21], v[220:221], v[78:79]
	v_fma_f64 v[20:21], v[218:219], v[80:81], -v[20:21]
	v_add_f64 v[4:5], v[4:5], v[20:21]
	v_add_f64 v[4:5], v[4:5], v[252:253]
	s_waitcnt vmcnt(37) lgkmcnt(0)
	v_mul_f64 v[78:79], v[62:63], v[180:181]
	s_waitcnt vmcnt(35)
	v_fmac_f64_e32 v[78:79], v[64:65], v[182:183]
	v_add_f64 v[12:13], v[12:13], v[78:79]
	s_waitcnt vmcnt(33)
	v_mul_f64 v[78:79], v[66:67], v[174:175]
	s_waitcnt vmcnt(32)
	v_fmac_f64_e32 v[78:79], v[68:69], v[184:185]
	v_add_f64 v[12:13], v[12:13], v[78:79]
	s_waitcnt vmcnt(30)
	v_mul_f64 v[78:79], v[70:71], v[186:187]
	s_waitcnt vmcnt(28)
	v_fmac_f64_e32 v[78:79], v[72:73], v[188:189]
	v_add_f64 v[12:13], v[12:13], v[78:79]
	v_mul_f64 v[78:79], v[236:237], v[86:87]
	v_fma_f64 v[236:237], v[234:235], v[88:89], -v[78:79]
	ds_read_b128 v[78:81], v1 offset:1760
	s_waitcnt vmcnt(25)
	v_mul_f64 v[86:87], v[228:229], v[192:193]
	s_waitcnt vmcnt(24)
	v_fmac_f64_e32 v[86:87], v[230:231], v[194:195]
	v_add_f64 v[12:13], v[12:13], v[86:87]
	ds_read_b128 v[86:89], v1 offset:1792
	s_waitcnt vmcnt(21) lgkmcnt(1)
	v_mul_f64 v[24:25], v[78:79], v[196:197]
	s_waitcnt vmcnt(19)
	v_fmac_f64_e32 v[24:25], v[80:81], v[200:201]
	v_add_f64 v[12:13], v[12:13], v[24:25]
	s_waitcnt vmcnt(18)
	v_mul_f64 v[24:25], v[82:83], v[190:191]
	s_waitcnt vmcnt(16)
	v_fmac_f64_e32 v[24:25], v[84:85], v[198:199]
	v_add_f64 v[24:25], v[12:13], v[24:25]
	v_mul_f64 v[12:13], v[244:245], v[90:91]
	v_fma_f64 v[240:241], v[242:243], v[92:93], -v[12:13]
	ds_read_b128 v[90:93], v1 offset:1808
	v_mul_f64 v[12:13], v[248:249], v[94:95]
	v_fma_f64 v[12:13], v[246:247], v[96:97], -v[12:13]
	ds_read_b128 v[94:97], v1 offset:1824
	s_waitcnt vmcnt(14) lgkmcnt(2)
	v_mul_f64 v[98:99], v[86:87], v[202:203]
	s_waitcnt vmcnt(12)
	v_fmac_f64_e32 v[98:99], v[88:89], v[204:205]
	v_add_f64 v[24:25], v[24:25], v[98:99]
	s_waitcnt vmcnt(9) lgkmcnt(1)
	v_mul_f64 v[98:99], v[90:91], v[206:207]
	s_waitcnt vmcnt(8)
	v_fmac_f64_e32 v[98:99], v[92:93], v[208:209]
	v_add_f64 v[24:25], v[24:25], v[98:99]
	;; [unrolled: 5-line block ×3, first 2 shown]
	ds_read_b128 v[98:101], v1 offset:1840
	buffer_load_dword v219, off, s[0:3], 0 offset:924
	buffer_load_dword v218, off, s[0:3], 0 offset:920
	;; [unrolled: 1-line block ×4, first 2 shown]
	v_add_f64 v[4:5], v[4:5], v[250:251]
	v_add_f64 v[4:5], v[4:5], v[254:255]
	;; [unrolled: 1-line block ×3, first 2 shown]
	s_waitcnt vmcnt(5) lgkmcnt(0)
	v_mul_f64 v[102:103], v[98:99], v[214:215]
	s_waitcnt vmcnt(4)
	v_fmac_f64_e32 v[102:103], v[100:101], v[216:217]
	v_add_f64 v[24:25], v[24:25], v[102:103]
	ds_read_b128 v[102:105], v1 offset:1856
	buffer_load_dword v222, off, s[0:3], 0 offset:936
	buffer_load_dword v223, off, s[0:3], 0 offset:940
	;; [unrolled: 1-line block ×4, first 2 shown]
	v_add_f64 v[2:3], v[4:5], v[2:3]
	v_accvgpr_read_b32 v4, a182
	v_accvgpr_read_b32 v5, a183
	v_add_f64 v[252:253], v[2:3], v[240:241]
	v_mul_f64 v[4:5], v[140:141], v[4:5]
	v_add_f64 v[2:3], v[252:253], v[12:13]
	v_fma_f64 v[4:5], v[138:139], v[6:7], -v[4:5]
	v_add_f64 v[2:3], v[2:3], v[4:5]
	v_accvgpr_read_b32 v4, a186
	v_accvgpr_read_b32 v5, a187
	v_mul_f64 v[4:5], v[136:137], v[4:5]
	v_fma_f64 v[4:5], v[134:135], v[142:143], -v[4:5]
	v_add_f64 v[2:3], v[2:3], v[4:5]
	v_accvgpr_read_b32 v4, a188
	v_accvgpr_read_b32 v5, a189
	v_accvgpr_read_b32 v6, a190
	v_mul_f64 v[4:5], v[132:133], v[4:5]
	v_accvgpr_read_b32 v7, a191
	v_fma_f64 v[4:5], v[130:131], v[6:7], -v[4:5]
	v_add_f64 v[2:3], v[2:3], v[4:5]
	v_mul_f64 v[4:5], v[128:129], v[146:147]
	v_fma_f64 v[4:5], v[126:127], v[148:149], -v[4:5]
	v_add_f64 v[2:3], v[2:3], v[4:5]
	v_accvgpr_read_b32 v4, a192
	v_accvgpr_read_b32 v5, a193
	v_accvgpr_read_b32 v6, a194
	v_mul_f64 v[4:5], v[124:125], v[4:5]
	v_accvgpr_read_b32 v7, a195
	v_fma_f64 v[4:5], v[122:123], v[6:7], -v[4:5]
	v_add_f64 v[2:3], v[2:3], v[4:5]
	;; [unrolled: 10-line block ×4, first 2 shown]
	v_mul_f64 v[4:5], v[40:41], v[158:159]
	v_fma_f64 v[4:5], v[38:39], v[160:161], -v[4:5]
	v_add_f64 v[2:3], v[2:3], v[4:5]
	v_accvgpr_read_b32 v4, a204
	v_accvgpr_read_b32 v5, a205
	v_mul_f64 v[4:5], v[44:45], v[4:5]
	v_fma_f64 v[4:5], v[42:43], v[144:145], -v[4:5]
	v_add_f64 v[2:3], v[2:3], v[4:5]
	v_mul_f64 v[4:5], v[48:49], v[162:163]
	v_fma_f64 v[4:5], v[46:47], v[164:165], -v[4:5]
	v_add_f64 v[2:3], v[2:3], v[4:5]
	;; [unrolled: 3-line block ×4, first 2 shown]
	v_mul_f64 v[4:5], v[60:61], v[170:171]
	v_fma_f64 v[4:5], v[58:59], v[176:177], -v[4:5]
	s_waitcnt vmcnt(6) lgkmcnt(0)
	v_mul_f64 v[106:107], v[102:103], v[218:219]
	v_add_f64 v[2:3], v[2:3], v[4:5]
	s_waitcnt vmcnt(4)
	v_fmac_f64_e32 v[106:107], v[104:105], v[220:221]
	v_add_f64 v[24:25], v[24:25], v[106:107]
	ds_read_b128 v[106:109], v1 offset:1872
	buffer_load_dword v227, off, s[0:3], 0 offset:956
	buffer_load_dword v226, off, s[0:3], 0 offset:952
	;; [unrolled: 1-line block ×4, first 2 shown]
	ds_read_b128 v[232:235], v1 offset:1888
	buffer_load_dword v242, off, s[0:3], 0 offset:968
	buffer_load_dword v243, off, s[0:3], 0 offset:972
	;; [unrolled: 1-line block ×4, first 2 shown]
	v_mul_f64 v[4:5], v[64:65], v[180:181]
	s_waitcnt vmcnt(10) lgkmcnt(1)
	v_mul_f64 v[114:115], v[106:107], v[222:223]
	s_waitcnt vmcnt(8)
	v_fmac_f64_e32 v[114:115], v[108:109], v[224:225]
	v_add_f64 v[24:25], v[24:25], v[114:115]
	v_fma_f64 v[4:5], v[62:63], v[182:183], -v[4:5]
	v_add_f64 v[2:3], v[2:3], v[4:5]
	v_mul_f64 v[4:5], v[68:69], v[174:175]
	v_fma_f64 v[4:5], v[66:67], v[184:185], -v[4:5]
	v_add_f64 v[2:3], v[2:3], v[4:5]
	v_mul_f64 v[4:5], v[72:73], v[186:187]
	;; [unrolled: 3-line block ×11, first 2 shown]
	v_fma_f64 v[4:5], v[106:107], v[224:225], -v[4:5]
	v_add_f64 v[2:3], v[2:3], v[4:5]
	s_waitcnt vmcnt(6) lgkmcnt(0)
	v_mul_f64 v[114:115], v[232:233], v[226:227]
	v_mul_f64 v[4:5], v[234:235], v[226:227]
	s_waitcnt vmcnt(4)
	v_fmac_f64_e32 v[114:115], v[234:235], v[238:239]
	v_add_f64 v[24:25], v[24:25], v[114:115]
	ds_read_b128 v[114:117], v1 offset:1904
	buffer_load_dword v248, off, s[0:3], 0 offset:176
	buffer_load_dword v249, off, s[0:3], 0 offset:180
	v_fma_f64 v[4:5], v[232:233], v[238:239], -v[4:5]
	v_add_f64 v[2:3], v[2:3], v[4:5]
	s_waitcnt vmcnt(4) lgkmcnt(0)
	v_mul_f64 v[246:247], v[114:115], v[242:243]
	s_waitcnt vmcnt(2)
	v_fmac_f64_e32 v[246:247], v[116:117], v[244:245]
	v_add_f64 v[24:25], v[24:25], v[246:247]
	buffer_load_dword v246, off, s[0:3], 0 offset:184
	buffer_load_dword v247, off, s[0:3], 0 offset:188
	v_mul_f64 v[4:5], v[116:117], v[242:243]
	v_fma_f64 v[4:5], v[114:115], v[244:245], -v[4:5]
	v_add_f64 v[2:3], v[2:3], v[4:5]
	s_waitcnt vmcnt(2)
	v_add_f64 v[2:3], v[248:249], -v[2:3]
	s_waitcnt vmcnt(0)
	v_add_f64 v[4:5], v[246:247], -v[24:25]
	buffer_store_dword v3, off, s[0:3], 0 offset:180
	buffer_store_dword v2, off, s[0:3], 0 offset:176
	;; [unrolled: 1-line block ×4, first 2 shown]
	s_and_saveexec_b64 s[4:5], vcc
	s_cbranch_execz .LBB59_355
; %bb.354:
	v_accvgpr_read_b32 v0, a170
	buffer_load_dword v2, v0, s[0:3], 0 offen
	buffer_load_dword v3, v0, s[0:3], 0 offen offset:4
	buffer_load_dword v4, v0, s[0:3], 0 offen offset:8
	;; [unrolled: 1-line block ×3, first 2 shown]
	v_accvgpr_read_b32 v0, a180
	buffer_store_dword v1, off, s[0:3], 0 offset:160
	buffer_store_dword v1, off, s[0:3], 0 offset:164
	buffer_store_dword v1, off, s[0:3], 0 offset:168
	buffer_store_dword v1, off, s[0:3], 0 offset:172
	s_waitcnt vmcnt(4)
	ds_write_b128 v0, v[2:5]
.LBB59_355:
	s_or_b64 exec, exec, s[4:5]
	s_waitcnt lgkmcnt(0)
	; wave barrier
	s_waitcnt lgkmcnt(0)
	buffer_load_dword v176, off, s[0:3], 0 offset:176
	buffer_load_dword v177, off, s[0:3], 0 offset:180
	;; [unrolled: 1-line block ×42, first 2 shown]
	ds_read_b128 v[42:45], v1 offset:1120
	ds_read_b128 v[108:111], v1 offset:1136
	;; [unrolled: 1-line block ×10, first 2 shown]
	buffer_load_dword v117, off, s[0:3], 0 offset:324
	buffer_load_dword v116, off, s[0:3], 0 offset:320
	ds_read_b128 v[46:49], v1 offset:1280
	buffer_load_dword v85, off, s[0:3], 0 offset:380
	buffer_load_dword v84, off, s[0:3], 0 offset:376
	buffer_load_dword v87, off, s[0:3], 0 offset:372
	buffer_load_dword v86, off, s[0:3], 0 offset:368
	buffer_load_dword v207, off, s[0:3], 0 offset:364
	buffer_load_dword v206, off, s[0:3], 0 offset:360
	s_waitcnt vmcnt(46) lgkmcnt(10)
	v_mul_f64 v[2:3], v[42:43], v[36:37]
	v_fmac_f64_e32 v[2:3], v[44:45], v[176:177]
	v_add_f64 v[2:3], v[2:3], 0
	v_mul_f64 v[36:37], v[44:45], v[36:37]
	s_waitcnt vmcnt(42) lgkmcnt(9)
	v_mul_f64 v[4:5], v[108:109], v[40:41]
	v_fmac_f64_e32 v[4:5], v[110:111], v[38:39]
	v_add_f64 v[2:3], v[2:3], v[4:5]
	buffer_load_dword v209, off, s[0:3], 0 offset:356
	buffer_load_dword v208, off, s[0:3], 0 offset:352
	;; [unrolled: 1-line block ×36, first 2 shown]
	s_waitcnt vmcnt(62) lgkmcnt(8)
	v_mul_f64 v[6:7], v[112:113], v[158:159]
	s_waitcnt lgkmcnt(6)
	v_mul_f64 v[10:11], v[170:171], v[52:53]
	v_fmac_f64_e32 v[10:11], v[172:173], v[54:55]
	v_mul_f64 v[40:41], v[110:111], v[40:41]
	v_mul_f64 v[8:9], v[166:167], v[56:57]
	v_fma_f64 v[108:109], v[108:109], v[38:39], -v[40:41]
	s_waitcnt lgkmcnt(4)
	v_mul_f64 v[14:15], v[182:183], v[58:59]
	v_mul_f64 v[110:111], v[114:115], v[158:159]
	v_fmac_f64_e32 v[14:15], v[184:185], v[60:61]
	v_mul_f64 v[56:57], v[168:169], v[56:57]
	v_mul_f64 v[12:13], v[178:179], v[198:199]
	;; [unrolled: 1-line block ×3, first 2 shown]
	s_waitcnt lgkmcnt(2)
	v_mul_f64 v[18:19], v[190:191], v[200:201]
	s_waitcnt vmcnt(59)
	v_mul_f64 v[16:17], v[186:187], v[70:71]
	s_waitcnt vmcnt(57) lgkmcnt(1)
	v_mul_f64 v[20:21], v[194:195], v[68:69]
	s_waitcnt vmcnt(55)
	v_fmac_f64_e32 v[6:7], v[114:115], v[78:79]
	v_add_f64 v[2:3], v[2:3], v[6:7]
	s_waitcnt vmcnt(53)
	v_fmac_f64_e32 v[8:9], v[168:169], v[76:77]
	v_add_f64 v[2:3], v[2:3], v[8:9]
	;; [unrolled: 3-line block ×3, first 2 shown]
	v_add_f64 v[2:3], v[2:3], v[12:13]
	s_waitcnt vmcnt(49)
	v_fmac_f64_e32 v[16:17], v[188:189], v[72:73]
	v_add_f64 v[2:3], v[2:3], v[14:15]
	s_waitcnt vmcnt(48)
	v_fmac_f64_e32 v[18:19], v[192:193], v[66:67]
	v_add_f64 v[2:3], v[2:3], v[16:17]
	v_add_f64 v[2:3], v[2:3], v[18:19]
	v_fma_f64 v[210:211], v[166:167], v[76:77], -v[56:57]
	s_waitcnt vmcnt(42)
	v_fmac_f64_e32 v[20:21], v[196:197], v[116:117]
	v_add_f64 v[2:3], v[2:3], v[20:21]
	v_fma_f64 v[78:79], v[112:113], v[78:79], -v[110:111]
	s_waitcnt vmcnt(0)
	v_pk_mov_b32 v[18:19], v[4:5], v[4:5] op_sel:[0,1]
	buffer_load_dword v5, off, s[0:3], 0 offset:532
	buffer_load_dword v4, off, s[0:3], 0 offset:528
	v_accvgpr_write_b32 a187, v19
	v_accvgpr_write_b32 a186, v18
	s_waitcnt vmcnt(0)
	v_pk_mov_b32 v[22:23], v[4:5], v[4:5] op_sel:[0,1]
	buffer_load_dword v5, off, s[0:3], 0 offset:524
	buffer_load_dword v4, off, s[0:3], 0 offset:520
	v_accvgpr_write_b32 a189, v23
	v_accvgpr_write_b32 a188, v22
	;; [unrolled: 6-line block ×12, first 2 shown]
	s_waitcnt vmcnt(0)
	v_pk_mov_b32 v[164:165], v[4:5], v[4:5] op_sel:[0,1]
	buffer_load_dword v5, off, s[0:3], 0 offset:628
	buffer_load_dword v4, off, s[0:3], 0 offset:624
	s_waitcnt vmcnt(0)
	v_pk_mov_b32 v[174:175], v[4:5], v[4:5] op_sel:[0,1]
	buffer_load_dword v151, off, s[0:3], 0 offset:620
	buffer_load_dword v150, off, s[0:3], 0 offset:616
	;; [unrolled: 1-line block ×12, first 2 shown]
	ds_read_b128 v[202:205], v1 offset:1296
	ds_read_b128 v[214:217], v1 offset:1312
	;; [unrolled: 1-line block ×14, first 2 shown]
	s_waitcnt lgkmcnt(4)
	v_mul_f64 v[8:9], v[246:247], v[94:95]
	ds_read_b128 v[130:133], v1 offset:1520
	ds_read_b128 v[126:129], v1 offset:1536
	v_fmac_f64_e32 v[8:9], v[248:249], v[96:97]
	s_waitcnt lgkmcnt(5)
	v_mul_f64 v[12:13], v[146:147], v[14:15]
	v_fmac_f64_e32 v[12:13], v[148:149], v[16:17]
	s_waitcnt lgkmcnt(4)
	v_mul_f64 v[16:17], v[142:143], v[18:19]
	;; [unrolled: 3-line block ×5, first 2 shown]
	ds_read_b128 v[122:125], v1 offset:1552
	v_fmac_f64_e32 v[28:29], v[132:133], v[118:119]
	ds_read_b128 v[118:121], v1 offset:1568
	s_waitcnt lgkmcnt(2)
	v_mul_f64 v[32:33], v[126:127], v[160:161]
	v_fmac_f64_e32 v[32:33], v[128:129], v[162:163]
	v_accvgpr_write_b32 a207, v175
	v_accvgpr_write_b32 a206, v174
	v_mul_f64 v[94:95], v[248:249], v[94:95]
	s_waitcnt vmcnt(6)
	v_pk_mov_b32 v[212:213], v[4:5], v[4:5] op_sel:[0,1]
	v_mul_f64 v[4:5], v[46:47], v[80:81]
	v_fmac_f64_e32 v[4:5], v[48:49], v[82:83]
	v_add_f64 v[2:3], v[2:3], v[4:5]
	v_mul_f64 v[4:5], v[202:203], v[206:207]
	v_fmac_f64_e32 v[4:5], v[204:205], v[208:209]
	v_add_f64 v[2:3], v[2:3], v[4:5]
	;; [unrolled: 3-line block ×10, first 2 shown]
	v_add_f64 v[10:11], v[6:7], v[8:9]
	v_add_f64 v[14:15], v[10:11], v[12:13]
	;; [unrolled: 1-line block ×7, first 2 shown]
	ds_read_b128 v[30:33], v1 offset:1584
	s_waitcnt lgkmcnt(2)
	v_mul_f64 v[4:5], v[122:123], v[150:151]
	v_fma_f64 v[26:27], v[42:43], v[176:177], -v[36:37]
	v_fmac_f64_e32 v[4:5], v[124:125], v[152:153]
	s_waitcnt lgkmcnt(1)
	v_mul_f64 v[42:43], v[118:119], v[164:165]
	v_add_f64 v[4:5], v[160:161], v[4:5]
	v_fmac_f64_e32 v[42:43], v[120:121], v[174:175]
	v_add_f64 v[4:5], v[4:5], v[42:43]
	s_waitcnt vmcnt(2) lgkmcnt(0)
	v_mul_f64 v[42:43], v[30:31], v[154:155]
	s_waitcnt vmcnt(0)
	v_fmac_f64_e32 v[42:43], v[32:33], v[156:157]
	v_pk_mov_b32 v[36:37], v[164:165], v[164:165] op_sel:[0,1]
	v_add_f64 v[4:5], v[4:5], v[42:43]
	ds_read_b128 v[42:45], v1 offset:1600
	ds_read_b128 v[38:41], v1 offset:1616
	buffer_load_dword v158, off, s[0:3], 0 offset:696
	buffer_load_dword v163, off, s[0:3], 0 offset:684
	;; [unrolled: 1-line block ×17, first 2 shown]
	v_mul_f64 v[8:9], v[180:181], v[198:199]
	v_fma_f64 v[22:23], v[170:171], v[54:55], -v[52:53]
	v_fma_f64 v[18:19], v[178:179], v[74:75], -v[8:9]
	buffer_load_dword v170, off, s[0:3], 0 offset:752
	buffer_load_dword v179, off, s[0:3], 0 offset:748
	;; [unrolled: 1-line block ×7, first 2 shown]
	v_mul_f64 v[52:53], v[184:185], v[58:59]
	v_fma_f64 v[14:15], v[182:183], v[60:61], -v[52:53]
	buffer_load_dword v183, off, s[0:3], 0 offset:780
	buffer_load_dword v182, off, s[0:3], 0 offset:776
	;; [unrolled: 1-line block ×4, first 2 shown]
	v_mul_f64 v[52:53], v[188:189], v[70:71]
	v_mul_f64 v[16:17], v[192:193], v[200:201]
	buffer_load_dword v188, off, s[0:3], 0 offset:792
	v_fma_f64 v[16:17], v[190:191], v[66:67], -v[16:17]
	buffer_load_dword v190, off, s[0:3], 0 offset:784
	buffer_load_dword v189, off, s[0:3], 0 offset:796
	;; [unrolled: 1-line block ×3, first 2 shown]
	v_fma_f64 v[10:11], v[186:187], v[72:73], -v[52:53]
	v_mul_f64 v[52:53], v[196:197], v[68:69]
	v_fma_f64 v[8:9], v[194:195], v[116:117], -v[52:53]
	buffer_load_dword v187, off, s[0:3], 0 offset:828
	buffer_load_dword v193, off, s[0:3], 0 offset:812
	;; [unrolled: 1-line block ×12, first 2 shown]
	v_mul_f64 v[20:21], v[48:49], v[80:81]
	v_accvgpr_write_b32 a208, v212
	v_fma_f64 v[20:21], v[46:47], v[82:83], -v[20:21]
	v_mul_f64 v[46:47], v[204:205], v[206:207]
	s_waitcnt lgkmcnt(1)
	v_mul_f64 v[12:13], v[42:43], v[212:213]
	v_accvgpr_write_b32 a209, v213
	v_fma_f64 v[6:7], v[202:203], v[208:209], -v[46:47]
	buffer_load_dword v204, off, s[0:3], 0 offset:856
	buffer_load_dword v206, off, s[0:3], 0 offset:848
	buffer_load_dword v205, off, s[0:3], 0 offset:860
	buffer_load_dword v207, off, s[0:3], 0 offset:852
	buffer_load_dword v202, off, s[0:3], 0 offset:888
	buffer_load_dword v81, off, s[0:3], 0 offset:876
	buffer_load_dword v80, off, s[0:3], 0 offset:872
	buffer_load_dword v213, off, s[0:3], 0 offset:868
	buffer_load_dword v212, off, s[0:3], 0 offset:864
	buffer_load_dword v208, off, s[0:3], 0 offset:880
	buffer_load_dword v203, off, s[0:3], 0 offset:892
	buffer_load_dword v209, off, s[0:3], 0 offset:884
	v_fmac_f64_e32 v[12:13], v[44:45], v[34:35]
	v_add_f64 v[4:5], v[4:5], v[12:13]
	v_mul_f64 v[12:13], v[216:217], v[84:85]
	v_fma_f64 v[12:13], v[214:215], v[86:87], -v[12:13]
	buffer_load_dword v215, off, s[0:3], 0 offset:908
	buffer_load_dword v214, off, s[0:3], 0 offset:904
	;; [unrolled: 1-line block ×4, first 2 shown]
	ds_read_b128 v[46:49], v1 offset:1632
	v_mul_f64 v[58:59], v[224:225], v[250:251]
	v_mul_f64 v[62:63], v[228:229], v[62:63]
	v_fma_f64 v[250:251], v[226:227], v[64:65], -v[62:63]
	ds_read_b128 v[62:65], v1 offset:1696
	v_mul_f64 v[70:71], v[232:233], v[100:101]
	v_add_f64 v[26:27], v[26:27], 0
	v_add_f64 v[26:27], v[26:27], v[108:109]
	;; [unrolled: 1-line block ×13, first 2 shown]
	s_waitcnt vmcnt(57) lgkmcnt(2)
	v_mul_f64 v[24:25], v[38:39], v[162:163]
	s_waitcnt vmcnt(55)
	v_fmac_f64_e32 v[24:25], v[40:41], v[164:165]
	v_add_f64 v[4:5], v[4:5], v[24:25]
	v_mul_f64 v[24:25], v[220:221], v[254:255]
	v_fma_f64 v[24:25], v[218:219], v[50:51], -v[24:25]
	ds_read_b128 v[50:53], v1 offset:1648
	s_waitcnt vmcnt(53) lgkmcnt(2)
	v_mul_f64 v[54:55], v[46:47], v[158:159]
	s_waitcnt vmcnt(52)
	v_fmac_f64_e32 v[54:55], v[48:49], v[166:167]
	v_add_f64 v[4:5], v[4:5], v[54:55]
	ds_read_b128 v[54:57], v1 offset:1664
	v_fma_f64 v[254:255], v[222:223], v[252:253], -v[58:59]
	ds_read_b128 v[58:61], v1 offset:1680
	s_waitcnt vmcnt(48) lgkmcnt(2)
	v_mul_f64 v[66:67], v[50:51], v[174:175]
	s_waitcnt vmcnt(46)
	v_fmac_f64_e32 v[66:67], v[52:53], v[176:177]
	v_add_f64 v[4:5], v[4:5], v[66:67]
	s_waitcnt lgkmcnt(1)
	v_mul_f64 v[66:67], v[54:55], v[160:161]
	s_waitcnt vmcnt(44)
	v_fmac_f64_e32 v[66:67], v[56:57], v[172:173]
	v_add_f64 v[4:5], v[4:5], v[66:67]
	s_waitcnt vmcnt(40) lgkmcnt(0)
	v_mul_f64 v[66:67], v[58:59], v[178:179]
	s_waitcnt vmcnt(38)
	v_fmac_f64_e32 v[66:67], v[60:61], v[180:181]
	v_add_f64 v[4:5], v[4:5], v[66:67]
	v_fma_f64 v[252:253], v[230:231], v[102:103], -v[70:71]
	ds_read_b128 v[70:73], v1 offset:1728
	s_waitcnt vmcnt(37)
	v_mul_f64 v[66:67], v[62:63], v[168:169]
	s_waitcnt vmcnt(36)
	v_fmac_f64_e32 v[66:67], v[64:65], v[170:171]
	v_add_f64 v[4:5], v[4:5], v[66:67]
	ds_read_b128 v[66:69], v1 offset:1712
	s_waitcnt vmcnt(29) lgkmcnt(1)
	v_mul_f64 v[82:83], v[70:71], v[188:189]
	s_waitcnt vmcnt(28)
	v_fmac_f64_e32 v[82:83], v[72:73], v[190:191]
	v_add_f64 v[6:7], v[6:7], v[24:25]
	v_add_f64 v[6:7], v[6:7], v[254:255]
	s_waitcnt lgkmcnt(0)
	v_mul_f64 v[74:75], v[66:67], v[182:183]
	v_fmac_f64_e32 v[74:75], v[68:69], v[184:185]
	v_add_f64 v[4:5], v[4:5], v[74:75]
	v_mul_f64 v[74:75], v[236:237], v[104:105]
	v_fma_f64 v[236:237], v[234:235], v[106:107], -v[74:75]
	ds_read_b128 v[74:77], v1 offset:1744
	ds_read_b128 v[232:235], v1 offset:1760
	v_add_f64 v[4:5], v[4:5], v[82:83]
	v_mul_f64 v[82:83], v[240:241], v[88:89]
	v_fma_f64 v[2:3], v[238:239], v[92:93], -v[82:83]
	ds_read_b128 v[82:85], v1 offset:1776
	s_waitcnt vmcnt(25) lgkmcnt(2)
	v_mul_f64 v[28:29], v[74:75], v[192:193]
	s_waitcnt vmcnt(23)
	v_fmac_f64_e32 v[28:29], v[76:77], v[198:199]
	v_add_f64 v[4:5], v[4:5], v[28:29]
	s_waitcnt vmcnt(22) lgkmcnt(1)
	v_mul_f64 v[28:29], v[232:233], v[186:187]
	s_waitcnt vmcnt(20)
	v_fmac_f64_e32 v[28:29], v[234:235], v[196:197]
	v_add_f64 v[28:29], v[4:5], v[28:29]
	v_mul_f64 v[4:5], v[244:245], v[90:91]
	ds_read_b128 v[90:93], v1 offset:1792
	s_waitcnt vmcnt(18) lgkmcnt(1)
	v_mul_f64 v[86:87], v[82:83], v[194:195]
	s_waitcnt vmcnt(16)
	v_fmac_f64_e32 v[86:87], v[84:85], v[200:201]
	v_add_f64 v[28:29], v[28:29], v[86:87]
	ds_read_b128 v[86:89], v1 offset:1808
	v_fma_f64 v[106:107], v[246:247], v[96:97], -v[94:95]
	ds_read_b128 v[94:97], v1 offset:1824
	v_fma_f64 v[4:5], v[242:243], v[98:99], -v[4:5]
	s_waitcnt vmcnt(13) lgkmcnt(2)
	v_mul_f64 v[98:99], v[90:91], v[204:205]
	s_waitcnt vmcnt(12)
	v_fmac_f64_e32 v[98:99], v[92:93], v[206:207]
	v_add_f64 v[28:29], v[28:29], v[98:99]
	s_waitcnt vmcnt(9) lgkmcnt(1)
	v_mul_f64 v[98:99], v[86:87], v[80:81]
	s_waitcnt vmcnt(7)
	v_fmac_f64_e32 v[98:99], v[88:89], v[212:213]
	v_add_f64 v[28:29], v[28:29], v[98:99]
	;; [unrolled: 5-line block ×3, first 2 shown]
	ds_read_b128 v[98:101], v1 offset:1840
	buffer_load_dword v218, off, s[0:3], 0 offset:920
	buffer_load_dword v219, off, s[0:3], 0 offset:924
	;; [unrolled: 1-line block ×4, first 2 shown]
	v_add_f64 v[6:7], v[6:7], v[250:251]
	v_add_f64 v[6:7], v[6:7], v[252:253]
	;; [unrolled: 1-line block ×3, first 2 shown]
	s_waitcnt vmcnt(6) lgkmcnt(0)
	v_mul_f64 v[102:103], v[98:99], v[214:215]
	s_waitcnt vmcnt(4)
	v_fmac_f64_e32 v[102:103], v[100:101], v[216:217]
	v_add_f64 v[28:29], v[28:29], v[102:103]
	ds_read_b128 v[102:105], v1 offset:1856
	buffer_load_dword v223, off, s[0:3], 0 offset:940
	buffer_load_dword v222, off, s[0:3], 0 offset:936
	;; [unrolled: 1-line block ×4, first 2 shown]
	ds_read_b128 v[228:231], v1 offset:1872
	buffer_load_dword v226, off, s[0:3], 0 offset:952
	buffer_load_dword v227, off, s[0:3], 0 offset:956
	;; [unrolled: 1-line block ×4, first 2 shown]
	v_add_f64 v[254:255], v[6:7], v[2:3]
	v_add_f64 v[2:3], v[254:255], v[4:5]
	;; [unrolled: 1-line block ×3, first 2 shown]
	s_waitcnt vmcnt(10) lgkmcnt(1)
	v_mul_f64 v[110:111], v[102:103], v[218:219]
	s_waitcnt vmcnt(8)
	v_fmac_f64_e32 v[110:111], v[104:105], v[220:221]
	v_add_f64 v[28:29], v[28:29], v[110:111]
	s_waitcnt vmcnt(6) lgkmcnt(0)
	v_mul_f64 v[110:111], v[228:229], v[222:223]
	s_waitcnt vmcnt(4)
	v_fmac_f64_e32 v[110:111], v[230:231], v[224:225]
	v_add_f64 v[28:29], v[28:29], v[110:111]
	ds_read_b128 v[110:113], v1 offset:1888
	buffer_load_dword v243, off, s[0:3], 0 offset:972
	buffer_load_dword v242, off, s[0:3], 0 offset:968
	;; [unrolled: 1-line block ×4, first 2 shown]
	s_waitcnt vmcnt(6) lgkmcnt(0)
	v_mul_f64 v[114:115], v[110:111], v[226:227]
	s_waitcnt vmcnt(4)
	v_fmac_f64_e32 v[114:115], v[112:113], v[238:239]
	v_add_f64 v[28:29], v[28:29], v[114:115]
	ds_read_b128 v[114:117], v1 offset:1904
	buffer_load_dword v248, off, s[0:3], 0 offset:160
	buffer_load_dword v249, off, s[0:3], 0 offset:164
	;; [unrolled: 1-line block ×4, first 2 shown]
	v_accvgpr_read_b32 v0, a182
	v_accvgpr_read_b32 v1, a183
	v_mul_f64 v[4:5], v[148:149], v[0:1]
	v_accvgpr_read_b32 v0, a184
	v_accvgpr_read_b32 v1, a185
	v_fma_f64 v[4:5], v[146:147], v[0:1], -v[4:5]
	v_accvgpr_read_b32 v0, a186
	v_accvgpr_read_b32 v1, a187
	v_add_f64 v[2:3], v[2:3], v[4:5]
	v_mul_f64 v[4:5], v[144:145], v[0:1]
	v_accvgpr_read_b32 v0, a188
	v_accvgpr_read_b32 v1, a189
	v_fma_f64 v[4:5], v[142:143], v[0:1], -v[4:5]
	v_accvgpr_read_b32 v0, a190
	v_accvgpr_read_b32 v1, a191
	v_add_f64 v[2:3], v[2:3], v[4:5]
	;; [unrolled: 7-line block ×5, first 2 shown]
	v_mul_f64 v[4:5], v[128:129], v[0:1]
	v_accvgpr_read_b32 v0, a204
	v_accvgpr_read_b32 v1, a205
	v_fma_f64 v[4:5], v[126:127], v[0:1], -v[4:5]
	v_add_f64 v[2:3], v[2:3], v[4:5]
	v_mul_f64 v[4:5], v[124:125], v[150:151]
	v_fma_f64 v[4:5], v[122:123], v[152:153], -v[4:5]
	v_accvgpr_read_b32 v0, a206
	v_add_f64 v[2:3], v[2:3], v[4:5]
	v_mul_f64 v[4:5], v[120:121], v[36:37]
	v_accvgpr_read_b32 v1, a207
	v_fma_f64 v[4:5], v[118:119], v[0:1], -v[4:5]
	v_add_f64 v[2:3], v[2:3], v[4:5]
	v_mul_f64 v[4:5], v[32:33], v[154:155]
	v_accvgpr_read_b32 v0, a208
	v_fma_f64 v[4:5], v[30:31], v[156:157], -v[4:5]
	v_accvgpr_read_b32 v1, a209
	v_add_f64 v[2:3], v[2:3], v[4:5]
	v_mul_f64 v[4:5], v[44:45], v[0:1]
	v_fma_f64 v[4:5], v[42:43], v[34:35], -v[4:5]
	v_add_f64 v[2:3], v[2:3], v[4:5]
	v_mul_f64 v[4:5], v[40:41], v[162:163]
	v_fma_f64 v[4:5], v[38:39], v[164:165], -v[4:5]
	;; [unrolled: 3-line block ×19, first 2 shown]
	v_add_f64 v[2:3], v[2:3], v[4:5]
	s_waitcnt vmcnt(6) lgkmcnt(0)
	v_mul_f64 v[4:5], v[116:117], v[242:243]
	v_mul_f64 v[240:241], v[114:115], v[242:243]
	s_waitcnt vmcnt(4)
	v_fma_f64 v[4:5], v[114:115], v[244:245], -v[4:5]
	v_fmac_f64_e32 v[240:241], v[116:117], v[244:245]
	v_add_f64 v[2:3], v[2:3], v[4:5]
	v_accvgpr_read_b32 v0, a179
	v_add_f64 v[240:241], v[28:29], v[240:241]
	s_waitcnt vmcnt(2)
	v_add_f64 v[2:3], v[248:249], -v[2:3]
	v_cmp_lt_u32_e32 vcc, 8, v0
	s_waitcnt vmcnt(0)
	v_add_f64 v[4:5], v[246:247], -v[240:241]
	buffer_store_dword v3, off, s[0:3], 0 offset:164
	buffer_store_dword v2, off, s[0:3], 0 offset:160
	;; [unrolled: 1-line block ×4, first 2 shown]
	s_and_saveexec_b64 s[4:5], vcc
	s_cbranch_execz .LBB59_357
; %bb.356:
	v_accvgpr_read_b32 v0, a171
	buffer_load_dword v2, v0, s[0:3], 0 offen
	buffer_load_dword v3, v0, s[0:3], 0 offen offset:4
	buffer_load_dword v4, v0, s[0:3], 0 offen offset:8
	;; [unrolled: 1-line block ×3, first 2 shown]
	v_mov_b32_e32 v0, 0
	v_accvgpr_read_b32 v1, a180
	buffer_store_dword v0, off, s[0:3], 0 offset:144
	buffer_store_dword v0, off, s[0:3], 0 offset:148
	;; [unrolled: 1-line block ×4, first 2 shown]
	s_waitcnt vmcnt(4)
	ds_write_b128 v1, v[2:5]
.LBB59_357:
	s_or_b64 exec, exec, s[4:5]
	v_mov_b32_e32 v142, 0
	s_waitcnt lgkmcnt(0)
	; wave barrier
	s_waitcnt lgkmcnt(0)
	buffer_load_dword v30, off, s[0:3], 0 offset:160
	buffer_load_dword v31, off, s[0:3], 0 offset:164
	buffer_load_dword v32, off, s[0:3], 0 offset:168
	buffer_load_dword v33, off, s[0:3], 0 offset:172
	buffer_load_dword v36, off, s[0:3], 0 offset:176
	buffer_load_dword v37, off, s[0:3], 0 offset:180
	buffer_load_dword v38, off, s[0:3], 0 offset:184
	buffer_load_dword v39, off, s[0:3], 0 offset:188
	buffer_load_dword v34, off, s[0:3], 0 offset:200
	buffer_load_dword v35, off, s[0:3], 0 offset:204
	buffer_load_dword v41, off, s[0:3], 0 offset:236
	buffer_load_dword v40, off, s[0:3], 0 offset:232
	buffer_load_dword v43, off, s[0:3], 0 offset:228
	buffer_load_dword v42, off, s[0:3], 0 offset:224
	buffer_load_dword v45, off, s[0:3], 0 offset:220
	buffer_load_dword v44, off, s[0:3], 0 offset:216
	buffer_load_dword v49, off, s[0:3], 0 offset:268
	buffer_load_dword v48, off, s[0:3], 0 offset:264
	buffer_load_dword v51, off, s[0:3], 0 offset:260
	buffer_load_dword v50, off, s[0:3], 0 offset:256
	buffer_load_dword v57, off, s[0:3], 0 offset:252
	buffer_load_dword v56, off, s[0:3], 0 offset:248
	buffer_load_dword v53, off, s[0:3], 0 offset:284
	buffer_load_dword v52, off, s[0:3], 0 offset:280
	buffer_load_dword v62, off, s[0:3], 0 offset:192
	buffer_load_dword v63, off, s[0:3], 0 offset:196
	buffer_load_dword v61, off, s[0:3], 0 offset:212
	buffer_load_dword v60, off, s[0:3], 0 offset:208
	buffer_load_dword v59, off, s[0:3], 0 offset:244
	buffer_load_dword v58, off, s[0:3], 0 offset:240
	buffer_load_dword v55, off, s[0:3], 0 offset:276
	buffer_load_dword v54, off, s[0:3], 0 offset:272
	buffer_load_dword v46, off, s[0:3], 0 offset:296
	buffer_load_dword v64, off, s[0:3], 0 offset:288
	buffer_load_dword v65, off, s[0:3], 0 offset:292
	buffer_load_dword v47, off, s[0:3], 0 offset:300
	buffer_load_dword v67, off, s[0:3], 0 offset:332
	buffer_load_dword v66, off, s[0:3], 0 offset:328
	buffer_load_dword v69, off, s[0:3], 0 offset:324
	buffer_load_dword v68, off, s[0:3], 0 offset:320
	buffer_load_dword v71, off, s[0:3], 0 offset:316
	buffer_load_dword v70, off, s[0:3], 0 offset:312
	buffer_load_dword v73, off, s[0:3], 0 offset:308
	buffer_load_dword v72, off, s[0:3], 0 offset:304
	buffer_load_dword v93, off, s[0:3], 0 offset:364
	buffer_load_dword v92, off, s[0:3], 0 offset:360
	buffer_load_dword v77, off, s[0:3], 0 offset:356
	buffer_load_dword v76, off, s[0:3], 0 offset:352
	buffer_load_dword v101, off, s[0:3], 0 offset:348
	buffer_load_dword v100, off, s[0:3], 0 offset:344
	buffer_load_dword v105, off, s[0:3], 0 offset:340
	buffer_load_dword v104, off, s[0:3], 0 offset:336
	buffer_load_dword v75, off, s[0:3], 0 offset:396
	buffer_load_dword v74, off, s[0:3], 0 offset:392
	ds_read_b128 v[114:117], v142 offset:1104
	ds_read_b128 v[156:159], v142 offset:1120
	;; [unrolled: 1-line block ×9, first 2 shown]
	buffer_load_dword v109, off, s[0:3], 0 offset:388
	buffer_load_dword v108, off, s[0:3], 0 offset:384
	;; [unrolled: 1-line block ×32, first 2 shown]
	s_waitcnt vmcnt(62) lgkmcnt(8)
	v_mul_f64 v[2:3], v[114:115], v[32:33]
	v_fmac_f64_e32 v[2:3], v[116:117], v[30:31]
	v_add_f64 v[2:3], v[2:3], 0
	v_mul_f64 v[32:33], v[116:117], v[32:33]
	s_waitcnt lgkmcnt(7)
	v_mul_f64 v[4:5], v[156:157], v[38:39]
	v_fmac_f64_e32 v[4:5], v[158:159], v[36:37]
	s_waitcnt lgkmcnt(6)
	v_mul_f64 v[6:7], v[166:167], v[34:35]
	v_add_f64 v[2:3], v[2:3], v[4:5]
	s_waitcnt lgkmcnt(4)
	v_mul_f64 v[10:11], v[174:175], v[40:41]
	v_fma_f64 v[254:255], v[114:115], v[30:31], -v[32:33]
	v_fmac_f64_e32 v[10:11], v[176:177], v[42:43]
	v_mul_f64 v[38:39], v[158:159], v[38:39]
	v_mul_f64 v[8:9], v[170:171], v[44:45]
	s_waitcnt lgkmcnt(2)
	v_mul_f64 v[14:15], v[182:183], v[48:49]
	v_fmac_f64_e32 v[14:15], v[184:185], v[50:51]
	v_mul_f64 v[12:13], v[178:179], v[56:57]
	s_waitcnt lgkmcnt(1)
	v_mul_f64 v[16:17], v[186:187], v[52:53]
	s_waitcnt vmcnt(60)
	v_fmac_f64_e32 v[6:7], v[168:169], v[62:63]
	v_add_f64 v[2:3], v[2:3], v[6:7]
	s_waitcnt vmcnt(58)
	v_fmac_f64_e32 v[8:9], v[172:173], v[60:61]
	v_add_f64 v[2:3], v[2:3], v[8:9]
	;; [unrolled: 3-line block ×3, first 2 shown]
	v_add_f64 v[2:3], v[2:3], v[12:13]
	v_add_f64 v[2:3], v[2:3], v[14:15]
	s_waitcnt vmcnt(54)
	v_fmac_f64_e32 v[16:17], v[188:189], v[54:55]
	v_add_f64 v[2:3], v[2:3], v[16:17]
	s_waitcnt vmcnt(50) lgkmcnt(0)
	v_mul_f64 v[4:5], v[190:191], v[46:47]
	v_fmac_f64_e32 v[4:5], v[192:193], v[64:65]
	v_add_f64 v[2:3], v[2:3], v[4:5]
	s_waitcnt vmcnt(0)
	v_pk_mov_b32 v[14:15], v[0:1], v[0:1] op_sel:[0,1]
	buffer_load_dword v1, off, s[0:3], 0 offset:516
	buffer_load_dword v0, off, s[0:3], 0 offset:512
	v_accvgpr_write_b32 a183, v15
	v_accvgpr_write_b32 a182, v14
	s_waitcnt vmcnt(0)
	v_pk_mov_b32 v[18:19], v[0:1], v[0:1] op_sel:[0,1]
	buffer_load_dword v95, off, s[0:3], 0 offset:508
	buffer_load_dword v94, off, s[0:3], 0 offset:504
	;; [unrolled: 1-line block ×6, first 2 shown]
	v_accvgpr_write_b32 a185, v19
	v_accvgpr_write_b32 a184, v18
	s_waitcnt vmcnt(0)
	v_pk_mov_b32 v[22:23], v[0:1], v[0:1] op_sel:[0,1]
	buffer_load_dword v1, off, s[0:3], 0 offset:548
	buffer_load_dword v0, off, s[0:3], 0 offset:544
	v_accvgpr_write_b32 a191, v23
	v_accvgpr_write_b32 a190, v22
	s_waitcnt vmcnt(0)
	v_pk_mov_b32 v[24:25], v[0:1], v[0:1] op_sel:[0,1]
	buffer_load_dword v1, off, s[0:3], 0 offset:540
	buffer_load_dword v0, off, s[0:3], 0 offset:536
	;; [unrolled: 6-line block ×11, first 2 shown]
	ds_read_b128 v[194:197], v142 offset:1248
	ds_read_b128 v[198:201], v142 offset:1264
	;; [unrolled: 1-line block ×8, first 2 shown]
	s_waitcnt lgkmcnt(7)
	v_mul_f64 v[4:5], v[194:195], v[70:71]
	v_fmac_f64_e32 v[4:5], v[196:197], v[72:73]
	v_add_f64 v[2:3], v[2:3], v[4:5]
	s_waitcnt lgkmcnt(6)
	v_mul_f64 v[4:5], v[198:199], v[66:67]
	v_fmac_f64_e32 v[4:5], v[200:201], v[68:69]
	v_add_f64 v[2:3], v[2:3], v[4:5]
	;; [unrolled: 4-line block ×8, first 2 shown]
	v_accvgpr_write_b32 a203, v155
	v_accvgpr_write_b32 a202, v154
	s_waitcnt vmcnt(0)
	v_pk_mov_b32 v[164:165], v[0:1], v[0:1] op_sel:[0,1]
	buffer_load_dword v1, off, s[0:3], 0 offset:652
	buffer_load_dword v153, off, s[0:3], 0 offset:636
	;; [unrolled: 1-line block ×8, first 2 shown]
	ds_read_b128 v[230:233], v142 offset:1376
	ds_read_b128 v[234:237], v142 offset:1392
	;; [unrolled: 1-line block ×6, first 2 shown]
	s_waitcnt lgkmcnt(5)
	v_mul_f64 v[4:5], v[230:231], v[102:103]
	v_fmac_f64_e32 v[4:5], v[232:233], v[106:107]
	v_add_f64 v[2:3], v[2:3], v[4:5]
	s_waitcnt lgkmcnt(4)
	v_mul_f64 v[4:5], v[234:235], v[78:79]
	v_fmac_f64_e32 v[4:5], v[236:237], v[80:81]
	v_add_f64 v[2:3], v[2:3], v[4:5]
	s_waitcnt lgkmcnt(3)
	v_mul_f64 v[4:5], v[238:239], v[82:83]
	ds_read_b128 v[134:137], v142 offset:1472
	ds_read_b128 v[130:133], v142 offset:1488
	v_fmac_f64_e32 v[4:5], v[240:241], v[84:85]
	v_add_f64 v[2:3], v[2:3], v[4:5]
	s_waitcnt lgkmcnt(4)
	v_mul_f64 v[4:5], v[242:243], v[86:87]
	ds_read_b128 v[126:129], v142 offset:1504
	ds_read_b128 v[122:125], v142 offset:1520
	v_fmac_f64_e32 v[4:5], v[244:245], v[88:89]
	s_waitcnt lgkmcnt(5)
	v_mul_f64 v[8:9], v[246:247], v[94:95]
	v_add_f64 v[6:7], v[2:3], v[4:5]
	v_fmac_f64_e32 v[8:9], v[248:249], v[96:97]
	s_waitcnt lgkmcnt(4)
	v_mul_f64 v[12:13], v[144:145], v[14:15]
	v_add_f64 v[10:11], v[6:7], v[8:9]
	;; [unrolled: 4-line block ×5, first 2 shown]
	v_fmac_f64_e32 v[28:29], v[128:129], v[140:141]
	ds_read_b128 v[138:141], v142 offset:1536
	v_add_f64 v[26:27], v[26:27], v[28:29]
	s_waitcnt lgkmcnt(1)
	v_mul_f64 v[28:29], v[122:123], v[118:119]
	v_fmac_f64_e32 v[28:29], v[124:125], v[120:121]
	ds_read_b128 v[118:121], v142 offset:1552
	v_add_f64 v[26:27], v[26:27], v[28:29]
	s_waitcnt lgkmcnt(1)
	v_mul_f64 v[28:29], v[138:139], v[154:155]
	v_fmac_f64_e32 v[28:29], v[140:141], v[164:165]
	v_accvgpr_write_b32 a205, v165
	s_waitcnt lgkmcnt(0)
	v_mul_f64 v[114:115], v[118:119], v[160:161]
	v_add_f64 v[154:155], v[26:27], v[28:29]
	v_fmac_f64_e32 v[114:115], v[120:121], v[162:163]
	v_accvgpr_write_b32 a204, v164
	ds_read_b128 v[30:33], v142 offset:1568
	v_add_f64 v[114:115], v[154:155], v[114:115]
	buffer_load_dword v155, off, s[0:3], 0 offset:684
	buffer_load_dword v154, off, s[0:3], 0 offset:680
	v_fma_f64 v[26:27], v[156:157], v[36:37], -v[38:39]
	buffer_load_dword v157, off, s[0:3], 0 offset:676
	buffer_load_dword v156, off, s[0:3], 0 offset:672
	;; [unrolled: 1-line block ×6, first 2 shown]
	v_mul_f64 v[4:5], v[168:169], v[34:35]
	v_fma_f64 v[24:25], v[166:167], v[62:63], -v[4:5]
	buffer_load_dword v158, off, s[0:3], 0 offset:712
	buffer_load_dword v163, off, s[0:3], 0 offset:700
	;; [unrolled: 1-line block ×5, first 2 shown]
	v_mul_f64 v[34:35], v[172:173], v[44:45]
	v_fma_f64 v[116:117], v[170:171], v[60:61], -v[34:35]
	ds_read_b128 v[34:37], v142 offset:1584
	buffer_load_dword v168, off, s[0:3], 0 offset:704
	buffer_load_dword v159, off, s[0:3], 0 offset:716
	;; [unrolled: 1-line block ×3, first 2 shown]
	v_mul_f64 v[8:9], v[184:185], v[48:49]
	v_fma_f64 v[18:19], v[182:183], v[50:51], -v[8:9]
	v_mul_f64 v[12:13], v[192:193], v[46:47]
	v_fma_f64 v[12:13], v[190:191], v[64:65], -v[12:13]
	;; [unrolled: 2-line block ×6, first 2 shown]
	s_waitcnt vmcnt(21) lgkmcnt(1)
	v_mul_f64 v[38:39], v[30:31], v[152:153]
	v_mul_f64 v[82:83], v[240:241], v[82:83]
	s_waitcnt vmcnt(19)
	v_fmac_f64_e32 v[38:39], v[32:33], v[150:151]
	s_waitcnt vmcnt(18) lgkmcnt(0)
	v_mul_f64 v[44:45], v[34:35], v[0:1]
	v_add_f64 v[38:39], v[114:115], v[38:39]
	s_waitcnt vmcnt(16)
	v_fmac_f64_e32 v[44:45], v[36:37], v[148:149]
	v_add_f64 v[60:61], v[38:39], v[44:45]
	v_mul_f64 v[38:39], v[176:177], v[40:41]
	v_fma_f64 v[114:115], v[174:175], v[42:43], -v[38:39]
	buffer_load_dword v171, off, s[0:3], 0 offset:748
	buffer_load_dword v173, off, s[0:3], 0 offset:732
	;; [unrolled: 1-line block ×8, first 2 shown]
	v_mul_f64 v[38:39], v[180:181], v[56:57]
	v_fma_f64 v[22:23], v[178:179], v[58:59], -v[38:39]
	ds_read_b128 v[38:41], v142 offset:1600
	buffer_load_dword v179, off, s[0:3], 0 offset:764
	buffer_load_dword v178, off, s[0:3], 0 offset:760
	;; [unrolled: 1-line block ×4, first 2 shown]
	v_mul_f64 v[42:43], v[188:189], v[52:53]
	v_fma_f64 v[14:15], v[186:187], v[54:55], -v[42:43]
	buffer_load_dword v183, off, s[0:3], 0 offset:780
	buffer_load_dword v182, off, s[0:3], 0 offset:776
	buffer_load_dword v187, off, s[0:3], 0 offset:772
	buffer_load_dword v186, off, s[0:3], 0 offset:768
	buffer_load_dword v185, off, s[0:3], 0 offset:796
	buffer_load_dword v184, off, s[0:3], 0 offset:792
	buffer_load_dword v189, off, s[0:3], 0 offset:788
	buffer_load_dword v188, off, s[0:3], 0 offset:784
	buffer_load_dword v190, off, s[0:3], 0 offset:808
	v_mul_f64 v[42:43], v[196:197], v[70:71]
	buffer_load_dword v192, off, s[0:3], 0 offset:800
	buffer_load_dword v191, off, s[0:3], 0 offset:812
	;; [unrolled: 1-line block ×3, first 2 shown]
	v_fma_f64 v[10:11], v[194:195], v[72:73], -v[42:43]
	buffer_load_dword v195, off, s[0:3], 0 offset:828
	buffer_load_dword v194, off, s[0:3], 0 offset:824
	;; [unrolled: 1-line block ×4, first 2 shown]
	v_mul_f64 v[42:43], v[204:205], v[100:101]
	v_fma_f64 v[100:101], v[202:203], v[104:105], -v[42:43]
	buffer_load_dword v201, off, s[0:3], 0 offset:844
	buffer_load_dword v200, off, s[0:3], 0 offset:840
	;; [unrolled: 1-line block ×4, first 2 shown]
	v_mul_f64 v[42:43], v[208:209], v[92:93]
	v_fma_f64 v[8:9], v[206:207], v[76:77], -v[42:43]
	buffer_load_dword v199, off, s[0:3], 0 offset:876
	buffer_load_dword v205, off, s[0:3], 0 offset:860
	;; [unrolled: 1-line block ×12, first 2 shown]
	ds_read_b128 v[42:45], v142 offset:1616
	ds_read_b128 v[46:49], v142 offset:1632
	v_mul_f64 v[54:55], v[220:221], v[74:75]
	v_fma_f64 v[250:251], v[218:219], v[108:109], -v[54:55]
	ds_read_b128 v[54:57], v142 offset:1664
	v_mul_f64 v[58:59], v[224:225], v[110:111]
	v_fma_f64 v[214:215], v[222:223], v[112:113], -v[58:59]
	;; [unrolled: 3-line block ×3, first 2 shown]
	v_fma_f64 v[2:3], v[238:239], v[84:85], -v[82:83]
	ds_read_b128 v[82:85], v142 offset:1776
	buffer_load_dword v236, off, s[0:3], 0 offset:904
	ds_read_b128 v[70:73], v142 offset:1728
	ds_read_b128 v[78:81], v142 offset:1760
	s_waitcnt vmcnt(55) lgkmcnt(7)
	v_mul_f64 v[20:21], v[38:39], v[160:161]
	s_waitcnt lgkmcnt(6)
	v_mul_f64 v[50:51], v[42:43], v[154:155]
	s_waitcnt vmcnt(53)
	v_fmac_f64_e32 v[20:21], v[40:41], v[164:165]
	v_add_f64 v[20:21], v[60:61], v[20:21]
	v_fmac_f64_e32 v[50:51], v[44:45], v[156:157]
	v_add_f64 v[20:21], v[20:21], v[50:51]
	s_waitcnt vmcnt(50) lgkmcnt(5)
	v_mul_f64 v[50:51], v[46:47], v[162:163]
	s_waitcnt vmcnt(48)
	v_fmac_f64_e32 v[50:51], v[48:49], v[166:167]
	v_add_f64 v[20:21], v[20:21], v[50:51]
	ds_read_b128 v[50:53], v142 offset:1648
	ds_read_b128 v[58:61], v142 offset:1680
	s_waitcnt vmcnt(46) lgkmcnt(1)
	v_mul_f64 v[62:63], v[50:51], v[158:159]
	s_waitcnt vmcnt(45)
	v_fmac_f64_e32 v[62:63], v[52:53], v[168:169]
	v_add_f64 v[20:21], v[20:21], v[62:63]
	s_waitcnt vmcnt(42)
	v_mul_f64 v[62:63], v[54:55], v[172:173]
	s_waitcnt vmcnt(40)
	v_fmac_f64_e32 v[62:63], v[56:57], v[176:177]
	v_add_f64 v[20:21], v[20:21], v[62:63]
	s_waitcnt vmcnt(39) lgkmcnt(0)
	v_mul_f64 v[62:63], v[58:59], v[170:171]
	s_waitcnt vmcnt(37)
	v_fmac_f64_e32 v[62:63], v[60:61], v[174:175]
	v_add_f64 v[20:21], v[20:21], v[62:63]
	ds_read_b128 v[62:65], v142 offset:1696
	s_waitcnt vmcnt(35) lgkmcnt(0)
	v_mul_f64 v[74:75], v[62:63], v[178:179]
	s_waitcnt vmcnt(33)
	v_fmac_f64_e32 v[74:75], v[64:65], v[180:181]
	v_add_f64 v[20:21], v[20:21], v[74:75]
	s_waitcnt vmcnt(31)
	v_mul_f64 v[74:75], v[66:67], v[182:183]
	s_waitcnt vmcnt(29)
	v_fmac_f64_e32 v[74:75], v[68:69], v[186:187]
	v_add_f64 v[20:21], v[20:21], v[74:75]
	s_waitcnt vmcnt(27)
	v_mul_f64 v[74:75], v[70:71], v[184:185]
	s_waitcnt vmcnt(25)
	v_fmac_f64_e32 v[74:75], v[72:73], v[188:189]
	v_add_f64 v[20:21], v[20:21], v[74:75]
	ds_read_b128 v[74:77], v142 offset:1744
	s_waitcnt vmcnt(19)
	v_mul_f64 v[28:29], v[78:79], v[194:195]
	s_waitcnt vmcnt(17)
	v_fmac_f64_e32 v[28:29], v[80:81], v[196:197]
	s_waitcnt lgkmcnt(0)
	v_mul_f64 v[90:91], v[74:75], v[190:191]
	v_fmac_f64_e32 v[90:91], v[76:77], v[192:193]
	v_add_f64 v[20:21], v[20:21], v[90:91]
	v_add_f64 v[20:21], v[20:21], v[28:29]
	v_mul_f64 v[28:29], v[244:245], v[86:87]
	v_fma_f64 v[28:29], v[242:243], v[88:89], -v[28:29]
	ds_read_b128 v[86:89], v142 offset:1792
	s_waitcnt vmcnt(15)
	v_mul_f64 v[90:91], v[82:83], v[200:201]
	s_waitcnt vmcnt(13)
	v_fmac_f64_e32 v[90:91], v[84:85], v[202:203]
	v_add_f64 v[102:103], v[20:21], v[90:91]
	v_mul_f64 v[20:21], v[248:249], v[94:95]
	ds_read_b128 v[90:93], v142 offset:1808
	v_fma_f64 v[20:21], v[246:247], v[96:97], -v[20:21]
	ds_read_b128 v[94:97], v142 offset:1824
	buffer_load_dword v216, off, s[0:3], 0 offset:896
	buffer_load_dword v237, off, s[0:3], 0 offset:908
	;; [unrolled: 1-line block ×3, first 2 shown]
	s_waitcnt vmcnt(13) lgkmcnt(2)
	v_mul_f64 v[104:105], v[86:87], v[204:205]
	s_waitcnt vmcnt(11)
	v_fmac_f64_e32 v[104:105], v[88:89], v[210:211]
	ds_read_b128 v[232:235], v142 offset:1840
	buffer_load_dword v219, off, s[0:3], 0 offset:924
	buffer_load_dword v218, off, s[0:3], 0 offset:920
	;; [unrolled: 1-line block ×4, first 2 shown]
	v_add_f64 v[102:103], v[102:103], v[104:105]
	s_waitcnt vmcnt(14) lgkmcnt(2)
	v_mul_f64 v[104:105], v[90:91], v[198:199]
	s_waitcnt vmcnt(12)
	v_fmac_f64_e32 v[104:105], v[92:93], v[208:209]
	v_add_f64 v[102:103], v[102:103], v[104:105]
	s_waitcnt vmcnt(10) lgkmcnt(1)
	v_mul_f64 v[104:105], v[94:95], v[206:207]
	s_waitcnt vmcnt(8)
	v_fmac_f64_e32 v[104:105], v[96:97], v[212:213]
	;; [unrolled: 5-line block ×3, first 2 shown]
	v_add_f64 v[106:107], v[102:103], v[104:105]
	ds_read_b128 v[102:105], v142 offset:1856
	buffer_load_dword v222, off, s[0:3], 0 offset:936
	buffer_load_dword v223, off, s[0:3], 0 offset:940
	buffer_load_dword v224, off, s[0:3], 0 offset:928
	buffer_load_dword v225, off, s[0:3], 0 offset:932
	s_waitcnt vmcnt(6) lgkmcnt(0)
	v_mul_f64 v[108:109], v[102:103], v[218:219]
	s_waitcnt vmcnt(4)
	v_fmac_f64_e32 v[108:109], v[104:105], v[220:221]
	v_add_f64 v[110:111], v[106:107], v[108:109]
	ds_read_b128 v[106:109], v142 offset:1872
	buffer_load_dword v227, off, s[0:3], 0 offset:956
	buffer_load_dword v226, off, s[0:3], 0 offset:952
	buffer_load_dword v239, off, s[0:3], 0 offset:948
	buffer_load_dword v238, off, s[0:3], 0 offset:944
	s_waitcnt vmcnt(6) lgkmcnt(0)
	v_mul_f64 v[112:113], v[106:107], v[222:223]
	s_waitcnt vmcnt(4)
	v_fmac_f64_e32 v[112:113], v[108:109], v[224:225]
	;; [unrolled: 10-line block ×3, first 2 shown]
	v_add_f64 v[240:241], v[228:229], v[230:231]
	ds_read_b128 v[228:231], v142 offset:1904
	buffer_load_dword v248, off, s[0:3], 0 offset:144
	buffer_load_dword v249, off, s[0:3], 0 offset:148
	s_waitcnt vmcnt(4) lgkmcnt(0)
	v_mul_f64 v[246:247], v[228:229], v[242:243]
	s_waitcnt vmcnt(2)
	v_fmac_f64_e32 v[246:247], v[230:231], v[244:245]
	v_add_f64 v[240:241], v[240:241], v[246:247]
	v_add_f64 v[246:247], v[254:255], 0
	;; [unrolled: 1-line block ×15, first 2 shown]
	buffer_load_dword v246, off, s[0:3], 0 offset:152
	buffer_load_dword v247, off, s[0:3], 0 offset:156
	v_add_f64 v[8:9], v[8:9], v[250:251]
	v_add_f64 v[8:9], v[8:9], v[214:215]
	;; [unrolled: 1-line block ×6, first 2 shown]
	v_accvgpr_read_b32 v4, a182
	v_accvgpr_read_b32 v5, a183
	v_accvgpr_read_b32 v6, a184
	v_add_f64 v[252:253], v[2:3], v[28:29]
	v_mul_f64 v[4:5], v[146:147], v[4:5]
	v_accvgpr_read_b32 v7, a185
	v_add_f64 v[2:3], v[252:253], v[20:21]
	v_fma_f64 v[4:5], v[144:145], v[6:7], -v[4:5]
	v_add_f64 v[2:3], v[2:3], v[4:5]
	v_accvgpr_read_b32 v4, a186
	v_accvgpr_read_b32 v5, a187
	v_accvgpr_read_b32 v6, a188
	v_mul_f64 v[4:5], v[136:137], v[4:5]
	v_accvgpr_read_b32 v7, a189
	v_fma_f64 v[4:5], v[134:135], v[6:7], -v[4:5]
	v_add_f64 v[2:3], v[2:3], v[4:5]
	v_accvgpr_read_b32 v4, a190
	v_accvgpr_read_b32 v5, a191
	v_accvgpr_read_b32 v6, a192
	v_mul_f64 v[4:5], v[132:133], v[4:5]
	v_accvgpr_read_b32 v7, a193
	;; [unrolled: 7-line block ×6, first 2 shown]
	v_fma_f64 v[4:5], v[118:119], v[6:7], -v[4:5]
	v_add_f64 v[2:3], v[2:3], v[4:5]
	v_mul_f64 v[4:5], v[32:33], v[152:153]
	v_fma_f64 v[4:5], v[30:31], v[150:151], -v[4:5]
	v_add_f64 v[2:3], v[2:3], v[4:5]
	v_mul_f64 v[4:5], v[36:37], v[0:1]
	;; [unrolled: 3-line block ×22, first 2 shown]
	v_fma_f64 v[4:5], v[228:229], v[244:245], -v[4:5]
	v_add_f64 v[2:3], v[2:3], v[4:5]
	v_accvgpr_read_b32 v0, a179
	s_waitcnt vmcnt(2)
	v_add_f64 v[2:3], v[248:249], -v[2:3]
	v_cmp_lt_u32_e32 vcc, 7, v0
	s_waitcnt vmcnt(0)
	v_add_f64 v[4:5], v[246:247], -v[240:241]
	buffer_store_dword v3, off, s[0:3], 0 offset:148
	buffer_store_dword v2, off, s[0:3], 0 offset:144
	buffer_store_dword v5, off, s[0:3], 0 offset:156
	buffer_store_dword v4, off, s[0:3], 0 offset:152
	s_and_saveexec_b64 s[4:5], vcc
	s_cbranch_execz .LBB59_359
; %bb.358:
	v_accvgpr_read_b32 v0, a172
	buffer_load_dword v2, v0, s[0:3], 0 offen
	buffer_load_dword v3, v0, s[0:3], 0 offen offset:4
	buffer_load_dword v4, v0, s[0:3], 0 offen offset:8
	;; [unrolled: 1-line block ×3, first 2 shown]
	v_accvgpr_read_b32 v0, a180
	buffer_store_dword v142, off, s[0:3], 0 offset:128
	buffer_store_dword v142, off, s[0:3], 0 offset:132
	buffer_store_dword v142, off, s[0:3], 0 offset:136
	buffer_store_dword v142, off, s[0:3], 0 offset:140
	s_waitcnt vmcnt(4)
	ds_write_b128 v0, v[2:5]
.LBB59_359:
	s_or_b64 exec, exec, s[4:5]
	s_waitcnt lgkmcnt(0)
	; wave barrier
	s_waitcnt lgkmcnt(0)
	buffer_load_dword v22, off, s[0:3], 0 offset:144
	buffer_load_dword v23, off, s[0:3], 0 offset:148
	;; [unrolled: 1-line block ×36, first 2 shown]
	ds_read_b128 v[18:21], v142 offset:1088
	ds_read_b128 v[26:29], v142 offset:1104
	;; [unrolled: 1-line block ×9, first 2 shown]
	buffer_load_dword v91, off, s[0:3], 0 offset:316
	buffer_load_dword v90, off, s[0:3], 0 offset:312
	buffer_load_dword v93, off, s[0:3], 0 offset:308
	buffer_load_dword v92, off, s[0:3], 0 offset:304
	buffer_load_dword v95, off, s[0:3], 0 offset:300
	buffer_load_dword v94, off, s[0:3], 0 offset:296
	buffer_load_dword v99, off, s[0:3], 0 offset:292
	buffer_load_dword v98, off, s[0:3], 0 offset:288
	buffer_load_dword v203, off, s[0:3], 0 offset:348
	buffer_load_dword v202, off, s[0:3], 0 offset:344
	buffer_load_dword v205, off, s[0:3], 0 offset:340
	buffer_load_dword v204, off, s[0:3], 0 offset:336
	buffer_load_dword v191, off, s[0:3], 0 offset:332
	buffer_load_dword v190, off, s[0:3], 0 offset:328
	buffer_load_dword v193, off, s[0:3], 0 offset:324
	buffer_load_dword v192, off, s[0:3], 0 offset:320
	buffer_load_dword v103, off, s[0:3], 0 offset:380
	buffer_load_dword v102, off, s[0:3], 0 offset:376
	buffer_load_dword v105, off, s[0:3], 0 offset:372
	s_waitcnt vmcnt(51) lgkmcnt(8)
	v_mul_f64 v[2:3], v[18:19], v[24:25]
	v_fmac_f64_e32 v[2:3], v[20:21], v[22:23]
	v_add_f64 v[2:3], v[2:3], 0
	v_mul_f64 v[20:21], v[20:21], v[24:25]
	s_waitcnt vmcnt(47) lgkmcnt(7)
	v_mul_f64 v[4:5], v[26:27], v[160:161]
	v_fmac_f64_e32 v[4:5], v[28:29], v[158:159]
	v_add_f64 v[2:3], v[2:3], v[4:5]
	buffer_load_dword v104, off, s[0:3], 0 offset:368
	buffer_load_dword v255, off, s[0:3], 0 offset:364
	;; [unrolled: 1-line block ×39, first 2 shown]
	s_waitcnt vmcnt(62) lgkmcnt(6)
	v_mul_f64 v[6:7], v[54:55], v[156:157]
	s_waitcnt lgkmcnt(4)
	v_mul_f64 v[10:11], v[34:35], v[166:167]
	v_fmac_f64_e32 v[10:11], v[36:37], v[170:171]
	v_fma_f64 v[24:25], v[18:19], v[22:23], -v[20:21]
	v_mul_f64 v[8:9], v[30:31], v[68:69]
	v_mul_f64 v[28:29], v[28:29], v[160:161]
	s_waitcnt lgkmcnt(2)
	v_mul_f64 v[14:15], v[50:51], v[74:75]
	v_fma_f64 v[158:159], v[26:27], v[158:159], -v[28:29]
	v_fmac_f64_e32 v[14:15], v[52:53], v[76:77]
	v_mul_f64 v[36:37], v[36:37], v[166:167]
	v_mul_f64 v[12:13], v[38:39], v[80:81]
	v_fma_f64 v[20:21], v[34:35], v[170:171], -v[36:37]
	s_waitcnt lgkmcnt(1)
	v_mul_f64 v[16:17], v[46:47], v[72:73]
	v_mul_f64 v[52:53], v[52:53], v[74:75]
	v_fmac_f64_e32 v[6:7], v[56:57], v[86:87]
	v_add_f64 v[2:3], v[2:3], v[6:7]
	v_fmac_f64_e32 v[8:9], v[32:33], v[164:165]
	v_add_f64 v[2:3], v[2:3], v[8:9]
	;; [unrolled: 2-line block ×3, first 2 shown]
	v_add_f64 v[2:3], v[2:3], v[12:13]
	v_add_f64 v[2:3], v[2:3], v[14:15]
	v_fmac_f64_e32 v[16:17], v[48:49], v[78:79]
	v_add_f64 v[2:3], v[2:3], v[16:17]
	v_mul_f64 v[32:33], v[32:33], v[68:69]
	v_mul_f64 v[40:41], v[40:41], v[80:81]
	v_fma_f64 v[166:167], v[38:39], v[168:169], -v[40:41]
	v_fma_f64 v[18:19], v[50:51], v[76:77], -v[52:53]
	v_add_f64 v[24:25], v[24:25], 0
	v_add_f64 v[24:25], v[24:25], v[158:159]
	s_waitcnt vmcnt(0)
	v_pk_mov_b32 v[118:119], v[4:5], v[4:5] op_sel:[0,1]
	buffer_load_dword v5, off, s[0:3], 0 offset:532
	buffer_load_dword v4, off, s[0:3], 0 offset:528
	v_accvgpr_write_b32 a189, v119
	v_accvgpr_write_b32 a188, v118
	s_waitcnt vmcnt(0)
	v_pk_mov_b32 v[120:121], v[4:5], v[4:5] op_sel:[0,1]
	buffer_load_dword v5, off, s[0:3], 0 offset:524
	buffer_load_dword v4, off, s[0:3], 0 offset:520
	v_accvgpr_write_b32 a191, v121
	v_accvgpr_write_b32 a190, v120
	s_waitcnt vmcnt(0)
	v_pk_mov_b32 v[14:15], v[4:5], v[4:5] op_sel:[0,1]
	buffer_load_dword v5, off, s[0:3], 0 offset:516
	buffer_load_dword v4, off, s[0:3], 0 offset:512
	v_pk_mov_b32 v[144:145], v[14:15], v[14:15] op_sel:[0,1]
	s_waitcnt vmcnt(0)
	v_pk_mov_b32 v[122:123], v[4:5], v[4:5] op_sel:[0,1]
	buffer_load_dword v5, off, s[0:3], 0 offset:572
	buffer_load_dword v4, off, s[0:3], 0 offset:568
	v_accvgpr_write_b32 a187, v123
	v_accvgpr_write_b32 a186, v122
	s_waitcnt vmcnt(0)
	v_pk_mov_b32 v[126:127], v[4:5], v[4:5] op_sel:[0,1]
	buffer_load_dword v5, off, s[0:3], 0 offset:564
	buffer_load_dword v4, off, s[0:3], 0 offset:560
	v_accvgpr_write_b32 a197, v127
	v_accvgpr_write_b32 a196, v126
	;; [unrolled: 6-line block ×7, first 2 shown]
	s_waitcnt vmcnt(0)
	v_pk_mov_b32 v[186:187], v[4:5], v[4:5] op_sel:[0,1]
	buffer_load_dword v5, off, s[0:3], 0 offset:580
	buffer_load_dword v4, off, s[0:3], 0 offset:576
	ds_read_b128 v[182:185], v142 offset:1232
	ds_read_b128 v[194:197], v142 offset:1248
	;; [unrolled: 1-line block ×9, first 2 shown]
	buffer_load_dword v147, off, s[0:3], 0 offset:620
	buffer_load_dword v146, off, s[0:3], 0 offset:616
	;; [unrolled: 1-line block ×4, first 2 shown]
	ds_read_b128 v[246:249], v142 offset:1376
	buffer_load_dword v149, off, s[0:3], 0 offset:636
	buffer_load_dword v148, off, s[0:3], 0 offset:632
	;; [unrolled: 1-line block ×8, first 2 shown]
	ds_read_b128 v[250:253], v142 offset:1392
	ds_read_b128 v[58:61], v142 offset:1408
	;; [unrolled: 1-line block ×4, first 2 shown]
	v_accvgpr_write_b32 a201, v187
	v_accvgpr_write_b32 a200, v186
	s_waitcnt lgkmcnt(7)
	v_mul_f64 v[50:51], v[236:237], v[226:227]
	s_waitcnt lgkmcnt(5)
	v_mul_f64 v[68:69], v[244:245], v[222:223]
	;; [unrolled: 2-line block ×3, first 2 shown]
	v_fmac_f64_e32 v[8:9], v[84:85], v[100:101]
	v_mul_f64 v[84:85], v[84:85], v[96:97]
	ds_read_b128 v[128:131], v142 offset:1472
	s_waitcnt lgkmcnt(0)
	v_mul_f64 v[16:17], v[128:129], v[118:119]
	v_fmac_f64_e32 v[16:17], v[130:131], v[120:121]
	s_waitcnt vmcnt(12)
	v_pk_mov_b32 v[188:189], v[4:5], v[4:5] op_sel:[0,1]
	v_mul_f64 v[4:5], v[42:43], v[70:71]
	v_fmac_f64_e32 v[4:5], v[44:45], v[88:89]
	v_add_f64 v[2:3], v[2:3], v[4:5]
	v_mul_f64 v[4:5], v[182:183], v[94:95]
	v_fmac_f64_e32 v[4:5], v[184:185], v[98:99]
	v_add_f64 v[2:3], v[2:3], v[4:5]
	;; [unrolled: 3-line block ×14, first 2 shown]
	ds_read_b128 v[2:5], v142 offset:1456
	buffer_load_dword v155, off, s[0:3], 0 offset:668
	buffer_load_dword v154, off, s[0:3], 0 offset:664
	ds_read_b128 v[138:141], v142 offset:1488
	ds_read_b128 v[134:137], v142 offset:1504
	v_add_f64 v[10:11], v[6:7], v[8:9]
	s_waitcnt lgkmcnt(2)
	v_mul_f64 v[12:13], v[2:3], v[14:15]
	v_fmac_f64_e32 v[12:13], v[4:5], v[122:123]
	s_waitcnt lgkmcnt(1)
	v_mul_f64 v[172:173], v[138:139], v[124:125]
	ds_read_b128 v[122:125], v142 offset:1520
	ds_read_b128 v[118:121], v142 offset:1536
	v_add_f64 v[14:15], v[10:11], v[12:13]
	v_accvgpr_write_b32 a185, v5
	v_add_f64 v[162:163], v[14:15], v[16:17]
	v_fmac_f64_e32 v[172:173], v[140:141], v[180:181]
	s_waitcnt lgkmcnt(2)
	v_mul_f64 v[22:23], v[134:135], v[126:127]
	v_accvgpr_write_b32 a184, v4
	v_accvgpr_write_b32 a183, v3
	;; [unrolled: 1-line block ×3, first 2 shown]
	v_add_f64 v[4:5], v[162:163], v[172:173]
	v_fmac_f64_e32 v[22:23], v[136:137], v[174:175]
	v_add_f64 v[4:5], v[4:5], v[22:23]
	s_waitcnt lgkmcnt(1)
	v_mul_f64 v[22:23], v[122:123], v[186:187]
	v_fmac_f64_e32 v[22:23], v[124:125], v[188:189]
	s_waitcnt lgkmcnt(0)
	v_mul_f64 v[160:161], v[118:119], v[176:177]
	v_add_f64 v[4:5], v[4:5], v[22:23]
	ds_read_b128 v[26:29], v142 offset:1552
	v_fmac_f64_e32 v[160:161], v[120:121], v[178:179]
	v_add_f64 v[172:173], v[4:5], v[160:161]
	buffer_load_dword v161, off, s[0:3], 0 offset:660
	buffer_load_dword v160, off, s[0:3], 0 offset:656
	v_mul_f64 v[4:5], v[56:57], v[156:157]
	buffer_load_dword v156, off, s[0:3], 0 offset:696
	buffer_load_dword v126, off, s[0:3], 0 offset:688
	;; [unrolled: 1-line block ×4, first 2 shown]
	v_fma_f64 v[186:187], v[30:31], v[164:165], -v[32:33]
	buffer_load_dword v165, off, s[0:3], 0 offset:676
	buffer_load_dword v164, off, s[0:3], 0 offset:672
	buffer_load_dword v157, off, s[0:3], 0 offset:700
	s_waitcnt vmcnt(21) lgkmcnt(0)
	v_mul_f64 v[30:31], v[26:27], v[146:147]
	buffer_load_dword v127, off, s[0:3], 0 offset:692
	s_waitcnt vmcnt(20)
	v_fmac_f64_e32 v[30:31], v[28:29], v[0:1]
	v_fma_f64 v[86:87], v[54:55], v[86:87], -v[4:5]
	v_add_f64 v[54:55], v[172:173], v[30:31]
	ds_read_b128 v[30:33], v142 offset:1568
	ds_read_b128 v[34:37], v142 offset:1584
	;; [unrolled: 1-line block ×3, first 2 shown]
	buffer_load_dword v23, off, s[0:3], 0 offset:716
	buffer_load_dword v22, off, s[0:3], 0 offset:712
	;; [unrolled: 1-line block ×16, first 2 shown]
	v_mul_f64 v[12:13], v[48:49], v[72:73]
	v_mul_f64 v[44:45], v[44:45], v[70:71]
	v_accvgpr_write_b32 a203, v189
	v_fma_f64 v[14:15], v[46:47], v[78:79], -v[12:13]
	v_fma_f64 v[12:13], v[42:43], v[88:89], -v[44:45]
	v_mul_f64 v[42:43], v[184:185], v[94:95]
	v_accvgpr_write_b32 a202, v188
	v_fma_f64 v[94:95], v[182:183], v[98:99], -v[42:43]
	buffer_load_dword v183, off, s[0:3], 0 offset:780
	buffer_load_dword v182, off, s[0:3], 0 offset:776
	;; [unrolled: 1-line block ×8, first 2 shown]
	s_waitcnt vmcnt(42) lgkmcnt(2)
	v_mul_f64 v[8:9], v[30:31], v[148:149]
	s_waitcnt vmcnt(40)
	v_fmac_f64_e32 v[8:9], v[32:33], v[150:151]
	v_add_f64 v[8:9], v[54:55], v[8:9]
	s_waitcnt vmcnt(38) lgkmcnt(1)
	v_mul_f64 v[54:55], v[34:35], v[152:153]
	v_mul_f64 v[42:43], v[196:197], v[90:91]
	s_waitcnt vmcnt(36)
	v_fmac_f64_e32 v[54:55], v[36:37], v[132:133]
	v_fma_f64 v[10:11], v[194:195], v[92:93], -v[42:43]
	v_mul_f64 v[42:43], v[200:201], v[190:191]
	v_add_f64 v[54:55], v[8:9], v[54:55]
	v_fma_f64 v[8:9], v[198:199], v[192:193], -v[42:43]
	buffer_load_dword v191, off, s[0:3], 0 offset:828
	buffer_load_dword v193, off, s[0:3], 0 offset:812
	buffer_load_dword v192, off, s[0:3], 0 offset:808
	buffer_load_dword v199, off, s[0:3], 0 offset:804
	buffer_load_dword v198, off, s[0:3], 0 offset:800
	buffer_load_dword v190, off, s[0:3], 0 offset:824
	buffer_load_dword v197, off, s[0:3], 0 offset:820
	buffer_load_dword v196, off, s[0:3], 0 offset:816
	buffer_load_dword v195, off, s[0:3], 0 offset:844
	buffer_load_dword v194, off, s[0:3], 0 offset:840
	buffer_load_dword v201, off, s[0:3], 0 offset:836
	buffer_load_dword v200, off, s[0:3], 0 offset:832
	v_mul_f64 v[42:43], v[208:209], v[202:203]
	v_fma_f64 v[6:7], v[206:207], v[204:205], -v[42:43]
	v_mul_f64 v[42:43], v[212:213], v[254:255]
	v_fma_f64 v[254:255], v[210:211], v[66:67], -v[42:43]
	buffer_load_dword v205, off, s[0:3], 0 offset:860
	buffer_load_dword v204, off, s[0:3], 0 offset:856
	;; [unrolled: 1-line block ×12, first 2 shown]
	ds_read_b128 v[42:45], v142 offset:1616
	v_mul_f64 v[46:47], v[232:233], v[102:103]
	v_fma_f64 v[4:5], v[230:231], v[104:105], -v[46:47]
	ds_read_b128 v[46:49], v142 offset:1632
	v_fma_f64 v[236:237], v[234:235], v[228:229], -v[50:51]
	ds_read_b128 v[50:53], v142 offset:1648
	ds_read_b128 v[228:231], v142 offset:1680
	v_mul_f64 v[66:67], v[240:241], v[218:219]
	ds_read_b128 v[232:235], v142 offset:1696
	v_fma_f64 v[240:241], v[238:239], v[220:221], -v[66:67]
	v_fma_f64 v[218:219], v[242:243], v[224:225], -v[68:69]
	v_mul_f64 v[70:71], v[248:249], v[114:115]
	s_waitcnt vmcnt(58) lgkmcnt(5)
	v_mul_f64 v[16:17], v[38:39], v[154:155]
	v_fma_f64 v[246:247], v[246:247], v[116:117], -v[70:71]
	ds_read_b128 v[70:73], v142 offset:1728
	v_mul_f64 v[64:65], v[64:65], v[108:109]
	v_fma_f64 v[62:63], v[62:63], v[112:113], -v[64:65]
	v_mul_f64 v[60:61], v[60:61], v[106:107]
	v_accvgpr_write_b32 a209, v63
	v_fma_f64 v[2:3], v[58:59], v[110:111], -v[60:61]
	ds_read_b128 v[58:61], v142 offset:1776
	v_accvgpr_write_b32 a208, v62
	ds_read_b128 v[62:65], v142 offset:1808
	v_add_f64 v[24:25], v[24:25], v[86:87]
	v_add_f64 v[24:25], v[24:25], v[186:187]
	;; [unrolled: 1-line block ×16, first 2 shown]
	s_waitcnt vmcnt(56)
	v_fmac_f64_e32 v[16:17], v[40:41], v[160:161]
	v_add_f64 v[16:17], v[54:55], v[16:17]
	s_waitcnt vmcnt(52) lgkmcnt(7)
	v_mul_f64 v[54:55], v[42:43], v[162:163]
	s_waitcnt vmcnt(50)
	v_fmac_f64_e32 v[54:55], v[44:45], v[164:165]
	v_add_f64 v[16:17], v[16:17], v[54:55]
	s_waitcnt vmcnt(49) lgkmcnt(6)
	v_mul_f64 v[54:55], v[46:47], v[156:157]
	s_waitcnt vmcnt(48)
	v_fmac_f64_e32 v[54:55], v[48:49], v[126:127]
	v_add_f64 v[16:17], v[16:17], v[54:55]
	v_add_f64 v[4:5], v[4:5], v[246:247]
	v_accvgpr_read_b32 v6, a182
	v_accvgpr_read_b32 v8, a184
	s_waitcnt vmcnt(46) lgkmcnt(5)
	v_mul_f64 v[54:55], v[50:51], v[22:23]
	v_accvgpr_read_b32 v9, a185
	s_waitcnt vmcnt(44)
	v_fmac_f64_e32 v[54:55], v[52:53], v[168:169]
	v_add_f64 v[16:17], v[16:17], v[54:55]
	ds_read_b128 v[54:57], v142 offset:1664
	v_accvgpr_read_b32 v7, a183
	s_waitcnt vmcnt(42) lgkmcnt(0)
	v_mul_f64 v[66:67], v[54:55], v[172:173]
	s_waitcnt vmcnt(40)
	v_fmac_f64_e32 v[66:67], v[56:57], v[174:175]
	v_add_f64 v[16:17], v[16:17], v[66:67]
	s_waitcnt vmcnt(36)
	v_mul_f64 v[66:67], v[228:229], v[178:179]
	s_waitcnt vmcnt(34)
	v_fmac_f64_e32 v[66:67], v[230:231], v[180:181]
	v_add_f64 v[16:17], v[16:17], v[66:67]
	v_mul_f64 v[66:67], v[232:233], v[170:171]
	s_waitcnt vmcnt(32)
	v_fmac_f64_e32 v[66:67], v[234:235], v[176:177]
	v_add_f64 v[16:17], v[16:17], v[66:67]
	ds_read_b128 v[66:69], v142 offset:1712
	s_waitcnt vmcnt(25)
	v_mul_f64 v[78:79], v[70:71], v[184:185]
	s_waitcnt vmcnt(24)
	v_fmac_f64_e32 v[78:79], v[72:73], v[88:89]
	s_waitcnt lgkmcnt(0)
	v_mul_f64 v[74:75], v[66:67], v[182:183]
	v_fmac_f64_e32 v[74:75], v[68:69], v[188:189]
	v_add_f64 v[16:17], v[16:17], v[74:75]
	v_mul_f64 v[74:75], v[252:253], v[214:215]
	v_fma_f64 v[248:249], v[250:251], v[216:217], -v[74:75]
	ds_read_b128 v[74:77], v142 offset:1744
	v_add_f64 v[16:17], v[16:17], v[78:79]
	ds_read_b128 v[78:81], v142 offset:1760
	v_fma_f64 v[252:253], v[82:83], v[100:101], -v[84:85]
	ds_read_b128 v[82:85], v142 offset:1824
	s_waitcnt vmcnt(21) lgkmcnt(2)
	v_mul_f64 v[90:91], v[74:75], v[192:193]
	s_waitcnt vmcnt(19)
	v_fmac_f64_e32 v[90:91], v[76:77], v[198:199]
	v_add_f64 v[16:17], v[16:17], v[90:91]
	s_waitcnt vmcnt(18) lgkmcnt(1)
	v_mul_f64 v[90:91], v[78:79], v[190:191]
	s_waitcnt vmcnt(16)
	v_fmac_f64_e32 v[90:91], v[80:81], v[196:197]
	v_add_f64 v[16:17], v[16:17], v[90:91]
	ds_read_b128 v[90:93], v142 offset:1792
	buffer_load_dword v215, off, s[0:3], 0 offset:908
	buffer_load_dword v214, off, s[0:3], 0 offset:904
	;; [unrolled: 1-line block ×4, first 2 shown]
	s_waitcnt vmcnt(18)
	v_mul_f64 v[98:99], v[58:59], v[194:195]
	s_waitcnt vmcnt(16)
	v_fmac_f64_e32 v[98:99], v[60:61], v[200:201]
	v_add_f64 v[16:17], v[16:17], v[98:99]
	s_waitcnt vmcnt(14) lgkmcnt(0)
	v_mul_f64 v[96:97], v[90:91], v[204:205]
	s_waitcnt vmcnt(12)
	v_fmac_f64_e32 v[96:97], v[92:93], v[206:207]
	ds_read_b128 v[98:101], v142 offset:1840
	v_add_f64 v[16:17], v[16:17], v[96:97]
	s_waitcnt vmcnt(9)
	v_mul_f64 v[96:97], v[62:63], v[210:211]
	s_waitcnt vmcnt(7)
	v_fmac_f64_e32 v[96:97], v[64:65], v[212:213]
	v_add_f64 v[16:17], v[16:17], v[96:97]
	s_waitcnt vmcnt(5)
	v_mul_f64 v[96:97], v[82:83], v[202:203]
	s_waitcnt vmcnt(4)
	v_fmac_f64_e32 v[96:97], v[84:85], v[208:209]
	v_add_f64 v[16:17], v[16:17], v[96:97]
	v_add_f64 v[4:5], v[4:5], v[248:249]
	;; [unrolled: 1-line block ×3, first 2 shown]
	v_accvgpr_read_b32 v2, a208
	v_accvgpr_read_b32 v3, a209
	v_mul_f64 v[4:5], v[8:9], v[144:145]
	v_accvgpr_read_b32 v8, a186
	v_add_f64 v[2:3], v[254:255], v[2:3]
	v_accvgpr_read_b32 v9, a187
	v_add_f64 v[2:3], v[2:3], v[252:253]
	v_fma_f64 v[4:5], v[6:7], v[8:9], -v[4:5]
	v_add_f64 v[2:3], v[2:3], v[4:5]
	v_accvgpr_read_b32 v4, a188
	v_accvgpr_read_b32 v5, a189
	v_accvgpr_read_b32 v6, a190
	v_mul_f64 v[4:5], v[130:131], v[4:5]
	v_accvgpr_read_b32 v7, a191
	v_fma_f64 v[4:5], v[128:129], v[6:7], -v[4:5]
	v_add_f64 v[2:3], v[2:3], v[4:5]
	v_accvgpr_read_b32 v4, a192
	v_accvgpr_read_b32 v5, a193
	v_accvgpr_read_b32 v6, a194
	v_mul_f64 v[4:5], v[140:141], v[4:5]
	v_accvgpr_read_b32 v7, a195
	v_fma_f64 v[4:5], v[138:139], v[6:7], -v[4:5]
	v_add_f64 v[2:3], v[2:3], v[4:5]
	v_accvgpr_read_b32 v4, a196
	v_accvgpr_read_b32 v5, a197
	v_accvgpr_read_b32 v6, a198
	v_mul_f64 v[4:5], v[136:137], v[4:5]
	v_accvgpr_read_b32 v7, a199
	v_fma_f64 v[4:5], v[134:135], v[6:7], -v[4:5]
	v_add_f64 v[2:3], v[2:3], v[4:5]
	v_accvgpr_read_b32 v4, a200
	v_accvgpr_read_b32 v5, a201
	v_accvgpr_read_b32 v6, a202
	v_mul_f64 v[4:5], v[124:125], v[4:5]
	v_accvgpr_read_b32 v7, a203
	v_fma_f64 v[4:5], v[122:123], v[6:7], -v[4:5]
	v_add_f64 v[2:3], v[2:3], v[4:5]
	v_accvgpr_read_b32 v4, a204
	v_accvgpr_read_b32 v5, a205
	v_accvgpr_read_b32 v6, a206
	v_mul_f64 v[4:5], v[120:121], v[4:5]
	v_accvgpr_read_b32 v7, a207
	v_fma_f64 v[4:5], v[118:119], v[6:7], -v[4:5]
	v_add_f64 v[2:3], v[2:3], v[4:5]
	v_mul_f64 v[4:5], v[28:29], v[146:147]
	v_fma_f64 v[4:5], v[26:27], v[0:1], -v[4:5]
	v_add_f64 v[2:3], v[2:3], v[4:5]
	v_mul_f64 v[4:5], v[32:33], v[148:149]
	;; [unrolled: 3-line block ×6, first 2 shown]
	v_fma_f64 v[4:5], v[46:47], v[126:127], -v[4:5]
	v_add_f64 v[2:3], v[2:3], v[4:5]
	s_waitcnt vmcnt(2) lgkmcnt(0)
	v_mul_f64 v[96:97], v[98:99], v[214:215]
	v_mul_f64 v[4:5], v[52:53], v[22:23]
	s_waitcnt vmcnt(0)
	v_fmac_f64_e32 v[96:97], v[100:101], v[216:217]
	v_add_f64 v[16:17], v[16:17], v[96:97]
	buffer_load_dword v96, off, s[0:3], 0 offset:920
	buffer_load_dword v97, off, s[0:3], 0 offset:924
	;; [unrolled: 1-line block ×4, first 2 shown]
	ds_read_b128 v[102:105], v142 offset:1856
	buffer_load_dword v223, off, s[0:3], 0 offset:940
	buffer_load_dword v222, off, s[0:3], 0 offset:936
	;; [unrolled: 1-line block ×4, first 2 shown]
	v_fma_f64 v[4:5], v[50:51], v[168:169], -v[4:5]
	v_add_f64 v[2:3], v[2:3], v[4:5]
	v_mul_f64 v[4:5], v[56:57], v[172:173]
	v_fma_f64 v[4:5], v[54:55], v[174:175], -v[4:5]
	v_add_f64 v[2:3], v[2:3], v[4:5]
	v_mul_f64 v[4:5], v[230:231], v[178:179]
	;; [unrolled: 3-line block ×12, first 2 shown]
	v_fma_f64 v[4:5], v[98:99], v[216:217], -v[4:5]
	v_add_f64 v[2:3], v[2:3], v[4:5]
	v_accvgpr_read_b32 v0, a179
	v_cmp_lt_u32_e32 vcc, 6, v0
	s_waitcnt vmcnt(6) lgkmcnt(0)
	v_mul_f64 v[106:107], v[102:103], v[96:97]
	v_mul_f64 v[4:5], v[104:105], v[96:97]
	s_waitcnt vmcnt(4)
	v_fmac_f64_e32 v[106:107], v[104:105], v[220:221]
	v_add_f64 v[16:17], v[16:17], v[106:107]
	ds_read_b128 v[106:109], v142 offset:1872
	buffer_load_dword v226, off, s[0:3], 0 offset:952
	buffer_load_dword v227, off, s[0:3], 0 offset:956
	;; [unrolled: 1-line block ×4, first 2 shown]
	v_fma_f64 v[4:5], v[102:103], v[220:221], -v[4:5]
	v_add_f64 v[2:3], v[2:3], v[4:5]
	s_waitcnt vmcnt(6) lgkmcnt(0)
	v_mul_f64 v[110:111], v[106:107], v[222:223]
	s_waitcnt vmcnt(4)
	v_fmac_f64_e32 v[110:111], v[108:109], v[224:225]
	v_add_f64 v[16:17], v[16:17], v[110:111]
	ds_read_b128 v[110:113], v142 offset:1888
	buffer_load_dword v243, off, s[0:3], 0 offset:972
	buffer_load_dword v242, off, s[0:3], 0 offset:968
	;; [unrolled: 1-line block ×4, first 2 shown]
	v_mul_f64 v[4:5], v[108:109], v[222:223]
	v_fma_f64 v[4:5], v[106:107], v[224:225], -v[4:5]
	v_add_f64 v[2:3], v[2:3], v[4:5]
	s_waitcnt vmcnt(6) lgkmcnt(0)
	v_mul_f64 v[114:115], v[110:111], v[226:227]
	v_mul_f64 v[4:5], v[112:113], v[226:227]
	s_waitcnt vmcnt(4)
	v_fmac_f64_e32 v[114:115], v[112:113], v[238:239]
	v_add_f64 v[16:17], v[16:17], v[114:115]
	ds_read_b128 v[114:117], v142 offset:1904
	buffer_load_dword v248, off, s[0:3], 0 offset:128
	buffer_load_dword v249, off, s[0:3], 0 offset:132
	buffer_load_dword v246, off, s[0:3], 0 offset:136
	buffer_load_dword v247, off, s[0:3], 0 offset:140
	v_fma_f64 v[4:5], v[110:111], v[238:239], -v[4:5]
	v_add_f64 v[2:3], v[2:3], v[4:5]
	s_waitcnt vmcnt(6) lgkmcnt(0)
	v_mul_f64 v[4:5], v[116:117], v[242:243]
	v_mul_f64 v[250:251], v[114:115], v[242:243]
	s_waitcnt vmcnt(4)
	v_fma_f64 v[4:5], v[114:115], v[244:245], -v[4:5]
	v_fmac_f64_e32 v[250:251], v[116:117], v[244:245]
	v_add_f64 v[2:3], v[2:3], v[4:5]
	v_add_f64 v[16:17], v[16:17], v[250:251]
	s_waitcnt vmcnt(2)
	v_add_f64 v[2:3], v[248:249], -v[2:3]
	s_waitcnt vmcnt(0)
	v_add_f64 v[4:5], v[246:247], -v[16:17]
	buffer_store_dword v3, off, s[0:3], 0 offset:132
	buffer_store_dword v2, off, s[0:3], 0 offset:128
	;; [unrolled: 1-line block ×4, first 2 shown]
	s_and_saveexec_b64 s[4:5], vcc
	s_cbranch_execz .LBB59_361
; %bb.360:
	v_accvgpr_read_b32 v0, a173
	buffer_load_dword v2, v0, s[0:3], 0 offen
	buffer_load_dword v3, v0, s[0:3], 0 offen offset:4
	buffer_load_dword v4, v0, s[0:3], 0 offen offset:8
	;; [unrolled: 1-line block ×3, first 2 shown]
	v_mov_b32_e32 v0, 0
	v_accvgpr_read_b32 v1, a180
	buffer_store_dword v0, off, s[0:3], 0 offset:112
	buffer_store_dword v0, off, s[0:3], 0 offset:116
	;; [unrolled: 1-line block ×4, first 2 shown]
	s_waitcnt vmcnt(4)
	ds_write_b128 v1, v[2:5]
.LBB59_361:
	s_or_b64 exec, exec, s[4:5]
	s_waitcnt lgkmcnt(0)
	; wave barrier
	s_waitcnt lgkmcnt(0)
	buffer_load_dword v248, off, s[0:3], 0 offset:128
	buffer_load_dword v249, off, s[0:3], 0 offset:132
	buffer_load_dword v16, off, s[0:3], 0 offset:136
	buffer_load_dword v17, off, s[0:3], 0 offset:140
	buffer_load_dword v156, off, s[0:3], 0 offset:144
	buffer_load_dword v157, off, s[0:3], 0 offset:148
	buffer_load_dword v20, off, s[0:3], 0 offset:152
	buffer_load_dword v21, off, s[0:3], 0 offset:156
	buffer_load_dword v26, off, s[0:3], 0 offset:168
	buffer_load_dword v27, off, s[0:3], 0 offset:172
	buffer_load_dword v31, off, s[0:3], 0 offset:204
	buffer_load_dword v30, off, s[0:3], 0 offset:200
	buffer_load_dword v33, off, s[0:3], 0 offset:196
	buffer_load_dword v32, off, s[0:3], 0 offset:192
	buffer_load_dword v29, off, s[0:3], 0 offset:188
	buffer_load_dword v28, off, s[0:3], 0 offset:184
	buffer_load_dword v45, off, s[0:3], 0 offset:236
	buffer_load_dword v44, off, s[0:3], 0 offset:232
	buffer_load_dword v47, off, s[0:3], 0 offset:228
	buffer_load_dword v46, off, s[0:3], 0 offset:224
	buffer_load_dword v35, off, s[0:3], 0 offset:220
	buffer_load_dword v34, off, s[0:3], 0 offset:216
	buffer_load_dword v43, off, s[0:3], 0 offset:252
	buffer_load_dword v42, off, s[0:3], 0 offset:248
	buffer_load_dword v250, off, s[0:3], 0 offset:160
	buffer_load_dword v251, off, s[0:3], 0 offset:164
	buffer_load_dword v39, off, s[0:3], 0 offset:180
	buffer_load_dword v38, off, s[0:3], 0 offset:176
	buffer_load_dword v37, off, s[0:3], 0 offset:212
	buffer_load_dword v36, off, s[0:3], 0 offset:208
	buffer_load_dword v51, off, s[0:3], 0 offset:244
	buffer_load_dword v50, off, s[0:3], 0 offset:240
	buffer_load_dword v48, off, s[0:3], 0 offset:264
	buffer_load_dword v52, off, s[0:3], 0 offset:256
	buffer_load_dword v53, off, s[0:3], 0 offset:260
	buffer_load_dword v49, off, s[0:3], 0 offset:268
	v_mov_b32_e32 v146, 0
	buffer_load_dword v55, off, s[0:3], 0 offset:300
	buffer_load_dword v54, off, s[0:3], 0 offset:296
	;; [unrolled: 1-line block ×18, first 2 shown]
	ds_read_b128 v[22:25], v146 offset:1072
	ds_read_b128 v[110:113], v146 offset:1088
	;; [unrolled: 1-line block ×9, first 2 shown]
	s_waitcnt vmcnt(50) lgkmcnt(8)
	v_mul_f64 v[2:3], v[22:23], v[16:17]
	v_fmac_f64_e32 v[2:3], v[24:25], v[248:249]
	v_add_f64 v[2:3], v[2:3], 0
	v_mul_f64 v[16:17], v[24:25], v[16:17]
	s_waitcnt vmcnt(46) lgkmcnt(7)
	v_mul_f64 v[4:5], v[110:111], v[20:21]
	v_fmac_f64_e32 v[4:5], v[112:113], v[156:157]
	s_waitcnt vmcnt(44) lgkmcnt(6)
	v_mul_f64 v[6:7], v[114:115], v[26:27]
	v_add_f64 v[2:3], v[2:3], v[4:5]
	s_waitcnt vmcnt(42) lgkmcnt(4)
	v_mul_f64 v[10:11], v[164:165], v[30:31]
	v_fma_f64 v[248:249], v[22:23], v[248:249], -v[16:17]
	s_waitcnt vmcnt(40)
	v_fmac_f64_e32 v[10:11], v[166:167], v[32:33]
	v_mul_f64 v[20:21], v[112:113], v[20:21]
	s_waitcnt vmcnt(38)
	v_mul_f64 v[8:9], v[160:161], v[28:29]
	v_fma_f64 v[252:253], v[110:111], v[156:157], -v[20:21]
	s_waitcnt vmcnt(36) lgkmcnt(2)
	v_mul_f64 v[68:69], v[172:173], v[44:45]
	v_mul_f64 v[26:27], v[116:117], v[26:27]
	s_waitcnt vmcnt(34)
	v_fmac_f64_e32 v[68:69], v[174:175], v[46:47]
	v_mul_f64 v[28:29], v[162:163], v[28:29]
	s_waitcnt vmcnt(32)
	v_mul_f64 v[12:13], v[168:169], v[34:35]
	v_mul_f64 v[30:31], v[166:167], v[30:31]
	s_waitcnt vmcnt(30) lgkmcnt(1)
	v_mul_f64 v[138:139], v[176:177], v[42:43]
	v_mul_f64 v[34:35], v[170:171], v[34:35]
	s_waitcnt vmcnt(28)
	v_fmac_f64_e32 v[6:7], v[116:117], v[250:251]
	v_add_f64 v[2:3], v[2:3], v[6:7]
	s_waitcnt vmcnt(26)
	v_fmac_f64_e32 v[8:9], v[162:163], v[38:39]
	v_add_f64 v[2:3], v[2:3], v[8:9]
	;; [unrolled: 3-line block ×3, first 2 shown]
	v_add_f64 v[2:3], v[2:3], v[12:13]
	v_add_f64 v[2:3], v[2:3], v[68:69]
	buffer_load_dword v109, off, s[0:3], 0 offset:356
	buffer_load_dword v108, off, s[0:3], 0 offset:352
	;; [unrolled: 1-line block ×40, first 2 shown]
	s_waitcnt vmcnt(62)
	v_fmac_f64_e32 v[138:139], v[178:179], v[50:51]
	s_waitcnt vmcnt(58) lgkmcnt(0)
	v_mul_f64 v[4:5], v[180:181], v[48:49]
	v_add_f64 v[2:3], v[2:3], v[138:139]
	v_fmac_f64_e32 v[4:5], v[182:183], v[52:53]
	v_add_f64 v[2:3], v[2:3], v[4:5]
	v_fma_f64 v[254:255], v[114:115], v[250:251], -v[26:27]
	v_fma_f64 v[250:251], v[160:161], v[38:39], -v[28:29]
	v_fma_f64 v[162:163], v[168:169], v[36:37], -v[34:35]
	v_mul_f64 v[42:43], v[178:179], v[42:43]
	v_fma_f64 v[114:115], v[176:177], v[50:51], -v[42:43]
	v_mul_f64 v[42:43], v[182:183], v[48:49]
	v_fma_f64 v[116:117], v[180:181], v[52:53], -v[42:43]
	s_waitcnt vmcnt(0)
	v_pk_mov_b32 v[6:7], v[0:1], v[0:1] op_sel:[0,1]
	buffer_load_dword v1, off, s[0:3], 0 offset:516
	buffer_load_dword v0, off, s[0:3], 0 offset:512
	v_pk_mov_b32 v[148:149], v[6:7], v[6:7] op_sel:[0,1]
	s_waitcnt vmcnt(0)
	v_pk_mov_b32 v[8:9], v[0:1], v[0:1] op_sel:[0,1]
	buffer_load_dword v91, off, s[0:3], 0 offset:508
	buffer_load_dword v90, off, s[0:3], 0 offset:504
	;; [unrolled: 1-line block ×6, first 2 shown]
	v_accvgpr_write_b32 a187, v9
	v_accvgpr_write_b32 a186, v8
	s_waitcnt vmcnt(0)
	v_pk_mov_b32 v[118:119], v[0:1], v[0:1] op_sel:[0,1]
	buffer_load_dword v1, off, s[0:3], 0 offset:548
	buffer_load_dword v0, off, s[0:3], 0 offset:544
	v_accvgpr_write_b32 a193, v119
	v_accvgpr_write_b32 a192, v118
	s_waitcnt vmcnt(0)
	v_pk_mov_b32 v[120:121], v[0:1], v[0:1] op_sel:[0,1]
	buffer_load_dword v1, off, s[0:3], 0 offset:540
	buffer_load_dword v0, off, s[0:3], 0 offset:536
	;; [unrolled: 6-line block ×7, first 2 shown]
	ds_read_b128 v[184:187], v146 offset:1216
	ds_read_b128 v[188:191], v146 offset:1232
	;; [unrolled: 1-line block ×9, first 2 shown]
	s_waitcnt lgkmcnt(8)
	v_mul_f64 v[4:5], v[184:185], v[58:59]
	v_fmac_f64_e32 v[4:5], v[186:187], v[60:61]
	v_add_f64 v[2:3], v[2:3], v[4:5]
	s_waitcnt lgkmcnt(7)
	v_mul_f64 v[4:5], v[188:189], v[54:55]
	v_fmac_f64_e32 v[4:5], v[190:191], v[56:57]
	v_add_f64 v[2:3], v[2:3], v[4:5]
	;; [unrolled: 4-line block ×9, first 2 shown]
	v_accvgpr_write_b32 a197, v127
	v_accvgpr_write_b32 a196, v126
	v_mul_f64 v[42:43], v[186:187], v[58:59]
	v_mul_f64 v[16:17], v[212:213], v[104:105]
	v_fma_f64 v[16:17], v[210:211], v[106:107], -v[16:17]
	v_mul_f64 v[50:51], v[216:217], v[84:85]
	s_waitcnt vmcnt(0)
	v_pk_mov_b32 v[128:129], v[0:1], v[0:1] op_sel:[0,1]
	buffer_load_dword v19, off, s[0:3], 0 offset:604
	buffer_load_dword v18, off, s[0:3], 0 offset:600
	;; [unrolled: 1-line block ×4, first 2 shown]
	ds_read_b128 v[222:225], v146 offset:1360
	buffer_load_dword v15, off, s[0:3], 0 offset:620
	buffer_load_dword v14, off, s[0:3], 0 offset:616
	;; [unrolled: 1-line block ×12, first 2 shown]
	ds_read_b128 v[226:229], v146 offset:1376
	ds_read_b128 v[230:233], v146 offset:1392
	s_waitcnt lgkmcnt(2)
	v_mul_f64 v[4:5], v[222:223], v[68:69]
	v_fmac_f64_e32 v[4:5], v[224:225], v[70:71]
	ds_read_b128 v[234:237], v146 offset:1408
	ds_read_b128 v[238:241], v146 offset:1424
	v_add_f64 v[2:3], v[2:3], v[4:5]
	s_waitcnt lgkmcnt(3)
	v_mul_f64 v[4:5], v[226:227], v[72:73]
	v_fmac_f64_e32 v[4:5], v[228:229], v[82:83]
	v_add_f64 v[2:3], v[2:3], v[4:5]
	s_waitcnt lgkmcnt(2)
	v_mul_f64 v[4:5], v[230:231], v[74:75]
	v_fmac_f64_e32 v[4:5], v[232:233], v[76:77]
	v_add_f64 v[2:3], v[2:3], v[4:5]
	s_waitcnt lgkmcnt(1)
	v_mul_f64 v[4:5], v[234:235], v[78:79]
	ds_read_b128 v[242:245], v146 offset:1440
	ds_read_b128 v[140:143], v146 offset:1456
	v_fmac_f64_e32 v[4:5], v[236:237], v[80:81]
	v_add_f64 v[2:3], v[2:3], v[4:5]
	s_waitcnt lgkmcnt(2)
	v_mul_f64 v[4:5], v[238:239], v[86:87]
	v_fmac_f64_e32 v[4:5], v[240:241], v[88:89]
	v_add_f64 v[10:11], v[2:3], v[4:5]
	ds_read_b128 v[2:5], v146 offset:1472
	ds_read_b128 v[130:133], v146 offset:1488
	s_waitcnt lgkmcnt(3)
	v_mul_f64 v[12:13], v[242:243], v[90:91]
	v_fmac_f64_e32 v[12:13], v[244:245], v[92:93]
	v_add_f64 v[10:11], v[10:11], v[12:13]
	s_waitcnt lgkmcnt(2)
	v_mul_f64 v[12:13], v[140:141], v[6:7]
	v_fmac_f64_e32 v[12:13], v[142:143], v[8:9]
	v_add_f64 v[10:11], v[10:11], v[12:13]
	s_waitcnt lgkmcnt(1)
	v_mul_f64 v[12:13], v[2:3], v[122:123]
	v_fmac_f64_e32 v[12:13], v[4:5], v[124:125]
	s_waitcnt lgkmcnt(0)
	v_mul_f64 v[22:23], v[130:131], v[118:119]
	v_add_f64 v[154:155], v[10:11], v[12:13]
	ds_read_b128 v[122:125], v146 offset:1504
	v_fmac_f64_e32 v[22:23], v[132:133], v[120:121]
	v_add_f64 v[22:23], v[154:155], v[22:23]
	ds_read_b128 v[154:157], v146 offset:1520
	v_accvgpr_write_b32 a199, v129
	s_waitcnt lgkmcnt(1)
	v_mul_f64 v[24:25], v[122:123], v[126:127]
	v_fmac_f64_e32 v[24:25], v[124:125], v[128:129]
	v_accvgpr_write_b32 a198, v128
	ds_read_b128 v[126:129], v146 offset:1536
	s_waitcnt lgkmcnt(1)
	v_mul_f64 v[26:27], v[154:155], v[134:135]
	v_fmac_f64_e32 v[26:27], v[156:157], v[158:159]
	buffer_load_dword v159, off, s[0:3], 0 offset:668
	buffer_load_dword v158, off, s[0:3], 0 offset:664
	;; [unrolled: 1-line block ×7, first 2 shown]
	ds_read_b128 v[118:121], v146 offset:1552
	v_add_f64 v[110:111], v[22:23], v[24:25]
	buffer_load_dword v139, off, s[0:3], 0 offset:676
	v_fma_f64 v[24:25], v[164:165], v[32:33], -v[30:31]
	ds_read_b128 v[30:33], v146 offset:1568
	v_accvgpr_write_b32 a185, v5
	ds_read_b128 v[34:37], v146 offset:1584
	v_accvgpr_write_b32 a184, v4
	v_accvgpr_write_b32 a183, v3
	;; [unrolled: 1-line block ×3, first 2 shown]
	v_add_f64 v[26:27], v[110:111], v[26:27]
	v_fma_f64 v[22:23], v[184:185], v[60:61], -v[42:43]
	v_mul_f64 v[42:43], v[190:191], v[54:55]
	v_fma_f64 v[20:21], v[188:189], v[56:57], -v[42:43]
	v_mul_f64 v[42:43], v[194:195], v[96:97]
	v_mul_f64 v[12:13], v[198:199], v[64:65]
	;; [unrolled: 1-line block ×4, first 2 shown]
	v_fma_f64 v[2:3], v[234:235], v[80:81], -v[78:79]
	v_mul_f64 v[86:87], v[240:241], v[86:87]
	v_fma_f64 v[240:241], v[238:239], v[88:89], -v[86:87]
	v_mul_f64 v[90:91], v[244:245], v[90:91]
	v_fma_f64 v[90:91], v[242:243], v[92:93], -v[90:91]
	v_accvgpr_write_b32 a211, v91
	v_accvgpr_write_b32 a210, v90
	s_waitcnt vmcnt(22) lgkmcnt(3)
	v_mul_f64 v[28:29], v[126:127], v[18:19]
	v_accvgpr_write_b32 a205, v19
	s_waitcnt vmcnt(20)
	v_fmac_f64_e32 v[28:29], v[128:129], v[0:1]
	s_waitcnt vmcnt(18) lgkmcnt(2)
	v_mul_f64 v[4:5], v[118:119], v[14:15]
	v_add_f64 v[38:39], v[26:27], v[28:29]
	s_waitcnt vmcnt(16)
	v_fmac_f64_e32 v[4:5], v[120:121], v[152:153]
	v_add_f64 v[4:5], v[38:39], v[4:5]
	s_waitcnt vmcnt(13) lgkmcnt(1)
	v_mul_f64 v[38:39], v[30:31], v[150:151]
	s_waitcnt vmcnt(11)
	v_fmac_f64_e32 v[38:39], v[32:33], v[144:145]
	v_add_f64 v[4:5], v[4:5], v[38:39]
	s_waitcnt vmcnt(10) lgkmcnt(0)
	v_mul_f64 v[38:39], v[34:35], v[40:41]
	v_accvgpr_write_b32 a207, v1
	s_waitcnt vmcnt(8)
	v_fmac_f64_e32 v[38:39], v[36:37], v[136:137]
	v_accvgpr_write_b32 a206, v0
	v_pk_mov_b32 v[0:1], v[40:41], v[40:41] op_sel:[0,1]
	v_add_f64 v[110:111], v[4:5], v[38:39]
	ds_read_b128 v[38:41], v146 offset:1600
	buffer_load_dword v27, off, s[0:3], 0 offset:700
	buffer_load_dword v26, off, s[0:3], 0 offset:696
	;; [unrolled: 1-line block ×9, first 2 shown]
	v_mul_f64 v[4:5], v[174:175], v[44:45]
	v_fma_f64 v[112:113], v[172:173], v[46:47], -v[4:5]
	buffer_load_dword v175, off, s[0:3], 0 offset:732
	buffer_load_dword v174, off, s[0:3], 0 offset:728
	;; [unrolled: 1-line block ×19, first 2 shown]
	v_accvgpr_write_b32 a209, v15
	v_accvgpr_write_b32 a204, v18
	;; [unrolled: 1-line block ×3, first 2 shown]
	v_fma_f64 v[18:19], v[192:193], v[98:99], -v[42:43]
	v_fma_f64 v[14:15], v[196:197], v[66:67], -v[12:13]
	buffer_load_dword v191, off, s[0:3], 0 offset:812
	buffer_load_dword v190, off, s[0:3], 0 offset:808
	;; [unrolled: 1-line block ×8, first 2 shown]
	v_mul_f64 v[42:43], v[202:203], v[208:209]
	v_fma_f64 v[246:247], v[200:201], v[246:247], -v[42:43]
	buffer_load_dword v201, off, s[0:3], 0 offset:844
	buffer_load_dword v200, off, s[0:3], 0 offset:840
	;; [unrolled: 1-line block ×4, first 2 shown]
	v_mul_f64 v[42:43], v[206:207], v[62:63]
	v_fma_f64 v[12:13], v[204:205], v[108:109], -v[42:43]
	buffer_load_dword v198, off, s[0:3], 0 offset:872
	buffer_load_dword v207, off, s[0:3], 0 offset:860
	;; [unrolled: 1-line block ×8, first 2 shown]
	ds_read_b128 v[42:45], v146 offset:1616
	buffer_load_dword v211, off, s[0:3], 0 offset:892
	buffer_load_dword v210, off, s[0:3], 0 offset:888
	buffer_load_dword v213, off, s[0:3], 0 offset:884
	buffer_load_dword v212, off, s[0:3], 0 offset:880
	v_mul_f64 v[62:63], v[224:225], v[68:69]
	v_fma_f64 v[8:9], v[222:223], v[70:71], -v[62:63]
	ds_read_b128 v[62:65], v146 offset:1696
	v_fma_f64 v[4:5], v[230:231], v[76:77], -v[74:75]
	ds_read_b128 v[78:81], v146 offset:1760
	ds_read_b128 v[86:89], v146 offset:1792
	;; [unrolled: 1-line block ×4, first 2 shown]
	s_waitcnt vmcnt(58) lgkmcnt(6)
	v_mul_f64 v[46:47], v[38:39], v[158:159]
	s_waitcnt vmcnt(54)
	v_fmac_f64_e32 v[46:47], v[40:41], v[160:161]
	s_waitcnt vmcnt(53) lgkmcnt(5)
	v_mul_f64 v[48:49], v[42:43], v[134:135]
	v_add_f64 v[46:47], v[110:111], v[46:47]
	v_fma_f64 v[110:111], v[214:215], v[94:95], -v[50:51]
	s_waitcnt vmcnt(52)
	v_fmac_f64_e32 v[48:49], v[44:45], v[138:139]
	v_add_f64 v[54:55], v[46:47], v[48:49]
	ds_read_b128 v[46:49], v146 offset:1632
	ds_read_b128 v[50:53], v146 offset:1648
	s_waitcnt vmcnt(50) lgkmcnt(1)
	v_mul_f64 v[56:57], v[46:47], v[26:27]
	s_waitcnt vmcnt(48)
	v_fmac_f64_e32 v[56:57], v[48:49], v[168:169]
	v_add_f64 v[58:59], v[54:55], v[56:57]
	v_mul_f64 v[54:55], v[220:221], v[100:101]
	v_fma_f64 v[10:11], v[218:219], v[102:103], -v[54:55]
	ds_read_b128 v[54:57], v146 offset:1664
	s_waitcnt vmcnt(46) lgkmcnt(1)
	v_mul_f64 v[60:61], v[50:51], v[166:167]
	s_waitcnt vmcnt(44)
	v_fmac_f64_e32 v[60:61], v[52:53], v[170:171]
	v_add_f64 v[66:67], v[58:59], v[60:61]
	ds_read_b128 v[58:61], v146 offset:1680
	s_waitcnt vmcnt(41) lgkmcnt(1)
	v_mul_f64 v[68:69], v[54:55], v[174:175]
	s_waitcnt vmcnt(39)
	v_fmac_f64_e32 v[68:69], v[56:57], v[178:179]
	v_add_f64 v[70:71], v[66:67], v[68:69]
	v_mul_f64 v[66:67], v[228:229], v[72:73]
	v_fma_f64 v[6:7], v[226:227], v[82:83], -v[66:67]
	ds_read_b128 v[66:69], v146 offset:1712
	s_waitcnt vmcnt(38) lgkmcnt(1)
	v_mul_f64 v[84:85], v[58:59], v[164:165]
	s_waitcnt vmcnt(36)
	v_fmac_f64_e32 v[84:85], v[60:61], v[176:177]
	s_waitcnt vmcnt(33)
	v_mul_f64 v[72:73], v[62:63], v[182:183]
	v_add_f64 v[70:71], v[70:71], v[84:85]
	s_waitcnt vmcnt(31)
	v_fmac_f64_e32 v[72:73], v[64:65], v[184:185]
	v_add_f64 v[70:71], v[70:71], v[72:73]
	s_waitcnt vmcnt(29) lgkmcnt(0)
	v_mul_f64 v[72:73], v[66:67], v[172:173]
	s_waitcnt vmcnt(28)
	v_fmac_f64_e32 v[72:73], v[68:69], v[180:181]
	v_add_f64 v[82:83], v[70:71], v[72:73]
	ds_read_b128 v[70:73], v146 offset:1728
	s_waitcnt vmcnt(26) lgkmcnt(0)
	v_mul_f64 v[84:85], v[70:71], v[186:187]
	s_waitcnt vmcnt(24)
	v_fmac_f64_e32 v[84:85], v[72:73], v[188:189]
	v_add_f64 v[28:29], v[82:83], v[84:85]
	s_waitcnt vmcnt(22)
	v_mul_f64 v[82:83], v[74:75], v[190:191]
	s_waitcnt vmcnt(20)
	v_fmac_f64_e32 v[82:83], v[76:77], v[194:195]
	v_add_f64 v[28:29], v[28:29], v[82:83]
	s_waitcnt vmcnt(18)
	v_mul_f64 v[82:83], v[78:79], v[192:193]
	s_waitcnt vmcnt(16)
	v_fmac_f64_e32 v[82:83], v[80:81], v[196:197]
	v_add_f64 v[28:29], v[28:29], v[82:83]
	ds_read_b128 v[82:85], v146 offset:1776
	s_waitcnt vmcnt(14) lgkmcnt(0)
	v_mul_f64 v[94:95], v[82:83], v[200:201]
	s_waitcnt vmcnt(12)
	v_fmac_f64_e32 v[94:95], v[84:85], v[202:203]
	v_add_f64 v[28:29], v[28:29], v[94:95]
	s_waitcnt vmcnt(9)
	v_mul_f64 v[94:95], v[86:87], v[206:207]
	s_waitcnt vmcnt(7)
	v_fmac_f64_e32 v[94:95], v[88:89], v[208:209]
	v_add_f64 v[28:29], v[28:29], v[94:95]
	s_waitcnt vmcnt(5)
	v_mul_f64 v[94:95], v[90:91], v[198:199]
	s_waitcnt vmcnt(4)
	v_fmac_f64_e32 v[94:95], v[92:93], v[204:205]
	v_add_f64 v[28:29], v[28:29], v[94:95]
	ds_read_b128 v[94:97], v146 offset:1824
	buffer_load_dword v214, off, s[0:3], 0 offset:904
	buffer_load_dword v215, off, s[0:3], 0 offset:908
	buffer_load_dword v216, off, s[0:3], 0 offset:896
	buffer_load_dword v217, off, s[0:3], 0 offset:900
	s_waitcnt vmcnt(6) lgkmcnt(0)
	v_mul_f64 v[98:99], v[94:95], v[210:211]
	s_waitcnt vmcnt(4)
	v_fmac_f64_e32 v[98:99], v[96:97], v[212:213]
	v_add_f64 v[28:29], v[28:29], v[98:99]
	ds_read_b128 v[98:101], v146 offset:1840
	buffer_load_dword v219, off, s[0:3], 0 offset:924
	buffer_load_dword v218, off, s[0:3], 0 offset:920
	buffer_load_dword v221, off, s[0:3], 0 offset:916
	buffer_load_dword v220, off, s[0:3], 0 offset:912
	s_waitcnt vmcnt(6) lgkmcnt(0)
	;; [unrolled: 10-line block ×3, first 2 shown]
	v_mul_f64 v[106:107], v[102:103], v[218:219]
	s_waitcnt vmcnt(4)
	v_fmac_f64_e32 v[106:107], v[104:105], v[220:221]
	v_add_f64 v[28:29], v[28:29], v[106:107]
	ds_read_b128 v[106:109], v146 offset:1872
	s_waitcnt vmcnt(2) lgkmcnt(0)
	v_mul_f64 v[226:227], v[106:107], v[222:223]
	s_waitcnt vmcnt(0)
	v_fmac_f64_e32 v[226:227], v[108:109], v[224:225]
	v_add_f64 v[28:29], v[28:29], v[226:227]
	buffer_load_dword v227, off, s[0:3], 0 offset:956
	buffer_load_dword v226, off, s[0:3], 0 offset:952
	;; [unrolled: 1-line block ×4, first 2 shown]
	ds_read_b128 v[230:233], v146 offset:1888
	buffer_load_dword v242, off, s[0:3], 0 offset:968
	buffer_load_dword v243, off, s[0:3], 0 offset:972
	;; [unrolled: 1-line block ×4, first 2 shown]
	s_waitcnt vmcnt(6) lgkmcnt(0)
	v_mul_f64 v[234:235], v[230:231], v[226:227]
	s_waitcnt vmcnt(4)
	v_fmac_f64_e32 v[234:235], v[232:233], v[238:239]
	v_add_f64 v[28:29], v[28:29], v[234:235]
	ds_read_b128 v[234:237], v146 offset:1904
	s_waitcnt vmcnt(2) lgkmcnt(0)
	v_mul_f64 v[228:229], v[234:235], v[242:243]
	s_waitcnt vmcnt(0)
	v_fmac_f64_e32 v[228:229], v[236:237], v[244:245]
	v_add_f64 v[28:29], v[28:29], v[228:229]
	v_add_f64 v[228:229], v[248:249], 0
	;; [unrolled: 1-line block ×17, first 2 shown]
	buffer_load_dword v248, off, s[0:3], 0 offset:112
	buffer_load_dword v249, off, s[0:3], 0 offset:116
	v_add_f64 v[12:13], v[12:13], v[110:111]
	buffer_load_dword v246, off, s[0:3], 0 offset:120
	buffer_load_dword v247, off, s[0:3], 0 offset:124
	v_add_f64 v[10:11], v[12:13], v[10:11]
	v_add_f64 v[8:9], v[10:11], v[8:9]
	;; [unrolled: 1-line block ×6, first 2 shown]
	v_accvgpr_read_b32 v2, a210
	v_accvgpr_read_b32 v6, a186
	;; [unrolled: 1-line block ×3, first 2 shown]
	v_mul_f64 v[4:5], v[142:143], v[148:149]
	v_accvgpr_read_b32 v7, a187
	v_add_f64 v[2:3], v[252:253], v[2:3]
	v_fma_f64 v[4:5], v[140:141], v[6:7], -v[4:5]
	v_add_f64 v[2:3], v[2:3], v[4:5]
	v_accvgpr_read_b32 v6, a182
	v_accvgpr_read_b32 v4, a188
	;; [unrolled: 1-line block ×5, first 2 shown]
	v_mul_f64 v[4:5], v[8:9], v[4:5]
	v_accvgpr_read_b32 v8, a190
	v_accvgpr_read_b32 v7, a183
	;; [unrolled: 1-line block ×3, first 2 shown]
	v_fma_f64 v[4:5], v[6:7], v[8:9], -v[4:5]
	v_add_f64 v[2:3], v[2:3], v[4:5]
	v_accvgpr_read_b32 v4, a192
	v_accvgpr_read_b32 v5, a193
	v_accvgpr_read_b32 v6, a194
	v_mul_f64 v[4:5], v[132:133], v[4:5]
	v_accvgpr_read_b32 v7, a195
	v_fma_f64 v[4:5], v[130:131], v[6:7], -v[4:5]
	v_add_f64 v[2:3], v[2:3], v[4:5]
	v_accvgpr_read_b32 v4, a196
	v_accvgpr_read_b32 v5, a197
	v_accvgpr_read_b32 v6, a198
	v_mul_f64 v[4:5], v[124:125], v[4:5]
	v_accvgpr_read_b32 v7, a199
	;; [unrolled: 7-line block ×4, first 2 shown]
	v_fma_f64 v[4:5], v[126:127], v[6:7], -v[4:5]
	v_add_f64 v[2:3], v[2:3], v[4:5]
	v_accvgpr_read_b32 v4, a208
	v_accvgpr_read_b32 v5, a209
	v_mul_f64 v[4:5], v[120:121], v[4:5]
	v_fma_f64 v[4:5], v[118:119], v[152:153], -v[4:5]
	v_add_f64 v[2:3], v[2:3], v[4:5]
	v_mul_f64 v[4:5], v[32:33], v[150:151]
	v_fma_f64 v[4:5], v[30:31], v[144:145], -v[4:5]
	v_add_f64 v[2:3], v[2:3], v[4:5]
	;; [unrolled: 3-line block ×23, first 2 shown]
	v_accvgpr_read_b32 v0, a179
	s_waitcnt vmcnt(2)
	v_add_f64 v[2:3], v[248:249], -v[2:3]
	v_cmp_lt_u32_e32 vcc, 5, v0
	s_waitcnt vmcnt(0)
	v_add_f64 v[4:5], v[246:247], -v[28:29]
	buffer_store_dword v3, off, s[0:3], 0 offset:116
	buffer_store_dword v2, off, s[0:3], 0 offset:112
	;; [unrolled: 1-line block ×4, first 2 shown]
	s_and_saveexec_b64 s[4:5], vcc
	s_cbranch_execz .LBB59_363
; %bb.362:
	v_accvgpr_read_b32 v0, a174
	buffer_load_dword v2, v0, s[0:3], 0 offen
	buffer_load_dword v3, v0, s[0:3], 0 offen offset:4
	buffer_load_dword v4, v0, s[0:3], 0 offen offset:8
	;; [unrolled: 1-line block ×3, first 2 shown]
	v_accvgpr_read_b32 v0, a180
	buffer_store_dword v146, off, s[0:3], 0 offset:96
	buffer_store_dword v146, off, s[0:3], 0 offset:100
	buffer_store_dword v146, off, s[0:3], 0 offset:104
	buffer_store_dword v146, off, s[0:3], 0 offset:108
	s_waitcnt vmcnt(4)
	ds_write_b128 v0, v[2:5]
.LBB59_363:
	s_or_b64 exec, exec, s[4:5]
	s_waitcnt lgkmcnt(0)
	; wave barrier
	s_waitcnt lgkmcnt(0)
	buffer_load_dword v140, off, s[0:3], 0 offset:112
	buffer_load_dword v141, off, s[0:3], 0 offset:116
	;; [unrolled: 1-line block ×42, first 2 shown]
	ds_read_b128 v[14:17], v146 offset:1056
	ds_read_b128 v[26:29], v146 offset:1072
	;; [unrolled: 1-line block ×10, first 2 shown]
	buffer_load_dword v105, off, s[0:3], 0 offset:260
	buffer_load_dword v104, off, s[0:3], 0 offset:256
	ds_read_b128 v[42:45], v146 offset:1216
	buffer_load_dword v65, off, s[0:3], 0 offset:316
	buffer_load_dword v64, off, s[0:3], 0 offset:312
	;; [unrolled: 1-line block ×6, first 2 shown]
	s_waitcnt vmcnt(46) lgkmcnt(10)
	v_mul_f64 v[2:3], v[14:15], v[8:9]
	v_fmac_f64_e32 v[2:3], v[16:17], v[140:141]
	v_add_f64 v[2:3], v[2:3], 0
	v_mul_f64 v[8:9], v[16:17], v[8:9]
	s_waitcnt vmcnt(42) lgkmcnt(9)
	v_mul_f64 v[4:5], v[26:27], v[12:13]
	v_fmac_f64_e32 v[4:5], v[28:29], v[138:139]
	s_waitcnt vmcnt(40) lgkmcnt(8)
	v_mul_f64 v[66:67], v[106:107], v[18:19]
	v_add_f64 v[2:3], v[2:3], v[4:5]
	s_waitcnt vmcnt(38) lgkmcnt(6)
	v_mul_f64 v[72:73], v[114:115], v[30:31]
	v_mul_f64 v[12:13], v[28:29], v[12:13]
	s_waitcnt vmcnt(36)
	v_fmac_f64_e32 v[72:73], v[116:117], v[32:33]
	v_fma_f64 v[254:255], v[14:15], v[140:141], -v[8:9]
	s_waitcnt vmcnt(34)
	v_mul_f64 v[68:69], v[110:111], v[22:23]
	v_fma_f64 v[28:29], v[26:27], v[138:139], -v[12:13]
	s_waitcnt vmcnt(32) lgkmcnt(4)
	v_mul_f64 v[76:77], v[162:163], v[38:39]
	v_mul_f64 v[18:19], v[108:109], v[18:19]
	s_waitcnt vmcnt(30)
	v_fmac_f64_e32 v[76:77], v[164:165], v[40:41]
	v_mul_f64 v[22:23], v[112:113], v[22:23]
	s_waitcnt vmcnt(28)
	v_mul_f64 v[74:75], v[154:155], v[34:35]
	v_mul_f64 v[34:35], v[156:157], v[34:35]
	s_waitcnt vmcnt(26) lgkmcnt(2)
	v_mul_f64 v[80:81], v[170:171], v[52:53]
	v_mul_f64 v[30:31], v[116:117], v[30:31]
	;; [unrolled: 1-line block ×3, first 2 shown]
	s_waitcnt vmcnt(23)
	v_mul_f64 v[78:79], v[166:167], v[56:57]
	s_waitcnt vmcnt(21) lgkmcnt(1)
	v_mul_f64 v[142:143], v[46:47], v[50:51]
	v_mul_f64 v[12:13], v[48:49], v[50:51]
	s_waitcnt vmcnt(19)
	v_fmac_f64_e32 v[66:67], v[108:109], v[20:21]
	v_add_f64 v[2:3], v[2:3], v[66:67]
	s_waitcnt vmcnt(17)
	v_fmac_f64_e32 v[68:69], v[112:113], v[24:25]
	v_add_f64 v[2:3], v[2:3], v[68:69]
	;; [unrolled: 3-line block ×3, first 2 shown]
	v_add_f64 v[2:3], v[2:3], v[74:75]
	s_waitcnt vmcnt(13)
	v_fmac_f64_e32 v[78:79], v[168:169], v[58:59]
	v_add_f64 v[2:3], v[2:3], v[76:77]
	s_waitcnt vmcnt(12)
	v_fmac_f64_e32 v[80:81], v[172:173], v[54:55]
	v_add_f64 v[2:3], v[2:3], v[78:79]
	v_add_f64 v[2:3], v[2:3], v[80:81]
	buffer_load_dword v185, off, s[0:3], 0 offset:292
	buffer_load_dword v184, off, s[0:3], 0 offset:288
	;; [unrolled: 1-line block ×52, first 2 shown]
	s_waitcnt vmcnt(58)
	v_fmac_f64_e32 v[142:143], v[48:49], v[104:105]
	v_add_f64 v[2:3], v[2:3], v[142:143]
	v_fma_f64 v[108:109], v[114:115], v[32:33], -v[30:31]
	s_waitcnt vmcnt(0)
	v_pk_mov_b32 v[118:119], v[4:5], v[4:5] op_sel:[0,1]
	buffer_load_dword v5, off, s[0:3], 0 offset:532
	buffer_load_dword v4, off, s[0:3], 0 offset:528
	v_accvgpr_write_b32 a189, v119
	v_accvgpr_write_b32 a188, v118
	s_waitcnt vmcnt(0)
	v_pk_mov_b32 v[120:121], v[4:5], v[4:5] op_sel:[0,1]
	buffer_load_dword v5, off, s[0:3], 0 offset:524
	buffer_load_dword v4, off, s[0:3], 0 offset:520
	v_accvgpr_write_b32 a191, v121
	v_accvgpr_write_b32 a190, v120
	s_waitcnt vmcnt(0)
	v_pk_mov_b32 v[126:127], v[4:5], v[4:5] op_sel:[0,1]
	buffer_load_dword v5, off, s[0:3], 0 offset:516
	buffer_load_dword v4, off, s[0:3], 0 offset:512
	v_pk_mov_b32 v[148:149], v[126:127], v[126:127] op_sel:[0,1]
	s_waitcnt vmcnt(0)
	v_pk_mov_b32 v[128:129], v[4:5], v[4:5] op_sel:[0,1]
	buffer_load_dword v5, off, s[0:3], 0 offset:572
	buffer_load_dword v4, off, s[0:3], 0 offset:568
	v_accvgpr_write_b32 a187, v129
	v_accvgpr_write_b32 a186, v128
	s_waitcnt vmcnt(0)
	v_pk_mov_b32 v[122:123], v[4:5], v[4:5] op_sel:[0,1]
	buffer_load_dword v5, off, s[0:3], 0 offset:564
	buffer_load_dword v4, off, s[0:3], 0 offset:560
	v_accvgpr_write_b32 a197, v123
	v_accvgpr_write_b32 a196, v122
	;; [unrolled: 6-line block ×7, first 2 shown]
	s_waitcnt vmcnt(0)
	v_pk_mov_b32 v[182:183], v[4:5], v[4:5] op_sel:[0,1]
	buffer_load_dword v5, off, s[0:3], 0 offset:580
	buffer_load_dword v4, off, s[0:3], 0 offset:576
	ds_read_b128 v[174:177], v146 offset:1232
	ds_read_b128 v[190:193], v146 offset:1248
	;; [unrolled: 1-line block ×7, first 2 shown]
	buffer_load_dword v135, off, s[0:3], 0 offset:620
	buffer_load_dword v134, off, s[0:3], 0 offset:616
	v_accvgpr_write_b32 a205, v183
	v_accvgpr_write_b32 a204, v182
	s_waitcnt lgkmcnt(6)
	v_mul_f64 v[16:17], v[176:177], v[178:179]
	v_fma_f64 v[16:17], v[174:175], v[184:185], -v[16:17]
	s_waitcnt vmcnt(2)
	v_pk_mov_b32 v[186:187], v[4:5], v[4:5] op_sel:[0,1]
	v_mul_f64 v[4:5], v[42:43], v[60:61]
	v_fmac_f64_e32 v[4:5], v[44:45], v[62:63]
	v_add_f64 v[2:3], v[2:3], v[4:5]
	v_mul_f64 v[4:5], v[174:175], v[178:179]
	v_fmac_f64_e32 v[4:5], v[176:177], v[184:185]
	v_add_f64 v[2:3], v[2:3], v[4:5]
	s_waitcnt lgkmcnt(5)
	v_mul_f64 v[4:5], v[190:191], v[64:65]
	s_waitcnt vmcnt(0)
	v_pk_mov_b32 v[188:189], v[134:135], v[134:135] op_sel:[0,1]
	buffer_load_dword v135, off, s[0:3], 0 offset:612
	buffer_load_dword v134, off, s[0:3], 0 offset:608
	ds_read_b128 v[218:221], v146 offset:1344
	buffer_load_dword v136, off, s[0:3], 0 offset:632
	buffer_load_dword v137, off, s[0:3], 0 offset:636
	;; [unrolled: 1-line block ×4, first 2 shown]
	ds_read_b128 v[222:225], v146 offset:1360
	ds_read_b128 v[226:229], v146 offset:1376
	;; [unrolled: 1-line block ×4, first 2 shown]
	buffer_load_dword v7, off, s[0:3], 0 offset:652
	buffer_load_dword v6, off, s[0:3], 0 offset:648
	buffer_load_dword v1, off, s[0:3], 0 offset:644
	buffer_load_dword v0, off, s[0:3], 0 offset:640
	v_fmac_f64_e32 v[4:5], v[192:193], v[70:71]
	v_add_f64 v[2:3], v[2:3], v[4:5]
	s_waitcnt lgkmcnt(9)
	v_mul_f64 v[4:5], v[194:195], v[246:247]
	v_fmac_f64_e32 v[4:5], v[196:197], v[248:249]
	v_add_f64 v[2:3], v[2:3], v[4:5]
	s_waitcnt lgkmcnt(8)
	v_mul_f64 v[4:5], v[198:199], v[206:207]
	;; [unrolled: 4-line block ×8, first 2 shown]
	v_fmac_f64_e32 v[4:5], v[228:229], v[68:69]
	ds_read_b128 v[238:241], v146 offset:1424
	ds_read_b128 v[242:245], v146 offset:1440
	v_add_f64 v[2:3], v[2:3], v[4:5]
	s_waitcnt lgkmcnt(3)
	v_mul_f64 v[4:5], v[230:231], v[72:73]
	v_fmac_f64_e32 v[4:5], v[232:233], v[74:75]
	v_add_f64 v[2:3], v[2:3], v[4:5]
	s_waitcnt lgkmcnt(2)
	v_mul_f64 v[4:5], v[234:235], v[78:79]
	v_fmac_f64_e32 v[4:5], v[236:237], v[80:81]
	;; [unrolled: 4-line block ×4, first 2 shown]
	v_add_f64 v[158:159], v[2:3], v[4:5]
	ds_read_b128 v[2:5], v146 offset:1456
	ds_read_b128 v[142:145], v146 offset:1472
	;; [unrolled: 1-line block ×4, first 2 shown]
	v_accvgpr_write_b32 a207, v187
	s_waitcnt lgkmcnt(3)
	v_mul_f64 v[14:15], v[2:3], v[126:127]
	v_accvgpr_write_b32 a185, v5
	v_fmac_f64_e32 v[14:15], v[4:5], v[128:129]
	v_accvgpr_write_b32 a184, v4
	v_accvgpr_write_b32 a183, v3
	;; [unrolled: 1-line block ×3, first 2 shown]
	s_waitcnt lgkmcnt(2)
	v_mul_f64 v[4:5], v[142:143], v[118:119]
	s_waitcnt lgkmcnt(1)
	v_mul_f64 v[26:27], v[150:151], v[130:131]
	v_add_f64 v[14:15], v[158:159], v[14:15]
	v_fmac_f64_e32 v[4:5], v[144:145], v[120:121]
	v_fmac_f64_e32 v[26:27], v[152:153], v[132:133]
	ds_read_b128 v[130:133], v146 offset:1520
	ds_read_b128 v[126:129], v146 offset:1536
	v_add_f64 v[4:5], v[14:15], v[4:5]
	v_add_f64 v[4:5], v[4:5], v[26:27]
	s_waitcnt lgkmcnt(2)
	v_mul_f64 v[26:27], v[138:139], v[122:123]
	v_fmac_f64_e32 v[26:27], v[140:141], v[124:125]
	ds_read_b128 v[122:125], v146 offset:1552
	ds_read_b128 v[118:121], v146 offset:1568
	v_add_f64 v[4:5], v[4:5], v[26:27]
	s_waitcnt lgkmcnt(3)
	v_mul_f64 v[26:27], v[130:131], v[182:183]
	v_fmac_f64_e32 v[26:27], v[132:133], v[186:187]
	v_add_f64 v[4:5], v[4:5], v[26:27]
	s_waitcnt lgkmcnt(2)
	v_mul_f64 v[26:27], v[126:127], v[160:161]
	v_fma_f64 v[158:159], v[106:107], v[20:21], -v[18:19]
	v_fma_f64 v[106:107], v[110:111], v[24:25], -v[22:23]
	v_fmac_f64_e32 v[26:27], v[128:129], v[180:181]
	s_waitcnt lgkmcnt(1)
	v_mul_f64 v[110:111], v[122:123], v[188:189]
	v_add_f64 v[4:5], v[4:5], v[26:27]
	s_waitcnt vmcnt(8)
	v_fmac_f64_e32 v[110:111], v[124:125], v[134:135]
	s_waitcnt vmcnt(6) lgkmcnt(0)
	v_mul_f64 v[112:113], v[118:119], v[136:137]
	v_add_f64 v[4:5], v[4:5], v[110:111]
	v_fma_f64 v[110:111], v[154:155], v[36:37], -v[34:35]
	ds_read_b128 v[34:37], v146 offset:1584
	buffer_load_dword v155, off, s[0:3], 0 offset:668
	buffer_load_dword v154, off, s[0:3], 0 offset:664
	s_waitcnt vmcnt(6)
	v_fmac_f64_e32 v[112:113], v[120:121], v[10:11]
	v_add_f64 v[112:113], v[4:5], v[112:113]
	buffer_load_dword v161, off, s[0:3], 0 offset:660
	buffer_load_dword v160, off, s[0:3], 0 offset:656
	v_mul_f64 v[4:5], v[164:165], v[38:39]
	v_fma_f64 v[180:181], v[162:163], v[40:41], -v[4:5]
	buffer_load_dword v156, off, s[0:3], 0 offset:696
	buffer_load_dword v30, off, s[0:3], 0 offset:688
	;; [unrolled: 1-line block ×8, first 2 shown]
	v_mul_f64 v[38:39], v[168:169], v[56:57]
	v_fma_f64 v[20:21], v[166:167], v[58:59], -v[38:39]
	ds_read_b128 v[38:41], v146 offset:1600
	v_fma_f64 v[18:19], v[170:171], v[54:55], -v[52:53]
	buffer_load_dword v167, off, s[0:3], 0 offset:716
	buffer_load_dword v166, off, s[0:3], 0 offset:712
	;; [unrolled: 1-line block ×8, first 2 shown]
	s_waitcnt vmcnt(22) lgkmcnt(1)
	v_mul_f64 v[8:9], v[34:35], v[6:7]
	s_waitcnt vmcnt(20)
	v_fmac_f64_e32 v[8:9], v[36:37], v[0:1]
	v_add_f64 v[8:9], v[112:113], v[8:9]
	buffer_load_dword v177, off, s[0:3], 0 offset:748
	buffer_load_dword v176, off, s[0:3], 0 offset:744
	buffer_load_dword v113, off, s[0:3], 0 offset:740
	buffer_load_dword v112, off, s[0:3], 0 offset:736
	buffer_load_dword v179, off, s[0:3], 0 offset:764
	buffer_load_dword v178, off, s[0:3], 0 offset:760
	buffer_load_dword v183, off, s[0:3], 0 offset:756
	buffer_load_dword v182, off, s[0:3], 0 offset:752
	v_accvgpr_write_b32 a209, v189
	v_accvgpr_write_b32 a206, v186
	;; [unrolled: 1-line block ×3, first 2 shown]
	buffer_load_dword v174, off, s[0:3], 0 offset:792
	buffer_load_dword v187, off, s[0:3], 0 offset:780
	buffer_load_dword v186, off, s[0:3], 0 offset:776
	buffer_load_dword v189, off, s[0:3], 0 offset:772
	buffer_load_dword v188, off, s[0:3], 0 offset:768
	buffer_load_dword v184, off, s[0:3], 0 offset:784
	buffer_load_dword v175, off, s[0:3], 0 offset:796
	buffer_load_dword v185, off, s[0:3], 0 offset:788
	v_mul_f64 v[44:45], v[44:45], v[60:61]
	v_accvgpr_write_b32 a213, v137
	v_fma_f64 v[14:15], v[46:47], v[104:105], -v[12:13]
	v_fma_f64 v[12:13], v[42:43], v[62:63], -v[44:45]
	v_mul_f64 v[42:43], v[192:193], v[64:65]
	v_accvgpr_write_b32 a212, v136
	v_pk_mov_b32 v[136:137], v[10:11], v[10:11] op_sel:[0,1]
	v_fma_f64 v[10:11], v[190:191], v[70:71], -v[42:43]
	buffer_load_dword v191, off, s[0:3], 0 offset:812
	buffer_load_dword v190, off, s[0:3], 0 offset:808
	;; [unrolled: 1-line block ×4, first 2 shown]
	v_mul_f64 v[42:43], v[200:201], v[206:207]
	v_mul_f64 v[26:27], v[196:197], v[246:247]
	v_fma_f64 v[246:247], v[198:199], v[208:209], -v[42:43]
	buffer_load_dword v196, off, s[0:3], 0 offset:824
	buffer_load_dword v198, off, s[0:3], 0 offset:816
	;; [unrolled: 1-line block ×4, first 2 shown]
	v_mul_f64 v[42:43], v[204:205], v[250:251]
	v_fma_f64 v[26:27], v[194:195], v[248:249], -v[26:27]
	v_fma_f64 v[248:249], v[202:203], v[252:253], -v[42:43]
	buffer_load_dword v195, off, s[0:3], 0 offset:860
	buffer_load_dword v201, off, s[0:3], 0 offset:844
	;; [unrolled: 1-line block ×12, first 2 shown]
	v_mul_f64 v[46:47], v[212:213], v[96:97]
	ds_read_b128 v[42:45], v146 offset:1616
	v_fma_f64 v[250:251], v[210:211], v[98:99], -v[46:47]
	buffer_load_dword v210, off, s[0:3], 0 offset:888
	buffer_load_dword v212, off, s[0:3], 0 offset:880
	;; [unrolled: 1-line block ×4, first 2 shown]
	v_mul_f64 v[46:47], v[216:217], v[100:101]
	v_fma_f64 v[252:253], v[214:215], v[102:103], -v[46:47]
	ds_read_b128 v[46:49], v146 offset:1632
	v_accvgpr_write_b32 a211, v135
	v_mul_f64 v[54:55], v[220:221], v[76:77]
	v_accvgpr_write_b32 a210, v134
	v_pk_mov_b32 v[134:135], v[6:7], v[6:7] op_sel:[0,1]
	v_fma_f64 v[6:7], v[218:219], v[86:87], -v[54:55]
	ds_read_b128 v[54:57], v146 offset:1664
	v_mul_f64 v[66:67], v[228:229], v[66:67]
	ds_read_b128 v[58:61], v146 offset:1680
	v_fma_f64 v[4:5], v[226:227], v[68:69], -v[66:67]
	v_mul_f64 v[70:71], v[232:233], v[72:73]
	v_fma_f64 v[214:215], v[230:231], v[74:75], -v[70:71]
	ds_read_b128 v[70:73], v146 offset:1728
	ds_read_b128 v[74:77], v146 offset:1744
	;; [unrolled: 1-line block ×3, first 2 shown]
	s_waitcnt vmcnt(58) lgkmcnt(7)
	v_mul_f64 v[50:51], v[38:39], v[154:155]
	s_waitcnt vmcnt(56)
	v_fmac_f64_e32 v[50:51], v[40:41], v[160:161]
	v_add_f64 v[8:9], v[8:9], v[50:51]
	s_waitcnt vmcnt(52) lgkmcnt(6)
	v_mul_f64 v[50:51], v[42:43], v[162:163]
	s_waitcnt vmcnt(50)
	v_fmac_f64_e32 v[50:51], v[44:45], v[164:165]
	v_add_f64 v[8:9], v[8:9], v[50:51]
	;; [unrolled: 5-line block ×3, first 2 shown]
	ds_read_b128 v[50:53], v146 offset:1648
	s_waitcnt vmcnt(41) lgkmcnt(5)
	v_mul_f64 v[62:63], v[54:55], v[168:169]
	s_waitcnt vmcnt(40)
	v_fmac_f64_e32 v[62:63], v[56:57], v[172:173]
	s_waitcnt vmcnt(38) lgkmcnt(4)
	v_mul_f64 v[22:23], v[58:59], v[176:177]
	s_waitcnt vmcnt(36)
	v_fmac_f64_e32 v[22:23], v[60:61], v[112:113]
	s_waitcnt lgkmcnt(0)
	v_mul_f64 v[24:25], v[50:51], v[166:167]
	v_fmac_f64_e32 v[24:25], v[52:53], v[170:171]
	v_add_f64 v[8:9], v[8:9], v[24:25]
	v_add_f64 v[8:9], v[8:9], v[62:63]
	ds_read_b128 v[62:65], v146 offset:1696
	v_add_f64 v[8:9], v[8:9], v[22:23]
	v_mul_f64 v[24:25], v[224:225], v[88:89]
	ds_read_b128 v[86:89], v146 offset:1792
	v_fma_f64 v[24:25], v[222:223], v[94:95], -v[24:25]
	s_waitcnt vmcnt(34) lgkmcnt(1)
	v_mul_f64 v[22:23], v[62:63], v[178:179]
	s_waitcnt vmcnt(32)
	v_fmac_f64_e32 v[22:23], v[64:65], v[182:183]
	v_add_f64 v[8:9], v[8:9], v[22:23]
	s_waitcnt vmcnt(29)
	v_mul_f64 v[22:23], v[66:67], v[186:187]
	s_waitcnt vmcnt(27)
	v_fmac_f64_e32 v[22:23], v[68:69], v[188:189]
	v_add_f64 v[8:9], v[8:9], v[22:23]
	s_waitcnt vmcnt(25)
	v_mul_f64 v[22:23], v[70:71], v[174:175]
	s_waitcnt vmcnt(24)
	v_fmac_f64_e32 v[22:23], v[72:73], v[184:185]
	v_add_f64 v[8:9], v[8:9], v[22:23]
	v_mul_f64 v[22:23], v[236:237], v[78:79]
	v_fma_f64 v[2:3], v[234:235], v[80:81], -v[22:23]
	ds_read_b128 v[78:81], v146 offset:1760
	s_waitcnt vmcnt(22)
	v_mul_f64 v[22:23], v[74:75], v[190:191]
	s_waitcnt vmcnt(20)
	v_fmac_f64_e32 v[22:23], v[76:77], v[192:193]
	v_add_f64 v[22:23], v[8:9], v[22:23]
	v_mul_f64 v[8:9], v[240:241], v[82:83]
	v_fma_f64 v[8:9], v[238:239], v[84:85], -v[8:9]
	ds_read_b128 v[82:85], v146 offset:1776
	s_waitcnt vmcnt(17) lgkmcnt(1)
	v_mul_f64 v[32:33], v[78:79], v[196:197]
	s_waitcnt vmcnt(16)
	v_fmac_f64_e32 v[32:33], v[80:81], v[198:199]
	v_add_f64 v[22:23], v[22:23], v[32:33]
	v_mul_f64 v[32:33], v[244:245], v[90:91]
	v_fma_f64 v[236:237], v[242:243], v[92:93], -v[32:33]
	ds_read_b128 v[90:93], v146 offset:1808
	s_waitcnt vmcnt(13) lgkmcnt(1)
	v_mul_f64 v[32:33], v[82:83], v[200:201]
	s_waitcnt vmcnt(11)
	v_fmac_f64_e32 v[32:33], v[84:85], v[206:207]
	ds_read_b128 v[94:97], v146 offset:1824
	v_add_f64 v[22:23], v[22:23], v[32:33]
	s_waitcnt vmcnt(10)
	v_mul_f64 v[32:33], v[86:87], v[194:195]
	s_waitcnt vmcnt(8)
	v_fmac_f64_e32 v[32:33], v[88:89], v[204:205]
	v_add_f64 v[22:23], v[22:23], v[32:33]
	s_waitcnt vmcnt(6) lgkmcnt(1)
	v_mul_f64 v[32:33], v[90:91], v[202:203]
	s_waitcnt vmcnt(4)
	v_fmac_f64_e32 v[32:33], v[92:93], v[208:209]
	v_add_f64 v[22:23], v[22:23], v[32:33]
	s_waitcnt vmcnt(1) lgkmcnt(0)
	v_mul_f64 v[32:33], v[94:95], v[210:211]
	s_waitcnt vmcnt(0)
	v_fmac_f64_e32 v[32:33], v[96:97], v[212:213]
	v_add_f64 v[32:33], v[22:23], v[32:33]
	buffer_load_dword v23, off, s[0:3], 0 offset:908
	buffer_load_dword v22, off, s[0:3], 0 offset:904
	;; [unrolled: 1-line block ×4, first 2 shown]
	ds_read_b128 v[98:101], v146 offset:1840
	buffer_load_dword v218, off, s[0:3], 0 offset:920
	buffer_load_dword v219, off, s[0:3], 0 offset:924
	;; [unrolled: 1-line block ×4, first 2 shown]
	s_waitcnt vmcnt(6) lgkmcnt(0)
	v_mul_f64 v[102:103], v[98:99], v[22:23]
	s_waitcnt vmcnt(4)
	v_fmac_f64_e32 v[102:103], v[100:101], v[216:217]
	v_add_f64 v[32:33], v[32:33], v[102:103]
	ds_read_b128 v[102:105], v146 offset:1856
	buffer_load_dword v223, off, s[0:3], 0 offset:940
	buffer_load_dword v222, off, s[0:3], 0 offset:936
	buffer_load_dword v225, off, s[0:3], 0 offset:932
	buffer_load_dword v224, off, s[0:3], 0 offset:928
	ds_read_b128 v[228:231], v146 offset:1872
	buffer_load_dword v226, off, s[0:3], 0 offset:952
	buffer_load_dword v227, off, s[0:3], 0 offset:956
	buffer_load_dword v238, off, s[0:3], 0 offset:944
	buffer_load_dword v239, off, s[0:3], 0 offset:948
	;; [unrolled: 5-line block ×3, first 2 shown]
	s_waitcnt vmcnt(14) lgkmcnt(2)
	v_mul_f64 v[114:115], v[102:103], v[218:219]
	s_waitcnt vmcnt(12)
	v_fmac_f64_e32 v[114:115], v[104:105], v[220:221]
	v_add_f64 v[32:33], v[32:33], v[114:115]
	s_waitcnt vmcnt(10) lgkmcnt(1)
	v_mul_f64 v[114:115], v[228:229], v[222:223]
	s_waitcnt vmcnt(8)
	v_fmac_f64_e32 v[114:115], v[230:231], v[224:225]
	v_add_f64 v[32:33], v[32:33], v[114:115]
	;; [unrolled: 5-line block ×3, first 2 shown]
	ds_read_b128 v[114:117], v146 offset:1904
	s_waitcnt vmcnt(2) lgkmcnt(0)
	v_mul_f64 v[240:241], v[114:115], v[242:243]
	s_waitcnt vmcnt(0)
	v_fmac_f64_e32 v[240:241], v[116:117], v[244:245]
	v_add_f64 v[240:241], v[32:33], v[240:241]
	v_add_f64 v[32:33], v[254:255], 0
	;; [unrolled: 1-line block ×22, first 2 shown]
	buffer_load_dword v248, off, s[0:3], 0 offset:96
	buffer_load_dword v249, off, s[0:3], 0 offset:100
	;; [unrolled: 1-line block ×4, first 2 shown]
	v_add_f64 v[4:5], v[4:5], v[214:215]
	v_add_f64 v[254:255], v[4:5], v[2:3]
	;; [unrolled: 1-line block ×3, first 2 shown]
	v_accvgpr_read_b32 v6, a182
	v_accvgpr_read_b32 v8, a184
	;; [unrolled: 1-line block ×3, first 2 shown]
	v_mul_f64 v[4:5], v[8:9], v[148:149]
	v_accvgpr_read_b32 v8, a186
	v_accvgpr_read_b32 v7, a183
	;; [unrolled: 1-line block ×3, first 2 shown]
	v_add_f64 v[2:3], v[2:3], v[236:237]
	v_fma_f64 v[4:5], v[6:7], v[8:9], -v[4:5]
	v_add_f64 v[2:3], v[2:3], v[4:5]
	v_accvgpr_read_b32 v4, a188
	v_accvgpr_read_b32 v5, a189
	v_accvgpr_read_b32 v6, a190
	v_mul_f64 v[4:5], v[144:145], v[4:5]
	v_accvgpr_read_b32 v7, a191
	v_fma_f64 v[4:5], v[142:143], v[6:7], -v[4:5]
	v_add_f64 v[2:3], v[2:3], v[4:5]
	v_accvgpr_read_b32 v4, a192
	v_accvgpr_read_b32 v5, a193
	v_accvgpr_read_b32 v6, a194
	v_mul_f64 v[4:5], v[152:153], v[4:5]
	v_accvgpr_read_b32 v7, a195
	;; [unrolled: 7-line block ×6, first 2 shown]
	v_fma_f64 v[4:5], v[122:123], v[6:7], -v[4:5]
	v_add_f64 v[2:3], v[2:3], v[4:5]
	v_accvgpr_read_b32 v4, a212
	v_accvgpr_read_b32 v5, a213
	v_mul_f64 v[4:5], v[120:121], v[4:5]
	v_fma_f64 v[4:5], v[118:119], v[136:137], -v[4:5]
	v_add_f64 v[2:3], v[2:3], v[4:5]
	v_mul_f64 v[4:5], v[36:37], v[134:135]
	v_fma_f64 v[4:5], v[34:35], v[0:1], -v[4:5]
	v_add_f64 v[2:3], v[2:3], v[4:5]
	;; [unrolled: 3-line block ×22, first 2 shown]
	v_accvgpr_read_b32 v0, a179
	s_waitcnt vmcnt(2)
	v_add_f64 v[2:3], v[248:249], -v[2:3]
	v_cmp_lt_u32_e32 vcc, 4, v0
	s_waitcnt vmcnt(0)
	v_add_f64 v[4:5], v[246:247], -v[240:241]
	buffer_store_dword v3, off, s[0:3], 0 offset:100
	buffer_store_dword v2, off, s[0:3], 0 offset:96
	;; [unrolled: 1-line block ×4, first 2 shown]
	s_and_saveexec_b64 s[4:5], vcc
	s_cbranch_execz .LBB59_365
; %bb.364:
	v_accvgpr_read_b32 v0, a175
	buffer_load_dword v2, v0, s[0:3], 0 offen
	buffer_load_dword v3, v0, s[0:3], 0 offen offset:4
	buffer_load_dword v4, v0, s[0:3], 0 offen offset:8
	;; [unrolled: 1-line block ×3, first 2 shown]
	v_mov_b32_e32 v0, 0
	v_accvgpr_read_b32 v1, a180
	buffer_store_dword v0, off, s[0:3], 0 offset:80
	buffer_store_dword v0, off, s[0:3], 0 offset:84
	;; [unrolled: 1-line block ×4, first 2 shown]
	s_waitcnt vmcnt(4)
	ds_write_b128 v1, v[2:5]
.LBB59_365:
	s_or_b64 exec, exec, s[4:5]
	s_waitcnt lgkmcnt(0)
	; wave barrier
	s_waitcnt lgkmcnt(0)
	buffer_load_dword v132, off, s[0:3], 0 offset:96
	buffer_load_dword v133, off, s[0:3], 0 offset:100
	;; [unrolled: 1-line block ×42, first 2 shown]
	v_mov_b32_e32 v30, 0
	buffer_load_dword v83, off, s[0:3], 0 offset:244
	buffer_load_dword v82, off, s[0:3], 0 offset:240
	;; [unrolled: 1-line block ×7, first 2 shown]
	ds_read_b128 v[10:13], v30 offset:1040
	ds_read_b128 v[22:25], v30 offset:1056
	;; [unrolled: 1-line block ×11, first 2 shown]
	s_waitcnt vmcnt(45) lgkmcnt(10)
	v_mul_f64 v[56:57], v[10:11], v[4:5]
	v_fmac_f64_e32 v[56:57], v[12:13], v[132:133]
	v_add_f64 v[56:57], v[56:57], 0
	v_mul_f64 v[4:5], v[12:13], v[4:5]
	s_waitcnt vmcnt(41) lgkmcnt(9)
	v_mul_f64 v[58:59], v[22:23], v[8:9]
	v_fmac_f64_e32 v[58:59], v[24:25], v[14:15]
	s_waitcnt vmcnt(39) lgkmcnt(8)
	v_mul_f64 v[60:61], v[98:99], v[2:3]
	v_add_f64 v[56:57], v[56:57], v[58:59]
	s_waitcnt vmcnt(37) lgkmcnt(6)
	v_mul_f64 v[64:65], v[106:107], v[26:27]
	v_accvgpr_write_b32 a189, v3
	s_waitcnt vmcnt(35)
	v_fmac_f64_e32 v[64:65], v[108:109], v[28:29]
	v_accvgpr_write_b32 a188, v2
	s_waitcnt vmcnt(33)
	v_mul_f64 v[62:63], v[102:103], v[18:19]
	v_mul_f64 v[8:9], v[24:25], v[8:9]
	s_waitcnt vmcnt(31) lgkmcnt(4)
	v_mul_f64 v[68:69], v[114:115], v[34:35]
	v_fma_f64 v[132:133], v[10:11], v[132:133], -v[4:5]
	s_waitcnt vmcnt(29)
	v_fmac_f64_e32 v[68:69], v[116:117], v[36:37]
	v_mul_f64 v[26:27], v[108:109], v[26:27]
	s_waitcnt vmcnt(27)
	v_mul_f64 v[66:67], v[110:111], v[254:255]
	v_mul_f64 v[34:35], v[116:117], v[34:35]
	s_waitcnt vmcnt(25) lgkmcnt(2)
	v_mul_f64 v[74:75], v[164:165], v[38:39]
	v_mul_f64 v[18:19], v[104:105], v[18:19]
	s_waitcnt vmcnt(22)
	v_mul_f64 v[70:71], v[160:161], v[44:45]
	s_waitcnt vmcnt(20) lgkmcnt(1)
	v_mul_f64 v[138:139], v[170:171], v[42:43]
	v_mul_f64 v[12:13], v[172:173], v[42:43]
	s_waitcnt vmcnt(18)
	v_fmac_f64_e32 v[60:61], v[100:101], v[16:17]
	v_add_f64 v[56:57], v[56:57], v[60:61]
	s_waitcnt vmcnt(16)
	v_fmac_f64_e32 v[62:63], v[104:105], v[20:21]
	v_add_f64 v[56:57], v[56:57], v[62:63]
	;; [unrolled: 3-line block ×3, first 2 shown]
	v_add_f64 v[56:57], v[56:57], v[66:67]
	s_waitcnt vmcnt(12)
	v_fmac_f64_e32 v[70:71], v[162:163], v[46:47]
	v_add_f64 v[56:57], v[56:57], v[68:69]
	s_waitcnt vmcnt(11)
	v_fmac_f64_e32 v[74:75], v[166:167], v[40:41]
	v_add_f64 v[56:57], v[56:57], v[70:71]
	v_add_f64 v[140:141], v[56:57], v[74:75]
	buffer_load_dword v72, off, s[0:3], 0 offset:280
	buffer_load_dword v199, off, s[0:3], 0 offset:276
	;; [unrolled: 1-line block ×53, first 2 shown]
	s_waitcnt vmcnt(58)
	v_fmac_f64_e32 v[138:139], v[172:173], v[82:83]
	v_add_f64 v[138:139], v[140:141], v[138:139]
	s_waitcnt lgkmcnt(0)
	v_mul_f64 v[140:141], v[174:175], v[48:49]
	v_fmac_f64_e32 v[140:141], v[176:177], v[50:51]
	v_add_f64 v[138:139], v[138:139], v[140:141]
	s_waitcnt vmcnt(0)
	v_pk_mov_b32 v[120:121], v[90:91], v[90:91] op_sel:[0,1]
	buffer_load_dword v91, off, s[0:3], 0 offset:516
	buffer_load_dword v90, off, s[0:3], 0 offset:512
	s_waitcnt vmcnt(0)
	v_pk_mov_b32 v[122:123], v[90:91], v[90:91] op_sel:[0,1]
	buffer_load_dword v91, off, s[0:3], 0 offset:508
	buffer_load_dword v90, off, s[0:3], 0 offset:504
	;; [unrolled: 1-line block ×6, first 2 shown]
	v_accvgpr_write_b32 a187, v123
	v_accvgpr_write_b32 a186, v122
	s_waitcnt vmcnt(0)
	v_pk_mov_b32 v[124:125], v[118:119], v[118:119] op_sel:[0,1]
	buffer_load_dword v119, off, s[0:3], 0 offset:548
	buffer_load_dword v118, off, s[0:3], 0 offset:544
	v_accvgpr_write_b32 a201, v125
	v_accvgpr_write_b32 a200, v124
	s_waitcnt vmcnt(0)
	v_pk_mov_b32 v[126:127], v[118:119], v[118:119] op_sel:[0,1]
	buffer_load_dword v119, off, s[0:3], 0 offset:540
	buffer_load_dword v118, off, s[0:3], 0 offset:536
	;; [unrolled: 6-line block ×3, first 2 shown]
	buffer_load_dword v119, off, s[0:3], 0 offset:588
	buffer_load_dword v118, off, s[0:3], 0 offset:584
	v_accvgpr_write_b32 a193, v129
	v_accvgpr_write_b32 a192, v128
	s_waitcnt vmcnt(2)
	v_accvgpr_write_b32 a195, v1
	v_accvgpr_write_b32 a194, v0
	s_waitcnt vmcnt(0)
	v_pk_mov_b32 v[154:155], v[118:119], v[118:119] op_sel:[0,1]
	buffer_load_dword v119, off, s[0:3], 0 offset:580
	buffer_load_dword v118, off, s[0:3], 0 offset:576
	v_accvgpr_write_b32 a209, v155
	v_accvgpr_write_b32 a208, v154
	s_waitcnt vmcnt(0)
	v_pk_mov_b32 v[156:157], v[118:119], v[118:119] op_sel:[0,1]
	buffer_load_dword v119, off, s[0:3], 0 offset:572
	buffer_load_dword v118, off, s[0:3], 0 offset:568
	;; [unrolled: 6-line block ×3, first 2 shown]
	ds_read_b128 v[178:181], v30 offset:1216
	ds_read_b128 v[182:185], v30 offset:1232
	;; [unrolled: 1-line block ×6, first 2 shown]
	s_waitcnt lgkmcnt(5)
	v_mul_f64 v[140:141], v[178:179], v[72:73]
	v_fmac_f64_e32 v[140:141], v[180:181], v[198:199]
	v_add_f64 v[138:139], v[138:139], v[140:141]
	s_waitcnt lgkmcnt(4)
	v_mul_f64 v[140:141], v[182:183], v[54:55]
	v_fmac_f64_e32 v[140:141], v[184:185], v[52:53]
	v_add_f64 v[138:139], v[138:139], v[140:141]
	s_waitcnt lgkmcnt(3)
	v_mul_f64 v[140:141], v[186:187], v[208:209]
	v_fmac_f64_e32 v[140:141], v[188:189], v[246:247]
	ds_read_b128 v[210:213], v30 offset:1312
	v_add_f64 v[138:139], v[138:139], v[140:141]
	s_waitcnt lgkmcnt(3)
	v_mul_f64 v[140:141], v[190:191], v[200:201]
	v_fmac_f64_e32 v[140:141], v[192:193], v[202:203]
	v_add_f64 v[138:139], v[138:139], v[140:141]
	s_waitcnt lgkmcnt(2)
	v_mul_f64 v[140:141], v[194:195], v[250:251]
	v_fmac_f64_e32 v[140:141], v[196:197], v[252:253]
	s_waitcnt lgkmcnt(1)
	v_mul_f64 v[144:145], v[204:205], v[248:249]
	v_add_f64 v[142:143], v[138:139], v[140:141]
	v_fmac_f64_e32 v[144:145], v[206:207], v[96:97]
	s_waitcnt lgkmcnt(0)
	v_mul_f64 v[146:147], v[210:211], v[84:85]
	v_add_f64 v[144:145], v[142:143], v[144:145]
	v_fmac_f64_e32 v[146:147], v[212:213], v[94:95]
	v_add_f64 v[146:147], v[144:145], v[146:147]
	v_fma_f64 v[138:139], v[22:23], v[14:15], -v[8:9]
	v_accvgpr_read_b32 v8, a188
	v_accvgpr_read_b32 v9, a189
	v_pk_mov_b32 v[144:145], v[120:121], v[120:121] op_sel:[0,1]
	v_mul_f64 v[14:15], v[100:101], v[8:9]
	v_accvgpr_write_b32 a213, v159
	v_accvgpr_write_b32 a212, v158
	v_fma_f64 v[100:101], v[106:107], v[28:29], -v[26:27]
	v_fma_f64 v[26:27], v[114:115], v[36:37], -v[34:35]
	v_mul_f64 v[34:35], v[166:167], v[38:39]
	v_mul_f64 v[42:43], v[192:193], v[200:201]
	s_waitcnt vmcnt(0)
	v_pk_mov_b32 v[168:169], v[118:119], v[118:119] op_sel:[0,1]
	buffer_load_dword v7, off, s[0:3], 0 offset:604
	buffer_load_dword v6, off, s[0:3], 0 offset:600
	buffer_load_dword v119, off, s[0:3], 0 offset:596
	buffer_load_dword v118, off, s[0:3], 0 offset:592
	ds_read_b128 v[214:217], v30 offset:1328
	buffer_load_dword v134, off, s[0:3], 0 offset:616
	buffer_load_dword v135, off, s[0:3], 0 offset:620
	;; [unrolled: 1-line block ×4, first 2 shown]
	ds_read_b128 v[218:221], v30 offset:1344
	ds_read_b128 v[222:225], v30 offset:1360
	s_waitcnt lgkmcnt(2)
	v_mul_f64 v[148:149], v[214:215], v[56:57]
	ds_read_b128 v[226:229], v30 offset:1376
	ds_read_b128 v[230:233], v30 offset:1392
	v_fmac_f64_e32 v[148:149], v[216:217], v[58:59]
	v_add_f64 v[146:147], v[146:147], v[148:149]
	s_waitcnt lgkmcnt(3)
	v_mul_f64 v[148:149], v[218:219], v[60:61]
	v_fmac_f64_e32 v[148:149], v[220:221], v[70:71]
	v_add_f64 v[146:147], v[146:147], v[148:149]
	s_waitcnt lgkmcnt(2)
	v_mul_f64 v[148:149], v[222:223], v[62:63]
	buffer_load_dword v131, off, s[0:3], 0 offset:636
	buffer_load_dword v130, off, s[0:3], 0 offset:632
	;; [unrolled: 1-line block ×4, first 2 shown]
	ds_read_b128 v[234:237], v30 offset:1408
	ds_read_b128 v[238:241], v30 offset:1424
	v_fmac_f64_e32 v[148:149], v[224:225], v[64:65]
	s_waitcnt lgkmcnt(3)
	v_mul_f64 v[152:153], v[226:227], v[66:67]
	v_add_f64 v[150:151], v[146:147], v[148:149]
	v_fmac_f64_e32 v[152:153], v[228:229], v[68:69]
	v_add_f64 v[150:151], v[150:151], v[152:153]
	s_waitcnt lgkmcnt(2)
	v_mul_f64 v[152:153], v[230:231], v[74:75]
	ds_read_b128 v[242:245], v30 offset:1440
	ds_read_b128 v[140:143], v30 offset:1456
	v_fmac_f64_e32 v[152:153], v[232:233], v[76:77]
	v_add_f64 v[150:151], v[150:151], v[152:153]
	s_waitcnt lgkmcnt(3)
	v_mul_f64 v[152:153], v[234:235], v[78:79]
	v_fmac_f64_e32 v[152:153], v[236:237], v[80:81]
	ds_read_b128 v[22:25], v30 offset:1472
	v_add_f64 v[150:151], v[150:151], v[152:153]
	s_waitcnt lgkmcnt(3)
	v_mul_f64 v[152:153], v[238:239], v[86:87]
	v_fmac_f64_e32 v[152:153], v[240:241], v[88:89]
	s_waitcnt lgkmcnt(2)
	v_mul_f64 v[10:11], v[242:243], v[90:91]
	v_add_f64 v[150:151], v[150:151], v[152:153]
	v_fmac_f64_e32 v[10:11], v[244:245], v[92:93]
	s_waitcnt lgkmcnt(1)
	v_mul_f64 v[4:5], v[140:141], v[120:121]
	v_add_f64 v[10:11], v[150:151], v[10:11]
	v_fmac_f64_e32 v[4:5], v[142:143], v[122:123]
	ds_read_b128 v[120:123], v30 offset:1488
	v_add_f64 v[4:5], v[10:11], v[4:5]
	s_waitcnt lgkmcnt(1)
	v_pk_mov_b32 v[8:9], v[22:23], v[22:23] op_sel:[0,1]
	v_pk_mov_b32 v[10:11], v[24:25], v[24:25] op_sel:[0,1]
	v_mul_f64 v[22:23], v[8:9], v[128:129]
	v_accvgpr_write_b32 a191, v11
	v_fmac_f64_e32 v[22:23], v[10:11], v[0:1]
	v_accvgpr_write_b32 a190, v10
	v_accvgpr_write_b32 a189, v9
	;; [unrolled: 1-line block ×3, first 2 shown]
	ds_read_b128 v[8:11], v30 offset:1504
	v_accvgpr_write_b32 a185, v143
	v_accvgpr_write_b32 a184, v142
	v_accvgpr_write_b32 a183, v141
	v_accvgpr_write_b32 a182, v140
	ds_read_b128 v[140:143], v30 offset:1520
	v_add_f64 v[4:5], v[4:5], v[22:23]
	s_waitcnt lgkmcnt(2)
	v_mul_f64 v[22:23], v[120:121], v[124:125]
	v_fmac_f64_e32 v[22:23], v[122:123], v[126:127]
	v_add_f64 v[4:5], v[4:5], v[22:23]
	s_waitcnt lgkmcnt(1)
	v_mul_f64 v[22:23], v[8:9], v[158:159]
	v_accvgpr_write_b32 a199, v123
	v_fmac_f64_e32 v[22:23], v[10:11], v[168:169]
	v_accvgpr_write_b32 a198, v122
	v_accvgpr_write_b32 a197, v121
	;; [unrolled: 1-line block ×3, first 2 shown]
	v_add_f64 v[4:5], v[4:5], v[22:23]
	s_waitcnt lgkmcnt(0)
	v_mul_f64 v[22:23], v[140:141], v[154:155]
	ds_read_b128 v[126:129], v30 offset:1536
	ds_read_b128 v[146:149], v30 offset:1552
	;; [unrolled: 1-line block ×3, first 2 shown]
	buffer_load_dword v121, off, s[0:3], 0 offset:652
	buffer_load_dword v120, off, s[0:3], 0 offset:648
	v_fmac_f64_e32 v[22:23], v[142:143], v[156:157]
	buffer_load_dword v157, off, s[0:3], 0 offset:644
	buffer_load_dword v156, off, s[0:3], 0 offset:640
	;; [unrolled: 1-line block ×6, first 2 shown]
	v_accvgpr_write_b32 a207, v11
	v_accvgpr_write_b32 a206, v10
	;; [unrolled: 1-line block ×4, first 2 shown]
	v_mul_f64 v[8:9], v[162:163], v[44:45]
	buffer_load_dword v163, off, s[0:3], 0 offset:660
	buffer_load_dword v162, off, s[0:3], 0 offset:656
	;; [unrolled: 1-line block ×4, first 2 shown]
	v_accvgpr_write_b32 a215, v169
	v_fma_f64 v[150:151], v[98:99], v[16:17], -v[14:15]
	v_accvgpr_write_b32 a214, v168
	v_fma_f64 v[24:25], v[160:161], v[46:47], -v[8:9]
	v_fma_f64 v[16:17], v[164:165], v[40:41], -v[34:35]
	buffer_load_dword v160, off, s[0:3], 0 offset:712
	buffer_load_dword v165, off, s[0:3], 0 offset:700
	;; [unrolled: 1-line block ×8, first 2 shown]
	v_mul_f64 v[34:35], v[176:177], v[48:49]
	v_add_f64 v[4:5], v[4:5], v[22:23]
	v_fma_f64 v[14:15], v[170:171], v[82:83], -v[12:13]
	v_fma_f64 v[12:13], v[174:175], v[50:51], -v[34:35]
	v_mul_f64 v[22:23], v[180:181], v[72:73]
	buffer_load_dword v171, off, s[0:3], 0 offset:748
	buffer_load_dword v175, off, s[0:3], 0 offset:732
	;; [unrolled: 1-line block ×6, first 2 shown]
	v_fma_f64 v[22:23], v[178:179], v[198:199], -v[22:23]
	buffer_load_dword v179, off, s[0:3], 0 offset:740
	buffer_load_dword v178, off, s[0:3], 0 offset:736
	v_mul_f64 v[34:35], v[184:185], v[54:55]
	v_fma_f64 v[10:11], v[182:183], v[52:53], -v[34:35]
	buffer_load_dword v172, off, s[0:3], 0 offset:776
	buffer_load_dword v183, off, s[0:3], 0 offset:764
	buffer_load_dword v182, off, s[0:3], 0 offset:760
	buffer_load_dword v185, off, s[0:3], 0 offset:756
	buffer_load_dword v184, off, s[0:3], 0 offset:752
	buffer_load_dword v180, off, s[0:3], 0 offset:768
	buffer_load_dword v173, off, s[0:3], 0 offset:780
	buffer_load_dword v181, off, s[0:3], 0 offset:772
	v_fma_f64 v[98:99], v[102:103], v[20:21], -v[18:19]
	v_mul_f64 v[20:21], v[188:189], v[208:209]
	ds_read_b128 v[38:41], v30 offset:1584
	ds_read_b128 v[34:37], v30 offset:1600
	v_fma_f64 v[20:21], v[186:187], v[246:247], -v[20:21]
	buffer_load_dword v187, off, s[0:3], 0 offset:796
	buffer_load_dword v186, off, s[0:3], 0 offset:792
	;; [unrolled: 1-line block ×4, first 2 shown]
	v_fma_f64 v[246:247], v[190:191], v[202:203], -v[42:43]
	buffer_load_dword v190, off, s[0:3], 0 offset:808
	buffer_load_dword v192, off, s[0:3], 0 offset:800
	;; [unrolled: 1-line block ×4, first 2 shown]
	v_mul_f64 v[42:43], v[196:197], v[250:251]
	buffer_load_dword v197, off, s[0:3], 0 offset:828
	buffer_load_dword v196, off, s[0:3], 0 offset:824
	;; [unrolled: 1-line block ×8, first 2 shown]
	v_fma_f64 v[250:251], v[194:195], v[252:253], -v[42:43]
	v_mul_f64 v[42:43], v[206:207], v[248:249]
	v_fma_f64 v[248:249], v[204:205], v[96:97], -v[42:43]
	buffer_load_dword v194, off, s[0:3], 0 offset:872
	buffer_load_dword v207, off, s[0:3], 0 offset:860
	;; [unrolled: 1-line block ×8, first 2 shown]
	s_waitcnt vmcnt(62) lgkmcnt(4)
	v_mul_f64 v[102:103], v[126:127], v[6:7]
	v_fmac_f64_e32 v[102:103], v[128:129], v[118:119]
	s_waitcnt lgkmcnt(3)
	v_mul_f64 v[106:107], v[146:147], v[134:135]
	v_add_f64 v[102:103], v[4:5], v[102:103]
	v_fmac_f64_e32 v[106:107], v[148:149], v[2:3]
	s_waitcnt lgkmcnt(2)
	v_mul_f64 v[44:45], v[122:123], v[130:131]
	v_add_f64 v[102:103], v[102:103], v[106:107]
	s_waitcnt vmcnt(60)
	v_fmac_f64_e32 v[44:45], v[124:125], v[136:137]
	v_mul_f64 v[42:43], v[212:213], v[84:85]
	v_add_f64 v[46:47], v[102:103], v[44:45]
	v_fma_f64 v[252:253], v[210:211], v[94:95], -v[42:43]
	ds_read_b128 v[42:45], v30 offset:1616
	v_mul_f64 v[50:51], v[216:217], v[56:57]
	v_fma_f64 v[8:9], v[214:215], v[58:59], -v[50:51]
	ds_read_b128 v[50:53], v30 offset:1648
	v_accvgpr_write_b32 a217, v7
	v_mul_f64 v[62:63], v[224:225], v[62:63]
	v_accvgpr_write_b32 a216, v6
	v_fma_f64 v[6:7], v[222:223], v[64:65], -v[62:63]
	ds_read_b128 v[62:65], v30 offset:1696
	v_mul_f64 v[66:67], v[228:229], v[66:67]
	v_fma_f64 v[226:227], v[226:227], v[68:69], -v[66:67]
	ds_read_b128 v[66:69], v30 offset:1712
	v_mul_f64 v[4:5], v[112:113], v[254:255]
	v_mul_f64 v[78:79], v[236:237], v[78:79]
	v_fma_f64 v[104:105], v[110:111], v[32:33], -v[4:5]
	v_fma_f64 v[4:5], v[234:235], v[80:81], -v[78:79]
	ds_read_b128 v[78:81], v30 offset:1760
	v_mul_f64 v[86:87], v[240:241], v[86:87]
	v_pk_mov_b32 v[0:1], v[2:3], v[2:3] op_sel:[0,1]
	v_fma_f64 v[2:3], v[238:239], v[88:89], -v[86:87]
	ds_read_b128 v[86:89], v30 offset:1792
	v_mul_f64 v[90:91], v[244:245], v[90:91]
	v_fma_f64 v[32:33], v[242:243], v[92:93], -v[90:91]
	ds_read_b128 v[90:93], v30 offset:1808
	v_accvgpr_write_b32 a219, v119
	v_accvgpr_write_b32 a218, v118
	s_waitcnt vmcnt(58) lgkmcnt(8)
	v_mul_f64 v[48:49], v[38:39], v[120:121]
	s_waitcnt vmcnt(56)
	v_fmac_f64_e32 v[48:49], v[40:41], v[156:157]
	v_add_f64 v[46:47], v[46:47], v[48:49]
	s_waitcnt vmcnt(52) lgkmcnt(7)
	v_mul_f64 v[48:49], v[34:35], v[158:159]
	s_waitcnt vmcnt(50)
	v_fmac_f64_e32 v[48:49], v[36:37], v[162:163]
	v_add_f64 v[46:47], v[46:47], v[48:49]
	s_waitcnt vmcnt(49) lgkmcnt(6)
	v_mul_f64 v[48:49], v[42:43], v[152:153]
	s_waitcnt vmcnt(48)
	v_fmac_f64_e32 v[48:49], v[44:45], v[154:155]
	v_add_f64 v[54:55], v[46:47], v[48:49]
	ds_read_b128 v[46:49], v30 offset:1632
	s_waitcnt vmcnt(41) lgkmcnt(6)
	v_mul_f64 v[58:59], v[50:51], v[160:161]
	s_waitcnt lgkmcnt(0)
	v_mul_f64 v[18:19], v[46:47], v[164:165]
	v_fmac_f64_e32 v[18:19], v[48:49], v[168:169]
	v_add_f64 v[18:19], v[54:55], v[18:19]
	v_mul_f64 v[54:55], v[220:221], v[60:61]
	v_fma_f64 v[210:211], v[218:219], v[70:71], -v[54:55]
	ds_read_b128 v[54:57], v30 offset:1664
	s_waitcnt vmcnt(40)
	v_fmac_f64_e32 v[58:59], v[52:53], v[166:167]
	v_add_f64 v[18:19], v[18:19], v[58:59]
	ds_read_b128 v[58:61], v30 offset:1680
	ds_read_b128 v[70:73], v30 offset:1728
	s_waitcnt vmcnt(37) lgkmcnt(2)
	v_mul_f64 v[28:29], v[54:55], v[174:175]
	s_waitcnt vmcnt(35)
	v_fmac_f64_e32 v[28:29], v[56:57], v[176:177]
	v_add_f64 v[18:19], v[18:19], v[28:29]
	s_waitcnt vmcnt(34) lgkmcnt(1)
	v_mul_f64 v[28:29], v[58:59], v[170:171]
	s_waitcnt vmcnt(32)
	v_fmac_f64_e32 v[28:29], v[60:61], v[178:179]
	v_add_f64 v[18:19], v[18:19], v[28:29]
	s_waitcnt vmcnt(29)
	v_mul_f64 v[28:29], v[62:63], v[182:183]
	s_waitcnt vmcnt(27)
	v_fmac_f64_e32 v[28:29], v[64:65], v[184:185]
	v_add_f64 v[18:19], v[18:19], v[28:29]
	s_waitcnt vmcnt(25)
	v_mul_f64 v[28:29], v[66:67], v[172:173]
	s_waitcnt vmcnt(24)
	v_fmac_f64_e32 v[28:29], v[68:69], v[180:181]
	v_add_f64 v[18:19], v[18:19], v[28:29]
	v_mul_f64 v[28:29], v[232:233], v[74:75]
	v_fma_f64 v[28:29], v[230:231], v[76:77], -v[28:29]
	ds_read_b128 v[74:77], v30 offset:1744
	s_waitcnt vmcnt(22) lgkmcnt(1)
	v_mul_f64 v[82:83], v[70:71], v[186:187]
	s_waitcnt vmcnt(20)
	v_fmac_f64_e32 v[82:83], v[72:73], v[188:189]
	v_add_f64 v[18:19], v[18:19], v[82:83]
	s_waitcnt vmcnt(14)
	v_mul_f64 v[94:95], v[78:79], v[196:197]
	s_waitcnt lgkmcnt(0)
	v_mul_f64 v[82:83], v[74:75], v[190:191]
	v_fmac_f64_e32 v[82:83], v[76:77], v[192:193]
	v_add_f64 v[18:19], v[18:19], v[82:83]
	ds_read_b128 v[82:85], v30 offset:1776
	s_waitcnt vmcnt(12)
	v_fmac_f64_e32 v[94:95], v[80:81], v[200:201]
	v_add_f64 v[18:19], v[18:19], v[94:95]
	s_waitcnt vmcnt(10) lgkmcnt(0)
	v_mul_f64 v[94:95], v[82:83], v[198:199]
	s_waitcnt vmcnt(8)
	v_fmac_f64_e32 v[94:95], v[84:85], v[202:203]
	v_add_f64 v[18:19], v[18:19], v[94:95]
	s_waitcnt vmcnt(5)
	v_mul_f64 v[94:95], v[86:87], v[206:207]
	s_waitcnt vmcnt(3)
	v_fmac_f64_e32 v[94:95], v[88:89], v[208:209]
	v_add_f64 v[18:19], v[18:19], v[94:95]
	s_waitcnt vmcnt(1)
	v_mul_f64 v[94:95], v[90:91], v[194:195]
	s_waitcnt vmcnt(0)
	v_fmac_f64_e32 v[94:95], v[92:93], v[204:205]
	v_add_f64 v[102:103], v[18:19], v[94:95]
	buffer_load_dword v19, off, s[0:3], 0 offset:892
	buffer_load_dword v18, off, s[0:3], 0 offset:888
	buffer_load_dword v213, off, s[0:3], 0 offset:884
	buffer_load_dword v212, off, s[0:3], 0 offset:880
	ds_read_b128 v[94:97], v30 offset:1824
	buffer_load_dword v214, off, s[0:3], 0 offset:904
	buffer_load_dword v215, off, s[0:3], 0 offset:908
	buffer_load_dword v216, off, s[0:3], 0 offset:896
	buffer_load_dword v217, off, s[0:3], 0 offset:900
	ds_read_b128 v[228:231], v30 offset:1840
	;; [unrolled: 5-line block ×3, first 2 shown]
	buffer_load_dword v222, off, s[0:3], 0 offset:936
	buffer_load_dword v223, off, s[0:3], 0 offset:940
	;; [unrolled: 1-line block ×4, first 2 shown]
	s_waitcnt vmcnt(14) lgkmcnt(2)
	v_mul_f64 v[106:107], v[94:95], v[18:19]
	s_waitcnt vmcnt(12)
	v_fmac_f64_e32 v[106:107], v[96:97], v[212:213]
	v_add_f64 v[102:103], v[102:103], v[106:107]
	s_waitcnt vmcnt(10) lgkmcnt(1)
	v_mul_f64 v[106:107], v[228:229], v[214:215]
	s_waitcnt vmcnt(8)
	v_fmac_f64_e32 v[106:107], v[230:231], v[216:217]
	v_add_f64 v[102:103], v[102:103], v[106:107]
	;; [unrolled: 5-line block ×3, first 2 shown]
	ds_read_b128 v[106:109], v30 offset:1872
	buffer_load_dword v239, off, s[0:3], 0 offset:956
	buffer_load_dword v238, off, s[0:3], 0 offset:952
	;; [unrolled: 1-line block ×4, first 2 shown]
	s_waitcnt vmcnt(6) lgkmcnt(0)
	v_mul_f64 v[110:111], v[106:107], v[222:223]
	s_waitcnt vmcnt(4)
	v_fmac_f64_e32 v[110:111], v[108:109], v[224:225]
	v_add_f64 v[102:103], v[102:103], v[110:111]
	ds_read_b128 v[110:113], v30 offset:1888
	s_waitcnt vmcnt(2) lgkmcnt(0)
	v_mul_f64 v[114:115], v[110:111], v[238:239]
	s_waitcnt vmcnt(0)
	v_fmac_f64_e32 v[114:115], v[112:113], v[240:241]
	v_add_f64 v[242:243], v[102:103], v[114:115]
	buffer_load_dword v244, off, s[0:3], 0 offset:968
	buffer_load_dword v245, off, s[0:3], 0 offset:972
	;; [unrolled: 1-line block ×4, first 2 shown]
	ds_read_b128 v[114:117], v30 offset:1904
	s_waitcnt vmcnt(2) lgkmcnt(0)
	v_mul_f64 v[236:237], v[114:115], v[244:245]
	s_waitcnt vmcnt(0)
	v_fmac_f64_e32 v[236:237], v[116:117], v[102:103]
	v_add_f64 v[242:243], v[242:243], v[236:237]
	v_add_f64 v[236:237], v[132:133], 0
	;; [unrolled: 1-line block ×20, first 2 shown]
	buffer_load_dword v250, off, s[0:3], 0 offset:80
	buffer_load_dword v251, off, s[0:3], 0 offset:84
	v_add_f64 v[8:9], v[8:9], v[210:211]
	buffer_load_dword v248, off, s[0:3], 0 offset:88
	buffer_load_dword v249, off, s[0:3], 0 offset:92
	v_add_f64 v[6:7], v[8:9], v[6:7]
	v_add_f64 v[6:7], v[6:7], v[226:227]
	;; [unrolled: 1-line block ×4, first 2 shown]
	v_accvgpr_read_b32 v6, a182
	v_accvgpr_read_b32 v8, a184
	v_accvgpr_read_b32 v9, a185
	v_add_f64 v[226:227], v[4:5], v[2:3]
	v_mul_f64 v[4:5], v[8:9], v[144:145]
	v_accvgpr_read_b32 v8, a186
	v_accvgpr_read_b32 v7, a183
	;; [unrolled: 1-line block ×3, first 2 shown]
	v_add_f64 v[2:3], v[226:227], v[32:33]
	v_fma_f64 v[4:5], v[6:7], v[8:9], -v[4:5]
	v_add_f64 v[2:3], v[2:3], v[4:5]
	v_accvgpr_read_b32 v6, a188
	v_accvgpr_read_b32 v4, a192
	v_accvgpr_read_b32 v8, a190
	v_accvgpr_read_b32 v9, a191
	v_accvgpr_read_b32 v5, a193
	v_mul_f64 v[4:5], v[8:9], v[4:5]
	v_accvgpr_read_b32 v8, a194
	v_accvgpr_read_b32 v7, a189
	v_accvgpr_read_b32 v9, a195
	v_fma_f64 v[4:5], v[6:7], v[8:9], -v[4:5]
	v_add_f64 v[2:3], v[2:3], v[4:5]
	v_accvgpr_read_b32 v6, a196
	v_accvgpr_read_b32 v4, a200
	v_accvgpr_read_b32 v8, a198
	v_accvgpr_read_b32 v9, a199
	v_accvgpr_read_b32 v5, a201
	v_mul_f64 v[4:5], v[8:9], v[4:5]
	v_accvgpr_read_b32 v8, a202
	v_accvgpr_read_b32 v7, a197
	v_accvgpr_read_b32 v9, a203
	;; [unrolled: 11-line block ×3, first 2 shown]
	v_fma_f64 v[4:5], v[6:7], v[8:9], -v[4:5]
	v_add_f64 v[2:3], v[2:3], v[4:5]
	v_accvgpr_read_b32 v4, a208
	v_accvgpr_read_b32 v5, a209
	;; [unrolled: 1-line block ×3, first 2 shown]
	v_mul_f64 v[4:5], v[142:143], v[4:5]
	v_accvgpr_read_b32 v7, a211
	v_fma_f64 v[4:5], v[140:141], v[6:7], -v[4:5]
	v_add_f64 v[2:3], v[2:3], v[4:5]
	v_accvgpr_read_b32 v4, a216
	v_accvgpr_read_b32 v5, a217
	;; [unrolled: 1-line block ×3, first 2 shown]
	v_mul_f64 v[4:5], v[128:129], v[4:5]
	v_accvgpr_read_b32 v7, a219
	v_fma_f64 v[4:5], v[126:127], v[6:7], -v[4:5]
	v_add_f64 v[2:3], v[2:3], v[4:5]
	v_mul_f64 v[4:5], v[148:149], v[134:135]
	v_fma_f64 v[4:5], v[146:147], v[0:1], -v[4:5]
	v_add_f64 v[2:3], v[2:3], v[4:5]
	v_mul_f64 v[4:5], v[124:125], v[130:131]
	v_fma_f64 v[4:5], v[122:123], v[136:137], -v[4:5]
	v_add_f64 v[2:3], v[2:3], v[4:5]
	v_mul_f64 v[4:5], v[40:41], v[120:121]
	v_fma_f64 v[4:5], v[38:39], v[156:157], -v[4:5]
	v_add_f64 v[2:3], v[2:3], v[4:5]
	v_mul_f64 v[4:5], v[36:37], v[158:159]
	v_fma_f64 v[4:5], v[34:35], v[162:163], -v[4:5]
	v_add_f64 v[2:3], v[2:3], v[4:5]
	v_mul_f64 v[4:5], v[44:45], v[152:153]
	v_fma_f64 v[4:5], v[42:43], v[154:155], -v[4:5]
	v_add_f64 v[2:3], v[2:3], v[4:5]
	v_mul_f64 v[4:5], v[48:49], v[164:165]
	v_fma_f64 v[4:5], v[46:47], v[168:169], -v[4:5]
	v_add_f64 v[2:3], v[2:3], v[4:5]
	v_mul_f64 v[4:5], v[52:53], v[160:161]
	v_fma_f64 v[4:5], v[50:51], v[166:167], -v[4:5]
	v_add_f64 v[2:3], v[2:3], v[4:5]
	v_mul_f64 v[4:5], v[56:57], v[174:175]
	v_fma_f64 v[4:5], v[54:55], v[176:177], -v[4:5]
	v_add_f64 v[2:3], v[2:3], v[4:5]
	v_mul_f64 v[4:5], v[60:61], v[170:171]
	v_fma_f64 v[4:5], v[58:59], v[178:179], -v[4:5]
	v_add_f64 v[2:3], v[2:3], v[4:5]
	v_mul_f64 v[4:5], v[64:65], v[182:183]
	v_fma_f64 v[4:5], v[62:63], v[184:185], -v[4:5]
	v_add_f64 v[2:3], v[2:3], v[4:5]
	v_mul_f64 v[4:5], v[68:69], v[172:173]
	v_fma_f64 v[4:5], v[66:67], v[180:181], -v[4:5]
	v_add_f64 v[2:3], v[2:3], v[4:5]
	v_mul_f64 v[4:5], v[72:73], v[186:187]
	v_fma_f64 v[4:5], v[70:71], v[188:189], -v[4:5]
	v_add_f64 v[2:3], v[2:3], v[4:5]
	v_mul_f64 v[4:5], v[76:77], v[190:191]
	v_fma_f64 v[4:5], v[74:75], v[192:193], -v[4:5]
	v_add_f64 v[2:3], v[2:3], v[4:5]
	v_mul_f64 v[4:5], v[80:81], v[196:197]
	v_fma_f64 v[4:5], v[78:79], v[200:201], -v[4:5]
	v_add_f64 v[2:3], v[2:3], v[4:5]
	v_mul_f64 v[4:5], v[84:85], v[198:199]
	v_fma_f64 v[4:5], v[82:83], v[202:203], -v[4:5]
	v_add_f64 v[2:3], v[2:3], v[4:5]
	v_mul_f64 v[4:5], v[88:89], v[206:207]
	v_fma_f64 v[4:5], v[86:87], v[208:209], -v[4:5]
	v_add_f64 v[2:3], v[2:3], v[4:5]
	v_mul_f64 v[4:5], v[92:93], v[194:195]
	v_fma_f64 v[4:5], v[90:91], v[204:205], -v[4:5]
	v_add_f64 v[2:3], v[2:3], v[4:5]
	v_mul_f64 v[4:5], v[96:97], v[18:19]
	v_fma_f64 v[4:5], v[94:95], v[212:213], -v[4:5]
	v_add_f64 v[2:3], v[2:3], v[4:5]
	v_mul_f64 v[4:5], v[230:231], v[214:215]
	v_fma_f64 v[4:5], v[228:229], v[216:217], -v[4:5]
	v_add_f64 v[2:3], v[2:3], v[4:5]
	v_mul_f64 v[4:5], v[234:235], v[218:219]
	v_fma_f64 v[4:5], v[232:233], v[220:221], -v[4:5]
	v_add_f64 v[2:3], v[2:3], v[4:5]
	v_mul_f64 v[4:5], v[108:109], v[222:223]
	v_fma_f64 v[4:5], v[106:107], v[224:225], -v[4:5]
	v_add_f64 v[2:3], v[2:3], v[4:5]
	v_mul_f64 v[4:5], v[112:113], v[238:239]
	v_fma_f64 v[4:5], v[110:111], v[240:241], -v[4:5]
	v_add_f64 v[2:3], v[2:3], v[4:5]
	v_mul_f64 v[4:5], v[116:117], v[244:245]
	v_fma_f64 v[4:5], v[114:115], v[102:103], -v[4:5]
	v_add_f64 v[2:3], v[2:3], v[4:5]
	v_accvgpr_read_b32 v0, a179
	s_waitcnt vmcnt(2)
	v_add_f64 v[2:3], v[250:251], -v[2:3]
	v_cmp_lt_u32_e32 vcc, 3, v0
	s_waitcnt vmcnt(0)
	v_add_f64 v[4:5], v[248:249], -v[242:243]
	buffer_store_dword v3, off, s[0:3], 0 offset:84
	buffer_store_dword v2, off, s[0:3], 0 offset:80
	;; [unrolled: 1-line block ×4, first 2 shown]
	s_and_saveexec_b64 s[4:5], vcc
	s_cbranch_execz .LBB59_367
; %bb.366:
	v_accvgpr_read_b32 v0, a176
	buffer_load_dword v2, v0, s[0:3], 0 offen
	buffer_load_dword v3, v0, s[0:3], 0 offen offset:4
	buffer_load_dword v4, v0, s[0:3], 0 offen offset:8
	;; [unrolled: 1-line block ×3, first 2 shown]
	v_accvgpr_read_b32 v0, a180
	buffer_store_dword v30, off, s[0:3], 0 offset:64
	buffer_store_dword v30, off, s[0:3], 0 offset:68
	;; [unrolled: 1-line block ×4, first 2 shown]
	s_waitcnt vmcnt(4)
	ds_write_b128 v0, v[2:5]
.LBB59_367:
	s_or_b64 exec, exec, s[4:5]
	s_waitcnt lgkmcnt(0)
	; wave barrier
	s_waitcnt lgkmcnt(0)
	buffer_load_dword v4, off, s[0:3], 0 offset:80
	buffer_load_dword v5, off, s[0:3], 0 offset:84
	buffer_load_dword v10, off, s[0:3], 0 offset:88
	buffer_load_dword v11, off, s[0:3], 0 offset:92
	buffer_load_dword v2, off, s[0:3], 0 offset:96
	buffer_load_dword v3, off, s[0:3], 0 offset:100
	buffer_load_dword v8, off, s[0:3], 0 offset:104
	buffer_load_dword v9, off, s[0:3], 0 offset:108
	buffer_load_dword v6, off, s[0:3], 0 offset:120
	buffer_load_dword v7, off, s[0:3], 0 offset:124
	buffer_load_dword v15, off, s[0:3], 0 offset:156
	buffer_load_dword v14, off, s[0:3], 0 offset:152
	buffer_load_dword v145, off, s[0:3], 0 offset:148
	buffer_load_dword v144, off, s[0:3], 0 offset:144
	buffer_load_dword v147, off, s[0:3], 0 offset:140
	buffer_load_dword v146, off, s[0:3], 0 offset:136
	buffer_load_dword v27, off, s[0:3], 0 offset:188
	buffer_load_dword v26, off, s[0:3], 0 offset:184
	buffer_load_dword v29, off, s[0:3], 0 offset:180
	buffer_load_dword v28, off, s[0:3], 0 offset:176
	buffer_load_dword v19, off, s[0:3], 0 offset:172
	buffer_load_dword v18, off, s[0:3], 0 offset:168
	buffer_load_dword v47, off, s[0:3], 0 offset:220
	buffer_load_dword v46, off, s[0:3], 0 offset:216
	buffer_load_dword v48, off, s[0:3], 0 offset:208
	buffer_load_dword v17, off, s[0:3], 0 offset:204
	buffer_load_dword v16, off, s[0:3], 0 offset:200
	buffer_load_dword v51, off, s[0:3], 0 offset:236
	buffer_load_dword v50, off, s[0:3], 0 offset:232
	buffer_load_dword v24, off, s[0:3], 0 offset:112
	buffer_load_dword v25, off, s[0:3], 0 offset:116
	buffer_load_dword v23, off, s[0:3], 0 offset:132
	buffer_load_dword v22, off, s[0:3], 0 offset:128
	buffer_load_dword v21, off, s[0:3], 0 offset:164
	buffer_load_dword v20, off, s[0:3], 0 offset:160
	buffer_load_dword v33, off, s[0:3], 0 offset:196
	buffer_load_dword v32, off, s[0:3], 0 offset:192
	buffer_load_dword v49, off, s[0:3], 0 offset:212
	buffer_load_dword v52, off, s[0:3], 0 offset:248
	buffer_load_dword v54, off, s[0:3], 0 offset:240
	buffer_load_dword v55, off, s[0:3], 0 offset:244
	buffer_load_dword v53, off, s[0:3], 0 offset:252
	ds_read_b128 v[102:105], v30 offset:1024
	ds_read_b128 v[106:109], v30 offset:1040
	;; [unrolled: 1-line block ×10, first 2 shown]
	buffer_load_dword v167, off, s[0:3], 0 offset:228
	buffer_load_dword v166, off, s[0:3], 0 offset:224
	ds_read_b128 v[38:41], v30 offset:1184
	buffer_load_dword v87, off, s[0:3], 0 offset:284
	buffer_load_dword v86, off, s[0:3], 0 offset:280
	;; [unrolled: 1-line block ×6, first 2 shown]
	s_waitcnt vmcnt(46) lgkmcnt(10)
	v_mul_f64 v[56:57], v[102:103], v[10:11]
	v_fmac_f64_e32 v[56:57], v[104:105], v[4:5]
	v_add_f64 v[56:57], v[56:57], 0
	v_mul_f64 v[10:11], v[104:105], v[10:11]
	s_waitcnt vmcnt(42) lgkmcnt(9)
	v_mul_f64 v[58:59], v[106:107], v[8:9]
	v_fmac_f64_e32 v[58:59], v[108:109], v[2:3]
	s_waitcnt vmcnt(40) lgkmcnt(8)
	v_mul_f64 v[62:63], v[110:111], v[6:7]
	v_add_f64 v[56:57], v[56:57], v[58:59]
	s_waitcnt vmcnt(38) lgkmcnt(6)
	v_mul_f64 v[66:67], v[150:151], v[14:15]
	v_fma_f64 v[228:229], v[102:103], v[4:5], -v[10:11]
	s_waitcnt vmcnt(36)
	v_fmac_f64_e32 v[66:67], v[152:153], v[144:145]
	v_mul_f64 v[8:9], v[108:109], v[8:9]
	s_waitcnt vmcnt(34)
	v_mul_f64 v[64:65], v[114:115], v[146:147]
	v_fma_f64 v[248:249], v[106:107], v[2:3], -v[8:9]
	s_waitcnt vmcnt(32) lgkmcnt(4)
	v_mul_f64 v[70:71], v[158:159], v[26:27]
	v_mul_f64 v[6:7], v[112:113], v[6:7]
	s_waitcnt vmcnt(30)
	v_fmac_f64_e32 v[70:71], v[160:161], v[28:29]
	v_mul_f64 v[10:11], v[116:117], v[146:147]
	s_waitcnt vmcnt(28)
	v_mul_f64 v[68:69], v[154:155], v[18:19]
	v_mul_f64 v[14:15], v[152:153], v[14:15]
	s_waitcnt vmcnt(26) lgkmcnt(2)
	v_mul_f64 v[74:75], v[42:43], v[46:47]
	v_mul_f64 v[18:19], v[156:157], v[18:19]
	v_mul_f64 v[26:27], v[160:161], v[26:27]
	s_waitcnt vmcnt(23)
	v_mul_f64 v[72:73], v[162:163], v[16:17]
	s_waitcnt vmcnt(21) lgkmcnt(1)
	v_mul_f64 v[134:135], v[34:35], v[50:51]
	s_waitcnt vmcnt(19)
	v_fmac_f64_e32 v[62:63], v[112:113], v[24:25]
	v_add_f64 v[56:57], v[56:57], v[62:63]
	s_waitcnt vmcnt(17)
	v_fmac_f64_e32 v[64:65], v[116:117], v[22:23]
	v_add_f64 v[56:57], v[56:57], v[64:65]
	s_waitcnt vmcnt(15)
	v_fmac_f64_e32 v[68:69], v[156:157], v[20:21]
	v_add_f64 v[56:57], v[56:57], v[66:67]
	v_add_f64 v[56:57], v[56:57], v[68:69]
	s_waitcnt vmcnt(13)
	v_fmac_f64_e32 v[72:73], v[164:165], v[32:33]
	v_add_f64 v[56:57], v[56:57], v[70:71]
	s_waitcnt vmcnt(12)
	v_fmac_f64_e32 v[74:75], v[44:45], v[48:49]
	v_add_f64 v[56:57], v[56:57], v[72:73]
	v_add_f64 v[136:137], v[56:57], v[74:75]
	buffer_load_dword v175, off, s[0:3], 0 offset:260
	buffer_load_dword v174, off, s[0:3], 0 offset:256
	;; [unrolled: 1-line block ×60, first 2 shown]
	s_waitcnt vmcnt(62)
	v_fmac_f64_e32 v[134:135], v[36:37], v[166:167]
	v_add_f64 v[134:135], v[136:137], v[134:135]
	s_waitcnt lgkmcnt(0)
	v_mul_f64 v[136:137], v[38:39], v[52:53]
	v_fmac_f64_e32 v[136:137], v[40:41], v[54:55]
	v_add_f64 v[134:135], v[134:135], v[136:137]
	v_fma_f64 v[250:251], v[110:111], v[24:25], -v[6:7]
	v_fma_f64 v[116:117], v[154:155], v[20:21], -v[18:19]
	;; [unrolled: 1-line block ×3, first 2 shown]
	v_mul_f64 v[40:41], v[40:41], v[52:53]
	v_fma_f64 v[28:29], v[38:39], v[54:55], -v[40:41]
	v_mul_f64 v[44:45], v[44:45], v[46:47]
	s_waitcnt vmcnt(0)
	v_pk_mov_b32 v[120:121], v[118:119], v[118:119] op_sel:[0,1]
	buffer_load_dword v119, off, s[0:3], 0 offset:532
	buffer_load_dword v118, off, s[0:3], 0 offset:528
	v_accvgpr_write_b32 a199, v121
	v_accvgpr_write_b32 a198, v120
	s_waitcnt vmcnt(0)
	v_pk_mov_b32 v[122:123], v[118:119], v[118:119] op_sel:[0,1]
	buffer_load_dword v119, off, s[0:3], 0 offset:524
	buffer_load_dword v118, off, s[0:3], 0 offset:520
	v_accvgpr_write_b32 a201, v123
	v_accvgpr_write_b32 a200, v122
	;; [unrolled: 6-line block ×4, first 2 shown]
	s_waitcnt vmcnt(0)
	v_pk_mov_b32 v[124:125], v[118:119], v[118:119] op_sel:[0,1]
	buffer_load_dword v119, off, s[0:3], 0 offset:564
	buffer_load_dword v118, off, s[0:3], 0 offset:560
	;; [unrolled: 1-line block ×4, first 2 shown]
	v_accvgpr_write_b32 a207, v125
	v_accvgpr_write_b32 a206, v124
	s_waitcnt vmcnt(2)
	v_accvgpr_write_b32 a209, v119
	v_accvgpr_write_b32 a208, v118
	s_waitcnt vmcnt(0)
	v_pk_mov_b32 v[252:253], v[128:129], v[128:129] op_sel:[0,1]
	buffer_load_dword v129, off, s[0:3], 0 offset:548
	buffer_load_dword v128, off, s[0:3], 0 offset:544
	ds_read_b128 v[170:173], v30 offset:1200
	ds_read_b128 v[178:181], v30 offset:1216
	;; [unrolled: 1-line block ×6, first 2 shown]
	s_waitcnt lgkmcnt(5)
	v_mul_f64 v[136:137], v[170:171], v[98:99]
	v_fmac_f64_e32 v[136:137], v[172:173], v[174:175]
	v_add_f64 v[134:135], v[134:135], v[136:137]
	s_waitcnt lgkmcnt(4)
	v_mul_f64 v[136:137], v[178:179], v[86:87]
	v_fmac_f64_e32 v[136:137], v[180:181], v[60:61]
	v_add_f64 v[134:135], v[134:135], v[136:137]
	;; [unrolled: 4-line block ×3, first 2 shown]
	s_waitcnt lgkmcnt(2)
	v_mul_f64 v[136:137], v[186:187], v[198:199]
	v_fmac_f64_e32 v[136:137], v[188:189], v[204:205]
	ds_read_b128 v[200:203], v30 offset:1296
	ds_read_b128 v[210:213], v30 offset:1312
	v_add_f64 v[134:135], v[134:135], v[136:137]
	s_waitcnt lgkmcnt(3)
	v_mul_f64 v[136:137], v[190:191], v[226:227]
	v_fmac_f64_e32 v[136:137], v[192:193], v[242:243]
	v_add_f64 v[134:135], v[134:135], v[136:137]
	s_waitcnt lgkmcnt(2)
	v_mul_f64 v[136:137], v[194:195], v[96:97]
	v_fmac_f64_e32 v[136:137], v[196:197], v[100:101]
	v_add_f64 v[134:135], v[134:135], v[136:137]
	s_waitcnt lgkmcnt(1)
	v_mul_f64 v[136:137], v[200:201], v[244:245]
	v_fmac_f64_e32 v[136:137], v[202:203], v[246:247]
	ds_read_b128 v[214:217], v30 offset:1328
	buffer_load_dword v13, off, s[0:3], 0 offset:588
	buffer_load_dword v12, off, s[0:3], 0 offset:584
	;; [unrolled: 1-line block ×4, first 2 shown]
	v_add_f64 v[134:135], v[134:135], v[136:137]
	s_waitcnt lgkmcnt(1)
	v_mul_f64 v[136:137], v[210:211], v[74:75]
	v_fmac_f64_e32 v[136:137], v[212:213], v[76:77]
	v_add_f64 v[138:139], v[134:135], v[136:137]
	ds_read_b128 v[218:221], v30 offset:1344
	buffer_load_dword v132, off, s[0:3], 0 offset:600
	buffer_load_dword v136, off, s[0:3], 0 offset:592
	;; [unrolled: 1-line block ×4, first 2 shown]
	s_waitcnt lgkmcnt(1)
	v_mul_f64 v[140:141], v[214:215], v[88:89]
	v_fmac_f64_e32 v[140:141], v[216:217], v[94:95]
	v_add_f64 v[168:169], v[138:139], v[140:141]
	ds_read_b128 v[222:225], v30 offset:1360
	buffer_load_dword v135, off, s[0:3], 0 offset:636
	buffer_load_dword v255, off, s[0:3], 0 offset:620
	buffer_load_dword v254, off, s[0:3], 0 offset:616
	buffer_load_dword v143, off, s[0:3], 0 offset:612
	buffer_load_dword v142, off, s[0:3], 0 offset:608
	buffer_load_dword v134, off, s[0:3], 0 offset:632
	buffer_load_dword v139, off, s[0:3], 0 offset:628
	buffer_load_dword v138, off, s[0:3], 0 offset:624
	ds_read_b128 v[230:233], v30 offset:1376
	ds_read_b128 v[234:237], v30 offset:1392
	s_waitcnt lgkmcnt(3)
	v_mul_f64 v[176:177], v[218:219], v[56:57]
	v_fmac_f64_e32 v[176:177], v[220:221], v[58:59]
	v_add_f64 v[168:169], v[168:169], v[176:177]
	s_waitcnt lgkmcnt(2)
	v_mul_f64 v[176:177], v[222:223], v[62:63]
	ds_read_b128 v[238:241], v30 offset:1408
	ds_read_b128 v[102:105], v30 offset:1424
	v_fmac_f64_e32 v[176:177], v[224:225], v[64:65]
	v_add_f64 v[168:169], v[168:169], v[176:177]
	s_waitcnt lgkmcnt(3)
	v_mul_f64 v[176:177], v[230:231], v[66:67]
	v_fmac_f64_e32 v[176:177], v[232:233], v[68:69]
	v_add_f64 v[168:169], v[168:169], v[176:177]
	s_waitcnt lgkmcnt(2)
	v_mul_f64 v[176:177], v[234:235], v[70:71]
	ds_read_b128 v[106:109], v30 offset:1440
	ds_read_b128 v[6:9], v30 offset:1472
	v_fmac_f64_e32 v[176:177], v[236:237], v[72:73]
	s_waitcnt lgkmcnt(3)
	v_mul_f64 v[4:5], v[238:239], v[78:79]
	v_add_f64 v[168:169], v[168:169], v[176:177]
	v_fmac_f64_e32 v[4:5], v[240:241], v[80:81]
	v_add_f64 v[2:3], v[168:169], v[4:5]
	s_waitcnt lgkmcnt(2)
	v_mul_f64 v[4:5], v[102:103], v[82:83]
	v_fmac_f64_e32 v[4:5], v[104:105], v[84:85]
	v_add_f64 v[2:3], v[2:3], v[4:5]
	s_waitcnt lgkmcnt(1)
	v_mul_f64 v[4:5], v[106:107], v[90:91]
	v_fmac_f64_e32 v[4:5], v[108:109], v[92:93]
	v_add_f64 v[168:169], v[2:3], v[4:5]
	ds_read_b128 v[2:5], v30 offset:1456
	v_accvgpr_write_b32 a202, v252
	v_accvgpr_write_b32 a203, v253
	s_waitcnt lgkmcnt(1)
	v_accvgpr_write_b32 a193, v9
	v_accvgpr_write_b32 a192, v8
	s_waitcnt lgkmcnt(0)
	v_mul_f64 v[24:25], v[2:3], v[126:127]
	v_accvgpr_write_b32 a185, v5
	v_fmac_f64_e32 v[24:25], v[4:5], v[130:131]
	v_accvgpr_write_b32 a184, v4
	v_accvgpr_write_b32 a183, v3
	;; [unrolled: 1-line block ×3, first 2 shown]
	ds_read_b128 v[2:5], v30 offset:1488
	v_fma_f64 v[126:127], v[114:115], v[22:23], -v[10:11]
	v_add_f64 v[22:23], v[168:169], v[24:25]
	v_mul_f64 v[24:25], v[6:7], v[120:121]
	v_fmac_f64_e32 v[24:25], v[8:9], v[122:123]
	v_add_f64 v[22:23], v[22:23], v[24:25]
	s_waitcnt lgkmcnt(0)
	v_mul_f64 v[24:25], v[2:3], v[252:253]
	v_fma_f64 v[252:253], v[150:151], v[144:145], -v[14:15]
	ds_read_b128 v[150:153], v30 offset:1504
	buffer_load_dword v149, off, s[0:3], 0 offset:652
	buffer_load_dword v148, off, s[0:3], 0 offset:648
	;; [unrolled: 1-line block ×4, first 2 shown]
	ds_read_b128 v[144:147], v30 offset:1520
	s_waitcnt vmcnt(20)
	v_accvgpr_write_b32 a205, v129
	v_fmac_f64_e32 v[24:25], v[4:5], v[128:129]
	v_accvgpr_write_b32 a197, v5
	v_accvgpr_write_b32 a204, v128
	ds_read_b128 v[128:131], v30 offset:1536
	v_accvgpr_write_b32 a196, v4
	v_accvgpr_write_b32 a195, v3
	;; [unrolled: 1-line block ×3, first 2 shown]
	v_add_f64 v[4:5], v[22:23], v[24:25]
	s_waitcnt lgkmcnt(2)
	v_mul_f64 v[22:23], v[150:151], v[124:125]
	v_fmac_f64_e32 v[22:23], v[152:153], v[118:119]
	v_add_f64 v[4:5], v[4:5], v[22:23]
	ds_read_b128 v[122:125], v30 offset:1552
	ds_read_b128 v[118:121], v30 offset:1568
	v_accvgpr_write_b32 a191, v7
	v_accvgpr_write_b32 a190, v6
	v_mul_f64 v[8:9], v[36:37], v[50:51]
	s_waitcnt vmcnt(18) lgkmcnt(3)
	v_mul_f64 v[22:23], v[144:145], v[12:13]
	v_accvgpr_write_b32 a211, v13
	s_waitcnt vmcnt(16)
	v_accvgpr_write_b32 a213, v1
	v_fmac_f64_e32 v[22:23], v[146:147], v[0:1]
	v_accvgpr_write_b32 a212, v0
	buffer_load_dword v0, off, s[0:3], 0 offset:664
	buffer_load_dword v158, off, s[0:3], 0 offset:656
	;; [unrolled: 1-line block ×4, first 2 shown]
	s_waitcnt vmcnt(17) lgkmcnt(2)
	v_mul_f64 v[110:111], v[128:129], v[132:133]
	v_add_f64 v[4:5], v[4:5], v[22:23]
	s_waitcnt vmcnt(16)
	v_fmac_f64_e32 v[110:111], v[130:131], v[136:137]
	v_add_f64 v[110:111], v[4:5], v[110:111]
	v_mul_f64 v[4:5], v[164:165], v[16:17]
	buffer_load_dword v156, off, s[0:3], 0 offset:696
	v_fma_f64 v[112:113], v[162:163], v[32:33], -v[4:5]
	buffer_load_dword v163, off, s[0:3], 0 offset:684
	buffer_load_dword v162, off, s[0:3], 0 offset:680
	;; [unrolled: 1-line block ×7, first 2 shown]
	v_accvgpr_write_b32 a215, v133
	s_waitcnt vmcnt(21) lgkmcnt(1)
	v_mul_f64 v[114:115], v[122:123], v[254:255]
	v_accvgpr_write_b32 a210, v12
	v_accvgpr_write_b32 a214, v132
	s_waitcnt vmcnt(19)
	v_fmac_f64_e32 v[114:115], v[124:125], v[142:143]
	v_pk_mov_b32 v[132:133], v[142:143], v[142:143] op_sel:[0,1]
	v_fma_f64 v[142:143], v[34:35], v[166:167], -v[8:9]
	ds_read_b128 v[34:37], v30 offset:1584
	v_mul_f64 v[12:13], v[172:173], v[98:99]
	buffer_load_dword v167, off, s[0:3], 0 offset:716
	buffer_load_dword v166, off, s[0:3], 0 offset:712
	;; [unrolled: 1-line block ×4, first 2 shown]
	v_fma_f64 v[26:27], v[170:171], v[174:175], -v[12:13]
	buffer_load_dword v171, off, s[0:3], 0 offset:732
	buffer_load_dword v170, off, s[0:3], 0 offset:728
	;; [unrolled: 1-line block ×8, first 2 shown]
	v_mul_f64 v[38:39], v[180:181], v[86:87]
	v_fma_f64 v[24:25], v[178:179], v[60:61], -v[38:39]
	buffer_load_dword v178, off, s[0:3], 0 offset:760
	v_mul_f64 v[38:39], v[184:185], v[206:207]
	v_fma_f64 v[18:19], v[182:183], v[208:209], -v[38:39]
	buffer_load_dword v182, off, s[0:3], 0 offset:752
	buffer_load_dword v179, off, s[0:3], 0 offset:764
	;; [unrolled: 1-line block ×3, first 2 shown]
	v_mul_f64 v[38:39], v[188:189], v[198:199]
	v_fma_f64 v[16:17], v[186:187], v[204:205], -v[38:39]
	buffer_load_dword v180, off, s[0:3], 0 offset:792
	buffer_load_dword v187, off, s[0:3], 0 offset:780
	;; [unrolled: 1-line block ×8, first 2 shown]
	v_mul_f64 v[38:39], v[192:193], v[226:227]
	v_fma_f64 v[242:243], v[190:191], v[242:243], -v[38:39]
	buffer_load_dword v191, off, s[0:3], 0 offset:812
	buffer_load_dword v190, off, s[0:3], 0 offset:808
	;; [unrolled: 1-line block ×4, first 2 shown]
	v_mul_f64 v[38:39], v[196:197], v[96:97]
	buffer_load_dword v197, off, s[0:3], 0 offset:828
	buffer_load_dword v196, off, s[0:3], 0 offset:824
	;; [unrolled: 1-line block ×4, first 2 shown]
	v_fma_f64 v[226:227], v[194:195], v[100:101], -v[38:39]
	v_mul_f64 v[38:39], v[202:203], v[244:245]
	v_fma_f64 v[32:33], v[42:43], v[48:49], -v[44:45]
	v_fma_f64 v[244:245], v[200:201], v[246:247], -v[38:39]
	buffer_load_dword v194, off, s[0:3], 0 offset:856
	buffer_load_dword v203, off, s[0:3], 0 offset:844
	;; [unrolled: 1-line block ×12, first 2 shown]
	ds_read_b128 v[38:41], v30 offset:1600
	v_mul_f64 v[42:43], v[212:213], v[74:75]
	v_fma_f64 v[14:15], v[210:211], v[76:77], -v[42:43]
	ds_read_b128 v[42:45], v30 offset:1616
	v_mul_f64 v[46:47], v[216:217], v[88:89]
	v_add_f64 v[110:111], v[110:111], v[114:115]
	s_waitcnt vmcnt(62) lgkmcnt(3)
	v_mul_f64 v[114:115], v[118:119], v[134:135]
	v_fma_f64 v[12:13], v[214:215], v[94:95], -v[46:47]
	ds_read_b128 v[46:49], v30 offset:1632
	s_waitcnt vmcnt(60)
	v_fmac_f64_e32 v[114:115], v[120:121], v[138:139]
	v_add_f64 v[110:111], v[110:111], v[114:115]
	v_mul_f64 v[70:71], v[236:237], v[70:71]
	s_waitcnt vmcnt(58) lgkmcnt(3)
	v_mul_f64 v[20:21], v[34:35], v[148:149]
	v_fma_f64 v[4:5], v[234:235], v[72:73], -v[70:71]
	s_waitcnt vmcnt(56)
	v_fmac_f64_e32 v[20:21], v[36:37], v[140:141]
	v_add_f64 v[20:21], v[110:111], v[20:21]
	ds_read_b128 v[70:73], v30 offset:1728
	ds_read_b128 v[74:77], v30 offset:1744
	v_mul_f64 v[82:83], v[104:105], v[82:83]
	v_fma_f64 v[82:83], v[102:103], v[84:85], -v[82:83]
	v_accvgpr_write_b32 a217, v83
	v_accvgpr_write_b32 a216, v82
	ds_read_b128 v[86:89], v30 offset:1792
	ds_read_b128 v[82:85], v30 offset:1776
	s_waitcnt vmcnt(53) lgkmcnt(6)
	v_mul_f64 v[50:51], v[38:39], v[0:1]
	s_waitcnt vmcnt(52)
	v_fmac_f64_e32 v[50:51], v[40:41], v[158:159]
	v_add_f64 v[20:21], v[20:21], v[50:51]
	ds_read_b128 v[50:53], v30 offset:1648
	s_waitcnt vmcnt(49) lgkmcnt(6)
	v_mul_f64 v[22:23], v[42:43], v[162:163]
	s_waitcnt vmcnt(47)
	v_fmac_f64_e32 v[22:23], v[44:45], v[164:165]
	v_add_f64 v[20:21], v[20:21], v[22:23]
	s_waitcnt vmcnt(45) lgkmcnt(5)
	v_mul_f64 v[22:23], v[46:47], v[156:157]
	s_waitcnt vmcnt(44)
	v_fmac_f64_e32 v[22:23], v[48:49], v[160:161]
	v_add_f64 v[20:21], v[20:21], v[22:23]
	v_mul_f64 v[22:23], v[220:221], v[56:57]
	ds_read_b128 v[54:57], v30 offset:1664
	v_fma_f64 v[10:11], v[218:219], v[58:59], -v[22:23]
	v_mul_f64 v[58:59], v[224:225], v[62:63]
	v_fma_f64 v[8:9], v[222:223], v[64:65], -v[58:59]
	ds_read_b128 v[58:61], v30 offset:1680
	s_waitcnt vmcnt(42) lgkmcnt(2)
	v_mul_f64 v[22:23], v[50:51], v[166:167]
	ds_read_b128 v[62:65], v30 offset:1696
	s_waitcnt vmcnt(40)
	v_fmac_f64_e32 v[22:23], v[52:53], v[168:169]
	v_add_f64 v[20:21], v[20:21], v[22:23]
	s_waitcnt vmcnt(38) lgkmcnt(2)
	v_mul_f64 v[22:23], v[54:55], v[170:171]
	s_waitcnt vmcnt(36)
	v_fmac_f64_e32 v[22:23], v[56:57], v[174:175]
	v_add_f64 v[20:21], v[20:21], v[22:23]
	s_waitcnt vmcnt(34) lgkmcnt(1)
	v_mul_f64 v[22:23], v[58:59], v[172:173]
	s_waitcnt vmcnt(32)
	v_fmac_f64_e32 v[22:23], v[60:61], v[176:177]
	v_add_f64 v[20:21], v[20:21], v[22:23]
	v_mul_f64 v[22:23], v[232:233], v[66:67]
	v_fma_f64 v[6:7], v[230:231], v[68:69], -v[22:23]
	ds_read_b128 v[66:69], v30 offset:1712
	s_waitcnt vmcnt(29) lgkmcnt(1)
	v_mul_f64 v[22:23], v[62:63], v[178:179]
	s_waitcnt vmcnt(28)
	v_fmac_f64_e32 v[22:23], v[64:65], v[182:183]
	v_add_f64 v[20:21], v[20:21], v[22:23]
	s_waitcnt vmcnt(25) lgkmcnt(0)
	v_mul_f64 v[22:23], v[66:67], v[186:187]
	s_waitcnt vmcnt(23)
	v_fmac_f64_e32 v[22:23], v[68:69], v[188:189]
	v_add_f64 v[20:21], v[20:21], v[22:23]
	s_waitcnt vmcnt(21)
	v_mul_f64 v[22:23], v[70:71], v[180:181]
	s_waitcnt vmcnt(20)
	v_fmac_f64_e32 v[22:23], v[72:73], v[184:185]
	v_add_f64 v[20:21], v[20:21], v[22:23]
	v_mul_f64 v[22:23], v[240:241], v[78:79]
	v_fma_f64 v[2:3], v[238:239], v[80:81], -v[22:23]
	ds_read_b128 v[78:81], v30 offset:1760
	s_waitcnt vmcnt(18)
	v_mul_f64 v[22:23], v[74:75], v[190:191]
	s_waitcnt vmcnt(16)
	v_fmac_f64_e32 v[22:23], v[76:77], v[192:193]
	v_add_f64 v[20:21], v[20:21], v[22:23]
	s_waitcnt vmcnt(14) lgkmcnt(0)
	v_mul_f64 v[22:23], v[78:79], v[196:197]
	s_waitcnt vmcnt(12)
	v_fmac_f64_e32 v[22:23], v[80:81], v[198:199]
	v_add_f64 v[20:21], v[20:21], v[22:23]
	v_mul_f64 v[22:23], v[108:109], v[90:91]
	v_fma_f64 v[230:231], v[106:107], v[92:93], -v[22:23]
	ds_read_b128 v[90:93], v30 offset:1808
	buffer_load_dword v210, off, s[0:3], 0 offset:888
	buffer_load_dword v211, off, s[0:3], 0 offset:892
	buffer_load_dword v212, off, s[0:3], 0 offset:880
	buffer_load_dword v213, off, s[0:3], 0 offset:884
	ds_read_b128 v[94:97], v30 offset:1824
	buffer_load_dword v215, off, s[0:3], 0 offset:908
	buffer_load_dword v214, off, s[0:3], 0 offset:904
	buffer_load_dword v217, off, s[0:3], 0 offset:900
	buffer_load_dword v216, off, s[0:3], 0 offset:896
	;; [unrolled: 5-line block ×6, first 2 shown]
	s_waitcnt vmcnt(33)
	v_mul_f64 v[22:23], v[82:83], v[202:203]
	s_waitcnt vmcnt(31)
	v_fmac_f64_e32 v[22:23], v[84:85], v[206:207]
	v_add_f64 v[20:21], v[20:21], v[22:23]
	s_waitcnt vmcnt(29)
	v_mul_f64 v[22:23], v[86:87], v[194:195]
	s_waitcnt vmcnt(28)
	v_fmac_f64_e32 v[22:23], v[88:89], v[200:201]
	v_add_f64 v[20:21], v[20:21], v[22:23]
	s_waitcnt vmcnt(26) lgkmcnt(5)
	v_mul_f64 v[22:23], v[90:91], v[204:205]
	s_waitcnt vmcnt(24)
	v_fmac_f64_e32 v[22:23], v[92:93], v[208:209]
	v_add_f64 v[20:21], v[20:21], v[22:23]
	s_waitcnt vmcnt(22) lgkmcnt(4)
	;; [unrolled: 5-line block ×6, first 2 shown]
	v_mul_f64 v[22:23], v[232:233], v[238:239]
	s_waitcnt vmcnt(4)
	v_fmac_f64_e32 v[22:23], v[234:235], v[240:241]
	v_add_f64 v[114:115], v[20:21], v[22:23]
	ds_read_b128 v[20:23], v30 offset:1904
	s_waitcnt vmcnt(2) lgkmcnt(0)
	v_mul_f64 v[110:111], v[20:21], v[236:237]
	s_waitcnt vmcnt(0)
	v_fmac_f64_e32 v[110:111], v[22:23], v[246:247]
	v_add_f64 v[114:115], v[114:115], v[110:111]
	v_add_f64 v[110:111], v[228:229], 0
	;; [unrolled: 1-line block ×23, first 2 shown]
	buffer_load_dword v250, off, s[0:3], 0 offset:64
	buffer_load_dword v251, off, s[0:3], 0 offset:68
	;; [unrolled: 1-line block ×4, first 2 shown]
	v_add_f64 v[6:7], v[8:9], v[6:7]
	v_add_f64 v[4:5], v[6:7], v[4:5]
	;; [unrolled: 1-line block ×3, first 2 shown]
	v_accvgpr_read_b32 v4, a216
	v_accvgpr_read_b32 v5, a217
	v_add_f64 v[2:3], v[2:3], v[4:5]
	v_accvgpr_read_b32 v6, a182
	v_accvgpr_read_b32 v4, a186
	;; [unrolled: 1-line block ×5, first 2 shown]
	v_mul_f64 v[4:5], v[8:9], v[4:5]
	v_accvgpr_read_b32 v8, a188
	v_accvgpr_read_b32 v7, a183
	;; [unrolled: 1-line block ×3, first 2 shown]
	v_add_f64 v[2:3], v[2:3], v[230:231]
	v_fma_f64 v[4:5], v[6:7], v[8:9], -v[4:5]
	v_add_f64 v[2:3], v[2:3], v[4:5]
	v_accvgpr_read_b32 v6, a190
	v_accvgpr_read_b32 v4, a198
	;; [unrolled: 1-line block ×5, first 2 shown]
	v_mul_f64 v[4:5], v[8:9], v[4:5]
	v_accvgpr_read_b32 v8, a200
	v_accvgpr_read_b32 v7, a191
	;; [unrolled: 1-line block ×3, first 2 shown]
	v_fma_f64 v[4:5], v[6:7], v[8:9], -v[4:5]
	v_add_f64 v[2:3], v[2:3], v[4:5]
	v_accvgpr_read_b32 v6, a194
	v_accvgpr_read_b32 v4, a202
	;; [unrolled: 1-line block ×5, first 2 shown]
	v_mul_f64 v[4:5], v[8:9], v[4:5]
	v_accvgpr_read_b32 v8, a204
	v_accvgpr_read_b32 v7, a195
	;; [unrolled: 1-line block ×3, first 2 shown]
	v_fma_f64 v[4:5], v[6:7], v[8:9], -v[4:5]
	v_add_f64 v[2:3], v[2:3], v[4:5]
	v_accvgpr_read_b32 v4, a206
	v_accvgpr_read_b32 v5, a207
	v_accvgpr_read_b32 v6, a208
	v_mul_f64 v[4:5], v[152:153], v[4:5]
	v_accvgpr_read_b32 v7, a209
	v_fma_f64 v[4:5], v[150:151], v[6:7], -v[4:5]
	v_add_f64 v[2:3], v[2:3], v[4:5]
	v_accvgpr_read_b32 v4, a210
	v_accvgpr_read_b32 v5, a211
	;; [unrolled: 1-line block ×3, first 2 shown]
	v_mul_f64 v[4:5], v[146:147], v[4:5]
	v_accvgpr_read_b32 v7, a213
	v_fma_f64 v[4:5], v[144:145], v[6:7], -v[4:5]
	v_add_f64 v[2:3], v[2:3], v[4:5]
	v_accvgpr_read_b32 v4, a214
	v_accvgpr_read_b32 v5, a215
	v_mul_f64 v[4:5], v[130:131], v[4:5]
	v_fma_f64 v[4:5], v[128:129], v[136:137], -v[4:5]
	v_add_f64 v[2:3], v[2:3], v[4:5]
	v_mul_f64 v[4:5], v[124:125], v[254:255]
	v_fma_f64 v[4:5], v[122:123], v[132:133], -v[4:5]
	v_add_f64 v[2:3], v[2:3], v[4:5]
	;; [unrolled: 3-line block ×24, first 2 shown]
	v_accvgpr_read_b32 v0, a179
	s_waitcnt vmcnt(2)
	v_add_f64 v[2:3], v[250:251], -v[2:3]
	v_cmp_lt_u32_e32 vcc, 2, v0
	s_waitcnt vmcnt(0)
	v_add_f64 v[4:5], v[248:249], -v[114:115]
	buffer_store_dword v3, off, s[0:3], 0 offset:68
	buffer_store_dword v2, off, s[0:3], 0 offset:64
	;; [unrolled: 1-line block ×4, first 2 shown]
	s_and_saveexec_b64 s[4:5], vcc
	s_cbranch_execz .LBB59_369
; %bb.368:
	v_accvgpr_read_b32 v0, a177
	buffer_load_dword v2, v0, s[0:3], 0 offen
	buffer_load_dword v3, v0, s[0:3], 0 offen offset:4
	buffer_load_dword v4, v0, s[0:3], 0 offen offset:8
	;; [unrolled: 1-line block ×3, first 2 shown]
	v_mov_b32_e32 v0, 0
	v_accvgpr_read_b32 v1, a180
	buffer_store_dword v0, off, s[0:3], 0 offset:48
	buffer_store_dword v0, off, s[0:3], 0 offset:52
	;; [unrolled: 1-line block ×4, first 2 shown]
	s_waitcnt vmcnt(4)
	ds_write_b128 v1, v[2:5]
.LBB59_369:
	s_or_b64 exec, exec, s[4:5]
	s_waitcnt lgkmcnt(0)
	; wave barrier
	s_waitcnt lgkmcnt(0)
	buffer_load_dword v6, off, s[0:3], 0 offset:64
	buffer_load_dword v7, off, s[0:3], 0 offset:68
	;; [unrolled: 1-line block ×42, first 2 shown]
	v_mov_b32_e32 v220, 0
	buffer_load_dword v91, off, s[0:3], 0 offset:212
	buffer_load_dword v90, off, s[0:3], 0 offset:208
	buffer_load_dword v49, off, s[0:3], 0 offset:268
	buffer_load_dword v48, off, s[0:3], 0 offset:264
	buffer_load_dword v51, off, s[0:3], 0 offset:260
	buffer_load_dword v50, off, s[0:3], 0 offset:256
	buffer_load_dword v69, off, s[0:3], 0 offset:252
	ds_read_b128 v[104:107], v220 offset:1008
	ds_read_b128 v[108:111], v220 offset:1024
	;; [unrolled: 1-line block ×11, first 2 shown]
	s_waitcnt vmcnt(45) lgkmcnt(10)
	v_mul_f64 v[52:53], v[104:105], v[10:11]
	v_fmac_f64_e32 v[52:53], v[106:107], v[6:7]
	v_add_f64 v[52:53], v[52:53], 0
	v_mul_f64 v[10:11], v[106:107], v[10:11]
	s_waitcnt vmcnt(41) lgkmcnt(9)
	v_mul_f64 v[54:55], v[108:109], v[8:9]
	v_fmac_f64_e32 v[54:55], v[110:111], v[4:5]
	s_waitcnt vmcnt(39) lgkmcnt(8)
	v_mul_f64 v[56:57], v[112:113], v[2:3]
	v_add_f64 v[52:53], v[52:53], v[54:55]
	s_waitcnt vmcnt(37) lgkmcnt(6)
	v_mul_f64 v[60:61], v[136:137], v[240:241]
	v_fma_f64 v[218:219], v[104:105], v[6:7], -v[10:11]
	s_waitcnt vmcnt(35)
	v_fmac_f64_e32 v[60:61], v[138:139], v[14:15]
	v_mul_f64 v[8:9], v[110:111], v[8:9]
	s_waitcnt vmcnt(33)
	v_mul_f64 v[58:59], v[132:133], v[236:237]
	v_fma_f64 v[248:249], v[108:109], v[4:5], -v[8:9]
	s_waitcnt vmcnt(31) lgkmcnt(4)
	v_mul_f64 v[64:65], v[144:145], v[22:23]
	v_mul_f64 v[2:3], v[114:115], v[2:3]
	s_waitcnt vmcnt(29)
	v_fmac_f64_e32 v[64:65], v[146:147], v[24:25]
	v_mul_f64 v[10:11], v[138:139], v[240:241]
	s_waitcnt vmcnt(27)
	v_mul_f64 v[62:63], v[140:141], v[18:19]
	s_waitcnt vmcnt(25) lgkmcnt(2)
	v_mul_f64 v[70:71], v[152:153], v[30:31]
	v_mul_f64 v[30:31], v[154:155], v[30:31]
	s_waitcnt vmcnt(22)
	v_mul_f64 v[66:67], v[148:149], v[26:27]
	v_mul_f64 v[26:27], v[150:151], v[26:27]
	s_waitcnt vmcnt(20) lgkmcnt(1)
	v_mul_f64 v[116:117], v[156:157], v[38:39]
	v_mul_f64 v[38:39], v[158:159], v[38:39]
	s_waitcnt vmcnt(18)
	v_fmac_f64_e32 v[56:57], v[114:115], v[44:45]
	v_add_f64 v[52:53], v[52:53], v[56:57]
	s_waitcnt vmcnt(16)
	v_fmac_f64_e32 v[58:59], v[134:135], v[40:41]
	v_add_f64 v[52:53], v[52:53], v[58:59]
	;; [unrolled: 3-line block ×3, first 2 shown]
	v_add_f64 v[52:53], v[52:53], v[62:63]
	s_waitcnt vmcnt(12)
	v_fmac_f64_e32 v[66:67], v[150:151], v[28:29]
	v_add_f64 v[52:53], v[52:53], v[64:65]
	s_waitcnt vmcnt(11)
	v_fmac_f64_e32 v[70:71], v[154:155], v[32:33]
	v_add_f64 v[52:53], v[52:53], v[66:67]
	v_add_f64 v[118:119], v[52:53], v[70:71]
	buffer_load_dword v68, off, s[0:3], 0 offset:248
	buffer_load_dword v217, off, s[0:3], 0 offset:244
	;; [unrolled: 1-line block ×69, first 2 shown]
	s_waitcnt vmcnt(62)
	v_fmac_f64_e32 v[116:117], v[158:159], v[90:91]
	v_add_f64 v[116:117], v[118:119], v[116:117]
	s_waitcnt lgkmcnt(0)
	v_mul_f64 v[118:119], v[34:35], v[42:43]
	v_fmac_f64_e32 v[118:119], v[36:37], v[46:47]
	v_add_f64 v[116:117], v[116:117], v[118:119]
	v_fma_f64 v[224:225], v[112:113], v[44:45], -v[2:3]
	v_mul_f64 v[2:3], v[134:135], v[236:237]
	v_fma_f64 v[236:237], v[132:133], v[40:41], -v[2:3]
	v_fma_f64 v[134:135], v[136:137], v[14:15], -v[10:11]
	v_mul_f64 v[14:15], v[142:143], v[18:19]
	v_fma_f64 v[132:133], v[140:141], v[242:243], -v[14:15]
	v_mul_f64 v[36:37], v[36:37], v[42:43]
	s_waitcnt vmcnt(8)
	v_accvgpr_write_b32 a187, v1
	v_accvgpr_write_b32 a186, v0
	s_waitcnt vmcnt(6)
	v_pk_mov_b32 v[244:245], v[16:17], v[16:17] op_sel:[0,1]
	s_waitcnt vmcnt(0)
	v_pk_mov_b32 v[122:123], v[120:121], v[120:121] op_sel:[0,1]
	buffer_load_dword v121, off, s[0:3], 0 offset:548
	buffer_load_dword v120, off, s[0:3], 0 offset:544
	v_accvgpr_write_b32 a188, v244
	v_accvgpr_write_b32 a189, v245
	v_accvgpr_write_b32 a207, v123
	v_accvgpr_write_b32 a206, v122
	s_waitcnt vmcnt(0)
	v_pk_mov_b32 v[124:125], v[120:121], v[120:121] op_sel:[0,1]
	buffer_load_dword v121, off, s[0:3], 0 offset:540
	buffer_load_dword v120, off, s[0:3], 0 offset:536
	v_accvgpr_write_b32 a209, v125
	v_accvgpr_write_b32 a208, v124
	s_waitcnt vmcnt(0)
	v_pk_mov_b32 v[126:127], v[120:121], v[120:121] op_sel:[0,1]
	buffer_load_dword v121, off, s[0:3], 0 offset:532
	buffer_load_dword v120, off, s[0:3], 0 offset:528
	ds_read_b128 v[160:163], v220 offset:1184
	ds_read_b128 v[164:167], v220 offset:1200
	;; [unrolled: 1-line block ×10, first 2 shown]
	s_waitcnt lgkmcnt(9)
	v_mul_f64 v[118:119], v[160:161], v[68:69]
	v_fmac_f64_e32 v[118:119], v[162:163], v[216:217]
	v_add_f64 v[116:117], v[116:117], v[118:119]
	s_waitcnt lgkmcnt(8)
	v_mul_f64 v[118:119], v[164:165], v[48:49]
	v_fmac_f64_e32 v[118:119], v[166:167], v[50:51]
	v_add_f64 v[116:117], v[116:117], v[118:119]
	;; [unrolled: 4-line block ×9, first 2 shown]
	v_accvgpr_write_b32 a195, v127
	v_accvgpr_write_b32 a194, v126
	s_waitcnt vmcnt(0)
	v_pk_mov_b32 v[128:129], v[120:121], v[120:121] op_sel:[0,1]
	buffer_load_dword v121, off, s[0:3], 0 offset:572
	buffer_load_dword v120, off, s[0:3], 0 offset:568
	v_accvgpr_write_b32 a197, v129
	v_accvgpr_write_b32 a196, v128
	s_waitcnt vmcnt(0)
	v_pk_mov_b32 v[130:131], v[120:121], v[120:121] op_sel:[0,1]
	buffer_load_dword v121, off, s[0:3], 0 offset:564
	buffer_load_dword v120, off, s[0:3], 0 offset:560
	ds_read_b128 v[200:203], v220 offset:1344
	buffer_load_dword v118, off, s[0:3], 0 offset:584
	buffer_load_dword v204, off, s[0:3], 0 offset:576
	;; [unrolled: 1-line block ×4, first 2 shown]
	ds_read_b128 v[82:85], v220 offset:1360
	v_accvgpr_write_b32 a211, v131
	v_accvgpr_write_b32 a210, v130
	s_waitcnt lgkmcnt(0)
	v_mul_f64 v[208:209], v[82:83], v[58:59]
	v_fmac_f64_e32 v[208:209], v[84:85], v[60:61]
	v_mul_f64 v[58:59], v[84:85], v[58:59]
	s_waitcnt vmcnt(4)
	v_pk_mov_b32 v[238:239], v[120:121], v[120:121] op_sel:[0,1]
	v_mul_f64 v[120:121], v[196:197], v[52:53]
	v_fmac_f64_e32 v[120:121], v[198:199], v[54:55]
	v_add_f64 v[116:117], v[116:117], v[120:121]
	v_mul_f64 v[120:121], v[200:201], v[56:57]
	v_fmac_f64_e32 v[120:121], v[202:203], v[66:67]
	v_add_f64 v[116:117], v[116:117], v[120:121]
	buffer_load_dword v17, off, s[0:3], 0 offset:620
	buffer_load_dword v21, off, s[0:3], 0 offset:604
	;; [unrolled: 1-line block ×12, first 2 shown]
	v_add_f64 v[116:117], v[116:117], v[208:209]
	ds_read_b128 v[208:211], v220 offset:1376
	ds_read_b128 v[104:107], v220 offset:1392
	;; [unrolled: 1-line block ×5, first 2 shown]
	s_waitcnt lgkmcnt(4)
	v_mul_f64 v[6:7], v[208:209], v[62:63]
	v_fmac_f64_e32 v[6:7], v[210:211], v[64:65]
	v_add_f64 v[4:5], v[116:117], v[6:7]
	s_waitcnt lgkmcnt(3)
	v_mul_f64 v[6:7], v[104:105], v[70:71]
	v_fmac_f64_e32 v[6:7], v[106:107], v[72:73]
	v_add_f64 v[4:5], v[4:5], v[6:7]
	;; [unrolled: 4-line block ×3, first 2 shown]
	ds_read_b128 v[2:5], v220 offset:1456
	s_waitcnt lgkmcnt(2)
	v_mul_f64 v[8:9], v[212:213], v[206:207]
	v_fmac_f64_e32 v[8:9], v[214:215], v[12:13]
	v_add_f64 v[6:7], v[6:7], v[8:9]
	s_waitcnt lgkmcnt(1)
	v_mul_f64 v[8:9], v[112:113], v[86:87]
	v_fmac_f64_e32 v[8:9], v[114:115], v[88:89]
	s_waitcnt lgkmcnt(0)
	v_accvgpr_write_b32 a185, v5
	v_add_f64 v[6:7], v[6:7], v[8:9]
	v_mul_f64 v[8:9], v[2:3], v[0:1]
	v_accvgpr_write_b32 a184, v4
	v_accvgpr_write_b32 a183, v3
	;; [unrolled: 1-line block ×3, first 2 shown]
	ds_read_b128 v[0:3], v220 offset:1472
	v_fmac_f64_e32 v[8:9], v[4:5], v[244:245]
	v_add_f64 v[40:41], v[6:7], v[8:9]
	ds_read_b128 v[6:9], v220 offset:1504
	ds_read_b128 v[242:245], v220 offset:1520
	s_waitcnt lgkmcnt(2)
	v_mul_f64 v[4:5], v[0:1], v[126:127]
	v_accvgpr_write_b32 a193, v3
	v_fmac_f64_e32 v[4:5], v[2:3], v[128:129]
	v_accvgpr_write_b32 a192, v2
	v_accvgpr_write_b32 a191, v1
	;; [unrolled: 1-line block ×3, first 2 shown]
	ds_read_b128 v[0:3], v220 offset:1488
	v_add_f64 v[4:5], v[40:41], v[4:5]
	v_accvgpr_write_b32 a212, v238
	v_accvgpr_write_b32 a213, v239
	buffer_load_dword v250, off, s[0:3], 0 offset:648
	buffer_load_dword v251, off, s[0:3], 0 offset:652
	s_waitcnt lgkmcnt(0)
	v_mul_f64 v[18:19], v[0:1], v[122:123]
	v_fmac_f64_e32 v[18:19], v[2:3], v[124:125]
	v_add_f64 v[4:5], v[4:5], v[18:19]
	v_mul_f64 v[18:19], v[6:7], v[130:131]
	v_fmac_f64_e32 v[18:19], v[8:9], v[238:239]
	ds_read_b128 v[238:241], v220 offset:1536
	s_waitcnt vmcnt(15)
	v_accvgpr_write_b32 a215, v119
	v_add_f64 v[40:41], v[4:5], v[18:19]
	v_mul_f64 v[4:5], v[146:147], v[22:23]
	v_mul_f64 v[22:23], v[242:243], v[118:119]
	v_accvgpr_write_b32 a214, v118
	buffer_load_dword v118, off, s[0:3], 0 offset:640
	buffer_load_dword v119, off, s[0:3], 0 offset:644
	ds_read_b128 v[126:129], v220 offset:1552
	ds_read_b128 v[122:125], v220 offset:1568
	s_waitcnt vmcnt(16)
	v_fmac_f64_e32 v[22:23], v[244:245], v[204:205]
	v_add_f64 v[40:41], v[40:41], v[22:23]
	v_accvgpr_write_b32 a205, v9
	v_accvgpr_write_b32 a204, v8
	;; [unrolled: 1-line block ×4, first 2 shown]
	v_fma_f64 v[116:117], v[152:153], v[32:33], -v[30:31]
	v_fma_f64 v[44:45], v[144:145], v[24:25], -v[4:5]
	v_fma_f64 v[144:145], v[148:149], v[28:29], -v[26:27]
	v_fma_f64 v[26:27], v[34:35], v[46:47], -v[36:37]
	v_mul_f64 v[34:35], v[162:163], v[68:69]
	v_fma_f64 v[30:31], v[156:157], v[90:91], -v[38:39]
	v_fma_f64 v[216:217], v[160:161], v[216:217], -v[34:35]
	s_waitcnt vmcnt(13) lgkmcnt(2)
	v_mul_f64 v[136:137], v[238:239], v[20:21]
	v_mul_f64 v[38:39], v[166:167], v[48:49]
	s_waitcnt vmcnt(11)
	v_fmac_f64_e32 v[136:137], v[240:241], v[252:253]
	v_add_f64 v[40:41], v[40:41], v[136:137]
	s_waitcnt vmcnt(10) lgkmcnt(1)
	v_mul_f64 v[136:137], v[126:127], v[16:17]
	s_waitcnt vmcnt(8)
	v_fmac_f64_e32 v[136:137], v[128:129], v[246:247]
	v_add_f64 v[40:41], v[40:41], v[136:137]
	buffer_load_dword v137, off, s[0:3], 0 offset:668
	buffer_load_dword v136, off, s[0:3], 0 offset:664
	;; [unrolled: 1-line block ×4, first 2 shown]
	s_waitcnt vmcnt(10) lgkmcnt(0)
	v_mul_f64 v[140:141], v[122:123], v[120:121]
	s_waitcnt vmcnt(8)
	v_fmac_f64_e32 v[140:141], v[124:125], v[254:255]
	v_add_f64 v[8:9], v[40:41], v[140:141]
	buffer_load_dword v140, off, s[0:3], 0 offset:680
	buffer_load_dword v142, off, s[0:3], 0 offset:672
	;; [unrolled: 1-line block ×12, first 2 shown]
	ds_read_b128 v[34:37], v220 offset:1584
	buffer_load_dword v148, off, s[0:3], 0 offset:744
	buffer_load_dword v155, off, s[0:3], 0 offset:732
	;; [unrolled: 1-line block ×12, first 2 shown]
	v_fma_f64 v[164:165], v[164:165], v[50:51], -v[38:39]
	v_mul_f64 v[38:39], v[170:171], v[226:227]
	v_fma_f64 v[24:25], v[168:169], v[228:229], -v[38:39]
	buffer_load_dword v166, off, s[0:3], 0 offset:776
	buffer_load_dword v168, off, s[0:3], 0 offset:768
	;; [unrolled: 1-line block ×4, first 2 shown]
	v_mul_f64 v[38:39], v[174:175], v[222:223]
	v_fma_f64 v[222:223], v[172:173], v[102:103], -v[38:39]
	v_mul_f64 v[38:39], v[178:179], v[232:233]
	v_fma_f64 v[22:23], v[176:177], v[234:235], -v[38:39]
	buffer_load_dword v235, off, s[0:3], 0 offset:812
	buffer_load_dword v171, off, s[0:3], 0 offset:796
	;; [unrolled: 1-line block ×8, first 2 shown]
	v_mul_f64 v[38:39], v[182:183], v[230:231]
	v_fma_f64 v[18:19], v[180:181], v[100:101], -v[38:39]
	ds_read_b128 v[38:41], v220 offset:1600
	buffer_load_dword v177, off, s[0:3], 0 offset:828
	buffer_load_dword v176, off, s[0:3], 0 offset:824
	;; [unrolled: 1-line block ×4, first 2 shown]
	v_mul_f64 v[48:49], v[186:187], v[96:97]
	v_pk_mov_b32 v[130:131], v[16:17], v[16:17] op_sel:[0,1]
	v_fma_f64 v[16:17], v[184:185], v[98:99], -v[48:49]
	buffer_load_dword v180, off, s[0:3], 0 offset:840
	buffer_load_dword v182, off, s[0:3], 0 offset:832
	;; [unrolled: 1-line block ×8, first 2 shown]
	v_mul_f64 v[48:49], v[190:191], v[80:81]
	v_fma_f64 v[14:15], v[188:189], v[94:95], -v[48:49]
	buffer_load_dword v188, off, s[0:3], 0 offset:872
	buffer_load_dword v190, off, s[0:3], 0 offset:864
	;; [unrolled: 1-line block ×4, first 2 shown]
	ds_read_b128 v[226:229], v220 offset:1616
	v_accvgpr_write_b32 a201, v3
	v_accvgpr_write_b32 a219, v21
	;; [unrolled: 1-line block ×6, first 2 shown]
	v_mul_f64 v[50:51], v[202:203], v[56:57]
	v_fma_f64 v[10:11], v[200:201], v[66:67], -v[50:51]
	v_fma_f64 v[6:7], v[82:83], v[60:61], -v[58:59]
	v_mul_f64 v[62:63], v[210:211], v[62:63]
	v_fma_f64 v[4:5], v[208:209], v[64:65], -v[62:63]
	v_mul_f64 v[74:75], v[110:111], v[74:75]
	v_fma_f64 v[2:3], v[108:109], v[76:77], -v[74:75]
	ds_read_b128 v[74:77], v220 offset:1744
	s_waitcnt vmcnt(58) lgkmcnt(3)
	v_mul_f64 v[46:47], v[34:35], v[250:251]
	ds_read_b128 v[82:85], v220 offset:1776
	v_mul_f64 v[86:87], v[114:115], v[86:87]
	v_accvgpr_write_b32 a217, v205
	v_accvgpr_write_b32 a216, v204
	ds_read_b128 v[58:61], v220 offset:1680
	ds_read_b128 v[62:65], v220 offset:1696
	s_waitcnt vmcnt(56)
	v_fmac_f64_e32 v[46:47], v[36:37], v[118:119]
	v_add_f64 v[8:9], v[8:9], v[46:47]
	v_mul_f64 v[46:47], v[194:195], v[78:79]
	v_fma_f64 v[0:1], v[192:193], v[92:93], -v[46:47]
	ds_read_b128 v[46:49], v220 offset:1632
	s_waitcnt vmcnt(54) lgkmcnt(6)
	v_mul_f64 v[20:21], v[38:39], v[136:137]
	s_waitcnt vmcnt(52)
	v_fmac_f64_e32 v[20:21], v[40:41], v[138:139]
	v_add_f64 v[8:9], v[8:9], v[20:21]
	v_mul_f64 v[20:21], v[198:199], v[52:53]
	ds_read_b128 v[50:53], v220 offset:1648
	v_fma_f64 v[20:21], v[196:197], v[54:55], -v[20:21]
	s_waitcnt vmcnt(49) lgkmcnt(6)
	v_mul_f64 v[54:55], v[226:227], v[140:141]
	s_waitcnt vmcnt(48)
	v_fmac_f64_e32 v[54:55], v[228:229], v[142:143]
	v_add_f64 v[8:9], v[8:9], v[54:55]
	s_waitcnt vmcnt(45) lgkmcnt(1)
	v_mul_f64 v[54:55], v[46:47], v[146:147]
	s_waitcnt vmcnt(43)
	v_fmac_f64_e32 v[54:55], v[48:49], v[152:153]
	v_add_f64 v[8:9], v[8:9], v[54:55]
	;; [unrolled: 5-line block ×3, first 2 shown]
	ds_read_b128 v[54:57], v220 offset:1664
	s_waitcnt vmcnt(33)
	v_mul_f64 v[28:29], v[58:59], v[148:149]
	s_waitcnt vmcnt(32)
	v_fmac_f64_e32 v[28:29], v[60:61], v[158:159]
	s_waitcnt lgkmcnt(0)
	v_mul_f64 v[66:67], v[54:55], v[154:155]
	v_fmac_f64_e32 v[66:67], v[56:57], v[156:157]
	v_add_f64 v[8:9], v[8:9], v[66:67]
	v_add_f64 v[8:9], v[8:9], v[28:29]
	s_waitcnt vmcnt(30)
	v_mul_f64 v[28:29], v[62:63], v[160:161]
	s_waitcnt vmcnt(28)
	v_fmac_f64_e32 v[28:29], v[64:65], v[162:163]
	v_add_f64 v[8:9], v[8:9], v[28:29]
	ds_read_b128 v[66:69], v220 offset:1712
	v_mul_f64 v[28:29], v[106:107], v[70:71]
	v_fma_f64 v[28:29], v[104:105], v[72:73], -v[28:29]
	ds_read_b128 v[70:73], v220 offset:1728
	s_waitcnt vmcnt(25) lgkmcnt(1)
	v_mul_f64 v[78:79], v[66:67], v[166:167]
	s_waitcnt vmcnt(24)
	v_fmac_f64_e32 v[78:79], v[68:69], v[168:169]
	v_add_f64 v[8:9], v[8:9], v[78:79]
	s_waitcnt vmcnt(21) lgkmcnt(0)
	v_mul_f64 v[32:33], v[70:71], v[170:171]
	s_waitcnt vmcnt(19)
	v_fmac_f64_e32 v[32:33], v[72:73], v[174:175]
	ds_read_b128 v[78:81], v220 offset:1760
	v_add_f64 v[8:9], v[8:9], v[32:33]
	s_waitcnt vmcnt(18)
	v_mul_f64 v[32:33], v[74:75], v[234:235]
	s_waitcnt vmcnt(16)
	v_fmac_f64_e32 v[32:33], v[76:77], v[172:173]
	v_add_f64 v[8:9], v[8:9], v[32:33]
	v_mul_f64 v[32:33], v[214:215], v[206:207]
	v_fma_f64 v[32:33], v[212:213], v[12:13], -v[32:33]
	v_fma_f64 v[12:13], v[112:113], v[88:89], -v[86:87]
	ds_read_b128 v[86:89], v220 offset:1792
	s_waitcnt vmcnt(14) lgkmcnt(1)
	v_mul_f64 v[90:91], v[78:79], v[176:177]
	s_waitcnt vmcnt(12)
	v_fmac_f64_e32 v[90:91], v[80:81], v[178:179]
	v_add_f64 v[8:9], v[8:9], v[90:91]
	s_waitcnt vmcnt(9)
	v_mul_f64 v[90:91], v[82:83], v[180:181]
	s_waitcnt vmcnt(8)
	v_fmac_f64_e32 v[90:91], v[84:85], v[182:183]
	v_add_f64 v[8:9], v[8:9], v[90:91]
	s_waitcnt vmcnt(6) lgkmcnt(0)
	v_mul_f64 v[90:91], v[86:87], v[184:185]
	s_waitcnt vmcnt(4)
	v_fmac_f64_e32 v[90:91], v[88:89], v[186:187]
	v_add_f64 v[8:9], v[8:9], v[90:91]
	ds_read_b128 v[90:93], v220 offset:1808
	buffer_load_dword v193, off, s[0:3], 0 offset:892
	buffer_load_dword v192, off, s[0:3], 0 offset:888
	;; [unrolled: 1-line block ×4, first 2 shown]
	v_accvgpr_write_b32 a221, v13
	v_accvgpr_write_b32 a220, v12
	s_waitcnt vmcnt(5) lgkmcnt(0)
	v_mul_f64 v[94:95], v[90:91], v[188:189]
	s_waitcnt vmcnt(4)
	v_fmac_f64_e32 v[94:95], v[92:93], v[190:191]
	v_add_f64 v[8:9], v[8:9], v[94:95]
	ds_read_b128 v[94:97], v220 offset:1824
	buffer_load_dword v196, off, s[0:3], 0 offset:904
	buffer_load_dword v197, off, s[0:3], 0 offset:908
	buffer_load_dword v198, off, s[0:3], 0 offset:896
	buffer_load_dword v199, off, s[0:3], 0 offset:900
	s_waitcnt vmcnt(6) lgkmcnt(0)
	v_mul_f64 v[98:99], v[94:95], v[192:193]
	s_waitcnt vmcnt(4)
	v_fmac_f64_e32 v[98:99], v[96:97], v[194:195]
	v_add_f64 v[8:9], v[8:9], v[98:99]
	ds_read_b128 v[98:101], v220 offset:1840
	buffer_load_dword v201, off, s[0:3], 0 offset:924
	buffer_load_dword v200, off, s[0:3], 0 offset:920
	buffer_load_dword v203, off, s[0:3], 0 offset:916
	buffer_load_dword v202, off, s[0:3], 0 offset:912
	;; [unrolled: 10-line block ×4, first 2 shown]
	s_waitcnt vmcnt(6) lgkmcnt(0)
	v_mul_f64 v[110:111], v[106:107], v[204:205]
	s_waitcnt vmcnt(4)
	v_fmac_f64_e32 v[110:111], v[108:109], v[206:207]
	v_add_f64 v[8:9], v[8:9], v[110:111]
	ds_read_b128 v[110:113], v220 offset:1888
	s_waitcnt vmcnt(2) lgkmcnt(0)
	v_mul_f64 v[212:213], v[110:111], v[208:209]
	s_waitcnt vmcnt(0)
	v_fmac_f64_e32 v[212:213], v[112:113], v[210:211]
	v_add_f64 v[212:213], v[8:9], v[212:213]
	buffer_load_dword v214, off, s[0:3], 0 offset:968
	buffer_load_dword v215, off, s[0:3], 0 offset:972
	buffer_load_dword v8, off, s[0:3], 0 offset:960
	buffer_load_dword v9, off, s[0:3], 0 offset:964
	ds_read_b128 v[230:233], v220 offset:1904
	s_waitcnt vmcnt(2) lgkmcnt(0)
	v_mul_f64 v[114:115], v[230:231], v[214:215]
	s_waitcnt vmcnt(0)
	v_fmac_f64_e32 v[114:115], v[232:233], v[8:9]
	v_add_f64 v[212:213], v[212:213], v[114:115]
	v_add_f64 v[114:115], v[218:219], 0
	;; [unrolled: 1-line block ×21, first 2 shown]
	buffer_load_dword v0, off, s[0:3], 0 offset:48
	buffer_load_dword v1, off, s[0:3], 0 offset:52
	;; [unrolled: 1-line block ×4, first 2 shown]
	v_add_f64 v[12:13], v[12:13], v[20:21]
	v_add_f64 v[10:11], v[12:13], v[10:11]
	;; [unrolled: 1-line block ×6, first 2 shown]
	v_accvgpr_read_b32 v10, a182
	v_accvgpr_read_b32 v4, a186
	v_add_f64 v[224:225], v[2:3], v[32:33]
	v_accvgpr_read_b32 v2, a220
	v_accvgpr_read_b32 v12, a184
	;; [unrolled: 1-line block ×7, first 2 shown]
	v_mul_f64 v[4:5], v[12:13], v[4:5]
	v_accvgpr_read_b32 v7, a189
	v_add_f64 v[2:3], v[224:225], v[2:3]
	v_fma_f64 v[4:5], v[10:11], v[6:7], -v[4:5]
	v_add_f64 v[2:3], v[2:3], v[4:5]
	v_accvgpr_read_b32 v10, a190
	v_accvgpr_read_b32 v4, a194
	v_accvgpr_read_b32 v12, a192
	v_accvgpr_read_b32 v13, a193
	v_accvgpr_read_b32 v5, a195
	v_accvgpr_read_b32 v6, a196
	v_accvgpr_read_b32 v11, a191
	v_mul_f64 v[4:5], v[12:13], v[4:5]
	v_accvgpr_read_b32 v7, a197
	v_fma_f64 v[4:5], v[10:11], v[6:7], -v[4:5]
	v_add_f64 v[2:3], v[2:3], v[4:5]
	v_accvgpr_read_b32 v10, a198
	v_accvgpr_read_b32 v4, a206
	v_accvgpr_read_b32 v12, a200
	v_accvgpr_read_b32 v13, a201
	v_accvgpr_read_b32 v5, a207
	v_accvgpr_read_b32 v6, a208
	v_accvgpr_read_b32 v11, a199
	v_mul_f64 v[4:5], v[12:13], v[4:5]
	v_accvgpr_read_b32 v7, a209
	;; [unrolled: 11-line block ×3, first 2 shown]
	v_fma_f64 v[4:5], v[10:11], v[6:7], -v[4:5]
	v_add_f64 v[2:3], v[2:3], v[4:5]
	v_accvgpr_read_b32 v4, a214
	v_accvgpr_read_b32 v5, a215
	;; [unrolled: 1-line block ×3, first 2 shown]
	v_mul_f64 v[4:5], v[244:245], v[4:5]
	v_accvgpr_read_b32 v7, a217
	v_fma_f64 v[4:5], v[242:243], v[6:7], -v[4:5]
	v_add_f64 v[2:3], v[2:3], v[4:5]
	v_accvgpr_read_b32 v4, a218
	v_accvgpr_read_b32 v5, a219
	v_mul_f64 v[4:5], v[240:241], v[4:5]
	v_fma_f64 v[4:5], v[238:239], v[252:253], -v[4:5]
	v_add_f64 v[2:3], v[2:3], v[4:5]
	v_mul_f64 v[4:5], v[128:129], v[130:131]
	v_fma_f64 v[4:5], v[126:127], v[246:247], -v[4:5]
	v_add_f64 v[2:3], v[2:3], v[4:5]
	v_mul_f64 v[4:5], v[124:125], v[120:121]
	v_fma_f64 v[4:5], v[122:123], v[254:255], -v[4:5]
	v_add_f64 v[2:3], v[2:3], v[4:5]
	v_mul_f64 v[4:5], v[36:37], v[250:251]
	v_fma_f64 v[4:5], v[34:35], v[118:119], -v[4:5]
	v_add_f64 v[2:3], v[2:3], v[4:5]
	v_mul_f64 v[4:5], v[40:41], v[136:137]
	v_fma_f64 v[4:5], v[38:39], v[138:139], -v[4:5]
	v_add_f64 v[2:3], v[2:3], v[4:5]
	v_mul_f64 v[4:5], v[228:229], v[140:141]
	v_fma_f64 v[4:5], v[226:227], v[142:143], -v[4:5]
	v_add_f64 v[2:3], v[2:3], v[4:5]
	v_mul_f64 v[4:5], v[48:49], v[146:147]
	v_fma_f64 v[4:5], v[46:47], v[152:153], -v[4:5]
	v_add_f64 v[2:3], v[2:3], v[4:5]
	v_mul_f64 v[4:5], v[52:53], v[42:43]
	v_fma_f64 v[4:5], v[50:51], v[150:151], -v[4:5]
	v_add_f64 v[2:3], v[2:3], v[4:5]
	v_mul_f64 v[4:5], v[56:57], v[154:155]
	v_fma_f64 v[4:5], v[54:55], v[156:157], -v[4:5]
	v_add_f64 v[2:3], v[2:3], v[4:5]
	v_mul_f64 v[4:5], v[60:61], v[148:149]
	v_fma_f64 v[4:5], v[58:59], v[158:159], -v[4:5]
	v_add_f64 v[2:3], v[2:3], v[4:5]
	v_mul_f64 v[4:5], v[64:65], v[160:161]
	v_fma_f64 v[4:5], v[62:63], v[162:163], -v[4:5]
	v_add_f64 v[2:3], v[2:3], v[4:5]
	v_mul_f64 v[4:5], v[68:69], v[166:167]
	v_fma_f64 v[4:5], v[66:67], v[168:169], -v[4:5]
	v_add_f64 v[2:3], v[2:3], v[4:5]
	v_mul_f64 v[4:5], v[72:73], v[170:171]
	v_fma_f64 v[4:5], v[70:71], v[174:175], -v[4:5]
	v_add_f64 v[2:3], v[2:3], v[4:5]
	v_mul_f64 v[4:5], v[76:77], v[234:235]
	v_fma_f64 v[4:5], v[74:75], v[172:173], -v[4:5]
	v_add_f64 v[2:3], v[2:3], v[4:5]
	v_mul_f64 v[4:5], v[80:81], v[176:177]
	v_fma_f64 v[4:5], v[78:79], v[178:179], -v[4:5]
	v_add_f64 v[2:3], v[2:3], v[4:5]
	v_mul_f64 v[4:5], v[84:85], v[180:181]
	v_fma_f64 v[4:5], v[82:83], v[182:183], -v[4:5]
	v_add_f64 v[2:3], v[2:3], v[4:5]
	v_mul_f64 v[4:5], v[88:89], v[184:185]
	v_fma_f64 v[4:5], v[86:87], v[186:187], -v[4:5]
	v_add_f64 v[2:3], v[2:3], v[4:5]
	v_mul_f64 v[4:5], v[92:93], v[188:189]
	v_fma_f64 v[4:5], v[90:91], v[190:191], -v[4:5]
	v_add_f64 v[2:3], v[2:3], v[4:5]
	v_mul_f64 v[4:5], v[96:97], v[192:193]
	v_fma_f64 v[4:5], v[94:95], v[194:195], -v[4:5]
	v_add_f64 v[2:3], v[2:3], v[4:5]
	v_mul_f64 v[4:5], v[100:101], v[196:197]
	v_fma_f64 v[4:5], v[98:99], v[198:199], -v[4:5]
	v_add_f64 v[2:3], v[2:3], v[4:5]
	v_mul_f64 v[4:5], v[104:105], v[200:201]
	v_fma_f64 v[4:5], v[102:103], v[202:203], -v[4:5]
	v_add_f64 v[2:3], v[2:3], v[4:5]
	v_mul_f64 v[4:5], v[108:109], v[204:205]
	v_fma_f64 v[4:5], v[106:107], v[206:207], -v[4:5]
	v_add_f64 v[2:3], v[2:3], v[4:5]
	v_mul_f64 v[4:5], v[112:113], v[208:209]
	v_fma_f64 v[4:5], v[110:111], v[210:211], -v[4:5]
	v_add_f64 v[2:3], v[2:3], v[4:5]
	v_mul_f64 v[4:5], v[232:233], v[214:215]
	v_fma_f64 v[4:5], v[230:231], v[8:9], -v[4:5]
	v_add_f64 v[2:3], v[2:3], v[4:5]
	s_waitcnt vmcnt(2)
	v_add_f64 v[2:3], v[0:1], -v[2:3]
	v_accvgpr_read_b32 v0, a179
	v_cmp_lt_u32_e32 vcc, 1, v0
	s_waitcnt vmcnt(0)
	v_add_f64 v[4:5], v[218:219], -v[212:213]
	buffer_store_dword v3, off, s[0:3], 0 offset:52
	buffer_store_dword v2, off, s[0:3], 0 offset:48
	;; [unrolled: 1-line block ×4, first 2 shown]
	s_and_saveexec_b64 s[4:5], vcc
	s_cbranch_execz .LBB59_371
; %bb.370:
	v_accvgpr_read_b32 v0, a178
	buffer_load_dword v2, v0, s[0:3], 0 offen
	buffer_load_dword v3, v0, s[0:3], 0 offen offset:4
	buffer_load_dword v4, v0, s[0:3], 0 offen offset:8
	;; [unrolled: 1-line block ×3, first 2 shown]
	v_accvgpr_read_b32 v0, a180
	buffer_store_dword v220, off, s[0:3], 0 offset:32
	buffer_store_dword v220, off, s[0:3], 0 offset:36
	buffer_store_dword v220, off, s[0:3], 0 offset:40
	buffer_store_dword v220, off, s[0:3], 0 offset:44
	s_waitcnt vmcnt(4)
	ds_write_b128 v0, v[2:5]
.LBB59_371:
	s_or_b64 exec, exec, s[4:5]
	s_waitcnt lgkmcnt(0)
	; wave barrier
	s_waitcnt lgkmcnt(0)
	buffer_load_dword v6, off, s[0:3], 0 offset:48
	buffer_load_dword v7, off, s[0:3], 0 offset:52
	;; [unrolled: 1-line block ×42, first 2 shown]
	ds_read_b128 v[104:107], v220 offset:992
	ds_read_b128 v[108:111], v220 offset:1008
	ds_read_b128 v[112:115], v220 offset:1024
	ds_read_b128 v[132:135], v220 offset:1040
	ds_read_b128 v[136:139], v220 offset:1056
	ds_read_b128 v[140:143], v220 offset:1072
	ds_read_b128 v[144:147], v220 offset:1088
	ds_read_b128 v[148:151], v220 offset:1104
	ds_read_b128 v[152:155], v220 offset:1120
	ds_read_b128 v[30:33], v220 offset:1136
	buffer_load_dword v99, off, s[0:3], 0 offset:196
	buffer_load_dword v98, off, s[0:3], 0 offset:192
	ds_read_b128 v[38:41], v220 offset:1152
	buffer_load_dword v85, off, s[0:3], 0 offset:252
	buffer_load_dword v84, off, s[0:3], 0 offset:248
	;; [unrolled: 1-line block ×6, first 2 shown]
	s_waitcnt vmcnt(46) lgkmcnt(10)
	v_mul_f64 v[52:53], v[104:105], v[10:11]
	v_fmac_f64_e32 v[52:53], v[106:107], v[6:7]
	v_add_f64 v[52:53], v[52:53], 0
	v_mul_f64 v[10:11], v[106:107], v[10:11]
	s_waitcnt vmcnt(42) lgkmcnt(9)
	v_mul_f64 v[54:55], v[108:109], v[8:9]
	v_fmac_f64_e32 v[54:55], v[110:111], v[4:5]
	s_waitcnt vmcnt(40) lgkmcnt(8)
	v_mul_f64 v[56:57], v[112:113], v[226:227]
	v_add_f64 v[52:53], v[52:53], v[54:55]
	s_waitcnt vmcnt(38) lgkmcnt(6)
	v_mul_f64 v[60:61], v[136:137], v[12:13]
	v_mul_f64 v[8:9], v[110:111], v[8:9]
	s_waitcnt vmcnt(36)
	v_fmac_f64_e32 v[60:61], v[138:139], v[14:15]
	v_fma_f64 v[224:225], v[108:109], v[4:5], -v[8:9]
	s_waitcnt vmcnt(34)
	v_mul_f64 v[58:59], v[132:133], v[228:229]
	s_waitcnt vmcnt(32) lgkmcnt(4)
	v_mul_f64 v[64:65], v[144:145], v[252:253]
	s_waitcnt vmcnt(30)
	v_fmac_f64_e32 v[64:65], v[146:147], v[250:251]
	s_waitcnt vmcnt(28)
	v_mul_f64 v[62:63], v[140:141], v[22:23]
	s_waitcnt vmcnt(26) lgkmcnt(2)
	v_mul_f64 v[68:69], v[152:153], v[206:207]
	s_waitcnt vmcnt(23)
	v_mul_f64 v[66:67], v[148:149], v[24:25]
	s_waitcnt vmcnt(21) lgkmcnt(1)
	v_mul_f64 v[116:117], v[30:31], v[34:35]
	s_waitcnt vmcnt(19)
	v_fmac_f64_e32 v[56:57], v[114:115], v[214:215]
	v_add_f64 v[52:53], v[52:53], v[56:57]
	s_waitcnt vmcnt(17)
	v_fmac_f64_e32 v[58:59], v[134:135], v[212:213]
	v_add_f64 v[52:53], v[52:53], v[58:59]
	;; [unrolled: 3-line block ×3, first 2 shown]
	v_add_f64 v[52:53], v[52:53], v[62:63]
	s_waitcnt vmcnt(13)
	v_fmac_f64_e32 v[66:67], v[150:151], v[36:37]
	v_add_f64 v[52:53], v[52:53], v[64:65]
	s_waitcnt vmcnt(12)
	v_fmac_f64_e32 v[68:69], v[154:155], v[18:19]
	v_add_f64 v[52:53], v[52:53], v[66:67]
	v_add_f64 v[118:119], v[52:53], v[68:69]
	buffer_load_dword v217, off, s[0:3], 0 offset:228
	buffer_load_dword v216, off, s[0:3], 0 offset:224
	;; [unrolled: 1-line block ×68, first 2 shown]
	s_waitcnt vmcnt(62)
	v_fmac_f64_e32 v[116:117], v[32:33], v[98:99]
	v_add_f64 v[116:117], v[118:119], v[116:117]
	s_waitcnt lgkmcnt(0)
	v_mul_f64 v[118:119], v[38:39], v[48:49]
	v_fmac_f64_e32 v[118:119], v[40:41], v[50:51]
	v_add_f64 v[116:117], v[116:117], v[118:119]
	v_mul_f64 v[32:33], v[32:33], v[34:35]
	v_mul_f64 v[40:41], v[40:41], v[48:49]
	s_waitcnt vmcnt(0)
	v_pk_mov_b32 v[124:125], v[122:123], v[122:123] op_sel:[0,1]
	buffer_load_dword v123, off, s[0:3], 0 offset:532
	buffer_load_dword v122, off, s[0:3], 0 offset:528
	;; [unrolled: 1-line block ×4, first 2 shown]
	v_accvgpr_write_b32 a195, v125
	v_accvgpr_write_b32 a194, v124
	s_waitcnt vmcnt(2)
	v_accvgpr_write_b32 a197, v123
	v_accvgpr_write_b32 a196, v122
	s_waitcnt vmcnt(0)
	v_pk_mov_b32 v[128:129], v[126:127], v[126:127] op_sel:[0,1]
	buffer_load_dword v127, off, s[0:3], 0 offset:516
	buffer_load_dword v126, off, s[0:3], 0 offset:512
	ds_read_b128 v[156:159], v220 offset:1168
	ds_read_b128 v[160:163], v220 offset:1184
	;; [unrolled: 1-line block ×6, first 2 shown]
	s_waitcnt lgkmcnt(5)
	v_mul_f64 v[118:119], v[156:157], v[96:97]
	v_fmac_f64_e32 v[118:119], v[158:159], v[216:217]
	v_add_f64 v[116:117], v[116:117], v[118:119]
	s_waitcnt lgkmcnt(4)
	v_mul_f64 v[118:119], v[160:161], v[84:85]
	v_fmac_f64_e32 v[118:119], v[162:163], v[90:91]
	v_add_f64 v[116:117], v[116:117], v[118:119]
	s_waitcnt lgkmcnt(3)
	v_mul_f64 v[118:119], v[164:165], v[232:233]
	v_fmac_f64_e32 v[118:119], v[166:167], v[234:235]
	v_add_f64 v[116:117], v[116:117], v[118:119]
	s_waitcnt lgkmcnt(2)
	v_mul_f64 v[118:119], v[168:169], v[218:219]
	v_fmac_f64_e32 v[118:119], v[170:171], v[222:223]
	ds_read_b128 v[180:183], v220 offset:1264
	ds_read_b128 v[184:187], v220 offset:1280
	v_add_f64 v[116:117], v[116:117], v[118:119]
	s_waitcnt lgkmcnt(3)
	v_mul_f64 v[118:119], v[172:173], v[44:45]
	v_fmac_f64_e32 v[118:119], v[174:175], v[46:47]
	v_add_f64 v[116:117], v[116:117], v[118:119]
	s_waitcnt lgkmcnt(2)
	v_mul_f64 v[118:119], v[176:177], v[236:237]
	v_fmac_f64_e32 v[118:119], v[178:179], v[254:255]
	ds_read_b128 v[188:191], v220 offset:1296
	ds_read_b128 v[192:195], v220 offset:1312
	v_add_f64 v[116:117], v[116:117], v[118:119]
	s_waitcnt lgkmcnt(3)
	v_mul_f64 v[118:119], v[180:181], v[0:1]
	v_fmac_f64_e32 v[118:119], v[182:183], v[2:3]
	v_add_f64 v[116:117], v[116:117], v[118:119]
	s_waitcnt lgkmcnt(2)
	v_mul_f64 v[118:119], v[184:185], v[92:93]
	v_fmac_f64_e32 v[118:119], v[186:187], v[94:95]
	;; [unrolled: 4-line block ×3, first 2 shown]
	v_add_f64 v[116:117], v[116:117], v[118:119]
	ds_read_b128 v[196:199], v220 offset:1328
	buffer_load_dword v118, off, s[0:3], 0 offset:568
	buffer_load_dword v131, off, s[0:3], 0 offset:556
	;; [unrolled: 1-line block ×3, first 2 shown]
	v_accvgpr_write_b32 a187, v129
	v_accvgpr_write_b32 a186, v128
	v_mul_f64 v[44:45], v[174:175], v[44:45]
	v_mul_f64 v[0:1], v[182:183], v[0:1]
	s_waitcnt vmcnt(3)
	v_accvgpr_write_b32 a189, v127
	v_accvgpr_write_b32 a188, v126
	s_waitcnt vmcnt(0)
	v_pk_mov_b32 v[238:239], v[130:131], v[130:131] op_sel:[0,1]
	buffer_load_dword v131, off, s[0:3], 0 offset:548
	buffer_load_dword v130, off, s[0:3], 0 offset:544
	v_accvgpr_write_b32 a202, v238
	v_accvgpr_write_b32 a203, v239
	s_waitcnt vmcnt(0)
	v_pk_mov_b32 v[244:245], v[130:131], v[130:131] op_sel:[0,1]
	buffer_load_dword v130, off, s[0:3], 0 offset:560
	buffer_load_dword v119, off, s[0:3], 0 offset:572
	;; [unrolled: 1-line block ×3, first 2 shown]
	ds_read_b128 v[200:203], v220 offset:1344
	v_accvgpr_write_b32 a208, v244
	v_accvgpr_write_b32 a209, v245
	s_waitcnt vmcnt(1)
	v_pk_mov_b32 v[240:241], v[118:119], v[118:119] op_sel:[0,1]
	s_waitcnt vmcnt(0)
	v_pk_mov_b32 v[242:243], v[130:131], v[130:131] op_sel:[0,1]
	buffer_load_dword v131, off, s[0:3], 0 offset:604
	buffer_load_dword v121, off, s[0:3], 0 offset:588
	;; [unrolled: 1-line block ×6, first 2 shown]
	s_waitcnt lgkmcnt(2)
	v_mul_f64 v[118:119], v[192:193], v[60:61]
	v_fmac_f64_e32 v[118:119], v[194:195], v[70:71]
	v_add_f64 v[116:117], v[116:117], v[118:119]
	s_waitcnt lgkmcnt(1)
	v_mul_f64 v[118:119], v[196:197], v[72:73]
	v_fmac_f64_e32 v[118:119], v[198:199], v[82:83]
	v_add_f64 v[116:117], v[116:117], v[118:119]
	s_waitcnt lgkmcnt(0)
	v_mul_f64 v[118:119], v[200:201], v[52:53]
	v_fmac_f64_e32 v[118:119], v[202:203], v[54:55]
	v_add_f64 v[116:117], v[116:117], v[118:119]
	v_fma_f64 v[118:119], v[104:105], v[6:7], -v[10:11]
	v_accvgpr_write_b32 a206, v242
	v_accvgpr_write_b32 a207, v243
	;; [unrolled: 1-line block ×4, first 2 shown]
	s_waitcnt vmcnt(3)
	v_accvgpr_write_b32 a211, v121
	v_accvgpr_write_b32 a210, v120
	s_waitcnt vmcnt(1)
	v_accvgpr_write_b32 a213, v205
	s_waitcnt vmcnt(0)
	v_pk_mov_b32 v[246:247], v[130:131], v[130:131] op_sel:[0,1]
	buffer_load_dword v21, off, s[0:3], 0 offset:596
	buffer_load_dword v20, off, s[0:3], 0 offset:592
	;; [unrolled: 1-line block ×6, first 2 shown]
	ds_read_b128 v[26:29], v220 offset:1360
	ds_read_b128 v[104:107], v220 offset:1376
	;; [unrolled: 1-line block ×5, first 2 shown]
	s_waitcnt lgkmcnt(4)
	v_mul_f64 v[6:7], v[26:27], v[56:57]
	v_fmac_f64_e32 v[6:7], v[28:29], v[58:59]
	v_add_f64 v[4:5], v[116:117], v[6:7]
	s_waitcnt lgkmcnt(3)
	v_mul_f64 v[6:7], v[104:105], v[62:63]
	v_fmac_f64_e32 v[6:7], v[106:107], v[64:65]
	v_add_f64 v[4:5], v[4:5], v[6:7]
	;; [unrolled: 4-line block ×3, first 2 shown]
	v_mul_f64 v[6:7], v[114:115], v[226:227]
	v_fma_f64 v[226:227], v[112:113], v[214:215], -v[6:7]
	ds_read_b128 v[112:115], v220 offset:1424
	s_waitcnt lgkmcnt(2)
	v_mul_f64 v[6:7], v[208:209], v[74:75]
	v_fmac_f64_e32 v[6:7], v[210:211], v[76:77]
	v_add_f64 v[4:5], v[4:5], v[6:7]
	v_mul_f64 v[6:7], v[134:135], v[228:229]
	v_fma_f64 v[228:229], v[132:133], v[212:213], -v[6:7]
	ds_read_b128 v[212:215], v220 offset:1440
	s_waitcnt lgkmcnt(1)
	v_mul_f64 v[6:7], v[112:113], v[78:79]
	v_fmac_f64_e32 v[6:7], v[114:115], v[80:81]
	v_add_f64 v[4:5], v[4:5], v[6:7]
	v_mul_f64 v[6:7], v[138:139], v[12:13]
	v_fma_f64 v[230:231], v[136:137], v[14:15], -v[6:7]
	s_waitcnt lgkmcnt(0)
	v_mul_f64 v[6:7], v[212:213], v[86:87]
	v_fmac_f64_e32 v[6:7], v[214:215], v[88:89]
	v_add_f64 v[4:5], v[4:5], v[6:7]
	v_mul_f64 v[6:7], v[8:9], v[128:129]
	v_fmac_f64_e32 v[6:7], v[10:11], v[126:127]
	v_accvgpr_write_b32 a185, v11
	buffer_load_dword v248, off, s[0:3], 0 offset:632
	buffer_load_dword v249, off, s[0:3], 0 offset:636
	v_accvgpr_write_b32 a184, v10
	v_accvgpr_write_b32 a183, v9
	;; [unrolled: 1-line block ×3, first 2 shown]
	v_add_f64 v[4:5], v[4:5], v[6:7]
	ds_read_b128 v[6:9], v220 offset:1472
	ds_read_b128 v[126:129], v220 offset:1488
	v_mul_f64 v[10:11], v[142:143], v[22:23]
	v_fma_f64 v[116:117], v[140:141], v[42:43], -v[10:11]
	v_mul_f64 v[14:15], v[146:147], v[252:253]
	s_waitcnt lgkmcnt(1)
	v_pk_mov_b32 v[12:13], v[8:9], v[8:9] op_sel:[0,1]
	v_pk_mov_b32 v[10:11], v[6:7], v[6:7] op_sel:[0,1]
	v_fma_f64 v[132:133], v[144:145], v[250:251], -v[14:15]
	ds_read_b128 v[250:253], v220 offset:1504
	v_mul_f64 v[8:9], v[10:11], v[124:125]
	v_fmac_f64_e32 v[8:9], v[12:13], v[122:123]
	v_add_f64 v[4:5], v[4:5], v[8:9]
	s_waitcnt lgkmcnt(1)
	v_mul_f64 v[8:9], v[126:127], v[238:239]
	v_fmac_f64_e32 v[8:9], v[128:129], v[244:245]
	v_add_f64 v[4:5], v[4:5], v[8:9]
	s_waitcnt lgkmcnt(0)
	v_mul_f64 v[8:9], v[250:251], v[240:241]
	v_fmac_f64_e32 v[8:9], v[252:253], v[242:243]
	ds_read_b128 v[242:245], v220 offset:1520
	v_add_f64 v[8:9], v[4:5], v[8:9]
	v_mul_f64 v[4:5], v[150:151], v[24:25]
	v_fma_f64 v[22:23], v[148:149], v[36:37], -v[4:5]
	buffer_load_dword v4, off, s[0:3], 0 offset:624
	buffer_load_dword v5, off, s[0:3], 0 offset:628
	ds_read_b128 v[238:241], v220 offset:1536
	v_accvgpr_write_b32 a201, v129
	v_accvgpr_write_b32 a200, v128
	;; [unrolled: 1-line block ×4, first 2 shown]
	ds_read_b128 v[126:129], v220 offset:1552
	s_waitcnt lgkmcnt(2)
	v_mul_f64 v[36:37], v[242:243], v[120:121]
	v_fmac_f64_e32 v[36:37], v[244:245], v[204:205]
	v_add_f64 v[8:9], v[8:9], v[36:37]
	s_waitcnt lgkmcnt(1)
	v_mul_f64 v[36:37], v[238:239], v[246:247]
	v_accvgpr_write_b32 a193, v13
	v_accvgpr_write_b32 a192, v12
	;; [unrolled: 1-line block ×4, first 2 shown]
	s_waitcnt vmcnt(8)
	v_fmac_f64_e32 v[36:37], v[240:241], v[20:21]
	v_add_f64 v[8:9], v[8:9], v[36:37]
	s_waitcnt vmcnt(6) lgkmcnt(0)
	v_mul_f64 v[36:37], v[126:127], v[16:17]
	v_mul_f64 v[12:13], v[154:155], v[206:207]
	s_waitcnt vmcnt(4)
	v_fmac_f64_e32 v[36:37], v[128:129], v[130:131]
	v_add_f64 v[8:9], v[8:9], v[36:37]
	ds_read_b128 v[34:37], v220 offset:1568
	ds_read_b128 v[122:125], v220 offset:1584
	buffer_load_dword v134, off, s[0:3], 0 offset:664
	buffer_load_dword v139, off, s[0:3], 0 offset:652
	buffer_load_dword v138, off, s[0:3], 0 offset:648
	buffer_load_dword v141, off, s[0:3], 0 offset:644
	buffer_load_dword v140, off, s[0:3], 0 offset:640
	buffer_load_dword v142, off, s[0:3], 0 offset:656
	buffer_load_dword v135, off, s[0:3], 0 offset:668
	buffer_load_dword v143, off, s[0:3], 0 offset:660
	buffer_load_dword v137, off, s[0:3], 0 offset:700
	buffer_load_dword v136, off, s[0:3], 0 offset:696
	v_fma_f64 v[18:19], v[152:153], v[18:19], -v[12:13]
	buffer_load_dword v151, off, s[0:3], 0 offset:684
	buffer_load_dword v150, off, s[0:3], 0 offset:680
	;; [unrolled: 1-line block ×7, first 2 shown]
	v_fma_f64 v[154:155], v[38:39], v[50:51], -v[40:41]
	v_mul_f64 v[38:39], v[158:159], v[96:97]
	v_mul_f64 v[42:43], v[166:167], v[232:233]
	v_fma_f64 v[38:39], v[156:157], v[216:217], -v[38:39]
	v_mul_f64 v[40:41], v[162:163], v[84:85]
	v_fma_f64 v[162:163], v[164:165], v[234:235], -v[42:43]
	buffer_load_dword v232, off, s[0:3], 0 offset:720
	buffer_load_dword v235, off, s[0:3], 0 offset:716
	;; [unrolled: 1-line block ×7, first 2 shown]
	v_fma_f64 v[40:41], v[160:161], v[90:91], -v[40:41]
	buffer_load_dword v159, off, s[0:3], 0 offset:748
	buffer_load_dword v158, off, s[0:3], 0 offset:744
	;; [unrolled: 1-line block ×8, first 2 shown]
	v_accvgpr_write_b32 a217, v17
	v_accvgpr_write_b32 a216, v16
	v_mul_f64 v[42:43], v[170:171], v[218:219]
	v_fma_f64 v[16:17], v[172:173], v[46:47], -v[44:45]
	v_mul_f64 v[44:45], v[178:179], v[236:237]
	v_fma_f64 v[218:219], v[168:169], v[222:223], -v[42:43]
	v_fma_f64 v[120:121], v[176:177], v[254:255], -v[44:45]
	buffer_load_dword v237, off, s[0:3], 0 offset:796
	buffer_load_dword v169, off, s[0:3], 0 offset:780
	;; [unrolled: 1-line block ×12, first 2 shown]
	v_fma_f64 v[12:13], v[180:181], v[2:3], -v[0:1]
	v_mul_f64 v[2:3], v[186:187], v[92:93]
	v_mul_f64 v[14:15], v[190:191], v[100:101]
	v_fma_f64 v[146:147], v[30:31], v[98:99], -v[32:33]
	v_fma_f64 v[10:11], v[184:185], v[94:95], -v[2:3]
	;; [unrolled: 1-line block ×3, first 2 shown]
	buffer_load_dword v180, off, s[0:3], 0 offset:824
	buffer_load_dword v182, off, s[0:3], 0 offset:816
	;; [unrolled: 1-line block ×16, first 2 shown]
	ds_read_b128 v[30:33], v220 offset:1600
	s_waitcnt vmcnt(62) lgkmcnt(2)
	v_mul_f64 v[42:43], v[34:35], v[248:249]
	v_accvgpr_write_b32 a221, v131
	v_accvgpr_write_b32 a220, v130
	ds_read_b128 v[46:49], v220 offset:1632
	v_accvgpr_write_b32 a219, v21
	v_mul_f64 v[14:15], v[194:195], v[60:61]
	v_accvgpr_write_b32 a218, v20
	v_fma_f64 v[14:15], v[192:193], v[70:71], -v[14:15]
	v_mul_f64 v[66:67], v[110:111], v[66:67]
	v_fma_f64 v[0:1], v[108:109], v[68:69], -v[66:67]
	v_accvgpr_write_b32 a212, v204
	v_accvgpr_write_b32 a214, v246
	;; [unrolled: 1-line block ×3, first 2 shown]
	ds_read_b128 v[66:69], v220 offset:1712
	ds_read_b128 v[90:93], v220 offset:1808
	s_waitcnt vmcnt(60)
	v_fmac_f64_e32 v[42:43], v[36:37], v[4:5]
	v_add_f64 v[8:9], v[8:9], v[42:43]
	v_pk_mov_b32 v[130:131], v[4:5], v[4:5] op_sel:[0,1]
	s_waitcnt vmcnt(57) lgkmcnt(4)
	v_mul_f64 v[42:43], v[122:123], v[138:139]
	s_waitcnt vmcnt(55)
	v_fmac_f64_e32 v[42:43], v[124:125], v[140:141]
	v_add_f64 v[8:9], v[8:9], v[42:43]
	v_mul_f64 v[42:43], v[198:199], v[72:73]
	v_fma_f64 v[4:5], v[196:197], v[82:83], -v[42:43]
	ds_read_b128 v[42:45], v220 offset:1616
	s_waitcnt vmcnt(53) lgkmcnt(4)
	v_mul_f64 v[24:25], v[30:31], v[134:135]
	s_waitcnt vmcnt(52)
	v_fmac_f64_e32 v[24:25], v[32:33], v[142:143]
	v_add_f64 v[8:9], v[8:9], v[24:25]
	v_mul_f64 v[24:25], v[202:203], v[52:53]
	ds_read_b128 v[50:53], v220 offset:1648
	v_fma_f64 v[24:25], v[200:201], v[54:55], -v[24:25]
	s_waitcnt vmcnt(48) lgkmcnt(1)
	v_mul_f64 v[54:55], v[42:43], v[150:151]
	s_waitcnt vmcnt(46)
	v_fmac_f64_e32 v[54:55], v[44:45], v[152:153]
	v_add_f64 v[8:9], v[8:9], v[54:55]
	v_mul_f64 v[54:55], v[28:29], v[56:57]
	v_fma_f64 v[2:3], v[26:27], v[58:59], -v[54:55]
	ds_read_b128 v[54:57], v220 offset:1664
	v_mul_f64 v[60:61], v[46:47], v[136:137]
	s_waitcnt vmcnt(44)
	v_fmac_f64_e32 v[60:61], v[48:49], v[148:149]
	s_waitcnt vmcnt(40) lgkmcnt(1)
	v_mul_f64 v[20:21], v[50:51], v[234:235]
	v_add_f64 v[8:9], v[8:9], v[60:61]
	ds_read_b128 v[58:61], v220 offset:1680
	s_waitcnt vmcnt(38)
	v_fmac_f64_e32 v[20:21], v[52:53], v[156:157]
	v_add_f64 v[8:9], v[8:9], v[20:21]
	s_waitcnt vmcnt(37) lgkmcnt(1)
	v_mul_f64 v[20:21], v[54:55], v[144:145]
	s_waitcnt vmcnt(36)
	v_fmac_f64_e32 v[20:21], v[56:57], v[232:233]
	v_add_f64 v[8:9], v[8:9], v[20:21]
	v_mul_f64 v[20:21], v[106:107], v[62:63]
	v_fma_f64 v[20:21], v[104:105], v[64:65], -v[20:21]
	ds_read_b128 v[62:65], v220 offset:1696
	s_waitcnt vmcnt(34) lgkmcnt(1)
	v_mul_f64 v[70:71], v[58:59], v[158:159]
	s_waitcnt vmcnt(32)
	v_fmac_f64_e32 v[70:71], v[60:61], v[160:161]
	v_add_f64 v[8:9], v[8:9], v[70:71]
	ds_read_b128 v[70:73], v220 offset:1728
	s_waitcnt vmcnt(29) lgkmcnt(1)
	v_mul_f64 v[26:27], v[62:63], v[164:165]
	s_waitcnt vmcnt(28)
	v_fmac_f64_e32 v[26:27], v[64:65], v[166:167]
	v_add_f64 v[8:9], v[8:9], v[26:27]
	v_mul_f64 v[26:27], v[210:211], v[74:75]
	v_fma_f64 v[222:223], v[208:209], v[76:77], -v[26:27]
	ds_read_b128 v[74:77], v220 offset:1744
	s_waitcnt vmcnt(25)
	v_mul_f64 v[26:27], v[66:67], v[168:169]
	s_waitcnt vmcnt(23)
	v_fmac_f64_e32 v[26:27], v[68:69], v[174:175]
	v_add_f64 v[8:9], v[8:9], v[26:27]
	s_waitcnt vmcnt(22) lgkmcnt(1)
	v_mul_f64 v[26:27], v[70:71], v[236:237]
	s_waitcnt vmcnt(20)
	v_fmac_f64_e32 v[26:27], v[72:73], v[172:173]
	s_waitcnt vmcnt(18) lgkmcnt(0)
	v_mul_f64 v[28:29], v[74:75], v[170:171]
	v_add_f64 v[26:27], v[8:9], v[26:27]
	s_waitcnt vmcnt(16)
	v_fmac_f64_e32 v[28:29], v[76:77], v[176:177]
	v_mul_f64 v[8:9], v[114:115], v[78:79]
	v_add_f64 v[26:27], v[26:27], v[28:29]
	v_mul_f64 v[28:29], v[214:215], v[86:87]
	v_fma_f64 v[8:9], v[112:113], v[80:81], -v[8:9]
	ds_read_b128 v[82:85], v220 offset:1760
	ds_read_b128 v[78:81], v220 offset:1776
	v_fma_f64 v[114:115], v[212:213], v[88:89], -v[28:29]
	ds_read_b128 v[86:89], v220 offset:1792
	buffer_load_dword v192, off, s[0:3], 0 offset:888
	buffer_load_dword v193, off, s[0:3], 0 offset:892
	buffer_load_dword v194, off, s[0:3], 0 offset:880
	buffer_load_dword v195, off, s[0:3], 0 offset:884
	ds_read_b128 v[94:97], v220 offset:1824
	buffer_load_dword v197, off, s[0:3], 0 offset:908
	buffer_load_dword v196, off, s[0:3], 0 offset:904
	buffer_load_dword v199, off, s[0:3], 0 offset:900
	buffer_load_dword v198, off, s[0:3], 0 offset:896
	;; [unrolled: 5-line block ×5, first 2 shown]
	s_waitcnt vmcnt(33) lgkmcnt(6)
	v_mul_f64 v[28:29], v[82:83], v[180:181]
	s_waitcnt vmcnt(32)
	v_fmac_f64_e32 v[28:29], v[84:85], v[182:183]
	v_add_f64 v[26:27], v[26:27], v[28:29]
	s_waitcnt vmcnt(29) lgkmcnt(5)
	v_mul_f64 v[28:29], v[78:79], v[186:187]
	s_waitcnt vmcnt(27)
	v_fmac_f64_e32 v[28:29], v[80:81], v[188:189]
	v_add_f64 v[26:27], v[26:27], v[28:29]
	s_waitcnt vmcnt(25) lgkmcnt(4)
	v_mul_f64 v[28:29], v[86:87], v[178:179]
	s_waitcnt vmcnt(24)
	v_fmac_f64_e32 v[28:29], v[88:89], v[184:185]
	v_add_f64 v[26:27], v[26:27], v[28:29]
	s_waitcnt vmcnt(22)
	v_mul_f64 v[28:29], v[90:91], v[190:191]
	s_waitcnt vmcnt(20)
	v_fmac_f64_e32 v[28:29], v[92:93], v[254:255]
	v_add_f64 v[26:27], v[26:27], v[28:29]
	ds_read_b128 v[110:113], v220 offset:1888
	buffer_load_dword v215, off, s[0:3], 0 offset:972
	buffer_load_dword v214, off, s[0:3], 0 offset:968
	;; [unrolled: 1-line block ×4, first 2 shown]
	s_waitcnt vmcnt(22) lgkmcnt(4)
	v_mul_f64 v[28:29], v[94:95], v[192:193]
	s_waitcnt vmcnt(20)
	v_fmac_f64_e32 v[28:29], v[96:97], v[194:195]
	v_add_f64 v[26:27], v[26:27], v[28:29]
	s_waitcnt vmcnt(18) lgkmcnt(3)
	v_mul_f64 v[28:29], v[98:99], v[196:197]
	s_waitcnt vmcnt(16)
	v_fmac_f64_e32 v[28:29], v[100:101], v[198:199]
	v_add_f64 v[26:27], v[26:27], v[28:29]
	;; [unrolled: 5-line block ×5, first 2 shown]
	ds_read_b128 v[26:29], v220 offset:1904
	v_add_f64 v[220:221], v[118:119], 0
	v_add_f64 v[220:221], v[220:221], v[224:225]
	;; [unrolled: 1-line block ×23, first 2 shown]
	buffer_load_dword v224, off, s[0:3], 0 offset:32
	buffer_load_dword v225, off, s[0:3], 0 offset:36
	;; [unrolled: 1-line block ×4, first 2 shown]
	v_add_f64 v[2:3], v[4:5], v[2:3]
	v_add_f64 v[2:3], v[2:3], v[20:21]
	;; [unrolled: 1-line block ×3, first 2 shown]
	v_accvgpr_read_b32 v4, a182
	v_accvgpr_read_b32 v2, a186
	;; [unrolled: 1-line block ×5, first 2 shown]
	v_add_f64 v[226:227], v[0:1], v[222:223]
	v_mul_f64 v[2:3], v[6:7], v[2:3]
	v_accvgpr_read_b32 v6, a188
	v_add_f64 v[0:1], v[226:227], v[8:9]
	v_accvgpr_read_b32 v5, a183
	v_accvgpr_read_b32 v7, a189
	v_add_f64 v[0:1], v[0:1], v[114:115]
	v_fma_f64 v[2:3], v[4:5], v[6:7], -v[2:3]
	v_add_f64 v[0:1], v[0:1], v[2:3]
	v_accvgpr_read_b32 v4, a190
	v_accvgpr_read_b32 v2, a194
	;; [unrolled: 1-line block ×5, first 2 shown]
	v_mul_f64 v[2:3], v[6:7], v[2:3]
	v_accvgpr_read_b32 v6, a196
	v_accvgpr_read_b32 v5, a191
	;; [unrolled: 1-line block ×3, first 2 shown]
	v_fma_f64 v[2:3], v[4:5], v[6:7], -v[2:3]
	v_add_f64 v[0:1], v[0:1], v[2:3]
	v_accvgpr_read_b32 v4, a198
	v_accvgpr_read_b32 v2, a202
	;; [unrolled: 1-line block ×5, first 2 shown]
	v_mul_f64 v[2:3], v[6:7], v[2:3]
	v_accvgpr_read_b32 v6, a208
	v_accvgpr_read_b32 v5, a199
	;; [unrolled: 1-line block ×3, first 2 shown]
	v_fma_f64 v[2:3], v[4:5], v[6:7], -v[2:3]
	v_add_f64 v[0:1], v[0:1], v[2:3]
	v_accvgpr_read_b32 v2, a204
	v_accvgpr_read_b32 v3, a205
	v_accvgpr_read_b32 v4, a206
	v_mul_f64 v[2:3], v[252:253], v[2:3]
	v_accvgpr_read_b32 v5, a207
	v_fma_f64 v[2:3], v[250:251], v[4:5], -v[2:3]
	v_add_f64 v[0:1], v[0:1], v[2:3]
	v_accvgpr_read_b32 v2, a210
	v_accvgpr_read_b32 v3, a211
	v_accvgpr_read_b32 v4, a212
	v_mul_f64 v[2:3], v[244:245], v[2:3]
	v_accvgpr_read_b32 v5, a213
	;; [unrolled: 7-line block ×4, first 2 shown]
	v_fma_f64 v[2:3], v[126:127], v[4:5], -v[2:3]
	v_add_f64 v[0:1], v[0:1], v[2:3]
	v_mul_f64 v[2:3], v[36:37], v[248:249]
	v_fma_f64 v[2:3], v[34:35], v[130:131], -v[2:3]
	v_add_f64 v[0:1], v[0:1], v[2:3]
	v_mul_f64 v[2:3], v[124:125], v[138:139]
	v_fma_f64 v[2:3], v[122:123], v[140:141], -v[2:3]
	v_add_f64 v[0:1], v[0:1], v[2:3]
	v_mul_f64 v[2:3], v[32:33], v[134:135]
	v_fma_f64 v[2:3], v[30:31], v[142:143], -v[2:3]
	v_add_f64 v[0:1], v[0:1], v[2:3]
	v_mul_f64 v[2:3], v[44:45], v[150:151]
	v_fma_f64 v[2:3], v[42:43], v[152:153], -v[2:3]
	v_add_f64 v[0:1], v[0:1], v[2:3]
	v_mul_f64 v[2:3], v[48:49], v[136:137]
	v_fma_f64 v[2:3], v[46:47], v[148:149], -v[2:3]
	v_add_f64 v[0:1], v[0:1], v[2:3]
	v_mul_f64 v[2:3], v[52:53], v[234:235]
	v_fma_f64 v[2:3], v[50:51], v[156:157], -v[2:3]
	v_add_f64 v[0:1], v[0:1], v[2:3]
	v_mul_f64 v[2:3], v[56:57], v[144:145]
	v_fma_f64 v[2:3], v[54:55], v[232:233], -v[2:3]
	v_add_f64 v[0:1], v[0:1], v[2:3]
	v_mul_f64 v[2:3], v[60:61], v[158:159]
	v_fma_f64 v[2:3], v[58:59], v[160:161], -v[2:3]
	v_add_f64 v[0:1], v[0:1], v[2:3]
	v_mul_f64 v[2:3], v[64:65], v[164:165]
	v_fma_f64 v[2:3], v[62:63], v[166:167], -v[2:3]
	v_add_f64 v[0:1], v[0:1], v[2:3]
	v_mul_f64 v[2:3], v[68:69], v[168:169]
	v_fma_f64 v[2:3], v[66:67], v[174:175], -v[2:3]
	v_add_f64 v[0:1], v[0:1], v[2:3]
	v_mul_f64 v[2:3], v[72:73], v[236:237]
	v_fma_f64 v[2:3], v[70:71], v[172:173], -v[2:3]
	v_add_f64 v[0:1], v[0:1], v[2:3]
	v_mul_f64 v[2:3], v[76:77], v[170:171]
	v_fma_f64 v[2:3], v[74:75], v[176:177], -v[2:3]
	v_add_f64 v[0:1], v[0:1], v[2:3]
	v_mul_f64 v[2:3], v[84:85], v[180:181]
	v_fma_f64 v[2:3], v[82:83], v[182:183], -v[2:3]
	v_add_f64 v[0:1], v[0:1], v[2:3]
	v_mul_f64 v[2:3], v[80:81], v[186:187]
	v_fma_f64 v[2:3], v[78:79], v[188:189], -v[2:3]
	v_add_f64 v[0:1], v[0:1], v[2:3]
	v_mul_f64 v[2:3], v[88:89], v[178:179]
	v_fma_f64 v[2:3], v[86:87], v[184:185], -v[2:3]
	v_add_f64 v[0:1], v[0:1], v[2:3]
	v_mul_f64 v[2:3], v[92:93], v[190:191]
	v_fma_f64 v[2:3], v[90:91], v[254:255], -v[2:3]
	v_add_f64 v[0:1], v[0:1], v[2:3]
	v_mul_f64 v[2:3], v[96:97], v[192:193]
	v_fma_f64 v[2:3], v[94:95], v[194:195], -v[2:3]
	v_add_f64 v[0:1], v[0:1], v[2:3]
	v_mul_f64 v[2:3], v[100:101], v[196:197]
	v_fma_f64 v[2:3], v[98:99], v[198:199], -v[2:3]
	v_add_f64 v[0:1], v[0:1], v[2:3]
	v_mul_f64 v[2:3], v[104:105], v[200:201]
	v_fma_f64 v[2:3], v[102:103], v[202:203], -v[2:3]
	v_add_f64 v[0:1], v[0:1], v[2:3]
	v_mul_f64 v[2:3], v[108:109], v[204:205]
	v_fma_f64 v[2:3], v[106:107], v[206:207], -v[2:3]
	v_add_f64 v[0:1], v[0:1], v[2:3]
	v_mul_f64 v[2:3], v[112:113], v[208:209]
	v_fma_f64 v[2:3], v[110:111], v[210:211], -v[2:3]
	v_add_f64 v[0:1], v[0:1], v[2:3]
	s_waitcnt vmcnt(6) lgkmcnt(0)
	v_mul_f64 v[2:3], v[28:29], v[214:215]
	v_mul_f64 v[246:247], v[26:27], v[214:215]
	s_waitcnt vmcnt(4)
	v_fma_f64 v[2:3], v[26:27], v[216:217], -v[2:3]
	v_fmac_f64_e32 v[246:247], v[28:29], v[216:217]
	v_add_f64 v[0:1], v[0:1], v[2:3]
	v_add_f64 v[212:213], v[212:213], v[246:247]
	s_waitcnt vmcnt(2)
	v_add_f64 v[0:1], v[224:225], -v[0:1]
	s_waitcnt vmcnt(0)
	v_add_f64 v[2:3], v[220:221], -v[212:213]
	buffer_store_dword v1, off, s[0:3], 0 offset:36
	buffer_store_dword v0, off, s[0:3], 0 offset:32
	;; [unrolled: 1-line block ×4, first 2 shown]
	v_accvgpr_read_b32 v0, a179
	v_cmp_ne_u32_e32 vcc, 0, v0
	s_and_saveexec_b64 s[4:5], vcc
	s_cbranch_execz .LBB59_373
; %bb.372:
	buffer_load_dword v0, off, s[0:3], 0 offset:16
	buffer_load_dword v1, off, s[0:3], 0 offset:20
	;; [unrolled: 1-line block ×4, first 2 shown]
	v_mov_b32_e32 v4, 0
	v_accvgpr_read_b32 v5, a180
	buffer_store_dword v4, off, s[0:3], 0 offset:16
	buffer_store_dword v4, off, s[0:3], 0 offset:20
	;; [unrolled: 1-line block ×4, first 2 shown]
	s_waitcnt vmcnt(4)
	ds_write_b128 v5, v[0:3]
.LBB59_373:
	s_or_b64 exec, exec, s[4:5]
	s_waitcnt lgkmcnt(0)
	; wave barrier
	s_waitcnt lgkmcnt(0)
	buffer_load_dword v6, off, s[0:3], 0 offset:32
	buffer_load_dword v7, off, s[0:3], 0 offset:36
	;; [unrolled: 1-line block ×54, first 2 shown]
	v_mov_b32_e32 v210, 0
	ds_read_b128 v[118:121], v210 offset:976
	ds_read_b128 v[122:125], v210 offset:992
	;; [unrolled: 1-line block ×9, first 2 shown]
	s_and_b64 vcc, exec, s[20:21]
	s_waitcnt vmcnt(50) lgkmcnt(8)
	v_mul_f64 v[46:47], v[118:119], v[8:9]
	v_fmac_f64_e32 v[46:47], v[120:121], v[6:7]
	v_add_f64 v[46:47], v[46:47], 0
	v_mul_f64 v[8:9], v[120:121], v[8:9]
	s_waitcnt vmcnt(46) lgkmcnt(7)
	v_mul_f64 v[48:49], v[122:123], v[4:5]
	v_fmac_f64_e32 v[48:49], v[124:125], v[0:1]
	s_waitcnt vmcnt(44) lgkmcnt(6)
	v_mul_f64 v[50:51], v[126:127], v[2:3]
	v_add_f64 v[46:47], v[46:47], v[48:49]
	s_waitcnt vmcnt(42) lgkmcnt(4)
	v_mul_f64 v[54:55], v[134:135], v[68:69]
	v_fma_f64 v[6:7], v[118:119], v[6:7], -v[8:9]
	s_waitcnt vmcnt(40)
	v_fmac_f64_e32 v[54:55], v[136:137], v[66:67]
	v_accvgpr_write_b32 a227, v7
	s_waitcnt vmcnt(38)
	v_mul_f64 v[52:53], v[130:131], v[34:35]
	v_mul_f64 v[4:5], v[124:125], v[4:5]
	s_waitcnt vmcnt(36) lgkmcnt(2)
	v_mul_f64 v[60:61], v[142:143], v[18:19]
	v_accvgpr_write_b32 a226, v6
	s_waitcnt vmcnt(34)
	v_fmac_f64_e32 v[60:61], v[144:145], v[22:23]
	v_mul_f64 v[18:19], v[144:145], v[18:19]
	s_waitcnt vmcnt(32)
	v_mul_f64 v[56:57], v[138:139], v[26:27]
	v_mul_f64 v[26:27], v[140:141], v[26:27]
	s_waitcnt vmcnt(30) lgkmcnt(1)
	v_mul_f64 v[106:107], v[146:147], v[10:11]
	v_accvgpr_write_b32 a189, v11
	s_waitcnt vmcnt(28)
	v_fmac_f64_e32 v[50:51], v[128:129], v[32:33]
	v_add_f64 v[46:47], v[46:47], v[50:51]
	s_waitcnt vmcnt(26)
	v_fmac_f64_e32 v[52:53], v[132:133], v[30:31]
	v_add_f64 v[46:47], v[46:47], v[52:53]
	;; [unrolled: 3-line block ×3, first 2 shown]
	v_add_f64 v[46:47], v[46:47], v[56:57]
	v_add_f64 v[108:109], v[46:47], v[60:61]
	buffer_load_dword v111, off, s[0:3], 0 offset:260
	buffer_load_dword v110, off, s[0:3], 0 offset:256
	;; [unrolled: 1-line block ×62, first 2 shown]
	ds_read_b128 v[154:157], v210 offset:1120
	ds_read_b128 v[158:161], v210 offset:1136
	s_waitcnt vmcnt(62)
	v_fmac_f64_e32 v[106:107], v[148:149], v[24:25]
	v_add_f64 v[106:107], v[108:109], v[106:107]
	s_waitcnt lgkmcnt(2)
	v_mul_f64 v[108:109], v[150:151], v[12:13]
	v_fmac_f64_e32 v[108:109], v[152:153], v[250:251]
	ds_read_b128 v[162:165], v210 offset:1152
	ds_read_b128 v[166:169], v210 offset:1168
	v_add_f64 v[106:107], v[106:107], v[108:109]
	s_waitcnt lgkmcnt(3)
	v_mul_f64 v[108:109], v[154:155], v[40:41]
	v_fmac_f64_e32 v[108:109], v[156:157], v[42:43]
	v_add_f64 v[106:107], v[106:107], v[108:109]
	s_waitcnt lgkmcnt(2)
	v_mul_f64 v[108:109], v[158:159], v[248:249]
	v_fmac_f64_e32 v[108:109], v[160:161], v[228:229]
	ds_read_b128 v[170:173], v210 offset:1184
	ds_read_b128 v[174:177], v210 offset:1200
	v_add_f64 v[106:107], v[106:107], v[108:109]
	s_waitcnt lgkmcnt(3)
	v_mul_f64 v[108:109], v[162:163], v[84:85]
	v_fmac_f64_e32 v[108:109], v[164:165], v[86:87]
	v_add_f64 v[106:107], v[106:107], v[108:109]
	s_waitcnt lgkmcnt(2)
	v_mul_f64 v[108:109], v[166:167], v[58:59]
	v_fmac_f64_e32 v[108:109], v[168:169], v[38:39]
	ds_read_b128 v[178:181], v210 offset:1216
	ds_read_b128 v[182:185], v210 offset:1232
	v_add_f64 v[106:107], v[106:107], v[108:109]
	s_waitcnt vmcnt(58) lgkmcnt(3)
	v_mul_f64 v[108:109], v[170:171], v[36:37]
	s_waitcnt vmcnt(56)
	v_fmac_f64_e32 v[108:109], v[172:173], v[226:227]
	v_add_f64 v[106:107], v[106:107], v[108:109]
	s_waitcnt lgkmcnt(2)
	v_mul_f64 v[108:109], v[174:175], v[44:45]
	v_fmac_f64_e32 v[108:109], v[176:177], v[110:111]
	ds_read_b128 v[186:189], v210 offset:1248
	ds_read_b128 v[190:193], v210 offset:1264
	v_add_f64 v[106:107], v[106:107], v[108:109]
	s_waitcnt vmcnt(50) lgkmcnt(3)
	v_mul_f64 v[108:109], v[178:179], v[112:113]
	s_waitcnt vmcnt(48)
	v_fmac_f64_e32 v[108:109], v[180:181], v[114:115]
	v_add_f64 v[106:107], v[106:107], v[108:109]
	s_waitcnt lgkmcnt(2)
	v_mul_f64 v[108:109], v[182:183], v[94:95]
	v_fmac_f64_e32 v[108:109], v[184:185], v[96:97]
	ds_read_b128 v[194:197], v210 offset:1280
	ds_read_b128 v[198:201], v210 offset:1296
	v_add_f64 v[106:107], v[106:107], v[108:109]
	s_waitcnt vmcnt(42) lgkmcnt(3)
	v_mul_f64 v[108:109], v[186:187], v[100:101]
	s_waitcnt vmcnt(40)
	v_fmac_f64_e32 v[108:109], v[188:189], v[104:105]
	v_add_f64 v[106:107], v[106:107], v[108:109]
	s_waitcnt lgkmcnt(2)
	v_mul_f64 v[108:109], v[190:191], v[90:91]
	v_fmac_f64_e32 v[108:109], v[192:193], v[92:93]
	v_add_f64 v[106:107], v[106:107], v[108:109]
	s_waitcnt vmcnt(34) lgkmcnt(1)
	v_mul_f64 v[108:109], v[194:195], v[98:99]
	s_waitcnt vmcnt(32)
	v_fmac_f64_e32 v[108:109], v[196:197], v[102:103]
	v_add_f64 v[106:107], v[106:107], v[108:109]
	s_waitcnt lgkmcnt(0)
	v_mul_f64 v[108:109], v[198:199], v[88:89]
	v_fmac_f64_e32 v[108:109], v[200:201], v[82:83]
	ds_read_b128 v[202:205], v210 offset:1312
	v_add_f64 v[212:213], v[106:107], v[108:109]
	buffer_load_dword v107, off, s[0:3], 0 offset:508
	buffer_load_dword v106, off, s[0:3], 0 offset:504
	;; [unrolled: 1-line block ×4, first 2 shown]
	ds_read_b128 v[206:209], v210 offset:1328
	buffer_load_dword v217, off, s[0:3], 0 offset:524
	buffer_load_dword v216, off, s[0:3], 0 offset:520
	s_waitcnt vmcnt(32) lgkmcnt(1)
	v_mul_f64 v[214:215], v[202:203], v[70:71]
	s_waitcnt vmcnt(30)
	v_fmac_f64_e32 v[214:215], v[204:205], v[80:81]
	v_accvgpr_write_b32 a205, v13
	v_accvgpr_write_b32 a188, v10
	;; [unrolled: 1-line block ×3, first 2 shown]
	v_fma_f64 v[140:141], v[138:139], v[16:17], -v[26:27]
	v_fma_f64 v[142:143], v[142:143], v[22:23], -v[18:19]
	s_waitcnt vmcnt(0)
	v_pk_mov_b32 v[240:241], v[216:217], v[216:217] op_sel:[0,1]
	buffer_load_dword v217, off, s[0:3], 0 offset:516
	buffer_load_dword v216, off, s[0:3], 0 offset:512
	v_accvgpr_write_b32 a184, v240
	v_accvgpr_write_b32 a185, v241
	s_waitcnt vmcnt(0)
	v_pk_mov_b32 v[242:243], v[216:217], v[216:217] op_sel:[0,1]
	v_add_f64 v[216:217], v[212:213], v[214:215]
	ds_read_b128 v[212:215], v210 offset:1344
	buffer_load_dword v219, off, s[0:3], 0 offset:540
	buffer_load_dword v218, off, s[0:3], 0 offset:536
	v_accvgpr_write_b32 a186, v242
	v_accvgpr_write_b32 a187, v243
	s_waitcnt lgkmcnt(0)
	v_mul_f64 v[224:225], v[212:213], v[48:49]
	v_fmac_f64_e32 v[224:225], v[214:215], v[56:57]
	v_mul_f64 v[48:49], v[214:215], v[48:49]
	s_waitcnt vmcnt(0)
	v_pk_mov_b32 v[244:245], v[218:219], v[218:219] op_sel:[0,1]
	buffer_load_dword v219, off, s[0:3], 0 offset:532
	buffer_load_dword v218, off, s[0:3], 0 offset:528
	v_accvgpr_write_b32 a192, v244
	v_accvgpr_write_b32 a193, v245
	s_waitcnt vmcnt(0)
	v_pk_mov_b32 v[246:247], v[218:219], v[218:219] op_sel:[0,1]
	buffer_load_dword v219, off, s[0:3], 0 offset:556
	buffer_load_dword v218, off, s[0:3], 0 offset:552
	v_accvgpr_write_b32 a194, v246
	v_accvgpr_write_b32 a195, v247
	s_waitcnt vmcnt(0)
	v_pk_mov_b32 v[252:253], v[218:219], v[218:219] op_sel:[0,1]
	buffer_load_dword v219, off, s[0:3], 0 offset:548
	buffer_load_dword v218, off, s[0:3], 0 offset:544
	;; [unrolled: 1-line block ×10, first 2 shown]
	ds_read_b128 v[236:239], v210 offset:1392
	v_accvgpr_write_b32 a200, v252
	v_accvgpr_write_b32 a201, v253
	ds_read_b128 v[232:235], v210 offset:1376
	s_waitcnt vmcnt(5)
	v_accvgpr_write_b32 a213, v117
	v_accvgpr_write_b32 a212, v116
	s_waitcnt vmcnt(3)
	v_accvgpr_write_b32 a219, v29
	v_accvgpr_write_b32 a218, v28
	v_pk_mov_b32 v[254:255], v[218:219], v[218:219] op_sel:[0,1]
	v_mul_f64 v[218:219], v[206:207], v[46:47]
	v_fmac_f64_e32 v[218:219], v[208:209], v[50:51]
	v_add_f64 v[222:223], v[216:217], v[218:219]
	ds_read_b128 v[216:219], v210 offset:1360
	v_add_f64 v[6:7], v[222:223], v[224:225]
	v_fma_f64 v[222:223], v[122:123], v[0:1], -v[4:5]
	buffer_load_dword v1, off, s[0:3], 0 offset:604
	buffer_load_dword v0, off, s[0:3], 0 offset:600
	s_waitcnt lgkmcnt(2)
	v_mul_f64 v[4:5], v[236:237], v[64:65]
	s_waitcnt lgkmcnt(0)
	v_mul_f64 v[8:9], v[216:217], v[52:53]
	v_fmac_f64_e32 v[8:9], v[218:219], v[54:55]
	v_add_f64 v[6:7], v[6:7], v[8:9]
	v_mul_f64 v[8:9], v[232:233], v[60:61]
	v_fmac_f64_e32 v[8:9], v[234:235], v[62:63]
	v_add_f64 v[6:7], v[6:7], v[8:9]
	v_mul_f64 v[8:9], v[136:137], v[68:69]
	v_fma_f64 v[134:135], v[134:135], v[66:67], -v[8:9]
	v_fmac_f64_e32 v[4:5], v[238:239], v[76:77]
	v_add_f64 v[4:5], v[6:7], v[4:5]
	v_accvgpr_write_b32 a202, v254
	v_accvgpr_write_b32 a203, v255
	s_waitcnt vmcnt(3)
	v_accvgpr_write_b32 a214, v220
	v_accvgpr_write_b32 a215, v221
	s_waitcnt vmcnt(2)
	v_accvgpr_write_b32 a217, v15
	v_accvgpr_write_b32 a216, v14
	v_mul_f64 v[52:53], v[218:219], v[52:53]
	v_fma_f64 v[216:217], v[216:217], v[54:55], -v[52:53]
	v_mul_f64 v[60:61], v[234:235], v[60:61]
	v_mul_f64 v[64:65], v[238:239], v[64:65]
	v_fma_f64 v[218:219], v[236:237], v[76:77], -v[64:65]
	s_waitcnt vmcnt(0)
	v_pk_mov_b32 v[120:121], v[0:1], v[0:1] op_sel:[0,1]
	buffer_load_dword v1, off, s[0:3], 0 offset:596
	buffer_load_dword v0, off, s[0:3], 0 offset:592
	s_waitcnt vmcnt(0)
	v_pk_mov_b32 v[122:123], v[0:1], v[0:1] op_sel:[0,1]
	v_mul_f64 v[0:1], v[128:129], v[2:3]
	buffer_load_dword v21, off, s[0:3], 0 offset:620
	buffer_load_dword v20, off, s[0:3], 0 offset:616
	;; [unrolled: 1-line block ×8, first 2 shown]
	v_fma_f64 v[224:225], v[126:127], v[32:33], -v[0:1]
	v_mul_f64 v[0:1], v[132:133], v[34:35]
	ds_read_b128 v[32:35], v210 offset:1408
	ds_read_b128 v[66:69], v210 offset:1424
	v_fma_f64 v[126:127], v[130:131], v[30:31], -v[0:1]
	ds_read_b128 v[130:133], v210 offset:1456
	ds_read_b128 v[136:139], v210 offset:1472
	s_waitcnt lgkmcnt(3)
	v_mul_f64 v[6:7], v[32:33], v[72:73]
	v_fmac_f64_e32 v[6:7], v[34:35], v[74:75]
	v_add_f64 v[4:5], v[4:5], v[6:7]
	s_waitcnt lgkmcnt(2)
	v_mul_f64 v[6:7], v[66:67], v[230:231]
	v_fmac_f64_e32 v[6:7], v[68:69], v[78:79]
	v_add_f64 v[30:31], v[4:5], v[6:7]
	ds_read_b128 v[4:7], v210 offset:1440
	s_waitcnt lgkmcnt(2)
	v_mul_f64 v[18:19], v[130:131], v[240:241]
	v_accvgpr_write_b32 a183, v133
	v_fmac_f64_e32 v[18:19], v[132:133], v[242:243]
	v_accvgpr_write_b32 a182, v132
	v_accvgpr_write_b32 a181, v131
	;; [unrolled: 1-line block ×3, first 2 shown]
	ds_read_b128 v[130:133], v210 offset:1488
	v_accvgpr_read_b32 v0, a188
	v_accvgpr_read_b32 v1, a189
	v_mul_f64 v[16:17], v[148:149], v[0:1]
	v_fma_f64 v[144:145], v[146:147], v[24:25], -v[16:17]
	s_waitcnt lgkmcnt(2)
	v_mul_f64 v[16:17], v[136:137], v[244:245]
	v_accvgpr_write_b32 a191, v139
	v_fmac_f64_e32 v[16:17], v[138:139], v[246:247]
	v_accvgpr_write_b32 a190, v138
	v_accvgpr_write_b32 a189, v137
	;; [unrolled: 1-line block ×3, first 2 shown]
	ds_read_b128 v[136:139], v210 offset:1504
	s_waitcnt lgkmcnt(2)
	v_mul_f64 v[26:27], v[4:5], v[106:107]
	s_waitcnt lgkmcnt(1)
	v_mul_f64 v[24:25], v[130:131], v[252:253]
	v_accvgpr_write_b32 a199, v133
	v_fmac_f64_e32 v[26:27], v[6:7], v[108:109]
	v_fmac_f64_e32 v[24:25], v[132:133], v[254:255]
	v_accvgpr_write_b32 a198, v132
	v_accvgpr_write_b32 a197, v131
	;; [unrolled: 1-line block ×3, first 2 shown]
	ds_read_b128 v[130:133], v210 offset:1520
	v_add_f64 v[26:27], v[30:31], v[26:27]
	v_accvgpr_read_b32 v0, a204
	v_add_f64 v[18:19], v[26:27], v[18:19]
	v_accvgpr_read_b32 v1, a205
	v_add_f64 v[22:23], v[18:19], v[16:17]
	v_mul_f64 v[16:17], v[152:153], v[0:1]
	s_waitcnt lgkmcnt(1)
	v_mul_f64 v[18:19], v[136:137], v[116:117]
	v_fma_f64 v[118:119], v[150:151], v[250:251], -v[16:17]
	v_add_f64 v[16:17], v[22:23], v[24:25]
	v_fmac_f64_e32 v[18:19], v[138:139], v[28:29]
	v_add_f64 v[16:17], v[16:17], v[18:19]
	s_waitcnt lgkmcnt(0)
	v_mul_f64 v[18:19], v[130:131], v[220:221]
	v_fmac_f64_e32 v[18:19], v[132:133], v[14:15]
	v_add_f64 v[16:17], v[16:17], v[18:19]
	ds_read_b128 v[252:255], v210 offset:1536
	v_mul_f64 v[18:19], v[156:157], v[40:41]
	v_fma_f64 v[30:31], v[154:155], v[42:43], -v[18:19]
	v_mul_f64 v[18:19], v[160:161], v[248:249]
	buffer_load_dword v129, off, s[0:3], 0 offset:652
	buffer_load_dword v128, off, s[0:3], 0 offset:648
	;; [unrolled: 1-line block ×5, first 2 shown]
	v_fma_f64 v[246:247], v[158:159], v[228:229], -v[18:19]
	buffer_load_dword v220, off, s[0:3], 0 offset:672
	buffer_load_dword v117, off, s[0:3], 0 offset:668
	buffer_load_dword v116, off, s[0:3], 0 offset:664
	buffer_load_dword v229, off, s[0:3], 0 offset:660
	buffer_load_dword v228, off, s[0:3], 0 offset:656
	buffer_load_dword v245, off, s[0:3], 0 offset:684
	buffer_load_dword v221, off, s[0:3], 0 offset:676
	ds_read_b128 v[240:243], v210 offset:1552
	v_accvgpr_write_b32 a211, v139
	v_accvgpr_write_b32 a210, v138
	;; [unrolled: 1-line block ×4, first 2 shown]
	ds_read_b128 v[136:139], v210 offset:1568
	v_mul_f64 v[18:19], v[164:165], v[84:85]
	v_fma_f64 v[26:27], v[162:163], v[86:87], -v[18:19]
	s_waitcnt lgkmcnt(2)
	v_mul_f64 v[18:19], v[252:253], v[120:121]
	v_fmac_f64_e32 v[18:19], v[254:255], v[122:123]
	v_add_f64 v[16:17], v[16:17], v[18:19]
	s_waitcnt vmcnt(18) lgkmcnt(1)
	v_mul_f64 v[18:19], v[240:241], v[20:21]
	v_accvgpr_write_b32 a223, v21
	s_waitcnt vmcnt(16)
	v_fmac_f64_e32 v[18:19], v[242:243], v[12:13]
	v_add_f64 v[16:17], v[16:17], v[18:19]
	s_waitcnt vmcnt(14) lgkmcnt(0)
	v_mul_f64 v[18:19], v[136:137], v[10:11]
	v_accvgpr_write_b32 a207, v133
	v_accvgpr_write_b32 a222, v20
	v_pk_mov_b32 v[20:21], v[12:13], v[12:13] op_sel:[0,1]
	s_waitcnt vmcnt(12)
	v_fmac_f64_e32 v[18:19], v[138:139], v[2:3]
	v_mul_f64 v[12:13], v[172:173], v[36:37]
	v_accvgpr_write_b32 a206, v132
	v_accvgpr_write_b32 a205, v131
	;; [unrolled: 1-line block ×3, first 2 shown]
	v_mul_f64 v[28:29], v[168:169], v[58:59]
	v_add_f64 v[58:59], v[16:17], v[18:19]
	ds_read_b128 v[130:133], v210 offset:1584
	v_fma_f64 v[16:17], v[170:171], v[226:227], -v[12:13]
	buffer_load_dword v251, off, s[0:3], 0 offset:700
	buffer_load_dword v250, off, s[0:3], 0 offset:696
	;; [unrolled: 1-line block ×16, first 2 shown]
	v_mul_f64 v[36:37], v[176:177], v[44:45]
	buffer_load_dword v152, off, s[0:3], 0 offset:776
	buffer_load_dword v163, off, s[0:3], 0 offset:764
	;; [unrolled: 1-line block ×8, first 2 shown]
	v_fma_f64 v[84:85], v[174:175], v[110:111], -v[36:37]
	v_mul_f64 v[36:37], v[180:181], v[112:113]
	v_fma_f64 v[86:87], v[178:179], v[114:115], -v[36:37]
	v_mul_f64 v[36:37], v[184:185], v[94:95]
	;; [unrolled: 2-line block ×3, first 2 shown]
	v_fma_f64 v[22:23], v[166:167], v[38:39], -v[28:29]
	v_fma_f64 v[166:167], v[186:187], v[104:105], -v[36:37]
	v_mul_f64 v[36:37], v[192:193], v[90:91]
	v_fma_f64 v[186:187], v[190:191], v[92:93], -v[36:37]
	buffer_load_dword v93, off, s[0:3], 0 offset:796
	buffer_load_dword v92, off, s[0:3], 0 offset:792
	;; [unrolled: 1-line block ×20, first 2 shown]
	v_accvgpr_write_b32 a221, v123
	v_pk_mov_b32 v[248:249], v[120:121], v[120:121] op_sel:[0,1]
	v_accvgpr_write_b32 a220, v122
	ds_read_b128 v[120:123], v210 offset:1600
	v_mul_f64 v[40:41], v[204:205], v[70:71]
	buffer_load_dword v70, off, s[0:3], 0 offset:872
	buffer_load_dword v188, off, s[0:3], 0 offset:864
	;; [unrolled: 1-line block ×4, first 2 shown]
	v_mul_f64 v[36:37], v[196:197], v[98:99]
	v_fma_f64 v[90:91], v[194:195], v[102:103], -v[36:37]
	v_mul_f64 v[36:37], v[200:201], v[88:89]
	v_fma_f64 v[80:81], v[202:203], v[80:81], -v[40:41]
	;; [unrolled: 2-line block ×3, first 2 shown]
	v_fma_f64 v[82:83], v[206:207], v[50:51], -v[40:41]
	ds_read_b128 v[40:43], v210 offset:1616
	v_fma_f64 v[14:15], v[212:213], v[56:57], -v[48:49]
	ds_read_b128 v[48:51], v210 offset:1648
	ds_read_b128 v[52:55], v210 offset:1664
	v_fma_f64 v[12:13], v[232:233], v[62:63], -v[60:61]
	ds_read_b128 v[36:39], v210 offset:1712
	ds_read_b128 v[232:235], v210 offset:1728
	v_accvgpr_write_b32 a225, v3
	v_accvgpr_write_b32 a224, v2
	v_mul_f64 v[2:3], v[34:35], v[72:73]
	v_pk_mov_b32 v[28:29], v[10:11], v[10:11] op_sel:[0,1]
	v_fma_f64 v[0:1], v[32:33], v[74:75], -v[2:3]
	ds_read_b128 v[72:75], v210 offset:1744
	v_mul_f64 v[10:11], v[68:69], v[230:231]
	ds_read_b128 v[236:239], v210 offset:1776
	ds_read_b128 v[32:35], v210 offset:1792
	s_waitcnt vmcnt(58) lgkmcnt(9)
	v_mul_f64 v[44:45], v[130:131], v[128:129]
	s_waitcnt vmcnt(56)
	v_fmac_f64_e32 v[44:45], v[132:133], v[124:125]
	s_waitcnt vmcnt(52) lgkmcnt(8)
	v_mul_f64 v[46:47], v[120:121], v[116:117]
	v_add_f64 v[44:45], v[58:59], v[44:45]
	s_waitcnt vmcnt(50)
	v_fmac_f64_e32 v[46:47], v[122:123], v[228:229]
	v_add_f64 v[44:45], v[44:45], v[46:47]
	s_waitcnt vmcnt(49) lgkmcnt(7)
	v_mul_f64 v[46:47], v[40:41], v[244:245]
	s_waitcnt vmcnt(48)
	v_fmac_f64_e32 v[46:47], v[42:43], v[220:221]
	v_add_f64 v[58:59], v[44:45], v[46:47]
	ds_read_b128 v[44:47], v210 offset:1632
	ds_read_b128 v[60:63], v210 offset:1696
	v_mul_f64 v[6:7], v[6:7], v[106:107]
	s_waitcnt vmcnt(37) lgkmcnt(7)
	v_mul_f64 v[18:19], v[52:53], v[154:155]
	s_waitcnt lgkmcnt(1)
	v_mul_f64 v[24:25], v[44:45], v[250:251]
	v_mul_f64 v[56:57], v[48:49], v[148:149]
	v_fmac_f64_e32 v[24:25], v[46:47], v[226:227]
	v_add_f64 v[24:25], v[58:59], v[24:25]
	v_fmac_f64_e32 v[56:57], v[50:51], v[150:151]
	v_add_f64 v[24:25], v[24:25], v[56:57]
	ds_read_b128 v[56:59], v210 offset:1680
	s_waitcnt vmcnt(35)
	v_fmac_f64_e32 v[18:19], v[54:55], v[158:159]
	v_add_f64 v[18:19], v[24:25], v[18:19]
	s_waitcnt vmcnt(34) lgkmcnt(0)
	v_mul_f64 v[24:25], v[56:57], v[146:147]
	s_waitcnt vmcnt(32)
	v_fmac_f64_e32 v[24:25], v[58:59], v[156:157]
	v_add_f64 v[18:19], v[18:19], v[24:25]
	s_waitcnt vmcnt(29)
	v_mul_f64 v[24:25], v[60:61], v[162:163]
	s_waitcnt vmcnt(27)
	v_fmac_f64_e32 v[24:25], v[62:63], v[164:165]
	v_add_f64 v[18:19], v[18:19], v[24:25]
	s_waitcnt vmcnt(25)
	v_mul_f64 v[24:25], v[36:37], v[152:153]
	s_waitcnt vmcnt(24)
	v_fmac_f64_e32 v[24:25], v[38:39], v[160:161]
	v_add_f64 v[18:19], v[18:19], v[24:25]
	v_fma_f64 v[24:25], v[66:67], v[78:79], -v[10:11]
	ds_read_b128 v[76:79], v210 offset:1760
	s_waitcnt vmcnt(22)
	v_mul_f64 v[2:3], v[232:233], v[92:93]
	s_waitcnt vmcnt(20)
	v_fmac_f64_e32 v[2:3], v[234:235], v[168:169]
	s_waitcnt vmcnt(18)
	v_mul_f64 v[8:9], v[72:73], v[172:173]
	v_add_f64 v[2:3], v[18:19], v[2:3]
	s_waitcnt vmcnt(16)
	v_fmac_f64_e32 v[8:9], v[74:75], v[174:175]
	v_fma_f64 v[18:19], v[4:5], v[108:109], -v[6:7]
	s_waitcnt vmcnt(13) lgkmcnt(0)
	v_mul_f64 v[4:5], v[76:77], v[176:177]
	v_add_f64 v[2:3], v[2:3], v[8:9]
	s_waitcnt vmcnt(11)
	v_fmac_f64_e32 v[4:5], v[78:79], v[182:183]
	ds_read_b128 v[8:11], v210 offset:1808
	buffer_load_dword v191, off, s[0:3], 0 offset:892
	buffer_load_dword v190, off, s[0:3], 0 offset:888
	;; [unrolled: 1-line block ×4, first 2 shown]
	v_add_f64 v[2:3], v[2:3], v[4:5]
	s_waitcnt vmcnt(14)
	v_mul_f64 v[4:5], v[236:237], v[170:171]
	s_waitcnt vmcnt(12)
	v_fmac_f64_e32 v[4:5], v[238:239], v[180:181]
	v_add_f64 v[2:3], v[2:3], v[4:5]
	s_waitcnt vmcnt(10)
	v_mul_f64 v[4:5], v[32:33], v[178:179]
	s_waitcnt vmcnt(8)
	v_fmac_f64_e32 v[4:5], v[34:35], v[184:185]
	v_add_f64 v[2:3], v[2:3], v[4:5]
	s_waitcnt vmcnt(5) lgkmcnt(0)
	v_mul_f64 v[4:5], v[8:9], v[70:71]
	s_waitcnt vmcnt(4)
	v_fmac_f64_e32 v[4:5], v[10:11], v[188:189]
	v_add_f64 v[2:3], v[2:3], v[4:5]
	ds_read_b128 v[4:7], v210 offset:1824
	buffer_load_dword v194, off, s[0:3], 0 offset:904
	buffer_load_dword v195, off, s[0:3], 0 offset:908
	buffer_load_dword v196, off, s[0:3], 0 offset:896
	buffer_load_dword v197, off, s[0:3], 0 offset:900
	s_waitcnt vmcnt(6) lgkmcnt(0)
	v_mul_f64 v[96:97], v[4:5], v[190:191]
	s_waitcnt vmcnt(4)
	v_fmac_f64_e32 v[96:97], v[6:7], v[192:193]
	v_add_f64 v[2:3], v[2:3], v[96:97]
	ds_read_b128 v[96:99], v210 offset:1840
	buffer_load_dword v199, off, s[0:3], 0 offset:924
	buffer_load_dword v198, off, s[0:3], 0 offset:920
	buffer_load_dword v201, off, s[0:3], 0 offset:916
	buffer_load_dword v200, off, s[0:3], 0 offset:912
	;; [unrolled: 10-line block ×5, first 2 shown]
	s_waitcnt vmcnt(6) lgkmcnt(0)
	v_mul_f64 v[112:113], v[108:109], v[206:207]
	s_waitcnt vmcnt(4)
	v_fmac_f64_e32 v[112:113], v[110:111], v[208:209]
	v_add_f64 v[2:3], v[2:3], v[112:113]
	ds_read_b128 v[112:115], v210 offset:1904
	s_waitcnt vmcnt(2) lgkmcnt(0)
	v_mul_f64 v[210:211], v[112:113], v[212:213]
	s_waitcnt vmcnt(0)
	v_fmac_f64_e32 v[210:211], v[114:115], v[214:215]
	v_add_f64 v[210:211], v[2:3], v[210:211]
	v_accvgpr_read_b32 v2, a226
	v_accvgpr_read_b32 v3, a227
	v_add_f64 v[2:3], v[2:3], 0
	v_add_f64 v[2:3], v[2:3], v[222:223]
	;; [unrolled: 1-line block ×25, first 2 shown]
	buffer_load_dword v222, off, s[0:3], 0 offset:16
	buffer_load_dword v223, off, s[0:3], 0 offset:20
	v_add_f64 v[2:3], v[2:3], v[12:13]
	buffer_load_dword v12, off, s[0:3], 0 offset:24
	buffer_load_dword v13, off, s[0:3], 0 offset:28
	v_add_f64 v[2:3], v[2:3], v[218:219]
	v_add_f64 v[224:225], v[2:3], v[0:1]
	v_accvgpr_read_b32 v14, a180
	v_accvgpr_read_b32 v2, a184
	;; [unrolled: 1-line block ×5, first 2 shown]
	v_mul_f64 v[2:3], v[16:17], v[2:3]
	v_accvgpr_read_b32 v16, a186
	v_add_f64 v[0:1], v[224:225], v[24:25]
	v_accvgpr_read_b32 v15, a181
	v_accvgpr_read_b32 v17, a187
	v_add_f64 v[0:1], v[0:1], v[18:19]
	v_fma_f64 v[2:3], v[14:15], v[16:17], -v[2:3]
	v_add_f64 v[0:1], v[0:1], v[2:3]
	v_accvgpr_read_b32 v14, a188
	v_accvgpr_read_b32 v2, a192
	v_accvgpr_read_b32 v16, a190
	v_accvgpr_read_b32 v17, a191
	v_accvgpr_read_b32 v3, a193
	v_mul_f64 v[2:3], v[16:17], v[2:3]
	v_accvgpr_read_b32 v16, a194
	v_accvgpr_read_b32 v15, a189
	v_accvgpr_read_b32 v17, a195
	v_fma_f64 v[2:3], v[14:15], v[16:17], -v[2:3]
	v_add_f64 v[0:1], v[0:1], v[2:3]
	v_accvgpr_read_b32 v14, a196
	v_accvgpr_read_b32 v2, a200
	v_accvgpr_read_b32 v16, a198
	v_accvgpr_read_b32 v17, a199
	v_accvgpr_read_b32 v3, a201
	v_mul_f64 v[2:3], v[16:17], v[2:3]
	v_accvgpr_read_b32 v16, a202
	v_accvgpr_read_b32 v15, a197
	v_accvgpr_read_b32 v17, a203
	;; [unrolled: 11-line block ×4, first 2 shown]
	v_fma_f64 v[2:3], v[14:15], v[16:17], -v[2:3]
	v_accvgpr_read_b32 v14, a220
	v_add_f64 v[0:1], v[0:1], v[2:3]
	v_mul_f64 v[2:3], v[254:255], v[248:249]
	v_accvgpr_read_b32 v15, a221
	v_fma_f64 v[2:3], v[252:253], v[14:15], -v[2:3]
	v_add_f64 v[0:1], v[0:1], v[2:3]
	v_accvgpr_read_b32 v2, a222
	v_accvgpr_read_b32 v3, a223
	v_mul_f64 v[2:3], v[242:243], v[2:3]
	v_fma_f64 v[2:3], v[240:241], v[20:21], -v[2:3]
	v_accvgpr_read_b32 v14, a224
	v_add_f64 v[0:1], v[0:1], v[2:3]
	v_mul_f64 v[2:3], v[138:139], v[28:29]
	v_accvgpr_read_b32 v15, a225
	v_fma_f64 v[2:3], v[136:137], v[14:15], -v[2:3]
	v_add_f64 v[0:1], v[0:1], v[2:3]
	v_mul_f64 v[2:3], v[132:133], v[128:129]
	v_fma_f64 v[2:3], v[130:131], v[124:125], -v[2:3]
	v_add_f64 v[0:1], v[0:1], v[2:3]
	v_mul_f64 v[2:3], v[122:123], v[116:117]
	;; [unrolled: 3-line block ×21, first 2 shown]
	v_fma_f64 v[2:3], v[112:113], v[214:215], -v[2:3]
	v_add_f64 v[0:1], v[0:1], v[2:3]
	s_waitcnt vmcnt(2)
	v_add_f64 v[0:1], v[222:223], -v[0:1]
	s_waitcnt vmcnt(0)
	v_add_f64 v[2:3], v[12:13], -v[210:211]
	buffer_store_dword v1, off, s[0:3], 0 offset:20
	buffer_store_dword v0, off, s[0:3], 0 offset:16
	;; [unrolled: 1-line block ×4, first 2 shown]
	s_cbranch_vccz .LBB59_493
; %bb.374:
	v_pk_mov_b32 v[0:1], s[10:11], s[10:11] op_sel:[0,1]
	flat_load_dword v0, v[0:1] offset:232
	s_waitcnt vmcnt(0) lgkmcnt(0)
	v_add_u32_e32 v0, -1, v0
	v_cmp_ne_u32_e32 vcc, 58, v0
	s_and_saveexec_b64 s[4:5], vcc
	s_cbranch_execz .LBB59_376
; %bb.375:
	v_mov_b32_e32 v1, 16
	v_accvgpr_read_b32 v9, a121
	v_lshl_add_u32 v0, v0, 4, v1
	buffer_load_dword v1, v9, s[0:3], 0 offen offset:4
	buffer_load_dword v2, v9, s[0:3], 0 offen offset:8
	buffer_load_dword v3, v9, s[0:3], 0 offen offset:12
	buffer_load_dword v4, v0, s[0:3], 0 offen
	buffer_load_dword v5, v0, s[0:3], 0 offen offset:4
	buffer_load_dword v6, v0, s[0:3], 0 offen offset:8
	buffer_load_dword v7, v0, s[0:3], 0 offen offset:12
	buffer_load_dword v8, v9, s[0:3], 0 offen
	s_waitcnt vmcnt(4)
	buffer_store_dword v4, v9, s[0:3], 0 offen
	s_waitcnt vmcnt(4)
	buffer_store_dword v5, v9, s[0:3], 0 offen offset:4
	s_waitcnt vmcnt(4)
	buffer_store_dword v6, v9, s[0:3], 0 offen offset:8
	s_waitcnt vmcnt(4)
	buffer_store_dword v7, v9, s[0:3], 0 offen offset:12
	buffer_store_dword v3, v0, s[0:3], 0 offen offset:12
	buffer_store_dword v2, v0, s[0:3], 0 offen offset:8
	buffer_store_dword v1, v0, s[0:3], 0 offen offset:4
	s_waitcnt vmcnt(7)
	buffer_store_dword v8, v0, s[0:3], 0 offen
.LBB59_376:
	s_or_b64 exec, exec, s[4:5]
	v_pk_mov_b32 v[0:1], s[10:11], s[10:11] op_sel:[0,1]
	flat_load_dword v0, v[0:1] offset:228
	s_waitcnt vmcnt(0) lgkmcnt(0)
	v_add_u32_e32 v0, -1, v0
	v_cmp_ne_u32_e32 vcc, 57, v0
	s_and_saveexec_b64 s[4:5], vcc
	s_cbranch_execz .LBB59_378
; %bb.377:
	v_mov_b32_e32 v1, 16
	v_accvgpr_read_b32 v9, a122
	v_lshl_add_u32 v0, v0, 4, v1
	buffer_load_dword v1, v9, s[0:3], 0 offen offset:4
	buffer_load_dword v2, v9, s[0:3], 0 offen offset:8
	buffer_load_dword v3, v9, s[0:3], 0 offen offset:12
	buffer_load_dword v4, v0, s[0:3], 0 offen
	buffer_load_dword v5, v0, s[0:3], 0 offen offset:4
	buffer_load_dword v6, v0, s[0:3], 0 offen offset:8
	buffer_load_dword v7, v0, s[0:3], 0 offen offset:12
	buffer_load_dword v8, v9, s[0:3], 0 offen
	s_waitcnt vmcnt(4)
	buffer_store_dword v4, v9, s[0:3], 0 offen
	s_waitcnt vmcnt(4)
	buffer_store_dword v5, v9, s[0:3], 0 offen offset:4
	s_waitcnt vmcnt(4)
	buffer_store_dword v6, v9, s[0:3], 0 offen offset:8
	s_waitcnt vmcnt(4)
	buffer_store_dword v7, v9, s[0:3], 0 offen offset:12
	buffer_store_dword v3, v0, s[0:3], 0 offen offset:12
	buffer_store_dword v2, v0, s[0:3], 0 offen offset:8
	buffer_store_dword v1, v0, s[0:3], 0 offen offset:4
	s_waitcnt vmcnt(7)
	buffer_store_dword v8, v0, s[0:3], 0 offen
.LBB59_378:
	s_or_b64 exec, exec, s[4:5]
	;; [unrolled: 34-line block ×58, first 2 shown]
	v_pk_mov_b32 v[0:1], s[10:11], s[10:11] op_sel:[0,1]
	flat_load_dword v0, v[0:1]
	s_waitcnt vmcnt(0) lgkmcnt(0)
	v_add_u32_e32 v0, -1, v0
	v_cmp_ne_u32_e32 vcc, 0, v0
	s_and_saveexec_b64 s[4:5], vcc
	s_cbranch_execz .LBB59_492
; %bb.491:
	v_mov_b32_e32 v1, 16
	v_lshl_add_u32 v0, v0, 4, v1
	buffer_load_dword v1, v0, s[0:3], 0 offen
	buffer_load_dword v2, v0, s[0:3], 0 offen offset:4
	buffer_load_dword v3, v0, s[0:3], 0 offen offset:8
	buffer_load_dword v4, v0, s[0:3], 0 offen offset:12
	buffer_load_dword v5, off, s[0:3], 0 offset:28
	buffer_load_dword v6, off, s[0:3], 0 offset:24
	;; [unrolled: 1-line block ×4, first 2 shown]
	s_waitcnt vmcnt(7)
	buffer_store_dword v1, off, s[0:3], 0 offset:16
	s_waitcnt vmcnt(7)
	buffer_store_dword v2, off, s[0:3], 0 offset:20
	;; [unrolled: 2-line block ×4, first 2 shown]
	s_waitcnt vmcnt(7)
	buffer_store_dword v5, v0, s[0:3], 0 offen offset:12
	s_waitcnt vmcnt(7)
	buffer_store_dword v6, v0, s[0:3], 0 offen offset:8
	;; [unrolled: 2-line block ×3, first 2 shown]
	s_waitcnt vmcnt(7)
	buffer_store_dword v8, v0, s[0:3], 0 offen
.LBB59_492:
	s_or_b64 exec, exec, s[4:5]
.LBB59_493:
	buffer_load_dword v0, off, s[0:3], 0 offset:16
	buffer_load_dword v1, off, s[0:3], 0 offset:20
	;; [unrolled: 1-line block ×4, first 2 shown]
	v_accvgpr_read_b32 v4, a118
	v_accvgpr_read_b32 v5, a119
	s_waitcnt vmcnt(0)
	global_store_dwordx4 v[4:5], v[0:3], off
	s_nop 0
	v_accvgpr_read_b32 v3, a178
	buffer_load_dword v0, v3, s[0:3], 0 offen
	buffer_load_dword v1, v3, s[0:3], 0 offen offset:4
	buffer_load_dword v2, v3, s[0:3], 0 offen offset:8
	s_nop 0
	buffer_load_dword v3, v3, s[0:3], 0 offen offset:12
	v_accvgpr_read_b32 v4, a116
	v_accvgpr_read_b32 v5, a117
	s_waitcnt vmcnt(0)
	global_store_dwordx4 v[4:5], v[0:3], off
	s_nop 0
	v_accvgpr_read_b32 v3, a177
	buffer_load_dword v0, v3, s[0:3], 0 offen
	buffer_load_dword v1, v3, s[0:3], 0 offen offset:4
	buffer_load_dword v2, v3, s[0:3], 0 offen offset:8
	s_nop 0
	buffer_load_dword v3, v3, s[0:3], 0 offen offset:12
	;; [unrolled: 11-line block ×18, first 2 shown]
	v_accvgpr_read_b32 v4, a34
	v_accvgpr_read_b32 v5, a35
	s_waitcnt vmcnt(0)
	global_store_dwordx4 v[4:5], v[0:3], off
	v_accvgpr_read_b32 v4, a160
	buffer_load_dword v0, v4, s[0:3], 0 offen
	buffer_load_dword v1, v4, s[0:3], 0 offen offset:4
	buffer_load_dword v2, v4, s[0:3], 0 offen offset:8
	buffer_load_dword v3, v4, s[0:3], 0 offen offset:12
	v_accvgpr_read_b32 v4, a114
	v_accvgpr_read_b32 v5, a115
	s_waitcnt vmcnt(0)
	global_store_dwordx4 v[4:5], v[0:3], off
	v_accvgpr_read_b32 v4, a159
	buffer_load_dword v0, v4, s[0:3], 0 offen
	buffer_load_dword v1, v4, s[0:3], 0 offen offset:4
	buffer_load_dword v2, v4, s[0:3], 0 offen offset:8
	buffer_load_dword v3, v4, s[0:3], 0 offen offset:12
	;; [unrolled: 9-line block ×41, first 2 shown]
	v_accvgpr_read_b32 v5, a1
	v_accvgpr_read_b32 v4, a0
	s_waitcnt vmcnt(0)
	global_store_dwordx4 v[4:5], v[0:3], off
	s_endpgm
	.section	.rodata,"a",@progbits
	.p2align	6, 0x0
	.amdhsa_kernel _ZN9rocsolver6v33100L18getri_kernel_smallILi60E19rocblas_complex_numIdEPS3_EEvT1_iilPiilS6_bb
		.amdhsa_group_segment_fixed_size 1928
		.amdhsa_private_segment_fixed_size 992
		.amdhsa_kernarg_size 60
		.amdhsa_user_sgpr_count 8
		.amdhsa_user_sgpr_private_segment_buffer 1
		.amdhsa_user_sgpr_dispatch_ptr 0
		.amdhsa_user_sgpr_queue_ptr 0
		.amdhsa_user_sgpr_kernarg_segment_ptr 1
		.amdhsa_user_sgpr_dispatch_id 0
		.amdhsa_user_sgpr_flat_scratch_init 1
		.amdhsa_user_sgpr_kernarg_preload_length 0
		.amdhsa_user_sgpr_kernarg_preload_offset 0
		.amdhsa_user_sgpr_private_segment_size 0
		.amdhsa_uses_dynamic_stack 0
		.amdhsa_system_sgpr_private_segment_wavefront_offset 1
		.amdhsa_system_sgpr_workgroup_id_x 1
		.amdhsa_system_sgpr_workgroup_id_y 0
		.amdhsa_system_sgpr_workgroup_id_z 0
		.amdhsa_system_sgpr_workgroup_info 0
		.amdhsa_system_vgpr_workitem_id 0
		.amdhsa_next_free_vgpr 484
		.amdhsa_next_free_sgpr 23
		.amdhsa_accum_offset 256
		.amdhsa_reserve_vcc 1
		.amdhsa_reserve_flat_scratch 1
		.amdhsa_float_round_mode_32 0
		.amdhsa_float_round_mode_16_64 0
		.amdhsa_float_denorm_mode_32 3
		.amdhsa_float_denorm_mode_16_64 3
		.amdhsa_dx10_clamp 1
		.amdhsa_ieee_mode 1
		.amdhsa_fp16_overflow 0
		.amdhsa_tg_split 0
		.amdhsa_exception_fp_ieee_invalid_op 0
		.amdhsa_exception_fp_denorm_src 0
		.amdhsa_exception_fp_ieee_div_zero 0
		.amdhsa_exception_fp_ieee_overflow 0
		.amdhsa_exception_fp_ieee_underflow 0
		.amdhsa_exception_fp_ieee_inexact 0
		.amdhsa_exception_int_div_zero 0
	.end_amdhsa_kernel
	.section	.text._ZN9rocsolver6v33100L18getri_kernel_smallILi60E19rocblas_complex_numIdEPS3_EEvT1_iilPiilS6_bb,"axG",@progbits,_ZN9rocsolver6v33100L18getri_kernel_smallILi60E19rocblas_complex_numIdEPS3_EEvT1_iilPiilS6_bb,comdat
.Lfunc_end59:
	.size	_ZN9rocsolver6v33100L18getri_kernel_smallILi60E19rocblas_complex_numIdEPS3_EEvT1_iilPiilS6_bb, .Lfunc_end59-_ZN9rocsolver6v33100L18getri_kernel_smallILi60E19rocblas_complex_numIdEPS3_EEvT1_iilPiilS6_bb
                                        ; -- End function
	.section	.AMDGPU.csdata,"",@progbits
; Kernel info:
; codeLenInByte = 223476
; NumSgprs: 29
; NumVgprs: 256
; NumAgprs: 228
; TotalNumVgprs: 484
; ScratchSize: 992
; MemoryBound: 0
; FloatMode: 240
; IeeeMode: 1
; LDSByteSize: 1928 bytes/workgroup (compile time only)
; SGPRBlocks: 3
; VGPRBlocks: 60
; NumSGPRsForWavesPerEU: 29
; NumVGPRsForWavesPerEU: 484
; AccumOffset: 256
; Occupancy: 1
; WaveLimiterHint : 1
; COMPUTE_PGM_RSRC2:SCRATCH_EN: 1
; COMPUTE_PGM_RSRC2:USER_SGPR: 8
; COMPUTE_PGM_RSRC2:TRAP_HANDLER: 0
; COMPUTE_PGM_RSRC2:TGID_X_EN: 1
; COMPUTE_PGM_RSRC2:TGID_Y_EN: 0
; COMPUTE_PGM_RSRC2:TGID_Z_EN: 0
; COMPUTE_PGM_RSRC2:TIDIG_COMP_CNT: 0
; COMPUTE_PGM_RSRC3_GFX90A:ACCUM_OFFSET: 63
; COMPUTE_PGM_RSRC3_GFX90A:TG_SPLIT: 0
	.section	.text._ZN9rocsolver6v33100L18getri_kernel_smallILi61E19rocblas_complex_numIdEPS3_EEvT1_iilPiilS6_bb,"axG",@progbits,_ZN9rocsolver6v33100L18getri_kernel_smallILi61E19rocblas_complex_numIdEPS3_EEvT1_iilPiilS6_bb,comdat
	.globl	_ZN9rocsolver6v33100L18getri_kernel_smallILi61E19rocblas_complex_numIdEPS3_EEvT1_iilPiilS6_bb ; -- Begin function _ZN9rocsolver6v33100L18getri_kernel_smallILi61E19rocblas_complex_numIdEPS3_EEvT1_iilPiilS6_bb
	.p2align	8
	.type	_ZN9rocsolver6v33100L18getri_kernel_smallILi61E19rocblas_complex_numIdEPS3_EEvT1_iilPiilS6_bb,@function
_ZN9rocsolver6v33100L18getri_kernel_smallILi61E19rocblas_complex_numIdEPS3_EEvT1_iilPiilS6_bb: ; @_ZN9rocsolver6v33100L18getri_kernel_smallILi61E19rocblas_complex_numIdEPS3_EEvT1_iilPiilS6_bb
; %bb.0:
	s_add_u32 flat_scratch_lo, s6, s9
	s_addc_u32 flat_scratch_hi, s7, 0
	s_add_u32 s0, s0, s9
	v_mov_b32_e32 v226, v0
	s_addc_u32 s1, s1, 0
	v_cmp_gt_u32_e32 vcc, 61, v226
	s_and_saveexec_b64 s[6:7], vcc
	s_cbranch_execz .LBB60_270
; %bb.1:
	s_load_dword s24, s[4:5], 0x38
	s_load_dwordx4 s[16:19], s[4:5], 0x10
	s_load_dwordx4 s[12:15], s[4:5], 0x28
                                        ; implicit-def: $sgpr20_sgpr21
	s_waitcnt lgkmcnt(0)
	s_bitcmp1_b32 s24, 8
	s_cselect_b64 s[22:23], -1, 0
	s_ashr_i32 s9, s8, 31
	s_bfe_u32 s6, s24, 0x10008
	s_cmp_eq_u32 s6, 0
	s_cbranch_scc1 .LBB60_3
; %bb.2:
	s_load_dword s6, s[4:5], 0x20
	s_mul_i32 s7, s8, s13
	s_mul_hi_u32 s10, s8, s12
	s_mul_i32 s11, s9, s12
	s_add_i32 s10, s10, s7
	s_add_i32 s11, s10, s11
	s_mul_i32 s10, s8, s12
	s_waitcnt lgkmcnt(0)
	s_ashr_i32 s7, s6, 31
	s_lshl_b64 s[10:11], s[10:11], 2
	s_add_u32 s10, s18, s10
	s_addc_u32 s11, s19, s11
	s_lshl_b64 s[6:7], s[6:7], 2
	s_add_u32 s20, s10, s6
	s_addc_u32 s21, s11, s7
.LBB60_3:
	s_load_dwordx4 s[4:7], s[4:5], 0x0
	s_mul_i32 s10, s8, s17
	s_mul_hi_u32 s11, s8, s16
	s_add_i32 s12, s11, s10
	v_lshlrev_b32_e32 v1, 4, v226
	s_waitcnt lgkmcnt(0)
	s_ashr_i32 s11, s6, 31
	s_mov_b32 s10, s6
	s_mul_i32 s6, s9, s16
	s_add_i32 s13, s12, s6
	s_mul_i32 s12, s8, s16
	s_lshl_b64 s[12:13], s[12:13], 4
	s_add_u32 s6, s4, s12
	s_addc_u32 s12, s5, s13
	s_lshl_b64 s[4:5], s[10:11], 4
	s_add_u32 s4, s6, s4
	s_addc_u32 s5, s12, s5
	s_mov_b32 s10, s7
	s_ashr_i32 s11, s7, 31
	v_mov_b32_e32 v0, s5
	v_add_co_u32_e32 v12, vcc, s4, v1
	s_lshl_b64 s[10:11], s[10:11], 4
	v_addc_co_u32_e32 v13, vcc, 0, v0, vcc
	global_load_dwordx4 v[2:5], v1, s[4:5]
	s_add_i32 s6, s7, s7
	v_mov_b32_e32 v0, s11
	v_add_co_u32_e32 v14, vcc, s10, v12
	v_add_u32_e32 v6, s6, v226
	v_addc_co_u32_e32 v15, vcc, v13, v0, vcc
	v_ashrrev_i32_e32 v7, 31, v6
	v_accvgpr_write_b32 a29, v15
	v_add_u32_e32 v8, s7, v6
	v_accvgpr_write_b32 a33, v13
	v_lshlrev_b64 v[6:7], 4, v[6:7]
	v_accvgpr_write_b32 a28, v14
	global_load_dwordx4 v[14:17], v[14:15], off
	v_mov_b32_e32 v10, s5
	v_accvgpr_write_b32 a32, v12
	v_add_co_u32_e32 v12, vcc, s4, v6
	v_addc_co_u32_e32 v13, vcc, v10, v7, vcc
	v_accvgpr_write_b32 a21, v13
	v_ashrrev_i32_e32 v9, 31, v8
	v_accvgpr_write_b32 a20, v12
	global_load_dwordx4 v[10:13], v[12:13], off
	v_lshlrev_b64 v[6:7], 4, v[8:9]
	v_mov_b32_e32 v20, s5
	v_add_co_u32_e32 v22, vcc, s4, v6
	v_add_u32_e32 v18, s7, v8
	v_addc_co_u32_e32 v23, vcc, v20, v7, vcc
	v_accvgpr_write_b32 a18, v22
	v_ashrrev_i32_e32 v19, 31, v18
	v_accvgpr_write_b32 a19, v23
	global_load_dwordx4 v[22:25], v[22:23], off
	v_lshlrev_b64 v[6:7], 4, v[18:19]
	v_mov_b32_e32 v21, s5
	v_add_u32_e32 v8, s7, v18
	v_add_co_u32_e32 v18, vcc, s4, v6
	v_addc_co_u32_e32 v19, vcc, v21, v7, vcc
	v_accvgpr_write_b32 a16, v18
	v_ashrrev_i32_e32 v9, 31, v8
	v_accvgpr_write_b32 a17, v19
	global_load_dwordx4 v[18:21], v[18:19], off
	v_lshlrev_b64 v[6:7], 4, v[8:9]
	v_mov_b32_e32 v28, s5
	v_add_co_u32_e32 v30, vcc, s4, v6
	v_add_u32_e32 v26, s7, v8
	v_addc_co_u32_e32 v31, vcc, v28, v7, vcc
	v_accvgpr_write_b32 a14, v30
	v_ashrrev_i32_e32 v27, 31, v26
	v_accvgpr_write_b32 a15, v31
	global_load_dwordx4 v[30:33], v[30:31], off
	v_lshlrev_b64 v[6:7], 4, v[26:27]
	v_mov_b32_e32 v29, s5
	v_add_u32_e32 v8, s7, v26
	v_add_co_u32_e32 v26, vcc, s4, v6
	v_ashrrev_i32_e32 v9, 31, v8
	v_addc_co_u32_e32 v27, vcc, v29, v7, vcc
	v_accvgpr_write_b32 a10, v26
	v_add_u32_e32 v42, s7, v8
	v_lshlrev_b64 v[6:7], 4, v[8:9]
	v_accvgpr_write_b32 a11, v27
	global_load_dwordx4 v[26:29], v[26:27], off
	v_mov_b32_e32 v34, s5
	v_ashrrev_i32_e32 v43, 31, v42
	v_add_co_u32_e32 v8, vcc, s4, v6
	v_addc_co_u32_e32 v9, vcc, v34, v7, vcc
	v_lshlrev_b64 v[6:7], 4, v[42:43]
	v_mov_b32_e32 v35, s5
	v_add_co_u32_e32 v6, vcc, s4, v6
	v_addc_co_u32_e32 v7, vcc, v35, v7, vcc
	global_load_dwordx4 v[34:37], v[8:9], off
	v_accvgpr_write_b32 a0, v6
	v_accvgpr_write_b32 a1, v7
	global_load_dwordx4 v[38:41], v[6:7], off
	v_add_u32_e32 v6, s7, v42
	v_accvgpr_write_b32 a6, v8
	v_ashrrev_i32_e32 v7, 31, v6
	v_accvgpr_write_b32 a7, v9
	v_lshlrev_b64 v[8:9], 4, v[6:7]
	v_mov_b32_e32 v0, s5
	v_add_co_u32_e32 v42, vcc, s4, v8
	v_addc_co_u32_e32 v43, vcc, v0, v9, vcc
	v_add_u32_e32 v6, s7, v6
	v_accvgpr_write_b32 a2, v42
	v_ashrrev_i32_e32 v7, 31, v6
	v_accvgpr_write_b32 a3, v43
	global_load_dwordx4 v[42:45], v[42:43], off
	v_lshlrev_b64 v[8:9], 4, v[6:7]
	v_add_co_u32_e32 v8, vcc, s4, v8
	v_addc_co_u32_e32 v9, vcc, v0, v9, vcc
	v_add_u32_e32 v6, s7, v6
	v_accvgpr_write_b32 a4, v8
	global_load_dwordx4 v[46:49], v[8:9], off
	v_ashrrev_i32_e32 v7, 31, v6
	v_accvgpr_write_b32 a5, v9
	v_lshlrev_b64 v[8:9], 4, v[6:7]
	v_add_co_u32_e32 v50, vcc, s4, v8
	v_addc_co_u32_e32 v51, vcc, v0, v9, vcc
	v_add_u32_e32 v6, s7, v6
	v_accvgpr_write_b32 a8, v50
	v_ashrrev_i32_e32 v7, 31, v6
	v_accvgpr_write_b32 a9, v51
	global_load_dwordx4 v[50:53], v[50:51], off
	v_lshlrev_b64 v[8:9], 4, v[6:7]
	v_add_co_u32_e32 v8, vcc, s4, v8
	v_addc_co_u32_e32 v9, vcc, v0, v9, vcc
	v_add_u32_e32 v6, s7, v6
	v_accvgpr_write_b32 a13, v9
	global_load_dwordx4 v[54:57], v[8:9], off
	v_ashrrev_i32_e32 v7, 31, v6
	v_accvgpr_write_b32 a12, v8
	v_lshlrev_b64 v[8:9], 4, v[6:7]
	;; [unrolled: 16-line block ×5, first 2 shown]
	v_add_co_u32_e32 v8, vcc, s4, v8
	v_add_u32_e32 v86, s7, v6
	v_addc_co_u32_e32 v9, vcc, v0, v9, vcc
	v_ashrrev_i32_e32 v87, 31, v86
	global_load_dwordx4 v[82:85], v[8:9], off
	v_lshlrev_b64 v[6:7], 4, v[86:87]
	v_add_co_u32_e32 v6, vcc, s4, v6
	v_addc_co_u32_e32 v7, vcc, v0, v7, vcc
	v_accvgpr_write_b32 a39, v9
	v_accvgpr_write_b32 a41, v7
	;; [unrolled: 1-line block ×4, first 2 shown]
	global_load_dwordx4 v[6:9], v[6:7], off
	s_bitcmp0_b32 s24, 0
	s_waitcnt vmcnt(20)
	buffer_store_dword v5, off, s[0:3], 0 offset:28
	buffer_store_dword v4, off, s[0:3], 0 offset:24
	buffer_store_dword v3, off, s[0:3], 0 offset:20
	buffer_store_dword v2, off, s[0:3], 0 offset:16
	s_waitcnt vmcnt(23)
	buffer_store_dword v17, off, s[0:3], 0 offset:44
	buffer_store_dword v16, off, s[0:3], 0 offset:40
	buffer_store_dword v15, off, s[0:3], 0 offset:36
	buffer_store_dword v14, off, s[0:3], 0 offset:32
	;; [unrolled: 5-line block ×16, first 2 shown]
	buffer_store_dword v73, off, s[0:3], 0 offset:284
	buffer_store_dword v72, off, s[0:3], 0 offset:280
	;; [unrolled: 1-line block ×12, first 2 shown]
	s_waitcnt vmcnt(62)
	buffer_store_dword v85, off, s[0:3], 0 offset:332
	buffer_store_dword v84, off, s[0:3], 0 offset:328
	;; [unrolled: 1-line block ×5, first 2 shown]
	v_add_u32_e32 v2, s7, v86
	v_ashrrev_i32_e32 v3, 31, v2
	v_lshlrev_b64 v[4:5], 4, v[2:3]
	v_add_co_u32_e32 v10, vcc, s4, v4
	v_addc_co_u32_e32 v11, vcc, v0, v5, vcc
	v_add_u32_e32 v2, s7, v2
	v_ashrrev_i32_e32 v3, 31, v2
	v_accvgpr_write_b32 a43, v11
	v_lshlrev_b64 v[4:5], 4, v[2:3]
	v_accvgpr_write_b32 a42, v10
	global_load_dwordx4 v[10:13], v[10:11], off
	v_add_co_u32_e32 v4, vcc, s4, v4
	v_addc_co_u32_e32 v5, vcc, v0, v5, vcc
	v_add_u32_e32 v2, s7, v2
	v_accvgpr_write_b32 a45, v5
	v_ashrrev_i32_e32 v3, 31, v2
	v_accvgpr_write_b32 a44, v4
	global_load_dwordx4 v[14:17], v[4:5], off
	v_lshlrev_b64 v[4:5], 4, v[2:3]
	v_add_co_u32_e32 v18, vcc, s4, v4
	v_addc_co_u32_e32 v19, vcc, v0, v5, vcc
	v_add_u32_e32 v2, s7, v2
	v_ashrrev_i32_e32 v3, 31, v2
	v_accvgpr_write_b32 a47, v19
	v_lshlrev_b64 v[4:5], 4, v[2:3]
	v_accvgpr_write_b32 a46, v18
	global_load_dwordx4 v[18:21], v[18:19], off
	v_add_co_u32_e32 v4, vcc, s4, v4
	v_addc_co_u32_e32 v5, vcc, v0, v5, vcc
	global_load_dwordx4 v[22:25], v[4:5], off
	v_add_u32_e32 v2, s7, v2
	v_accvgpr_write_b32 a49, v5
	v_ashrrev_i32_e32 v3, 31, v2
	v_accvgpr_write_b32 a48, v4
	v_lshlrev_b64 v[4:5], 4, v[2:3]
	v_add_co_u32_e32 v26, vcc, s4, v4
	v_addc_co_u32_e32 v27, vcc, v0, v5, vcc
	v_add_u32_e32 v2, s7, v2
	v_ashrrev_i32_e32 v3, 31, v2
	v_accvgpr_write_b32 a51, v27
	v_lshlrev_b64 v[4:5], 4, v[2:3]
	v_accvgpr_write_b32 a50, v26
	global_load_dwordx4 v[26:29], v[26:27], off
	v_add_co_u32_e32 v4, vcc, s4, v4
	v_addc_co_u32_e32 v5, vcc, v0, v5, vcc
	global_load_dwordx4 v[30:33], v[4:5], off
	v_add_u32_e32 v2, s7, v2
	v_accvgpr_write_b32 a53, v5
	v_ashrrev_i32_e32 v3, 31, v2
	v_accvgpr_write_b32 a52, v4
	;; [unrolled: 16-line block ×6, first 2 shown]
	v_lshlrev_b64 v[4:5], 4, v[2:3]
	v_add_co_u32_e32 v66, vcc, s4, v4
	v_addc_co_u32_e32 v67, vcc, v0, v5, vcc
	v_add_u32_e32 v2, s7, v2
	v_accvgpr_write_b32 a71, v67
	v_ashrrev_i32_e32 v3, 31, v2
	v_accvgpr_write_b32 a70, v66
	global_load_dwordx4 v[66:69], v[66:67], off
	v_lshlrev_b64 v[4:5], 4, v[2:3]
	v_add_co_u32_e32 v4, vcc, s4, v4
	v_addc_co_u32_e32 v5, vcc, v0, v5, vcc
	global_load_dwordx4 v[70:73], v[4:5], off
	v_add_u32_e32 v2, s7, v2
	v_accvgpr_write_b32 a73, v5
	v_ashrrev_i32_e32 v3, 31, v2
	v_accvgpr_write_b32 a72, v4
	v_lshlrev_b64 v[4:5], 4, v[2:3]
	v_add_co_u32_e32 v74, vcc, s4, v4
	v_addc_co_u32_e32 v75, vcc, v0, v5, vcc
	v_add_u32_e32 v2, s7, v2
	v_accvgpr_write_b32 a74, v74
	v_ashrrev_i32_e32 v3, 31, v2
	v_accvgpr_write_b32 a75, v75
	global_load_dwordx4 v[74:77], v[74:75], off
	v_lshlrev_b64 v[4:5], 4, v[2:3]
	v_add_co_u32_e32 v4, vcc, s4, v4
	v_addc_co_u32_e32 v5, vcc, v0, v5, vcc
	global_load_dwordx4 v[78:81], v[4:5], off
	v_add_u32_e32 v2, s7, v2
	v_accvgpr_write_b32 a77, v5
	v_ashrrev_i32_e32 v3, 31, v2
	v_accvgpr_write_b32 a76, v4
	v_lshlrev_b64 v[4:5], 4, v[2:3]
	v_add_co_u32_e32 v4, vcc, s4, v4
	v_add_u32_e32 v86, s7, v2
	v_addc_co_u32_e32 v5, vcc, v0, v5, vcc
	v_ashrrev_i32_e32 v87, 31, v86
	v_lshlrev_b64 v[2:3], 4, v[86:87]
	global_load_dwordx4 v[82:85], v[4:5], off
	v_add_co_u32_e32 v2, vcc, s4, v2
	v_addc_co_u32_e32 v3, vcc, v0, v3, vcc
	v_accvgpr_write_b32 a79, v5
	v_accvgpr_write_b32 a81, v3
	;; [unrolled: 1-line block ×4, first 2 shown]
	global_load_dwordx4 v[2:5], v[2:3], off
	s_nop 0
	buffer_store_dword v8, off, s[0:3], 0 offset:344
	buffer_store_dword v7, off, s[0:3], 0 offset:340
	buffer_store_dword v6, off, s[0:3], 0 offset:336
	s_waitcnt vmcnt(22)
	buffer_store_dword v13, off, s[0:3], 0 offset:364
	buffer_store_dword v12, off, s[0:3], 0 offset:360
	buffer_store_dword v11, off, s[0:3], 0 offset:356
	buffer_store_dword v10, off, s[0:3], 0 offset:352
	s_waitcnt vmcnt(25)
	buffer_store_dword v17, off, s[0:3], 0 offset:380
	;; [unrolled: 5-line block ×15, first 2 shown]
	buffer_store_dword v68, off, s[0:3], 0 offset:584
	buffer_store_dword v67, off, s[0:3], 0 offset:580
	;; [unrolled: 1-line block ×11, first 2 shown]
	s_waitcnt vmcnt(62)
	buffer_store_dword v81, off, s[0:3], 0 offset:636
	buffer_store_dword v80, off, s[0:3], 0 offset:632
	;; [unrolled: 1-line block ×9, first 2 shown]
	v_add_u32_e32 v6, s7, v86
	v_ashrrev_i32_e32 v7, 31, v6
	v_lshlrev_b64 v[8:9], 4, v[6:7]
	v_add_u32_e32 v14, s7, v6
	v_add_co_u32_e32 v8, vcc, s4, v8
	v_ashrrev_i32_e32 v15, 31, v14
	v_addc_co_u32_e32 v9, vcc, v0, v9, vcc
	v_lshlrev_b64 v[6:7], 4, v[14:15]
	v_add_co_u32_e32 v10, vcc, s4, v6
	v_accvgpr_write_b32 a85, v9
	v_addc_co_u32_e32 v11, vcc, v0, v7, vcc
	v_accvgpr_write_b32 a84, v8
	global_load_dwordx4 v[6:9], v[8:9], off
	v_add_u32_e32 v14, s7, v14
	v_accvgpr_write_b32 a87, v11
	v_ashrrev_i32_e32 v15, 31, v14
	v_accvgpr_write_b32 a86, v10
	global_load_dwordx4 v[10:13], v[10:11], off
	v_lshlrev_b64 v[16:17], 4, v[14:15]
	v_add_u32_e32 v22, s7, v14
	v_add_co_u32_e32 v16, vcc, s4, v16
	v_ashrrev_i32_e32 v23, 31, v22
	v_addc_co_u32_e32 v17, vcc, v0, v17, vcc
	v_lshlrev_b64 v[14:15], 4, v[22:23]
	v_add_co_u32_e32 v18, vcc, s4, v14
	v_accvgpr_write_b32 a89, v17
	v_addc_co_u32_e32 v19, vcc, v0, v15, vcc
	v_accvgpr_write_b32 a88, v16
	global_load_dwordx4 v[14:17], v[16:17], off
	v_add_u32_e32 v22, s7, v22
	v_accvgpr_write_b32 a91, v19
	v_ashrrev_i32_e32 v23, 31, v22
	v_accvgpr_write_b32 a90, v18
	global_load_dwordx4 v[18:21], v[18:19], off
	;; [unrolled: 16-line block ×9, first 2 shown]
	v_lshlrev_b64 v[80:81], 4, v[78:79]
	v_add_co_u32_e32 v80, vcc, s4, v80
	v_addc_co_u32_e32 v81, vcc, v0, v81, vcc
	v_add_u32_e32 v78, s7, v78
	v_ashrrev_i32_e32 v79, 31, v78
	v_accvgpr_write_b32 a121, v81
	v_lshlrev_b64 v[82:83], 4, v[78:79]
	v_accvgpr_write_b32 a120, v80
	global_load_dwordx4 v[78:81], v[80:81], off
	v_add_co_u32_e32 v82, vcc, s4, v82
	v_addc_co_u32_e32 v83, vcc, v0, v83, vcc
	v_accvgpr_write_b32 a82, v82
	v_accvgpr_write_b32 a83, v83
	global_load_dwordx4 v[82:85], v[82:83], off
	v_mov_b32_e32 v0, 16
	buffer_store_dword v4, off, s[0:3], 0 offset:664
	buffer_store_dword v3, off, s[0:3], 0 offset:660
	buffer_store_dword v2, off, s[0:3], 0 offset:656
	s_waitcnt vmcnt(22)
	buffer_store_dword v9, off, s[0:3], 0 offset:684
	buffer_store_dword v8, off, s[0:3], 0 offset:680
	buffer_store_dword v7, off, s[0:3], 0 offset:676
	buffer_store_dword v6, off, s[0:3], 0 offset:672
	s_waitcnt vmcnt(25)
	buffer_store_dword v13, off, s[0:3], 0 offset:700
	;; [unrolled: 5-line block ×15, first 2 shown]
	buffer_store_dword v64, off, s[0:3], 0 offset:904
	buffer_store_dword v63, off, s[0:3], 0 offset:900
	;; [unrolled: 1-line block ×11, first 2 shown]
	s_waitcnt vmcnt(62)
	buffer_store_dword v77, off, s[0:3], 0 offset:956
	buffer_store_dword v76, off, s[0:3], 0 offset:952
	;; [unrolled: 1-line block ×12, first 2 shown]
	v_add_u32_e32 v2, 16, v0
	v_accvgpr_write_b32 a181, v2
	v_add_u32_e32 v2, 32, v0
	v_accvgpr_write_b32 a180, v2
	;; [unrolled: 2-line block ×58, first 2 shown]
	v_add_u32_e32 v2, 0x3b0, v0
	v_add_u32_e32 v0, 0x3c0, v0
	v_accvgpr_write_b32 a123, v2
	v_accvgpr_write_b32 a122, v0
	s_mov_b64 s[6:7], -1
	s_cbranch_scc1 .LBB60_268
; %bb.4:
	v_cmp_eq_u32_e64 s[4:5], 0, v226
	s_and_saveexec_b64 s[6:7], s[4:5]
	s_cbranch_execz .LBB60_6
; %bb.5:
	v_mov_b32_e32 v0, 0
	ds_write_b32 v0, v0 offset:1952
.LBB60_6:
	s_or_b64 exec, exec, s[6:7]
	v_mov_b32_e32 v0, 16
	v_lshl_add_u32 v12, v226, 4, v0
	s_waitcnt lgkmcnt(0)
	; wave barrier
	s_waitcnt lgkmcnt(0)
	buffer_load_dword v2, v12, s[0:3], 0 offen
	buffer_load_dword v3, v12, s[0:3], 0 offen offset:4
	buffer_load_dword v4, v12, s[0:3], 0 offen offset:8
	;; [unrolled: 1-line block ×3, first 2 shown]
	s_waitcnt vmcnt(2)
	v_cmp_eq_f64_e32 vcc, 0, v[2:3]
	s_waitcnt vmcnt(0)
	v_cmp_eq_f64_e64 s[6:7], 0, v[4:5]
	s_and_b64 s[6:7], vcc, s[6:7]
	s_and_saveexec_b64 s[10:11], s[6:7]
	s_cbranch_execz .LBB60_10
; %bb.7:
	v_mov_b32_e32 v2, 0
	ds_read_b32 v0, v2 offset:1952
	v_add_u32_e32 v3, 1, v226
	s_waitcnt lgkmcnt(0)
	v_readfirstlane_b32 s6, v0
	s_cmp_eq_u32 s6, 0
	s_cselect_b64 s[12:13], -1, 0
	v_cmp_gt_i32_e32 vcc, s6, v3
	s_or_b64 s[12:13], s[12:13], vcc
	s_and_b64 exec, exec, s[12:13]
	s_cbranch_execz .LBB60_10
; %bb.8:
	s_mov_b64 s[12:13], 0
	v_mov_b32_e32 v4, s6
.LBB60_9:                               ; =>This Inner Loop Header: Depth=1
	ds_cmpst_rtn_b32 v4, v2, v4, v3 offset:1952
	s_waitcnt lgkmcnt(0)
	v_cmp_ne_u32_e32 vcc, 0, v4
	v_cmp_le_i32_e64 s[6:7], v4, v3
	s_and_b64 s[6:7], vcc, s[6:7]
	s_and_b64 s[6:7], exec, s[6:7]
	s_or_b64 s[12:13], s[6:7], s[12:13]
	s_andn2_b64 exec, exec, s[12:13]
	s_cbranch_execnz .LBB60_9
.LBB60_10:
	s_or_b64 exec, exec, s[10:11]
	v_mov_b32_e32 v3, 0
	s_waitcnt lgkmcnt(0)
	; wave barrier
	ds_read_b32 v2, v3 offset:1952
	s_and_saveexec_b64 s[6:7], s[4:5]
	s_cbranch_execz .LBB60_12
; %bb.11:
	s_lshl_b64 s[10:11], s[8:9], 2
	s_add_u32 s10, s14, s10
	s_addc_u32 s11, s15, s11
	s_waitcnt lgkmcnt(0)
	global_store_dword v3, v2, s[10:11]
.LBB60_12:
	s_or_b64 exec, exec, s[6:7]
	s_waitcnt lgkmcnt(0)
	v_cmp_ne_u32_e32 vcc, 0, v2
	s_mov_b64 s[6:7], 0
	s_cbranch_vccnz .LBB60_268
; %bb.13:
	buffer_load_dword v7, v12, s[0:3], 0 offen offset:4
	buffer_load_dword v6, v12, s[0:3], 0 offen
	buffer_load_dword v9, v12, s[0:3], 0 offen offset:12
	buffer_load_dword v8, v12, s[0:3], 0 offen offset:8
                                        ; implicit-def: $vgpr10_vgpr11
	s_waitcnt vmcnt(3)
	v_xor_b32_e32 v0, 0x80000000, v7
	s_waitcnt vmcnt(2)
	v_cmp_gt_f64_e32 vcc, 0, v[6:7]
	s_waitcnt vmcnt(1)
	v_xor_b32_e32 v4, 0x80000000, v9
	v_cndmask_b32_e32 v3, v7, v0, vcc
	s_waitcnt vmcnt(0)
	v_cmp_gt_f64_e32 vcc, 0, v[8:9]
	v_mov_b32_e32 v2, v6
	v_cndmask_b32_e32 v5, v9, v4, vcc
	v_mov_b32_e32 v4, v8
	v_cmp_ngt_f64_e32 vcc, v[2:3], v[4:5]
                                        ; implicit-def: $vgpr4_vgpr5
	s_and_saveexec_b64 s[6:7], vcc
	s_xor_b64 s[6:7], exec, s[6:7]
	s_cbranch_execz .LBB60_15
; %bb.14:
	v_div_scale_f64 v[2:3], s[10:11], v[8:9], v[8:9], v[6:7]
	v_rcp_f64_e32 v[4:5], v[2:3]
	v_div_scale_f64 v[10:11], vcc, v[6:7], v[8:9], v[6:7]
	v_fma_f64 v[14:15], -v[2:3], v[4:5], 1.0
	v_fmac_f64_e32 v[4:5], v[4:5], v[14:15]
	v_fma_f64 v[14:15], -v[2:3], v[4:5], 1.0
	v_fmac_f64_e32 v[4:5], v[4:5], v[14:15]
	v_mul_f64 v[14:15], v[10:11], v[4:5]
	v_fma_f64 v[2:3], -v[2:3], v[14:15], v[10:11]
	v_div_fmas_f64 v[2:3], v[2:3], v[4:5], v[14:15]
	v_div_fixup_f64 v[2:3], v[2:3], v[8:9], v[6:7]
	v_fmac_f64_e32 v[8:9], v[6:7], v[2:3]
	v_div_scale_f64 v[4:5], s[10:11], v[8:9], v[8:9], 1.0
	v_rcp_f64_e32 v[6:7], v[4:5]
	v_fma_f64 v[10:11], -v[4:5], v[6:7], 1.0
	v_fmac_f64_e32 v[6:7], v[6:7], v[10:11]
	v_fma_f64 v[10:11], -v[4:5], v[6:7], 1.0
	v_fmac_f64_e32 v[6:7], v[6:7], v[10:11]
	v_div_scale_f64 v[10:11], vcc, 1.0, v[8:9], 1.0
	v_mul_f64 v[14:15], v[10:11], v[6:7]
	v_fma_f64 v[4:5], -v[4:5], v[14:15], v[10:11]
	s_nop 1
	v_div_fmas_f64 v[4:5], v[4:5], v[6:7], v[14:15]
	v_div_fixup_f64 v[4:5], v[4:5], v[8:9], 1.0
	v_mul_f64 v[10:11], v[2:3], v[4:5]
	v_xor_b32_e32 v5, 0x80000000, v5
	v_xor_b32_e32 v3, 0x80000000, v11
	v_mov_b32_e32 v2, v10
                                        ; implicit-def: $vgpr6_vgpr7
                                        ; implicit-def: $vgpr8_vgpr9
.LBB60_15:
	s_andn2_saveexec_b64 s[6:7], s[6:7]
	s_cbranch_execz .LBB60_17
; %bb.16:
	v_div_scale_f64 v[2:3], s[10:11], v[6:7], v[6:7], v[8:9]
	v_rcp_f64_e32 v[4:5], v[2:3]
	v_div_scale_f64 v[10:11], vcc, v[8:9], v[6:7], v[8:9]
	v_fma_f64 v[14:15], -v[2:3], v[4:5], 1.0
	v_fmac_f64_e32 v[4:5], v[4:5], v[14:15]
	v_fma_f64 v[14:15], -v[2:3], v[4:5], 1.0
	v_fmac_f64_e32 v[4:5], v[4:5], v[14:15]
	v_mul_f64 v[14:15], v[10:11], v[4:5]
	v_fma_f64 v[2:3], -v[2:3], v[14:15], v[10:11]
	v_div_fmas_f64 v[2:3], v[2:3], v[4:5], v[14:15]
	v_div_fixup_f64 v[4:5], v[2:3], v[6:7], v[8:9]
	v_fmac_f64_e32 v[6:7], v[8:9], v[4:5]
	v_div_scale_f64 v[2:3], s[10:11], v[6:7], v[6:7], 1.0
	v_rcp_f64_e32 v[8:9], v[2:3]
	v_fma_f64 v[10:11], -v[2:3], v[8:9], 1.0
	v_fmac_f64_e32 v[8:9], v[8:9], v[10:11]
	v_fma_f64 v[10:11], -v[2:3], v[8:9], 1.0
	v_fmac_f64_e32 v[8:9], v[8:9], v[10:11]
	v_div_scale_f64 v[10:11], vcc, 1.0, v[6:7], 1.0
	v_mul_f64 v[14:15], v[10:11], v[8:9]
	v_fma_f64 v[2:3], -v[2:3], v[14:15], v[10:11]
	s_nop 1
	v_div_fmas_f64 v[2:3], v[2:3], v[8:9], v[14:15]
	v_div_fixup_f64 v[10:11], v[2:3], v[6:7], 1.0
	v_xor_b32_e32 v3, 0x80000000, v11
	v_mov_b32_e32 v2, v10
	v_mul_f64 v[4:5], v[4:5], -v[10:11]
.LBB60_17:
	s_or_b64 exec, exec, s[6:7]
	buffer_store_dword v11, v12, s[0:3], 0 offen offset:4
	buffer_store_dword v10, v12, s[0:3], 0 offen
	buffer_store_dword v5, v12, s[0:3], 0 offen offset:12
	buffer_store_dword v4, v12, s[0:3], 0 offen offset:8
	v_accvgpr_read_b32 v0, a181
	buffer_load_dword v11, v0, s[0:3], 0 offen offset:12
	buffer_load_dword v10, v0, s[0:3], 0 offen offset:8
	;; [unrolled: 1-line block ×3, first 2 shown]
	buffer_load_dword v8, v0, s[0:3], 0 offen
	v_xor_b32_e32 v5, 0x80000000, v5
	v_add_u32_e32 v6, 0x3d0, v1
	ds_write_b128 v1, v[2:5]
	s_waitcnt vmcnt(0)
	ds_write_b128 v1, v[8:11] offset:976
	s_waitcnt lgkmcnt(0)
	; wave barrier
	s_waitcnt lgkmcnt(0)
	s_and_saveexec_b64 s[6:7], s[4:5]
	s_cbranch_execz .LBB60_19
; %bb.18:
	buffer_load_dword v14, v12, s[0:3], 0 offen offset:8
	buffer_load_dword v15, v12, s[0:3], 0 offen offset:12
	buffer_load_dword v16, v12, s[0:3], 0 offen
	buffer_load_dword v17, v12, s[0:3], 0 offen offset:4
	ds_read_b128 v[2:5], v6
	v_mov_b32_e32 v0, 0
	ds_read_b128 v[8:11], v0 offset:16
	s_waitcnt vmcnt(2) lgkmcnt(1)
	v_mul_f64 v[18:19], v[4:5], v[14:15]
	v_mul_f64 v[14:15], v[2:3], v[14:15]
	s_waitcnt vmcnt(0)
	v_fmac_f64_e32 v[14:15], v[4:5], v[16:17]
	v_fma_f64 v[2:3], v[2:3], v[16:17], -v[18:19]
	v_add_f64 v[4:5], v[14:15], 0
	v_add_f64 v[2:3], v[2:3], 0
	s_waitcnt lgkmcnt(0)
	v_mul_f64 v[14:15], v[4:5], v[10:11]
	v_mul_f64 v[10:11], v[2:3], v[10:11]
	v_fma_f64 v[2:3], v[2:3], v[8:9], -v[14:15]
	v_fmac_f64_e32 v[10:11], v[4:5], v[8:9]
	buffer_store_dword v2, off, s[0:3], 0 offset:32
	buffer_store_dword v3, off, s[0:3], 0 offset:36
	;; [unrolled: 1-line block ×4, first 2 shown]
.LBB60_19:
	s_or_b64 exec, exec, s[6:7]
	v_accvgpr_read_b32 v0, a180
	s_waitcnt lgkmcnt(0)
	; wave barrier
	buffer_load_dword v2, v0, s[0:3], 0 offen
	buffer_load_dword v3, v0, s[0:3], 0 offen offset:4
	buffer_load_dword v4, v0, s[0:3], 0 offen offset:8
	;; [unrolled: 1-line block ×3, first 2 shown]
	v_cmp_gt_u32_e32 vcc, 2, v226
	s_waitcnt vmcnt(0)
	ds_write_b128 v6, v[2:5]
	s_waitcnt lgkmcnt(0)
	; wave barrier
	s_waitcnt lgkmcnt(0)
	s_and_saveexec_b64 s[6:7], vcc
	s_cbranch_execz .LBB60_23
; %bb.20:
	buffer_load_dword v8, v12, s[0:3], 0 offen offset:8
	buffer_load_dword v9, v12, s[0:3], 0 offen offset:12
	buffer_load_dword v10, v12, s[0:3], 0 offen
	buffer_load_dword v11, v12, s[0:3], 0 offen offset:4
	ds_read_b128 v[2:5], v6
	s_waitcnt vmcnt(2) lgkmcnt(0)
	v_mul_f64 v[14:15], v[4:5], v[8:9]
	v_mul_f64 v[8:9], v[2:3], v[8:9]
	s_waitcnt vmcnt(0)
	v_fma_f64 v[2:3], v[2:3], v[10:11], -v[14:15]
	v_fmac_f64_e32 v[8:9], v[4:5], v[10:11]
	v_add_f64 v[4:5], v[2:3], 0
	v_add_f64 v[2:3], v[8:9], 0
	s_and_saveexec_b64 s[10:11], s[4:5]
	s_cbranch_execz .LBB60_22
; %bb.21:
	buffer_load_dword v14, off, s[0:3], 0 offset:40
	buffer_load_dword v15, off, s[0:3], 0 offset:44
	buffer_load_dword v16, off, s[0:3], 0 offset:32
	buffer_load_dword v17, off, s[0:3], 0 offset:36
	v_mov_b32_e32 v0, 0
	ds_read_b128 v[8:11], v0 offset:992
	s_waitcnt vmcnt(2) lgkmcnt(0)
	v_mul_f64 v[18:19], v[8:9], v[14:15]
	v_mul_f64 v[14:15], v[10:11], v[14:15]
	s_waitcnt vmcnt(0)
	v_fmac_f64_e32 v[18:19], v[10:11], v[16:17]
	v_fma_f64 v[8:9], v[8:9], v[16:17], -v[14:15]
	v_add_f64 v[2:3], v[2:3], v[18:19]
	v_add_f64 v[4:5], v[4:5], v[8:9]
.LBB60_22:
	s_or_b64 exec, exec, s[10:11]
	v_mov_b32_e32 v0, 0
	ds_read_b128 v[8:11], v0 offset:32
	s_waitcnt lgkmcnt(0)
	v_mul_f64 v[14:15], v[2:3], v[10:11]
	v_mul_f64 v[10:11], v[4:5], v[10:11]
	v_fma_f64 v[4:5], v[4:5], v[8:9], -v[14:15]
	v_fmac_f64_e32 v[10:11], v[2:3], v[8:9]
	buffer_store_dword v5, off, s[0:3], 0 offset:52
	buffer_store_dword v4, off, s[0:3], 0 offset:48
	;; [unrolled: 1-line block ×4, first 2 shown]
.LBB60_23:
	s_or_b64 exec, exec, s[6:7]
	v_accvgpr_read_b32 v0, a179
	s_waitcnt lgkmcnt(0)
	; wave barrier
	buffer_load_dword v2, v0, s[0:3], 0 offen
	buffer_load_dword v3, v0, s[0:3], 0 offen offset:4
	buffer_load_dword v4, v0, s[0:3], 0 offen offset:8
	;; [unrolled: 1-line block ×3, first 2 shown]
	v_cmp_gt_u32_e64 s[6:7], 3, v226
	v_add_u32_e32 v7, -1, v226
	s_waitcnt vmcnt(0)
	ds_write_b128 v6, v[2:5]
	s_waitcnt lgkmcnt(0)
	; wave barrier
	s_waitcnt lgkmcnt(0)
	s_and_saveexec_b64 s[10:11], s[6:7]
	s_cbranch_execz .LBB60_27
; %bb.24:
	v_pk_mov_b32 v[2:3], 0, 0
	v_add_u32_e32 v8, -1, v226
	v_add_u32_e32 v9, 0x3d0, v1
	v_add_u32_e32 v10, 16, v1
	s_mov_b64 s[12:13], 0
	v_pk_mov_b32 v[4:5], v[2:3], v[2:3] op_sel:[0,1]
.LBB60_25:                              ; =>This Inner Loop Header: Depth=1
	buffer_load_dword v18, v10, s[0:3], 0 offen offset:8
	buffer_load_dword v19, v10, s[0:3], 0 offen offset:12
	buffer_load_dword v20, v10, s[0:3], 0 offen
	buffer_load_dword v21, v10, s[0:3], 0 offen offset:4
	ds_read_b128 v[14:17], v9
	v_add_u32_e32 v8, 1, v8
	v_cmp_lt_u32_e64 s[6:7], 1, v8
	v_add_u32_e32 v9, 16, v9
	v_add_u32_e32 v10, 16, v10
	s_or_b64 s[12:13], s[6:7], s[12:13]
	s_waitcnt vmcnt(2) lgkmcnt(0)
	v_mul_f64 v[22:23], v[16:17], v[18:19]
	v_mul_f64 v[18:19], v[14:15], v[18:19]
	s_waitcnt vmcnt(0)
	v_fma_f64 v[14:15], v[14:15], v[20:21], -v[22:23]
	v_fmac_f64_e32 v[18:19], v[16:17], v[20:21]
	v_add_f64 v[4:5], v[4:5], v[14:15]
	v_add_f64 v[2:3], v[2:3], v[18:19]
	s_andn2_b64 exec, exec, s[12:13]
	s_cbranch_execnz .LBB60_25
; %bb.26:
	s_or_b64 exec, exec, s[12:13]
	v_mov_b32_e32 v0, 0
	ds_read_b128 v[8:11], v0 offset:48
	s_waitcnt lgkmcnt(0)
	v_mul_f64 v[14:15], v[2:3], v[10:11]
	v_mul_f64 v[10:11], v[4:5], v[10:11]
	v_fma_f64 v[4:5], v[4:5], v[8:9], -v[14:15]
	v_fmac_f64_e32 v[10:11], v[2:3], v[8:9]
	buffer_store_dword v5, off, s[0:3], 0 offset:68
	buffer_store_dword v4, off, s[0:3], 0 offset:64
	buffer_store_dword v11, off, s[0:3], 0 offset:76
	buffer_store_dword v10, off, s[0:3], 0 offset:72
.LBB60_27:
	s_or_b64 exec, exec, s[10:11]
	v_accvgpr_read_b32 v0, a178
	s_waitcnt lgkmcnt(0)
	; wave barrier
	buffer_load_dword v2, v0, s[0:3], 0 offen
	buffer_load_dword v3, v0, s[0:3], 0 offen offset:4
	buffer_load_dword v4, v0, s[0:3], 0 offen offset:8
	buffer_load_dword v5, v0, s[0:3], 0 offen offset:12
	v_cmp_gt_u32_e64 s[6:7], 4, v226
	s_waitcnt vmcnt(0)
	ds_write_b128 v6, v[2:5]
	s_waitcnt lgkmcnt(0)
	; wave barrier
	s_waitcnt lgkmcnt(0)
	s_and_saveexec_b64 s[12:13], s[6:7]
	s_cbranch_execz .LBB60_31
; %bb.28:
	v_pk_mov_b32 v[2:3], 0, 0
	v_add_u32_e32 v8, -1, v226
	v_add_u32_e32 v9, 0x3d0, v1
	v_add_u32_e32 v10, 16, v1
	s_mov_b64 s[16:17], 0
	v_pk_mov_b32 v[4:5], v[2:3], v[2:3] op_sel:[0,1]
.LBB60_29:                              ; =>This Inner Loop Header: Depth=1
	buffer_load_dword v18, v10, s[0:3], 0 offen offset:8
	buffer_load_dword v19, v10, s[0:3], 0 offen offset:12
	buffer_load_dword v20, v10, s[0:3], 0 offen
	buffer_load_dword v21, v10, s[0:3], 0 offen offset:4
	ds_read_b128 v[14:17], v9
	v_add_u32_e32 v8, 1, v8
	v_cmp_lt_u32_e64 s[10:11], 2, v8
	v_add_u32_e32 v9, 16, v9
	v_add_u32_e32 v10, 16, v10
	s_or_b64 s[16:17], s[10:11], s[16:17]
	s_waitcnt vmcnt(2) lgkmcnt(0)
	v_mul_f64 v[22:23], v[16:17], v[18:19]
	v_mul_f64 v[18:19], v[14:15], v[18:19]
	s_waitcnt vmcnt(0)
	v_fma_f64 v[14:15], v[14:15], v[20:21], -v[22:23]
	v_fmac_f64_e32 v[18:19], v[16:17], v[20:21]
	v_add_f64 v[4:5], v[4:5], v[14:15]
	v_add_f64 v[2:3], v[2:3], v[18:19]
	s_andn2_b64 exec, exec, s[16:17]
	s_cbranch_execnz .LBB60_29
; %bb.30:
	s_or_b64 exec, exec, s[16:17]
	v_mov_b32_e32 v0, 0
	ds_read_b128 v[8:11], v0 offset:64
	s_waitcnt lgkmcnt(0)
	v_mul_f64 v[14:15], v[2:3], v[10:11]
	v_mul_f64 v[10:11], v[4:5], v[10:11]
	v_fma_f64 v[4:5], v[4:5], v[8:9], -v[14:15]
	v_fmac_f64_e32 v[10:11], v[2:3], v[8:9]
	buffer_store_dword v5, off, s[0:3], 0 offset:84
	buffer_store_dword v4, off, s[0:3], 0 offset:80
	buffer_store_dword v11, off, s[0:3], 0 offset:92
	buffer_store_dword v10, off, s[0:3], 0 offset:88
.LBB60_31:
	s_or_b64 exec, exec, s[12:13]
	v_accvgpr_read_b32 v0, a177
	s_waitcnt lgkmcnt(0)
	; wave barrier
	buffer_load_dword v2, v0, s[0:3], 0 offen
	buffer_load_dword v3, v0, s[0:3], 0 offen offset:4
	buffer_load_dword v4, v0, s[0:3], 0 offen offset:8
	buffer_load_dword v5, v0, s[0:3], 0 offen offset:12
	v_cmp_gt_u32_e64 s[10:11], 5, v226
	;; [unrolled: 58-line block ×5, first 2 shown]
	s_waitcnt vmcnt(0)
	ds_write_b128 v6, v[2:5]
	s_waitcnt lgkmcnt(0)
	; wave barrier
	s_waitcnt lgkmcnt(0)
	s_and_saveexec_b64 s[16:17], s[12:13]
	s_cbranch_execz .LBB60_59
; %bb.44:
	buffer_load_dword v8, v12, s[0:3], 0 offen offset:8
	buffer_load_dword v9, v12, s[0:3], 0 offen offset:12
	buffer_load_dword v10, v12, s[0:3], 0 offen
	buffer_load_dword v11, v12, s[0:3], 0 offen offset:4
	ds_read_b128 v[2:5], v6
	v_cmp_ne_u32_e64 s[12:13], 7, v226
	s_waitcnt vmcnt(2) lgkmcnt(0)
	v_mul_f64 v[14:15], v[4:5], v[8:9]
	v_mul_f64 v[8:9], v[2:3], v[8:9]
	s_waitcnt vmcnt(0)
	v_fma_f64 v[2:3], v[2:3], v[10:11], -v[14:15]
	v_fmac_f64_e32 v[8:9], v[4:5], v[10:11]
	v_add_f64 v[4:5], v[2:3], 0
	v_add_f64 v[2:3], v[8:9], 0
	s_and_saveexec_b64 s[18:19], s[12:13]
	s_cbranch_execz .LBB60_58
; %bb.45:
	buffer_load_dword v14, v12, s[0:3], 0 offen offset:24
	buffer_load_dword v15, v12, s[0:3], 0 offen offset:28
	;; [unrolled: 1-line block ×4, first 2 shown]
	ds_read_b128 v[8:11], v6 offset:16
	s_waitcnt vmcnt(2) lgkmcnt(0)
	v_mul_f64 v[18:19], v[10:11], v[14:15]
	v_mul_f64 v[14:15], v[8:9], v[14:15]
	s_waitcnt vmcnt(0)
	v_fma_f64 v[8:9], v[8:9], v[16:17], -v[18:19]
	v_fmac_f64_e32 v[14:15], v[10:11], v[16:17]
	v_add_f64 v[4:5], v[4:5], v[8:9]
	v_add_f64 v[2:3], v[2:3], v[14:15]
	s_and_saveexec_b64 s[12:13], s[10:11]
	s_cbranch_execz .LBB60_57
; %bb.46:
	buffer_load_dword v14, v12, s[0:3], 0 offen offset:40
	buffer_load_dword v15, v12, s[0:3], 0 offen offset:44
	;; [unrolled: 1-line block ×4, first 2 shown]
	ds_read_b128 v[8:11], v6 offset:32
	v_cmp_ne_u32_e64 s[10:11], 5, v226
	s_waitcnt vmcnt(2) lgkmcnt(0)
	v_mul_f64 v[18:19], v[10:11], v[14:15]
	v_mul_f64 v[14:15], v[8:9], v[14:15]
	s_waitcnt vmcnt(0)
	v_fma_f64 v[8:9], v[8:9], v[16:17], -v[18:19]
	v_fmac_f64_e32 v[14:15], v[10:11], v[16:17]
	v_add_f64 v[4:5], v[4:5], v[8:9]
	v_add_f64 v[2:3], v[2:3], v[14:15]
	s_and_saveexec_b64 s[24:25], s[10:11]
	s_cbranch_execz .LBB60_56
; %bb.47:
	buffer_load_dword v14, v12, s[0:3], 0 offen offset:56
	buffer_load_dword v15, v12, s[0:3], 0 offen offset:60
	;; [unrolled: 1-line block ×4, first 2 shown]
	ds_read_b128 v[8:11], v6 offset:48
	s_waitcnt vmcnt(2) lgkmcnt(0)
	v_mul_f64 v[18:19], v[10:11], v[14:15]
	v_mul_f64 v[14:15], v[8:9], v[14:15]
	s_waitcnt vmcnt(0)
	v_fma_f64 v[8:9], v[8:9], v[16:17], -v[18:19]
	v_fmac_f64_e32 v[14:15], v[10:11], v[16:17]
	v_add_f64 v[4:5], v[4:5], v[8:9]
	v_add_f64 v[2:3], v[2:3], v[14:15]
	s_and_saveexec_b64 s[10:11], s[6:7]
	s_cbranch_execz .LBB60_55
; %bb.48:
	buffer_load_dword v14, v12, s[0:3], 0 offen offset:72
	buffer_load_dword v15, v12, s[0:3], 0 offen offset:76
	;; [unrolled: 1-line block ×4, first 2 shown]
	ds_read_b128 v[8:11], v6 offset:64
	v_cmp_ne_u32_e64 s[6:7], 3, v226
	s_waitcnt vmcnt(2) lgkmcnt(0)
	v_mul_f64 v[18:19], v[10:11], v[14:15]
	v_mul_f64 v[14:15], v[8:9], v[14:15]
	s_waitcnt vmcnt(0)
	v_fma_f64 v[8:9], v[8:9], v[16:17], -v[18:19]
	v_fmac_f64_e32 v[14:15], v[10:11], v[16:17]
	v_add_f64 v[4:5], v[4:5], v[8:9]
	v_add_f64 v[2:3], v[2:3], v[14:15]
	s_and_saveexec_b64 s[26:27], s[6:7]
	s_cbranch_execz .LBB60_54
; %bb.49:
	buffer_load_dword v14, v12, s[0:3], 0 offen offset:88
	buffer_load_dword v15, v12, s[0:3], 0 offen offset:92
	;; [unrolled: 1-line block ×4, first 2 shown]
	ds_read_b128 v[8:11], v6 offset:80
	s_waitcnt vmcnt(2) lgkmcnt(0)
	v_mul_f64 v[18:19], v[10:11], v[14:15]
	v_mul_f64 v[14:15], v[8:9], v[14:15]
	s_waitcnt vmcnt(0)
	v_fma_f64 v[8:9], v[8:9], v[16:17], -v[18:19]
	v_fmac_f64_e32 v[14:15], v[10:11], v[16:17]
	v_add_f64 v[4:5], v[4:5], v[8:9]
	v_add_f64 v[2:3], v[2:3], v[14:15]
	s_and_saveexec_b64 s[6:7], vcc
	s_cbranch_execz .LBB60_53
; %bb.50:
	buffer_load_dword v14, v12, s[0:3], 0 offen offset:104
	buffer_load_dword v15, v12, s[0:3], 0 offen offset:108
	;; [unrolled: 1-line block ×4, first 2 shown]
	ds_read_b128 v[8:11], v6 offset:96
	s_waitcnt vmcnt(2) lgkmcnt(0)
	v_mul_f64 v[18:19], v[10:11], v[14:15]
	v_mul_f64 v[14:15], v[8:9], v[14:15]
	s_waitcnt vmcnt(0)
	v_fma_f64 v[8:9], v[8:9], v[16:17], -v[18:19]
	v_fmac_f64_e32 v[14:15], v[10:11], v[16:17]
	v_add_f64 v[4:5], v[4:5], v[8:9]
	v_add_f64 v[2:3], v[2:3], v[14:15]
	s_and_saveexec_b64 s[28:29], s[4:5]
	s_cbranch_execz .LBB60_52
; %bb.51:
	buffer_load_dword v14, v12, s[0:3], 0 offen offset:120
	buffer_load_dword v15, v12, s[0:3], 0 offen offset:124
	;; [unrolled: 1-line block ×4, first 2 shown]
	ds_read_b128 v[8:11], v6 offset:112
	s_waitcnt vmcnt(2) lgkmcnt(0)
	v_mul_f64 v[12:13], v[10:11], v[14:15]
	v_mul_f64 v[14:15], v[8:9], v[14:15]
	s_waitcnt vmcnt(0)
	v_fma_f64 v[8:9], v[8:9], v[16:17], -v[12:13]
	v_fmac_f64_e32 v[14:15], v[10:11], v[16:17]
	v_add_f64 v[4:5], v[4:5], v[8:9]
	v_add_f64 v[2:3], v[2:3], v[14:15]
.LBB60_52:
	s_or_b64 exec, exec, s[28:29]
.LBB60_53:
	s_or_b64 exec, exec, s[6:7]
.LBB60_54:
	s_or_b64 exec, exec, s[26:27]
.LBB60_55:
	s_or_b64 exec, exec, s[10:11]
.LBB60_56:
	s_or_b64 exec, exec, s[24:25]
.LBB60_57:
	s_or_b64 exec, exec, s[12:13]
.LBB60_58:
	s_or_b64 exec, exec, s[18:19]
	v_mov_b32_e32 v0, 0
	ds_read_b128 v[8:11], v0 offset:128
	s_waitcnt lgkmcnt(0)
	v_mul_f64 v[12:13], v[2:3], v[10:11]
	v_mul_f64 v[10:11], v[4:5], v[10:11]
	v_fma_f64 v[4:5], v[4:5], v[8:9], -v[12:13]
	v_fmac_f64_e32 v[10:11], v[2:3], v[8:9]
	buffer_store_dword v5, off, s[0:3], 0 offset:148
	buffer_store_dword v4, off, s[0:3], 0 offset:144
	;; [unrolled: 1-line block ×4, first 2 shown]
.LBB60_59:
	s_or_b64 exec, exec, s[16:17]
	v_accvgpr_read_b32 v0, a173
	s_waitcnt lgkmcnt(0)
	; wave barrier
	buffer_load_dword v2, v0, s[0:3], 0 offen
	buffer_load_dword v3, v0, s[0:3], 0 offen offset:4
	buffer_load_dword v4, v0, s[0:3], 0 offen offset:8
	buffer_load_dword v5, v0, s[0:3], 0 offen offset:12
	v_cmp_gt_u32_e32 vcc, 9, v226
	s_waitcnt vmcnt(0)
	ds_write_b128 v6, v[2:5]
	s_waitcnt lgkmcnt(0)
	; wave barrier
	s_waitcnt lgkmcnt(0)
	s_and_saveexec_b64 s[4:5], vcc
	s_cbranch_execz .LBB60_63
; %bb.60:
	v_pk_mov_b32 v[2:3], 0, 0
	v_add_u32_e32 v8, -1, v226
	v_add_u32_e32 v9, 0x3d0, v1
	v_add_u32_e32 v10, 16, v1
	s_mov_b64 s[6:7], 0
	v_pk_mov_b32 v[4:5], v[2:3], v[2:3] op_sel:[0,1]
.LBB60_61:                              ; =>This Inner Loop Header: Depth=1
	buffer_load_dword v16, v10, s[0:3], 0 offen offset:8
	buffer_load_dword v17, v10, s[0:3], 0 offen offset:12
	buffer_load_dword v18, v10, s[0:3], 0 offen
	buffer_load_dword v19, v10, s[0:3], 0 offen offset:4
	ds_read_b128 v[12:15], v9
	v_add_u32_e32 v8, 1, v8
	v_cmp_lt_u32_e32 vcc, 7, v8
	v_add_u32_e32 v9, 16, v9
	v_add_u32_e32 v10, 16, v10
	s_or_b64 s[6:7], vcc, s[6:7]
	s_waitcnt vmcnt(2) lgkmcnt(0)
	v_mul_f64 v[20:21], v[14:15], v[16:17]
	v_mul_f64 v[16:17], v[12:13], v[16:17]
	s_waitcnt vmcnt(0)
	v_fma_f64 v[12:13], v[12:13], v[18:19], -v[20:21]
	v_fmac_f64_e32 v[16:17], v[14:15], v[18:19]
	v_add_f64 v[4:5], v[4:5], v[12:13]
	v_add_f64 v[2:3], v[2:3], v[16:17]
	s_andn2_b64 exec, exec, s[6:7]
	s_cbranch_execnz .LBB60_61
; %bb.62:
	s_or_b64 exec, exec, s[6:7]
	v_mov_b32_e32 v0, 0
	ds_read_b128 v[8:11], v0 offset:144
	s_waitcnt lgkmcnt(0)
	v_mul_f64 v[12:13], v[2:3], v[10:11]
	v_mul_f64 v[10:11], v[4:5], v[10:11]
	v_fma_f64 v[4:5], v[4:5], v[8:9], -v[12:13]
	v_fmac_f64_e32 v[10:11], v[2:3], v[8:9]
	buffer_store_dword v5, off, s[0:3], 0 offset:164
	buffer_store_dword v4, off, s[0:3], 0 offset:160
	buffer_store_dword v11, off, s[0:3], 0 offset:172
	buffer_store_dword v10, off, s[0:3], 0 offset:168
.LBB60_63:
	s_or_b64 exec, exec, s[4:5]
	v_accvgpr_read_b32 v0, a172
	s_waitcnt lgkmcnt(0)
	; wave barrier
	buffer_load_dword v2, v0, s[0:3], 0 offen
	buffer_load_dword v3, v0, s[0:3], 0 offen offset:4
	buffer_load_dword v4, v0, s[0:3], 0 offen offset:8
	buffer_load_dword v5, v0, s[0:3], 0 offen offset:12
	v_cmp_gt_u32_e32 vcc, 10, v226
	s_waitcnt vmcnt(0)
	ds_write_b128 v6, v[2:5]
	s_waitcnt lgkmcnt(0)
	; wave barrier
	s_waitcnt lgkmcnt(0)
	s_and_saveexec_b64 s[4:5], vcc
	s_cbranch_execz .LBB60_67
; %bb.64:
	v_pk_mov_b32 v[2:3], 0, 0
	v_add_u32_e32 v8, -1, v226
	v_add_u32_e32 v9, 0x3d0, v1
	v_add_u32_e32 v10, 16, v1
	s_mov_b64 s[6:7], 0
	v_pk_mov_b32 v[4:5], v[2:3], v[2:3] op_sel:[0,1]
.LBB60_65:                              ; =>This Inner Loop Header: Depth=1
	buffer_load_dword v16, v10, s[0:3], 0 offen offset:8
	buffer_load_dword v17, v10, s[0:3], 0 offen offset:12
	buffer_load_dword v18, v10, s[0:3], 0 offen
	buffer_load_dword v19, v10, s[0:3], 0 offen offset:4
	ds_read_b128 v[12:15], v9
	v_add_u32_e32 v8, 1, v8
	v_cmp_lt_u32_e32 vcc, 8, v8
	v_add_u32_e32 v9, 16, v9
	v_add_u32_e32 v10, 16, v10
	s_or_b64 s[6:7], vcc, s[6:7]
	s_waitcnt vmcnt(2) lgkmcnt(0)
	v_mul_f64 v[20:21], v[14:15], v[16:17]
	v_mul_f64 v[16:17], v[12:13], v[16:17]
	s_waitcnt vmcnt(0)
	v_fma_f64 v[12:13], v[12:13], v[18:19], -v[20:21]
	v_fmac_f64_e32 v[16:17], v[14:15], v[18:19]
	v_add_f64 v[4:5], v[4:5], v[12:13]
	v_add_f64 v[2:3], v[2:3], v[16:17]
	s_andn2_b64 exec, exec, s[6:7]
	s_cbranch_execnz .LBB60_65
; %bb.66:
	s_or_b64 exec, exec, s[6:7]
	v_mov_b32_e32 v0, 0
	ds_read_b128 v[8:11], v0 offset:160
	s_waitcnt lgkmcnt(0)
	v_mul_f64 v[12:13], v[2:3], v[10:11]
	v_mul_f64 v[10:11], v[4:5], v[10:11]
	v_fma_f64 v[4:5], v[4:5], v[8:9], -v[12:13]
	v_fmac_f64_e32 v[10:11], v[2:3], v[8:9]
	buffer_store_dword v5, off, s[0:3], 0 offset:180
	buffer_store_dword v4, off, s[0:3], 0 offset:176
	buffer_store_dword v11, off, s[0:3], 0 offset:188
	buffer_store_dword v10, off, s[0:3], 0 offset:184
.LBB60_67:
	;; [unrolled: 58-line block ×10, first 2 shown]
	s_or_b64 exec, exec, s[4:5]
	v_accvgpr_read_b32 v0, a163
	s_waitcnt lgkmcnt(0)
	; wave barrier
	buffer_load_dword v2, v0, s[0:3], 0 offen
	buffer_load_dword v3, v0, s[0:3], 0 offen offset:4
	buffer_load_dword v4, v0, s[0:3], 0 offen offset:8
	buffer_load_dword v5, v0, s[0:3], 0 offen offset:12
	v_cmp_gt_u32_e32 vcc, 19, v226
	s_waitcnt vmcnt(0)
	ds_write_b128 v6, v[2:5]
	s_waitcnt lgkmcnt(0)
	; wave barrier
	s_waitcnt lgkmcnt(0)
	s_and_saveexec_b64 s[4:5], vcc
	s_cbranch_execz .LBB60_103
; %bb.100:
	v_pk_mov_b32 v[2:3], 0, 0
	v_add_u32_e32 v8, -1, v226
	v_add_u32_e32 v9, 0x3d0, v1
	v_add_u32_e32 v10, 16, v1
	s_mov_b64 s[6:7], 0
	v_pk_mov_b32 v[4:5], v[2:3], v[2:3] op_sel:[0,1]
.LBB60_101:                             ; =>This Inner Loop Header: Depth=1
	buffer_load_dword v16, v10, s[0:3], 0 offen offset:8
	buffer_load_dword v17, v10, s[0:3], 0 offen offset:12
	buffer_load_dword v18, v10, s[0:3], 0 offen
	buffer_load_dword v19, v10, s[0:3], 0 offen offset:4
	ds_read_b128 v[12:15], v9
	v_add_u32_e32 v8, 1, v8
	v_cmp_lt_u32_e32 vcc, 17, v8
	v_add_u32_e32 v9, 16, v9
	v_add_u32_e32 v10, 16, v10
	s_or_b64 s[6:7], vcc, s[6:7]
	s_waitcnt vmcnt(2) lgkmcnt(0)
	v_mul_f64 v[20:21], v[14:15], v[16:17]
	v_mul_f64 v[16:17], v[12:13], v[16:17]
	s_waitcnt vmcnt(0)
	v_fma_f64 v[12:13], v[12:13], v[18:19], -v[20:21]
	v_fmac_f64_e32 v[16:17], v[14:15], v[18:19]
	v_add_f64 v[4:5], v[4:5], v[12:13]
	v_add_f64 v[2:3], v[2:3], v[16:17]
	s_andn2_b64 exec, exec, s[6:7]
	s_cbranch_execnz .LBB60_101
; %bb.102:
	s_or_b64 exec, exec, s[6:7]
	v_mov_b32_e32 v0, 0
	ds_read_b128 v[8:11], v0 offset:304
	s_waitcnt lgkmcnt(0)
	v_mul_f64 v[12:13], v[2:3], v[10:11]
	v_mul_f64 v[10:11], v[4:5], v[10:11]
	v_fma_f64 v[4:5], v[4:5], v[8:9], -v[12:13]
	v_fmac_f64_e32 v[10:11], v[2:3], v[8:9]
	buffer_store_dword v5, off, s[0:3], 0 offset:324
	buffer_store_dword v4, off, s[0:3], 0 offset:320
	buffer_store_dword v11, off, s[0:3], 0 offset:332
	buffer_store_dword v10, off, s[0:3], 0 offset:328
.LBB60_103:
	s_or_b64 exec, exec, s[4:5]
	v_accvgpr_read_b32 v0, a162
	s_waitcnt lgkmcnt(0)
	; wave barrier
	buffer_load_dword v2, v0, s[0:3], 0 offen
	buffer_load_dword v3, v0, s[0:3], 0 offen offset:4
	buffer_load_dword v4, v0, s[0:3], 0 offen offset:8
	buffer_load_dword v5, v0, s[0:3], 0 offen offset:12
	v_cmp_gt_u32_e32 vcc, 20, v226
	s_waitcnt vmcnt(0)
	ds_write_b128 v6, v[2:5]
	s_waitcnt lgkmcnt(0)
	; wave barrier
	s_waitcnt lgkmcnt(0)
	s_and_saveexec_b64 s[4:5], vcc
	s_cbranch_execz .LBB60_107
; %bb.104:
	v_pk_mov_b32 v[2:3], 0, 0
	v_add_u32_e32 v8, -1, v226
	v_add_u32_e32 v9, 0x3d0, v1
	v_add_u32_e32 v10, 16, v1
	s_mov_b64 s[6:7], 0
	v_pk_mov_b32 v[4:5], v[2:3], v[2:3] op_sel:[0,1]
.LBB60_105:                             ; =>This Inner Loop Header: Depth=1
	buffer_load_dword v16, v10, s[0:3], 0 offen offset:8
	buffer_load_dword v17, v10, s[0:3], 0 offen offset:12
	buffer_load_dword v18, v10, s[0:3], 0 offen
	buffer_load_dword v19, v10, s[0:3], 0 offen offset:4
	ds_read_b128 v[12:15], v9
	v_add_u32_e32 v8, 1, v8
	v_cmp_lt_u32_e32 vcc, 18, v8
	v_add_u32_e32 v9, 16, v9
	v_add_u32_e32 v10, 16, v10
	s_or_b64 s[6:7], vcc, s[6:7]
	s_waitcnt vmcnt(2) lgkmcnt(0)
	v_mul_f64 v[20:21], v[14:15], v[16:17]
	v_mul_f64 v[16:17], v[12:13], v[16:17]
	s_waitcnt vmcnt(0)
	v_fma_f64 v[12:13], v[12:13], v[18:19], -v[20:21]
	v_fmac_f64_e32 v[16:17], v[14:15], v[18:19]
	v_add_f64 v[4:5], v[4:5], v[12:13]
	v_add_f64 v[2:3], v[2:3], v[16:17]
	s_andn2_b64 exec, exec, s[6:7]
	s_cbranch_execnz .LBB60_105
; %bb.106:
	s_or_b64 exec, exec, s[6:7]
	v_mov_b32_e32 v0, 0
	ds_read_b128 v[8:11], v0 offset:320
	s_waitcnt lgkmcnt(0)
	v_mul_f64 v[12:13], v[2:3], v[10:11]
	v_mul_f64 v[10:11], v[4:5], v[10:11]
	v_fma_f64 v[4:5], v[4:5], v[8:9], -v[12:13]
	v_fmac_f64_e32 v[10:11], v[2:3], v[8:9]
	buffer_store_dword v5, off, s[0:3], 0 offset:340
	buffer_store_dword v4, off, s[0:3], 0 offset:336
	buffer_store_dword v11, off, s[0:3], 0 offset:348
	buffer_store_dword v10, off, s[0:3], 0 offset:344
.LBB60_107:
	;; [unrolled: 58-line block ×41, first 2 shown]
	s_or_b64 exec, exec, s[4:5]
	v_accvgpr_read_b32 v0, a122
	s_waitcnt lgkmcnt(0)
	; wave barrier
	buffer_load_dword v2, v0, s[0:3], 0 offen
	buffer_load_dword v3, v0, s[0:3], 0 offen offset:4
	buffer_load_dword v4, v0, s[0:3], 0 offen offset:8
	;; [unrolled: 1-line block ×3, first 2 shown]
	v_cmp_ne_u32_e32 vcc, 60, v226
	s_waitcnt vmcnt(0)
	ds_write_b128 v6, v[2:5]
	s_waitcnt lgkmcnt(0)
	; wave barrier
	s_waitcnt lgkmcnt(0)
	s_and_saveexec_b64 s[4:5], vcc
	s_cbranch_execz .LBB60_267
; %bb.264:
	v_pk_mov_b32 v[2:3], 0, 0
	v_add_u32_e32 v6, 0x3d0, v1
	v_add_u32_e32 v1, 16, v1
	s_mov_b64 s[6:7], 0
	v_pk_mov_b32 v[4:5], v[2:3], v[2:3] op_sel:[0,1]
.LBB60_265:                             ; =>This Inner Loop Header: Depth=1
	buffer_load_dword v12, v1, s[0:3], 0 offen offset:8
	buffer_load_dword v13, v1, s[0:3], 0 offen offset:12
	buffer_load_dword v14, v1, s[0:3], 0 offen
	buffer_load_dword v15, v1, s[0:3], 0 offen offset:4
	ds_read_b128 v[8:11], v6
	v_add_u32_e32 v7, 1, v7
	v_cmp_lt_u32_e32 vcc, 58, v7
	v_add_u32_e32 v6, 16, v6
	v_add_u32_e32 v1, 16, v1
	s_or_b64 s[6:7], vcc, s[6:7]
	s_waitcnt vmcnt(2) lgkmcnt(0)
	v_mul_f64 v[16:17], v[10:11], v[12:13]
	v_mul_f64 v[12:13], v[8:9], v[12:13]
	s_waitcnt vmcnt(0)
	v_fma_f64 v[8:9], v[8:9], v[14:15], -v[16:17]
	v_fmac_f64_e32 v[12:13], v[10:11], v[14:15]
	v_add_f64 v[4:5], v[4:5], v[8:9]
	v_add_f64 v[2:3], v[2:3], v[12:13]
	s_andn2_b64 exec, exec, s[6:7]
	s_cbranch_execnz .LBB60_265
; %bb.266:
	s_or_b64 exec, exec, s[6:7]
	v_mov_b32_e32 v0, 0
	ds_read_b128 v[6:9], v0 offset:960
	s_waitcnt lgkmcnt(0)
	v_mul_f64 v[0:1], v[2:3], v[8:9]
	v_mul_f64 v[8:9], v[4:5], v[8:9]
	v_fma_f64 v[0:1], v[4:5], v[6:7], -v[0:1]
	v_fmac_f64_e32 v[8:9], v[2:3], v[6:7]
	buffer_store_dword v1, off, s[0:3], 0 offset:980
	buffer_store_dword v0, off, s[0:3], 0 offset:976
	;; [unrolled: 1-line block ×4, first 2 shown]
.LBB60_267:
	s_or_b64 exec, exec, s[4:5]
	s_mov_b64 s[6:7], -1
	s_waitcnt lgkmcnt(0)
	; wave barrier
.LBB60_268:
	s_and_b64 vcc, exec, s[6:7]
	s_cbranch_vccz .LBB60_270
; %bb.269:
	s_lshl_b64 s[4:5], s[8:9], 2
	s_add_u32 s4, s14, s4
	s_addc_u32 s5, s15, s5
	v_mov_b32_e32 v0, 0
	global_load_dword v0, v0, s[4:5]
	s_waitcnt vmcnt(0)
	v_cmp_ne_u32_e32 vcc, 0, v0
	s_cbranch_vccz .LBB60_271
.LBB60_270:
	s_endpgm
.LBB60_271:
	v_mov_b32_e32 v0, 0x3d0
	v_lshl_add_u32 v0, v226, 4, v0
	v_accvgpr_write_b32 a183, v0
	v_cmp_eq_u32_e32 vcc, 60, v226
	s_and_saveexec_b64 s[4:5], vcc
	s_cbranch_execz .LBB60_273
; %bb.272:
	v_accvgpr_read_b32 v0, a123
	buffer_load_dword v2, v0, s[0:3], 0 offen
	buffer_load_dword v3, v0, s[0:3], 0 offen offset:4
	buffer_load_dword v4, v0, s[0:3], 0 offen offset:8
	;; [unrolled: 1-line block ×3, first 2 shown]
	v_mov_b32_e32 v0, 0
	v_accvgpr_read_b32 v1, a183
	buffer_store_dword v0, off, s[0:3], 0 offset:960
	buffer_store_dword v0, off, s[0:3], 0 offset:964
	;; [unrolled: 1-line block ×4, first 2 shown]
	s_waitcnt vmcnt(4)
	ds_write_b128 v1, v[2:5]
.LBB60_273:
	s_or_b64 exec, exec, s[4:5]
	s_waitcnt lgkmcnt(0)
	; wave barrier
	s_waitcnt lgkmcnt(0)
	buffer_load_dword v0, off, s[0:3], 0 offset:984
	buffer_load_dword v1, off, s[0:3], 0 offset:988
	;; [unrolled: 1-line block ×8, first 2 shown]
	v_mov_b32_e32 v2, 0
	ds_read_b128 v[4:7], v2 offset:1936
	v_cmp_lt_u32_e32 vcc, 58, v226
	s_waitcnt vmcnt(6) lgkmcnt(0)
	v_mul_f64 v[14:15], v[4:5], v[0:1]
	v_mul_f64 v[0:1], v[6:7], v[0:1]
	s_waitcnt vmcnt(4)
	v_fma_f64 v[0:1], v[4:5], v[8:9], -v[0:1]
	v_fmac_f64_e32 v[14:15], v[6:7], v[8:9]
	v_add_f64 v[0:1], v[0:1], 0
	v_add_f64 v[4:5], v[14:15], 0
	s_waitcnt vmcnt(2)
	v_add_f64 v[0:1], v[10:11], -v[0:1]
	s_waitcnt vmcnt(0)
	v_add_f64 v[4:5], v[12:13], -v[4:5]
	buffer_store_dword v0, off, s[0:3], 0 offset:960
	buffer_store_dword v1, off, s[0:3], 0 offset:964
	;; [unrolled: 1-line block ×4, first 2 shown]
	s_and_saveexec_b64 s[4:5], vcc
	s_cbranch_execz .LBB60_275
; %bb.274:
	v_accvgpr_read_b32 v0, a124
	buffer_load_dword v4, v0, s[0:3], 0 offen
	buffer_load_dword v5, v0, s[0:3], 0 offen offset:4
	buffer_load_dword v6, v0, s[0:3], 0 offen offset:8
	;; [unrolled: 1-line block ×3, first 2 shown]
	v_accvgpr_read_b32 v0, a183
	buffer_store_dword v2, off, s[0:3], 0 offset:944
	buffer_store_dword v2, off, s[0:3], 0 offset:948
	;; [unrolled: 1-line block ×4, first 2 shown]
	s_waitcnt vmcnt(4)
	ds_write_b128 v0, v[4:7]
.LBB60_275:
	s_or_b64 exec, exec, s[4:5]
	s_waitcnt lgkmcnt(0)
	; wave barrier
	s_waitcnt lgkmcnt(0)
	buffer_load_dword v0, off, s[0:3], 0 offset:968
	buffer_load_dword v1, off, s[0:3], 0 offset:972
	;; [unrolled: 1-line block ×12, first 2 shown]
	ds_read_b128 v[4:7], v2 offset:1920
	ds_read_b128 v[8:11], v2 offset:1936
	v_cmp_lt_u32_e32 vcc, 57, v226
	s_waitcnt vmcnt(10) lgkmcnt(1)
	v_mul_f64 v[2:3], v[4:5], v[0:1]
	v_mul_f64 v[0:1], v[6:7], v[0:1]
	s_waitcnt vmcnt(8) lgkmcnt(0)
	v_mul_f64 v[22:23], v[8:9], v[12:13]
	v_mul_f64 v[12:13], v[10:11], v[12:13]
	s_waitcnt vmcnt(6)
	v_fma_f64 v[0:1], v[4:5], v[14:15], -v[0:1]
	v_fmac_f64_e32 v[2:3], v[6:7], v[14:15]
	s_waitcnt vmcnt(4)
	v_fma_f64 v[4:5], v[8:9], v[16:17], -v[12:13]
	v_add_f64 v[0:1], v[0:1], 0
	v_fmac_f64_e32 v[22:23], v[10:11], v[16:17]
	v_add_f64 v[2:3], v[2:3], 0
	v_add_f64 v[0:1], v[0:1], v[4:5]
	;; [unrolled: 1-line block ×3, first 2 shown]
	s_waitcnt vmcnt(2)
	v_add_f64 v[0:1], v[18:19], -v[0:1]
	s_waitcnt vmcnt(0)
	v_add_f64 v[2:3], v[20:21], -v[2:3]
	buffer_store_dword v0, off, s[0:3], 0 offset:944
	buffer_store_dword v1, off, s[0:3], 0 offset:948
	;; [unrolled: 1-line block ×4, first 2 shown]
	s_and_saveexec_b64 s[4:5], vcc
	s_cbranch_execz .LBB60_277
; %bb.276:
	v_accvgpr_read_b32 v0, a125
	buffer_load_dword v2, v0, s[0:3], 0 offen
	buffer_load_dword v3, v0, s[0:3], 0 offen offset:4
	buffer_load_dword v4, v0, s[0:3], 0 offen offset:8
	;; [unrolled: 1-line block ×3, first 2 shown]
	v_mov_b32_e32 v0, 0
	v_accvgpr_read_b32 v1, a183
	buffer_store_dword v0, off, s[0:3], 0 offset:928
	buffer_store_dword v0, off, s[0:3], 0 offset:932
	;; [unrolled: 1-line block ×4, first 2 shown]
	s_waitcnt vmcnt(4)
	ds_write_b128 v1, v[2:5]
.LBB60_277:
	s_or_b64 exec, exec, s[4:5]
	s_waitcnt lgkmcnt(0)
	; wave barrier
	s_waitcnt lgkmcnt(0)
	buffer_load_dword v0, off, s[0:3], 0 offset:952
	buffer_load_dword v1, off, s[0:3], 0 offset:956
	;; [unrolled: 1-line block ×16, first 2 shown]
	v_mov_b32_e32 v2, 0
	ds_read_b128 v[4:7], v2 offset:1904
	ds_read_b128 v[8:11], v2 offset:1920
	;; [unrolled: 1-line block ×3, first 2 shown]
	v_cmp_lt_u32_e32 vcc, 56, v226
	s_waitcnt vmcnt(14) lgkmcnt(2)
	v_mul_f64 v[30:31], v[4:5], v[0:1]
	v_mul_f64 v[0:1], v[6:7], v[0:1]
	s_waitcnt vmcnt(12) lgkmcnt(1)
	v_mul_f64 v[32:33], v[8:9], v[16:17]
	v_mul_f64 v[16:17], v[10:11], v[16:17]
	s_waitcnt vmcnt(10) lgkmcnt(0)
	v_mul_f64 v[34:35], v[12:13], v[18:19]
	v_mul_f64 v[18:19], v[14:15], v[18:19]
	s_waitcnt vmcnt(8)
	v_fma_f64 v[0:1], v[4:5], v[20:21], -v[0:1]
	v_fmac_f64_e32 v[30:31], v[6:7], v[20:21]
	s_waitcnt vmcnt(6)
	v_fma_f64 v[4:5], v[8:9], v[22:23], -v[16:17]
	v_add_f64 v[0:1], v[0:1], 0
	v_fmac_f64_e32 v[32:33], v[10:11], v[22:23]
	s_waitcnt vmcnt(4)
	v_fma_f64 v[6:7], v[12:13], v[24:25], -v[18:19]
	v_add_f64 v[8:9], v[30:31], 0
	v_add_f64 v[0:1], v[0:1], v[4:5]
	v_fmac_f64_e32 v[34:35], v[14:15], v[24:25]
	v_add_f64 v[8:9], v[8:9], v[32:33]
	v_add_f64 v[0:1], v[0:1], v[6:7]
	;; [unrolled: 1-line block ×3, first 2 shown]
	s_waitcnt vmcnt(2)
	v_add_f64 v[0:1], v[26:27], -v[0:1]
	s_waitcnt vmcnt(0)
	v_add_f64 v[4:5], v[28:29], -v[4:5]
	buffer_store_dword v0, off, s[0:3], 0 offset:928
	buffer_store_dword v1, off, s[0:3], 0 offset:932
	;; [unrolled: 1-line block ×4, first 2 shown]
	s_and_saveexec_b64 s[4:5], vcc
	s_cbranch_execz .LBB60_279
; %bb.278:
	v_accvgpr_read_b32 v0, a126
	buffer_load_dword v4, v0, s[0:3], 0 offen
	buffer_load_dword v5, v0, s[0:3], 0 offen offset:4
	buffer_load_dword v6, v0, s[0:3], 0 offen offset:8
	buffer_load_dword v7, v0, s[0:3], 0 offen offset:12
	v_accvgpr_read_b32 v0, a183
	buffer_store_dword v2, off, s[0:3], 0 offset:912
	buffer_store_dword v2, off, s[0:3], 0 offset:916
	;; [unrolled: 1-line block ×4, first 2 shown]
	s_waitcnt vmcnt(4)
	ds_write_b128 v0, v[4:7]
.LBB60_279:
	s_or_b64 exec, exec, s[4:5]
	s_waitcnt lgkmcnt(0)
	; wave barrier
	s_waitcnt lgkmcnt(0)
	buffer_load_dword v0, off, s[0:3], 0 offset:936
	buffer_load_dword v1, off, s[0:3], 0 offset:940
	;; [unrolled: 1-line block ×20, first 2 shown]
	ds_read_b128 v[4:7], v2 offset:1888
	ds_read_b128 v[8:11], v2 offset:1904
	;; [unrolled: 1-line block ×4, first 2 shown]
	v_cmp_lt_u32_e32 vcc, 55, v226
	s_waitcnt vmcnt(18) lgkmcnt(3)
	v_mul_f64 v[2:3], v[4:5], v[0:1]
	v_mul_f64 v[0:1], v[6:7], v[0:1]
	s_waitcnt vmcnt(16) lgkmcnt(2)
	v_mul_f64 v[38:39], v[8:9], v[20:21]
	v_mul_f64 v[20:21], v[10:11], v[20:21]
	;; [unrolled: 3-line block ×4, first 2 shown]
	s_waitcnt vmcnt(10)
	v_fma_f64 v[0:1], v[4:5], v[26:27], -v[0:1]
	v_fmac_f64_e32 v[2:3], v[6:7], v[26:27]
	s_waitcnt vmcnt(8)
	v_fma_f64 v[4:5], v[8:9], v[28:29], -v[20:21]
	v_add_f64 v[0:1], v[0:1], 0
	v_fmac_f64_e32 v[38:39], v[10:11], v[28:29]
	s_waitcnt vmcnt(6)
	v_fma_f64 v[6:7], v[12:13], v[30:31], -v[22:23]
	v_add_f64 v[2:3], v[2:3], 0
	v_add_f64 v[0:1], v[0:1], v[4:5]
	v_fmac_f64_e32 v[40:41], v[14:15], v[30:31]
	s_waitcnt vmcnt(4)
	v_fma_f64 v[8:9], v[16:17], v[32:33], -v[24:25]
	v_add_f64 v[2:3], v[2:3], v[38:39]
	v_add_f64 v[0:1], v[0:1], v[6:7]
	v_fmac_f64_e32 v[42:43], v[18:19], v[32:33]
	v_add_f64 v[2:3], v[2:3], v[40:41]
	v_add_f64 v[0:1], v[0:1], v[8:9]
	;; [unrolled: 1-line block ×3, first 2 shown]
	s_waitcnt vmcnt(2)
	v_add_f64 v[0:1], v[34:35], -v[0:1]
	s_waitcnt vmcnt(0)
	v_add_f64 v[2:3], v[36:37], -v[2:3]
	buffer_store_dword v0, off, s[0:3], 0 offset:912
	buffer_store_dword v1, off, s[0:3], 0 offset:916
	;; [unrolled: 1-line block ×4, first 2 shown]
	s_and_saveexec_b64 s[4:5], vcc
	s_cbranch_execz .LBB60_281
; %bb.280:
	v_accvgpr_read_b32 v0, a127
	buffer_load_dword v2, v0, s[0:3], 0 offen
	buffer_load_dword v3, v0, s[0:3], 0 offen offset:4
	buffer_load_dword v4, v0, s[0:3], 0 offen offset:8
	;; [unrolled: 1-line block ×3, first 2 shown]
	v_mov_b32_e32 v0, 0
	v_accvgpr_read_b32 v1, a183
	buffer_store_dword v0, off, s[0:3], 0 offset:896
	buffer_store_dword v0, off, s[0:3], 0 offset:900
	;; [unrolled: 1-line block ×4, first 2 shown]
	s_waitcnt vmcnt(4)
	ds_write_b128 v1, v[2:5]
.LBB60_281:
	s_or_b64 exec, exec, s[4:5]
	s_waitcnt lgkmcnt(0)
	; wave barrier
	s_waitcnt lgkmcnt(0)
	buffer_load_dword v0, off, s[0:3], 0 offset:920
	buffer_load_dword v1, off, s[0:3], 0 offset:924
	;; [unrolled: 1-line block ×24, first 2 shown]
	v_mov_b32_e32 v2, 0
	ds_read_b128 v[4:7], v2 offset:1872
	ds_read_b128 v[8:11], v2 offset:1888
	;; [unrolled: 1-line block ×5, first 2 shown]
	v_cmp_lt_u32_e32 vcc, 54, v226
	s_waitcnt vmcnt(22) lgkmcnt(4)
	v_mul_f64 v[46:47], v[4:5], v[0:1]
	v_mul_f64 v[0:1], v[6:7], v[0:1]
	s_waitcnt vmcnt(20) lgkmcnt(3)
	v_mul_f64 v[48:49], v[8:9], v[24:25]
	v_mul_f64 v[24:25], v[10:11], v[24:25]
	;; [unrolled: 3-line block ×4, first 2 shown]
	s_waitcnt vmcnt(13) lgkmcnt(0)
	v_mul_f64 v[54:55], v[20:21], v[28:29]
	s_waitcnt vmcnt(11)
	v_fma_f64 v[0:1], v[4:5], v[34:35], -v[0:1]
	v_fmac_f64_e32 v[46:47], v[6:7], v[34:35]
	s_waitcnt vmcnt(9)
	v_fma_f64 v[4:5], v[8:9], v[36:37], -v[24:25]
	v_add_f64 v[0:1], v[0:1], 0
	v_fmac_f64_e32 v[48:49], v[10:11], v[36:37]
	s_waitcnt vmcnt(7)
	v_fma_f64 v[6:7], v[12:13], v[38:39], -v[26:27]
	v_add_f64 v[12:13], v[46:47], 0
	v_add_f64 v[0:1], v[0:1], v[4:5]
	v_mul_f64 v[28:29], v[22:23], v[28:29]
	v_fmac_f64_e32 v[50:51], v[14:15], v[38:39]
	s_waitcnt vmcnt(5)
	v_fma_f64 v[8:9], v[16:17], v[40:41], -v[32:33]
	v_add_f64 v[12:13], v[12:13], v[48:49]
	v_add_f64 v[0:1], v[0:1], v[6:7]
	v_fmac_f64_e32 v[52:53], v[18:19], v[40:41]
	s_waitcnt vmcnt(4)
	v_fma_f64 v[10:11], v[20:21], v[30:31], -v[28:29]
	v_add_f64 v[4:5], v[12:13], v[50:51]
	v_add_f64 v[0:1], v[0:1], v[8:9]
	v_fmac_f64_e32 v[54:55], v[22:23], v[30:31]
	v_add_f64 v[4:5], v[4:5], v[52:53]
	v_add_f64 v[0:1], v[0:1], v[10:11]
	;; [unrolled: 1-line block ×3, first 2 shown]
	s_waitcnt vmcnt(2)
	v_add_f64 v[0:1], v[42:43], -v[0:1]
	s_waitcnt vmcnt(0)
	v_add_f64 v[4:5], v[44:45], -v[4:5]
	buffer_store_dword v1, off, s[0:3], 0 offset:900
	buffer_store_dword v0, off, s[0:3], 0 offset:896
	;; [unrolled: 1-line block ×4, first 2 shown]
	s_and_saveexec_b64 s[4:5], vcc
	s_cbranch_execz .LBB60_283
; %bb.282:
	v_accvgpr_read_b32 v0, a128
	buffer_load_dword v4, v0, s[0:3], 0 offen
	buffer_load_dword v5, v0, s[0:3], 0 offen offset:4
	buffer_load_dword v6, v0, s[0:3], 0 offen offset:8
	buffer_load_dword v7, v0, s[0:3], 0 offen offset:12
	v_accvgpr_read_b32 v0, a183
	buffer_store_dword v2, off, s[0:3], 0 offset:880
	buffer_store_dword v2, off, s[0:3], 0 offset:884
	;; [unrolled: 1-line block ×4, first 2 shown]
	s_waitcnt vmcnt(4)
	ds_write_b128 v0, v[4:7]
.LBB60_283:
	s_or_b64 exec, exec, s[4:5]
	s_waitcnt lgkmcnt(0)
	; wave barrier
	s_waitcnt lgkmcnt(0)
	buffer_load_dword v0, off, s[0:3], 0 offset:904
	buffer_load_dword v1, off, s[0:3], 0 offset:908
	buffer_load_dword v28, off, s[0:3], 0 offset:920
	buffer_load_dword v29, off, s[0:3], 0 offset:924
	buffer_load_dword v30, off, s[0:3], 0 offset:936
	buffer_load_dword v31, off, s[0:3], 0 offset:940
	buffer_load_dword v33, off, s[0:3], 0 offset:972
	buffer_load_dword v32, off, s[0:3], 0 offset:968
	buffer_load_dword v34, off, s[0:3], 0 offset:960
	buffer_load_dword v37, off, s[0:3], 0 offset:956
	buffer_load_dword v36, off, s[0:3], 0 offset:952
	buffer_load_dword v39, off, s[0:3], 0 offset:988
	buffer_load_dword v38, off, s[0:3], 0 offset:984
	buffer_load_dword v35, off, s[0:3], 0 offset:964
	buffer_load_dword v40, off, s[0:3], 0 offset:896
	buffer_load_dword v41, off, s[0:3], 0 offset:900
	buffer_load_dword v42, off, s[0:3], 0 offset:912
	buffer_load_dword v43, off, s[0:3], 0 offset:916
	buffer_load_dword v44, off, s[0:3], 0 offset:928
	buffer_load_dword v45, off, s[0:3], 0 offset:932
	buffer_load_dword v47, off, s[0:3], 0 offset:948
	buffer_load_dword v46, off, s[0:3], 0 offset:944
	buffer_load_dword v49, off, s[0:3], 0 offset:980
	buffer_load_dword v48, off, s[0:3], 0 offset:976
	buffer_load_dword v50, off, s[0:3], 0 offset:880
	buffer_load_dword v51, off, s[0:3], 0 offset:884
	buffer_load_dword v52, off, s[0:3], 0 offset:888
	buffer_load_dword v53, off, s[0:3], 0 offset:892
	ds_read_b128 v[4:7], v2 offset:1856
	ds_read_b128 v[8:11], v2 offset:1872
	;; [unrolled: 1-line block ×6, first 2 shown]
	v_cmp_lt_u32_e32 vcc, 53, v226
	s_waitcnt vmcnt(26) lgkmcnt(5)
	v_mul_f64 v[2:3], v[4:5], v[0:1]
	v_mul_f64 v[0:1], v[6:7], v[0:1]
	s_waitcnt vmcnt(24) lgkmcnt(4)
	v_mul_f64 v[54:55], v[8:9], v[28:29]
	v_mul_f64 v[28:29], v[10:11], v[28:29]
	;; [unrolled: 3-line block ×4, first 2 shown]
	s_waitcnt vmcnt(17)
	v_mul_f64 v[58:59], v[16:17], v[36:37]
	v_mul_f64 v[36:37], v[18:19], v[36:37]
	s_waitcnt vmcnt(15) lgkmcnt(0)
	v_mul_f64 v[62:63], v[24:25], v[38:39]
	v_mul_f64 v[38:39], v[26:27], v[38:39]
	s_waitcnt vmcnt(14)
	v_fmac_f64_e32 v[60:61], v[22:23], v[34:35]
	s_waitcnt vmcnt(12)
	v_fma_f64 v[0:1], v[4:5], v[40:41], -v[0:1]
	v_fmac_f64_e32 v[2:3], v[6:7], v[40:41]
	s_waitcnt vmcnt(10)
	v_fma_f64 v[4:5], v[8:9], v[42:43], -v[28:29]
	v_add_f64 v[0:1], v[0:1], 0
	v_fmac_f64_e32 v[54:55], v[10:11], v[42:43]
	s_waitcnt vmcnt(8)
	v_fma_f64 v[6:7], v[12:13], v[44:45], -v[30:31]
	v_add_f64 v[2:3], v[2:3], 0
	v_add_f64 v[0:1], v[0:1], v[4:5]
	v_fmac_f64_e32 v[56:57], v[14:15], v[44:45]
	s_waitcnt vmcnt(6)
	v_fma_f64 v[8:9], v[16:17], v[46:47], -v[36:37]
	v_add_f64 v[2:3], v[2:3], v[54:55]
	v_add_f64 v[0:1], v[0:1], v[6:7]
	v_fmac_f64_e32 v[58:59], v[18:19], v[46:47]
	v_fma_f64 v[10:11], v[20:21], v[34:35], -v[32:33]
	v_add_f64 v[2:3], v[2:3], v[56:57]
	v_add_f64 v[0:1], v[0:1], v[8:9]
	s_waitcnt vmcnt(4)
	v_fma_f64 v[12:13], v[24:25], v[48:49], -v[38:39]
	v_add_f64 v[2:3], v[2:3], v[58:59]
	v_add_f64 v[0:1], v[0:1], v[10:11]
	v_fmac_f64_e32 v[62:63], v[26:27], v[48:49]
	v_add_f64 v[2:3], v[2:3], v[60:61]
	v_add_f64 v[0:1], v[0:1], v[12:13]
	;; [unrolled: 1-line block ×3, first 2 shown]
	s_waitcnt vmcnt(2)
	v_add_f64 v[0:1], v[50:51], -v[0:1]
	s_waitcnt vmcnt(0)
	v_add_f64 v[2:3], v[52:53], -v[2:3]
	buffer_store_dword v1, off, s[0:3], 0 offset:884
	buffer_store_dword v0, off, s[0:3], 0 offset:880
	;; [unrolled: 1-line block ×4, first 2 shown]
	s_and_saveexec_b64 s[4:5], vcc
	s_cbranch_execz .LBB60_285
; %bb.284:
	v_accvgpr_read_b32 v0, a129
	buffer_load_dword v2, v0, s[0:3], 0 offen
	buffer_load_dword v3, v0, s[0:3], 0 offen offset:4
	buffer_load_dword v4, v0, s[0:3], 0 offen offset:8
	buffer_load_dword v5, v0, s[0:3], 0 offen offset:12
	v_mov_b32_e32 v0, 0
	v_accvgpr_read_b32 v1, a183
	buffer_store_dword v0, off, s[0:3], 0 offset:864
	buffer_store_dword v0, off, s[0:3], 0 offset:868
	;; [unrolled: 1-line block ×4, first 2 shown]
	s_waitcnt vmcnt(4)
	ds_write_b128 v1, v[2:5]
.LBB60_285:
	s_or_b64 exec, exec, s[4:5]
	v_mov_b32_e32 v58, 0
	s_waitcnt lgkmcnt(0)
	; wave barrier
	s_waitcnt lgkmcnt(0)
	ds_read_b128 v[14:17], v58 offset:1840
	ds_read_b128 v[10:13], v58 offset:1856
	;; [unrolled: 1-line block ×4, first 2 shown]
	buffer_load_dword v28, off, s[0:3], 0 offset:864
	buffer_load_dword v29, off, s[0:3], 0 offset:868
	;; [unrolled: 1-line block ×20, first 2 shown]
	v_cmp_lt_u32_e32 vcc, 52, v226
	s_waitcnt vmcnt(12) lgkmcnt(3)
	v_mul_f64 v[0:1], v[14:15], v[36:37]
	v_fmac_f64_e32 v[0:1], v[16:17], v[30:31]
	v_add_f64 v[0:1], v[0:1], 0
	v_mul_f64 v[16:17], v[16:17], v[36:37]
	s_waitcnt vmcnt(8) lgkmcnt(2)
	v_mul_f64 v[18:19], v[10:11], v[38:39]
	v_fmac_f64_e32 v[18:19], v[12:13], v[32:33]
	v_add_f64 v[0:1], v[0:1], v[18:19]
	v_fma_f64 v[14:15], v[14:15], v[30:31], -v[16:17]
	s_waitcnt vmcnt(4) lgkmcnt(1)
	v_mul_f64 v[18:19], v[6:7], v[42:43]
	v_fmac_f64_e32 v[18:19], v[8:9], v[34:35]
	v_add_f64 v[0:1], v[0:1], v[18:19]
	s_waitcnt vmcnt(0) lgkmcnt(0)
	v_mul_f64 v[18:19], v[2:3], v[46:47]
	v_fmac_f64_e32 v[18:19], v[4:5], v[44:45]
	v_add_f64 v[0:1], v[0:1], v[18:19]
	ds_read_b128 v[18:21], v58 offset:1904
	buffer_load_dword v41, off, s[0:3], 0 offset:948
	buffer_load_dword v40, off, s[0:3], 0 offset:944
	;; [unrolled: 1-line block ×4, first 2 shown]
	ds_read_b128 v[50:53], v58 offset:1920
	buffer_load_dword v57, off, s[0:3], 0 offset:964
	buffer_load_dword v56, off, s[0:3], 0 offset:960
	;; [unrolled: 1-line block ×4, first 2 shown]
	v_mul_f64 v[12:13], v[12:13], v[38:39]
	v_add_f64 v[14:15], v[14:15], 0
	v_fma_f64 v[10:11], v[10:11], v[32:33], -v[12:13]
	v_mul_f64 v[8:9], v[8:9], v[42:43]
	v_add_f64 v[10:11], v[14:15], v[10:11]
	v_fma_f64 v[6:7], v[6:7], v[34:35], -v[8:9]
	;; [unrolled: 3-line block ×3, first 2 shown]
	v_add_f64 v[2:3], v[6:7], v[2:3]
	s_waitcnt vmcnt(4) lgkmcnt(1)
	v_mul_f64 v[22:23], v[18:19], v[54:55]
	v_fmac_f64_e32 v[22:23], v[20:21], v[40:41]
	v_add_f64 v[0:1], v[0:1], v[22:23]
	s_waitcnt vmcnt(0) lgkmcnt(0)
	v_mul_f64 v[22:23], v[50:51], v[60:61]
	v_fmac_f64_e32 v[22:23], v[52:53], v[56:57]
	v_add_f64 v[0:1], v[0:1], v[22:23]
	ds_read_b128 v[22:25], v58 offset:1936
	buffer_load_dword v49, off, s[0:3], 0 offset:980
	buffer_load_dword v48, off, s[0:3], 0 offset:976
	;; [unrolled: 1-line block ×4, first 2 shown]
	v_mul_f64 v[4:5], v[20:21], v[54:55]
	v_fma_f64 v[4:5], v[18:19], v[40:41], -v[4:5]
	v_add_f64 v[2:3], v[2:3], v[4:5]
	v_mul_f64 v[4:5], v[52:53], v[60:61]
	v_fma_f64 v[4:5], v[50:51], v[56:57], -v[4:5]
	v_add_f64 v[2:3], v[2:3], v[4:5]
	s_waitcnt vmcnt(0) lgkmcnt(0)
	v_mul_f64 v[4:5], v[24:25], v[62:63]
	v_mul_f64 v[64:65], v[22:23], v[62:63]
	v_fma_f64 v[4:5], v[22:23], v[48:49], -v[4:5]
	v_fmac_f64_e32 v[64:65], v[24:25], v[48:49]
	v_add_f64 v[2:3], v[2:3], v[4:5]
	v_add_f64 v[0:1], v[0:1], v[64:65]
	v_add_f64 v[2:3], v[28:29], -v[2:3]
	v_add_f64 v[0:1], v[26:27], -v[0:1]
	buffer_store_dword v3, off, s[0:3], 0 offset:868
	buffer_store_dword v2, off, s[0:3], 0 offset:864
	;; [unrolled: 1-line block ×4, first 2 shown]
	s_and_saveexec_b64 s[4:5], vcc
	s_cbranch_execz .LBB60_287
; %bb.286:
	v_accvgpr_read_b32 v0, a130
	buffer_load_dword v2, v0, s[0:3], 0 offen
	buffer_load_dword v3, v0, s[0:3], 0 offen offset:4
	buffer_load_dword v4, v0, s[0:3], 0 offen offset:8
	;; [unrolled: 1-line block ×3, first 2 shown]
	v_accvgpr_read_b32 v0, a183
	buffer_store_dword v58, off, s[0:3], 0 offset:848
	buffer_store_dword v58, off, s[0:3], 0 offset:852
	;; [unrolled: 1-line block ×4, first 2 shown]
	s_waitcnt vmcnt(4)
	ds_write_b128 v0, v[2:5]
.LBB60_287:
	s_or_b64 exec, exec, s[4:5]
	s_waitcnt lgkmcnt(0)
	; wave barrier
	s_waitcnt lgkmcnt(0)
	ds_read_b128 v[14:17], v58 offset:1824
	ds_read_b128 v[10:13], v58 offset:1840
	;; [unrolled: 1-line block ×4, first 2 shown]
	buffer_load_dword v36, off, s[0:3], 0 offset:848
	buffer_load_dword v37, off, s[0:3], 0 offset:852
	;; [unrolled: 1-line block ×20, first 2 shown]
	v_cmp_lt_u32_e32 vcc, 51, v226
	s_waitcnt vmcnt(12) lgkmcnt(3)
	v_mul_f64 v[0:1], v[14:15], v[44:45]
	v_fmac_f64_e32 v[0:1], v[16:17], v[38:39]
	v_add_f64 v[0:1], v[0:1], 0
	v_mul_f64 v[16:17], v[16:17], v[44:45]
	s_waitcnt vmcnt(8) lgkmcnt(2)
	v_mul_f64 v[18:19], v[10:11], v[46:47]
	v_fmac_f64_e32 v[18:19], v[12:13], v[40:41]
	v_add_f64 v[0:1], v[0:1], v[18:19]
	v_fma_f64 v[14:15], v[14:15], v[38:39], -v[16:17]
	s_waitcnt vmcnt(4) lgkmcnt(1)
	v_mul_f64 v[18:19], v[6:7], v[50:51]
	v_fmac_f64_e32 v[18:19], v[8:9], v[42:43]
	v_add_f64 v[0:1], v[0:1], v[18:19]
	s_waitcnt vmcnt(0) lgkmcnt(0)
	v_mul_f64 v[18:19], v[2:3], v[54:55]
	v_fmac_f64_e32 v[18:19], v[4:5], v[52:53]
	v_add_f64 v[0:1], v[0:1], v[18:19]
	ds_read_b128 v[18:21], v58 offset:1888
	buffer_load_dword v49, off, s[0:3], 0 offset:932
	buffer_load_dword v48, off, s[0:3], 0 offset:928
	;; [unrolled: 1-line block ×4, first 2 shown]
	ds_read_b128 v[30:33], v58 offset:1904
	buffer_load_dword v61, off, s[0:3], 0 offset:948
	buffer_load_dword v60, off, s[0:3], 0 offset:944
	;; [unrolled: 1-line block ×4, first 2 shown]
	v_mul_f64 v[12:13], v[12:13], v[46:47]
	v_add_f64 v[14:15], v[14:15], 0
	v_fma_f64 v[10:11], v[10:11], v[40:41], -v[12:13]
	v_mul_f64 v[8:9], v[8:9], v[50:51]
	v_add_f64 v[10:11], v[14:15], v[10:11]
	v_fma_f64 v[6:7], v[6:7], v[42:43], -v[8:9]
	;; [unrolled: 3-line block ×3, first 2 shown]
	v_add_f64 v[2:3], v[6:7], v[2:3]
	s_waitcnt vmcnt(4) lgkmcnt(1)
	v_mul_f64 v[22:23], v[18:19], v[64:65]
	v_fmac_f64_e32 v[22:23], v[20:21], v[48:49]
	v_add_f64 v[0:1], v[0:1], v[22:23]
	s_waitcnt vmcnt(0) lgkmcnt(0)
	v_mul_f64 v[22:23], v[30:31], v[62:63]
	v_fmac_f64_e32 v[22:23], v[32:33], v[60:61]
	v_add_f64 v[0:1], v[0:1], v[22:23]
	ds_read_b128 v[22:25], v58 offset:1920
	buffer_load_dword v57, off, s[0:3], 0 offset:964
	buffer_load_dword v56, off, s[0:3], 0 offset:960
	;; [unrolled: 1-line block ×4, first 2 shown]
	v_mul_f64 v[4:5], v[20:21], v[64:65]
	v_fma_f64 v[4:5], v[18:19], v[48:49], -v[4:5]
	v_add_f64 v[2:3], v[2:3], v[4:5]
	v_mul_f64 v[4:5], v[32:33], v[62:63]
	v_fma_f64 v[4:5], v[30:31], v[60:61], -v[4:5]
	v_add_f64 v[2:3], v[2:3], v[4:5]
	s_waitcnt vmcnt(0) lgkmcnt(0)
	v_mul_f64 v[26:27], v[22:23], v[66:67]
	v_fmac_f64_e32 v[26:27], v[24:25], v[56:57]
	v_add_f64 v[0:1], v[0:1], v[26:27]
	ds_read_b128 v[26:29], v58 offset:1936
	buffer_load_dword v59, off, s[0:3], 0 offset:980
	buffer_load_dword v58, off, s[0:3], 0 offset:976
	;; [unrolled: 1-line block ×4, first 2 shown]
	v_mul_f64 v[4:5], v[24:25], v[66:67]
	v_fma_f64 v[4:5], v[22:23], v[56:57], -v[4:5]
	v_add_f64 v[2:3], v[2:3], v[4:5]
	s_waitcnt vmcnt(0) lgkmcnt(0)
	v_mul_f64 v[4:5], v[28:29], v[68:69]
	v_mul_f64 v[70:71], v[26:27], v[68:69]
	v_fma_f64 v[4:5], v[26:27], v[58:59], -v[4:5]
	v_fmac_f64_e32 v[70:71], v[28:29], v[58:59]
	v_add_f64 v[2:3], v[2:3], v[4:5]
	v_add_f64 v[0:1], v[0:1], v[70:71]
	v_add_f64 v[2:3], v[36:37], -v[2:3]
	v_add_f64 v[0:1], v[34:35], -v[0:1]
	buffer_store_dword v3, off, s[0:3], 0 offset:852
	buffer_store_dword v2, off, s[0:3], 0 offset:848
	;; [unrolled: 1-line block ×4, first 2 shown]
	s_and_saveexec_b64 s[4:5], vcc
	s_cbranch_execz .LBB60_289
; %bb.288:
	v_accvgpr_read_b32 v0, a131
	buffer_load_dword v2, v0, s[0:3], 0 offen
	buffer_load_dword v3, v0, s[0:3], 0 offen offset:4
	buffer_load_dword v4, v0, s[0:3], 0 offen offset:8
	;; [unrolled: 1-line block ×3, first 2 shown]
	v_mov_b32_e32 v0, 0
	v_accvgpr_read_b32 v1, a183
	buffer_store_dword v0, off, s[0:3], 0 offset:832
	buffer_store_dword v0, off, s[0:3], 0 offset:836
	;; [unrolled: 1-line block ×4, first 2 shown]
	s_waitcnt vmcnt(4)
	ds_write_b128 v1, v[2:5]
.LBB60_289:
	s_or_b64 exec, exec, s[4:5]
	v_mov_b32_e32 v82, 0
	s_waitcnt lgkmcnt(0)
	; wave barrier
	s_waitcnt lgkmcnt(0)
	ds_read_b128 v[18:21], v82 offset:1808
	ds_read_b128 v[14:17], v82 offset:1824
	;; [unrolled: 1-line block ×4, first 2 shown]
	buffer_load_dword v40, off, s[0:3], 0 offset:832
	buffer_load_dword v41, off, s[0:3], 0 offset:836
	;; [unrolled: 1-line block ×20, first 2 shown]
	v_cmp_lt_u32_e32 vcc, 50, v226
	s_waitcnt vmcnt(12) lgkmcnt(3)
	v_mul_f64 v[0:1], v[18:19], v[56:57]
	v_fmac_f64_e32 v[0:1], v[20:21], v[44:45]
	v_add_f64 v[0:1], v[0:1], 0
	v_mul_f64 v[20:21], v[20:21], v[56:57]
	s_waitcnt vmcnt(8) lgkmcnt(2)
	v_mul_f64 v[6:7], v[14:15], v[54:55]
	v_fmac_f64_e32 v[6:7], v[16:17], v[50:51]
	v_add_f64 v[0:1], v[0:1], v[6:7]
	v_fma_f64 v[18:19], v[18:19], v[44:45], -v[20:21]
	s_waitcnt vmcnt(4) lgkmcnt(1)
	v_mul_f64 v[6:7], v[10:11], v[52:53]
	v_fmac_f64_e32 v[6:7], v[12:13], v[48:49]
	v_add_f64 v[0:1], v[0:1], v[6:7]
	s_waitcnt vmcnt(0) lgkmcnt(0)
	v_mul_f64 v[6:7], v[2:3], v[58:59]
	v_fmac_f64_e32 v[6:7], v[4:5], v[46:47]
	v_add_f64 v[0:1], v[0:1], v[6:7]
	ds_read_b128 v[6:9], v82 offset:1872
	buffer_load_dword v43, off, s[0:3], 0 offset:916
	buffer_load_dword v42, off, s[0:3], 0 offset:912
	;; [unrolled: 1-line block ×4, first 2 shown]
	v_mul_f64 v[16:17], v[16:17], v[54:55]
	v_add_f64 v[18:19], v[18:19], 0
	v_fma_f64 v[14:15], v[14:15], v[50:51], -v[16:17]
	v_mul_f64 v[12:13], v[12:13], v[52:53]
	v_add_f64 v[14:15], v[18:19], v[14:15]
	v_fma_f64 v[10:11], v[10:11], v[48:49], -v[12:13]
	;; [unrolled: 3-line block ×3, first 2 shown]
	v_add_f64 v[2:3], v[10:11], v[2:3]
	s_waitcnt vmcnt(0) lgkmcnt(0)
	v_mul_f64 v[22:23], v[6:7], v[60:61]
	v_fmac_f64_e32 v[22:23], v[8:9], v[42:43]
	v_add_f64 v[0:1], v[0:1], v[22:23]
	ds_read_b128 v[22:25], v82 offset:1888
	buffer_load_dword v63, off, s[0:3], 0 offset:932
	buffer_load_dword v62, off, s[0:3], 0 offset:928
	buffer_load_dword v65, off, s[0:3], 0 offset:940
	buffer_load_dword v64, off, s[0:3], 0 offset:936
	v_mul_f64 v[4:5], v[8:9], v[60:61]
	v_fma_f64 v[4:5], v[6:7], v[42:43], -v[4:5]
	v_add_f64 v[2:3], v[2:3], v[4:5]
	s_waitcnt vmcnt(0) lgkmcnt(0)
	v_mul_f64 v[26:27], v[22:23], v[64:65]
	v_fmac_f64_e32 v[26:27], v[24:25], v[62:63]
	v_add_f64 v[0:1], v[0:1], v[26:27]
	ds_read_b128 v[26:29], v82 offset:1904
	buffer_load_dword v67, off, s[0:3], 0 offset:948
	buffer_load_dword v66, off, s[0:3], 0 offset:944
	buffer_load_dword v69, off, s[0:3], 0 offset:956
	buffer_load_dword v68, off, s[0:3], 0 offset:952
	v_mul_f64 v[4:5], v[24:25], v[64:65]
	v_fma_f64 v[4:5], v[22:23], v[62:63], -v[4:5]
	v_add_f64 v[2:3], v[2:3], v[4:5]
	s_waitcnt vmcnt(0) lgkmcnt(0)
	v_mul_f64 v[30:31], v[26:27], v[68:69]
	v_fmac_f64_e32 v[30:31], v[28:29], v[66:67]
	v_add_f64 v[0:1], v[0:1], v[30:31]
	ds_read_b128 v[30:33], v82 offset:1920
	buffer_load_dword v71, off, s[0:3], 0 offset:964
	buffer_load_dword v70, off, s[0:3], 0 offset:960
	buffer_load_dword v73, off, s[0:3], 0 offset:972
	buffer_load_dword v72, off, s[0:3], 0 offset:968
	v_mul_f64 v[4:5], v[28:29], v[68:69]
	v_fma_f64 v[4:5], v[26:27], v[66:67], -v[4:5]
	v_add_f64 v[2:3], v[2:3], v[4:5]
	s_waitcnt vmcnt(0) lgkmcnt(0)
	v_mul_f64 v[34:35], v[30:31], v[72:73]
	v_fmac_f64_e32 v[34:35], v[32:33], v[70:71]
	v_add_f64 v[0:1], v[0:1], v[34:35]
	ds_read_b128 v[34:37], v82 offset:1936
	buffer_load_dword v75, off, s[0:3], 0 offset:980
	buffer_load_dword v74, off, s[0:3], 0 offset:976
	buffer_load_dword v77, off, s[0:3], 0 offset:988
	buffer_load_dword v76, off, s[0:3], 0 offset:984
	v_mul_f64 v[4:5], v[32:33], v[72:73]
	v_fma_f64 v[4:5], v[30:31], v[70:71], -v[4:5]
	v_add_f64 v[2:3], v[2:3], v[4:5]
	s_waitcnt vmcnt(0) lgkmcnt(0)
	v_mul_f64 v[4:5], v[36:37], v[76:77]
	v_mul_f64 v[78:79], v[34:35], v[76:77]
	v_fma_f64 v[4:5], v[34:35], v[74:75], -v[4:5]
	v_fmac_f64_e32 v[78:79], v[36:37], v[74:75]
	v_add_f64 v[2:3], v[2:3], v[4:5]
	v_add_f64 v[0:1], v[0:1], v[78:79]
	v_add_f64 v[2:3], v[40:41], -v[2:3]
	v_add_f64 v[0:1], v[38:39], -v[0:1]
	buffer_store_dword v3, off, s[0:3], 0 offset:836
	buffer_store_dword v2, off, s[0:3], 0 offset:832
	;; [unrolled: 1-line block ×4, first 2 shown]
	s_and_saveexec_b64 s[4:5], vcc
	s_cbranch_execz .LBB60_291
; %bb.290:
	v_accvgpr_read_b32 v0, a132
	buffer_load_dword v2, v0, s[0:3], 0 offen
	buffer_load_dword v3, v0, s[0:3], 0 offen offset:4
	buffer_load_dword v4, v0, s[0:3], 0 offen offset:8
	;; [unrolled: 1-line block ×3, first 2 shown]
	v_accvgpr_read_b32 v0, a183
	buffer_store_dword v82, off, s[0:3], 0 offset:816
	buffer_store_dword v82, off, s[0:3], 0 offset:820
	;; [unrolled: 1-line block ×4, first 2 shown]
	s_waitcnt vmcnt(4)
	ds_write_b128 v0, v[2:5]
.LBB60_291:
	s_or_b64 exec, exec, s[4:5]
	s_waitcnt lgkmcnt(0)
	; wave barrier
	s_waitcnt lgkmcnt(0)
	ds_read_b128 v[18:21], v82 offset:1792
	ds_read_b128 v[10:13], v82 offset:1808
	;; [unrolled: 1-line block ×4, first 2 shown]
	buffer_load_dword v44, off, s[0:3], 0 offset:816
	buffer_load_dword v45, off, s[0:3], 0 offset:820
	;; [unrolled: 1-line block ×20, first 2 shown]
	v_cmp_lt_u32_e32 vcc, 49, v226
	s_waitcnt vmcnt(12) lgkmcnt(3)
	v_mul_f64 v[0:1], v[18:19], v[62:63]
	v_fmac_f64_e32 v[0:1], v[20:21], v[58:59]
	v_add_f64 v[0:1], v[0:1], 0
	v_mul_f64 v[20:21], v[20:21], v[62:63]
	s_waitcnt vmcnt(8) lgkmcnt(2)
	v_mul_f64 v[14:15], v[10:11], v[60:61]
	v_fmac_f64_e32 v[14:15], v[12:13], v[56:57]
	v_add_f64 v[0:1], v[0:1], v[14:15]
	v_fma_f64 v[18:19], v[18:19], v[58:59], -v[20:21]
	s_waitcnt vmcnt(4) lgkmcnt(1)
	v_mul_f64 v[14:15], v[6:7], v[48:49]
	v_fmac_f64_e32 v[14:15], v[8:9], v[46:47]
	v_add_f64 v[0:1], v[0:1], v[14:15]
	s_waitcnt vmcnt(0) lgkmcnt(0)
	v_mul_f64 v[14:15], v[2:3], v[52:53]
	v_fmac_f64_e32 v[14:15], v[4:5], v[50:51]
	v_add_f64 v[0:1], v[0:1], v[14:15]
	ds_read_b128 v[14:17], v82 offset:1856
	buffer_load_dword v55, off, s[0:3], 0 offset:900
	buffer_load_dword v54, off, s[0:3], 0 offset:896
	;; [unrolled: 1-line block ×4, first 2 shown]
	v_mul_f64 v[12:13], v[12:13], v[60:61]
	v_add_f64 v[18:19], v[18:19], 0
	v_fma_f64 v[10:11], v[10:11], v[56:57], -v[12:13]
	v_mul_f64 v[8:9], v[8:9], v[48:49]
	v_add_f64 v[10:11], v[18:19], v[10:11]
	v_fma_f64 v[6:7], v[6:7], v[46:47], -v[8:9]
	;; [unrolled: 3-line block ×3, first 2 shown]
	v_add_f64 v[2:3], v[6:7], v[2:3]
	s_waitcnt vmcnt(0) lgkmcnt(0)
	v_mul_f64 v[22:23], v[14:15], v[64:65]
	v_fmac_f64_e32 v[22:23], v[16:17], v[54:55]
	v_add_f64 v[0:1], v[0:1], v[22:23]
	ds_read_b128 v[22:25], v82 offset:1872
	buffer_load_dword v67, off, s[0:3], 0 offset:916
	buffer_load_dword v66, off, s[0:3], 0 offset:912
	buffer_load_dword v69, off, s[0:3], 0 offset:924
	buffer_load_dword v68, off, s[0:3], 0 offset:920
	v_mul_f64 v[4:5], v[16:17], v[64:65]
	v_fma_f64 v[4:5], v[14:15], v[54:55], -v[4:5]
	v_add_f64 v[2:3], v[2:3], v[4:5]
	s_waitcnt vmcnt(0) lgkmcnt(0)
	v_mul_f64 v[26:27], v[22:23], v[68:69]
	v_fmac_f64_e32 v[26:27], v[24:25], v[66:67]
	v_add_f64 v[0:1], v[0:1], v[26:27]
	ds_read_b128 v[26:29], v82 offset:1888
	buffer_load_dword v71, off, s[0:3], 0 offset:932
	buffer_load_dword v70, off, s[0:3], 0 offset:928
	buffer_load_dword v73, off, s[0:3], 0 offset:940
	buffer_load_dword v72, off, s[0:3], 0 offset:936
	v_mul_f64 v[4:5], v[24:25], v[68:69]
	v_fma_f64 v[4:5], v[22:23], v[66:67], -v[4:5]
	;; [unrolled: 12-line block ×5, first 2 shown]
	v_add_f64 v[2:3], v[2:3], v[4:5]
	s_waitcnt vmcnt(0) lgkmcnt(0)
	v_mul_f64 v[4:5], v[40:41], v[84:85]
	v_mul_f64 v[86:87], v[38:39], v[84:85]
	v_fma_f64 v[4:5], v[38:39], v[82:83], -v[4:5]
	v_fmac_f64_e32 v[86:87], v[40:41], v[82:83]
	v_add_f64 v[2:3], v[2:3], v[4:5]
	v_add_f64 v[0:1], v[0:1], v[86:87]
	v_add_f64 v[2:3], v[44:45], -v[2:3]
	v_add_f64 v[0:1], v[42:43], -v[0:1]
	buffer_store_dword v3, off, s[0:3], 0 offset:820
	buffer_store_dword v2, off, s[0:3], 0 offset:816
	;; [unrolled: 1-line block ×4, first 2 shown]
	s_and_saveexec_b64 s[4:5], vcc
	s_cbranch_execz .LBB60_293
; %bb.292:
	v_accvgpr_read_b32 v0, a133
	buffer_load_dword v2, v0, s[0:3], 0 offen
	buffer_load_dword v3, v0, s[0:3], 0 offen offset:4
	buffer_load_dword v4, v0, s[0:3], 0 offen offset:8
	;; [unrolled: 1-line block ×3, first 2 shown]
	v_mov_b32_e32 v0, 0
	v_accvgpr_read_b32 v1, a183
	buffer_store_dword v0, off, s[0:3], 0 offset:800
	buffer_store_dword v0, off, s[0:3], 0 offset:804
	;; [unrolled: 1-line block ×4, first 2 shown]
	s_waitcnt vmcnt(4)
	ds_write_b128 v1, v[2:5]
.LBB60_293:
	s_or_b64 exec, exec, s[4:5]
	v_mov_b32_e32 v96, 0
	s_waitcnt lgkmcnt(0)
	; wave barrier
	s_waitcnt lgkmcnt(0)
	ds_read_b128 v[14:17], v96 offset:1776
	ds_read_b128 v[10:13], v96 offset:1792
	;; [unrolled: 1-line block ×4, first 2 shown]
	buffer_load_dword v48, off, s[0:3], 0 offset:800
	buffer_load_dword v49, off, s[0:3], 0 offset:804
	;; [unrolled: 1-line block ×20, first 2 shown]
	v_cmp_lt_u32_e32 vcc, 48, v226
	s_waitcnt vmcnt(12) lgkmcnt(3)
	v_mul_f64 v[0:1], v[14:15], v[56:57]
	v_fmac_f64_e32 v[0:1], v[16:17], v[50:51]
	v_add_f64 v[0:1], v[0:1], 0
	v_mul_f64 v[16:17], v[16:17], v[56:57]
	s_waitcnt vmcnt(8) lgkmcnt(2)
	v_mul_f64 v[18:19], v[10:11], v[58:59]
	v_fmac_f64_e32 v[18:19], v[12:13], v[52:53]
	v_add_f64 v[0:1], v[0:1], v[18:19]
	v_fma_f64 v[14:15], v[14:15], v[50:51], -v[16:17]
	s_waitcnt vmcnt(4) lgkmcnt(1)
	v_mul_f64 v[18:19], v[6:7], v[60:61]
	v_fmac_f64_e32 v[18:19], v[8:9], v[54:55]
	v_add_f64 v[0:1], v[0:1], v[18:19]
	s_waitcnt vmcnt(0) lgkmcnt(0)
	v_mul_f64 v[18:19], v[2:3], v[64:65]
	v_fmac_f64_e32 v[18:19], v[4:5], v[62:63]
	v_add_f64 v[0:1], v[0:1], v[18:19]
	ds_read_b128 v[18:21], v96 offset:1840
	buffer_load_dword v67, off, s[0:3], 0 offset:884
	buffer_load_dword v66, off, s[0:3], 0 offset:880
	;; [unrolled: 1-line block ×4, first 2 shown]
	v_mul_f64 v[12:13], v[12:13], v[58:59]
	v_add_f64 v[14:15], v[14:15], 0
	v_fma_f64 v[10:11], v[10:11], v[52:53], -v[12:13]
	v_mul_f64 v[8:9], v[8:9], v[60:61]
	v_add_f64 v[10:11], v[14:15], v[10:11]
	v_fma_f64 v[6:7], v[6:7], v[54:55], -v[8:9]
	;; [unrolled: 3-line block ×3, first 2 shown]
	v_add_f64 v[2:3], v[6:7], v[2:3]
	s_waitcnt vmcnt(0) lgkmcnt(0)
	v_mul_f64 v[22:23], v[18:19], v[68:69]
	v_fmac_f64_e32 v[22:23], v[20:21], v[66:67]
	v_add_f64 v[0:1], v[0:1], v[22:23]
	ds_read_b128 v[22:25], v96 offset:1856
	buffer_load_dword v71, off, s[0:3], 0 offset:900
	buffer_load_dword v70, off, s[0:3], 0 offset:896
	buffer_load_dword v73, off, s[0:3], 0 offset:908
	buffer_load_dword v72, off, s[0:3], 0 offset:904
	v_mul_f64 v[4:5], v[20:21], v[68:69]
	v_fma_f64 v[4:5], v[18:19], v[66:67], -v[4:5]
	v_add_f64 v[2:3], v[2:3], v[4:5]
	s_waitcnt vmcnt(0) lgkmcnt(0)
	v_mul_f64 v[26:27], v[22:23], v[72:73]
	v_fmac_f64_e32 v[26:27], v[24:25], v[70:71]
	v_add_f64 v[0:1], v[0:1], v[26:27]
	ds_read_b128 v[26:29], v96 offset:1872
	buffer_load_dword v75, off, s[0:3], 0 offset:916
	buffer_load_dword v74, off, s[0:3], 0 offset:912
	buffer_load_dword v77, off, s[0:3], 0 offset:924
	buffer_load_dword v76, off, s[0:3], 0 offset:920
	v_mul_f64 v[4:5], v[24:25], v[72:73]
	v_fma_f64 v[4:5], v[22:23], v[70:71], -v[4:5]
	;; [unrolled: 12-line block ×6, first 2 shown]
	v_add_f64 v[2:3], v[2:3], v[4:5]
	s_waitcnt vmcnt(0) lgkmcnt(0)
	v_mul_f64 v[4:5], v[44:45], v[92:93]
	v_mul_f64 v[0:1], v[42:43], v[92:93]
	v_fma_f64 v[4:5], v[42:43], v[90:91], -v[4:5]
	v_fmac_f64_e32 v[0:1], v[44:45], v[90:91]
	v_add_f64 v[2:3], v[2:3], v[4:5]
	v_add_f64 v[0:1], v[94:95], v[0:1]
	v_add_f64 v[2:3], v[48:49], -v[2:3]
	v_add_f64 v[0:1], v[46:47], -v[0:1]
	buffer_store_dword v3, off, s[0:3], 0 offset:804
	buffer_store_dword v2, off, s[0:3], 0 offset:800
	buffer_store_dword v1, off, s[0:3], 0 offset:812
	buffer_store_dword v0, off, s[0:3], 0 offset:808
	s_and_saveexec_b64 s[4:5], vcc
	s_cbranch_execz .LBB60_295
; %bb.294:
	v_accvgpr_read_b32 v0, a134
	buffer_load_dword v2, v0, s[0:3], 0 offen
	buffer_load_dword v3, v0, s[0:3], 0 offen offset:4
	buffer_load_dword v4, v0, s[0:3], 0 offen offset:8
	;; [unrolled: 1-line block ×3, first 2 shown]
	v_accvgpr_read_b32 v0, a183
	buffer_store_dword v96, off, s[0:3], 0 offset:784
	buffer_store_dword v96, off, s[0:3], 0 offset:788
	buffer_store_dword v96, off, s[0:3], 0 offset:792
	buffer_store_dword v96, off, s[0:3], 0 offset:796
	s_waitcnt vmcnt(4)
	ds_write_b128 v0, v[2:5]
.LBB60_295:
	s_or_b64 exec, exec, s[4:5]
	s_waitcnt lgkmcnt(0)
	; wave barrier
	s_waitcnt lgkmcnt(0)
	ds_read_b128 v[14:17], v96 offset:1760
	ds_read_b128 v[10:13], v96 offset:1776
	;; [unrolled: 1-line block ×4, first 2 shown]
	buffer_load_dword v48, off, s[0:3], 0 offset:784
	buffer_load_dword v49, off, s[0:3], 0 offset:788
	;; [unrolled: 1-line block ×20, first 2 shown]
	v_cmp_lt_u32_e32 vcc, 47, v226
	s_waitcnt vmcnt(12) lgkmcnt(3)
	v_mul_f64 v[0:1], v[14:15], v[56:57]
	v_fmac_f64_e32 v[0:1], v[16:17], v[50:51]
	v_add_f64 v[0:1], v[0:1], 0
	v_mul_f64 v[16:17], v[16:17], v[56:57]
	s_waitcnt vmcnt(8) lgkmcnt(2)
	v_mul_f64 v[18:19], v[10:11], v[58:59]
	v_fmac_f64_e32 v[18:19], v[12:13], v[52:53]
	v_add_f64 v[0:1], v[0:1], v[18:19]
	v_fma_f64 v[14:15], v[14:15], v[50:51], -v[16:17]
	s_waitcnt vmcnt(4) lgkmcnt(1)
	v_mul_f64 v[18:19], v[6:7], v[60:61]
	v_fmac_f64_e32 v[18:19], v[8:9], v[54:55]
	v_add_f64 v[0:1], v[0:1], v[18:19]
	s_waitcnt vmcnt(0) lgkmcnt(0)
	v_mul_f64 v[18:19], v[2:3], v[64:65]
	v_fmac_f64_e32 v[18:19], v[4:5], v[62:63]
	v_add_f64 v[0:1], v[0:1], v[18:19]
	ds_read_b128 v[18:21], v96 offset:1824
	buffer_load_dword v67, off, s[0:3], 0 offset:868
	buffer_load_dword v66, off, s[0:3], 0 offset:864
	;; [unrolled: 1-line block ×4, first 2 shown]
	v_mul_f64 v[12:13], v[12:13], v[58:59]
	v_add_f64 v[14:15], v[14:15], 0
	v_fma_f64 v[10:11], v[10:11], v[52:53], -v[12:13]
	v_mul_f64 v[8:9], v[8:9], v[60:61]
	v_add_f64 v[10:11], v[14:15], v[10:11]
	v_fma_f64 v[6:7], v[6:7], v[54:55], -v[8:9]
	;; [unrolled: 3-line block ×3, first 2 shown]
	v_add_f64 v[2:3], v[6:7], v[2:3]
	s_waitcnt vmcnt(0) lgkmcnt(0)
	v_mul_f64 v[22:23], v[18:19], v[68:69]
	v_fmac_f64_e32 v[22:23], v[20:21], v[66:67]
	v_add_f64 v[0:1], v[0:1], v[22:23]
	ds_read_b128 v[22:25], v96 offset:1840
	buffer_load_dword v71, off, s[0:3], 0 offset:884
	buffer_load_dword v70, off, s[0:3], 0 offset:880
	buffer_load_dword v73, off, s[0:3], 0 offset:892
	buffer_load_dword v72, off, s[0:3], 0 offset:888
	v_mul_f64 v[4:5], v[20:21], v[68:69]
	v_fma_f64 v[4:5], v[18:19], v[66:67], -v[4:5]
	v_add_f64 v[2:3], v[2:3], v[4:5]
	s_waitcnt vmcnt(0) lgkmcnt(0)
	v_mul_f64 v[26:27], v[22:23], v[72:73]
	v_fmac_f64_e32 v[26:27], v[24:25], v[70:71]
	v_add_f64 v[0:1], v[0:1], v[26:27]
	ds_read_b128 v[26:29], v96 offset:1856
	buffer_load_dword v75, off, s[0:3], 0 offset:900
	buffer_load_dword v74, off, s[0:3], 0 offset:896
	buffer_load_dword v77, off, s[0:3], 0 offset:908
	buffer_load_dword v76, off, s[0:3], 0 offset:904
	v_mul_f64 v[4:5], v[24:25], v[72:73]
	v_fma_f64 v[4:5], v[22:23], v[70:71], -v[4:5]
	;; [unrolled: 12-line block ×7, first 2 shown]
	v_add_f64 v[2:3], v[2:3], v[4:5]
	s_waitcnt vmcnt(0) lgkmcnt(0)
	v_mul_f64 v[4:5], v[96:97], v[100:101]
	v_mul_f64 v[102:103], v[94:95], v[100:101]
	v_fma_f64 v[4:5], v[94:95], v[98:99], -v[4:5]
	v_fmac_f64_e32 v[102:103], v[96:97], v[98:99]
	v_add_f64 v[2:3], v[2:3], v[4:5]
	v_add_f64 v[0:1], v[0:1], v[102:103]
	v_add_f64 v[2:3], v[48:49], -v[2:3]
	v_add_f64 v[0:1], v[46:47], -v[0:1]
	buffer_store_dword v3, off, s[0:3], 0 offset:788
	buffer_store_dword v2, off, s[0:3], 0 offset:784
	;; [unrolled: 1-line block ×4, first 2 shown]
	s_and_saveexec_b64 s[4:5], vcc
	s_cbranch_execz .LBB60_297
; %bb.296:
	v_accvgpr_read_b32 v0, a135
	buffer_load_dword v2, v0, s[0:3], 0 offen
	buffer_load_dword v3, v0, s[0:3], 0 offen offset:4
	buffer_load_dword v4, v0, s[0:3], 0 offen offset:8
	buffer_load_dword v5, v0, s[0:3], 0 offen offset:12
	v_mov_b32_e32 v0, 0
	v_accvgpr_read_b32 v1, a183
	buffer_store_dword v0, off, s[0:3], 0 offset:768
	buffer_store_dword v0, off, s[0:3], 0 offset:772
	;; [unrolled: 1-line block ×4, first 2 shown]
	s_waitcnt vmcnt(4)
	ds_write_b128 v1, v[2:5]
.LBB60_297:
	s_or_b64 exec, exec, s[4:5]
	s_waitcnt lgkmcnt(0)
	; wave barrier
	s_waitcnt lgkmcnt(0)
	buffer_load_dword v2, off, s[0:3], 0 offset:784
	buffer_load_dword v3, off, s[0:3], 0 offset:788
	;; [unrolled: 1-line block ×56, first 2 shown]
	v_mov_b32_e32 v30, 0
	ds_read_b128 v[32:35], v30 offset:1744
	ds_read_b128 v[36:39], v30 offset:1760
	;; [unrolled: 1-line block ×9, first 2 shown]
	v_cmp_lt_u32_e32 vcc, 46, v226
	s_waitcnt vmcnt(52) lgkmcnt(8)
	v_mul_f64 v[64:65], v[32:33], v[6:7]
	v_fmac_f64_e32 v[64:65], v[34:35], v[2:3]
	v_add_f64 v[64:65], v[64:65], 0
	v_mul_f64 v[6:7], v[34:35], v[6:7]
	s_waitcnt vmcnt(48) lgkmcnt(7)
	v_mul_f64 v[66:67], v[36:37], v[8:9]
	v_fmac_f64_e32 v[66:67], v[38:39], v[4:5]
	s_waitcnt vmcnt(46) lgkmcnt(6)
	v_mul_f64 v[68:69], v[40:41], v[10:11]
	v_add_f64 v[64:65], v[64:65], v[66:67]
	s_waitcnt vmcnt(44) lgkmcnt(5)
	v_mul_f64 v[70:71], v[44:45], v[12:13]
	v_fma_f64 v[2:3], v[32:33], v[2:3], -v[6:7]
	v_mul_f64 v[6:7], v[38:39], v[8:9]
	v_add_f64 v[2:3], v[2:3], 0
	v_fma_f64 v[4:5], v[36:37], v[4:5], -v[6:7]
	s_waitcnt vmcnt(39) lgkmcnt(3)
	v_mul_f64 v[74:75], v[52:53], v[18:19]
	v_add_f64 v[2:3], v[2:3], v[4:5]
	s_waitcnt vmcnt(37)
	v_mul_f64 v[72:73], v[48:49], v[20:21]
	v_mul_f64 v[4:5], v[42:43], v[10:11]
	s_waitcnt vmcnt(35)
	v_fmac_f64_e32 v[72:73], v[50:51], v[22:23]
	s_waitcnt lgkmcnt(2)
	v_mul_f64 v[76:77], v[56:57], v[14:15]
	s_waitcnt vmcnt(33)
	v_fmac_f64_e32 v[68:69], v[42:43], v[28:29]
	v_add_f64 v[64:65], v[64:65], v[68:69]
	s_waitcnt vmcnt(31)
	v_fmac_f64_e32 v[70:71], v[46:47], v[26:27]
	v_add_f64 v[64:65], v[64:65], v[70:71]
	;; [unrolled: 3-line block ×3, first 2 shown]
	v_fma_f64 v[4:5], v[40:41], v[28:29], -v[4:5]
	s_waitcnt vmcnt(28)
	v_fmac_f64_e32 v[76:77], v[58:59], v[16:17]
	v_add_f64 v[64:65], v[64:65], v[74:75]
	v_add_f64 v[2:3], v[2:3], v[4:5]
	v_mul_f64 v[4:5], v[46:47], v[12:13]
	v_add_f64 v[68:69], v[64:65], v[76:77]
	ds_read_b128 v[64:67], v30 offset:1872
	s_waitcnt vmcnt(24) lgkmcnt(2)
	v_mul_f64 v[70:71], v[60:61], v[86:87]
	v_fma_f64 v[4:5], v[44:45], v[26:27], -v[4:5]
	s_waitcnt vmcnt(22)
	v_fmac_f64_e32 v[70:71], v[62:63], v[88:89]
	v_add_f64 v[2:3], v[2:3], v[4:5]
	v_mul_f64 v[4:5], v[50:51], v[20:21]
	v_add_f64 v[72:73], v[68:69], v[70:71]
	ds_read_b128 v[68:71], v30 offset:1888
	v_fma_f64 v[4:5], v[48:49], v[22:23], -v[4:5]
	v_add_f64 v[2:3], v[2:3], v[4:5]
	v_mul_f64 v[4:5], v[54:55], v[18:19]
	v_fma_f64 v[4:5], v[52:53], v[24:25], -v[4:5]
	s_waitcnt vmcnt(21) lgkmcnt(1)
	v_mul_f64 v[74:75], v[64:65], v[0:1]
	v_add_f64 v[2:3], v[2:3], v[4:5]
	v_mul_f64 v[4:5], v[58:59], v[14:15]
	s_waitcnt vmcnt(20)
	v_fmac_f64_e32 v[74:75], v[66:67], v[84:85]
	v_fma_f64 v[4:5], v[56:57], v[16:17], -v[4:5]
	v_add_f64 v[76:77], v[72:73], v[74:75]
	ds_read_b128 v[72:75], v30 offset:1904
	s_waitcnt vmcnt(16) lgkmcnt(1)
	v_mul_f64 v[78:79], v[68:69], v[94:95]
	v_add_f64 v[2:3], v[2:3], v[4:5]
	v_mul_f64 v[4:5], v[62:63], v[86:87]
	s_waitcnt vmcnt(14)
	v_fmac_f64_e32 v[78:79], v[70:71], v[96:97]
	v_fma_f64 v[4:5], v[60:61], v[88:89], -v[4:5]
	v_mul_f64 v[0:1], v[66:67], v[0:1]
	v_add_f64 v[110:111], v[76:77], v[78:79]
	ds_read_b128 v[76:79], v30 offset:1920
	v_add_f64 v[2:3], v[2:3], v[4:5]
	v_fma_f64 v[0:1], v[64:65], v[84:85], -v[0:1]
	v_add_f64 v[0:1], v[2:3], v[0:1]
	v_mul_f64 v[2:3], v[70:71], v[94:95]
	v_fma_f64 v[2:3], v[68:69], v[96:97], -v[2:3]
	v_add_f64 v[0:1], v[0:1], v[2:3]
	s_waitcnt vmcnt(13) lgkmcnt(1)
	v_mul_f64 v[2:3], v[74:75], v[90:91]
	v_mul_f64 v[112:113], v[72:73], v[90:91]
	s_waitcnt vmcnt(12)
	v_fma_f64 v[2:3], v[72:73], v[92:93], -v[2:3]
	v_fmac_f64_e32 v[112:113], v[74:75], v[92:93]
	v_add_f64 v[0:1], v[0:1], v[2:3]
	s_waitcnt vmcnt(8) lgkmcnt(0)
	v_mul_f64 v[2:3], v[78:79], v[102:103]
	v_add_f64 v[110:111], v[110:111], v[112:113]
	v_mul_f64 v[112:113], v[76:77], v[102:103]
	s_waitcnt vmcnt(6)
	v_fma_f64 v[2:3], v[76:77], v[104:105], -v[2:3]
	v_fmac_f64_e32 v[112:113], v[78:79], v[104:105]
	v_add_f64 v[0:1], v[0:1], v[2:3]
	s_waitcnt vmcnt(5)
	v_mul_f64 v[2:3], v[82:83], v[98:99]
	v_add_f64 v[110:111], v[110:111], v[112:113]
	v_mul_f64 v[112:113], v[80:81], v[98:99]
	s_waitcnt vmcnt(4)
	v_fma_f64 v[2:3], v[80:81], v[100:101], -v[2:3]
	v_fmac_f64_e32 v[112:113], v[82:83], v[100:101]
	v_add_f64 v[0:1], v[0:1], v[2:3]
	v_add_f64 v[110:111], v[110:111], v[112:113]
	s_waitcnt vmcnt(2)
	v_add_f64 v[0:1], v[106:107], -v[0:1]
	s_waitcnt vmcnt(0)
	v_add_f64 v[2:3], v[108:109], -v[110:111]
	buffer_store_dword v1, off, s[0:3], 0 offset:772
	buffer_store_dword v0, off, s[0:3], 0 offset:768
	;; [unrolled: 1-line block ×4, first 2 shown]
	s_and_saveexec_b64 s[4:5], vcc
	s_cbranch_execz .LBB60_299
; %bb.298:
	v_accvgpr_read_b32 v0, a136
	buffer_load_dword v2, v0, s[0:3], 0 offen
	buffer_load_dword v3, v0, s[0:3], 0 offen offset:4
	buffer_load_dword v4, v0, s[0:3], 0 offen offset:8
	;; [unrolled: 1-line block ×3, first 2 shown]
	v_accvgpr_read_b32 v0, a183
	buffer_store_dword v30, off, s[0:3], 0 offset:752
	buffer_store_dword v30, off, s[0:3], 0 offset:756
	;; [unrolled: 1-line block ×4, first 2 shown]
	s_waitcnt vmcnt(4)
	ds_write_b128 v0, v[2:5]
.LBB60_299:
	s_or_b64 exec, exec, s[4:5]
	s_waitcnt lgkmcnt(0)
	; wave barrier
	s_waitcnt lgkmcnt(0)
	buffer_load_dword v2, off, s[0:3], 0 offset:768
	buffer_load_dword v3, off, s[0:3], 0 offset:772
	;; [unrolled: 1-line block ×60, first 2 shown]
	ds_read_b128 v[32:35], v30 offset:1728
	ds_read_b128 v[36:39], v30 offset:1744
	;; [unrolled: 1-line block ×8, first 2 shown]
	v_cmp_lt_u32_e32 vcc, 45, v226
	ds_read_b128 v[84:87], v30 offset:1936
	s_waitcnt vmcnt(56) lgkmcnt(8)
	v_mul_f64 v[64:65], v[32:33], v[6:7]
	v_fmac_f64_e32 v[64:65], v[34:35], v[2:3]
	v_add_f64 v[64:65], v[64:65], 0
	v_mul_f64 v[6:7], v[34:35], v[6:7]
	s_waitcnt vmcnt(52) lgkmcnt(7)
	v_mul_f64 v[66:67], v[36:37], v[8:9]
	v_fmac_f64_e32 v[66:67], v[38:39], v[4:5]
	s_waitcnt vmcnt(50) lgkmcnt(6)
	v_mul_f64 v[68:69], v[40:41], v[10:11]
	v_add_f64 v[64:65], v[64:65], v[66:67]
	s_waitcnt vmcnt(48) lgkmcnt(4)
	v_mul_f64 v[72:73], v[48:49], v[12:13]
	v_fma_f64 v[2:3], v[32:33], v[2:3], -v[6:7]
	s_waitcnt vmcnt(46)
	v_fmac_f64_e32 v[72:73], v[50:51], v[14:15]
	v_mul_f64 v[6:7], v[38:39], v[8:9]
	s_waitcnt vmcnt(44)
	v_mul_f64 v[70:71], v[44:45], v[16:17]
	v_add_f64 v[2:3], v[2:3], 0
	v_fma_f64 v[4:5], v[36:37], v[4:5], -v[6:7]
	v_add_f64 v[2:3], v[2:3], v[4:5]
	s_waitcnt vmcnt(40) lgkmcnt(3)
	v_mul_f64 v[74:75], v[52:53], v[22:23]
	v_mul_f64 v[4:5], v[42:43], v[10:11]
	s_waitcnt vmcnt(38)
	v_fmac_f64_e32 v[68:69], v[42:43], v[28:29]
	v_add_f64 v[64:65], v[64:65], v[68:69]
	s_waitcnt vmcnt(36)
	v_fmac_f64_e32 v[70:71], v[46:47], v[26:27]
	v_add_f64 v[64:65], v[64:65], v[70:71]
	;; [unrolled: 3-line block ×3, first 2 shown]
	s_waitcnt vmcnt(33) lgkmcnt(2)
	v_mul_f64 v[66:67], v[56:57], v[18:19]
	v_add_f64 v[64:65], v[64:65], v[74:75]
	s_waitcnt vmcnt(32)
	v_fmac_f64_e32 v[66:67], v[58:59], v[20:21]
	v_add_f64 v[68:69], v[64:65], v[66:67]
	ds_read_b128 v[64:67], v30 offset:1856
	v_fma_f64 v[4:5], v[40:41], v[28:29], -v[4:5]
	v_add_f64 v[2:3], v[2:3], v[4:5]
	v_mul_f64 v[4:5], v[46:47], v[16:17]
	s_waitcnt vmcnt(28) lgkmcnt(2)
	v_mul_f64 v[70:71], v[60:61], v[90:91]
	v_fma_f64 v[4:5], v[44:45], v[26:27], -v[4:5]
	s_waitcnt vmcnt(26)
	v_fmac_f64_e32 v[70:71], v[62:63], v[92:93]
	v_add_f64 v[2:3], v[2:3], v[4:5]
	v_mul_f64 v[4:5], v[50:51], v[12:13]
	v_add_f64 v[72:73], v[68:69], v[70:71]
	ds_read_b128 v[68:71], v30 offset:1872
	s_waitcnt vmcnt(25) lgkmcnt(1)
	v_mul_f64 v[74:75], v[64:65], v[0:1]
	v_fma_f64 v[4:5], v[48:49], v[14:15], -v[4:5]
	s_waitcnt vmcnt(24)
	v_fmac_f64_e32 v[74:75], v[66:67], v[88:89]
	v_add_f64 v[2:3], v[2:3], v[4:5]
	v_mul_f64 v[4:5], v[54:55], v[22:23]
	v_add_f64 v[76:77], v[72:73], v[74:75]
	ds_read_b128 v[72:75], v30 offset:1888
	v_fma_f64 v[4:5], v[52:53], v[24:25], -v[4:5]
	v_add_f64 v[2:3], v[2:3], v[4:5]
	v_mul_f64 v[4:5], v[58:59], v[18:19]
	v_fma_f64 v[4:5], v[56:57], v[20:21], -v[4:5]
	s_waitcnt vmcnt(20) lgkmcnt(1)
	v_mul_f64 v[78:79], v[68:69], v[98:99]
	v_add_f64 v[2:3], v[2:3], v[4:5]
	v_mul_f64 v[4:5], v[62:63], v[90:91]
	s_waitcnt vmcnt(18)
	v_fmac_f64_e32 v[78:79], v[70:71], v[100:101]
	v_fma_f64 v[4:5], v[60:61], v[92:93], -v[4:5]
	v_mul_f64 v[0:1], v[66:67], v[0:1]
	v_add_f64 v[80:81], v[76:77], v[78:79]
	ds_read_b128 v[76:79], v30 offset:1904
	s_waitcnt vmcnt(17) lgkmcnt(1)
	v_mul_f64 v[82:83], v[72:73], v[94:95]
	v_add_f64 v[2:3], v[2:3], v[4:5]
	v_fma_f64 v[0:1], v[64:65], v[88:89], -v[0:1]
	s_waitcnt vmcnt(16)
	v_fmac_f64_e32 v[82:83], v[74:75], v[96:97]
	v_add_f64 v[0:1], v[2:3], v[0:1]
	v_mul_f64 v[2:3], v[70:71], v[98:99]
	v_add_f64 v[118:119], v[80:81], v[82:83]
	ds_read_b128 v[80:83], v30 offset:1920
	v_fma_f64 v[2:3], v[68:69], v[100:101], -v[2:3]
	v_add_f64 v[0:1], v[0:1], v[2:3]
	v_mul_f64 v[2:3], v[74:75], v[94:95]
	v_fma_f64 v[2:3], v[72:73], v[96:97], -v[2:3]
	v_add_f64 v[0:1], v[0:1], v[2:3]
	s_waitcnt vmcnt(12) lgkmcnt(1)
	v_mul_f64 v[2:3], v[78:79], v[106:107]
	v_mul_f64 v[120:121], v[76:77], v[106:107]
	s_waitcnt vmcnt(10)
	v_fma_f64 v[2:3], v[76:77], v[108:109], -v[2:3]
	v_fmac_f64_e32 v[120:121], v[78:79], v[108:109]
	v_add_f64 v[0:1], v[0:1], v[2:3]
	s_waitcnt vmcnt(9) lgkmcnt(0)
	v_mul_f64 v[2:3], v[82:83], v[102:103]
	v_add_f64 v[30:31], v[118:119], v[120:121]
	v_mul_f64 v[118:119], v[80:81], v[102:103]
	s_waitcnt vmcnt(8)
	v_fma_f64 v[2:3], v[80:81], v[104:105], -v[2:3]
	v_fmac_f64_e32 v[118:119], v[82:83], v[104:105]
	v_add_f64 v[0:1], v[0:1], v[2:3]
	s_waitcnt vmcnt(6)
	v_mul_f64 v[2:3], v[86:87], v[110:111]
	v_add_f64 v[30:31], v[30:31], v[118:119]
	v_mul_f64 v[118:119], v[84:85], v[110:111]
	s_waitcnt vmcnt(4)
	v_fma_f64 v[2:3], v[84:85], v[112:113], -v[2:3]
	v_fmac_f64_e32 v[118:119], v[86:87], v[112:113]
	v_add_f64 v[0:1], v[0:1], v[2:3]
	v_add_f64 v[30:31], v[30:31], v[118:119]
	s_waitcnt vmcnt(2)
	v_add_f64 v[0:1], v[114:115], -v[0:1]
	s_waitcnt vmcnt(0)
	v_add_f64 v[2:3], v[116:117], -v[30:31]
	buffer_store_dword v1, off, s[0:3], 0 offset:756
	buffer_store_dword v0, off, s[0:3], 0 offset:752
	;; [unrolled: 1-line block ×4, first 2 shown]
	s_and_saveexec_b64 s[4:5], vcc
	s_cbranch_execz .LBB60_301
; %bb.300:
	v_accvgpr_read_b32 v0, a137
	buffer_load_dword v2, v0, s[0:3], 0 offen
	buffer_load_dword v3, v0, s[0:3], 0 offen offset:4
	buffer_load_dword v4, v0, s[0:3], 0 offen offset:8
	;; [unrolled: 1-line block ×3, first 2 shown]
	v_mov_b32_e32 v0, 0
	v_accvgpr_read_b32 v1, a183
	buffer_store_dword v0, off, s[0:3], 0 offset:736
	buffer_store_dword v0, off, s[0:3], 0 offset:740
	;; [unrolled: 1-line block ×4, first 2 shown]
	s_waitcnt vmcnt(4)
	ds_write_b128 v1, v[2:5]
.LBB60_301:
	s_or_b64 exec, exec, s[4:5]
	s_waitcnt lgkmcnt(0)
	; wave barrier
	s_waitcnt lgkmcnt(0)
	buffer_load_dword v2, off, s[0:3], 0 offset:752
	buffer_load_dword v3, off, s[0:3], 0 offset:756
	;; [unrolled: 1-line block ×64, first 2 shown]
	v_mov_b32_e32 v46, 0
	ds_read_b128 v[38:41], v46 offset:1712
	ds_read_b128 v[42:45], v46 offset:1728
	;; [unrolled: 1-line block ×7, first 2 shown]
	v_cmp_lt_u32_e32 vcc, 44, v226
	s_waitcnt vmcnt(60) lgkmcnt(6)
	v_mul_f64 v[64:65], v[38:39], v[4:5]
	v_fmac_f64_e32 v[64:65], v[40:41], v[2:3]
	s_waitcnt vmcnt(58) lgkmcnt(5)
	v_mul_f64 v[66:67], v[42:43], v[6:7]
	v_add_f64 v[64:65], v[64:65], 0
	s_waitcnt vmcnt(56) lgkmcnt(4)
	v_mul_f64 v[68:69], v[48:49], v[8:9]
	v_mul_f64 v[4:5], v[40:41], v[4:5]
	s_waitcnt vmcnt(54) lgkmcnt(2)
	v_mul_f64 v[72:73], v[56:57], v[10:11]
	v_fma_f64 v[2:3], v[38:39], v[2:3], -v[4:5]
	v_mul_f64 v[4:5], v[44:45], v[6:7]
	s_waitcnt vmcnt(51)
	v_mul_f64 v[70:71], v[52:53], v[14:15]
	v_add_f64 v[2:3], v[2:3], 0
	s_waitcnt vmcnt(49)
	v_fmac_f64_e32 v[66:67], v[44:45], v[20:21]
	v_add_f64 v[64:65], v[64:65], v[66:67]
	s_waitcnt vmcnt(47)
	v_fmac_f64_e32 v[68:69], v[50:51], v[18:19]
	;; [unrolled: 3-line block ×4, first 2 shown]
	v_add_f64 v[68:69], v[64:65], v[72:73]
	ds_read_b128 v[64:67], v46 offset:1808
	s_waitcnt vmcnt(40) lgkmcnt(2)
	v_mul_f64 v[70:71], v[60:61], v[26:27]
	v_fma_f64 v[4:5], v[42:43], v[20:21], -v[4:5]
	s_waitcnt vmcnt(38)
	v_fmac_f64_e32 v[70:71], v[62:63], v[28:29]
	v_add_f64 v[72:73], v[68:69], v[70:71]
	ds_read_b128 v[68:71], v46 offset:1824
	s_waitcnt vmcnt(37) lgkmcnt(1)
	v_mul_f64 v[74:75], v[64:65], v[22:23]
	s_waitcnt vmcnt(36)
	v_fmac_f64_e32 v[74:75], v[66:67], v[24:25]
	v_add_f64 v[76:77], v[72:73], v[74:75]
	ds_read_b128 v[72:75], v46 offset:1840
	s_waitcnt vmcnt(32) lgkmcnt(1)
	v_mul_f64 v[78:79], v[68:69], v[34:35]
	v_add_f64 v[2:3], v[2:3], v[4:5]
	v_mul_f64 v[4:5], v[50:51], v[8:9]
	s_waitcnt vmcnt(30)
	v_fmac_f64_e32 v[78:79], v[70:71], v[36:37]
	v_fma_f64 v[4:5], v[48:49], v[18:19], -v[4:5]
	v_add_f64 v[80:81], v[76:77], v[78:79]
	ds_read_b128 v[76:79], v46 offset:1856
	v_add_f64 v[2:3], v[2:3], v[4:5]
	v_mul_f64 v[4:5], v[54:55], v[14:15]
	v_fma_f64 v[4:5], v[52:53], v[16:17], -v[4:5]
	v_add_f64 v[2:3], v[2:3], v[4:5]
	v_mul_f64 v[4:5], v[58:59], v[10:11]
	s_waitcnt vmcnt(29) lgkmcnt(1)
	v_mul_f64 v[82:83], v[72:73], v[30:31]
	v_fma_f64 v[4:5], v[56:57], v[12:13], -v[4:5]
	s_waitcnt vmcnt(28)
	v_fmac_f64_e32 v[82:83], v[74:75], v[32:33]
	v_add_f64 v[2:3], v[2:3], v[4:5]
	v_mul_f64 v[4:5], v[62:63], v[26:27]
	v_add_f64 v[84:85], v[80:81], v[82:83]
	ds_read_b128 v[80:83], v46 offset:1872
	s_waitcnt vmcnt(24) lgkmcnt(1)
	v_mul_f64 v[86:87], v[76:77], v[102:103]
	v_fma_f64 v[4:5], v[60:61], v[28:29], -v[4:5]
	s_waitcnt vmcnt(22)
	v_fmac_f64_e32 v[86:87], v[78:79], v[104:105]
	v_add_f64 v[2:3], v[2:3], v[4:5]
	v_mul_f64 v[4:5], v[66:67], v[22:23]
	v_add_f64 v[88:89], v[84:85], v[86:87]
	ds_read_b128 v[84:87], v46 offset:1888
	v_fma_f64 v[4:5], v[64:65], v[24:25], -v[4:5]
	v_add_f64 v[2:3], v[2:3], v[4:5]
	v_mul_f64 v[4:5], v[70:71], v[34:35]
	v_fma_f64 v[4:5], v[68:69], v[36:37], -v[4:5]
	s_waitcnt vmcnt(21) lgkmcnt(1)
	v_mul_f64 v[90:91], v[80:81], v[0:1]
	v_add_f64 v[2:3], v[2:3], v[4:5]
	v_mul_f64 v[4:5], v[74:75], v[30:31]
	s_waitcnt vmcnt(20)
	v_fmac_f64_e32 v[90:91], v[82:83], v[100:101]
	v_fma_f64 v[4:5], v[72:73], v[32:33], -v[4:5]
	v_add_f64 v[92:93], v[88:89], v[90:91]
	ds_read_b128 v[88:91], v46 offset:1904
	s_waitcnt vmcnt(16) lgkmcnt(1)
	v_mul_f64 v[94:95], v[84:85], v[110:111]
	v_add_f64 v[2:3], v[2:3], v[4:5]
	v_mul_f64 v[4:5], v[78:79], v[102:103]
	s_waitcnt vmcnt(14)
	v_fmac_f64_e32 v[94:95], v[86:87], v[112:113]
	v_fma_f64 v[4:5], v[76:77], v[104:105], -v[4:5]
	v_mul_f64 v[0:1], v[82:83], v[0:1]
	v_add_f64 v[126:127], v[92:93], v[94:95]
	ds_read_b128 v[92:95], v46 offset:1920
	v_add_f64 v[2:3], v[2:3], v[4:5]
	v_fma_f64 v[0:1], v[80:81], v[100:101], -v[0:1]
	v_add_f64 v[0:1], v[2:3], v[0:1]
	v_mul_f64 v[2:3], v[86:87], v[110:111]
	v_fma_f64 v[2:3], v[84:85], v[112:113], -v[2:3]
	v_add_f64 v[0:1], v[0:1], v[2:3]
	s_waitcnt vmcnt(13) lgkmcnt(1)
	v_mul_f64 v[2:3], v[90:91], v[106:107]
	v_mul_f64 v[128:129], v[88:89], v[106:107]
	s_waitcnt vmcnt(12)
	v_fma_f64 v[2:3], v[88:89], v[108:109], -v[2:3]
	v_fmac_f64_e32 v[128:129], v[90:91], v[108:109]
	v_add_f64 v[0:1], v[0:1], v[2:3]
	s_waitcnt vmcnt(8) lgkmcnt(0)
	v_mul_f64 v[2:3], v[94:95], v[118:119]
	v_add_f64 v[126:127], v[126:127], v[128:129]
	v_mul_f64 v[128:129], v[92:93], v[118:119]
	s_waitcnt vmcnt(6)
	v_fma_f64 v[2:3], v[92:93], v[120:121], -v[2:3]
	v_fmac_f64_e32 v[128:129], v[94:95], v[120:121]
	v_add_f64 v[0:1], v[0:1], v[2:3]
	s_waitcnt vmcnt(5)
	v_mul_f64 v[2:3], v[98:99], v[114:115]
	v_add_f64 v[126:127], v[126:127], v[128:129]
	v_mul_f64 v[128:129], v[96:97], v[114:115]
	s_waitcnt vmcnt(4)
	v_fma_f64 v[2:3], v[96:97], v[116:117], -v[2:3]
	v_fmac_f64_e32 v[128:129], v[98:99], v[116:117]
	v_add_f64 v[0:1], v[0:1], v[2:3]
	v_add_f64 v[126:127], v[126:127], v[128:129]
	s_waitcnt vmcnt(2)
	v_add_f64 v[0:1], v[122:123], -v[0:1]
	s_waitcnt vmcnt(0)
	v_add_f64 v[2:3], v[124:125], -v[126:127]
	buffer_store_dword v1, off, s[0:3], 0 offset:740
	buffer_store_dword v0, off, s[0:3], 0 offset:736
	;; [unrolled: 1-line block ×4, first 2 shown]
	s_and_saveexec_b64 s[4:5], vcc
	s_cbranch_execz .LBB60_303
; %bb.302:
	v_accvgpr_read_b32 v0, a138
	buffer_load_dword v2, v0, s[0:3], 0 offen
	buffer_load_dword v3, v0, s[0:3], 0 offen offset:4
	buffer_load_dword v4, v0, s[0:3], 0 offen offset:8
	;; [unrolled: 1-line block ×3, first 2 shown]
	v_accvgpr_read_b32 v0, a183
	buffer_store_dword v46, off, s[0:3], 0 offset:720
	buffer_store_dword v46, off, s[0:3], 0 offset:724
	;; [unrolled: 1-line block ×4, first 2 shown]
	s_waitcnt vmcnt(4)
	ds_write_b128 v0, v[2:5]
.LBB60_303:
	s_or_b64 exec, exec, s[4:5]
	s_waitcnt lgkmcnt(0)
	; wave barrier
	s_waitcnt lgkmcnt(0)
	buffer_load_dword v2, off, s[0:3], 0 offset:736
	buffer_load_dword v3, off, s[0:3], 0 offset:740
	;; [unrolled: 1-line block ×64, first 2 shown]
	ds_read_b128 v[48:51], v46 offset:1696
	ds_read_b128 v[52:55], v46 offset:1712
	;; [unrolled: 1-line block ×4, first 2 shown]
	buffer_load_dword v130, off, s[0:3], 0 offset:720
	buffer_load_dword v131, off, s[0:3], 0 offset:724
	buffer_load_dword v132, off, s[0:3], 0 offset:728
	buffer_load_dword v133, off, s[0:3], 0 offset:732
	v_cmp_lt_u32_e32 vcc, 43, v226
	ds_read_b128 v[108:111], v46 offset:1936
	s_waitcnt vmcnt(62) lgkmcnt(4)
	v_mul_f64 v[64:65], v[48:49], v[4:5]
	v_fmac_f64_e32 v[64:65], v[50:51], v[2:3]
	v_add_f64 v[64:65], v[64:65], 0
	s_waitcnt lgkmcnt(2)
	v_mul_f64 v[68:69], v[56:57], v[6:7]
	v_mul_f64 v[4:5], v[50:51], v[4:5]
	v_fma_f64 v[2:3], v[48:49], v[2:3], -v[4:5]
	s_waitcnt vmcnt(58) lgkmcnt(1)
	v_mul_f64 v[70:71], v[60:61], v[12:13]
	v_add_f64 v[2:3], v[2:3], 0
	s_waitcnt vmcnt(56)
	v_mul_f64 v[66:67], v[52:53], v[18:19]
	v_mul_f64 v[4:5], v[54:55], v[18:19]
	s_waitcnt vmcnt(53)
	v_fmac_f64_e32 v[68:69], v[58:59], v[16:17]
	s_waitcnt vmcnt(52)
	v_fmac_f64_e32 v[66:67], v[54:55], v[20:21]
	v_add_f64 v[72:73], v[64:65], v[66:67]
	ds_read_b128 v[64:67], v46 offset:1760
	v_add_f64 v[68:69], v[72:73], v[68:69]
	s_waitcnt vmcnt(50)
	v_fmac_f64_e32 v[70:71], v[62:63], v[14:15]
	v_add_f64 v[72:73], v[68:69], v[70:71]
	ds_read_b128 v[68:71], v46 offset:1776
	s_waitcnt vmcnt(49) lgkmcnt(1)
	v_mul_f64 v[74:75], v[64:65], v[8:9]
	s_waitcnt vmcnt(48)
	v_fmac_f64_e32 v[74:75], v[66:67], v[10:11]
	v_add_f64 v[76:77], v[72:73], v[74:75]
	ds_read_b128 v[72:75], v46 offset:1792
	s_waitcnt vmcnt(44) lgkmcnt(1)
	v_mul_f64 v[78:79], v[68:69], v[26:27]
	;; [unrolled: 6-line block ×3, first 2 shown]
	s_waitcnt vmcnt(40)
	v_fmac_f64_e32 v[82:83], v[74:75], v[24:25]
	v_add_f64 v[84:85], v[80:81], v[82:83]
	ds_read_b128 v[80:83], v46 offset:1824
	v_fma_f64 v[4:5], v[52:53], v[20:21], -v[4:5]
	s_waitcnt vmcnt(36) lgkmcnt(1)
	v_mul_f64 v[86:87], v[76:77], v[34:35]
	v_add_f64 v[2:3], v[2:3], v[4:5]
	v_mul_f64 v[4:5], v[58:59], v[6:7]
	s_waitcnt vmcnt(34)
	v_fmac_f64_e32 v[86:87], v[78:79], v[36:37]
	v_fma_f64 v[4:5], v[56:57], v[16:17], -v[4:5]
	v_add_f64 v[88:89], v[84:85], v[86:87]
	ds_read_b128 v[84:87], v46 offset:1840
	s_waitcnt vmcnt(33) lgkmcnt(1)
	v_mul_f64 v[90:91], v[80:81], v[30:31]
	v_add_f64 v[2:3], v[2:3], v[4:5]
	v_mul_f64 v[4:5], v[62:63], v[12:13]
	s_waitcnt vmcnt(32)
	v_fmac_f64_e32 v[90:91], v[82:83], v[32:33]
	v_fma_f64 v[4:5], v[60:61], v[14:15], -v[4:5]
	v_add_f64 v[92:93], v[88:89], v[90:91]
	ds_read_b128 v[88:91], v46 offset:1856
	v_add_f64 v[2:3], v[2:3], v[4:5]
	v_mul_f64 v[4:5], v[66:67], v[8:9]
	v_fma_f64 v[4:5], v[64:65], v[10:11], -v[4:5]
	v_add_f64 v[2:3], v[2:3], v[4:5]
	v_mul_f64 v[4:5], v[70:71], v[26:27]
	s_waitcnt vmcnt(28) lgkmcnt(1)
	v_mul_f64 v[94:95], v[84:85], v[42:43]
	v_fma_f64 v[4:5], v[68:69], v[28:29], -v[4:5]
	s_waitcnt vmcnt(26)
	v_fmac_f64_e32 v[94:95], v[86:87], v[44:45]
	v_add_f64 v[2:3], v[2:3], v[4:5]
	v_mul_f64 v[4:5], v[74:75], v[22:23]
	v_add_f64 v[96:97], v[92:93], v[94:95]
	ds_read_b128 v[92:95], v46 offset:1872
	s_waitcnt vmcnt(25) lgkmcnt(1)
	v_mul_f64 v[98:99], v[88:89], v[38:39]
	v_fma_f64 v[4:5], v[72:73], v[24:25], -v[4:5]
	s_waitcnt vmcnt(24)
	v_fmac_f64_e32 v[98:99], v[90:91], v[40:41]
	v_add_f64 v[2:3], v[2:3], v[4:5]
	v_mul_f64 v[4:5], v[78:79], v[34:35]
	v_add_f64 v[100:101], v[96:97], v[98:99]
	ds_read_b128 v[96:99], v46 offset:1888
	v_fma_f64 v[4:5], v[76:77], v[36:37], -v[4:5]
	v_add_f64 v[2:3], v[2:3], v[4:5]
	v_mul_f64 v[4:5], v[82:83], v[30:31]
	v_fma_f64 v[4:5], v[80:81], v[32:33], -v[4:5]
	s_waitcnt vmcnt(20) lgkmcnt(1)
	v_mul_f64 v[102:103], v[92:93], v[114:115]
	v_add_f64 v[2:3], v[2:3], v[4:5]
	v_mul_f64 v[4:5], v[86:87], v[42:43]
	s_waitcnt vmcnt(18)
	v_fmac_f64_e32 v[102:103], v[94:95], v[116:117]
	v_fma_f64 v[4:5], v[84:85], v[44:45], -v[4:5]
	v_add_f64 v[104:105], v[100:101], v[102:103]
	ds_read_b128 v[100:103], v46 offset:1904
	s_waitcnt vmcnt(17) lgkmcnt(1)
	v_mul_f64 v[106:107], v[96:97], v[0:1]
	v_add_f64 v[2:3], v[2:3], v[4:5]
	v_mul_f64 v[4:5], v[90:91], v[38:39]
	s_waitcnt vmcnt(16)
	v_fmac_f64_e32 v[106:107], v[98:99], v[112:113]
	v_fma_f64 v[4:5], v[88:89], v[40:41], -v[4:5]
	v_add_f64 v[134:135], v[104:105], v[106:107]
	ds_read_b128 v[104:107], v46 offset:1920
	v_add_f64 v[2:3], v[2:3], v[4:5]
	v_mul_f64 v[4:5], v[94:95], v[114:115]
	v_fma_f64 v[4:5], v[92:93], v[116:117], -v[4:5]
	v_mul_f64 v[0:1], v[98:99], v[0:1]
	v_add_f64 v[2:3], v[2:3], v[4:5]
	v_fma_f64 v[0:1], v[96:97], v[112:113], -v[0:1]
	v_add_f64 v[0:1], v[2:3], v[0:1]
	s_waitcnt vmcnt(12) lgkmcnt(1)
	v_mul_f64 v[2:3], v[102:103], v[122:123]
	v_mul_f64 v[136:137], v[100:101], v[122:123]
	s_waitcnt vmcnt(10)
	v_fma_f64 v[2:3], v[100:101], v[124:125], -v[2:3]
	v_fmac_f64_e32 v[136:137], v[102:103], v[124:125]
	v_add_f64 v[0:1], v[0:1], v[2:3]
	s_waitcnt vmcnt(9) lgkmcnt(0)
	v_mul_f64 v[2:3], v[106:107], v[118:119]
	v_add_f64 v[46:47], v[134:135], v[136:137]
	v_mul_f64 v[134:135], v[104:105], v[118:119]
	s_waitcnt vmcnt(8)
	v_fma_f64 v[2:3], v[104:105], v[120:121], -v[2:3]
	v_fmac_f64_e32 v[134:135], v[106:107], v[120:121]
	v_add_f64 v[0:1], v[0:1], v[2:3]
	s_waitcnt vmcnt(6)
	v_mul_f64 v[2:3], v[110:111], v[126:127]
	v_add_f64 v[46:47], v[46:47], v[134:135]
	v_mul_f64 v[134:135], v[108:109], v[126:127]
	s_waitcnt vmcnt(4)
	v_fma_f64 v[2:3], v[108:109], v[128:129], -v[2:3]
	v_fmac_f64_e32 v[134:135], v[110:111], v[128:129]
	v_add_f64 v[0:1], v[0:1], v[2:3]
	v_add_f64 v[46:47], v[46:47], v[134:135]
	s_waitcnt vmcnt(2)
	v_add_f64 v[0:1], v[130:131], -v[0:1]
	s_waitcnt vmcnt(0)
	v_add_f64 v[2:3], v[132:133], -v[46:47]
	buffer_store_dword v1, off, s[0:3], 0 offset:724
	buffer_store_dword v0, off, s[0:3], 0 offset:720
	;; [unrolled: 1-line block ×4, first 2 shown]
	s_and_saveexec_b64 s[4:5], vcc
	s_cbranch_execz .LBB60_305
; %bb.304:
	v_accvgpr_read_b32 v0, a139
	buffer_load_dword v2, v0, s[0:3], 0 offen
	buffer_load_dword v3, v0, s[0:3], 0 offen offset:4
	buffer_load_dword v4, v0, s[0:3], 0 offen offset:8
	;; [unrolled: 1-line block ×3, first 2 shown]
	v_mov_b32_e32 v0, 0
	v_accvgpr_read_b32 v1, a183
	buffer_store_dword v0, off, s[0:3], 0 offset:704
	buffer_store_dword v0, off, s[0:3], 0 offset:708
	;; [unrolled: 1-line block ×4, first 2 shown]
	s_waitcnt vmcnt(4)
	ds_write_b128 v1, v[2:5]
.LBB60_305:
	s_or_b64 exec, exec, s[4:5]
	s_waitcnt lgkmcnt(0)
	; wave barrier
	s_waitcnt lgkmcnt(0)
	buffer_load_dword v2, off, s[0:3], 0 offset:720
	buffer_load_dword v3, off, s[0:3], 0 offset:724
	;; [unrolled: 1-line block ×68, first 2 shown]
	v_mov_b32_e32 v52, 0
	buffer_load_dword v138, off, s[0:3], 0 offset:704
	buffer_load_dword v139, off, s[0:3], 0 offset:708
	;; [unrolled: 1-line block ×3, first 2 shown]
	ds_read_b128 v[46:49], v52 offset:1680
	ds_read_b128 v[54:57], v52 offset:1696
	buffer_load_dword v141, off, s[0:3], 0 offset:716
	ds_read_b128 v[58:61], v52 offset:1712
	ds_read_b128 v[62:65], v52 offset:1728
	;; [unrolled: 1-line block ×3, first 2 shown]
	v_cmp_lt_u32_e32 vcc, 42, v226
	s_waitcnt vmcnt(62) lgkmcnt(4)
	v_mul_f64 v[66:67], v[46:47], v[6:7]
	v_fmac_f64_e32 v[66:67], v[48:49], v[2:3]
	v_add_f64 v[66:67], v[66:67], 0
	v_mul_f64 v[6:7], v[48:49], v[6:7]
	s_waitcnt lgkmcnt(3)
	v_mul_f64 v[68:69], v[54:55], v[10:11]
	v_fmac_f64_e32 v[68:69], v[56:57], v[4:5]
	v_add_f64 v[66:67], v[66:67], v[68:69]
	v_fma_f64 v[2:3], v[46:47], v[2:3], -v[6:7]
	s_waitcnt vmcnt(60) lgkmcnt(2)
	v_mul_f64 v[68:69], v[58:59], v[12:13]
	v_fmac_f64_e32 v[68:69], v[60:61], v[8:9]
	v_add_f64 v[70:71], v[66:67], v[68:69]
	ds_read_b128 v[66:69], v52 offset:1744
	s_waitcnt vmcnt(56) lgkmcnt(2)
	v_mul_f64 v[72:73], v[62:63], v[18:19]
	v_mul_f64 v[6:7], v[56:57], v[10:11]
	s_waitcnt vmcnt(54)
	v_fmac_f64_e32 v[72:73], v[64:65], v[20:21]
	v_add_f64 v[74:75], v[70:71], v[72:73]
	ds_read_b128 v[70:73], v52 offset:1760
	s_waitcnt vmcnt(53) lgkmcnt(1)
	v_mul_f64 v[76:77], v[66:67], v[14:15]
	s_waitcnt vmcnt(52)
	v_fmac_f64_e32 v[76:77], v[68:69], v[16:17]
	v_add_f64 v[78:79], v[74:75], v[76:77]
	ds_read_b128 v[74:77], v52 offset:1776
	s_waitcnt vmcnt(48) lgkmcnt(1)
	;; [unrolled: 6-line block ×4, first 2 shown]
	v_mul_f64 v[88:89], v[78:79], v[34:35]
	s_waitcnt vmcnt(38)
	v_fmac_f64_e32 v[88:89], v[80:81], v[36:37]
	v_add_f64 v[90:91], v[86:87], v[88:89]
	ds_read_b128 v[86:89], v52 offset:1824
	v_add_f64 v[2:3], v[2:3], 0
	v_fma_f64 v[4:5], v[54:55], v[4:5], -v[6:7]
	v_add_f64 v[2:3], v[2:3], v[4:5]
	v_mul_f64 v[4:5], v[60:61], v[12:13]
	v_fma_f64 v[4:5], v[58:59], v[8:9], -v[4:5]
	s_waitcnt vmcnt(37) lgkmcnt(1)
	v_mul_f64 v[92:93], v[82:83], v[30:31]
	v_add_f64 v[2:3], v[2:3], v[4:5]
	v_mul_f64 v[4:5], v[64:65], v[18:19]
	s_waitcnt vmcnt(36)
	v_fmac_f64_e32 v[92:93], v[84:85], v[32:33]
	v_fma_f64 v[4:5], v[62:63], v[20:21], -v[4:5]
	v_add_f64 v[94:95], v[90:91], v[92:93]
	ds_read_b128 v[90:93], v52 offset:1840
	s_waitcnt vmcnt(32) lgkmcnt(1)
	v_mul_f64 v[96:97], v[86:87], v[42:43]
	v_add_f64 v[2:3], v[2:3], v[4:5]
	v_mul_f64 v[4:5], v[68:69], v[14:15]
	s_waitcnt vmcnt(30)
	v_fmac_f64_e32 v[96:97], v[88:89], v[44:45]
	v_fma_f64 v[4:5], v[66:67], v[16:17], -v[4:5]
	v_add_f64 v[98:99], v[94:95], v[96:97]
	ds_read_b128 v[94:97], v52 offset:1856
	v_add_f64 v[2:3], v[2:3], v[4:5]
	v_mul_f64 v[4:5], v[72:73], v[26:27]
	v_fma_f64 v[4:5], v[70:71], v[28:29], -v[4:5]
	v_add_f64 v[2:3], v[2:3], v[4:5]
	v_mul_f64 v[4:5], v[76:77], v[22:23]
	s_waitcnt vmcnt(29) lgkmcnt(1)
	v_mul_f64 v[100:101], v[90:91], v[38:39]
	v_fma_f64 v[4:5], v[74:75], v[24:25], -v[4:5]
	s_waitcnt vmcnt(28)
	v_fmac_f64_e32 v[100:101], v[92:93], v[40:41]
	v_add_f64 v[2:3], v[2:3], v[4:5]
	v_mul_f64 v[4:5], v[80:81], v[34:35]
	v_add_f64 v[102:103], v[98:99], v[100:101]
	ds_read_b128 v[98:101], v52 offset:1872
	s_waitcnt vmcnt(24) lgkmcnt(1)
	v_mul_f64 v[104:105], v[94:95], v[118:119]
	v_fma_f64 v[4:5], v[78:79], v[36:37], -v[4:5]
	s_waitcnt vmcnt(22)
	v_fmac_f64_e32 v[104:105], v[96:97], v[120:121]
	v_add_f64 v[2:3], v[2:3], v[4:5]
	v_mul_f64 v[4:5], v[84:85], v[30:31]
	v_add_f64 v[106:107], v[102:103], v[104:105]
	ds_read_b128 v[102:105], v52 offset:1888
	v_fma_f64 v[4:5], v[82:83], v[32:33], -v[4:5]
	v_add_f64 v[2:3], v[2:3], v[4:5]
	v_mul_f64 v[4:5], v[88:89], v[42:43]
	v_fma_f64 v[4:5], v[86:87], v[44:45], -v[4:5]
	s_waitcnt vmcnt(21) lgkmcnt(1)
	v_mul_f64 v[108:109], v[98:99], v[0:1]
	v_add_f64 v[2:3], v[2:3], v[4:5]
	v_mul_f64 v[4:5], v[92:93], v[38:39]
	s_waitcnt vmcnt(20)
	v_fmac_f64_e32 v[108:109], v[100:101], v[50:51]
	v_fma_f64 v[4:5], v[90:91], v[40:41], -v[4:5]
	v_add_f64 v[110:111], v[106:107], v[108:109]
	ds_read_b128 v[106:109], v52 offset:1904
	s_waitcnt vmcnt(16) lgkmcnt(1)
	v_mul_f64 v[112:113], v[102:103], v[126:127]
	v_add_f64 v[2:3], v[2:3], v[4:5]
	v_mul_f64 v[4:5], v[96:97], v[118:119]
	s_waitcnt vmcnt(14)
	v_fmac_f64_e32 v[112:113], v[104:105], v[128:129]
	v_fma_f64 v[4:5], v[94:95], v[120:121], -v[4:5]
	v_mul_f64 v[0:1], v[100:101], v[0:1]
	v_add_f64 v[142:143], v[110:111], v[112:113]
	ds_read_b128 v[110:113], v52 offset:1920
	v_add_f64 v[2:3], v[2:3], v[4:5]
	v_fma_f64 v[0:1], v[98:99], v[50:51], -v[0:1]
	v_add_f64 v[0:1], v[2:3], v[0:1]
	v_mul_f64 v[2:3], v[104:105], v[126:127]
	v_fma_f64 v[2:3], v[102:103], v[128:129], -v[2:3]
	v_add_f64 v[0:1], v[0:1], v[2:3]
	s_waitcnt vmcnt(13) lgkmcnt(1)
	v_mul_f64 v[2:3], v[108:109], v[122:123]
	v_mul_f64 v[144:145], v[106:107], v[122:123]
	s_waitcnt vmcnt(12)
	v_fma_f64 v[2:3], v[106:107], v[124:125], -v[2:3]
	v_fmac_f64_e32 v[144:145], v[108:109], v[124:125]
	v_add_f64 v[0:1], v[0:1], v[2:3]
	s_waitcnt vmcnt(8) lgkmcnt(0)
	v_mul_f64 v[2:3], v[112:113], v[134:135]
	v_add_f64 v[142:143], v[142:143], v[144:145]
	v_mul_f64 v[144:145], v[110:111], v[134:135]
	s_waitcnt vmcnt(6)
	v_fma_f64 v[2:3], v[110:111], v[136:137], -v[2:3]
	v_fmac_f64_e32 v[144:145], v[112:113], v[136:137]
	v_add_f64 v[0:1], v[0:1], v[2:3]
	s_waitcnt vmcnt(5)
	v_mul_f64 v[2:3], v[116:117], v[130:131]
	v_add_f64 v[142:143], v[142:143], v[144:145]
	v_mul_f64 v[144:145], v[114:115], v[130:131]
	s_waitcnt vmcnt(4)
	v_fma_f64 v[2:3], v[114:115], v[132:133], -v[2:3]
	v_fmac_f64_e32 v[144:145], v[116:117], v[132:133]
	v_add_f64 v[0:1], v[0:1], v[2:3]
	v_add_f64 v[142:143], v[142:143], v[144:145]
	s_waitcnt vmcnt(2)
	v_add_f64 v[0:1], v[138:139], -v[0:1]
	s_waitcnt vmcnt(0)
	v_add_f64 v[2:3], v[140:141], -v[142:143]
	buffer_store_dword v1, off, s[0:3], 0 offset:708
	buffer_store_dword v0, off, s[0:3], 0 offset:704
	;; [unrolled: 1-line block ×4, first 2 shown]
	s_and_saveexec_b64 s[4:5], vcc
	s_cbranch_execz .LBB60_307
; %bb.306:
	v_accvgpr_read_b32 v0, a140
	buffer_load_dword v2, v0, s[0:3], 0 offen
	buffer_load_dword v3, v0, s[0:3], 0 offen offset:4
	buffer_load_dword v4, v0, s[0:3], 0 offen offset:8
	;; [unrolled: 1-line block ×3, first 2 shown]
	v_accvgpr_read_b32 v0, a183
	buffer_store_dword v52, off, s[0:3], 0 offset:688
	buffer_store_dword v52, off, s[0:3], 0 offset:692
	buffer_store_dword v52, off, s[0:3], 0 offset:696
	buffer_store_dword v52, off, s[0:3], 0 offset:700
	s_waitcnt vmcnt(4)
	ds_write_b128 v0, v[2:5]
.LBB60_307:
	s_or_b64 exec, exec, s[4:5]
	s_waitcnt lgkmcnt(0)
	; wave barrier
	s_waitcnt lgkmcnt(0)
	buffer_load_dword v2, off, s[0:3], 0 offset:704
	buffer_load_dword v3, off, s[0:3], 0 offset:708
	;; [unrolled: 1-line block ×72, first 2 shown]
	ds_read_b128 v[54:57], v52 offset:1664
	buffer_load_dword v146, off, s[0:3], 0 offset:688
	buffer_load_dword v147, off, s[0:3], 0 offset:692
	;; [unrolled: 1-line block ×4, first 2 shown]
	ds_read_b128 v[58:61], v52 offset:1680
	ds_read_b128 v[62:65], v52 offset:1696
	;; [unrolled: 1-line block ×3, first 2 shown]
	v_cmp_lt_u32_e32 vcc, 41, v226
	ds_read_b128 v[122:125], v52 offset:1936
	s_waitcnt vmcnt(62) lgkmcnt(4)
	v_mul_f64 v[70:71], v[54:55], v[8:9]
	v_fmac_f64_e32 v[70:71], v[56:57], v[2:3]
	v_add_f64 v[70:71], v[70:71], 0
	v_mul_f64 v[8:9], v[56:57], v[8:9]
	s_waitcnt lgkmcnt(3)
	v_mul_f64 v[72:73], v[58:59], v[10:11]
	v_fmac_f64_e32 v[72:73], v[60:61], v[4:5]
	v_add_f64 v[70:71], v[70:71], v[72:73]
	v_fma_f64 v[2:3], v[54:55], v[2:3], -v[8:9]
	s_waitcnt lgkmcnt(2)
	v_mul_f64 v[72:73], v[62:63], v[12:13]
	v_fmac_f64_e32 v[72:73], v[64:65], v[6:7]
	v_add_f64 v[74:75], v[70:71], v[72:73]
	ds_read_b128 v[70:73], v52 offset:1728
	s_waitcnt vmcnt(60) lgkmcnt(2)
	v_mul_f64 v[76:77], v[66:67], v[18:19]
	v_mul_f64 v[8:9], v[60:61], v[10:11]
	s_waitcnt vmcnt(58)
	v_fmac_f64_e32 v[76:77], v[68:69], v[20:21]
	v_add_f64 v[78:79], v[74:75], v[76:77]
	ds_read_b128 v[74:77], v52 offset:1744
	s_waitcnt vmcnt(57) lgkmcnt(1)
	v_mul_f64 v[80:81], v[70:71], v[14:15]
	s_waitcnt vmcnt(56)
	v_fmac_f64_e32 v[80:81], v[72:73], v[16:17]
	v_add_f64 v[82:83], v[78:79], v[80:81]
	ds_read_b128 v[78:81], v52 offset:1760
	s_waitcnt vmcnt(52) lgkmcnt(1)
	;; [unrolled: 6-line block ×4, first 2 shown]
	v_mul_f64 v[92:93], v[82:83], v[34:35]
	s_waitcnt vmcnt(42)
	v_fmac_f64_e32 v[92:93], v[84:85], v[36:37]
	v_add_f64 v[2:3], v[2:3], 0
	v_fma_f64 v[4:5], v[58:59], v[4:5], -v[8:9]
	v_add_f64 v[94:95], v[90:91], v[92:93]
	ds_read_b128 v[90:93], v52 offset:1808
	s_waitcnt vmcnt(41) lgkmcnt(1)
	v_mul_f64 v[96:97], v[86:87], v[30:31]
	v_add_f64 v[2:3], v[2:3], v[4:5]
	v_mul_f64 v[4:5], v[64:65], v[12:13]
	s_waitcnt vmcnt(40)
	v_fmac_f64_e32 v[96:97], v[88:89], v[32:33]
	v_fma_f64 v[4:5], v[62:63], v[6:7], -v[4:5]
	v_add_f64 v[98:99], v[94:95], v[96:97]
	ds_read_b128 v[94:97], v52 offset:1824
	v_add_f64 v[2:3], v[2:3], v[4:5]
	v_mul_f64 v[4:5], v[68:69], v[18:19]
	v_fma_f64 v[4:5], v[66:67], v[20:21], -v[4:5]
	v_add_f64 v[2:3], v[2:3], v[4:5]
	v_mul_f64 v[4:5], v[72:73], v[14:15]
	s_waitcnt vmcnt(36) lgkmcnt(1)
	v_mul_f64 v[100:101], v[90:91], v[42:43]
	v_fma_f64 v[4:5], v[70:71], v[16:17], -v[4:5]
	s_waitcnt vmcnt(34)
	v_fmac_f64_e32 v[100:101], v[92:93], v[44:45]
	v_add_f64 v[2:3], v[2:3], v[4:5]
	v_mul_f64 v[4:5], v[76:77], v[26:27]
	v_add_f64 v[102:103], v[98:99], v[100:101]
	ds_read_b128 v[98:101], v52 offset:1840
	s_waitcnt vmcnt(33) lgkmcnt(1)
	v_mul_f64 v[104:105], v[94:95], v[38:39]
	v_fma_f64 v[4:5], v[74:75], v[28:29], -v[4:5]
	s_waitcnt vmcnt(32)
	v_fmac_f64_e32 v[104:105], v[96:97], v[40:41]
	v_add_f64 v[2:3], v[2:3], v[4:5]
	v_mul_f64 v[4:5], v[80:81], v[22:23]
	v_add_f64 v[106:107], v[102:103], v[104:105]
	ds_read_b128 v[102:105], v52 offset:1856
	v_fma_f64 v[4:5], v[78:79], v[24:25], -v[4:5]
	v_add_f64 v[2:3], v[2:3], v[4:5]
	v_mul_f64 v[4:5], v[84:85], v[34:35]
	v_fma_f64 v[4:5], v[82:83], v[36:37], -v[4:5]
	s_waitcnt vmcnt(28) lgkmcnt(1)
	v_mul_f64 v[108:109], v[98:99], v[50:51]
	v_add_f64 v[2:3], v[2:3], v[4:5]
	v_mul_f64 v[4:5], v[88:89], v[30:31]
	s_waitcnt vmcnt(26)
	v_fmac_f64_e32 v[108:109], v[100:101], v[0:1]
	v_fma_f64 v[4:5], v[86:87], v[32:33], -v[4:5]
	v_add_f64 v[110:111], v[106:107], v[108:109]
	ds_read_b128 v[106:109], v52 offset:1872
	s_waitcnt vmcnt(25) lgkmcnt(1)
	v_mul_f64 v[112:113], v[102:103], v[46:47]
	v_add_f64 v[2:3], v[2:3], v[4:5]
	v_mul_f64 v[4:5], v[92:93], v[42:43]
	s_waitcnt vmcnt(24)
	v_fmac_f64_e32 v[112:113], v[104:105], v[48:49]
	v_fma_f64 v[4:5], v[90:91], v[44:45], -v[4:5]
	v_add_f64 v[114:115], v[110:111], v[112:113]
	ds_read_b128 v[110:113], v52 offset:1888
	v_add_f64 v[2:3], v[2:3], v[4:5]
	v_mul_f64 v[4:5], v[96:97], v[38:39]
	v_fma_f64 v[4:5], v[94:95], v[40:41], -v[4:5]
	v_add_f64 v[2:3], v[2:3], v[4:5]
	v_mul_f64 v[4:5], v[100:101], v[50:51]
	s_waitcnt vmcnt(20) lgkmcnt(1)
	v_mul_f64 v[116:117], v[106:107], v[130:131]
	v_fma_f64 v[0:1], v[98:99], v[0:1], -v[4:5]
	s_waitcnt vmcnt(18)
	v_fmac_f64_e32 v[116:117], v[108:109], v[132:133]
	v_add_f64 v[0:1], v[2:3], v[0:1]
	v_mul_f64 v[2:3], v[104:105], v[46:47]
	v_add_f64 v[118:119], v[114:115], v[116:117]
	ds_read_b128 v[114:117], v52 offset:1904
	s_waitcnt vmcnt(17) lgkmcnt(1)
	v_mul_f64 v[120:121], v[110:111], v[126:127]
	v_fma_f64 v[2:3], v[102:103], v[48:49], -v[2:3]
	s_waitcnt vmcnt(16)
	v_fmac_f64_e32 v[120:121], v[112:113], v[128:129]
	v_add_f64 v[0:1], v[0:1], v[2:3]
	v_mul_f64 v[2:3], v[108:109], v[130:131]
	v_add_f64 v[150:151], v[118:119], v[120:121]
	ds_read_b128 v[118:121], v52 offset:1920
	v_fma_f64 v[2:3], v[106:107], v[132:133], -v[2:3]
	v_add_f64 v[0:1], v[0:1], v[2:3]
	v_mul_f64 v[2:3], v[112:113], v[126:127]
	v_fma_f64 v[2:3], v[110:111], v[128:129], -v[2:3]
	v_add_f64 v[0:1], v[0:1], v[2:3]
	s_waitcnt vmcnt(12) lgkmcnt(1)
	v_mul_f64 v[2:3], v[116:117], v[138:139]
	v_mul_f64 v[152:153], v[114:115], v[138:139]
	s_waitcnt vmcnt(10)
	v_fma_f64 v[2:3], v[114:115], v[140:141], -v[2:3]
	v_fmac_f64_e32 v[152:153], v[116:117], v[140:141]
	v_add_f64 v[0:1], v[0:1], v[2:3]
	s_waitcnt vmcnt(9) lgkmcnt(0)
	v_mul_f64 v[2:3], v[120:121], v[134:135]
	v_add_f64 v[52:53], v[150:151], v[152:153]
	v_mul_f64 v[150:151], v[118:119], v[134:135]
	s_waitcnt vmcnt(8)
	v_fma_f64 v[2:3], v[118:119], v[136:137], -v[2:3]
	v_fmac_f64_e32 v[150:151], v[120:121], v[136:137]
	v_add_f64 v[0:1], v[0:1], v[2:3]
	s_waitcnt vmcnt(6)
	v_mul_f64 v[2:3], v[124:125], v[142:143]
	v_add_f64 v[52:53], v[52:53], v[150:151]
	v_mul_f64 v[150:151], v[122:123], v[142:143]
	s_waitcnt vmcnt(4)
	v_fma_f64 v[2:3], v[122:123], v[144:145], -v[2:3]
	v_fmac_f64_e32 v[150:151], v[124:125], v[144:145]
	v_add_f64 v[0:1], v[0:1], v[2:3]
	v_add_f64 v[52:53], v[52:53], v[150:151]
	s_waitcnt vmcnt(2)
	v_add_f64 v[0:1], v[146:147], -v[0:1]
	s_waitcnt vmcnt(0)
	v_add_f64 v[2:3], v[148:149], -v[52:53]
	buffer_store_dword v1, off, s[0:3], 0 offset:692
	buffer_store_dword v0, off, s[0:3], 0 offset:688
	buffer_store_dword v3, off, s[0:3], 0 offset:700
	buffer_store_dword v2, off, s[0:3], 0 offset:696
	s_and_saveexec_b64 s[4:5], vcc
	s_cbranch_execz .LBB60_309
; %bb.308:
	v_accvgpr_read_b32 v0, a141
	buffer_load_dword v2, v0, s[0:3], 0 offen
	buffer_load_dword v3, v0, s[0:3], 0 offen offset:4
	buffer_load_dword v4, v0, s[0:3], 0 offen offset:8
	;; [unrolled: 1-line block ×3, first 2 shown]
	v_mov_b32_e32 v0, 0
	v_accvgpr_read_b32 v1, a183
	buffer_store_dword v0, off, s[0:3], 0 offset:672
	buffer_store_dword v0, off, s[0:3], 0 offset:676
	buffer_store_dword v0, off, s[0:3], 0 offset:680
	buffer_store_dword v0, off, s[0:3], 0 offset:684
	s_waitcnt vmcnt(4)
	ds_write_b128 v1, v[2:5]
.LBB60_309:
	s_or_b64 exec, exec, s[4:5]
	s_waitcnt lgkmcnt(0)
	; wave barrier
	s_waitcnt lgkmcnt(0)
	buffer_load_dword v2, off, s[0:3], 0 offset:688
	buffer_load_dword v3, off, s[0:3], 0 offset:692
	;; [unrolled: 1-line block ×76, first 2 shown]
	v_mov_b32_e32 v54, 0
	ds_read_b128 v[56:59], v54 offset:1648
	buffer_load_dword v154, off, s[0:3], 0 offset:672
	buffer_load_dword v155, off, s[0:3], 0 offset:676
	;; [unrolled: 1-line block ×4, first 2 shown]
	ds_read_b128 v[60:63], v54 offset:1664
	ds_read_b128 v[64:67], v54 offset:1680
	;; [unrolled: 1-line block ×4, first 2 shown]
	v_cmp_lt_u32_e32 vcc, 40, v226
	s_waitcnt vmcnt(62) lgkmcnt(4)
	v_mul_f64 v[72:73], v[56:57], v[8:9]
	v_fmac_f64_e32 v[72:73], v[58:59], v[2:3]
	v_add_f64 v[72:73], v[72:73], 0
	v_mul_f64 v[8:9], v[58:59], v[8:9]
	s_waitcnt lgkmcnt(3)
	v_mul_f64 v[74:75], v[60:61], v[10:11]
	v_fmac_f64_e32 v[74:75], v[62:63], v[4:5]
	v_add_f64 v[72:73], v[72:73], v[74:75]
	v_fma_f64 v[2:3], v[56:57], v[2:3], -v[8:9]
	s_waitcnt lgkmcnt(2)
	v_mul_f64 v[74:75], v[64:65], v[12:13]
	v_fmac_f64_e32 v[74:75], v[66:67], v[6:7]
	v_add_f64 v[76:77], v[72:73], v[74:75]
	ds_read_b128 v[72:75], v54 offset:1712
	s_waitcnt lgkmcnt(2)
	v_mul_f64 v[78:79], v[68:69], v[18:19]
	v_mul_f64 v[8:9], v[62:63], v[10:11]
	v_fmac_f64_e32 v[78:79], v[70:71], v[20:21]
	v_add_f64 v[80:81], v[76:77], v[78:79]
	ds_read_b128 v[76:79], v54 offset:1728
	s_waitcnt vmcnt(61) lgkmcnt(1)
	v_mul_f64 v[82:83], v[72:73], v[14:15]
	s_waitcnt vmcnt(60)
	v_fmac_f64_e32 v[82:83], v[74:75], v[16:17]
	v_add_f64 v[84:85], v[80:81], v[82:83]
	ds_read_b128 v[80:83], v54 offset:1744
	s_waitcnt vmcnt(56) lgkmcnt(1)
	v_mul_f64 v[86:87], v[76:77], v[26:27]
	s_waitcnt vmcnt(54)
	;; [unrolled: 6-line block ×4, first 2 shown]
	v_fmac_f64_e32 v[94:95], v[86:87], v[36:37]
	v_add_f64 v[96:97], v[92:93], v[94:95]
	ds_read_b128 v[92:95], v54 offset:1792
	s_waitcnt vmcnt(45) lgkmcnt(1)
	v_mul_f64 v[98:99], v[88:89], v[30:31]
	v_add_f64 v[2:3], v[2:3], 0
	v_fma_f64 v[4:5], v[60:61], v[4:5], -v[8:9]
	s_waitcnt vmcnt(44)
	v_fmac_f64_e32 v[98:99], v[90:91], v[32:33]
	v_add_f64 v[2:3], v[2:3], v[4:5]
	v_mul_f64 v[4:5], v[66:67], v[12:13]
	v_add_f64 v[100:101], v[96:97], v[98:99]
	ds_read_b128 v[96:99], v54 offset:1808
	s_waitcnt vmcnt(40) lgkmcnt(1)
	v_mul_f64 v[102:103], v[92:93], v[42:43]
	v_fma_f64 v[4:5], v[64:65], v[6:7], -v[4:5]
	s_waitcnt vmcnt(38)
	v_fmac_f64_e32 v[102:103], v[94:95], v[44:45]
	v_add_f64 v[2:3], v[2:3], v[4:5]
	v_mul_f64 v[4:5], v[70:71], v[18:19]
	v_add_f64 v[104:105], v[100:101], v[102:103]
	ds_read_b128 v[100:103], v54 offset:1824
	v_fma_f64 v[4:5], v[68:69], v[20:21], -v[4:5]
	v_add_f64 v[2:3], v[2:3], v[4:5]
	v_mul_f64 v[4:5], v[74:75], v[14:15]
	v_fma_f64 v[4:5], v[72:73], v[16:17], -v[4:5]
	s_waitcnt vmcnt(37) lgkmcnt(1)
	v_mul_f64 v[106:107], v[96:97], v[38:39]
	v_add_f64 v[2:3], v[2:3], v[4:5]
	v_mul_f64 v[4:5], v[78:79], v[26:27]
	s_waitcnt vmcnt(36)
	v_fmac_f64_e32 v[106:107], v[98:99], v[40:41]
	v_fma_f64 v[4:5], v[76:77], v[28:29], -v[4:5]
	v_add_f64 v[108:109], v[104:105], v[106:107]
	ds_read_b128 v[104:107], v54 offset:1840
	s_waitcnt vmcnt(32) lgkmcnt(1)
	v_mul_f64 v[110:111], v[100:101], v[50:51]
	v_add_f64 v[2:3], v[2:3], v[4:5]
	v_mul_f64 v[4:5], v[82:83], v[22:23]
	s_waitcnt vmcnt(30)
	v_fmac_f64_e32 v[110:111], v[102:103], v[52:53]
	v_fma_f64 v[4:5], v[80:81], v[24:25], -v[4:5]
	v_add_f64 v[112:113], v[108:109], v[110:111]
	ds_read_b128 v[108:111], v54 offset:1856
	v_add_f64 v[2:3], v[2:3], v[4:5]
	v_mul_f64 v[4:5], v[86:87], v[34:35]
	v_fma_f64 v[4:5], v[84:85], v[36:37], -v[4:5]
	v_add_f64 v[2:3], v[2:3], v[4:5]
	v_mul_f64 v[4:5], v[90:91], v[30:31]
	s_waitcnt vmcnt(29) lgkmcnt(1)
	v_mul_f64 v[114:115], v[104:105], v[46:47]
	v_fma_f64 v[4:5], v[88:89], v[32:33], -v[4:5]
	s_waitcnt vmcnt(28)
	v_fmac_f64_e32 v[114:115], v[106:107], v[48:49]
	v_add_f64 v[2:3], v[2:3], v[4:5]
	v_mul_f64 v[4:5], v[94:95], v[42:43]
	v_add_f64 v[116:117], v[112:113], v[114:115]
	ds_read_b128 v[112:115], v54 offset:1872
	s_waitcnt vmcnt(24) lgkmcnt(1)
	v_mul_f64 v[118:119], v[108:109], v[134:135]
	v_fma_f64 v[4:5], v[92:93], v[44:45], -v[4:5]
	s_waitcnt vmcnt(22)
	v_fmac_f64_e32 v[118:119], v[110:111], v[136:137]
	v_add_f64 v[2:3], v[2:3], v[4:5]
	v_mul_f64 v[4:5], v[98:99], v[38:39]
	v_add_f64 v[120:121], v[116:117], v[118:119]
	ds_read_b128 v[116:119], v54 offset:1888
	v_fma_f64 v[4:5], v[96:97], v[40:41], -v[4:5]
	v_add_f64 v[2:3], v[2:3], v[4:5]
	v_mul_f64 v[4:5], v[102:103], v[50:51]
	v_fma_f64 v[4:5], v[100:101], v[52:53], -v[4:5]
	s_waitcnt vmcnt(21) lgkmcnt(1)
	v_mul_f64 v[122:123], v[112:113], v[0:1]
	v_add_f64 v[2:3], v[2:3], v[4:5]
	v_mul_f64 v[4:5], v[106:107], v[46:47]
	s_waitcnt vmcnt(20)
	v_fmac_f64_e32 v[122:123], v[114:115], v[132:133]
	v_fma_f64 v[4:5], v[104:105], v[48:49], -v[4:5]
	v_add_f64 v[124:125], v[120:121], v[122:123]
	ds_read_b128 v[120:123], v54 offset:1904
	s_waitcnt vmcnt(16) lgkmcnt(1)
	v_mul_f64 v[126:127], v[116:117], v[142:143]
	v_add_f64 v[2:3], v[2:3], v[4:5]
	v_mul_f64 v[4:5], v[110:111], v[134:135]
	s_waitcnt vmcnt(14)
	v_fmac_f64_e32 v[126:127], v[118:119], v[144:145]
	v_fma_f64 v[4:5], v[108:109], v[136:137], -v[4:5]
	v_mul_f64 v[0:1], v[114:115], v[0:1]
	v_add_f64 v[158:159], v[124:125], v[126:127]
	ds_read_b128 v[124:127], v54 offset:1920
	v_add_f64 v[2:3], v[2:3], v[4:5]
	v_fma_f64 v[0:1], v[112:113], v[132:133], -v[0:1]
	v_add_f64 v[0:1], v[2:3], v[0:1]
	v_mul_f64 v[2:3], v[118:119], v[142:143]
	v_fma_f64 v[2:3], v[116:117], v[144:145], -v[2:3]
	v_add_f64 v[0:1], v[0:1], v[2:3]
	s_waitcnt vmcnt(13) lgkmcnt(1)
	v_mul_f64 v[2:3], v[122:123], v[138:139]
	v_mul_f64 v[160:161], v[120:121], v[138:139]
	s_waitcnt vmcnt(12)
	v_fma_f64 v[2:3], v[120:121], v[140:141], -v[2:3]
	v_fmac_f64_e32 v[160:161], v[122:123], v[140:141]
	v_add_f64 v[0:1], v[0:1], v[2:3]
	s_waitcnt vmcnt(8) lgkmcnt(0)
	v_mul_f64 v[2:3], v[126:127], v[150:151]
	v_add_f64 v[158:159], v[158:159], v[160:161]
	v_mul_f64 v[160:161], v[124:125], v[150:151]
	s_waitcnt vmcnt(6)
	v_fma_f64 v[2:3], v[124:125], v[152:153], -v[2:3]
	v_fmac_f64_e32 v[160:161], v[126:127], v[152:153]
	v_add_f64 v[0:1], v[0:1], v[2:3]
	s_waitcnt vmcnt(5)
	v_mul_f64 v[2:3], v[130:131], v[146:147]
	v_add_f64 v[158:159], v[158:159], v[160:161]
	v_mul_f64 v[160:161], v[128:129], v[146:147]
	s_waitcnt vmcnt(4)
	v_fma_f64 v[2:3], v[128:129], v[148:149], -v[2:3]
	v_fmac_f64_e32 v[160:161], v[130:131], v[148:149]
	v_add_f64 v[0:1], v[0:1], v[2:3]
	v_add_f64 v[158:159], v[158:159], v[160:161]
	s_waitcnt vmcnt(2)
	v_add_f64 v[0:1], v[154:155], -v[0:1]
	s_waitcnt vmcnt(0)
	v_add_f64 v[2:3], v[156:157], -v[158:159]
	buffer_store_dword v1, off, s[0:3], 0 offset:676
	buffer_store_dword v0, off, s[0:3], 0 offset:672
	;; [unrolled: 1-line block ×4, first 2 shown]
	s_and_saveexec_b64 s[4:5], vcc
	s_cbranch_execz .LBB60_311
; %bb.310:
	v_accvgpr_read_b32 v0, a142
	buffer_load_dword v2, v0, s[0:3], 0 offen
	buffer_load_dword v3, v0, s[0:3], 0 offen offset:4
	buffer_load_dword v4, v0, s[0:3], 0 offen offset:8
	;; [unrolled: 1-line block ×3, first 2 shown]
	v_accvgpr_read_b32 v0, a183
	buffer_store_dword v54, off, s[0:3], 0 offset:656
	buffer_store_dword v54, off, s[0:3], 0 offset:660
	;; [unrolled: 1-line block ×4, first 2 shown]
	s_waitcnt vmcnt(4)
	ds_write_b128 v0, v[2:5]
.LBB60_311:
	s_or_b64 exec, exec, s[4:5]
	s_waitcnt lgkmcnt(0)
	; wave barrier
	s_waitcnt lgkmcnt(0)
	buffer_load_dword v2, off, s[0:3], 0 offset:672
	buffer_load_dword v3, off, s[0:3], 0 offset:676
	;; [unrolled: 1-line block ×76, first 2 shown]
	ds_read_b128 v[56:59], v54 offset:1632
	buffer_load_dword v159, off, s[0:3], 0 offset:988
	buffer_load_dword v158, off, s[0:3], 0 offset:984
	;; [unrolled: 1-line block ×8, first 2 shown]
	ds_read_b128 v[60:63], v54 offset:1648
	ds_read_b128 v[64:67], v54 offset:1664
	;; [unrolled: 1-line block ×3, first 2 shown]
	v_cmp_lt_u32_e32 vcc, 39, v226
	ds_read_b128 v[132:135], v54 offset:1936
	s_waitcnt vmcnt(62) lgkmcnt(4)
	v_mul_f64 v[72:73], v[56:57], v[8:9]
	v_fmac_f64_e32 v[72:73], v[58:59], v[2:3]
	v_add_f64 v[72:73], v[72:73], 0
	v_mul_f64 v[8:9], v[58:59], v[8:9]
	s_waitcnt lgkmcnt(3)
	v_mul_f64 v[74:75], v[60:61], v[10:11]
	v_fmac_f64_e32 v[74:75], v[62:63], v[4:5]
	v_add_f64 v[72:73], v[72:73], v[74:75]
	v_fma_f64 v[2:3], v[56:57], v[2:3], -v[8:9]
	s_waitcnt lgkmcnt(2)
	v_mul_f64 v[74:75], v[64:65], v[12:13]
	v_fmac_f64_e32 v[74:75], v[66:67], v[6:7]
	v_add_f64 v[76:77], v[72:73], v[74:75]
	ds_read_b128 v[72:75], v54 offset:1696
	v_mul_f64 v[8:9], v[62:63], v[10:11]
	v_add_f64 v[2:3], v[2:3], 0
	s_waitcnt lgkmcnt(2)
	v_mul_f64 v[78:79], v[68:69], v[18:19]
	v_fma_f64 v[4:5], v[60:61], v[4:5], -v[8:9]
	v_fmac_f64_e32 v[78:79], v[70:71], v[20:21]
	v_add_f64 v[80:81], v[76:77], v[78:79]
	ds_read_b128 v[76:79], v54 offset:1712
	s_waitcnt lgkmcnt(1)
	v_mul_f64 v[82:83], v[72:73], v[14:15]
	v_fmac_f64_e32 v[82:83], v[74:75], v[16:17]
	v_add_f64 v[84:85], v[80:81], v[82:83]
	ds_read_b128 v[80:83], v54 offset:1728
	s_waitcnt vmcnt(58) lgkmcnt(1)
	v_mul_f64 v[86:87], v[76:77], v[26:27]
	s_waitcnt vmcnt(56)
	v_fmac_f64_e32 v[86:87], v[78:79], v[28:29]
	v_add_f64 v[88:89], v[84:85], v[86:87]
	ds_read_b128 v[84:87], v54 offset:1744
	s_waitcnt lgkmcnt(1)
	v_mul_f64 v[90:91], v[80:81], v[22:23]
	v_fmac_f64_e32 v[90:91], v[82:83], v[24:25]
	v_add_f64 v[92:93], v[88:89], v[90:91]
	ds_read_b128 v[88:91], v54 offset:1760
	s_waitcnt vmcnt(50) lgkmcnt(1)
	v_mul_f64 v[94:95], v[84:85], v[34:35]
	s_waitcnt vmcnt(48)
	v_fmac_f64_e32 v[94:95], v[86:87], v[36:37]
	v_add_f64 v[96:97], v[92:93], v[94:95]
	ds_read_b128 v[92:95], v54 offset:1776
	s_waitcnt lgkmcnt(1)
	v_mul_f64 v[98:99], v[88:89], v[30:31]
	v_fmac_f64_e32 v[98:99], v[90:91], v[32:33]
	v_add_f64 v[100:101], v[96:97], v[98:99]
	ds_read_b128 v[96:99], v54 offset:1792
	v_add_f64 v[2:3], v[2:3], v[4:5]
	v_mul_f64 v[4:5], v[66:67], v[12:13]
	s_waitcnt vmcnt(42) lgkmcnt(1)
	v_mul_f64 v[102:103], v[92:93], v[42:43]
	v_fma_f64 v[4:5], v[64:65], v[6:7], -v[4:5]
	s_waitcnt vmcnt(40)
	v_fmac_f64_e32 v[102:103], v[94:95], v[44:45]
	v_add_f64 v[2:3], v[2:3], v[4:5]
	v_mul_f64 v[4:5], v[70:71], v[18:19]
	v_add_f64 v[104:105], v[100:101], v[102:103]
	ds_read_b128 v[100:103], v54 offset:1808
	s_waitcnt lgkmcnt(1)
	v_mul_f64 v[106:107], v[96:97], v[38:39]
	v_fma_f64 v[4:5], v[68:69], v[20:21], -v[4:5]
	v_fmac_f64_e32 v[106:107], v[98:99], v[40:41]
	v_add_f64 v[2:3], v[2:3], v[4:5]
	v_mul_f64 v[4:5], v[74:75], v[14:15]
	v_add_f64 v[108:109], v[104:105], v[106:107]
	ds_read_b128 v[104:107], v54 offset:1824
	v_fma_f64 v[4:5], v[72:73], v[16:17], -v[4:5]
	v_add_f64 v[2:3], v[2:3], v[4:5]
	v_mul_f64 v[4:5], v[78:79], v[26:27]
	v_fma_f64 v[4:5], v[76:77], v[28:29], -v[4:5]
	s_waitcnt vmcnt(34) lgkmcnt(1)
	v_mul_f64 v[110:111], v[100:101], v[50:51]
	v_add_f64 v[2:3], v[2:3], v[4:5]
	v_mul_f64 v[4:5], v[82:83], v[22:23]
	s_waitcnt vmcnt(32)
	v_fmac_f64_e32 v[110:111], v[102:103], v[52:53]
	v_fma_f64 v[4:5], v[80:81], v[24:25], -v[4:5]
	v_add_f64 v[112:113], v[108:109], v[110:111]
	ds_read_b128 v[108:111], v54 offset:1840
	s_waitcnt lgkmcnt(1)
	v_mul_f64 v[114:115], v[104:105], v[46:47]
	v_add_f64 v[2:3], v[2:3], v[4:5]
	v_mul_f64 v[4:5], v[86:87], v[34:35]
	v_fmac_f64_e32 v[114:115], v[106:107], v[48:49]
	v_fma_f64 v[4:5], v[84:85], v[36:37], -v[4:5]
	v_add_f64 v[116:117], v[112:113], v[114:115]
	ds_read_b128 v[112:115], v54 offset:1856
	v_add_f64 v[2:3], v[2:3], v[4:5]
	v_mul_f64 v[4:5], v[90:91], v[30:31]
	v_fma_f64 v[4:5], v[88:89], v[32:33], -v[4:5]
	v_add_f64 v[2:3], v[2:3], v[4:5]
	v_mul_f64 v[4:5], v[94:95], v[42:43]
	s_waitcnt vmcnt(26) lgkmcnt(1)
	v_mul_f64 v[118:119], v[108:109], v[138:139]
	v_fma_f64 v[4:5], v[92:93], v[44:45], -v[4:5]
	s_waitcnt vmcnt(24)
	v_fmac_f64_e32 v[118:119], v[110:111], v[140:141]
	v_add_f64 v[2:3], v[2:3], v[4:5]
	v_mul_f64 v[4:5], v[98:99], v[38:39]
	v_add_f64 v[120:121], v[116:117], v[118:119]
	ds_read_b128 v[116:119], v54 offset:1872
	s_waitcnt lgkmcnt(1)
	v_mul_f64 v[122:123], v[112:113], v[0:1]
	v_fma_f64 v[4:5], v[96:97], v[40:41], -v[4:5]
	v_fmac_f64_e32 v[122:123], v[114:115], v[136:137]
	v_add_f64 v[2:3], v[2:3], v[4:5]
	v_mul_f64 v[4:5], v[102:103], v[50:51]
	v_add_f64 v[124:125], v[120:121], v[122:123]
	ds_read_b128 v[120:123], v54 offset:1888
	v_fma_f64 v[4:5], v[100:101], v[52:53], -v[4:5]
	v_add_f64 v[2:3], v[2:3], v[4:5]
	v_mul_f64 v[4:5], v[106:107], v[46:47]
	v_fma_f64 v[4:5], v[104:105], v[48:49], -v[4:5]
	s_waitcnt vmcnt(18) lgkmcnt(1)
	v_mul_f64 v[126:127], v[116:117], v[146:147]
	v_add_f64 v[2:3], v[2:3], v[4:5]
	v_mul_f64 v[4:5], v[110:111], v[138:139]
	s_waitcnt vmcnt(16)
	v_fmac_f64_e32 v[126:127], v[118:119], v[148:149]
	v_fma_f64 v[4:5], v[108:109], v[140:141], -v[4:5]
	v_mul_f64 v[0:1], v[114:115], v[0:1]
	v_add_f64 v[128:129], v[124:125], v[126:127]
	ds_read_b128 v[124:127], v54 offset:1904
	s_waitcnt lgkmcnt(1)
	v_mul_f64 v[130:131], v[120:121], v[142:143]
	v_add_f64 v[2:3], v[2:3], v[4:5]
	v_fma_f64 v[0:1], v[112:113], v[136:137], -v[0:1]
	v_fmac_f64_e32 v[130:131], v[122:123], v[144:145]
	v_add_f64 v[0:1], v[2:3], v[0:1]
	v_mul_f64 v[2:3], v[118:119], v[146:147]
	v_add_f64 v[166:167], v[128:129], v[130:131]
	ds_read_b128 v[128:131], v54 offset:1920
	v_fma_f64 v[2:3], v[116:117], v[148:149], -v[2:3]
	v_add_f64 v[0:1], v[0:1], v[2:3]
	v_mul_f64 v[2:3], v[122:123], v[142:143]
	v_fma_f64 v[2:3], v[120:121], v[144:145], -v[2:3]
	v_add_f64 v[0:1], v[0:1], v[2:3]
	s_waitcnt vmcnt(10) lgkmcnt(1)
	v_mul_f64 v[2:3], v[126:127], v[154:155]
	v_mul_f64 v[168:169], v[124:125], v[154:155]
	s_waitcnt vmcnt(8)
	v_fma_f64 v[2:3], v[124:125], v[156:157], -v[2:3]
	v_fmac_f64_e32 v[168:169], v[126:127], v[156:157]
	v_add_f64 v[0:1], v[0:1], v[2:3]
	s_waitcnt lgkmcnt(0)
	v_mul_f64 v[2:3], v[130:131], v[150:151]
	v_add_f64 v[54:55], v[166:167], v[168:169]
	v_mul_f64 v[166:167], v[128:129], v[150:151]
	v_fma_f64 v[2:3], v[128:129], v[152:153], -v[2:3]
	v_fmac_f64_e32 v[166:167], v[130:131], v[152:153]
	v_add_f64 v[0:1], v[0:1], v[2:3]
	s_waitcnt vmcnt(6)
	v_mul_f64 v[2:3], v[134:135], v[158:159]
	v_add_f64 v[54:55], v[54:55], v[166:167]
	v_mul_f64 v[166:167], v[132:133], v[158:159]
	s_waitcnt vmcnt(4)
	v_fma_f64 v[2:3], v[132:133], v[160:161], -v[2:3]
	v_fmac_f64_e32 v[166:167], v[134:135], v[160:161]
	v_add_f64 v[0:1], v[0:1], v[2:3]
	v_add_f64 v[54:55], v[54:55], v[166:167]
	s_waitcnt vmcnt(2)
	v_add_f64 v[0:1], v[162:163], -v[0:1]
	s_waitcnt vmcnt(0)
	v_add_f64 v[2:3], v[164:165], -v[54:55]
	buffer_store_dword v1, off, s[0:3], 0 offset:660
	buffer_store_dword v0, off, s[0:3], 0 offset:656
	;; [unrolled: 1-line block ×4, first 2 shown]
	s_and_saveexec_b64 s[4:5], vcc
	s_cbranch_execz .LBB60_313
; %bb.312:
	v_accvgpr_read_b32 v0, a143
	buffer_load_dword v2, v0, s[0:3], 0 offen
	buffer_load_dword v3, v0, s[0:3], 0 offen offset:4
	buffer_load_dword v4, v0, s[0:3], 0 offen offset:8
	;; [unrolled: 1-line block ×3, first 2 shown]
	v_mov_b32_e32 v0, 0
	v_accvgpr_read_b32 v1, a183
	buffer_store_dword v0, off, s[0:3], 0 offset:640
	buffer_store_dword v0, off, s[0:3], 0 offset:644
	;; [unrolled: 1-line block ×4, first 2 shown]
	s_waitcnt vmcnt(4)
	ds_write_b128 v1, v[2:5]
.LBB60_313:
	s_or_b64 exec, exec, s[4:5]
	s_waitcnt lgkmcnt(0)
	; wave barrier
	s_waitcnt lgkmcnt(0)
	buffer_load_dword v4, off, s[0:3], 0 offset:640
	buffer_load_dword v5, off, s[0:3], 0 offset:644
	;; [unrolled: 1-line block ×84, first 2 shown]
	v_mov_b32_e32 v86, 0
	ds_read_b128 v[66:69], v86 offset:1616
	buffer_load_dword v171, off, s[0:3], 0 offset:988
	buffer_load_dword v170, off, s[0:3], 0 offset:984
	;; [unrolled: 1-line block ×4, first 2 shown]
	ds_read_b128 v[70:73], v86 offset:1632
	ds_read_b128 v[74:77], v86 offset:1648
	;; [unrolled: 1-line block ×4, first 2 shown]
	v_cmp_lt_u32_e32 vcc, 38, v226
	s_waitcnt vmcnt(62) lgkmcnt(4)
	v_mul_f64 v[82:83], v[66:67], v[12:13]
	v_fmac_f64_e32 v[82:83], v[68:69], v[6:7]
	s_waitcnt lgkmcnt(3)
	v_mul_f64 v[84:85], v[70:71], v[14:15]
	v_add_f64 v[82:83], v[82:83], 0
	v_fmac_f64_e32 v[84:85], v[72:73], v[8:9]
	v_add_f64 v[82:83], v[82:83], v[84:85]
	s_waitcnt lgkmcnt(2)
	v_mul_f64 v[84:85], v[74:75], v[16:17]
	v_fmac_f64_e32 v[84:85], v[76:77], v[10:11]
	v_add_f64 v[88:89], v[82:83], v[84:85]
	ds_read_b128 v[82:85], v86 offset:1680
	v_mul_f64 v[12:13], v[68:69], v[12:13]
	s_waitcnt lgkmcnt(2)
	v_mul_f64 v[90:91], v[78:79], v[22:23]
	v_fma_f64 v[6:7], v[66:67], v[6:7], -v[12:13]
	v_fmac_f64_e32 v[90:91], v[80:81], v[24:25]
	v_add_f64 v[92:93], v[88:89], v[90:91]
	ds_read_b128 v[88:91], v86 offset:1696
	s_waitcnt lgkmcnt(1)
	v_mul_f64 v[94:95], v[82:83], v[18:19]
	v_fmac_f64_e32 v[94:95], v[84:85], v[20:21]
	v_add_f64 v[96:97], v[92:93], v[94:95]
	ds_read_b128 v[92:95], v86 offset:1712
	s_waitcnt vmcnt(58) lgkmcnt(1)
	v_mul_f64 v[98:99], v[88:89], v[30:31]
	s_waitcnt vmcnt(56)
	v_fmac_f64_e32 v[98:99], v[90:91], v[32:33]
	v_add_f64 v[100:101], v[96:97], v[98:99]
	ds_read_b128 v[96:99], v86 offset:1728
	s_waitcnt lgkmcnt(1)
	v_mul_f64 v[102:103], v[92:93], v[26:27]
	v_fmac_f64_e32 v[102:103], v[94:95], v[28:29]
	v_add_f64 v[104:105], v[100:101], v[102:103]
	ds_read_b128 v[100:103], v86 offset:1744
	s_waitcnt vmcnt(50) lgkmcnt(1)
	v_mul_f64 v[106:107], v[96:97], v[38:39]
	s_waitcnt vmcnt(48)
	v_fmac_f64_e32 v[106:107], v[98:99], v[40:41]
	v_add_f64 v[108:109], v[104:105], v[106:107]
	ds_read_b128 v[104:107], v86 offset:1760
	s_waitcnt lgkmcnt(1)
	v_mul_f64 v[110:111], v[100:101], v[34:35]
	v_fmac_f64_e32 v[110:111], v[102:103], v[36:37]
	v_add_f64 v[112:113], v[108:109], v[110:111]
	ds_read_b128 v[108:111], v86 offset:1776
	s_waitcnt vmcnt(42) lgkmcnt(1)
	v_mul_f64 v[114:115], v[104:105], v[46:47]
	v_mul_f64 v[12:13], v[72:73], v[14:15]
	s_waitcnt vmcnt(40)
	v_fmac_f64_e32 v[114:115], v[106:107], v[48:49]
	v_add_f64 v[6:7], v[6:7], 0
	v_fma_f64 v[8:9], v[70:71], v[8:9], -v[12:13]
	v_add_f64 v[116:117], v[112:113], v[114:115]
	ds_read_b128 v[112:115], v86 offset:1792
	v_add_f64 v[6:7], v[6:7], v[8:9]
	v_mul_f64 v[8:9], v[76:77], v[16:17]
	v_fma_f64 v[8:9], v[74:75], v[10:11], -v[8:9]
	v_add_f64 v[6:7], v[6:7], v[8:9]
	v_mul_f64 v[8:9], v[80:81], v[22:23]
	s_waitcnt lgkmcnt(1)
	v_mul_f64 v[118:119], v[108:109], v[42:43]
	v_fma_f64 v[8:9], v[78:79], v[24:25], -v[8:9]
	v_fmac_f64_e32 v[118:119], v[110:111], v[44:45]
	v_add_f64 v[6:7], v[6:7], v[8:9]
	v_mul_f64 v[8:9], v[84:85], v[18:19]
	v_add_f64 v[120:121], v[116:117], v[118:119]
	ds_read_b128 v[116:119], v86 offset:1808
	s_waitcnt vmcnt(34) lgkmcnt(1)
	v_mul_f64 v[122:123], v[112:113], v[54:55]
	v_fma_f64 v[8:9], v[82:83], v[20:21], -v[8:9]
	s_waitcnt vmcnt(32)
	v_fmac_f64_e32 v[122:123], v[114:115], v[56:57]
	v_add_f64 v[6:7], v[6:7], v[8:9]
	v_mul_f64 v[8:9], v[90:91], v[30:31]
	v_add_f64 v[124:125], v[120:121], v[122:123]
	ds_read_b128 v[120:123], v86 offset:1824
	v_fma_f64 v[8:9], v[88:89], v[32:33], -v[8:9]
	v_add_f64 v[6:7], v[6:7], v[8:9]
	v_mul_f64 v[8:9], v[94:95], v[26:27]
	v_fma_f64 v[8:9], v[92:93], v[28:29], -v[8:9]
	s_waitcnt lgkmcnt(1)
	v_mul_f64 v[126:127], v[116:117], v[50:51]
	v_add_f64 v[6:7], v[6:7], v[8:9]
	v_mul_f64 v[8:9], v[98:99], v[38:39]
	v_fmac_f64_e32 v[126:127], v[118:119], v[52:53]
	v_fma_f64 v[8:9], v[96:97], v[40:41], -v[8:9]
	v_add_f64 v[128:129], v[124:125], v[126:127]
	ds_read_b128 v[124:127], v86 offset:1840
	s_waitcnt vmcnt(26) lgkmcnt(1)
	v_mul_f64 v[130:131], v[120:121], v[62:63]
	v_add_f64 v[6:7], v[6:7], v[8:9]
	v_mul_f64 v[8:9], v[102:103], v[34:35]
	s_waitcnt vmcnt(24)
	v_fmac_f64_e32 v[130:131], v[122:123], v[64:65]
	v_fma_f64 v[8:9], v[100:101], v[36:37], -v[8:9]
	v_add_f64 v[132:133], v[128:129], v[130:131]
	ds_read_b128 v[128:131], v86 offset:1856
	v_add_f64 v[6:7], v[6:7], v[8:9]
	v_mul_f64 v[8:9], v[106:107], v[46:47]
	v_fma_f64 v[8:9], v[104:105], v[48:49], -v[8:9]
	v_add_f64 v[6:7], v[6:7], v[8:9]
	v_mul_f64 v[8:9], v[110:111], v[42:43]
	s_waitcnt lgkmcnt(1)
	v_mul_f64 v[134:135], v[124:125], v[58:59]
	v_fma_f64 v[8:9], v[108:109], v[44:45], -v[8:9]
	v_fmac_f64_e32 v[134:135], v[126:127], v[60:61]
	v_add_f64 v[6:7], v[6:7], v[8:9]
	v_mul_f64 v[8:9], v[114:115], v[54:55]
	v_add_f64 v[136:137], v[132:133], v[134:135]
	ds_read_b128 v[132:135], v86 offset:1872
	s_waitcnt vmcnt(18) lgkmcnt(1)
	v_mul_f64 v[138:139], v[128:129], v[150:151]
	v_fma_f64 v[8:9], v[112:113], v[56:57], -v[8:9]
	s_waitcnt vmcnt(16)
	v_fmac_f64_e32 v[138:139], v[130:131], v[156:157]
	v_add_f64 v[6:7], v[6:7], v[8:9]
	v_mul_f64 v[8:9], v[118:119], v[50:51]
	v_add_f64 v[140:141], v[136:137], v[138:139]
	ds_read_b128 v[136:139], v86 offset:1888
	v_fma_f64 v[8:9], v[116:117], v[52:53], -v[8:9]
	v_add_f64 v[6:7], v[6:7], v[8:9]
	v_mul_f64 v[8:9], v[122:123], v[62:63]
	v_fma_f64 v[8:9], v[120:121], v[64:65], -v[8:9]
	s_waitcnt lgkmcnt(1)
	v_mul_f64 v[142:143], v[132:133], v[0:1]
	v_add_f64 v[6:7], v[6:7], v[8:9]
	v_mul_f64 v[8:9], v[126:127], v[58:59]
	v_fmac_f64_e32 v[142:143], v[134:135], v[148:149]
	v_fma_f64 v[8:9], v[124:125], v[60:61], -v[8:9]
	v_add_f64 v[144:145], v[140:141], v[142:143]
	ds_read_b128 v[140:143], v86 offset:1904
	s_waitcnt vmcnt(10) lgkmcnt(1)
	v_mul_f64 v[146:147], v[136:137], v[162:163]
	v_add_f64 v[6:7], v[6:7], v[8:9]
	v_mul_f64 v[8:9], v[130:131], v[150:151]
	s_waitcnt vmcnt(8)
	v_fmac_f64_e32 v[146:147], v[138:139], v[164:165]
	v_fma_f64 v[8:9], v[128:129], v[156:157], -v[8:9]
	v_mul_f64 v[0:1], v[134:135], v[0:1]
	v_add_f64 v[174:175], v[144:145], v[146:147]
	ds_read_b128 v[144:147], v86 offset:1920
	v_add_f64 v[6:7], v[6:7], v[8:9]
	v_fma_f64 v[0:1], v[132:133], v[148:149], -v[0:1]
	v_add_f64 v[0:1], v[6:7], v[0:1]
	v_mul_f64 v[6:7], v[138:139], v[162:163]
	v_fma_f64 v[6:7], v[136:137], v[164:165], -v[6:7]
	v_add_f64 v[0:1], v[0:1], v[6:7]
	s_waitcnt lgkmcnt(1)
	v_mul_f64 v[6:7], v[142:143], v[158:159]
	v_mul_f64 v[176:177], v[140:141], v[158:159]
	v_fma_f64 v[6:7], v[140:141], v[160:161], -v[6:7]
	v_fmac_f64_e32 v[176:177], v[142:143], v[160:161]
	v_add_f64 v[0:1], v[0:1], v[6:7]
	s_waitcnt vmcnt(6) lgkmcnt(0)
	v_mul_f64 v[6:7], v[146:147], v[166:167]
	v_add_f64 v[174:175], v[174:175], v[176:177]
	v_mul_f64 v[176:177], v[144:145], v[166:167]
	s_waitcnt vmcnt(4)
	v_fma_f64 v[6:7], v[144:145], v[168:169], -v[6:7]
	v_fmac_f64_e32 v[176:177], v[146:147], v[168:169]
	v_add_f64 v[0:1], v[0:1], v[6:7]
	s_waitcnt vmcnt(2)
	v_mul_f64 v[6:7], v[154:155], v[170:171]
	v_add_f64 v[174:175], v[174:175], v[176:177]
	v_mul_f64 v[176:177], v[152:153], v[170:171]
	s_waitcnt vmcnt(0)
	v_fma_f64 v[6:7], v[152:153], v[172:173], -v[6:7]
	v_fmac_f64_e32 v[176:177], v[154:155], v[172:173]
	v_add_f64 v[0:1], v[0:1], v[6:7]
	v_add_f64 v[174:175], v[174:175], v[176:177]
	v_add_f64 v[0:1], v[4:5], -v[0:1]
	v_add_f64 v[2:3], v[2:3], -v[174:175]
	buffer_store_dword v1, off, s[0:3], 0 offset:644
	buffer_store_dword v0, off, s[0:3], 0 offset:640
	buffer_store_dword v3, off, s[0:3], 0 offset:652
	buffer_store_dword v2, off, s[0:3], 0 offset:648
	s_and_saveexec_b64 s[4:5], vcc
	s_cbranch_execz .LBB60_315
; %bb.314:
	v_accvgpr_read_b32 v0, a144
	buffer_load_dword v2, v0, s[0:3], 0 offen
	buffer_load_dword v3, v0, s[0:3], 0 offen offset:4
	buffer_load_dword v4, v0, s[0:3], 0 offen offset:8
	;; [unrolled: 1-line block ×3, first 2 shown]
	v_accvgpr_read_b32 v0, a183
	buffer_store_dword v86, off, s[0:3], 0 offset:624
	buffer_store_dword v86, off, s[0:3], 0 offset:628
	;; [unrolled: 1-line block ×4, first 2 shown]
	s_waitcnt vmcnt(4)
	ds_write_b128 v0, v[2:5]
.LBB60_315:
	s_or_b64 exec, exec, s[4:5]
	s_waitcnt lgkmcnt(0)
	; wave barrier
	s_waitcnt lgkmcnt(0)
	ds_read_b128 v[14:17], v86 offset:1600
	ds_read_b128 v[10:13], v86 offset:1616
	;; [unrolled: 1-line block ×4, first 2 shown]
	buffer_load_dword v20, off, s[0:3], 0 offset:624
	buffer_load_dword v21, off, s[0:3], 0 offset:628
	;; [unrolled: 1-line block ×92, first 2 shown]
	s_waitcnt vmcnt(62) lgkmcnt(3)
	v_mul_f64 v[88:89], v[14:15], v[28:29]
	v_fmac_f64_e32 v[88:89], v[16:17], v[22:23]
	s_waitcnt lgkmcnt(2)
	v_mul_f64 v[90:91], v[10:11], v[30:31]
	v_add_f64 v[88:89], v[88:89], 0
	v_fmac_f64_e32 v[90:91], v[12:13], v[24:25]
	v_add_f64 v[88:89], v[88:89], v[90:91]
	s_waitcnt lgkmcnt(1)
	v_mul_f64 v[90:91], v[6:7], v[32:33]
	v_fmac_f64_e32 v[90:91], v[8:9], v[26:27]
	v_add_f64 v[92:93], v[88:89], v[90:91]
	ds_read_b128 v[88:91], v86 offset:1664
	v_mul_f64 v[16:17], v[16:17], v[28:29]
	v_fma_f64 v[14:15], v[14:15], v[22:23], -v[16:17]
	s_waitcnt lgkmcnt(1)
	v_mul_f64 v[94:95], v[2:3], v[38:39]
	v_mul_f64 v[12:13], v[12:13], v[30:31]
	v_fmac_f64_e32 v[94:95], v[4:5], v[40:41]
	v_add_f64 v[96:97], v[92:93], v[94:95]
	ds_read_b128 v[92:95], v86 offset:1680
	s_waitcnt lgkmcnt(1)
	v_mul_f64 v[98:99], v[88:89], v[34:35]
	v_fmac_f64_e32 v[98:99], v[90:91], v[36:37]
	v_add_f64 v[100:101], v[96:97], v[98:99]
	ds_read_b128 v[96:99], v86 offset:1696
	s_waitcnt lgkmcnt(1)
	v_mul_f64 v[102:103], v[92:93], v[46:47]
	s_waitcnt vmcnt(60)
	v_fmac_f64_e32 v[102:103], v[94:95], v[48:49]
	v_add_f64 v[104:105], v[100:101], v[102:103]
	ds_read_b128 v[100:103], v86 offset:1712
	s_waitcnt lgkmcnt(1)
	v_mul_f64 v[106:107], v[96:97], v[42:43]
	v_fmac_f64_e32 v[106:107], v[98:99], v[44:45]
	v_add_f64 v[108:109], v[104:105], v[106:107]
	ds_read_b128 v[104:107], v86 offset:1728
	s_waitcnt vmcnt(54) lgkmcnt(1)
	v_mul_f64 v[110:111], v[100:101], v[54:55]
	s_waitcnt vmcnt(52)
	v_fmac_f64_e32 v[110:111], v[102:103], v[56:57]
	v_add_f64 v[112:113], v[108:109], v[110:111]
	ds_read_b128 v[108:111], v86 offset:1744
	s_waitcnt lgkmcnt(1)
	v_mul_f64 v[114:115], v[104:105], v[50:51]
	v_fmac_f64_e32 v[114:115], v[106:107], v[52:53]
	v_add_f64 v[116:117], v[112:113], v[114:115]
	ds_read_b128 v[112:115], v86 offset:1760
	s_waitcnt vmcnt(46) lgkmcnt(1)
	v_mul_f64 v[118:119], v[108:109], v[62:63]
	s_waitcnt vmcnt(44)
	v_fmac_f64_e32 v[118:119], v[110:111], v[64:65]
	v_add_f64 v[120:121], v[116:117], v[118:119]
	ds_read_b128 v[116:119], v86 offset:1776
	s_waitcnt lgkmcnt(1)
	v_mul_f64 v[122:123], v[112:113], v[58:59]
	v_fmac_f64_e32 v[122:123], v[114:115], v[60:61]
	v_add_f64 v[124:125], v[120:121], v[122:123]
	ds_read_b128 v[120:123], v86 offset:1792
	v_add_f64 v[14:15], v[14:15], 0
	v_fma_f64 v[10:11], v[10:11], v[24:25], -v[12:13]
	v_mul_f64 v[8:9], v[8:9], v[32:33]
	v_add_f64 v[10:11], v[14:15], v[10:11]
	v_fma_f64 v[6:7], v[6:7], v[26:27], -v[8:9]
	v_mul_f64 v[4:5], v[4:5], v[38:39]
	v_add_f64 v[6:7], v[10:11], v[6:7]
	v_fma_f64 v[2:3], v[2:3], v[40:41], -v[4:5]
	v_mul_f64 v[4:5], v[90:91], v[34:35]
	s_waitcnt vmcnt(38) lgkmcnt(1)
	v_mul_f64 v[126:127], v[116:117], v[70:71]
	v_add_f64 v[2:3], v[6:7], v[2:3]
	v_fma_f64 v[4:5], v[88:89], v[36:37], -v[4:5]
	s_waitcnt vmcnt(36)
	v_fmac_f64_e32 v[126:127], v[118:119], v[72:73]
	v_add_f64 v[2:3], v[2:3], v[4:5]
	v_mul_f64 v[4:5], v[94:95], v[46:47]
	v_add_f64 v[128:129], v[124:125], v[126:127]
	ds_read_b128 v[124:127], v86 offset:1808
	s_waitcnt lgkmcnt(1)
	v_mul_f64 v[130:131], v[120:121], v[66:67]
	v_fma_f64 v[4:5], v[92:93], v[48:49], -v[4:5]
	v_fmac_f64_e32 v[130:131], v[122:123], v[68:69]
	v_add_f64 v[2:3], v[2:3], v[4:5]
	v_mul_f64 v[4:5], v[98:99], v[42:43]
	v_add_f64 v[132:133], v[128:129], v[130:131]
	ds_read_b128 v[128:131], v86 offset:1824
	v_fma_f64 v[4:5], v[96:97], v[44:45], -v[4:5]
	v_add_f64 v[2:3], v[2:3], v[4:5]
	v_mul_f64 v[4:5], v[102:103], v[54:55]
	v_fma_f64 v[4:5], v[100:101], v[56:57], -v[4:5]
	s_waitcnt vmcnt(30) lgkmcnt(1)
	v_mul_f64 v[134:135], v[124:125], v[78:79]
	v_add_f64 v[2:3], v[2:3], v[4:5]
	v_mul_f64 v[4:5], v[106:107], v[50:51]
	s_waitcnt vmcnt(28)
	v_fmac_f64_e32 v[134:135], v[126:127], v[80:81]
	v_fma_f64 v[4:5], v[104:105], v[52:53], -v[4:5]
	v_add_f64 v[136:137], v[132:133], v[134:135]
	ds_read_b128 v[132:135], v86 offset:1840
	s_waitcnt lgkmcnt(1)
	v_mul_f64 v[138:139], v[128:129], v[74:75]
	v_add_f64 v[2:3], v[2:3], v[4:5]
	v_mul_f64 v[4:5], v[110:111], v[62:63]
	v_fmac_f64_e32 v[138:139], v[130:131], v[76:77]
	v_fma_f64 v[4:5], v[108:109], v[64:65], -v[4:5]
	v_add_f64 v[140:141], v[136:137], v[138:139]
	ds_read_b128 v[136:139], v86 offset:1856
	v_add_f64 v[2:3], v[2:3], v[4:5]
	v_mul_f64 v[4:5], v[114:115], v[58:59]
	v_fma_f64 v[4:5], v[112:113], v[60:61], -v[4:5]
	v_add_f64 v[2:3], v[2:3], v[4:5]
	v_mul_f64 v[4:5], v[118:119], v[70:71]
	s_waitcnt vmcnt(22) lgkmcnt(1)
	v_mul_f64 v[142:143], v[132:133], v[0:1]
	v_fma_f64 v[4:5], v[116:117], v[72:73], -v[4:5]
	s_waitcnt vmcnt(20)
	v_fmac_f64_e32 v[142:143], v[134:135], v[148:149]
	v_add_f64 v[2:3], v[2:3], v[4:5]
	v_mul_f64 v[4:5], v[122:123], v[66:67]
	v_add_f64 v[144:145], v[140:141], v[142:143]
	ds_read_b128 v[140:143], v86 offset:1872
	s_waitcnt lgkmcnt(1)
	v_mul_f64 v[146:147], v[136:137], v[82:83]
	v_fma_f64 v[4:5], v[120:121], v[68:69], -v[4:5]
	v_fmac_f64_e32 v[146:147], v[138:139], v[84:85]
	v_add_f64 v[2:3], v[2:3], v[4:5]
	v_mul_f64 v[4:5], v[126:127], v[78:79]
	v_add_f64 v[152:153], v[144:145], v[146:147]
	ds_read_b128 v[144:147], v86 offset:1888
	v_fma_f64 v[4:5], v[124:125], v[80:81], -v[4:5]
	v_add_f64 v[2:3], v[2:3], v[4:5]
	v_mul_f64 v[4:5], v[130:131], v[74:75]
	v_fma_f64 v[4:5], v[128:129], v[76:77], -v[4:5]
	v_mul_f64 v[0:1], v[134:135], v[0:1]
	s_waitcnt vmcnt(14) lgkmcnt(1)
	v_mul_f64 v[154:155], v[140:141], v[166:167]
	v_add_f64 v[2:3], v[2:3], v[4:5]
	v_fma_f64 v[0:1], v[132:133], v[148:149], -v[0:1]
	s_waitcnt vmcnt(12)
	v_fmac_f64_e32 v[154:155], v[142:143], v[168:169]
	v_add_f64 v[0:1], v[2:3], v[0:1]
	v_mul_f64 v[2:3], v[138:139], v[82:83]
	v_add_f64 v[156:157], v[152:153], v[154:155]
	ds_read_b128 v[152:155], v86 offset:1904
	s_waitcnt lgkmcnt(1)
	v_mul_f64 v[158:159], v[144:145], v[150:151]
	v_fma_f64 v[2:3], v[136:137], v[84:85], -v[2:3]
	v_fmac_f64_e32 v[158:159], v[146:147], v[164:165]
	v_add_f64 v[0:1], v[0:1], v[2:3]
	v_mul_f64 v[2:3], v[142:143], v[166:167]
	v_add_f64 v[182:183], v[156:157], v[158:159]
	ds_read_b128 v[156:159], v86 offset:1920
	ds_read_b128 v[160:163], v86 offset:1936
	v_fma_f64 v[2:3], v[140:141], v[168:169], -v[2:3]
	v_add_f64 v[0:1], v[0:1], v[2:3]
	v_mul_f64 v[2:3], v[146:147], v[150:151]
	v_fma_f64 v[2:3], v[144:145], v[164:165], -v[2:3]
	v_add_f64 v[0:1], v[0:1], v[2:3]
	s_waitcnt vmcnt(6) lgkmcnt(2)
	v_mul_f64 v[2:3], v[154:155], v[174:175]
	v_mul_f64 v[184:185], v[152:153], v[174:175]
	s_waitcnt vmcnt(4)
	v_fma_f64 v[2:3], v[152:153], v[176:177], -v[2:3]
	v_fmac_f64_e32 v[184:185], v[154:155], v[176:177]
	v_add_f64 v[0:1], v[0:1], v[2:3]
	s_waitcnt lgkmcnt(1)
	v_mul_f64 v[2:3], v[158:159], v[170:171]
	v_add_f64 v[86:87], v[182:183], v[184:185]
	v_mul_f64 v[182:183], v[156:157], v[170:171]
	v_fma_f64 v[2:3], v[156:157], v[172:173], -v[2:3]
	v_fmac_f64_e32 v[182:183], v[158:159], v[172:173]
	v_add_f64 v[0:1], v[0:1], v[2:3]
	s_waitcnt vmcnt(2) lgkmcnt(0)
	v_mul_f64 v[2:3], v[162:163], v[178:179]
	v_add_f64 v[86:87], v[86:87], v[182:183]
	v_mul_f64 v[182:183], v[160:161], v[178:179]
	s_waitcnt vmcnt(0)
	v_fma_f64 v[2:3], v[160:161], v[180:181], -v[2:3]
	v_fmac_f64_e32 v[182:183], v[162:163], v[180:181]
	v_add_f64 v[0:1], v[0:1], v[2:3]
	v_add_f64 v[86:87], v[86:87], v[182:183]
	v_add_f64 v[0:1], v[20:21], -v[0:1]
	v_cmp_lt_u32_e32 vcc, 37, v226
	v_add_f64 v[2:3], v[18:19], -v[86:87]
	buffer_store_dword v1, off, s[0:3], 0 offset:628
	buffer_store_dword v0, off, s[0:3], 0 offset:624
	;; [unrolled: 1-line block ×4, first 2 shown]
	s_and_saveexec_b64 s[4:5], vcc
	s_cbranch_execz .LBB60_317
; %bb.316:
	v_accvgpr_read_b32 v0, a145
	buffer_load_dword v2, v0, s[0:3], 0 offen
	buffer_load_dword v3, v0, s[0:3], 0 offen offset:4
	buffer_load_dword v4, v0, s[0:3], 0 offen offset:8
	;; [unrolled: 1-line block ×3, first 2 shown]
	v_mov_b32_e32 v0, 0
	v_accvgpr_read_b32 v1, a183
	buffer_store_dword v0, off, s[0:3], 0 offset:608
	buffer_store_dword v0, off, s[0:3], 0 offset:612
	;; [unrolled: 1-line block ×4, first 2 shown]
	s_waitcnt vmcnt(4)
	ds_write_b128 v1, v[2:5]
.LBB60_317:
	s_or_b64 exec, exec, s[4:5]
	s_waitcnt lgkmcnt(0)
	; wave barrier
	s_waitcnt lgkmcnt(0)
	buffer_load_dword v9, off, s[0:3], 0 offset:636
	buffer_load_dword v6, off, s[0:3], 0 offset:648
	;; [unrolled: 1-line block ×64, first 2 shown]
	v_mov_b32_e32 v98, 0
	ds_read_b128 v[74:77], v98 offset:1584
	ds_read_b128 v[78:81], v98 offset:1600
	buffer_load_dword v67, off, s[0:3], 0 offset:892
	buffer_load_dword v66, off, s[0:3], 0 offset:888
	;; [unrolled: 1-line block ×8, first 2 shown]
	ds_read_b128 v[82:85], v98 offset:1616
	ds_read_b128 v[86:89], v98 offset:1632
	buffer_load_dword v149, off, s[0:3], 0 offset:924
	buffer_load_dword v148, off, s[0:3], 0 offset:920
	;; [unrolled: 1-line block ×24, first 2 shown]
	ds_read_b128 v[168:171], v98 offset:1936
	v_cmp_lt_u32_e32 vcc, 36, v226
	s_waitcnt vmcnt(62) lgkmcnt(1)
	v_mul_f64 v[94:95], v[86:87], v[22:23]
	v_fmac_f64_e32 v[94:95], v[88:89], v[24:25]
	v_mul_f64 v[90:91], v[78:79], v[6:7]
	v_mul_f64 v[0:1], v[74:75], v[8:9]
	;; [unrolled: 1-line block ×3, first 2 shown]
	v_fmac_f64_e32 v[0:1], v[76:77], v[10:11]
	v_add_f64 v[0:1], v[0:1], 0
	v_fma_f64 v[8:9], v[74:75], v[10:11], -v[8:9]
	v_mul_f64 v[6:7], v[80:81], v[6:7]
	v_add_f64 v[8:9], v[8:9], 0
	v_fmac_f64_e32 v[90:91], v[80:81], v[14:15]
	v_add_f64 v[0:1], v[0:1], v[90:91]
	v_mul_f64 v[90:91], v[82:83], v[16:17]
	v_fmac_f64_e32 v[90:91], v[84:85], v[12:13]
	v_add_f64 v[0:1], v[0:1], v[90:91]
	ds_read_b128 v[90:93], v98 offset:1648
	v_add_f64 v[0:1], v[0:1], v[94:95]
	ds_read_b128 v[94:97], v98 offset:1664
	v_fma_f64 v[6:7], v[78:79], v[14:15], -v[6:7]
	v_add_f64 v[6:7], v[8:9], v[6:7]
	s_waitcnt lgkmcnt(1)
	v_mul_f64 v[100:101], v[90:91], v[18:19]
	v_fmac_f64_e32 v[100:101], v[92:93], v[20:21]
	v_add_f64 v[0:1], v[0:1], v[100:101]
	ds_read_b128 v[100:103], v98 offset:1680
	s_waitcnt lgkmcnt(1)
	v_mul_f64 v[104:105], v[94:95], v[30:31]
	v_fmac_f64_e32 v[104:105], v[96:97], v[32:33]
	v_add_f64 v[0:1], v[0:1], v[104:105]
	ds_read_b128 v[104:107], v98 offset:1696
	;; [unrolled: 5-line block ×3, first 2 shown]
	s_waitcnt vmcnt(58) lgkmcnt(1)
	v_mul_f64 v[112:113], v[104:105], v[38:39]
	s_waitcnt vmcnt(56)
	v_fmac_f64_e32 v[112:113], v[106:107], v[40:41]
	v_add_f64 v[0:1], v[0:1], v[112:113]
	ds_read_b128 v[112:115], v98 offset:1728
	s_waitcnt lgkmcnt(1)
	v_mul_f64 v[116:117], v[108:109], v[34:35]
	v_fmac_f64_e32 v[116:117], v[110:111], v[36:37]
	v_add_f64 v[0:1], v[0:1], v[116:117]
	ds_read_b128 v[116:119], v98 offset:1744
	s_waitcnt vmcnt(50) lgkmcnt(1)
	v_mul_f64 v[120:121], v[112:113], v[46:47]
	s_waitcnt vmcnt(48)
	v_fmac_f64_e32 v[120:121], v[114:115], v[48:49]
	v_add_f64 v[0:1], v[0:1], v[120:121]
	ds_read_b128 v[120:123], v98 offset:1760
	v_mul_f64 v[8:9], v[84:85], v[16:17]
	s_waitcnt lgkmcnt(1)
	v_mul_f64 v[124:125], v[116:117], v[42:43]
	v_fma_f64 v[8:9], v[82:83], v[12:13], -v[8:9]
	v_fmac_f64_e32 v[124:125], v[118:119], v[44:45]
	v_add_f64 v[6:7], v[6:7], v[8:9]
	v_mul_f64 v[8:9], v[88:89], v[22:23]
	v_add_f64 v[0:1], v[0:1], v[124:125]
	ds_read_b128 v[124:127], v98 offset:1776
	s_waitcnt vmcnt(42) lgkmcnt(1)
	v_mul_f64 v[128:129], v[120:121], v[54:55]
	v_fma_f64 v[8:9], v[86:87], v[24:25], -v[8:9]
	s_waitcnt vmcnt(40)
	v_fmac_f64_e32 v[128:129], v[122:123], v[56:57]
	v_add_f64 v[6:7], v[6:7], v[8:9]
	v_mul_f64 v[8:9], v[92:93], v[18:19]
	v_add_f64 v[0:1], v[0:1], v[128:129]
	ds_read_b128 v[128:131], v98 offset:1792
	v_fma_f64 v[8:9], v[90:91], v[20:21], -v[8:9]
	v_add_f64 v[6:7], v[6:7], v[8:9]
	v_mul_f64 v[8:9], v[96:97], v[30:31]
	v_fma_f64 v[8:9], v[94:95], v[32:33], -v[8:9]
	s_waitcnt lgkmcnt(1)
	v_mul_f64 v[132:133], v[124:125], v[50:51]
	v_add_f64 v[6:7], v[6:7], v[8:9]
	v_mul_f64 v[8:9], v[102:103], v[26:27]
	v_fmac_f64_e32 v[132:133], v[126:127], v[52:53]
	v_fma_f64 v[8:9], v[100:101], v[28:29], -v[8:9]
	v_add_f64 v[0:1], v[0:1], v[132:133]
	ds_read_b128 v[132:135], v98 offset:1808
	s_waitcnt vmcnt(34) lgkmcnt(1)
	v_mul_f64 v[136:137], v[128:129], v[62:63]
	v_add_f64 v[6:7], v[6:7], v[8:9]
	v_mul_f64 v[8:9], v[106:107], v[38:39]
	s_waitcnt vmcnt(32)
	v_fmac_f64_e32 v[136:137], v[130:131], v[64:65]
	v_fma_f64 v[8:9], v[104:105], v[40:41], -v[8:9]
	v_add_f64 v[0:1], v[0:1], v[136:137]
	ds_read_b128 v[136:139], v98 offset:1824
	v_add_f64 v[6:7], v[6:7], v[8:9]
	v_mul_f64 v[8:9], v[110:111], v[34:35]
	v_fma_f64 v[8:9], v[108:109], v[36:37], -v[8:9]
	v_add_f64 v[6:7], v[6:7], v[8:9]
	v_mul_f64 v[8:9], v[114:115], v[46:47]
	s_waitcnt lgkmcnt(1)
	v_mul_f64 v[140:141], v[132:133], v[58:59]
	v_fma_f64 v[8:9], v[112:113], v[48:49], -v[8:9]
	v_fmac_f64_e32 v[140:141], v[134:135], v[60:61]
	v_add_f64 v[6:7], v[6:7], v[8:9]
	v_mul_f64 v[8:9], v[118:119], v[42:43]
	v_add_f64 v[0:1], v[0:1], v[140:141]
	ds_read_b128 v[140:143], v98 offset:1840
	s_waitcnt vmcnt(26) lgkmcnt(1)
	v_mul_f64 v[144:145], v[136:137], v[70:71]
	v_fma_f64 v[8:9], v[116:117], v[44:45], -v[8:9]
	s_waitcnt vmcnt(24)
	v_fmac_f64_e32 v[144:145], v[138:139], v[72:73]
	v_add_f64 v[6:7], v[6:7], v[8:9]
	v_mul_f64 v[8:9], v[122:123], v[54:55]
	v_add_f64 v[0:1], v[0:1], v[144:145]
	ds_read_b128 v[144:147], v98 offset:1856
	v_fma_f64 v[8:9], v[120:121], v[56:57], -v[8:9]
	v_add_f64 v[6:7], v[6:7], v[8:9]
	v_mul_f64 v[8:9], v[126:127], v[50:51]
	v_fma_f64 v[8:9], v[124:125], v[52:53], -v[8:9]
	s_waitcnt lgkmcnt(1)
	v_mul_f64 v[152:153], v[140:141], v[66:67]
	v_add_f64 v[6:7], v[6:7], v[8:9]
	v_mul_f64 v[8:9], v[130:131], v[62:63]
	v_fmac_f64_e32 v[152:153], v[142:143], v[68:69]
	v_fma_f64 v[8:9], v[128:129], v[64:65], -v[8:9]
	v_add_f64 v[0:1], v[0:1], v[152:153]
	ds_read_b128 v[152:155], v98 offset:1872
	s_waitcnt vmcnt(18) lgkmcnt(1)
	v_mul_f64 v[156:157], v[144:145], v[172:173]
	v_add_f64 v[6:7], v[6:7], v[8:9]
	v_mul_f64 v[8:9], v[134:135], v[58:59]
	s_waitcnt vmcnt(16)
	v_fmac_f64_e32 v[156:157], v[146:147], v[174:175]
	v_fma_f64 v[8:9], v[132:133], v[60:61], -v[8:9]
	v_add_f64 v[0:1], v[0:1], v[156:157]
	ds_read_b128 v[156:159], v98 offset:1888
	v_add_f64 v[6:7], v[6:7], v[8:9]
	v_mul_f64 v[8:9], v[138:139], v[70:71]
	v_fma_f64 v[8:9], v[136:137], v[72:73], -v[8:9]
	v_add_f64 v[6:7], v[6:7], v[8:9]
	v_mul_f64 v[8:9], v[142:143], v[66:67]
	s_waitcnt lgkmcnt(1)
	v_mul_f64 v[160:161], v[152:153], v[148:149]
	v_fma_f64 v[8:9], v[140:141], v[68:69], -v[8:9]
	v_fmac_f64_e32 v[160:161], v[154:155], v[150:151]
	v_add_f64 v[6:7], v[6:7], v[8:9]
	v_mul_f64 v[8:9], v[146:147], v[172:173]
	v_add_f64 v[0:1], v[0:1], v[160:161]
	ds_read_b128 v[160:163], v98 offset:1904
	s_waitcnt vmcnt(10) lgkmcnt(1)
	v_mul_f64 v[164:165], v[156:157], v[180:181]
	v_fma_f64 v[8:9], v[144:145], v[174:175], -v[8:9]
	s_waitcnt vmcnt(8)
	v_fmac_f64_e32 v[164:165], v[158:159], v[182:183]
	v_add_f64 v[6:7], v[6:7], v[8:9]
	v_mul_f64 v[8:9], v[154:155], v[148:149]
	v_add_f64 v[0:1], v[0:1], v[164:165]
	ds_read_b128 v[164:167], v98 offset:1920
	v_fma_f64 v[8:9], v[152:153], v[150:151], -v[8:9]
	v_add_f64 v[6:7], v[6:7], v[8:9]
	v_mul_f64 v[8:9], v[158:159], v[180:181]
	v_fma_f64 v[8:9], v[156:157], v[182:183], -v[8:9]
	v_add_f64 v[6:7], v[6:7], v[8:9]
	s_waitcnt lgkmcnt(1)
	v_mul_f64 v[8:9], v[162:163], v[176:177]
	v_mul_f64 v[192:193], v[160:161], v[176:177]
	v_fma_f64 v[8:9], v[160:161], v[178:179], -v[8:9]
	v_fmac_f64_e32 v[192:193], v[162:163], v[178:179]
	v_add_f64 v[6:7], v[6:7], v[8:9]
	s_waitcnt vmcnt(2) lgkmcnt(0)
	v_mul_f64 v[8:9], v[166:167], v[188:189]
	v_add_f64 v[0:1], v[0:1], v[192:193]
	v_mul_f64 v[192:193], v[164:165], v[188:189]
	s_waitcnt vmcnt(0)
	v_fma_f64 v[8:9], v[164:165], v[190:191], -v[8:9]
	v_fmac_f64_e32 v[192:193], v[166:167], v[190:191]
	v_add_f64 v[6:7], v[6:7], v[8:9]
	v_mul_f64 v[8:9], v[170:171], v[184:185]
	v_add_f64 v[0:1], v[0:1], v[192:193]
	v_mul_f64 v[192:193], v[168:169], v[184:185]
	v_fma_f64 v[8:9], v[168:169], v[186:187], -v[8:9]
	v_fmac_f64_e32 v[192:193], v[170:171], v[186:187]
	v_add_f64 v[6:7], v[6:7], v[8:9]
	v_add_f64 v[0:1], v[0:1], v[192:193]
	v_add_f64 v[4:5], v[4:5], -v[6:7]
	v_add_f64 v[0:1], v[2:3], -v[0:1]
	buffer_store_dword v5, off, s[0:3], 0 offset:612
	buffer_store_dword v4, off, s[0:3], 0 offset:608
	;; [unrolled: 1-line block ×4, first 2 shown]
	s_and_saveexec_b64 s[4:5], vcc
	s_cbranch_execz .LBB60_319
; %bb.318:
	v_accvgpr_read_b32 v0, a146
	buffer_load_dword v2, v0, s[0:3], 0 offen
	buffer_load_dword v3, v0, s[0:3], 0 offen offset:4
	buffer_load_dword v4, v0, s[0:3], 0 offen offset:8
	;; [unrolled: 1-line block ×3, first 2 shown]
	v_accvgpr_read_b32 v0, a183
	buffer_store_dword v98, off, s[0:3], 0 offset:592
	buffer_store_dword v98, off, s[0:3], 0 offset:596
	;; [unrolled: 1-line block ×4, first 2 shown]
	s_waitcnt vmcnt(4)
	ds_write_b128 v0, v[2:5]
.LBB60_319:
	s_or_b64 exec, exec, s[4:5]
	s_waitcnt lgkmcnt(0)
	; wave barrier
	s_waitcnt lgkmcnt(0)
	buffer_load_dword v22, off, s[0:3], 0 offset:608
	buffer_load_dword v23, off, s[0:3], 0 offset:612
	;; [unrolled: 1-line block ×16, first 2 shown]
	ds_read_b128 v[2:5], v98 offset:1568
	ds_read_b128 v[6:9], v98 offset:1584
	;; [unrolled: 1-line block ×4, first 2 shown]
	buffer_load_dword v35, off, s[0:3], 0 offset:684
	buffer_load_dword v34, off, s[0:3], 0 offset:680
	;; [unrolled: 1-line block ×48, first 2 shown]
	v_cmp_lt_u32_e32 vcc, 35, v226
	s_waitcnt vmcnt(42) lgkmcnt(0)
	v_mul_f64 v[104:105], v[14:15], v[38:39]
	s_waitcnt vmcnt(40)
	v_fmac_f64_e32 v[104:105], v[16:17], v[40:41]
	v_mul_f64 v[0:1], v[2:3], v[24:25]
	v_fmac_f64_e32 v[0:1], v[4:5], v[22:23]
	v_add_f64 v[0:1], v[0:1], 0
	v_mul_f64 v[4:5], v[4:5], v[24:25]
	v_mul_f64 v[82:83], v[6:7], v[32:33]
	v_fma_f64 v[2:3], v[2:3], v[22:23], -v[4:5]
	v_mul_f64 v[100:101], v[10:11], v[26:27]
	v_fmac_f64_e32 v[100:101], v[12:13], v[30:31]
	v_fmac_f64_e32 v[82:83], v[8:9], v[28:29]
	v_add_f64 v[0:1], v[0:1], v[82:83]
	buffer_load_dword v83, off, s[0:3], 0 offset:876
	buffer_load_dword v82, off, s[0:3], 0 offset:872
	;; [unrolled: 1-line block ×32, first 2 shown]
	v_add_f64 v[0:1], v[0:1], v[100:101]
	ds_read_b128 v[100:103], v98 offset:1632
	buffer_load_dword v197, off, s[0:3], 0 offset:988
	buffer_load_dword v196, off, s[0:3], 0 offset:984
	buffer_load_dword v199, off, s[0:3], 0 offset:980
	buffer_load_dword v198, off, s[0:3], 0 offset:976
	v_add_f64 v[0:1], v[0:1], v[104:105]
	ds_read_b128 v[104:107], v98 offset:1648
	v_mul_f64 v[4:5], v[8:9], v[32:33]
	s_waitcnt lgkmcnt(1)
	v_mul_f64 v[108:109], v[100:101], v[34:35]
	v_fmac_f64_e32 v[108:109], v[102:103], v[36:37]
	v_add_f64 v[0:1], v[0:1], v[108:109]
	ds_read_b128 v[108:111], v98 offset:1664
	s_waitcnt vmcnt(62) lgkmcnt(1)
	v_mul_f64 v[112:113], v[104:105], v[46:47]
	v_fmac_f64_e32 v[112:113], v[106:107], v[48:49]
	v_add_f64 v[0:1], v[0:1], v[112:113]
	ds_read_b128 v[112:115], v98 offset:1680
	s_waitcnt lgkmcnt(1)
	v_mul_f64 v[116:117], v[108:109], v[42:43]
	v_fmac_f64_e32 v[116:117], v[110:111], v[44:45]
	v_add_f64 v[0:1], v[0:1], v[116:117]
	ds_read_b128 v[116:119], v98 offset:1696
	s_waitcnt lgkmcnt(1)
	v_mul_f64 v[120:121], v[112:113], v[54:55]
	s_waitcnt vmcnt(60)
	v_fmac_f64_e32 v[120:121], v[114:115], v[56:57]
	v_add_f64 v[0:1], v[0:1], v[120:121]
	ds_read_b128 v[120:123], v98 offset:1712
	s_waitcnt lgkmcnt(1)
	v_mul_f64 v[124:125], v[116:117], v[50:51]
	v_fmac_f64_e32 v[124:125], v[118:119], v[52:53]
	v_add_f64 v[0:1], v[0:1], v[124:125]
	ds_read_b128 v[124:127], v98 offset:1728
	s_waitcnt vmcnt(54) lgkmcnt(1)
	v_mul_f64 v[128:129], v[120:121], v[62:63]
	s_waitcnt vmcnt(52)
	v_fmac_f64_e32 v[128:129], v[122:123], v[64:65]
	v_add_f64 v[0:1], v[0:1], v[128:129]
	ds_read_b128 v[128:131], v98 offset:1744
	s_waitcnt lgkmcnt(1)
	v_mul_f64 v[132:133], v[124:125], v[58:59]
	v_fmac_f64_e32 v[132:133], v[126:127], v[60:61]
	v_add_f64 v[2:3], v[2:3], 0
	v_fma_f64 v[4:5], v[6:7], v[28:29], -v[4:5]
	v_add_f64 v[0:1], v[0:1], v[132:133]
	ds_read_b128 v[132:135], v98 offset:1760
	v_add_f64 v[2:3], v[2:3], v[4:5]
	v_mul_f64 v[4:5], v[12:13], v[26:27]
	v_fma_f64 v[4:5], v[10:11], v[30:31], -v[4:5]
	v_add_f64 v[2:3], v[2:3], v[4:5]
	v_mul_f64 v[4:5], v[16:17], v[38:39]
	s_waitcnt vmcnt(46) lgkmcnt(1)
	v_mul_f64 v[136:137], v[128:129], v[70:71]
	v_fma_f64 v[4:5], v[14:15], v[40:41], -v[4:5]
	s_waitcnt vmcnt(44)
	v_fmac_f64_e32 v[136:137], v[130:131], v[72:73]
	v_add_f64 v[2:3], v[2:3], v[4:5]
	v_mul_f64 v[4:5], v[102:103], v[34:35]
	v_add_f64 v[0:1], v[0:1], v[136:137]
	ds_read_b128 v[136:139], v98 offset:1776
	s_waitcnt lgkmcnt(1)
	v_mul_f64 v[140:141], v[132:133], v[66:67]
	v_fma_f64 v[4:5], v[100:101], v[36:37], -v[4:5]
	v_fmac_f64_e32 v[140:141], v[134:135], v[68:69]
	v_add_f64 v[2:3], v[2:3], v[4:5]
	v_mul_f64 v[4:5], v[106:107], v[46:47]
	v_add_f64 v[0:1], v[0:1], v[140:141]
	ds_read_b128 v[140:143], v98 offset:1792
	v_fma_f64 v[4:5], v[104:105], v[48:49], -v[4:5]
	v_add_f64 v[2:3], v[2:3], v[4:5]
	v_mul_f64 v[4:5], v[110:111], v[42:43]
	v_fma_f64 v[4:5], v[108:109], v[44:45], -v[4:5]
	s_waitcnt vmcnt(38) lgkmcnt(1)
	v_mul_f64 v[144:145], v[136:137], v[78:79]
	v_add_f64 v[2:3], v[2:3], v[4:5]
	v_mul_f64 v[4:5], v[114:115], v[54:55]
	s_waitcnt vmcnt(36)
	v_fmac_f64_e32 v[144:145], v[138:139], v[80:81]
	v_fma_f64 v[4:5], v[112:113], v[56:57], -v[4:5]
	v_add_f64 v[0:1], v[0:1], v[144:145]
	ds_read_b128 v[144:147], v98 offset:1808
	s_waitcnt lgkmcnt(1)
	v_mul_f64 v[152:153], v[140:141], v[74:75]
	v_add_f64 v[2:3], v[2:3], v[4:5]
	v_mul_f64 v[4:5], v[118:119], v[50:51]
	v_fmac_f64_e32 v[152:153], v[142:143], v[76:77]
	v_fma_f64 v[4:5], v[116:117], v[52:53], -v[4:5]
	v_add_f64 v[0:1], v[0:1], v[152:153]
	ds_read_b128 v[152:155], v98 offset:1824
	v_add_f64 v[2:3], v[2:3], v[4:5]
	v_mul_f64 v[4:5], v[122:123], v[62:63]
	v_fma_f64 v[4:5], v[120:121], v[64:65], -v[4:5]
	v_add_f64 v[2:3], v[2:3], v[4:5]
	v_mul_f64 v[4:5], v[126:127], v[58:59]
	s_waitcnt vmcnt(30) lgkmcnt(1)
	v_mul_f64 v[156:157], v[144:145], v[86:87]
	v_fma_f64 v[4:5], v[124:125], v[60:61], -v[4:5]
	s_waitcnt vmcnt(28)
	v_fmac_f64_e32 v[156:157], v[146:147], v[88:89]
	v_add_f64 v[2:3], v[2:3], v[4:5]
	v_mul_f64 v[4:5], v[130:131], v[70:71]
	v_add_f64 v[0:1], v[0:1], v[156:157]
	ds_read_b128 v[156:159], v98 offset:1840
	s_waitcnt lgkmcnt(1)
	v_mul_f64 v[160:161], v[152:153], v[82:83]
	v_fma_f64 v[4:5], v[128:129], v[72:73], -v[4:5]
	v_fmac_f64_e32 v[160:161], v[154:155], v[84:85]
	v_add_f64 v[2:3], v[2:3], v[4:5]
	v_mul_f64 v[4:5], v[134:135], v[66:67]
	v_add_f64 v[0:1], v[0:1], v[160:161]
	ds_read_b128 v[160:163], v98 offset:1856
	v_fma_f64 v[4:5], v[132:133], v[68:69], -v[4:5]
	v_add_f64 v[2:3], v[2:3], v[4:5]
	v_mul_f64 v[4:5], v[138:139], v[78:79]
	v_fma_f64 v[4:5], v[136:137], v[80:81], -v[4:5]
	s_waitcnt vmcnt(22) lgkmcnt(1)
	v_mul_f64 v[164:165], v[156:157], v[94:95]
	v_add_f64 v[2:3], v[2:3], v[4:5]
	v_mul_f64 v[4:5], v[142:143], v[74:75]
	s_waitcnt vmcnt(20)
	v_fmac_f64_e32 v[164:165], v[158:159], v[96:97]
	v_fma_f64 v[4:5], v[140:141], v[76:77], -v[4:5]
	v_add_f64 v[0:1], v[0:1], v[164:165]
	ds_read_b128 v[164:167], v98 offset:1872
	s_waitcnt lgkmcnt(1)
	v_mul_f64 v[168:169], v[160:161], v[90:91]
	v_add_f64 v[2:3], v[2:3], v[4:5]
	v_mul_f64 v[4:5], v[146:147], v[86:87]
	v_fmac_f64_e32 v[168:169], v[162:163], v[92:93]
	v_fma_f64 v[4:5], v[144:145], v[88:89], -v[4:5]
	v_add_f64 v[0:1], v[0:1], v[168:169]
	ds_read_b128 v[168:171], v98 offset:1888
	v_add_f64 v[2:3], v[2:3], v[4:5]
	v_mul_f64 v[4:5], v[154:155], v[82:83]
	v_fma_f64 v[4:5], v[152:153], v[84:85], -v[4:5]
	v_add_f64 v[2:3], v[2:3], v[4:5]
	v_mul_f64 v[4:5], v[158:159], v[94:95]
	s_waitcnt vmcnt(14) lgkmcnt(1)
	v_mul_f64 v[172:173], v[164:165], v[184:185]
	v_fma_f64 v[4:5], v[156:157], v[96:97], -v[4:5]
	s_waitcnt vmcnt(12)
	v_fmac_f64_e32 v[172:173], v[166:167], v[186:187]
	v_add_f64 v[2:3], v[2:3], v[4:5]
	v_mul_f64 v[4:5], v[162:163], v[90:91]
	v_add_f64 v[0:1], v[0:1], v[172:173]
	ds_read_b128 v[172:175], v98 offset:1904
	s_waitcnt lgkmcnt(1)
	v_mul_f64 v[176:177], v[168:169], v[148:149]
	v_fma_f64 v[4:5], v[160:161], v[92:93], -v[4:5]
	v_fmac_f64_e32 v[176:177], v[170:171], v[150:151]
	v_add_f64 v[2:3], v[2:3], v[4:5]
	v_mul_f64 v[4:5], v[166:167], v[184:185]
	v_add_f64 v[0:1], v[0:1], v[176:177]
	ds_read_b128 v[176:179], v98 offset:1920
	v_fma_f64 v[4:5], v[164:165], v[186:187], -v[4:5]
	v_add_f64 v[2:3], v[2:3], v[4:5]
	v_mul_f64 v[4:5], v[170:171], v[148:149]
	ds_read_b128 v[180:183], v98 offset:1936
	v_fma_f64 v[4:5], v[168:169], v[150:151], -v[4:5]
	v_add_f64 v[2:3], v[2:3], v[4:5]
	s_waitcnt vmcnt(6) lgkmcnt(2)
	v_mul_f64 v[4:5], v[174:175], v[192:193]
	s_waitcnt vmcnt(4)
	v_fma_f64 v[4:5], v[172:173], v[194:195], -v[4:5]
	v_mul_f64 v[200:201], v[172:173], v[192:193]
	v_add_f64 v[2:3], v[2:3], v[4:5]
	s_waitcnt lgkmcnt(1)
	v_mul_f64 v[4:5], v[178:179], v[188:189]
	v_fmac_f64_e32 v[200:201], v[174:175], v[194:195]
	v_mul_f64 v[98:99], v[176:177], v[188:189]
	v_fma_f64 v[4:5], v[176:177], v[190:191], -v[4:5]
	v_add_f64 v[0:1], v[0:1], v[200:201]
	v_fmac_f64_e32 v[98:99], v[178:179], v[190:191]
	v_add_f64 v[2:3], v[2:3], v[4:5]
	s_waitcnt vmcnt(2) lgkmcnt(0)
	v_mul_f64 v[4:5], v[182:183], v[196:197]
	v_add_f64 v[0:1], v[0:1], v[98:99]
	v_mul_f64 v[98:99], v[180:181], v[196:197]
	s_waitcnt vmcnt(0)
	v_fma_f64 v[4:5], v[180:181], v[198:199], -v[4:5]
	v_fmac_f64_e32 v[98:99], v[182:183], v[198:199]
	v_add_f64 v[2:3], v[2:3], v[4:5]
	v_add_f64 v[0:1], v[0:1], v[98:99]
	v_add_f64 v[2:3], v[20:21], -v[2:3]
	v_add_f64 v[0:1], v[18:19], -v[0:1]
	buffer_store_dword v3, off, s[0:3], 0 offset:596
	buffer_store_dword v2, off, s[0:3], 0 offset:592
	;; [unrolled: 1-line block ×4, first 2 shown]
	s_and_saveexec_b64 s[4:5], vcc
	s_cbranch_execz .LBB60_321
; %bb.320:
	v_accvgpr_read_b32 v0, a147
	buffer_load_dword v2, v0, s[0:3], 0 offen
	buffer_load_dword v3, v0, s[0:3], 0 offen offset:4
	buffer_load_dword v4, v0, s[0:3], 0 offen offset:8
	;; [unrolled: 1-line block ×3, first 2 shown]
	v_mov_b32_e32 v0, 0
	v_accvgpr_read_b32 v1, a183
	buffer_store_dword v0, off, s[0:3], 0 offset:576
	buffer_store_dword v0, off, s[0:3], 0 offset:580
	;; [unrolled: 1-line block ×4, first 2 shown]
	s_waitcnt vmcnt(4)
	ds_write_b128 v1, v[2:5]
.LBB60_321:
	s_or_b64 exec, exec, s[4:5]
	s_waitcnt lgkmcnt(0)
	; wave barrier
	s_waitcnt lgkmcnt(0)
	buffer_load_dword v22, off, s[0:3], 0 offset:592
	buffer_load_dword v23, off, s[0:3], 0 offset:596
	;; [unrolled: 1-line block ×64, first 2 shown]
	v_mov_b32_e32 v114, 0
	ds_read_b128 v[18:21], v114 offset:1552
	ds_read_b128 v[14:17], v114 offset:1568
	;; [unrolled: 1-line block ×5, first 2 shown]
	v_cmp_lt_u32_e32 vcc, 34, v226
	s_waitcnt vmcnt(60) lgkmcnt(4)
	v_mul_f64 v[0:1], v[18:19], v[26:27]
	v_fmac_f64_e32 v[0:1], v[20:21], v[22:23]
	v_add_f64 v[0:1], v[0:1], 0
	v_mul_f64 v[20:21], v[20:21], v[26:27]
	s_waitcnt vmcnt(56) lgkmcnt(3)
	v_mul_f64 v[86:87], v[14:15], v[28:29]
	v_fmac_f64_e32 v[86:87], v[16:17], v[24:25]
	s_waitcnt vmcnt(54) lgkmcnt(2)
	v_mul_f64 v[88:89], v[10:11], v[30:31]
	v_add_f64 v[0:1], v[0:1], v[86:87]
	v_fma_f64 v[18:19], v[18:19], v[22:23], -v[20:21]
	v_mul_f64 v[16:17], v[16:17], v[28:29]
	s_waitcnt vmcnt(50) lgkmcnt(1)
	v_mul_f64 v[102:103], v[6:7], v[40:41]
	v_add_f64 v[18:19], v[18:19], 0
	s_waitcnt vmcnt(48)
	v_fmac_f64_e32 v[88:89], v[12:13], v[44:45]
	v_add_f64 v[0:1], v[0:1], v[88:89]
	buffer_load_dword v87, off, s[0:3], 0 offset:860
	buffer_load_dword v86, off, s[0:3], 0 offset:856
	;; [unrolled: 1-line block ×40, first 2 shown]
	s_waitcnt vmcnt(62)
	v_fmac_f64_e32 v[102:103], v[8:9], v[42:43]
	v_add_f64 v[0:1], v[0:1], v[102:103]
	ds_read_b128 v[102:105], v114 offset:1632
	s_waitcnt lgkmcnt(1)
	v_mul_f64 v[106:107], v[2:3], v[36:37]
	v_fmac_f64_e32 v[106:107], v[4:5], v[38:39]
	v_add_f64 v[0:1], v[0:1], v[106:107]
	ds_read_b128 v[106:109], v114 offset:1648
	s_waitcnt lgkmcnt(1)
	v_mul_f64 v[110:111], v[102:103], v[50:51]
	;; [unrolled: 5-line block ×5, first 2 shown]
	v_fmac_f64_e32 v[124:125], v[118:119], v[56:57]
	v_add_f64 v[0:1], v[0:1], v[124:125]
	ds_read_b128 v[124:127], v114 offset:1712
	s_waitcnt vmcnt(58) lgkmcnt(1)
	v_mul_f64 v[128:129], v[120:121], v[66:67]
	s_waitcnt vmcnt(56)
	v_fmac_f64_e32 v[128:129], v[122:123], v[68:69]
	v_add_f64 v[0:1], v[0:1], v[128:129]
	ds_read_b128 v[128:131], v114 offset:1728
	s_waitcnt lgkmcnt(1)
	v_mul_f64 v[132:133], v[124:125], v[62:63]
	v_fmac_f64_e32 v[132:133], v[126:127], v[64:65]
	v_add_f64 v[0:1], v[0:1], v[132:133]
	ds_read_b128 v[132:135], v114 offset:1744
	s_waitcnt vmcnt(50) lgkmcnt(1)
	v_mul_f64 v[136:137], v[128:129], v[74:75]
	s_waitcnt vmcnt(48)
	v_fmac_f64_e32 v[136:137], v[130:131], v[76:77]
	v_add_f64 v[0:1], v[0:1], v[136:137]
	ds_read_b128 v[136:139], v114 offset:1760
	v_fma_f64 v[14:15], v[14:15], v[24:25], -v[16:17]
	v_mul_f64 v[12:13], v[12:13], v[30:31]
	v_add_f64 v[14:15], v[18:19], v[14:15]
	v_fma_f64 v[10:11], v[10:11], v[44:45], -v[12:13]
	v_mul_f64 v[8:9], v[8:9], v[40:41]
	s_waitcnt lgkmcnt(1)
	v_mul_f64 v[140:141], v[132:133], v[70:71]
	v_add_f64 v[10:11], v[14:15], v[10:11]
	v_fma_f64 v[6:7], v[6:7], v[42:43], -v[8:9]
	v_mul_f64 v[4:5], v[4:5], v[36:37]
	v_fmac_f64_e32 v[140:141], v[134:135], v[72:73]
	v_add_f64 v[6:7], v[10:11], v[6:7]
	v_fma_f64 v[2:3], v[2:3], v[38:39], -v[4:5]
	v_mul_f64 v[4:5], v[104:105], v[50:51]
	v_add_f64 v[0:1], v[0:1], v[140:141]
	ds_read_b128 v[140:143], v114 offset:1776
	s_waitcnt vmcnt(42) lgkmcnt(1)
	v_mul_f64 v[144:145], v[136:137], v[82:83]
	v_add_f64 v[2:3], v[6:7], v[2:3]
	v_fma_f64 v[4:5], v[102:103], v[52:53], -v[4:5]
	s_waitcnt vmcnt(40)
	v_fmac_f64_e32 v[144:145], v[138:139], v[84:85]
	v_add_f64 v[2:3], v[2:3], v[4:5]
	v_mul_f64 v[4:5], v[108:109], v[46:47]
	v_add_f64 v[0:1], v[0:1], v[144:145]
	ds_read_b128 v[144:147], v114 offset:1792
	v_fma_f64 v[4:5], v[106:107], v[48:49], -v[4:5]
	v_add_f64 v[2:3], v[2:3], v[4:5]
	v_mul_f64 v[4:5], v[112:113], v[58:59]
	v_fma_f64 v[4:5], v[110:111], v[60:61], -v[4:5]
	s_waitcnt lgkmcnt(1)
	v_mul_f64 v[152:153], v[140:141], v[78:79]
	v_add_f64 v[2:3], v[2:3], v[4:5]
	v_mul_f64 v[4:5], v[118:119], v[54:55]
	v_fmac_f64_e32 v[152:153], v[142:143], v[80:81]
	v_fma_f64 v[4:5], v[116:117], v[56:57], -v[4:5]
	v_add_f64 v[0:1], v[0:1], v[152:153]
	ds_read_b128 v[152:155], v114 offset:1808
	s_waitcnt vmcnt(34) lgkmcnt(1)
	v_mul_f64 v[156:157], v[144:145], v[90:91]
	v_add_f64 v[2:3], v[2:3], v[4:5]
	v_mul_f64 v[4:5], v[122:123], v[66:67]
	s_waitcnt vmcnt(32)
	v_fmac_f64_e32 v[156:157], v[146:147], v[92:93]
	v_fma_f64 v[4:5], v[120:121], v[68:69], -v[4:5]
	v_add_f64 v[0:1], v[0:1], v[156:157]
	ds_read_b128 v[156:159], v114 offset:1824
	v_add_f64 v[2:3], v[2:3], v[4:5]
	v_mul_f64 v[4:5], v[126:127], v[62:63]
	v_fma_f64 v[4:5], v[124:125], v[64:65], -v[4:5]
	v_add_f64 v[2:3], v[2:3], v[4:5]
	v_mul_f64 v[4:5], v[130:131], v[74:75]
	s_waitcnt lgkmcnt(1)
	v_mul_f64 v[160:161], v[152:153], v[86:87]
	v_fma_f64 v[4:5], v[128:129], v[76:77], -v[4:5]
	v_fmac_f64_e32 v[160:161], v[154:155], v[88:89]
	v_add_f64 v[2:3], v[2:3], v[4:5]
	v_mul_f64 v[4:5], v[134:135], v[70:71]
	v_add_f64 v[0:1], v[0:1], v[160:161]
	ds_read_b128 v[160:163], v114 offset:1840
	s_waitcnt vmcnt(26) lgkmcnt(1)
	v_mul_f64 v[164:165], v[156:157], v[98:99]
	v_fma_f64 v[4:5], v[132:133], v[72:73], -v[4:5]
	s_waitcnt vmcnt(24)
	v_fmac_f64_e32 v[164:165], v[158:159], v[100:101]
	v_add_f64 v[2:3], v[2:3], v[4:5]
	v_mul_f64 v[4:5], v[138:139], v[82:83]
	v_add_f64 v[0:1], v[0:1], v[164:165]
	ds_read_b128 v[164:167], v114 offset:1856
	v_fma_f64 v[4:5], v[136:137], v[84:85], -v[4:5]
	v_add_f64 v[2:3], v[2:3], v[4:5]
	v_mul_f64 v[4:5], v[142:143], v[78:79]
	v_fma_f64 v[4:5], v[140:141], v[80:81], -v[4:5]
	s_waitcnt lgkmcnt(1)
	v_mul_f64 v[168:169], v[160:161], v[94:95]
	v_add_f64 v[2:3], v[2:3], v[4:5]
	v_mul_f64 v[4:5], v[146:147], v[90:91]
	v_fmac_f64_e32 v[168:169], v[162:163], v[96:97]
	v_fma_f64 v[4:5], v[144:145], v[92:93], -v[4:5]
	v_add_f64 v[0:1], v[0:1], v[168:169]
	ds_read_b128 v[168:171], v114 offset:1872
	s_waitcnt vmcnt(18) lgkmcnt(1)
	v_mul_f64 v[172:173], v[164:165], v[188:189]
	v_add_f64 v[2:3], v[2:3], v[4:5]
	v_mul_f64 v[4:5], v[154:155], v[86:87]
	s_waitcnt vmcnt(16)
	v_fmac_f64_e32 v[172:173], v[166:167], v[190:191]
	v_fma_f64 v[4:5], v[152:153], v[88:89], -v[4:5]
	v_add_f64 v[0:1], v[0:1], v[172:173]
	ds_read_b128 v[172:175], v114 offset:1888
	v_add_f64 v[2:3], v[2:3], v[4:5]
	v_mul_f64 v[4:5], v[158:159], v[98:99]
	v_fma_f64 v[4:5], v[156:157], v[100:101], -v[4:5]
	v_add_f64 v[2:3], v[2:3], v[4:5]
	v_mul_f64 v[4:5], v[162:163], v[94:95]
	s_waitcnt lgkmcnt(1)
	v_mul_f64 v[176:177], v[168:169], v[148:149]
	v_fma_f64 v[4:5], v[160:161], v[96:97], -v[4:5]
	v_fmac_f64_e32 v[176:177], v[170:171], v[150:151]
	v_add_f64 v[2:3], v[2:3], v[4:5]
	v_mul_f64 v[4:5], v[166:167], v[188:189]
	v_add_f64 v[0:1], v[0:1], v[176:177]
	ds_read_b128 v[176:179], v114 offset:1904
	s_waitcnt vmcnt(10) lgkmcnt(1)
	v_mul_f64 v[180:181], v[172:173], v[196:197]
	v_fma_f64 v[4:5], v[164:165], v[190:191], -v[4:5]
	s_waitcnt vmcnt(8)
	v_fmac_f64_e32 v[180:181], v[174:175], v[198:199]
	v_add_f64 v[2:3], v[2:3], v[4:5]
	v_mul_f64 v[4:5], v[170:171], v[148:149]
	v_add_f64 v[0:1], v[0:1], v[180:181]
	ds_read_b128 v[180:183], v114 offset:1920
	ds_read_b128 v[184:187], v114 offset:1936
	v_fma_f64 v[4:5], v[168:169], v[150:151], -v[4:5]
	v_add_f64 v[2:3], v[2:3], v[4:5]
	v_mul_f64 v[4:5], v[174:175], v[196:197]
	v_fma_f64 v[4:5], v[172:173], v[198:199], -v[4:5]
	v_add_f64 v[2:3], v[2:3], v[4:5]
	s_waitcnt lgkmcnt(2)
	v_mul_f64 v[4:5], v[178:179], v[192:193]
	v_mul_f64 v[208:209], v[176:177], v[192:193]
	v_fma_f64 v[4:5], v[176:177], v[194:195], -v[4:5]
	v_fmac_f64_e32 v[208:209], v[178:179], v[194:195]
	v_add_f64 v[2:3], v[2:3], v[4:5]
	s_waitcnt vmcnt(2) lgkmcnt(1)
	v_mul_f64 v[4:5], v[182:183], v[204:205]
	v_add_f64 v[0:1], v[0:1], v[208:209]
	v_mul_f64 v[208:209], v[180:181], v[204:205]
	s_waitcnt vmcnt(0)
	v_fma_f64 v[4:5], v[180:181], v[206:207], -v[4:5]
	v_fmac_f64_e32 v[208:209], v[182:183], v[206:207]
	v_add_f64 v[2:3], v[2:3], v[4:5]
	s_waitcnt lgkmcnt(0)
	v_mul_f64 v[4:5], v[186:187], v[200:201]
	v_add_f64 v[0:1], v[0:1], v[208:209]
	v_mul_f64 v[208:209], v[184:185], v[200:201]
	v_fma_f64 v[4:5], v[184:185], v[202:203], -v[4:5]
	v_fmac_f64_e32 v[208:209], v[186:187], v[202:203]
	v_add_f64 v[2:3], v[2:3], v[4:5]
	v_add_f64 v[0:1], v[0:1], v[208:209]
	v_add_f64 v[2:3], v[34:35], -v[2:3]
	v_add_f64 v[0:1], v[32:33], -v[0:1]
	buffer_store_dword v3, off, s[0:3], 0 offset:580
	buffer_store_dword v2, off, s[0:3], 0 offset:576
	;; [unrolled: 1-line block ×4, first 2 shown]
	s_and_saveexec_b64 s[4:5], vcc
	s_cbranch_execz .LBB60_323
; %bb.322:
	v_accvgpr_read_b32 v0, a148
	buffer_load_dword v2, v0, s[0:3], 0 offen
	buffer_load_dword v3, v0, s[0:3], 0 offen offset:4
	buffer_load_dword v4, v0, s[0:3], 0 offen offset:8
	;; [unrolled: 1-line block ×3, first 2 shown]
	v_accvgpr_read_b32 v0, a183
	buffer_store_dword v114, off, s[0:3], 0 offset:560
	buffer_store_dword v114, off, s[0:3], 0 offset:564
	;; [unrolled: 1-line block ×4, first 2 shown]
	s_waitcnt vmcnt(4)
	ds_write_b128 v0, v[2:5]
.LBB60_323:
	s_or_b64 exec, exec, s[4:5]
	s_waitcnt lgkmcnt(0)
	; wave barrier
	s_waitcnt lgkmcnt(0)
	buffer_load_dword v26, off, s[0:3], 0 offset:576
	buffer_load_dword v27, off, s[0:3], 0 offset:580
	;; [unrolled: 1-line block ×24, first 2 shown]
	ds_read_b128 v[22:25], v114 offset:1536
	ds_read_b128 v[18:21], v114 offset:1552
	;; [unrolled: 1-line block ×6, first 2 shown]
	buffer_load_dword v51, off, s[0:3], 0 offset:684
	buffer_load_dword v50, off, s[0:3], 0 offset:680
	;; [unrolled: 1-line block ×40, first 2 shown]
	v_cmp_lt_u32_e32 vcc, 33, v226
	s_waitcnt vmcnt(34) lgkmcnt(0)
	v_mul_f64 v[120:121], v[14:15], v[54:55]
	s_waitcnt vmcnt(32)
	v_fmac_f64_e32 v[120:121], v[16:17], v[56:57]
	v_mul_f64 v[0:1], v[22:23], v[28:29]
	v_fmac_f64_e32 v[0:1], v[24:25], v[26:27]
	v_mul_f64 v[90:91], v[18:19], v[30:31]
	v_add_f64 v[0:1], v[0:1], 0
	v_mul_f64 v[92:93], v[10:11], v[32:33]
	v_mul_f64 v[24:25], v[24:25], v[28:29]
	;; [unrolled: 1-line block ×3, first 2 shown]
	v_fma_f64 v[22:23], v[22:23], v[26:27], -v[24:25]
	v_add_f64 v[22:23], v[22:23], 0
	v_mul_f64 v[94:95], v[6:7], v[42:43]
	v_fmac_f64_e32 v[90:91], v[20:21], v[48:49]
	v_add_f64 v[0:1], v[0:1], v[90:91]
	v_fmac_f64_e32 v[92:93], v[12:13], v[46:47]
	v_add_f64 v[0:1], v[0:1], v[92:93]
	;; [unrolled: 2-line block ×3, first 2 shown]
	buffer_load_dword v91, off, s[0:3], 0 offset:844
	buffer_load_dword v90, off, s[0:3], 0 offset:840
	buffer_load_dword v93, off, s[0:3], 0 offset:836
	buffer_load_dword v92, off, s[0:3], 0 offset:832
	buffer_load_dword v95, off, s[0:3], 0 offset:828
	buffer_load_dword v94, off, s[0:3], 0 offset:824
	buffer_load_dword v97, off, s[0:3], 0 offset:820
	buffer_load_dword v96, off, s[0:3], 0 offset:816
	buffer_load_dword v99, off, s[0:3], 0 offset:876
	buffer_load_dword v98, off, s[0:3], 0 offset:872
	buffer_load_dword v101, off, s[0:3], 0 offset:868
	buffer_load_dword v100, off, s[0:3], 0 offset:864
	buffer_load_dword v103, off, s[0:3], 0 offset:860
	buffer_load_dword v102, off, s[0:3], 0 offset:856
	buffer_load_dword v105, off, s[0:3], 0 offset:852
	buffer_load_dword v104, off, s[0:3], 0 offset:848
	buffer_load_dword v107, off, s[0:3], 0 offset:908
	buffer_load_dword v106, off, s[0:3], 0 offset:904
	buffer_load_dword v109, off, s[0:3], 0 offset:900
	buffer_load_dword v108, off, s[0:3], 0 offset:896
	buffer_load_dword v111, off, s[0:3], 0 offset:892
	buffer_load_dword v110, off, s[0:3], 0 offset:888
	buffer_load_dword v113, off, s[0:3], 0 offset:884
	buffer_load_dword v112, off, s[0:3], 0 offset:880
	buffer_load_dword v149, off, s[0:3], 0 offset:940
	buffer_load_dword v148, off, s[0:3], 0 offset:936
	buffer_load_dword v151, off, s[0:3], 0 offset:932
	buffer_load_dword v150, off, s[0:3], 0 offset:928
	buffer_load_dword v201, off, s[0:3], 0 offset:924
	buffer_load_dword v200, off, s[0:3], 0 offset:920
	buffer_load_dword v203, off, s[0:3], 0 offset:916
	buffer_load_dword v202, off, s[0:3], 0 offset:912
	buffer_load_dword v205, off, s[0:3], 0 offset:972
	buffer_load_dword v204, off, s[0:3], 0 offset:968
	buffer_load_dword v207, off, s[0:3], 0 offset:964
	buffer_load_dword v206, off, s[0:3], 0 offset:960
	buffer_load_dword v209, off, s[0:3], 0 offset:956
	buffer_load_dword v208, off, s[0:3], 0 offset:952
	buffer_load_dword v211, off, s[0:3], 0 offset:948
	buffer_load_dword v210, off, s[0:3], 0 offset:944
	v_fmac_f64_e32 v[116:117], v[4:5], v[40:41]
	v_add_f64 v[0:1], v[0:1], v[116:117]
	ds_read_b128 v[116:119], v114 offset:1632
	buffer_load_dword v213, off, s[0:3], 0 offset:988
	buffer_load_dword v212, off, s[0:3], 0 offset:984
	;; [unrolled: 1-line block ×4, first 2 shown]
	v_add_f64 v[0:1], v[0:1], v[120:121]
	ds_read_b128 v[120:123], v114 offset:1648
	v_mul_f64 v[20:21], v[20:21], v[30:31]
	s_waitcnt lgkmcnt(1)
	v_mul_f64 v[124:125], v[116:117], v[50:51]
	v_fmac_f64_e32 v[124:125], v[118:119], v[52:53]
	v_add_f64 v[0:1], v[0:1], v[124:125]
	ds_read_b128 v[124:127], v114 offset:1664
	s_waitcnt vmcnt(62) lgkmcnt(1)
	v_mul_f64 v[128:129], v[120:121], v[62:63]
	v_fmac_f64_e32 v[128:129], v[122:123], v[64:65]
	v_add_f64 v[0:1], v[0:1], v[128:129]
	ds_read_b128 v[128:131], v114 offset:1680
	s_waitcnt lgkmcnt(1)
	v_mul_f64 v[132:133], v[124:125], v[58:59]
	v_fmac_f64_e32 v[132:133], v[126:127], v[60:61]
	v_add_f64 v[0:1], v[0:1], v[132:133]
	ds_read_b128 v[132:135], v114 offset:1696
	s_waitcnt lgkmcnt(1)
	v_mul_f64 v[136:137], v[128:129], v[70:71]
	s_waitcnt vmcnt(60)
	v_fmac_f64_e32 v[136:137], v[130:131], v[72:73]
	v_add_f64 v[0:1], v[0:1], v[136:137]
	ds_read_b128 v[136:139], v114 offset:1712
	s_waitcnt lgkmcnt(1)
	v_mul_f64 v[140:141], v[132:133], v[66:67]
	v_fmac_f64_e32 v[140:141], v[134:135], v[68:69]
	v_add_f64 v[0:1], v[0:1], v[140:141]
	ds_read_b128 v[140:143], v114 offset:1728
	s_waitcnt vmcnt(54) lgkmcnt(1)
	v_mul_f64 v[144:145], v[136:137], v[78:79]
	s_waitcnt vmcnt(52)
	v_fmac_f64_e32 v[144:145], v[138:139], v[80:81]
	v_add_f64 v[0:1], v[0:1], v[144:145]
	ds_read_b128 v[144:147], v114 offset:1744
	s_waitcnt lgkmcnt(1)
	v_mul_f64 v[152:153], v[140:141], v[74:75]
	v_fmac_f64_e32 v[152:153], v[142:143], v[76:77]
	v_fma_f64 v[18:19], v[18:19], v[48:49], -v[20:21]
	v_mul_f64 v[12:13], v[12:13], v[32:33]
	v_add_f64 v[0:1], v[0:1], v[152:153]
	ds_read_b128 v[152:155], v114 offset:1760
	v_add_f64 v[18:19], v[22:23], v[18:19]
	v_fma_f64 v[10:11], v[10:11], v[46:47], -v[12:13]
	v_mul_f64 v[8:9], v[8:9], v[42:43]
	v_add_f64 v[10:11], v[18:19], v[10:11]
	v_fma_f64 v[6:7], v[6:7], v[44:45], -v[8:9]
	v_mul_f64 v[4:5], v[4:5], v[38:39]
	;; [unrolled: 3-line block ×3, first 2 shown]
	s_waitcnt vmcnt(46) lgkmcnt(1)
	v_mul_f64 v[156:157], v[144:145], v[86:87]
	v_add_f64 v[2:3], v[6:7], v[2:3]
	v_fma_f64 v[4:5], v[14:15], v[56:57], -v[4:5]
	s_waitcnt vmcnt(44)
	v_fmac_f64_e32 v[156:157], v[146:147], v[88:89]
	v_add_f64 v[2:3], v[2:3], v[4:5]
	v_mul_f64 v[4:5], v[118:119], v[50:51]
	v_add_f64 v[0:1], v[0:1], v[156:157]
	ds_read_b128 v[156:159], v114 offset:1776
	s_waitcnt lgkmcnt(1)
	v_mul_f64 v[160:161], v[152:153], v[82:83]
	v_fma_f64 v[4:5], v[116:117], v[52:53], -v[4:5]
	v_fmac_f64_e32 v[160:161], v[154:155], v[84:85]
	v_add_f64 v[2:3], v[2:3], v[4:5]
	v_mul_f64 v[4:5], v[122:123], v[62:63]
	v_add_f64 v[0:1], v[0:1], v[160:161]
	ds_read_b128 v[160:163], v114 offset:1792
	v_fma_f64 v[4:5], v[120:121], v[64:65], -v[4:5]
	v_add_f64 v[2:3], v[2:3], v[4:5]
	v_mul_f64 v[4:5], v[126:127], v[58:59]
	v_fma_f64 v[4:5], v[124:125], v[60:61], -v[4:5]
	s_waitcnt vmcnt(38) lgkmcnt(1)
	v_mul_f64 v[164:165], v[156:157], v[94:95]
	v_add_f64 v[2:3], v[2:3], v[4:5]
	v_mul_f64 v[4:5], v[130:131], v[70:71]
	s_waitcnt vmcnt(36)
	v_fmac_f64_e32 v[164:165], v[158:159], v[96:97]
	v_fma_f64 v[4:5], v[128:129], v[72:73], -v[4:5]
	v_add_f64 v[0:1], v[0:1], v[164:165]
	ds_read_b128 v[164:167], v114 offset:1808
	s_waitcnt lgkmcnt(1)
	v_mul_f64 v[168:169], v[160:161], v[90:91]
	v_add_f64 v[2:3], v[2:3], v[4:5]
	v_mul_f64 v[4:5], v[134:135], v[66:67]
	v_fmac_f64_e32 v[168:169], v[162:163], v[92:93]
	v_fma_f64 v[4:5], v[132:133], v[68:69], -v[4:5]
	v_add_f64 v[0:1], v[0:1], v[168:169]
	ds_read_b128 v[168:171], v114 offset:1824
	v_add_f64 v[2:3], v[2:3], v[4:5]
	v_mul_f64 v[4:5], v[138:139], v[78:79]
	v_fma_f64 v[4:5], v[136:137], v[80:81], -v[4:5]
	v_add_f64 v[2:3], v[2:3], v[4:5]
	v_mul_f64 v[4:5], v[142:143], v[74:75]
	s_waitcnt vmcnt(30) lgkmcnt(1)
	v_mul_f64 v[172:173], v[164:165], v[102:103]
	v_fma_f64 v[4:5], v[140:141], v[76:77], -v[4:5]
	s_waitcnt vmcnt(28)
	v_fmac_f64_e32 v[172:173], v[166:167], v[104:105]
	v_add_f64 v[2:3], v[2:3], v[4:5]
	v_mul_f64 v[4:5], v[146:147], v[86:87]
	v_add_f64 v[0:1], v[0:1], v[172:173]
	ds_read_b128 v[172:175], v114 offset:1840
	s_waitcnt lgkmcnt(1)
	v_mul_f64 v[176:177], v[168:169], v[98:99]
	v_fma_f64 v[4:5], v[144:145], v[88:89], -v[4:5]
	v_fmac_f64_e32 v[176:177], v[170:171], v[100:101]
	v_add_f64 v[2:3], v[2:3], v[4:5]
	v_mul_f64 v[4:5], v[154:155], v[82:83]
	v_add_f64 v[0:1], v[0:1], v[176:177]
	ds_read_b128 v[176:179], v114 offset:1856
	v_fma_f64 v[4:5], v[152:153], v[84:85], -v[4:5]
	v_add_f64 v[2:3], v[2:3], v[4:5]
	v_mul_f64 v[4:5], v[158:159], v[94:95]
	v_fma_f64 v[4:5], v[156:157], v[96:97], -v[4:5]
	s_waitcnt vmcnt(22) lgkmcnt(1)
	v_mul_f64 v[180:181], v[172:173], v[110:111]
	v_add_f64 v[2:3], v[2:3], v[4:5]
	v_mul_f64 v[4:5], v[162:163], v[90:91]
	s_waitcnt vmcnt(20)
	v_fmac_f64_e32 v[180:181], v[174:175], v[112:113]
	v_fma_f64 v[4:5], v[160:161], v[92:93], -v[4:5]
	v_add_f64 v[0:1], v[0:1], v[180:181]
	ds_read_b128 v[180:183], v114 offset:1872
	s_waitcnt lgkmcnt(1)
	v_mul_f64 v[184:185], v[176:177], v[106:107]
	v_add_f64 v[2:3], v[2:3], v[4:5]
	v_mul_f64 v[4:5], v[166:167], v[102:103]
	v_fmac_f64_e32 v[184:185], v[178:179], v[108:109]
	v_fma_f64 v[4:5], v[164:165], v[104:105], -v[4:5]
	v_add_f64 v[0:1], v[0:1], v[184:185]
	ds_read_b128 v[184:187], v114 offset:1888
	v_add_f64 v[2:3], v[2:3], v[4:5]
	v_mul_f64 v[4:5], v[170:171], v[98:99]
	v_fma_f64 v[4:5], v[168:169], v[100:101], -v[4:5]
	v_add_f64 v[2:3], v[2:3], v[4:5]
	v_mul_f64 v[4:5], v[174:175], v[110:111]
	s_waitcnt vmcnt(14) lgkmcnt(1)
	v_mul_f64 v[188:189], v[180:181], v[200:201]
	v_fma_f64 v[4:5], v[172:173], v[112:113], -v[4:5]
	s_waitcnt vmcnt(12)
	v_fmac_f64_e32 v[188:189], v[182:183], v[202:203]
	v_add_f64 v[2:3], v[2:3], v[4:5]
	v_mul_f64 v[4:5], v[178:179], v[106:107]
	v_add_f64 v[0:1], v[0:1], v[188:189]
	ds_read_b128 v[188:191], v114 offset:1904
	s_waitcnt lgkmcnt(1)
	v_mul_f64 v[192:193], v[184:185], v[148:149]
	v_fma_f64 v[4:5], v[176:177], v[108:109], -v[4:5]
	v_fmac_f64_e32 v[192:193], v[186:187], v[150:151]
	v_add_f64 v[2:3], v[2:3], v[4:5]
	v_mul_f64 v[4:5], v[182:183], v[200:201]
	v_add_f64 v[0:1], v[0:1], v[192:193]
	ds_read_b128 v[192:195], v114 offset:1920
	v_fma_f64 v[4:5], v[180:181], v[202:203], -v[4:5]
	v_add_f64 v[2:3], v[2:3], v[4:5]
	v_mul_f64 v[4:5], v[186:187], v[148:149]
	ds_read_b128 v[196:199], v114 offset:1936
	v_fma_f64 v[4:5], v[184:185], v[150:151], -v[4:5]
	v_add_f64 v[2:3], v[2:3], v[4:5]
	s_waitcnt vmcnt(6) lgkmcnt(2)
	v_mul_f64 v[4:5], v[190:191], v[208:209]
	s_waitcnt vmcnt(4)
	v_fma_f64 v[4:5], v[188:189], v[210:211], -v[4:5]
	v_mul_f64 v[216:217], v[188:189], v[208:209]
	v_add_f64 v[2:3], v[2:3], v[4:5]
	s_waitcnt lgkmcnt(1)
	v_mul_f64 v[4:5], v[194:195], v[204:205]
	v_fmac_f64_e32 v[216:217], v[190:191], v[210:211]
	v_mul_f64 v[114:115], v[192:193], v[204:205]
	v_fma_f64 v[4:5], v[192:193], v[206:207], -v[4:5]
	v_add_f64 v[0:1], v[0:1], v[216:217]
	v_fmac_f64_e32 v[114:115], v[194:195], v[206:207]
	v_add_f64 v[2:3], v[2:3], v[4:5]
	s_waitcnt vmcnt(2) lgkmcnt(0)
	v_mul_f64 v[4:5], v[198:199], v[212:213]
	v_add_f64 v[0:1], v[0:1], v[114:115]
	v_mul_f64 v[114:115], v[196:197], v[212:213]
	s_waitcnt vmcnt(0)
	v_fma_f64 v[4:5], v[196:197], v[214:215], -v[4:5]
	v_fmac_f64_e32 v[114:115], v[198:199], v[214:215]
	v_add_f64 v[2:3], v[2:3], v[4:5]
	v_add_f64 v[0:1], v[0:1], v[114:115]
	v_add_f64 v[2:3], v[36:37], -v[2:3]
	v_add_f64 v[0:1], v[34:35], -v[0:1]
	buffer_store_dword v3, off, s[0:3], 0 offset:564
	buffer_store_dword v2, off, s[0:3], 0 offset:560
	;; [unrolled: 1-line block ×4, first 2 shown]
	s_and_saveexec_b64 s[4:5], vcc
	s_cbranch_execz .LBB60_325
; %bb.324:
	v_accvgpr_read_b32 v0, a149
	buffer_load_dword v2, v0, s[0:3], 0 offen
	buffer_load_dword v3, v0, s[0:3], 0 offen offset:4
	buffer_load_dword v4, v0, s[0:3], 0 offen offset:8
	;; [unrolled: 1-line block ×3, first 2 shown]
	v_mov_b32_e32 v0, 0
	v_accvgpr_read_b32 v1, a183
	buffer_store_dword v0, off, s[0:3], 0 offset:544
	buffer_store_dword v0, off, s[0:3], 0 offset:548
	;; [unrolled: 1-line block ×4, first 2 shown]
	s_waitcnt vmcnt(4)
	ds_write_b128 v1, v[2:5]
.LBB60_325:
	s_or_b64 exec, exec, s[4:5]
	s_waitcnt lgkmcnt(0)
	; wave barrier
	s_waitcnt lgkmcnt(0)
	buffer_load_dword v30, off, s[0:3], 0 offset:560
	buffer_load_dword v31, off, s[0:3], 0 offset:564
	;; [unrolled: 1-line block ×56, first 2 shown]
	v_mov_b32_e32 v134, 0
	ds_read_b128 v[26:29], v134 offset:1520
	ds_read_b128 v[22:25], v134 offset:1536
	ds_read_b128 v[18:21], v134 offset:1552
	ds_read_b128 v[14:17], v134 offset:1568
	ds_read_b128 v[10:13], v134 offset:1584
	ds_read_b128 v[6:9], v134 offset:1600
	ds_read_b128 v[2:5], v134 offset:1616
	v_accvgpr_write_b32 a182, v226
	v_cmp_lt_u32_e32 vcc, 32, v226
	s_waitcnt vmcnt(52) lgkmcnt(6)
	v_mul_f64 v[0:1], v[26:27], v[34:35]
	v_fmac_f64_e32 v[0:1], v[28:29], v[30:31]
	v_add_f64 v[0:1], v[0:1], 0
	v_mul_f64 v[28:29], v[28:29], v[34:35]
	s_waitcnt vmcnt(48) lgkmcnt(5)
	v_mul_f64 v[86:87], v[22:23], v[36:37]
	v_fmac_f64_e32 v[86:87], v[24:25], v[32:33]
	s_waitcnt vmcnt(46) lgkmcnt(4)
	v_mul_f64 v[88:89], v[18:19], v[38:39]
	v_add_f64 v[0:1], v[0:1], v[86:87]
	s_waitcnt vmcnt(44) lgkmcnt(2)
	v_mul_f64 v[92:93], v[10:11], v[40:41]
	v_fma_f64 v[26:27], v[26:27], v[30:31], -v[28:29]
	s_waitcnt vmcnt(42)
	v_fmac_f64_e32 v[92:93], v[12:13], v[42:43]
	v_mul_f64 v[24:25], v[24:25], v[36:37]
	s_waitcnt vmcnt(40)
	v_mul_f64 v[90:91], v[14:15], v[48:49]
	v_add_f64 v[26:27], v[26:27], 0
	v_fma_f64 v[22:23], v[22:23], v[32:33], -v[24:25]
	v_add_f64 v[22:23], v[26:27], v[22:23]
	s_waitcnt vmcnt(36) lgkmcnt(1)
	v_mul_f64 v[110:111], v[6:7], v[54:55]
	v_mul_f64 v[12:13], v[12:13], v[40:41]
	s_waitcnt vmcnt(34)
	v_fmac_f64_e32 v[88:89], v[20:21], v[60:61]
	v_add_f64 v[0:1], v[0:1], v[88:89]
	s_waitcnt vmcnt(32)
	v_fmac_f64_e32 v[90:91], v[16:17], v[58:59]
	v_add_f64 v[0:1], v[0:1], v[90:91]
	v_add_f64 v[116:117], v[0:1], v[92:93]
	buffer_load_dword v87, off, s[0:3], 0 offset:796
	buffer_load_dword v86, off, s[0:3], 0 offset:792
	;; [unrolled: 1-line block ×56, first 2 shown]
	ds_read_b128 v[124:127], v134 offset:1632
	ds_read_b128 v[128:131], v134 offset:1648
	v_mul_f64 v[20:21], v[20:21], v[38:39]
	v_fma_f64 v[18:19], v[18:19], v[60:61], -v[20:21]
	v_mul_f64 v[16:17], v[16:17], v[48:49]
	s_waitcnt vmcnt(62)
	v_fmac_f64_e32 v[110:111], v[8:9], v[56:57]
	v_add_f64 v[18:19], v[22:23], v[18:19]
	v_fma_f64 v[14:15], v[14:15], v[58:59], -v[16:17]
	v_add_f64 v[110:111], v[116:117], v[110:111]
	s_waitcnt lgkmcnt(2)
	v_mul_f64 v[116:117], v[2:3], v[50:51]
	v_add_f64 v[14:15], v[18:19], v[14:15]
	v_fma_f64 v[10:11], v[10:11], v[42:43], -v[12:13]
	v_mul_f64 v[8:9], v[8:9], v[54:55]
	v_fmac_f64_e32 v[116:117], v[4:5], v[52:53]
	ds_read_b128 v[136:139], v134 offset:1664
	ds_read_b128 v[140:143], v134 offset:1680
	v_add_f64 v[10:11], v[14:15], v[10:11]
	v_fma_f64 v[6:7], v[6:7], v[56:57], -v[8:9]
	v_mul_f64 v[4:5], v[4:5], v[50:51]
	v_add_f64 v[110:111], v[110:111], v[116:117]
	s_waitcnt lgkmcnt(3)
	v_mul_f64 v[116:117], v[124:125], v[66:67]
	v_add_f64 v[6:7], v[10:11], v[6:7]
	v_fma_f64 v[2:3], v[2:3], v[52:53], -v[4:5]
	v_mul_f64 v[4:5], v[126:127], v[66:67]
	v_fmac_f64_e32 v[116:117], v[126:127], v[68:69]
	v_add_f64 v[2:3], v[6:7], v[2:3]
	v_fma_f64 v[4:5], v[124:125], v[68:69], -v[4:5]
	v_add_f64 v[110:111], v[110:111], v[116:117]
	s_waitcnt lgkmcnt(2)
	v_mul_f64 v[116:117], v[128:129], v[62:63]
	v_add_f64 v[2:3], v[2:3], v[4:5]
	v_mul_f64 v[4:5], v[130:131], v[62:63]
	v_fmac_f64_e32 v[116:117], v[130:131], v[64:65]
	ds_read_b128 v[144:147], v134 offset:1696
	ds_read_b128 v[152:155], v134 offset:1712
	v_fma_f64 v[4:5], v[128:129], v[64:65], -v[4:5]
	v_add_f64 v[110:111], v[110:111], v[116:117]
	s_waitcnt lgkmcnt(3)
	v_mul_f64 v[116:117], v[136:137], v[74:75]
	v_add_f64 v[2:3], v[2:3], v[4:5]
	v_mul_f64 v[4:5], v[138:139], v[74:75]
	v_fmac_f64_e32 v[116:117], v[138:139], v[76:77]
	v_fma_f64 v[4:5], v[136:137], v[76:77], -v[4:5]
	v_add_f64 v[110:111], v[110:111], v[116:117]
	s_waitcnt lgkmcnt(2)
	v_mul_f64 v[116:117], v[140:141], v[70:71]
	v_add_f64 v[2:3], v[2:3], v[4:5]
	v_mul_f64 v[4:5], v[142:143], v[70:71]
	v_fmac_f64_e32 v[116:117], v[142:143], v[72:73]
	ds_read_b128 v[156:159], v134 offset:1728
	ds_read_b128 v[160:163], v134 offset:1744
	v_fma_f64 v[4:5], v[140:141], v[72:73], -v[4:5]
	v_add_f64 v[110:111], v[110:111], v[116:117]
	s_waitcnt vmcnt(58) lgkmcnt(3)
	v_mul_f64 v[116:117], v[144:145], v[82:83]
	v_add_f64 v[2:3], v[2:3], v[4:5]
	v_mul_f64 v[4:5], v[146:147], v[82:83]
	s_waitcnt vmcnt(56)
	v_fmac_f64_e32 v[116:117], v[146:147], v[84:85]
	v_fma_f64 v[4:5], v[144:145], v[84:85], -v[4:5]
	v_add_f64 v[110:111], v[110:111], v[116:117]
	s_waitcnt lgkmcnt(2)
	v_mul_f64 v[116:117], v[152:153], v[78:79]
	v_add_f64 v[2:3], v[2:3], v[4:5]
	v_mul_f64 v[4:5], v[154:155], v[78:79]
	v_fmac_f64_e32 v[116:117], v[154:155], v[80:81]
	ds_read_b128 v[164:167], v134 offset:1760
	ds_read_b128 v[168:171], v134 offset:1776
	v_fma_f64 v[4:5], v[152:153], v[80:81], -v[4:5]
	v_add_f64 v[110:111], v[110:111], v[116:117]
	s_waitcnt vmcnt(50) lgkmcnt(3)
	v_mul_f64 v[116:117], v[156:157], v[90:91]
	v_add_f64 v[2:3], v[2:3], v[4:5]
	v_mul_f64 v[4:5], v[158:159], v[90:91]
	s_waitcnt vmcnt(48)
	;; [unrolled: 17-line block ×7, first 2 shown]
	v_fma_f64 v[2:3], v[196:197], v[216:217], -v[2:3]
	v_fmac_f64_e32 v[116:117], v[198:199], v[216:217]
	v_add_f64 v[0:1], v[0:1], v[2:3]
	s_waitcnt lgkmcnt(2)
	v_mul_f64 v[2:3], v[202:203], v[150:151]
	v_add_f64 v[110:111], v[110:111], v[116:117]
	v_mul_f64 v[116:117], v[200:201], v[150:151]
	v_fma_f64 v[2:3], v[200:201], v[212:213], -v[2:3]
	v_fmac_f64_e32 v[116:117], v[202:203], v[212:213]
	v_add_f64 v[0:1], v[0:1], v[2:3]
	s_waitcnt vmcnt(2) lgkmcnt(1)
	v_mul_f64 v[2:3], v[206:207], v[222:223]
	v_add_f64 v[110:111], v[110:111], v[116:117]
	v_mul_f64 v[116:117], v[204:205], v[222:223]
	s_waitcnt vmcnt(0)
	v_fma_f64 v[2:3], v[204:205], v[224:225], -v[2:3]
	v_fmac_f64_e32 v[116:117], v[206:207], v[224:225]
	v_add_f64 v[0:1], v[0:1], v[2:3]
	s_waitcnt lgkmcnt(0)
	v_mul_f64 v[2:3], v[210:211], v[218:219]
	v_add_f64 v[110:111], v[110:111], v[116:117]
	v_mul_f64 v[116:117], v[208:209], v[218:219]
	v_fma_f64 v[2:3], v[208:209], v[220:221], -v[2:3]
	v_fmac_f64_e32 v[116:117], v[210:211], v[220:221]
	v_add_f64 v[0:1], v[0:1], v[2:3]
	v_add_f64 v[110:111], v[110:111], v[116:117]
	v_add_f64 v[0:1], v[46:47], -v[0:1]
	v_add_f64 v[2:3], v[44:45], -v[110:111]
	buffer_store_dword v1, off, s[0:3], 0 offset:548
	buffer_store_dword v0, off, s[0:3], 0 offset:544
	;; [unrolled: 1-line block ×4, first 2 shown]
	s_and_saveexec_b64 s[4:5], vcc
	s_cbranch_execz .LBB60_327
; %bb.326:
	v_accvgpr_read_b32 v0, a150
	buffer_load_dword v2, v0, s[0:3], 0 offen
	buffer_load_dword v3, v0, s[0:3], 0 offen offset:4
	buffer_load_dword v4, v0, s[0:3], 0 offen offset:8
	;; [unrolled: 1-line block ×3, first 2 shown]
	v_accvgpr_read_b32 v0, a183
	buffer_store_dword v134, off, s[0:3], 0 offset:528
	buffer_store_dword v134, off, s[0:3], 0 offset:532
	;; [unrolled: 1-line block ×4, first 2 shown]
	s_waitcnt vmcnt(4)
	ds_write_b128 v0, v[2:5]
.LBB60_327:
	s_or_b64 exec, exec, s[4:5]
	s_waitcnt lgkmcnt(0)
	; wave barrier
	s_waitcnt lgkmcnt(0)
	buffer_load_dword v34, off, s[0:3], 0 offset:544
	buffer_load_dword v35, off, s[0:3], 0 offset:548
	;; [unrolled: 1-line block ×32, first 2 shown]
	ds_read_b128 v[30:33], v134 offset:1504
	ds_read_b128 v[26:29], v134 offset:1520
	;; [unrolled: 1-line block ×8, first 2 shown]
	buffer_load_dword v67, off, s[0:3], 0 offset:684
	buffer_load_dword v66, off, s[0:3], 0 offset:680
	buffer_load_dword v69, off, s[0:3], 0 offset:676
	buffer_load_dword v68, off, s[0:3], 0 offset:672
	buffer_load_dword v71, off, s[0:3], 0 offset:668
	buffer_load_dword v70, off, s[0:3], 0 offset:664
	buffer_load_dword v73, off, s[0:3], 0 offset:660
	buffer_load_dword v72, off, s[0:3], 0 offset:656
	buffer_load_dword v75, off, s[0:3], 0 offset:716
	buffer_load_dword v74, off, s[0:3], 0 offset:712
	buffer_load_dword v77, off, s[0:3], 0 offset:708
	buffer_load_dword v76, off, s[0:3], 0 offset:704
	buffer_load_dword v79, off, s[0:3], 0 offset:700
	buffer_load_dword v78, off, s[0:3], 0 offset:696
	buffer_load_dword v81, off, s[0:3], 0 offset:692
	buffer_load_dword v80, off, s[0:3], 0 offset:688
	buffer_load_dword v83, off, s[0:3], 0 offset:748
	buffer_load_dword v82, off, s[0:3], 0 offset:744
	buffer_load_dword v85, off, s[0:3], 0 offset:740
	buffer_load_dword v84, off, s[0:3], 0 offset:736
	buffer_load_dword v87, off, s[0:3], 0 offset:732
	buffer_load_dword v86, off, s[0:3], 0 offset:728
	buffer_load_dword v89, off, s[0:3], 0 offset:724
	buffer_load_dword v88, off, s[0:3], 0 offset:720
	s_waitcnt vmcnt(52) lgkmcnt(7)
	v_mul_f64 v[0:1], v[30:31], v[38:39]
	v_fmac_f64_e32 v[0:1], v[32:33], v[34:35]
	v_add_f64 v[0:1], v[0:1], 0
	v_mul_f64 v[32:33], v[32:33], v[38:39]
	s_waitcnt vmcnt(48) lgkmcnt(6)
	v_mul_f64 v[90:91], v[26:27], v[40:41]
	v_fmac_f64_e32 v[90:91], v[28:29], v[36:37]
	s_waitcnt vmcnt(46) lgkmcnt(5)
	v_mul_f64 v[92:93], v[22:23], v[42:43]
	v_add_f64 v[0:1], v[0:1], v[90:91]
	s_waitcnt vmcnt(44) lgkmcnt(4)
	v_mul_f64 v[94:95], v[18:19], v[48:49]
	v_fma_f64 v[30:31], v[30:31], v[34:35], -v[32:33]
	s_waitcnt vmcnt(42) lgkmcnt(1)
	v_mul_f64 v[122:123], v[2:3], v[50:51]
	v_mul_f64 v[28:29], v[28:29], v[40:41]
	s_waitcnt vmcnt(18) lgkmcnt(0)
	v_mul_f64 v[138:139], v[14:15], v[70:71]
	v_mul_f64 v[98:99], v[6:7], v[54:55]
	s_waitcnt vmcnt(16)
	v_fmac_f64_e32 v[138:139], v[16:17], v[72:73]
	v_mul_f64 v[96:97], v[10:11], v[56:57]
	v_add_f64 v[30:31], v[30:31], 0
	v_fmac_f64_e32 v[96:97], v[12:13], v[58:59]
	v_fma_f64 v[26:27], v[26:27], v[36:37], -v[28:29]
	v_fmac_f64_e32 v[92:93], v[24:25], v[64:65]
	v_add_f64 v[0:1], v[0:1], v[92:93]
	v_fmac_f64_e32 v[94:95], v[20:21], v[62:63]
	v_add_f64 v[0:1], v[0:1], v[94:95]
	;; [unrolled: 2-line block ×3, first 2 shown]
	v_add_f64 v[124:125], v[0:1], v[98:99]
	buffer_load_dword v91, off, s[0:3], 0 offset:780
	buffer_load_dword v90, off, s[0:3], 0 offset:776
	;; [unrolled: 1-line block ×56, first 2 shown]
	v_fmac_f64_e32 v[122:123], v[4:5], v[52:53]
	v_add_f64 v[136:137], v[124:125], v[122:123]
	ds_read_b128 v[122:125], v134 offset:1632
	buffer_load_dword v227, off, s[0:3], 0 offset:988
	buffer_load_dword v226, off, s[0:3], 0 offset:984
	;; [unrolled: 1-line block ×4, first 2 shown]
	v_add_f64 v[140:141], v[136:137], v[138:139]
	ds_read_b128 v[136:139], v134 offset:1648
	v_mul_f64 v[24:25], v[24:25], v[42:43]
	s_waitcnt lgkmcnt(1)
	v_mul_f64 v[142:143], v[122:123], v[66:67]
	v_fmac_f64_e32 v[142:143], v[124:125], v[68:69]
	v_add_f64 v[144:145], v[140:141], v[142:143]
	ds_read_b128 v[140:143], v134 offset:1664
	s_waitcnt vmcnt(62) lgkmcnt(1)
	v_mul_f64 v[146:147], v[136:137], v[78:79]
	v_fmac_f64_e32 v[146:147], v[138:139], v[80:81]
	v_add_f64 v[152:153], v[144:145], v[146:147]
	ds_read_b128 v[144:147], v134 offset:1680
	s_waitcnt lgkmcnt(1)
	v_mul_f64 v[154:155], v[140:141], v[74:75]
	v_fmac_f64_e32 v[154:155], v[142:143], v[76:77]
	v_add_f64 v[156:157], v[152:153], v[154:155]
	ds_read_b128 v[152:155], v134 offset:1696
	s_waitcnt lgkmcnt(1)
	v_mul_f64 v[158:159], v[144:145], v[86:87]
	s_waitcnt vmcnt(60)
	v_fmac_f64_e32 v[158:159], v[146:147], v[88:89]
	v_add_f64 v[160:161], v[156:157], v[158:159]
	ds_read_b128 v[156:159], v134 offset:1712
	s_waitcnt lgkmcnt(1)
	v_mul_f64 v[162:163], v[152:153], v[82:83]
	v_fmac_f64_e32 v[162:163], v[154:155], v[84:85]
	v_add_f64 v[164:165], v[160:161], v[162:163]
	ds_read_b128 v[160:163], v134 offset:1728
	v_add_f64 v[26:27], v[30:31], v[26:27]
	v_fma_f64 v[22:23], v[22:23], v[64:65], -v[24:25]
	s_waitcnt vmcnt(54) lgkmcnt(1)
	v_mul_f64 v[166:167], v[156:157], v[94:95]
	v_mul_f64 v[20:21], v[20:21], v[48:49]
	s_waitcnt vmcnt(52)
	v_fmac_f64_e32 v[166:167], v[158:159], v[96:97]
	v_add_f64 v[168:169], v[164:165], v[166:167]
	ds_read_b128 v[164:167], v134 offset:1744
	s_waitcnt lgkmcnt(1)
	v_mul_f64 v[170:171], v[160:161], v[90:91]
	v_fmac_f64_e32 v[170:171], v[162:163], v[92:93]
	v_add_f64 v[172:173], v[168:169], v[170:171]
	ds_read_b128 v[168:171], v134 offset:1760
	v_add_f64 v[22:23], v[26:27], v[22:23]
	v_fma_f64 v[18:19], v[18:19], v[62:63], -v[20:21]
	v_mul_f64 v[12:13], v[12:13], v[56:57]
	v_add_f64 v[18:19], v[22:23], v[18:19]
	v_fma_f64 v[10:11], v[10:11], v[58:59], -v[12:13]
	v_mul_f64 v[8:9], v[8:9], v[54:55]
	;; [unrolled: 3-line block ×3, first 2 shown]
	s_waitcnt vmcnt(46) lgkmcnt(1)
	v_mul_f64 v[174:175], v[164:165], v[102:103]
	v_add_f64 v[6:7], v[10:11], v[6:7]
	v_fma_f64 v[2:3], v[2:3], v[52:53], -v[4:5]
	v_mul_f64 v[4:5], v[16:17], v[70:71]
	s_waitcnt vmcnt(44)
	v_fmac_f64_e32 v[174:175], v[166:167], v[104:105]
	v_add_f64 v[2:3], v[6:7], v[2:3]
	v_fma_f64 v[4:5], v[14:15], v[72:73], -v[4:5]
	v_add_f64 v[176:177], v[172:173], v[174:175]
	ds_read_b128 v[172:175], v134 offset:1776
	s_waitcnt lgkmcnt(1)
	v_mul_f64 v[178:179], v[168:169], v[98:99]
	v_add_f64 v[2:3], v[2:3], v[4:5]
	v_mul_f64 v[4:5], v[124:125], v[66:67]
	v_fmac_f64_e32 v[178:179], v[170:171], v[100:101]
	v_fma_f64 v[4:5], v[122:123], v[68:69], -v[4:5]
	v_add_f64 v[180:181], v[176:177], v[178:179]
	ds_read_b128 v[176:179], v134 offset:1792
	v_add_f64 v[2:3], v[2:3], v[4:5]
	v_mul_f64 v[4:5], v[138:139], v[78:79]
	v_fma_f64 v[4:5], v[136:137], v[80:81], -v[4:5]
	v_add_f64 v[2:3], v[2:3], v[4:5]
	v_mul_f64 v[4:5], v[142:143], v[74:75]
	s_waitcnt vmcnt(38) lgkmcnt(1)
	v_mul_f64 v[182:183], v[172:173], v[110:111]
	v_fma_f64 v[4:5], v[140:141], v[76:77], -v[4:5]
	s_waitcnt vmcnt(36)
	v_fmac_f64_e32 v[182:183], v[174:175], v[112:113]
	v_add_f64 v[2:3], v[2:3], v[4:5]
	v_mul_f64 v[4:5], v[146:147], v[86:87]
	v_add_f64 v[184:185], v[180:181], v[182:183]
	ds_read_b128 v[180:183], v134 offset:1808
	s_waitcnt lgkmcnt(1)
	v_mul_f64 v[186:187], v[176:177], v[106:107]
	v_fma_f64 v[4:5], v[144:145], v[88:89], -v[4:5]
	v_fmac_f64_e32 v[186:187], v[178:179], v[108:109]
	v_add_f64 v[2:3], v[2:3], v[4:5]
	v_mul_f64 v[4:5], v[154:155], v[82:83]
	v_add_f64 v[188:189], v[184:185], v[186:187]
	ds_read_b128 v[184:187], v134 offset:1824
	v_fma_f64 v[4:5], v[152:153], v[84:85], -v[4:5]
	v_add_f64 v[2:3], v[2:3], v[4:5]
	v_mul_f64 v[4:5], v[158:159], v[94:95]
	v_fma_f64 v[4:5], v[156:157], v[96:97], -v[4:5]
	s_waitcnt vmcnt(30) lgkmcnt(1)
	v_mul_f64 v[190:191], v[180:181], v[118:119]
	v_add_f64 v[2:3], v[2:3], v[4:5]
	v_mul_f64 v[4:5], v[162:163], v[90:91]
	s_waitcnt vmcnt(28)
	v_fmac_f64_e32 v[190:191], v[182:183], v[120:121]
	v_fma_f64 v[4:5], v[160:161], v[92:93], -v[4:5]
	v_add_f64 v[192:193], v[188:189], v[190:191]
	ds_read_b128 v[188:191], v134 offset:1840
	s_waitcnt lgkmcnt(1)
	v_mul_f64 v[194:195], v[184:185], v[114:115]
	v_add_f64 v[2:3], v[2:3], v[4:5]
	v_mul_f64 v[4:5], v[166:167], v[102:103]
	v_fmac_f64_e32 v[194:195], v[186:187], v[116:117]
	v_fma_f64 v[4:5], v[164:165], v[104:105], -v[4:5]
	v_add_f64 v[196:197], v[192:193], v[194:195]
	ds_read_b128 v[192:195], v134 offset:1856
	v_add_f64 v[2:3], v[2:3], v[4:5]
	v_mul_f64 v[4:5], v[170:171], v[98:99]
	v_fma_f64 v[4:5], v[168:169], v[100:101], -v[4:5]
	v_add_f64 v[2:3], v[2:3], v[4:5]
	v_mul_f64 v[4:5], v[174:175], v[110:111]
	s_waitcnt vmcnt(22) lgkmcnt(1)
	v_mul_f64 v[198:199], v[188:189], v[130:131]
	v_fma_f64 v[4:5], v[172:173], v[112:113], -v[4:5]
	s_waitcnt vmcnt(20)
	v_fmac_f64_e32 v[198:199], v[190:191], v[132:133]
	v_add_f64 v[2:3], v[2:3], v[4:5]
	v_mul_f64 v[4:5], v[178:179], v[106:107]
	v_add_f64 v[200:201], v[196:197], v[198:199]
	ds_read_b128 v[196:199], v134 offset:1872
	s_waitcnt lgkmcnt(1)
	v_mul_f64 v[202:203], v[192:193], v[126:127]
	v_fma_f64 v[4:5], v[176:177], v[108:109], -v[4:5]
	v_fmac_f64_e32 v[202:203], v[194:195], v[128:129]
	v_add_f64 v[2:3], v[2:3], v[4:5]
	v_mul_f64 v[4:5], v[182:183], v[118:119]
	v_add_f64 v[204:205], v[200:201], v[202:203]
	ds_read_b128 v[200:203], v134 offset:1888
	v_fma_f64 v[4:5], v[180:181], v[120:121], -v[4:5]
	v_add_f64 v[2:3], v[2:3], v[4:5]
	v_mul_f64 v[4:5], v[186:187], v[114:115]
	v_fma_f64 v[4:5], v[184:185], v[116:117], -v[4:5]
	s_waitcnt vmcnt(14) lgkmcnt(1)
	v_mul_f64 v[206:207], v[196:197], v[150:151]
	v_add_f64 v[2:3], v[2:3], v[4:5]
	v_mul_f64 v[4:5], v[190:191], v[130:131]
	s_waitcnt vmcnt(12)
	v_fmac_f64_e32 v[206:207], v[198:199], v[216:217]
	v_fma_f64 v[4:5], v[188:189], v[132:133], -v[4:5]
	v_add_f64 v[208:209], v[204:205], v[206:207]
	ds_read_b128 v[204:207], v134 offset:1904
	s_waitcnt lgkmcnt(1)
	v_mul_f64 v[210:211], v[200:201], v[0:1]
	v_add_f64 v[2:3], v[2:3], v[4:5]
	v_mul_f64 v[4:5], v[194:195], v[126:127]
	v_fmac_f64_e32 v[210:211], v[202:203], v[148:149]
	v_fma_f64 v[4:5], v[192:193], v[128:129], -v[4:5]
	v_add_f64 v[230:231], v[208:209], v[210:211]
	ds_read_b128 v[208:211], v134 offset:1920
	v_add_f64 v[2:3], v[2:3], v[4:5]
	v_mul_f64 v[4:5], v[198:199], v[150:151]
	v_fma_f64 v[4:5], v[196:197], v[216:217], -v[4:5]
	v_mul_f64 v[0:1], v[202:203], v[0:1]
	ds_read_b128 v[212:215], v134 offset:1936
	v_add_f64 v[2:3], v[2:3], v[4:5]
	v_fma_f64 v[0:1], v[200:201], v[148:149], -v[0:1]
	v_add_f64 v[0:1], v[2:3], v[0:1]
	s_waitcnt vmcnt(6) lgkmcnt(2)
	v_mul_f64 v[2:3], v[206:207], v[222:223]
	v_mul_f64 v[232:233], v[204:205], v[222:223]
	s_waitcnt vmcnt(4)
	v_fma_f64 v[2:3], v[204:205], v[224:225], -v[2:3]
	v_fmac_f64_e32 v[232:233], v[206:207], v[224:225]
	v_add_f64 v[0:1], v[0:1], v[2:3]
	s_waitcnt lgkmcnt(1)
	v_mul_f64 v[2:3], v[210:211], v[218:219]
	v_add_f64 v[134:135], v[230:231], v[232:233]
	v_mul_f64 v[230:231], v[208:209], v[218:219]
	v_fma_f64 v[2:3], v[208:209], v[220:221], -v[2:3]
	v_fmac_f64_e32 v[230:231], v[210:211], v[220:221]
	v_add_f64 v[0:1], v[0:1], v[2:3]
	s_waitcnt vmcnt(2) lgkmcnt(0)
	v_mul_f64 v[2:3], v[214:215], v[226:227]
	v_add_f64 v[134:135], v[134:135], v[230:231]
	v_mul_f64 v[230:231], v[212:213], v[226:227]
	s_waitcnt vmcnt(0)
	v_fma_f64 v[2:3], v[212:213], v[228:229], -v[2:3]
	v_fmac_f64_e32 v[230:231], v[214:215], v[228:229]
	v_add_f64 v[0:1], v[0:1], v[2:3]
	v_add_f64 v[134:135], v[134:135], v[230:231]
	v_add_f64 v[0:1], v[46:47], -v[0:1]
	v_add_f64 v[2:3], v[44:45], -v[134:135]
	buffer_store_dword v1, off, s[0:3], 0 offset:532
	buffer_store_dword v0, off, s[0:3], 0 offset:528
	;; [unrolled: 1-line block ×4, first 2 shown]
	v_accvgpr_read_b32 v0, a182
	v_cmp_lt_u32_e32 vcc, 31, v0
	s_and_saveexec_b64 s[4:5], vcc
	s_cbranch_execz .LBB60_329
; %bb.328:
	v_accvgpr_read_b32 v0, a151
	buffer_load_dword v2, v0, s[0:3], 0 offen
	buffer_load_dword v3, v0, s[0:3], 0 offen offset:4
	buffer_load_dword v4, v0, s[0:3], 0 offen offset:8
	;; [unrolled: 1-line block ×3, first 2 shown]
	v_mov_b32_e32 v0, 0
	v_accvgpr_read_b32 v1, a183
	buffer_store_dword v0, off, s[0:3], 0 offset:512
	buffer_store_dword v0, off, s[0:3], 0 offset:516
	;; [unrolled: 1-line block ×4, first 2 shown]
	s_waitcnt vmcnt(4)
	ds_write_b128 v1, v[2:5]
.LBB60_329:
	s_or_b64 exec, exec, s[4:5]
	s_waitcnt lgkmcnt(0)
	; wave barrier
	s_waitcnt lgkmcnt(0)
	buffer_load_dword v38, off, s[0:3], 0 offset:528
	buffer_load_dword v39, off, s[0:3], 0 offset:532
	;; [unrolled: 1-line block ×48, first 2 shown]
	v_mov_b32_e32 v152, 0
	ds_read_b128 v[34:37], v152 offset:1488
	ds_read_b128 v[30:33], v152 offset:1504
	;; [unrolled: 1-line block ×9, first 2 shown]
	s_waitcnt vmcnt(44) lgkmcnt(8)
	v_mul_f64 v[0:1], v[34:35], v[42:43]
	v_fmac_f64_e32 v[0:1], v[36:37], v[38:39]
	v_add_f64 v[0:1], v[0:1], 0
	v_mul_f64 v[36:37], v[36:37], v[42:43]
	s_waitcnt vmcnt(40) lgkmcnt(7)
	v_mul_f64 v[86:87], v[30:31], v[44:45]
	v_fmac_f64_e32 v[86:87], v[32:33], v[40:41]
	s_waitcnt vmcnt(38) lgkmcnt(6)
	v_mul_f64 v[88:89], v[26:27], v[46:47]
	v_add_f64 v[0:1], v[0:1], v[86:87]
	s_waitcnt vmcnt(36) lgkmcnt(4)
	v_mul_f64 v[92:93], v[18:19], v[48:49]
	v_fma_f64 v[34:35], v[34:35], v[38:39], -v[36:37]
	s_waitcnt vmcnt(34)
	v_fmac_f64_e32 v[92:93], v[20:21], v[50:51]
	v_mul_f64 v[32:33], v[32:33], v[44:45]
	s_waitcnt vmcnt(32)
	v_mul_f64 v[90:91], v[22:23], v[52:53]
	v_add_f64 v[34:35], v[34:35], 0
	s_waitcnt vmcnt(30) lgkmcnt(2)
	v_mul_f64 v[96:97], v[10:11], v[54:55]
	v_fma_f64 v[30:31], v[30:31], v[40:41], -v[32:33]
	s_waitcnt vmcnt(28)
	v_fmac_f64_e32 v[96:97], v[12:13], v[56:57]
	v_add_f64 v[30:31], v[34:35], v[30:31]
	s_waitcnt vmcnt(26)
	v_mul_f64 v[94:95], v[14:15], v[58:59]
	v_mul_f64 v[20:21], v[20:21], v[48:49]
	v_fma_f64 v[18:19], v[18:19], v[50:51], -v[20:21]
	v_mul_f64 v[12:13], v[12:13], v[54:55]
	s_waitcnt vmcnt(22) lgkmcnt(1)
	v_mul_f64 v[110:111], v[6:7], v[68:69]
	v_fma_f64 v[10:11], v[10:11], v[56:57], -v[12:13]
	s_waitcnt vmcnt(20)
	v_fmac_f64_e32 v[88:89], v[28:29], v[76:77]
	v_add_f64 v[0:1], v[0:1], v[88:89]
	s_waitcnt vmcnt(18)
	v_fmac_f64_e32 v[90:91], v[24:25], v[74:75]
	v_add_f64 v[0:1], v[0:1], v[90:91]
	;; [unrolled: 3-line block ×3, first 2 shown]
	v_add_f64 v[0:1], v[0:1], v[94:95]
	v_add_f64 v[112:113], v[0:1], v[96:97]
	buffer_load_dword v87, off, s[0:3], 0 offset:732
	buffer_load_dword v86, off, s[0:3], 0 offset:728
	;; [unrolled: 1-line block ×72, first 2 shown]
	s_waitcnt vmcnt(62)
	v_fmac_f64_e32 v[110:111], v[8:9], v[70:71]
	v_add_f64 v[142:143], v[112:113], v[110:111]
	ds_read_b128 v[110:113], v152 offset:1632
	s_waitcnt lgkmcnt(1)
	v_mul_f64 v[144:145], v[2:3], v[64:65]
	v_fmac_f64_e32 v[144:145], v[4:5], v[66:67]
	v_add_f64 v[146:147], v[142:143], v[144:145]
	ds_read_b128 v[142:145], v152 offset:1648
	s_waitcnt lgkmcnt(1)
	v_mul_f64 v[148:149], v[110:111], v[82:83]
	;; [unrolled: 5-line block ×5, first 2 shown]
	v_fmac_f64_e32 v[164:165], v[156:157], v[88:89]
	v_add_f64 v[166:167], v[162:163], v[164:165]
	ds_read_b128 v[162:165], v152 offset:1712
	s_waitcnt vmcnt(58) lgkmcnt(1)
	v_mul_f64 v[168:169], v[158:159], v[98:99]
	s_waitcnt vmcnt(56)
	v_fmac_f64_e32 v[168:169], v[160:161], v[100:101]
	v_add_f64 v[170:171], v[166:167], v[168:169]
	ds_read_b128 v[166:169], v152 offset:1728
	s_waitcnt lgkmcnt(1)
	v_mul_f64 v[172:173], v[162:163], v[94:95]
	v_fmac_f64_e32 v[172:173], v[164:165], v[96:97]
	v_add_f64 v[174:175], v[170:171], v[172:173]
	ds_read_b128 v[170:173], v152 offset:1744
	s_waitcnt vmcnt(50) lgkmcnt(1)
	v_mul_f64 v[176:177], v[166:167], v[106:107]
	v_mul_f64 v[28:29], v[28:29], v[46:47]
	s_waitcnt vmcnt(48)
	v_fmac_f64_e32 v[176:177], v[168:169], v[108:109]
	v_fma_f64 v[26:27], v[26:27], v[76:77], -v[28:29]
	v_mul_f64 v[24:25], v[24:25], v[52:53]
	v_add_f64 v[178:179], v[174:175], v[176:177]
	ds_read_b128 v[174:177], v152 offset:1760
	v_add_f64 v[26:27], v[30:31], v[26:27]
	v_fma_f64 v[22:23], v[22:23], v[74:75], -v[24:25]
	v_add_f64 v[22:23], v[26:27], v[22:23]
	v_mul_f64 v[16:17], v[16:17], v[58:59]
	v_add_f64 v[18:19], v[22:23], v[18:19]
	v_fma_f64 v[14:15], v[14:15], v[72:73], -v[16:17]
	s_waitcnt lgkmcnt(1)
	v_mul_f64 v[180:181], v[170:171], v[102:103]
	v_add_f64 v[14:15], v[18:19], v[14:15]
	v_mul_f64 v[8:9], v[8:9], v[68:69]
	v_fmac_f64_e32 v[180:181], v[172:173], v[104:105]
	v_add_f64 v[10:11], v[14:15], v[10:11]
	v_fma_f64 v[6:7], v[6:7], v[70:71], -v[8:9]
	v_mul_f64 v[4:5], v[4:5], v[64:65]
	v_add_f64 v[182:183], v[178:179], v[180:181]
	ds_read_b128 v[178:181], v152 offset:1776
	s_waitcnt vmcnt(42) lgkmcnt(1)
	v_mul_f64 v[184:185], v[174:175], v[118:119]
	v_add_f64 v[6:7], v[10:11], v[6:7]
	v_fma_f64 v[2:3], v[2:3], v[66:67], -v[4:5]
	v_mul_f64 v[4:5], v[112:113], v[82:83]
	s_waitcnt vmcnt(40)
	v_fmac_f64_e32 v[184:185], v[176:177], v[120:121]
	v_add_f64 v[2:3], v[6:7], v[2:3]
	v_fma_f64 v[4:5], v[110:111], v[84:85], -v[4:5]
	v_add_f64 v[186:187], v[182:183], v[184:185]
	ds_read_b128 v[182:185], v152 offset:1792
	v_add_f64 v[2:3], v[2:3], v[4:5]
	v_mul_f64 v[4:5], v[144:145], v[78:79]
	v_fma_f64 v[4:5], v[142:143], v[80:81], -v[4:5]
	v_add_f64 v[2:3], v[2:3], v[4:5]
	v_mul_f64 v[4:5], v[148:149], v[90:91]
	s_waitcnt lgkmcnt(1)
	v_mul_f64 v[188:189], v[178:179], v[114:115]
	v_fma_f64 v[4:5], v[146:147], v[92:93], -v[4:5]
	v_fmac_f64_e32 v[188:189], v[180:181], v[116:117]
	v_add_f64 v[2:3], v[2:3], v[4:5]
	v_mul_f64 v[4:5], v[156:157], v[86:87]
	v_add_f64 v[190:191], v[186:187], v[188:189]
	ds_read_b128 v[186:189], v152 offset:1808
	s_waitcnt vmcnt(34) lgkmcnt(1)
	v_mul_f64 v[192:193], v[182:183], v[126:127]
	v_fma_f64 v[4:5], v[154:155], v[88:89], -v[4:5]
	s_waitcnt vmcnt(32)
	v_fmac_f64_e32 v[192:193], v[184:185], v[128:129]
	v_add_f64 v[2:3], v[2:3], v[4:5]
	v_mul_f64 v[4:5], v[160:161], v[98:99]
	v_add_f64 v[194:195], v[190:191], v[192:193]
	ds_read_b128 v[190:193], v152 offset:1824
	v_fma_f64 v[4:5], v[158:159], v[100:101], -v[4:5]
	v_add_f64 v[2:3], v[2:3], v[4:5]
	v_mul_f64 v[4:5], v[164:165], v[94:95]
	v_fma_f64 v[4:5], v[162:163], v[96:97], -v[4:5]
	s_waitcnt lgkmcnt(1)
	v_mul_f64 v[196:197], v[186:187], v[122:123]
	v_add_f64 v[2:3], v[2:3], v[4:5]
	v_mul_f64 v[4:5], v[168:169], v[106:107]
	v_fmac_f64_e32 v[196:197], v[188:189], v[124:125]
	v_fma_f64 v[4:5], v[166:167], v[108:109], -v[4:5]
	v_add_f64 v[198:199], v[194:195], v[196:197]
	ds_read_b128 v[194:197], v152 offset:1840
	s_waitcnt vmcnt(26) lgkmcnt(1)
	v_mul_f64 v[200:201], v[190:191], v[134:135]
	v_add_f64 v[2:3], v[2:3], v[4:5]
	v_mul_f64 v[4:5], v[172:173], v[102:103]
	s_waitcnt vmcnt(24)
	v_fmac_f64_e32 v[200:201], v[192:193], v[136:137]
	v_fma_f64 v[4:5], v[170:171], v[104:105], -v[4:5]
	v_add_f64 v[202:203], v[198:199], v[200:201]
	ds_read_b128 v[198:201], v152 offset:1856
	v_add_f64 v[2:3], v[2:3], v[4:5]
	v_mul_f64 v[4:5], v[176:177], v[118:119]
	v_fma_f64 v[4:5], v[174:175], v[120:121], -v[4:5]
	v_add_f64 v[2:3], v[2:3], v[4:5]
	v_mul_f64 v[4:5], v[180:181], v[114:115]
	s_waitcnt lgkmcnt(1)
	v_mul_f64 v[204:205], v[194:195], v[130:131]
	v_fma_f64 v[4:5], v[178:179], v[116:117], -v[4:5]
	v_fmac_f64_e32 v[204:205], v[196:197], v[132:133]
	v_add_f64 v[2:3], v[2:3], v[4:5]
	v_mul_f64 v[4:5], v[184:185], v[126:127]
	v_add_f64 v[206:207], v[202:203], v[204:205]
	ds_read_b128 v[202:205], v152 offset:1872
	s_waitcnt vmcnt(18) lgkmcnt(1)
	v_mul_f64 v[208:209], v[198:199], v[0:1]
	v_fma_f64 v[4:5], v[182:183], v[128:129], -v[4:5]
	s_waitcnt vmcnt(16)
	v_fmac_f64_e32 v[208:209], v[200:201], v[150:151]
	v_add_f64 v[2:3], v[2:3], v[4:5]
	v_mul_f64 v[4:5], v[188:189], v[122:123]
	v_add_f64 v[210:211], v[206:207], v[208:209]
	ds_read_b128 v[206:209], v152 offset:1888
	v_fma_f64 v[4:5], v[186:187], v[124:125], -v[4:5]
	v_add_f64 v[2:3], v[2:3], v[4:5]
	v_mul_f64 v[4:5], v[192:193], v[134:135]
	v_fma_f64 v[4:5], v[190:191], v[136:137], -v[4:5]
	s_waitcnt lgkmcnt(1)
	v_mul_f64 v[212:213], v[202:203], v[138:139]
	v_add_f64 v[2:3], v[2:3], v[4:5]
	v_mul_f64 v[4:5], v[196:197], v[130:131]
	v_fmac_f64_e32 v[212:213], v[204:205], v[140:141]
	v_fma_f64 v[4:5], v[194:195], v[132:133], -v[4:5]
	v_mul_f64 v[0:1], v[200:201], v[0:1]
	v_add_f64 v[214:215], v[210:211], v[212:213]
	ds_read_b128 v[210:213], v152 offset:1904
	s_waitcnt vmcnt(10) lgkmcnt(1)
	v_mul_f64 v[216:217], v[206:207], v[226:227]
	v_add_f64 v[2:3], v[2:3], v[4:5]
	v_fma_f64 v[0:1], v[198:199], v[150:151], -v[0:1]
	s_waitcnt vmcnt(8)
	v_fmac_f64_e32 v[216:217], v[208:209], v[228:229]
	v_add_f64 v[0:1], v[2:3], v[0:1]
	v_mul_f64 v[2:3], v[204:205], v[138:139]
	v_add_f64 v[238:239], v[214:215], v[216:217]
	ds_read_b128 v[214:217], v152 offset:1920
	ds_read_b128 v[218:221], v152 offset:1936
	v_fma_f64 v[2:3], v[202:203], v[140:141], -v[2:3]
	v_add_f64 v[0:1], v[0:1], v[2:3]
	v_mul_f64 v[2:3], v[208:209], v[226:227]
	v_fma_f64 v[2:3], v[206:207], v[228:229], -v[2:3]
	v_add_f64 v[0:1], v[0:1], v[2:3]
	s_waitcnt lgkmcnt(2)
	v_mul_f64 v[2:3], v[212:213], v[222:223]
	v_mul_f64 v[240:241], v[210:211], v[222:223]
	v_fma_f64 v[2:3], v[210:211], v[224:225], -v[2:3]
	v_fmac_f64_e32 v[240:241], v[212:213], v[224:225]
	v_add_f64 v[0:1], v[0:1], v[2:3]
	s_waitcnt vmcnt(2) lgkmcnt(1)
	v_mul_f64 v[2:3], v[216:217], v[234:235]
	v_add_f64 v[238:239], v[238:239], v[240:241]
	v_mul_f64 v[240:241], v[214:215], v[234:235]
	s_waitcnt vmcnt(0)
	v_fma_f64 v[2:3], v[214:215], v[236:237], -v[2:3]
	v_fmac_f64_e32 v[240:241], v[216:217], v[236:237]
	v_add_f64 v[0:1], v[0:1], v[2:3]
	s_waitcnt lgkmcnt(0)
	v_mul_f64 v[2:3], v[220:221], v[230:231]
	v_add_f64 v[238:239], v[238:239], v[240:241]
	v_mul_f64 v[240:241], v[218:219], v[230:231]
	v_fma_f64 v[2:3], v[218:219], v[232:233], -v[2:3]
	v_fmac_f64_e32 v[240:241], v[220:221], v[232:233]
	v_add_f64 v[0:1], v[0:1], v[2:3]
	v_add_f64 v[238:239], v[238:239], v[240:241]
	v_add_f64 v[0:1], v[62:63], -v[0:1]
	v_add_f64 v[2:3], v[60:61], -v[238:239]
	buffer_store_dword v1, off, s[0:3], 0 offset:516
	buffer_store_dword v0, off, s[0:3], 0 offset:512
	;; [unrolled: 1-line block ×4, first 2 shown]
	v_accvgpr_read_b32 v0, a182
	v_cmp_lt_u32_e32 vcc, 30, v0
	s_and_saveexec_b64 s[4:5], vcc
	s_cbranch_execz .LBB60_331
; %bb.330:
	v_accvgpr_read_b32 v0, a152
	buffer_load_dword v2, v0, s[0:3], 0 offen
	buffer_load_dword v3, v0, s[0:3], 0 offen offset:4
	buffer_load_dword v4, v0, s[0:3], 0 offen offset:8
	;; [unrolled: 1-line block ×3, first 2 shown]
	v_accvgpr_read_b32 v0, a183
	buffer_store_dword v152, off, s[0:3], 0 offset:496
	buffer_store_dword v152, off, s[0:3], 0 offset:500
	;; [unrolled: 1-line block ×4, first 2 shown]
	s_waitcnt vmcnt(4)
	ds_write_b128 v0, v[2:5]
.LBB60_331:
	s_or_b64 exec, exec, s[4:5]
	s_waitcnt lgkmcnt(0)
	; wave barrier
	s_waitcnt lgkmcnt(0)
	buffer_load_dword v48, off, s[0:3], 0 offset:512
	buffer_load_dword v49, off, s[0:3], 0 offset:516
	;; [unrolled: 1-line block ×40, first 2 shown]
	ds_read_b128 v[38:41], v152 offset:1472
	ds_read_b128 v[34:37], v152 offset:1488
	;; [unrolled: 1-line block ×10, first 2 shown]
	buffer_load_dword v83, off, s[0:3], 0 offset:684
	buffer_load_dword v82, off, s[0:3], 0 offset:680
	;; [unrolled: 1-line block ×8, first 2 shown]
	s_waitcnt vmcnt(44) lgkmcnt(9)
	v_mul_f64 v[0:1], v[38:39], v[50:51]
	v_fmac_f64_e32 v[0:1], v[40:41], v[48:49]
	v_add_f64 v[0:1], v[0:1], 0
	v_mul_f64 v[40:41], v[40:41], v[50:51]
	s_waitcnt vmcnt(40) lgkmcnt(8)
	v_mul_f64 v[90:91], v[34:35], v[44:45]
	v_fmac_f64_e32 v[90:91], v[36:37], v[42:43]
	s_waitcnt vmcnt(38) lgkmcnt(7)
	v_mul_f64 v[92:93], v[30:31], v[46:47]
	v_add_f64 v[0:1], v[0:1], v[90:91]
	s_waitcnt vmcnt(36) lgkmcnt(5)
	v_mul_f64 v[96:97], v[22:23], v[52:53]
	v_mul_f64 v[36:37], v[36:37], v[44:45]
	s_waitcnt vmcnt(34)
	v_fmac_f64_e32 v[96:97], v[24:25], v[54:55]
	v_fma_f64 v[34:35], v[34:35], v[42:43], -v[36:37]
	s_waitcnt vmcnt(32)
	v_mul_f64 v[94:95], v[26:27], v[56:57]
	v_mul_f64 v[24:25], v[24:25], v[52:53]
	s_waitcnt vmcnt(30) lgkmcnt(4)
	v_mul_f64 v[98:99], v[18:19], v[62:63]
	v_fma_f64 v[22:23], v[22:23], v[54:55], -v[24:25]
	s_waitcnt vmcnt(28) lgkmcnt(1)
	v_mul_f64 v[122:123], v[2:3], v[64:65]
	s_waitcnt vmcnt(25)
	v_mul_f64 v[102:103], v[6:7], v[68:69]
	s_waitcnt vmcnt(23)
	;; [unrolled: 2-line block ×3, first 2 shown]
	v_fmac_f64_e32 v[100:101], v[12:13], v[72:73]
	v_mul_f64 v[12:13], v[12:13], v[70:71]
	s_waitcnt vmcnt(19)
	v_fmac_f64_e32 v[92:93], v[32:33], v[80:81]
	v_add_f64 v[0:1], v[0:1], v[92:93]
	s_waitcnt vmcnt(17)
	v_fmac_f64_e32 v[94:95], v[28:29], v[78:79]
	v_add_f64 v[0:1], v[0:1], v[94:95]
	s_waitcnt vmcnt(15)
	v_fmac_f64_e32 v[98:99], v[20:21], v[76:77]
	v_add_f64 v[0:1], v[0:1], v[96:97]
	v_add_f64 v[0:1], v[0:1], v[98:99]
	s_waitcnt vmcnt(13)
	v_fmac_f64_e32 v[102:103], v[8:9], v[74:75]
	v_add_f64 v[0:1], v[0:1], v[100:101]
	v_add_f64 v[124:125], v[0:1], v[102:103]
	buffer_load_dword v91, off, s[0:3], 0 offset:716
	buffer_load_dword v90, off, s[0:3], 0 offset:712
	;; [unrolled: 1-line block ×72, first 2 shown]
	s_waitcnt vmcnt(62)
	v_fmac_f64_e32 v[122:123], v[4:5], v[66:67]
	v_add_f64 v[154:155], v[124:125], v[122:123]
	ds_read_b128 v[122:125], v152 offset:1632
	buffer_load_dword v235, off, s[0:3], 0 offset:988
	buffer_load_dword v234, off, s[0:3], 0 offset:984
	;; [unrolled: 1-line block ×4, first 2 shown]
	s_waitcnt lgkmcnt(1)
	v_mul_f64 v[156:157], v[14:15], v[86:87]
	v_fmac_f64_e32 v[156:157], v[16:17], v[88:89]
	v_add_f64 v[158:159], v[154:155], v[156:157]
	ds_read_b128 v[154:157], v152 offset:1648
	s_waitcnt lgkmcnt(1)
	v_mul_f64 v[160:161], v[122:123], v[82:83]
	v_fmac_f64_e32 v[160:161], v[124:125], v[84:85]
	v_add_f64 v[162:163], v[158:159], v[160:161]
	ds_read_b128 v[158:161], v152 offset:1664
	v_mul_f64 v[32:33], v[32:33], v[46:47]
	s_waitcnt lgkmcnt(1)
	v_mul_f64 v[164:165], v[154:155], v[94:95]
	v_fma_f64 v[30:31], v[30:31], v[80:81], -v[32:33]
	v_fmac_f64_e32 v[164:165], v[156:157], v[96:97]
	v_add_f64 v[166:167], v[162:163], v[164:165]
	ds_read_b128 v[162:165], v152 offset:1680
	s_waitcnt lgkmcnt(1)
	v_mul_f64 v[168:169], v[158:159], v[90:91]
	v_fmac_f64_e32 v[168:169], v[160:161], v[92:93]
	v_add_f64 v[170:171], v[166:167], v[168:169]
	ds_read_b128 v[166:169], v152 offset:1696
	s_waitcnt vmcnt(62) lgkmcnt(1)
	v_mul_f64 v[172:173], v[162:163], v[102:103]
	s_waitcnt vmcnt(60)
	v_fmac_f64_e32 v[172:173], v[164:165], v[104:105]
	v_add_f64 v[174:175], v[170:171], v[172:173]
	ds_read_b128 v[170:173], v152 offset:1712
	s_waitcnt lgkmcnt(1)
	v_mul_f64 v[176:177], v[166:167], v[98:99]
	v_fmac_f64_e32 v[176:177], v[168:169], v[100:101]
	v_add_f64 v[178:179], v[174:175], v[176:177]
	ds_read_b128 v[174:177], v152 offset:1728
	s_waitcnt vmcnt(54) lgkmcnt(1)
	v_mul_f64 v[180:181], v[170:171], v[110:111]
	s_waitcnt vmcnt(52)
	;; [unrolled: 11-line block ×7, first 2 shown]
	v_fmac_f64_e32 v[220:221], v[212:213], v[224:225]
	v_add_f64 v[238:239], v[218:219], v[220:221]
	ds_read_b128 v[218:221], v152 offset:1904
	s_waitcnt lgkmcnt(1)
	v_mul_f64 v[240:241], v[214:215], v[0:1]
	v_fmac_f64_e32 v[240:241], v[216:217], v[150:151]
	v_add_f64 v[238:239], v[238:239], v[240:241]
	v_fma_f64 v[240:241], v[38:39], v[48:49], -v[40:41]
	ds_read_b128 v[38:41], v152 offset:1920
	ds_read_b128 v[48:51], v152 offset:1936
	s_waitcnt vmcnt(6) lgkmcnt(2)
	v_mul_f64 v[242:243], v[218:219], v[230:231]
	s_waitcnt vmcnt(4)
	v_fmac_f64_e32 v[242:243], v[220:221], v[232:233]
	v_add_f64 v[152:153], v[238:239], v[242:243]
	s_waitcnt lgkmcnt(1)
	v_mul_f64 v[238:239], v[38:39], v[226:227]
	v_fmac_f64_e32 v[238:239], v[40:41], v[228:229]
	v_add_f64 v[152:153], v[152:153], v[238:239]
	s_waitcnt vmcnt(2) lgkmcnt(0)
	v_mul_f64 v[238:239], v[48:49], v[234:235]
	s_waitcnt vmcnt(0)
	v_fmac_f64_e32 v[238:239], v[50:51], v[236:237]
	v_add_f64 v[152:153], v[152:153], v[238:239]
	v_add_f64 v[238:239], v[240:241], 0
	;; [unrolled: 1-line block ×3, first 2 shown]
	v_mul_f64 v[28:29], v[28:29], v[56:57]
	v_add_f64 v[30:31], v[34:35], v[30:31]
	v_fma_f64 v[26:27], v[26:27], v[78:79], -v[28:29]
	v_add_f64 v[26:27], v[30:31], v[26:27]
	v_mul_f64 v[20:21], v[20:21], v[62:63]
	v_add_f64 v[22:23], v[26:27], v[22:23]
	v_fma_f64 v[18:19], v[18:19], v[76:77], -v[20:21]
	v_add_f64 v[18:19], v[22:23], v[18:19]
	v_fma_f64 v[10:11], v[10:11], v[72:73], -v[12:13]
	v_mul_f64 v[8:9], v[8:9], v[68:69]
	v_add_f64 v[10:11], v[18:19], v[10:11]
	v_fma_f64 v[6:7], v[6:7], v[74:75], -v[8:9]
	v_mul_f64 v[4:5], v[4:5], v[64:65]
	;; [unrolled: 3-line block ×3, first 2 shown]
	v_add_f64 v[2:3], v[6:7], v[2:3]
	v_fma_f64 v[4:5], v[14:15], v[88:89], -v[4:5]
	v_add_f64 v[2:3], v[2:3], v[4:5]
	v_mul_f64 v[4:5], v[124:125], v[82:83]
	v_fma_f64 v[4:5], v[122:123], v[84:85], -v[4:5]
	v_add_f64 v[2:3], v[2:3], v[4:5]
	v_mul_f64 v[4:5], v[156:157], v[94:95]
	;; [unrolled: 3-line block ×16, first 2 shown]
	v_fma_f64 v[4:5], v[210:211], v[224:225], -v[4:5]
	v_mul_f64 v[0:1], v[216:217], v[0:1]
	v_add_f64 v[2:3], v[2:3], v[4:5]
	v_fma_f64 v[0:1], v[214:215], v[150:151], -v[0:1]
	v_add_f64 v[0:1], v[2:3], v[0:1]
	v_mul_f64 v[2:3], v[220:221], v[230:231]
	v_fma_f64 v[2:3], v[218:219], v[232:233], -v[2:3]
	v_add_f64 v[0:1], v[0:1], v[2:3]
	v_mul_f64 v[2:3], v[40:41], v[226:227]
	;; [unrolled: 3-line block ×3, first 2 shown]
	v_fma_f64 v[2:3], v[48:49], v[236:237], -v[2:3]
	v_add_f64 v[0:1], v[0:1], v[2:3]
	v_accvgpr_read_b32 v233, a182
	v_add_f64 v[0:1], v[60:61], -v[0:1]
	v_cmp_lt_u32_e32 vcc, 29, v233
	v_add_f64 v[2:3], v[58:59], -v[152:153]
	buffer_store_dword v1, off, s[0:3], 0 offset:500
	buffer_store_dword v0, off, s[0:3], 0 offset:496
	;; [unrolled: 1-line block ×4, first 2 shown]
	s_and_saveexec_b64 s[4:5], vcc
	s_cbranch_execz .LBB60_333
; %bb.332:
	v_accvgpr_read_b32 v0, a153
	buffer_load_dword v2, v0, s[0:3], 0 offen
	buffer_load_dword v3, v0, s[0:3], 0 offen offset:4
	buffer_load_dword v4, v0, s[0:3], 0 offen offset:8
	;; [unrolled: 1-line block ×3, first 2 shown]
	v_mov_b32_e32 v0, 0
	v_accvgpr_read_b32 v1, a183
	buffer_store_dword v0, off, s[0:3], 0 offset:480
	buffer_store_dword v0, off, s[0:3], 0 offset:484
	buffer_store_dword v0, off, s[0:3], 0 offset:488
	buffer_store_dword v0, off, s[0:3], 0 offset:492
	s_waitcnt vmcnt(4)
	ds_write_b128 v1, v[2:5]
.LBB60_333:
	s_or_b64 exec, exec, s[4:5]
	s_waitcnt lgkmcnt(0)
	; wave barrier
	s_waitcnt lgkmcnt(0)
	buffer_load_dword v106, off, s[0:3], 0 offset:496
	buffer_load_dword v107, off, s[0:3], 0 offset:500
	buffer_load_dword v108, off, s[0:3], 0 offset:504
	buffer_load_dword v109, off, s[0:3], 0 offset:508
	buffer_load_dword v114, off, s[0:3], 0 offset:512
	buffer_load_dword v115, off, s[0:3], 0 offset:516
	buffer_load_dword v116, off, s[0:3], 0 offset:520
	buffer_load_dword v117, off, s[0:3], 0 offset:524
	buffer_load_dword v118, off, s[0:3], 0 offset:536
	buffer_load_dword v119, off, s[0:3], 0 offset:540
	buffer_load_dword v121, off, s[0:3], 0 offset:572
	buffer_load_dword v120, off, s[0:3], 0 offset:568
	buffer_load_dword v123, off, s[0:3], 0 offset:564
	buffer_load_dword v122, off, s[0:3], 0 offset:560
	buffer_load_dword v125, off, s[0:3], 0 offset:556
	buffer_load_dword v124, off, s[0:3], 0 offset:552
	buffer_load_dword v127, off, s[0:3], 0 offset:604
	buffer_load_dword v126, off, s[0:3], 0 offset:600
	buffer_load_dword v129, off, s[0:3], 0 offset:596
	buffer_load_dword v128, off, s[0:3], 0 offset:592
	buffer_load_dword v131, off, s[0:3], 0 offset:588
	buffer_load_dword v130, off, s[0:3], 0 offset:584
	buffer_load_dword v133, off, s[0:3], 0 offset:636
	buffer_load_dword v132, off, s[0:3], 0 offset:632
	buffer_load_dword v135, off, s[0:3], 0 offset:628
	buffer_load_dword v134, off, s[0:3], 0 offset:624
	buffer_load_dword v141, off, s[0:3], 0 offset:620
	buffer_load_dword v140, off, s[0:3], 0 offset:616
	buffer_load_dword v137, off, s[0:3], 0 offset:652
	buffer_load_dword v136, off, s[0:3], 0 offset:648
	buffer_load_dword v154, off, s[0:3], 0 offset:528
	buffer_load_dword v155, off, s[0:3], 0 offset:532
	buffer_load_dword v153, off, s[0:3], 0 offset:548
	buffer_load_dword v152, off, s[0:3], 0 offset:544
	buffer_load_dword v149, off, s[0:3], 0 offset:580
	buffer_load_dword v148, off, s[0:3], 0 offset:576
	buffer_load_dword v147, off, s[0:3], 0 offset:612
	buffer_load_dword v146, off, s[0:3], 0 offset:608
	buffer_load_dword v145, off, s[0:3], 0 offset:644
	buffer_load_dword v144, off, s[0:3], 0 offset:640
	buffer_load_dword v142, off, s[0:3], 0 offset:664
	buffer_load_dword v156, off, s[0:3], 0 offset:656
	buffer_load_dword v157, off, s[0:3], 0 offset:660
	buffer_load_dword v138, off, s[0:3], 0 offset:480
	buffer_load_dword v139, off, s[0:3], 0 offset:484
	buffer_load_dword v143, off, s[0:3], 0 offset:668
	buffer_load_dword v159, off, s[0:3], 0 offset:700
	buffer_load_dword v158, off, s[0:3], 0 offset:696
	buffer_load_dword v161, off, s[0:3], 0 offset:692
	v_mov_b32_e32 v232, 0
	ds_read_b128 v[110:113], v232 offset:1456
	ds_read_b128 v[234:237], v232 offset:1472
	;; [unrolled: 1-line block ×10, first 2 shown]
	buffer_load_dword v160, off, s[0:3], 0 offset:688
	buffer_load_dword v175, off, s[0:3], 0 offset:684
	;; [unrolled: 1-line block ×69, first 2 shown]
	v_cmp_lt_u32_e32 vcc, 28, v233
	s_waitcnt vmcnt(62) lgkmcnt(9)
	v_mul_f64 v[0:1], v[110:111], v[108:109]
	v_fmac_f64_e32 v[0:1], v[112:113], v[106:107]
	v_add_f64 v[0:1], v[0:1], 0
	v_mul_f64 v[108:109], v[112:113], v[108:109]
	s_waitcnt lgkmcnt(8)
	v_mul_f64 v[34:35], v[234:235], v[116:117]
	v_fmac_f64_e32 v[34:35], v[236:237], v[114:115]
	s_waitcnt lgkmcnt(7)
	v_mul_f64 v[36:37], v[30:31], v[118:119]
	v_add_f64 v[0:1], v[0:1], v[34:35]
	s_waitcnt lgkmcnt(5)
	v_mul_f64 v[40:41], v[22:23], v[120:121]
	v_mul_f64 v[116:117], v[236:237], v[116:117]
	v_fmac_f64_e32 v[40:41], v[24:25], v[122:123]
	v_fma_f64 v[248:249], v[110:111], v[106:107], -v[108:109]
	v_mul_f64 v[38:39], v[26:27], v[124:125]
	v_fma_f64 v[250:251], v[234:235], v[114:115], -v[116:117]
	s_waitcnt lgkmcnt(3)
	v_mul_f64 v[44:45], v[14:15], v[126:127]
	v_mul_f64 v[24:25], v[24:25], v[120:121]
	v_fmac_f64_e32 v[44:45], v[16:17], v[128:129]
	v_fma_f64 v[22:23], v[22:23], v[122:123], -v[24:25]
	v_mul_f64 v[42:43], v[18:19], v[130:131]
	v_mul_f64 v[16:17], v[16:17], v[126:127]
	s_waitcnt lgkmcnt(1)
	v_mul_f64 v[48:49], v[6:7], v[132:133]
	v_fma_f64 v[14:15], v[14:15], v[128:129], -v[16:17]
	v_fmac_f64_e32 v[48:49], v[8:9], v[134:135]
	v_mul_f64 v[8:9], v[8:9], v[132:133]
	v_mul_f64 v[46:47], v[10:11], v[140:141]
	v_fma_f64 v[6:7], v[6:7], v[134:135], -v[8:9]
	s_waitcnt lgkmcnt(0)
	v_mul_f64 v[50:51], v[2:3], v[136:137]
	v_fmac_f64_e32 v[36:37], v[32:33], v[154:155]
	v_add_f64 v[0:1], v[0:1], v[36:37]
	v_fmac_f64_e32 v[38:39], v[28:29], v[152:153]
	v_add_f64 v[0:1], v[0:1], v[38:39]
	v_add_f64 v[0:1], v[0:1], v[40:41]
	ds_read_b128 v[38:41], v232 offset:1616
	ds_read_b128 v[34:37], v232 offset:1632
	buffer_load_dword v223, off, s[0:3], 0 offset:988
	buffer_load_dword v222, off, s[0:3], 0 offset:984
	;; [unrolled: 1-line block ×8, first 2 shown]
	v_fmac_f64_e32 v[42:43], v[20:21], v[148:149]
	v_add_f64 v[0:1], v[0:1], v[42:43]
	v_fmac_f64_e32 v[46:47], v[12:13], v[146:147]
	v_add_f64 v[0:1], v[0:1], v[44:45]
	v_add_f64 v[0:1], v[0:1], v[46:47]
	v_fmac_f64_e32 v[50:51], v[4:5], v[144:145]
	v_add_f64 v[0:1], v[0:1], v[48:49]
	s_waitcnt lgkmcnt(1)
	v_mul_f64 v[42:43], v[38:39], v[142:143]
	v_add_f64 v[0:1], v[0:1], v[50:51]
	v_fmac_f64_e32 v[42:43], v[40:41], v[156:157]
	v_add_f64 v[0:1], v[0:1], v[42:43]
	ds_read_b128 v[42:45], v232 offset:1648
	s_waitcnt lgkmcnt(1)
	v_mul_f64 v[46:47], v[34:35], v[174:175]
	v_fmac_f64_e32 v[46:47], v[36:37], v[178:179]
	v_add_f64 v[0:1], v[0:1], v[46:47]
	ds_read_b128 v[46:49], v232 offset:1664
	s_waitcnt lgkmcnt(1)
	v_mul_f64 v[50:51], v[42:43], v[158:159]
	v_fmac_f64_e32 v[50:51], v[44:45], v[160:161]
	v_add_f64 v[0:1], v[0:1], v[50:51]
	ds_read_b128 v[50:53], v232 offset:1680
	s_waitcnt vmcnt(62) lgkmcnt(1)
	v_mul_f64 v[54:55], v[46:47], v[182:183]
	v_fmac_f64_e32 v[54:55], v[48:49], v[186:187]
	v_add_f64 v[0:1], v[0:1], v[54:55]
	ds_read_b128 v[54:57], v232 offset:1696
	s_waitcnt lgkmcnt(1)
	v_mul_f64 v[58:59], v[50:51], v[162:163]
	v_fmac_f64_e32 v[58:59], v[52:53], v[164:165]
	v_add_f64 v[0:1], v[0:1], v[58:59]
	ds_read_b128 v[58:61], v232 offset:1712
	s_waitcnt vmcnt(58) lgkmcnt(1)
	v_mul_f64 v[62:63], v[54:55], v[190:191]
	s_waitcnt vmcnt(56)
	v_fmac_f64_e32 v[62:63], v[56:57], v[194:195]
	v_add_f64 v[0:1], v[0:1], v[62:63]
	ds_read_b128 v[62:65], v232 offset:1728
	s_waitcnt lgkmcnt(1)
	v_mul_f64 v[66:67], v[58:59], v[166:167]
	v_fmac_f64_e32 v[66:67], v[60:61], v[168:169]
	v_add_f64 v[0:1], v[0:1], v[66:67]
	ds_read_b128 v[66:69], v232 offset:1744
	s_waitcnt vmcnt(50) lgkmcnt(1)
	v_mul_f64 v[70:71], v[62:63], v[198:199]
	s_waitcnt vmcnt(48)
	;; [unrolled: 11-line block ×5, first 2 shown]
	v_fmac_f64_e32 v[94:95], v[88:89], v[220:221]
	v_add_f64 v[0:1], v[0:1], v[94:95]
	ds_read_b128 v[94:97], v232 offset:1856
	s_waitcnt lgkmcnt(1)
	v_mul_f64 v[98:99], v[90:91], v[192:193]
	v_fmac_f64_e32 v[98:99], v[92:93], v[196:197]
	v_add_f64 v[0:1], v[0:1], v[98:99]
	ds_read_b128 v[98:101], v232 offset:1872
	ds_read_b128 v[102:105], v232 offset:1888
	;; [unrolled: 1-line block ×5, first 2 shown]
	buffer_load_dword v252, off, s[0:3], 0 offset:488
	buffer_load_dword v253, off, s[0:3], 0 offset:492
	s_waitcnt vmcnt(20) lgkmcnt(5)
	v_mul_f64 v[150:151], v[94:95], v[224:225]
	s_waitcnt vmcnt(18)
	v_fmac_f64_e32 v[150:151], v[96:97], v[228:229]
	v_add_f64 v[0:1], v[0:1], v[150:151]
	s_waitcnt lgkmcnt(4)
	v_mul_f64 v[150:151], v[98:99], v[200:201]
	v_fmac_f64_e32 v[150:151], v[100:101], v[204:205]
	v_add_f64 v[0:1], v[0:1], v[150:151]
	s_waitcnt vmcnt(12) lgkmcnt(3)
	v_mul_f64 v[150:151], v[102:103], v[230:231]
	s_waitcnt vmcnt(10)
	v_fmac_f64_e32 v[150:151], v[104:105], v[240:241]
	v_add_f64 v[0:1], v[0:1], v[150:151]
	s_waitcnt lgkmcnt(2)
	v_mul_f64 v[150:151], v[110:111], v[208:209]
	v_fmac_f64_e32 v[150:151], v[112:113], v[212:213]
	v_add_f64 v[0:1], v[0:1], v[150:151]
	;; [unrolled: 9-line block ×3, first 2 shown]
	v_add_f64 v[0:1], v[248:249], 0
	v_mul_f64 v[32:33], v[32:33], v[118:119]
	v_add_f64 v[0:1], v[0:1], v[250:251]
	v_fma_f64 v[30:31], v[30:31], v[154:155], -v[32:33]
	v_mul_f64 v[28:29], v[28:29], v[124:125]
	v_add_f64 v[0:1], v[0:1], v[30:31]
	v_fma_f64 v[26:27], v[26:27], v[152:153], -v[28:29]
	v_add_f64 v[0:1], v[0:1], v[26:27]
	v_mul_f64 v[20:21], v[20:21], v[130:131]
	v_add_f64 v[0:1], v[0:1], v[22:23]
	v_fma_f64 v[18:19], v[18:19], v[148:149], -v[20:21]
	v_add_f64 v[0:1], v[0:1], v[18:19]
	;; [unrolled: 4-line block ×4, first 2 shown]
	v_mul_f64 v[2:3], v[40:41], v[142:143]
	v_fma_f64 v[2:3], v[38:39], v[156:157], -v[2:3]
	v_add_f64 v[0:1], v[0:1], v[2:3]
	v_mul_f64 v[2:3], v[36:37], v[174:175]
	v_fma_f64 v[2:3], v[34:35], v[178:179], -v[2:3]
	v_add_f64 v[0:1], v[0:1], v[2:3]
	v_mul_f64 v[2:3], v[44:45], v[158:159]
	v_fma_f64 v[2:3], v[42:43], v[160:161], -v[2:3]
	v_add_f64 v[0:1], v[0:1], v[2:3]
	v_mul_f64 v[2:3], v[48:49], v[182:183]
	v_fma_f64 v[2:3], v[46:47], v[186:187], -v[2:3]
	v_add_f64 v[0:1], v[0:1], v[2:3]
	v_mul_f64 v[2:3], v[52:53], v[162:163]
	v_fma_f64 v[2:3], v[50:51], v[164:165], -v[2:3]
	v_add_f64 v[0:1], v[0:1], v[2:3]
	v_mul_f64 v[2:3], v[56:57], v[190:191]
	v_fma_f64 v[2:3], v[54:55], v[194:195], -v[2:3]
	v_add_f64 v[0:1], v[0:1], v[2:3]
	v_mul_f64 v[2:3], v[60:61], v[166:167]
	v_fma_f64 v[2:3], v[58:59], v[168:169], -v[2:3]
	v_add_f64 v[0:1], v[0:1], v[2:3]
	v_mul_f64 v[2:3], v[64:65], v[198:199]
	v_fma_f64 v[2:3], v[62:63], v[202:203], -v[2:3]
	v_add_f64 v[0:1], v[0:1], v[2:3]
	v_mul_f64 v[2:3], v[68:69], v[170:171]
	v_fma_f64 v[2:3], v[66:67], v[172:173], -v[2:3]
	v_add_f64 v[0:1], v[0:1], v[2:3]
	v_mul_f64 v[2:3], v[72:73], v[206:207]
	v_fma_f64 v[2:3], v[70:71], v[210:211], -v[2:3]
	v_add_f64 v[0:1], v[0:1], v[2:3]
	v_mul_f64 v[2:3], v[76:77], v[176:177]
	v_fma_f64 v[2:3], v[74:75], v[180:181], -v[2:3]
	v_add_f64 v[0:1], v[0:1], v[2:3]
	v_mul_f64 v[2:3], v[80:81], v[214:215]
	v_fma_f64 v[2:3], v[78:79], v[216:217], -v[2:3]
	v_add_f64 v[0:1], v[0:1], v[2:3]
	v_mul_f64 v[2:3], v[84:85], v[184:185]
	v_fma_f64 v[2:3], v[82:83], v[188:189], -v[2:3]
	v_add_f64 v[0:1], v[0:1], v[2:3]
	v_mul_f64 v[2:3], v[88:89], v[218:219]
	v_fma_f64 v[2:3], v[86:87], v[220:221], -v[2:3]
	v_add_f64 v[0:1], v[0:1], v[2:3]
	v_mul_f64 v[2:3], v[92:93], v[192:193]
	v_fma_f64 v[2:3], v[90:91], v[196:197], -v[2:3]
	v_add_f64 v[0:1], v[0:1], v[2:3]
	v_mul_f64 v[2:3], v[96:97], v[224:225]
	v_fma_f64 v[2:3], v[94:95], v[228:229], -v[2:3]
	v_add_f64 v[0:1], v[0:1], v[2:3]
	v_mul_f64 v[2:3], v[100:101], v[200:201]
	v_fma_f64 v[2:3], v[98:99], v[204:205], -v[2:3]
	v_add_f64 v[0:1], v[0:1], v[2:3]
	v_mul_f64 v[2:3], v[104:105], v[230:231]
	v_fma_f64 v[2:3], v[102:103], v[240:241], -v[2:3]
	v_add_f64 v[0:1], v[0:1], v[2:3]
	v_mul_f64 v[2:3], v[112:113], v[208:209]
	v_fma_f64 v[2:3], v[110:111], v[212:213], -v[2:3]
	v_add_f64 v[0:1], v[0:1], v[2:3]
	v_mul_f64 v[2:3], v[108:109], v[242:243]
	v_fma_f64 v[2:3], v[106:107], v[244:245], -v[2:3]
	v_add_f64 v[0:1], v[0:1], v[2:3]
	v_mul_f64 v[2:3], v[116:117], v[222:223]
	v_fma_f64 v[2:3], v[114:115], v[226:227], -v[2:3]
	v_add_f64 v[0:1], v[0:1], v[2:3]
	v_add_f64 v[0:1], v[138:139], -v[0:1]
	s_waitcnt vmcnt(0)
	v_add_f64 v[2:3], v[252:253], -v[246:247]
	buffer_store_dword v1, off, s[0:3], 0 offset:484
	buffer_store_dword v0, off, s[0:3], 0 offset:480
	;; [unrolled: 1-line block ×4, first 2 shown]
	s_and_saveexec_b64 s[4:5], vcc
	s_cbranch_execz .LBB60_335
; %bb.334:
	v_accvgpr_read_b32 v0, a154
	buffer_load_dword v2, v0, s[0:3], 0 offen
	buffer_load_dword v3, v0, s[0:3], 0 offen offset:4
	buffer_load_dword v4, v0, s[0:3], 0 offen offset:8
	;; [unrolled: 1-line block ×3, first 2 shown]
	v_accvgpr_read_b32 v0, a183
	buffer_store_dword v232, off, s[0:3], 0 offset:464
	buffer_store_dword v232, off, s[0:3], 0 offset:468
	;; [unrolled: 1-line block ×4, first 2 shown]
	s_waitcnt vmcnt(4)
	ds_write_b128 v0, v[2:5]
.LBB60_335:
	s_or_b64 exec, exec, s[4:5]
	s_waitcnt lgkmcnt(0)
	; wave barrier
	s_waitcnt lgkmcnt(0)
	buffer_load_dword v112, off, s[0:3], 0 offset:480
	buffer_load_dword v113, off, s[0:3], 0 offset:484
	;; [unrolled: 1-line block ×36, first 2 shown]
	ds_read_b128 v[102:105], v232 offset:1440
	ds_read_b128 v[106:109], v232 offset:1456
	;; [unrolled: 1-line block ×9, first 2 shown]
	buffer_load_dword v143, off, s[0:3], 0 offset:652
	buffer_load_dword v142, off, s[0:3], 0 offset:648
	;; [unrolled: 1-line block ×78, first 2 shown]
	v_cmp_lt_u32_e32 vcc, 27, v233
	s_waitcnt vmcnt(62) lgkmcnt(8)
	v_mul_f64 v[0:1], v[102:103], v[246:247]
	v_fmac_f64_e32 v[0:1], v[104:105], v[112:113]
	v_add_f64 v[0:1], v[0:1], 0
	v_mul_f64 v[104:105], v[104:105], v[246:247]
	s_waitcnt lgkmcnt(7)
	v_mul_f64 v[26:27], v[106:107], v[248:249]
	v_fmac_f64_e32 v[26:27], v[108:109], v[110:111]
	s_waitcnt lgkmcnt(6)
	v_mul_f64 v[28:29], v[114:115], v[244:245]
	v_add_f64 v[0:1], v[0:1], v[26:27]
	s_waitcnt lgkmcnt(4)
	v_mul_f64 v[32:33], v[18:19], v[118:119]
	v_fma_f64 v[246:247], v[102:103], v[112:113], -v[104:105]
	v_fmac_f64_e32 v[32:33], v[20:21], v[120:121]
	v_mul_f64 v[108:109], v[108:109], v[248:249]
	v_mul_f64 v[30:31], v[22:23], v[122:123]
	v_fma_f64 v[248:249], v[106:107], v[110:111], -v[108:109]
	s_waitcnt lgkmcnt(2)
	v_mul_f64 v[36:37], v[10:11], v[124:125]
	v_mul_f64 v[20:21], v[20:21], v[118:119]
	v_fmac_f64_e32 v[36:37], v[12:13], v[126:127]
	v_fma_f64 v[18:19], v[18:19], v[120:121], -v[20:21]
	v_mul_f64 v[34:35], v[14:15], v[130:131]
	v_mul_f64 v[12:13], v[12:13], v[124:125]
	s_waitcnt lgkmcnt(1)
	v_mul_f64 v[38:39], v[6:7], v[128:129]
	v_fma_f64 v[10:11], v[10:11], v[126:127], -v[12:13]
	v_fmac_f64_e32 v[28:29], v[116:117], v[250:251]
	v_add_f64 v[0:1], v[0:1], v[28:29]
	v_fmac_f64_e32 v[30:31], v[24:25], v[138:139]
	v_add_f64 v[0:1], v[0:1], v[30:31]
	;; [unrolled: 2-line block ×3, first 2 shown]
	v_add_f64 v[0:1], v[0:1], v[34:35]
	v_fmac_f64_e32 v[38:39], v[8:9], v[134:135]
	v_add_f64 v[0:1], v[0:1], v[36:37]
	v_add_f64 v[0:1], v[0:1], v[38:39]
	s_waitcnt lgkmcnt(0)
	v_mul_f64 v[30:31], v[2:3], v[132:133]
	v_fmac_f64_e32 v[30:31], v[4:5], v[140:141]
	ds_read_b128 v[26:29], v232 offset:1584
	v_add_f64 v[0:1], v[0:1], v[30:31]
	ds_read_b128 v[30:33], v232 offset:1600
	buffer_load_dword v223, off, s[0:3], 0 offset:916
	buffer_load_dword v222, off, s[0:3], 0 offset:912
	v_mul_f64 v[116:117], v[116:117], v[244:245]
	s_waitcnt lgkmcnt(1)
	v_mul_f64 v[34:35], v[26:27], v[146:147]
	v_fmac_f64_e32 v[34:35], v[28:29], v[148:149]
	v_add_f64 v[0:1], v[0:1], v[34:35]
	ds_read_b128 v[34:37], v232 offset:1616
	s_waitcnt lgkmcnt(1)
	v_mul_f64 v[38:39], v[30:31], v[142:143]
	v_fmac_f64_e32 v[38:39], v[32:33], v[144:145]
	v_add_f64 v[0:1], v[0:1], v[38:39]
	ds_read_b128 v[38:41], v232 offset:1632
	s_waitcnt lgkmcnt(1)
	v_mul_f64 v[42:43], v[34:35], v[160:161]
	v_fmac_f64_e32 v[42:43], v[36:37], v[162:163]
	v_add_f64 v[0:1], v[0:1], v[42:43]
	ds_read_b128 v[42:45], v232 offset:1648
	s_waitcnt lgkmcnt(1)
	v_mul_f64 v[46:47], v[38:39], v[152:153]
	v_fmac_f64_e32 v[46:47], v[40:41], v[154:155]
	v_add_f64 v[0:1], v[0:1], v[46:47]
	ds_read_b128 v[46:49], v232 offset:1664
	buffer_load_dword v225, off, s[0:3], 0 offset:972
	buffer_load_dword v227, off, s[0:3], 0 offset:956
	;; [unrolled: 1-line block ×12, first 2 shown]
	s_waitcnt vmcnt(62) lgkmcnt(1)
	v_mul_f64 v[50:51], v[42:43], v[176:177]
	v_fmac_f64_e32 v[50:51], v[44:45], v[180:181]
	v_add_f64 v[0:1], v[0:1], v[50:51]
	ds_read_b128 v[50:53], v232 offset:1680
	s_waitcnt lgkmcnt(1)
	v_mul_f64 v[54:55], v[46:47], v[156:157]
	v_fmac_f64_e32 v[54:55], v[48:49], v[158:159]
	v_add_f64 v[0:1], v[0:1], v[54:55]
	ds_read_b128 v[54:57], v232 offset:1696
	s_waitcnt lgkmcnt(1)
	v_mul_f64 v[58:59], v[50:51], v[184:185]
	s_waitcnt vmcnt(60)
	v_fmac_f64_e32 v[58:59], v[52:53], v[188:189]
	v_add_f64 v[0:1], v[0:1], v[58:59]
	ds_read_b128 v[58:61], v232 offset:1712
	s_waitcnt lgkmcnt(1)
	v_mul_f64 v[62:63], v[54:55], v[164:165]
	v_fmac_f64_e32 v[62:63], v[56:57], v[166:167]
	v_add_f64 v[0:1], v[0:1], v[62:63]
	ds_read_b128 v[62:65], v232 offset:1728
	s_waitcnt vmcnt(54) lgkmcnt(1)
	v_mul_f64 v[66:67], v[58:59], v[192:193]
	s_waitcnt vmcnt(52)
	v_fmac_f64_e32 v[66:67], v[60:61], v[196:197]
	v_add_f64 v[0:1], v[0:1], v[66:67]
	ds_read_b128 v[66:69], v232 offset:1744
	s_waitcnt lgkmcnt(1)
	v_mul_f64 v[70:71], v[62:63], v[168:169]
	v_fmac_f64_e32 v[70:71], v[64:65], v[170:171]
	v_add_f64 v[0:1], v[0:1], v[70:71]
	ds_read_b128 v[70:73], v232 offset:1760
	s_waitcnt vmcnt(46) lgkmcnt(1)
	;; [unrolled: 11-line block ×4, first 2 shown]
	v_mul_f64 v[90:91], v[82:83], v[212:213]
	s_waitcnt vmcnt(28)
	v_fmac_f64_e32 v[90:91], v[84:85], v[214:215]
	v_add_f64 v[0:1], v[0:1], v[90:91]
	ds_read_b128 v[90:93], v232 offset:1840
	ds_read_b128 v[94:97], v232 offset:1856
	s_waitcnt lgkmcnt(2)
	v_mul_f64 v[98:99], v[86:87], v[186:187]
	v_fmac_f64_e32 v[98:99], v[88:89], v[190:191]
	v_add_f64 v[0:1], v[0:1], v[98:99]
	s_waitcnt vmcnt(22) lgkmcnt(1)
	v_mul_f64 v[98:99], v[90:91], v[216:217]
	s_waitcnt vmcnt(20)
	v_fmac_f64_e32 v[98:99], v[92:93], v[218:219]
	v_add_f64 v[0:1], v[0:1], v[98:99]
	s_waitcnt lgkmcnt(0)
	v_mul_f64 v[98:99], v[94:95], v[194:195]
	v_fmac_f64_e32 v[98:99], v[96:97], v[198:199]
	v_add_f64 v[0:1], v[0:1], v[98:99]
	ds_read_b128 v[98:101], v232 offset:1872
	ds_read_b128 v[102:105], v232 offset:1888
	;; [unrolled: 1-line block ×3, first 2 shown]
	v_fma_f64 v[250:251], v[114:115], v[250:251], -v[116:117]
	ds_read_b128 v[114:117], v232 offset:1936
	s_waitcnt vmcnt(14) lgkmcnt(3)
	v_mul_f64 v[112:113], v[98:99], v[220:221]
	s_waitcnt lgkmcnt(2)
	v_mul_f64 v[110:111], v[102:103], v[202:203]
	s_waitcnt vmcnt(12)
	v_fmac_f64_e32 v[112:113], v[100:101], v[222:223]
	v_add_f64 v[0:1], v[0:1], v[112:113]
	v_fmac_f64_e32 v[110:111], v[104:105], v[206:207]
	v_add_f64 v[0:1], v[0:1], v[110:111]
	ds_read_b128 v[110:113], v232 offset:1920
	buffer_load_dword v254, off, s[0:3], 0 offset:464
	buffer_load_dword v255, off, s[0:3], 0 offset:468
	;; [unrolled: 1-line block ×4, first 2 shown]
	v_mul_f64 v[24:25], v[24:25], v[122:123]
	v_fma_f64 v[22:23], v[22:23], v[138:139], -v[24:25]
	v_mul_f64 v[16:17], v[16:17], v[130:131]
	s_waitcnt vmcnt(13) lgkmcnt(2)
	v_mul_f64 v[150:151], v[106:107], v[226:227]
	v_fma_f64 v[14:15], v[14:15], v[136:137], -v[16:17]
	s_waitcnt vmcnt(11)
	v_fmac_f64_e32 v[150:151], v[108:109], v[240:241]
	v_add_f64 v[0:1], v[0:1], v[150:151]
	s_waitcnt vmcnt(10) lgkmcnt(0)
	v_mul_f64 v[150:151], v[110:111], v[224:225]
	s_waitcnt vmcnt(8)
	v_fmac_f64_e32 v[150:151], v[112:113], v[230:231]
	v_add_f64 v[0:1], v[0:1], v[150:151]
	s_waitcnt vmcnt(6)
	v_mul_f64 v[150:151], v[114:115], v[228:229]
	v_mul_f64 v[8:9], v[8:9], v[128:129]
	s_waitcnt vmcnt(4)
	v_fmac_f64_e32 v[150:151], v[116:117], v[242:243]
	v_add_f64 v[244:245], v[0:1], v[150:151]
	v_add_f64 v[0:1], v[246:247], 0
	;; [unrolled: 1-line block ×8, first 2 shown]
	v_fma_f64 v[6:7], v[6:7], v[134:135], -v[8:9]
	v_mul_f64 v[4:5], v[4:5], v[132:133]
	v_add_f64 v[0:1], v[0:1], v[6:7]
	v_fma_f64 v[2:3], v[2:3], v[140:141], -v[4:5]
	v_add_f64 v[0:1], v[0:1], v[2:3]
	v_mul_f64 v[2:3], v[28:29], v[146:147]
	v_fma_f64 v[2:3], v[26:27], v[148:149], -v[2:3]
	v_add_f64 v[0:1], v[0:1], v[2:3]
	v_mul_f64 v[2:3], v[32:33], v[142:143]
	v_fma_f64 v[2:3], v[30:31], v[144:145], -v[2:3]
	v_add_f64 v[0:1], v[0:1], v[2:3]
	v_mul_f64 v[2:3], v[36:37], v[160:161]
	v_fma_f64 v[2:3], v[34:35], v[162:163], -v[2:3]
	v_add_f64 v[0:1], v[0:1], v[2:3]
	v_mul_f64 v[2:3], v[40:41], v[152:153]
	v_fma_f64 v[2:3], v[38:39], v[154:155], -v[2:3]
	v_add_f64 v[0:1], v[0:1], v[2:3]
	v_mul_f64 v[2:3], v[44:45], v[176:177]
	v_fma_f64 v[2:3], v[42:43], v[180:181], -v[2:3]
	v_add_f64 v[0:1], v[0:1], v[2:3]
	v_mul_f64 v[2:3], v[48:49], v[156:157]
	v_fma_f64 v[2:3], v[46:47], v[158:159], -v[2:3]
	v_add_f64 v[0:1], v[0:1], v[2:3]
	v_mul_f64 v[2:3], v[52:53], v[184:185]
	v_fma_f64 v[2:3], v[50:51], v[188:189], -v[2:3]
	v_add_f64 v[0:1], v[0:1], v[2:3]
	v_mul_f64 v[2:3], v[56:57], v[164:165]
	v_fma_f64 v[2:3], v[54:55], v[166:167], -v[2:3]
	v_add_f64 v[0:1], v[0:1], v[2:3]
	v_mul_f64 v[2:3], v[60:61], v[192:193]
	v_fma_f64 v[2:3], v[58:59], v[196:197], -v[2:3]
	v_add_f64 v[0:1], v[0:1], v[2:3]
	v_mul_f64 v[2:3], v[64:65], v[168:169]
	v_fma_f64 v[2:3], v[62:63], v[170:171], -v[2:3]
	v_add_f64 v[0:1], v[0:1], v[2:3]
	v_mul_f64 v[2:3], v[68:69], v[200:201]
	v_fma_f64 v[2:3], v[66:67], v[204:205], -v[2:3]
	v_add_f64 v[0:1], v[0:1], v[2:3]
	v_mul_f64 v[2:3], v[72:73], v[172:173]
	v_fma_f64 v[2:3], v[70:71], v[174:175], -v[2:3]
	v_add_f64 v[0:1], v[0:1], v[2:3]
	v_mul_f64 v[2:3], v[76:77], v[208:209]
	v_fma_f64 v[2:3], v[74:75], v[210:211], -v[2:3]
	v_add_f64 v[0:1], v[0:1], v[2:3]
	v_mul_f64 v[2:3], v[80:81], v[178:179]
	v_fma_f64 v[2:3], v[78:79], v[182:183], -v[2:3]
	v_add_f64 v[0:1], v[0:1], v[2:3]
	v_mul_f64 v[2:3], v[84:85], v[212:213]
	v_fma_f64 v[2:3], v[82:83], v[214:215], -v[2:3]
	v_add_f64 v[0:1], v[0:1], v[2:3]
	v_mul_f64 v[2:3], v[88:89], v[186:187]
	v_fma_f64 v[2:3], v[86:87], v[190:191], -v[2:3]
	v_add_f64 v[0:1], v[0:1], v[2:3]
	v_mul_f64 v[2:3], v[92:93], v[216:217]
	v_fma_f64 v[2:3], v[90:91], v[218:219], -v[2:3]
	v_add_f64 v[0:1], v[0:1], v[2:3]
	v_mul_f64 v[2:3], v[96:97], v[194:195]
	v_fma_f64 v[2:3], v[94:95], v[198:199], -v[2:3]
	v_add_f64 v[0:1], v[0:1], v[2:3]
	v_mul_f64 v[2:3], v[100:101], v[220:221]
	v_fma_f64 v[2:3], v[98:99], v[222:223], -v[2:3]
	v_add_f64 v[0:1], v[0:1], v[2:3]
	v_mul_f64 v[2:3], v[104:105], v[202:203]
	v_fma_f64 v[2:3], v[102:103], v[206:207], -v[2:3]
	v_add_f64 v[0:1], v[0:1], v[2:3]
	v_mul_f64 v[2:3], v[108:109], v[226:227]
	v_fma_f64 v[2:3], v[106:107], v[240:241], -v[2:3]
	v_add_f64 v[0:1], v[0:1], v[2:3]
	v_mul_f64 v[2:3], v[112:113], v[224:225]
	v_fma_f64 v[2:3], v[110:111], v[230:231], -v[2:3]
	v_add_f64 v[0:1], v[0:1], v[2:3]
	v_mul_f64 v[2:3], v[116:117], v[228:229]
	v_fma_f64 v[2:3], v[114:115], v[242:243], -v[2:3]
	v_add_f64 v[0:1], v[0:1], v[2:3]
	s_waitcnt vmcnt(2)
	v_add_f64 v[0:1], v[254:255], -v[0:1]
	s_waitcnt vmcnt(0)
	v_add_f64 v[2:3], v[252:253], -v[244:245]
	buffer_store_dword v1, off, s[0:3], 0 offset:468
	buffer_store_dword v0, off, s[0:3], 0 offset:464
	;; [unrolled: 1-line block ×4, first 2 shown]
	s_and_saveexec_b64 s[4:5], vcc
	s_cbranch_execz .LBB60_337
; %bb.336:
	v_accvgpr_read_b32 v0, a155
	buffer_load_dword v2, v0, s[0:3], 0 offen
	buffer_load_dword v3, v0, s[0:3], 0 offen offset:4
	buffer_load_dword v4, v0, s[0:3], 0 offen offset:8
	;; [unrolled: 1-line block ×3, first 2 shown]
	v_mov_b32_e32 v0, 0
	v_accvgpr_read_b32 v1, a183
	buffer_store_dword v0, off, s[0:3], 0 offset:448
	buffer_store_dword v0, off, s[0:3], 0 offset:452
	;; [unrolled: 1-line block ×4, first 2 shown]
	s_waitcnt vmcnt(4)
	ds_write_b128 v1, v[2:5]
.LBB60_337:
	s_or_b64 exec, exec, s[4:5]
	s_waitcnt lgkmcnt(0)
	; wave barrier
	s_waitcnt lgkmcnt(0)
	buffer_load_dword v94, off, s[0:3], 0 offset:464
	buffer_load_dword v95, off, s[0:3], 0 offset:468
	;; [unrolled: 1-line block ×52, first 2 shown]
	v_mov_b32_e32 v232, 0
	ds_read_b128 v[102:105], v232 offset:1424
	ds_read_b128 v[114:117], v232 offset:1440
	ds_read_b128 v[234:237], v232 offset:1456
	ds_read_b128 v[244:247], v232 offset:1472
	ds_read_b128 v[22:25], v232 offset:1488
	ds_read_b128 v[18:21], v232 offset:1504
	ds_read_b128 v[14:17], v232 offset:1520
	ds_read_b128 v[10:13], v232 offset:1536
	ds_read_b128 v[6:9], v232 offset:1552
	ds_read_b128 v[2:5], v232 offset:1568
	v_cmp_lt_u32_e32 vcc, 26, v233
	s_waitcnt vmcnt(48) lgkmcnt(9)
	v_mul_f64 v[0:1], v[102:103], v[96:97]
	v_fmac_f64_e32 v[0:1], v[104:105], v[94:95]
	v_add_f64 v[0:1], v[0:1], 0
	v_mul_f64 v[96:97], v[104:105], v[96:97]
	s_waitcnt vmcnt(44) lgkmcnt(8)
	v_mul_f64 v[26:27], v[114:115], v[100:101]
	v_fmac_f64_e32 v[26:27], v[116:117], v[98:99]
	s_waitcnt vmcnt(42) lgkmcnt(7)
	v_mul_f64 v[28:29], v[234:235], v[106:107]
	v_add_f64 v[0:1], v[0:1], v[26:27]
	s_waitcnt vmcnt(40) lgkmcnt(5)
	v_mul_f64 v[32:33], v[22:23], v[120:121]
	v_fma_f64 v[150:151], v[102:103], v[94:95], -v[96:97]
	s_waitcnt vmcnt(38)
	v_fmac_f64_e32 v[32:33], v[24:25], v[124:125]
	v_mul_f64 v[100:101], v[116:117], v[100:101]
	s_waitcnt vmcnt(36)
	v_mul_f64 v[30:31], v[244:245], v[110:111]
	v_fma_f64 v[238:239], v[114:115], v[98:99], -v[100:101]
	s_waitcnt vmcnt(34) lgkmcnt(3)
	v_mul_f64 v[36:37], v[14:15], v[118:119]
	v_mul_f64 v[106:107], v[236:237], v[106:107]
	s_waitcnt vmcnt(32)
	v_fmac_f64_e32 v[36:37], v[16:17], v[122:123]
	v_mul_f64 v[110:111], v[246:247], v[110:111]
	s_waitcnt vmcnt(30)
	v_mul_f64 v[34:35], v[18:19], v[130:131]
	v_mul_f64 v[24:25], v[24:25], v[120:121]
	v_fma_f64 v[22:23], v[22:23], v[124:125], -v[24:25]
	s_waitcnt vmcnt(27) lgkmcnt(2)
	v_mul_f64 v[38:39], v[10:11], v[128:129]
	s_waitcnt vmcnt(26) lgkmcnt(1)
	v_mul_f64 v[40:41], v[6:7], v[126:127]
	v_mul_f64 v[16:17], v[16:17], v[118:119]
	s_waitcnt vmcnt(24)
	v_fmac_f64_e32 v[28:29], v[236:237], v[108:109]
	v_add_f64 v[0:1], v[0:1], v[28:29]
	s_waitcnt vmcnt(22)
	v_fmac_f64_e32 v[30:31], v[246:247], v[112:113]
	v_add_f64 v[0:1], v[0:1], v[30:31]
	v_add_f64 v[0:1], v[0:1], v[32:33]
	ds_read_b128 v[26:29], v232 offset:1584
	ds_read_b128 v[30:33], v232 offset:1600
	buffer_load_dword v157, off, s[0:3], 0 offset:700
	buffer_load_dword v156, off, s[0:3], 0 offset:696
	;; [unrolled: 1-line block ×56, first 2 shown]
	s_waitcnt vmcnt(62)
	v_fmac_f64_e32 v[34:35], v[20:21], v[134:135]
	v_add_f64 v[0:1], v[0:1], v[34:35]
	v_fmac_f64_e32 v[38:39], v[12:13], v[132:133]
	v_add_f64 v[0:1], v[0:1], v[36:37]
	v_add_f64 v[0:1], v[0:1], v[38:39]
	v_fmac_f64_e32 v[40:41], v[8:9], v[138:139]
	s_waitcnt lgkmcnt(2)
	v_mul_f64 v[34:35], v[2:3], v[142:143]
	v_add_f64 v[0:1], v[0:1], v[40:41]
	v_fmac_f64_e32 v[34:35], v[4:5], v[144:145]
	v_add_f64 v[0:1], v[0:1], v[34:35]
	s_waitcnt lgkmcnt(1)
	v_mul_f64 v[34:35], v[26:27], v[136:137]
	v_fmac_f64_e32 v[34:35], v[28:29], v[140:141]
	v_add_f64 v[0:1], v[0:1], v[34:35]
	s_waitcnt lgkmcnt(0)
	v_mul_f64 v[34:35], v[30:31], v[146:147]
	s_waitcnt vmcnt(60)
	v_fmac_f64_e32 v[34:35], v[32:33], v[152:153]
	v_add_f64 v[0:1], v[0:1], v[34:35]
	ds_read_b128 v[34:37], v232 offset:1616
	buffer_load_dword v201, off, s[0:3], 0 offset:924
	buffer_load_dword v200, off, s[0:3], 0 offset:920
	;; [unrolled: 1-line block ×16, first 2 shown]
	ds_read_b128 v[38:41], v232 offset:1632
	buffer_load_dword v223, off, s[0:3], 0 offset:988
	buffer_load_dword v222, off, s[0:3], 0 offset:984
	buffer_load_dword v227, off, s[0:3], 0 offset:980
	buffer_load_dword v226, off, s[0:3], 0 offset:976
	buffer_load_dword v241, off, s[0:3], 0 offset:972
	buffer_load_dword v240, off, s[0:3], 0 offset:968
	buffer_load_dword v243, off, s[0:3], 0 offset:964
	buffer_load_dword v242, off, s[0:3], 0 offset:960
	ds_read_b128 v[98:101], v232 offset:1872
	s_waitcnt vmcnt(62) lgkmcnt(2)
	v_mul_f64 v[42:43], v[34:35], v[148:149]
	v_fmac_f64_e32 v[42:43], v[36:37], v[154:155]
	v_add_f64 v[0:1], v[0:1], v[42:43]
	ds_read_b128 v[42:45], v232 offset:1648
	v_fma_f64 v[248:249], v[234:235], v[108:109], -v[106:107]
	ds_read_b128 v[106:109], v232 offset:1904
	v_fma_f64 v[246:247], v[244:245], v[112:113], -v[110:111]
	v_mul_f64 v[20:21], v[20:21], v[130:131]
	s_waitcnt lgkmcnt(3)
	v_mul_f64 v[46:47], v[38:39], v[172:173]
	v_fma_f64 v[18:19], v[18:19], v[134:135], -v[20:21]
	v_fmac_f64_e32 v[46:47], v[40:41], v[176:177]
	v_add_f64 v[0:1], v[0:1], v[46:47]
	ds_read_b128 v[46:49], v232 offset:1664
	s_waitcnt lgkmcnt(2)
	v_mul_f64 v[50:51], v[42:43], v[156:157]
	v_fmac_f64_e32 v[50:51], v[44:45], v[158:159]
	v_add_f64 v[0:1], v[0:1], v[50:51]
	ds_read_b128 v[50:53], v232 offset:1680
	s_waitcnt lgkmcnt(1)
	v_mul_f64 v[54:55], v[46:47], v[180:181]
	v_fmac_f64_e32 v[54:55], v[48:49], v[184:185]
	v_add_f64 v[0:1], v[0:1], v[54:55]
	ds_read_b128 v[54:57], v232 offset:1696
	s_waitcnt lgkmcnt(1)
	v_mul_f64 v[58:59], v[50:51], v[160:161]
	v_fmac_f64_e32 v[58:59], v[52:53], v[162:163]
	v_add_f64 v[0:1], v[0:1], v[58:59]
	ds_read_b128 v[58:61], v232 offset:1712
	s_waitcnt vmcnt(58) lgkmcnt(1)
	v_mul_f64 v[62:63], v[54:55], v[188:189]
	s_waitcnt vmcnt(56)
	v_fmac_f64_e32 v[62:63], v[56:57], v[192:193]
	v_add_f64 v[0:1], v[0:1], v[62:63]
	ds_read_b128 v[62:65], v232 offset:1728
	s_waitcnt lgkmcnt(1)
	v_mul_f64 v[66:67], v[58:59], v[164:165]
	v_fmac_f64_e32 v[66:67], v[60:61], v[166:167]
	v_add_f64 v[0:1], v[0:1], v[66:67]
	ds_read_b128 v[66:69], v232 offset:1744
	s_waitcnt vmcnt(50) lgkmcnt(1)
	v_mul_f64 v[70:71], v[62:63], v[196:197]
	s_waitcnt vmcnt(48)
	v_fmac_f64_e32 v[70:71], v[64:65], v[198:199]
	v_add_f64 v[0:1], v[0:1], v[70:71]
	ds_read_b128 v[70:73], v232 offset:1760
	s_waitcnt lgkmcnt(1)
	v_mul_f64 v[74:75], v[66:67], v[168:169]
	;; [unrolled: 11-line block ×3, first 2 shown]
	v_fmac_f64_e32 v[82:83], v[76:77], v[178:179]
	v_add_f64 v[0:1], v[0:1], v[82:83]
	ds_read_b128 v[82:85], v232 offset:1808
	ds_read_b128 v[86:89], v232 offset:1824
	s_waitcnt vmcnt(34) lgkmcnt(2)
	v_mul_f64 v[90:91], v[78:79], v[210:211]
	s_waitcnt vmcnt(32)
	v_fmac_f64_e32 v[90:91], v[80:81], v[216:217]
	v_add_f64 v[0:1], v[0:1], v[90:91]
	s_waitcnt lgkmcnt(1)
	v_mul_f64 v[90:91], v[82:83], v[182:183]
	v_fmac_f64_e32 v[90:91], v[84:85], v[186:187]
	v_add_f64 v[0:1], v[0:1], v[90:91]
	s_waitcnt vmcnt(27) lgkmcnt(0)
	v_mul_f64 v[90:91], v[86:87], v[214:215]
	s_waitcnt vmcnt(25)
	v_fmac_f64_e32 v[90:91], v[88:89], v[218:219]
	v_add_f64 v[0:1], v[0:1], v[90:91]
	ds_read_b128 v[90:93], v232 offset:1840
	ds_read_b128 v[94:97], v232 offset:1856
	v_fma_f64 v[14:15], v[14:15], v[122:123], -v[16:17]
	v_mul_f64 v[12:13], v[12:13], v[128:129]
	v_fma_f64 v[10:11], v[10:11], v[132:133], -v[12:13]
	s_waitcnt lgkmcnt(1)
	v_mul_f64 v[102:103], v[90:91], v[190:191]
	s_waitcnt vmcnt(24)
	v_fmac_f64_e32 v[102:103], v[92:93], v[194:195]
	v_add_f64 v[0:1], v[0:1], v[102:103]
	s_waitcnt vmcnt(18) lgkmcnt(0)
	v_mul_f64 v[102:103], v[94:95], v[220:221]
	s_waitcnt vmcnt(16)
	v_fmac_f64_e32 v[102:103], v[96:97], v[224:225]
	v_add_f64 v[0:1], v[0:1], v[102:103]
	v_mul_f64 v[102:103], v[98:99], v[200:201]
	v_fmac_f64_e32 v[102:103], v[100:101], v[204:205]
	v_add_f64 v[0:1], v[0:1], v[102:103]
	ds_read_b128 v[102:105], v232 offset:1888
	ds_read_b128 v[110:113], v232 offset:1920
	v_mul_f64 v[8:9], v[8:9], v[126:127]
	v_fma_f64 v[6:7], v[6:7], v[138:139], -v[8:9]
	v_mul_f64 v[4:5], v[4:5], v[142:143]
	s_waitcnt vmcnt(10) lgkmcnt(1)
	v_mul_f64 v[114:115], v[102:103], v[228:229]
	s_waitcnt vmcnt(8)
	v_fmac_f64_e32 v[114:115], v[104:105], v[230:231]
	v_add_f64 v[0:1], v[0:1], v[114:115]
	v_mul_f64 v[114:115], v[106:107], v[208:209]
	v_fmac_f64_e32 v[114:115], v[108:109], v[212:213]
	v_add_f64 v[0:1], v[0:1], v[114:115]
	s_waitcnt vmcnt(2) lgkmcnt(0)
	v_mul_f64 v[114:115], v[110:111], v[240:241]
	s_waitcnt vmcnt(0)
	v_fmac_f64_e32 v[114:115], v[112:113], v[242:243]
	v_add_f64 v[0:1], v[0:1], v[114:115]
	ds_read_b128 v[114:117], v232 offset:1936
	buffer_load_dword v252, off, s[0:3], 0 offset:448
	buffer_load_dword v253, off, s[0:3], 0 offset:452
	v_fma_f64 v[2:3], v[2:3], v[144:145], -v[4:5]
	s_waitcnt lgkmcnt(0)
	v_mul_f64 v[234:235], v[114:115], v[222:223]
	v_fmac_f64_e32 v[234:235], v[116:117], v[226:227]
	v_add_f64 v[244:245], v[0:1], v[234:235]
	v_add_f64 v[0:1], v[150:151], 0
	;; [unrolled: 1-line block ×4, first 2 shown]
	buffer_load_dword v248, off, s[0:3], 0 offset:456
	buffer_load_dword v249, off, s[0:3], 0 offset:460
	v_add_f64 v[0:1], v[0:1], v[246:247]
	v_add_f64 v[0:1], v[0:1], v[22:23]
	;; [unrolled: 1-line block ×7, first 2 shown]
	v_mul_f64 v[2:3], v[28:29], v[136:137]
	v_fma_f64 v[2:3], v[26:27], v[140:141], -v[2:3]
	v_add_f64 v[0:1], v[0:1], v[2:3]
	v_mul_f64 v[2:3], v[32:33], v[146:147]
	v_fma_f64 v[2:3], v[30:31], v[152:153], -v[2:3]
	v_add_f64 v[0:1], v[0:1], v[2:3]
	;; [unrolled: 3-line block ×23, first 2 shown]
	s_waitcnt vmcnt(2)
	v_add_f64 v[0:1], v[252:253], -v[0:1]
	s_waitcnt vmcnt(0)
	v_add_f64 v[2:3], v[248:249], -v[244:245]
	buffer_store_dword v1, off, s[0:3], 0 offset:452
	buffer_store_dword v0, off, s[0:3], 0 offset:448
	;; [unrolled: 1-line block ×4, first 2 shown]
	s_and_saveexec_b64 s[4:5], vcc
	s_cbranch_execz .LBB60_339
; %bb.338:
	v_accvgpr_read_b32 v0, a156
	buffer_load_dword v2, v0, s[0:3], 0 offen
	buffer_load_dword v3, v0, s[0:3], 0 offen offset:4
	buffer_load_dword v4, v0, s[0:3], 0 offen offset:8
	;; [unrolled: 1-line block ×3, first 2 shown]
	v_accvgpr_read_b32 v0, a183
	buffer_store_dword v232, off, s[0:3], 0 offset:432
	buffer_store_dword v232, off, s[0:3], 0 offset:436
	;; [unrolled: 1-line block ×4, first 2 shown]
	s_waitcnt vmcnt(4)
	ds_write_b128 v0, v[2:5]
.LBB60_339:
	s_or_b64 exec, exec, s[4:5]
	s_waitcnt lgkmcnt(0)
	; wave barrier
	s_waitcnt lgkmcnt(0)
	buffer_load_dword v86, off, s[0:3], 0 offset:448
	buffer_load_dword v87, off, s[0:3], 0 offset:452
	;; [unrolled: 1-line block ×42, first 2 shown]
	ds_read_b128 v[94:97], v232 offset:1408
	ds_read_b128 v[106:109], v232 offset:1424
	;; [unrolled: 1-line block ×10, first 2 shown]
	buffer_load_dword v145, off, s[0:3], 0 offset:596
	buffer_load_dword v144, off, s[0:3], 0 offset:592
	ds_read_b128 v[6:9], v232 offset:1568
	buffer_load_dword v141, off, s[0:3], 0 offset:652
	buffer_load_dword v140, off, s[0:3], 0 offset:648
	;; [unrolled: 1-line block ×80, first 2 shown]
	s_waitcnt vmcnt(62) lgkmcnt(10)
	v_mul_f64 v[0:1], v[94:95], v[88:89]
	v_fmac_f64_e32 v[0:1], v[96:97], v[86:87]
	v_add_f64 v[0:1], v[0:1], 0
	v_mul_f64 v[88:89], v[96:97], v[88:89]
	s_waitcnt lgkmcnt(9)
	v_mul_f64 v[26:27], v[106:107], v[92:93]
	v_fmac_f64_e32 v[26:27], v[108:109], v[90:91]
	s_waitcnt lgkmcnt(8)
	v_mul_f64 v[28:29], v[114:115], v[98:99]
	v_add_f64 v[0:1], v[0:1], v[26:27]
	s_waitcnt lgkmcnt(6)
	v_mul_f64 v[32:33], v[248:249], v[110:111]
	v_fma_f64 v[150:151], v[94:95], v[86:87], -v[88:89]
	v_fmac_f64_e32 v[32:33], v[250:251], v[112:113]
	v_mul_f64 v[92:93], v[108:109], v[92:93]
	v_mul_f64 v[30:31], v[234:235], v[102:103]
	v_fma_f64 v[238:239], v[106:107], v[90:91], -v[92:93]
	s_waitcnt lgkmcnt(4)
	v_mul_f64 v[36:37], v[18:19], v[118:119]
	v_mul_f64 v[98:99], v[116:117], v[98:99]
	v_fmac_f64_e32 v[36:37], v[20:21], v[120:121]
	v_mul_f64 v[102:103], v[236:237], v[102:103]
	v_mul_f64 v[34:35], v[22:23], v[122:123]
	;; [unrolled: 1-line block ×3, first 2 shown]
	s_waitcnt lgkmcnt(2)
	v_mul_f64 v[40:41], v[10:11], v[124:125]
	v_fma_f64 v[248:249], v[248:249], v[112:113], -v[110:111]
	v_mul_f64 v[20:21], v[20:21], v[118:119]
	v_mul_f64 v[38:39], v[14:15], v[130:131]
	v_fma_f64 v[18:19], v[18:19], v[120:121], -v[20:21]
	s_waitcnt lgkmcnt(1)
	v_mul_f64 v[42:43], v[2:3], v[128:129]
	v_fmac_f64_e32 v[28:29], v[116:117], v[100:101]
	v_add_f64 v[0:1], v[0:1], v[28:29]
	v_fmac_f64_e32 v[30:31], v[236:237], v[104:105]
	v_add_f64 v[0:1], v[0:1], v[30:31]
	;; [unrolled: 2-line block ×3, first 2 shown]
	v_add_f64 v[0:1], v[0:1], v[34:35]
	ds_read_b128 v[26:29], v232 offset:1584
	v_fmac_f64_e32 v[38:39], v[16:17], v[132:133]
	v_add_f64 v[0:1], v[0:1], v[36:37]
	v_fmac_f64_e32 v[40:41], v[12:13], v[126:127]
	v_add_f64 v[0:1], v[0:1], v[38:39]
	v_add_f64 v[0:1], v[0:1], v[40:41]
	v_fmac_f64_e32 v[42:43], v[4:5], v[144:145]
	s_waitcnt lgkmcnt(1)
	v_mul_f64 v[30:31], v[6:7], v[136:137]
	v_add_f64 v[0:1], v[0:1], v[42:43]
	v_fmac_f64_e32 v[30:31], v[8:9], v[138:139]
	v_add_f64 v[0:1], v[0:1], v[30:31]
	ds_read_b128 v[30:33], v232 offset:1600
	s_waitcnt lgkmcnt(1)
	v_mul_f64 v[34:35], v[26:27], v[146:147]
	v_fmac_f64_e32 v[34:35], v[28:29], v[164:165]
	v_add_f64 v[0:1], v[0:1], v[34:35]
	ds_read_b128 v[34:37], v232 offset:1616
	s_waitcnt lgkmcnt(1)
	v_mul_f64 v[38:39], v[30:31], v[140:141]
	;; [unrolled: 5-line block ×4, first 2 shown]
	v_fmac_f64_e32 v[46:47], v[40:41], v[152:153]
	v_add_f64 v[0:1], v[0:1], v[46:47]
	ds_read_b128 v[46:49], v232 offset:1664
	s_waitcnt vmcnt(58) lgkmcnt(1)
	v_mul_f64 v[50:51], v[42:43], v[176:177]
	s_waitcnt vmcnt(56)
	v_fmac_f64_e32 v[50:51], v[44:45], v[180:181]
	v_add_f64 v[0:1], v[0:1], v[50:51]
	ds_read_b128 v[50:53], v232 offset:1680
	buffer_load_dword v224, off, s[0:3], 0 offset:968
	buffer_load_dword v229, off, s[0:3], 0 offset:956
	;; [unrolled: 1-line block ×8, first 2 shown]
	s_waitcnt lgkmcnt(1)
	v_mul_f64 v[54:55], v[46:47], v[154:155]
	v_fmac_f64_e32 v[54:55], v[48:49], v[156:157]
	v_add_f64 v[0:1], v[0:1], v[54:55]
	ds_read_b128 v[54:57], v232 offset:1696
	buffer_load_dword v241, off, s[0:3], 0 offset:988
	buffer_load_dword v240, off, s[0:3], 0 offset:984
	;; [unrolled: 1-line block ×4, first 2 shown]
	s_waitcnt vmcnt(62) lgkmcnt(1)
	v_mul_f64 v[58:59], v[50:51], v[184:185]
	s_waitcnt vmcnt(60)
	v_fmac_f64_e32 v[58:59], v[52:53], v[188:189]
	v_add_f64 v[0:1], v[0:1], v[58:59]
	ds_read_b128 v[58:61], v232 offset:1712
	s_waitcnt lgkmcnt(1)
	v_mul_f64 v[62:63], v[54:55], v[158:159]
	v_fmac_f64_e32 v[62:63], v[56:57], v[160:161]
	v_add_f64 v[0:1], v[0:1], v[62:63]
	ds_read_b128 v[62:65], v232 offset:1728
	s_waitcnt vmcnt(54) lgkmcnt(1)
	v_mul_f64 v[66:67], v[58:59], v[192:193]
	s_waitcnt vmcnt(52)
	v_fmac_f64_e32 v[66:67], v[60:61], v[196:197]
	v_add_f64 v[0:1], v[0:1], v[66:67]
	ds_read_b128 v[66:69], v232 offset:1744
	s_waitcnt lgkmcnt(1)
	v_mul_f64 v[70:71], v[62:63], v[162:163]
	v_fmac_f64_e32 v[70:71], v[64:65], v[166:167]
	v_add_f64 v[0:1], v[0:1], v[70:71]
	ds_read_b128 v[70:73], v232 offset:1760
	s_waitcnt vmcnt(46) lgkmcnt(1)
	v_mul_f64 v[74:75], v[66:67], v[200:201]
	s_waitcnt vmcnt(44)
	v_fmac_f64_e32 v[74:75], v[68:69], v[204:205]
	v_add_f64 v[0:1], v[0:1], v[74:75]
	ds_read_b128 v[74:77], v232 offset:1776
	ds_read_b128 v[78:81], v232 offset:1792
	s_waitcnt lgkmcnt(2)
	v_mul_f64 v[82:83], v[70:71], v[170:171]
	v_fmac_f64_e32 v[82:83], v[72:73], v[174:175]
	v_add_f64 v[0:1], v[0:1], v[82:83]
	s_waitcnt vmcnt(38) lgkmcnt(1)
	v_mul_f64 v[82:83], v[74:75], v[208:209]
	s_waitcnt vmcnt(36)
	v_fmac_f64_e32 v[82:83], v[76:77], v[210:211]
	v_add_f64 v[0:1], v[0:1], v[82:83]
	s_waitcnt lgkmcnt(0)
	v_mul_f64 v[82:83], v[78:79], v[178:179]
	v_fmac_f64_e32 v[82:83], v[80:81], v[182:183]
	v_add_f64 v[0:1], v[0:1], v[82:83]
	ds_read_b128 v[82:85], v232 offset:1808
	ds_read_b128 v[86:89], v232 offset:1824
	;; [unrolled: 1-line block ×3, first 2 shown]
	v_fma_f64 v[252:253], v[114:115], v[100:101], -v[98:99]
	ds_read_b128 v[98:101], v232 offset:1872
	s_waitcnt vmcnt(30) lgkmcnt(3)
	v_mul_f64 v[94:95], v[82:83], v[212:213]
	s_waitcnt vmcnt(28)
	v_fmac_f64_e32 v[94:95], v[84:85], v[214:215]
	v_add_f64 v[0:1], v[0:1], v[94:95]
	s_waitcnt lgkmcnt(2)
	v_mul_f64 v[94:95], v[86:87], v[186:187]
	v_fmac_f64_e32 v[94:95], v[88:89], v[190:191]
	v_add_f64 v[0:1], v[0:1], v[94:95]
	ds_read_b128 v[94:97], v232 offset:1856
	s_waitcnt vmcnt(22) lgkmcnt(2)
	v_mul_f64 v[106:107], v[90:91], v[216:217]
	s_waitcnt vmcnt(20)
	v_fmac_f64_e32 v[106:107], v[92:93], v[218:219]
	v_add_f64 v[0:1], v[0:1], v[106:107]
	v_fma_f64 v[246:247], v[234:235], v[104:105], -v[102:103]
	s_waitcnt lgkmcnt(0)
	v_mul_f64 v[106:107], v[94:95], v[194:195]
	v_fmac_f64_e32 v[106:107], v[96:97], v[198:199]
	v_add_f64 v[0:1], v[0:1], v[106:107]
	ds_read_b128 v[106:109], v232 offset:1888
	ds_read_b128 v[102:105], v232 offset:1904
	;; [unrolled: 1-line block ×3, first 2 shown]
	s_waitcnt vmcnt(14)
	v_mul_f64 v[114:115], v[98:99], v[220:221]
	s_waitcnt vmcnt(12)
	v_fmac_f64_e32 v[114:115], v[100:101], v[222:223]
	v_add_f64 v[0:1], v[0:1], v[114:115]
	s_waitcnt lgkmcnt(2)
	v_mul_f64 v[114:115], v[106:107], v[202:203]
	v_fmac_f64_e32 v[114:115], v[108:109], v[206:207]
	v_add_f64 v[0:1], v[0:1], v[114:115]
	v_mul_f64 v[24:25], v[24:25], v[122:123]
	v_fma_f64 v[22:23], v[22:23], v[134:135], -v[24:25]
	v_mul_f64 v[16:17], v[16:17], v[130:131]
	v_fma_f64 v[14:15], v[14:15], v[132:133], -v[16:17]
	;; [unrolled: 2-line block ×4, first 2 shown]
	s_waitcnt vmcnt(9) lgkmcnt(1)
	v_mul_f64 v[114:115], v[102:103], v[228:229]
	s_waitcnt vmcnt(7)
	v_fmac_f64_e32 v[114:115], v[104:105], v[230:231]
	v_add_f64 v[0:1], v[0:1], v[114:115]
	s_waitcnt vmcnt(5) lgkmcnt(0)
	v_mul_f64 v[114:115], v[110:111], v[224:225]
	s_waitcnt vmcnt(4)
	v_fmac_f64_e32 v[114:115], v[112:113], v[226:227]
	v_add_f64 v[0:1], v[0:1], v[114:115]
	ds_read_b128 v[114:117], v232 offset:1936
	s_waitcnt vmcnt(2) lgkmcnt(0)
	v_mul_f64 v[232:233], v[114:115], v[240:241]
	s_waitcnt vmcnt(0)
	v_fmac_f64_e32 v[232:233], v[116:117], v[242:243]
	v_add_f64 v[244:245], v[0:1], v[232:233]
	v_add_f64 v[0:1], v[150:151], 0
	;; [unrolled: 1-line block ×4, first 2 shown]
	buffer_load_dword v254, off, s[0:3], 0 offset:432
	buffer_load_dword v255, off, s[0:3], 0 offset:436
	;; [unrolled: 1-line block ×4, first 2 shown]
	v_add_f64 v[0:1], v[250:251], v[246:247]
	v_add_f64 v[0:1], v[0:1], v[248:249]
	;; [unrolled: 1-line block ×7, first 2 shown]
	v_mul_f64 v[2:3], v[8:9], v[136:137]
	v_fma_f64 v[2:3], v[6:7], v[138:139], -v[2:3]
	v_add_f64 v[0:1], v[0:1], v[2:3]
	v_mul_f64 v[2:3], v[28:29], v[146:147]
	v_fma_f64 v[2:3], v[26:27], v[164:165], -v[2:3]
	v_add_f64 v[0:1], v[0:1], v[2:3]
	;; [unrolled: 3-line block ×24, first 2 shown]
	v_accvgpr_read_b32 v233, a182
	s_waitcnt vmcnt(2)
	v_add_f64 v[0:1], v[254:255], -v[0:1]
	v_cmp_lt_u32_e32 vcc, 25, v233
	s_waitcnt vmcnt(0)
	v_add_f64 v[2:3], v[252:253], -v[244:245]
	buffer_store_dword v1, off, s[0:3], 0 offset:436
	buffer_store_dword v0, off, s[0:3], 0 offset:432
	;; [unrolled: 1-line block ×4, first 2 shown]
	s_and_saveexec_b64 s[4:5], vcc
	s_cbranch_execz .LBB60_341
; %bb.340:
	v_accvgpr_read_b32 v0, a157
	buffer_load_dword v2, v0, s[0:3], 0 offen
	buffer_load_dword v3, v0, s[0:3], 0 offen offset:4
	buffer_load_dword v4, v0, s[0:3], 0 offen offset:8
	;; [unrolled: 1-line block ×3, first 2 shown]
	v_mov_b32_e32 v0, 0
	v_accvgpr_read_b32 v1, a183
	buffer_store_dword v0, off, s[0:3], 0 offset:416
	buffer_store_dword v0, off, s[0:3], 0 offset:420
	;; [unrolled: 1-line block ×4, first 2 shown]
	s_waitcnt vmcnt(4)
	ds_write_b128 v1, v[2:5]
.LBB60_341:
	s_or_b64 exec, exec, s[4:5]
	s_waitcnt lgkmcnt(0)
	; wave barrier
	s_waitcnt lgkmcnt(0)
	buffer_load_dword v82, off, s[0:3], 0 offset:432
	buffer_load_dword v83, off, s[0:3], 0 offset:436
	;; [unrolled: 1-line block ×54, first 2 shown]
	v_mov_b32_e32 v232, 0
	ds_read_b128 v[90:93], v232 offset:1392
	ds_read_b128 v[106:109], v232 offset:1408
	;; [unrolled: 1-line block ×9, first 2 shown]
	buffer_load_dword v149, off, s[0:3], 0 offset:660
	buffer_load_dword v148, off, s[0:3], 0 offset:656
	;; [unrolled: 1-line block ×62, first 2 shown]
	v_cmp_lt_u32_e32 vcc, 24, v233
	s_waitcnt vmcnt(62) lgkmcnt(8)
	v_mul_f64 v[0:1], v[90:91], v[84:85]
	v_fmac_f64_e32 v[0:1], v[92:93], v[82:83]
	v_add_f64 v[0:1], v[0:1], 0
	v_mul_f64 v[84:85], v[92:93], v[84:85]
	s_waitcnt lgkmcnt(7)
	v_mul_f64 v[14:15], v[106:107], v[88:89]
	v_fmac_f64_e32 v[14:15], v[108:109], v[86:87]
	s_waitcnt lgkmcnt(6)
	v_mul_f64 v[16:17], v[114:115], v[94:95]
	v_add_f64 v[0:1], v[0:1], v[14:15]
	s_waitcnt lgkmcnt(4)
	v_mul_f64 v[20:21], v[242:243], v[102:103]
	v_fma_f64 v[150:151], v[90:91], v[82:83], -v[84:85]
	v_fmac_f64_e32 v[20:21], v[244:245], v[104:105]
	v_mul_f64 v[88:89], v[108:109], v[88:89]
	v_mul_f64 v[18:19], v[234:235], v[98:99]
	v_fma_f64 v[238:239], v[106:107], v[86:87], -v[88:89]
	s_waitcnt lgkmcnt(2)
	v_mul_f64 v[24:25], v[10:11], v[118:119]
	v_mul_f64 v[94:95], v[116:117], v[94:95]
	v_fmac_f64_e32 v[24:25], v[12:13], v[120:121]
	v_mul_f64 v[98:99], v[236:237], v[98:99]
	v_mul_f64 v[22:23], v[246:247], v[110:111]
	;; [unrolled: 1-line block ×3, first 2 shown]
	s_waitcnt lgkmcnt(1)
	v_mul_f64 v[26:27], v[6:7], v[122:123]
	v_mul_f64 v[110:111], v[248:249], v[110:111]
	v_fmac_f64_e32 v[16:17], v[116:117], v[96:97]
	v_add_f64 v[0:1], v[0:1], v[16:17]
	v_fmac_f64_e32 v[18:19], v[236:237], v[100:101]
	v_add_f64 v[0:1], v[0:1], v[18:19]
	ds_read_b128 v[14:17], v232 offset:1536
	v_fmac_f64_e32 v[22:23], v[248:249], v[112:113]
	v_add_f64 v[0:1], v[0:1], v[20:21]
	v_add_f64 v[0:1], v[0:1], v[22:23]
	v_fmac_f64_e32 v[26:27], v[8:9], v[126:127]
	v_add_f64 v[0:1], v[0:1], v[24:25]
	s_waitcnt lgkmcnt(1)
	v_mul_f64 v[18:19], v[2:3], v[124:125]
	v_add_f64 v[0:1], v[0:1], v[26:27]
	v_fmac_f64_e32 v[18:19], v[4:5], v[128:129]
	v_add_f64 v[0:1], v[0:1], v[18:19]
	ds_read_b128 v[18:21], v232 offset:1552
	s_waitcnt lgkmcnt(1)
	v_mul_f64 v[22:23], v[14:15], v[134:135]
	v_fmac_f64_e32 v[22:23], v[16:17], v[136:137]
	v_add_f64 v[0:1], v[0:1], v[22:23]
	ds_read_b128 v[22:25], v232 offset:1568
	s_waitcnt lgkmcnt(1)
	v_mul_f64 v[26:27], v[18:19], v[130:131]
	;; [unrolled: 5-line block ×4, first 2 shown]
	v_fmac_f64_e32 v[34:35], v[28:29], v[140:141]
	v_add_f64 v[0:1], v[0:1], v[34:35]
	ds_read_b128 v[34:37], v232 offset:1616
	s_waitcnt vmcnt(58) lgkmcnt(1)
	v_mul_f64 v[38:39], v[30:31], v[164:165]
	s_waitcnt vmcnt(56)
	v_fmac_f64_e32 v[38:39], v[32:33], v[168:169]
	v_add_f64 v[0:1], v[0:1], v[38:39]
	ds_read_b128 v[38:41], v232 offset:1632
	s_waitcnt lgkmcnt(1)
	v_mul_f64 v[42:43], v[34:35], v[142:143]
	v_fmac_f64_e32 v[42:43], v[36:37], v[148:149]
	v_add_f64 v[0:1], v[0:1], v[42:43]
	ds_read_b128 v[42:45], v232 offset:1648
	s_waitcnt vmcnt(50) lgkmcnt(1)
	v_mul_f64 v[46:47], v[38:39], v[172:173]
	s_waitcnt vmcnt(48)
	v_fmac_f64_e32 v[46:47], v[40:41], v[176:177]
	v_add_f64 v[0:1], v[0:1], v[46:47]
	ds_read_b128 v[46:49], v232 offset:1664
	buffer_load_dword v213, off, s[0:3], 0 offset:908
	buffer_load_dword v212, off, s[0:3], 0 offset:904
	;; [unrolled: 1-line block ×8, first 2 shown]
	s_waitcnt lgkmcnt(1)
	v_mul_f64 v[50:51], v[42:43], v[152:153]
	v_fmac_f64_e32 v[50:51], v[44:45], v[154:155]
	v_add_f64 v[0:1], v[0:1], v[50:51]
	ds_read_b128 v[50:53], v232 offset:1680
	s_waitcnt vmcnt(50) lgkmcnt(1)
	v_mul_f64 v[54:55], v[46:47], v[180:181]
	s_waitcnt vmcnt(48)
	v_fmac_f64_e32 v[54:55], v[48:49], v[184:185]
	buffer_load_dword v217, off, s[0:3], 0 offset:956
	buffer_load_dword v223, off, s[0:3], 0 offset:940
	;; [unrolled: 1-line block ×12, first 2 shown]
	v_add_f64 v[0:1], v[0:1], v[54:55]
	ds_read_b128 v[54:57], v232 offset:1696
	s_waitcnt lgkmcnt(1)
	v_mul_f64 v[58:59], v[50:51], v[156:157]
	v_fmac_f64_e32 v[58:59], v[52:53], v[158:159]
	v_add_f64 v[0:1], v[0:1], v[58:59]
	ds_read_b128 v[58:61], v232 offset:1712
	s_waitcnt vmcnt(54) lgkmcnt(1)
	v_mul_f64 v[62:63], v[54:55], v[188:189]
	s_waitcnt vmcnt(52)
	v_fmac_f64_e32 v[62:63], v[56:57], v[192:193]
	v_add_f64 v[0:1], v[0:1], v[62:63]
	ds_read_b128 v[62:65], v232 offset:1728
	s_waitcnt lgkmcnt(1)
	v_mul_f64 v[66:67], v[58:59], v[160:161]
	v_fmac_f64_e32 v[66:67], v[60:61], v[162:163]
	v_add_f64 v[0:1], v[0:1], v[66:67]
	ds_read_b128 v[66:69], v232 offset:1744
	s_waitcnt vmcnt(46) lgkmcnt(1)
	v_mul_f64 v[70:71], v[62:63], v[196:197]
	s_waitcnt vmcnt(44)
	v_fmac_f64_e32 v[70:71], v[64:65], v[198:199]
	v_add_f64 v[0:1], v[0:1], v[70:71]
	ds_read_b128 v[70:73], v232 offset:1760
	ds_read_b128 v[74:77], v232 offset:1776
	s_waitcnt lgkmcnt(2)
	v_mul_f64 v[78:79], v[66:67], v[166:167]
	v_fmac_f64_e32 v[78:79], v[68:69], v[170:171]
	v_add_f64 v[0:1], v[0:1], v[78:79]
	s_waitcnt vmcnt(38) lgkmcnt(1)
	v_mul_f64 v[78:79], v[70:71], v[200:201]
	s_waitcnt vmcnt(36)
	v_fmac_f64_e32 v[78:79], v[72:73], v[202:203]
	v_add_f64 v[0:1], v[0:1], v[78:79]
	s_waitcnt lgkmcnt(0)
	v_mul_f64 v[78:79], v[74:75], v[174:175]
	v_fmac_f64_e32 v[78:79], v[76:77], v[178:179]
	v_add_f64 v[0:1], v[0:1], v[78:79]
	ds_read_b128 v[78:81], v232 offset:1792
	ds_read_b128 v[82:85], v232 offset:1808
	;; [unrolled: 1-line block ×3, first 2 shown]
	v_fma_f64 v[252:253], v[114:115], v[96:97], -v[94:95]
	ds_read_b128 v[94:97], v232 offset:1856
	s_waitcnt vmcnt(30) lgkmcnt(3)
	v_mul_f64 v[90:91], v[78:79], v[204:205]
	s_waitcnt vmcnt(28)
	v_fmac_f64_e32 v[90:91], v[80:81], v[206:207]
	v_add_f64 v[0:1], v[0:1], v[90:91]
	s_waitcnt lgkmcnt(2)
	v_mul_f64 v[90:91], v[82:83], v[182:183]
	v_fmac_f64_e32 v[90:91], v[84:85], v[186:187]
	v_add_f64 v[0:1], v[0:1], v[90:91]
	s_waitcnt vmcnt(22) lgkmcnt(1)
	v_mul_f64 v[90:91], v[86:87], v[208:209]
	s_waitcnt vmcnt(20)
	v_fmac_f64_e32 v[90:91], v[88:89], v[210:211]
	v_add_f64 v[0:1], v[0:1], v[90:91]
	ds_read_b128 v[90:93], v232 offset:1840
	v_fma_f64 v[234:235], v[234:235], v[100:101], -v[98:99]
	ds_read_b128 v[98:101], v232 offset:1872
	buffer_load_dword v240, off, s[0:3], 0 offset:984
	v_fma_f64 v[236:237], v[242:243], v[104:105], -v[102:103]
	s_waitcnt lgkmcnt(1)
	v_mul_f64 v[106:107], v[90:91], v[190:191]
	v_fmac_f64_e32 v[106:107], v[92:93], v[194:195]
	v_add_f64 v[0:1], v[0:1], v[106:107]
	ds_read_b128 v[102:105], v232 offset:1888
	v_fma_f64 v[250:251], v[246:247], v[112:113], -v[110:111]
	ds_read_b128 v[110:113], v232 offset:1920
	v_mul_f64 v[12:13], v[12:13], v[118:119]
	v_fma_f64 v[10:11], v[10:11], v[120:121], -v[12:13]
	v_mul_f64 v[8:9], v[8:9], v[122:123]
	v_fma_f64 v[6:7], v[6:7], v[126:127], -v[8:9]
	;; [unrolled: 2-line block ×3, first 2 shown]
	s_waitcnt vmcnt(19)
	v_mul_f64 v[106:107], v[94:95], v[212:213]
	s_waitcnt vmcnt(17)
	v_fmac_f64_e32 v[106:107], v[96:97], v[214:215]
	v_add_f64 v[0:1], v[0:1], v[106:107]
	s_waitcnt vmcnt(15) lgkmcnt(2)
	v_mul_f64 v[106:107], v[98:99], v[218:219]
	s_waitcnt vmcnt(13)
	v_fmac_f64_e32 v[106:107], v[100:101], v[220:221]
	v_add_f64 v[0:1], v[0:1], v[106:107]
	ds_read_b128 v[106:109], v232 offset:1904
	buffer_load_dword v244, off, s[0:3], 0 offset:976
	buffer_load_dword v241, off, s[0:3], 0 offset:988
	;; [unrolled: 1-line block ×3, first 2 shown]
	s_waitcnt vmcnt(13) lgkmcnt(2)
	v_mul_f64 v[114:115], v[102:103], v[222:223]
	s_waitcnt vmcnt(11)
	v_fmac_f64_e32 v[114:115], v[104:105], v[228:229]
	v_add_f64 v[0:1], v[0:1], v[114:115]
	s_waitcnt vmcnt(10) lgkmcnt(0)
	v_mul_f64 v[114:115], v[106:107], v[216:217]
	s_waitcnt vmcnt(8)
	v_fmac_f64_e32 v[114:115], v[108:109], v[226:227]
	v_add_f64 v[0:1], v[0:1], v[114:115]
	s_waitcnt vmcnt(6)
	v_mul_f64 v[114:115], v[110:111], v[224:225]
	s_waitcnt vmcnt(4)
	v_fmac_f64_e32 v[114:115], v[112:113], v[230:231]
	v_add_f64 v[0:1], v[0:1], v[114:115]
	ds_read_b128 v[114:117], v232 offset:1936
	buffer_load_dword v248, off, s[0:3], 0 offset:416
	buffer_load_dword v249, off, s[0:3], 0 offset:420
	;; [unrolled: 1-line block ×4, first 2 shown]
	s_waitcnt vmcnt(5) lgkmcnt(0)
	v_mul_f64 v[242:243], v[114:115], v[240:241]
	s_waitcnt vmcnt(4)
	v_fmac_f64_e32 v[242:243], v[116:117], v[244:245]
	v_add_f64 v[242:243], v[0:1], v[242:243]
	v_add_f64 v[0:1], v[150:151], 0
	;; [unrolled: 1-line block ×10, first 2 shown]
	v_mul_f64 v[2:3], v[16:17], v[134:135]
	v_fma_f64 v[2:3], v[14:15], v[136:137], -v[2:3]
	v_add_f64 v[0:1], v[0:1], v[2:3]
	v_mul_f64 v[2:3], v[20:21], v[130:131]
	v_fma_f64 v[2:3], v[18:19], v[132:133], -v[2:3]
	v_add_f64 v[0:1], v[0:1], v[2:3]
	;; [unrolled: 3-line block ×26, first 2 shown]
	s_waitcnt vmcnt(2)
	v_add_f64 v[0:1], v[248:249], -v[0:1]
	s_waitcnt vmcnt(0)
	v_add_f64 v[2:3], v[246:247], -v[242:243]
	buffer_store_dword v1, off, s[0:3], 0 offset:420
	buffer_store_dword v0, off, s[0:3], 0 offset:416
	;; [unrolled: 1-line block ×4, first 2 shown]
	s_and_saveexec_b64 s[4:5], vcc
	s_cbranch_execz .LBB60_343
; %bb.342:
	v_accvgpr_read_b32 v0, a158
	buffer_load_dword v2, v0, s[0:3], 0 offen
	buffer_load_dword v3, v0, s[0:3], 0 offen offset:4
	buffer_load_dword v4, v0, s[0:3], 0 offen offset:8
	;; [unrolled: 1-line block ×3, first 2 shown]
	v_accvgpr_read_b32 v0, a183
	buffer_store_dword v232, off, s[0:3], 0 offset:400
	buffer_store_dword v232, off, s[0:3], 0 offset:404
	;; [unrolled: 1-line block ×4, first 2 shown]
	s_waitcnt vmcnt(4)
	ds_write_b128 v0, v[2:5]
.LBB60_343:
	s_or_b64 exec, exec, s[4:5]
	s_waitcnt lgkmcnt(0)
	; wave barrier
	s_waitcnt lgkmcnt(0)
	buffer_load_dword v84, off, s[0:3], 0 offset:416
	buffer_load_dword v85, off, s[0:3], 0 offset:420
	;; [unrolled: 1-line block ×34, first 2 shown]
	ds_read_b128 v[74:77], v232 offset:1376
	ds_read_b128 v[78:81], v232 offset:1392
	;; [unrolled: 1-line block ×8, first 2 shown]
	buffer_load_dword v125, off, s[0:3], 0 offset:532
	buffer_load_dword v124, off, s[0:3], 0 offset:528
	ds_read_b128 v[6:9], v232 offset:1504
	buffer_load_dword v127, off, s[0:3], 0 offset:588
	buffer_load_dword v126, off, s[0:3], 0 offset:584
	buffer_load_dword v129, off, s[0:3], 0 offset:580
	buffer_load_dword v128, off, s[0:3], 0 offset:576
	buffer_load_dword v131, off, s[0:3], 0 offset:572
	buffer_load_dword v130, off, s[0:3], 0 offset:568
	buffer_load_dword v133, off, s[0:3], 0 offset:564
	buffer_load_dword v132, off, s[0:3], 0 offset:560
	buffer_load_dword v135, off, s[0:3], 0 offset:620
	buffer_load_dword v134, off, s[0:3], 0 offset:616
	buffer_load_dword v137, off, s[0:3], 0 offset:612
	buffer_load_dword v136, off, s[0:3], 0 offset:608
	buffer_load_dword v143, off, s[0:3], 0 offset:604
	buffer_load_dword v142, off, s[0:3], 0 offset:600
	buffer_load_dword v145, off, s[0:3], 0 offset:596
	buffer_load_dword v144, off, s[0:3], 0 offset:592
	buffer_load_dword v139, off, s[0:3], 0 offset:652
	buffer_load_dword v138, off, s[0:3], 0 offset:648
	buffer_load_dword v141, off, s[0:3], 0 offset:644
	buffer_load_dword v140, off, s[0:3], 0 offset:640
	buffer_load_dword v161, off, s[0:3], 0 offset:636
	buffer_load_dword v160, off, s[0:3], 0 offset:632
	buffer_load_dword v165, off, s[0:3], 0 offset:628
	buffer_load_dword v164, off, s[0:3], 0 offset:624
	buffer_load_dword v147, off, s[0:3], 0 offset:684
	buffer_load_dword v146, off, s[0:3], 0 offset:680
	buffer_load_dword v149, off, s[0:3], 0 offset:676
	buffer_load_dword v148, off, s[0:3], 0 offset:672
	buffer_load_dword v169, off, s[0:3], 0 offset:668
	buffer_load_dword v168, off, s[0:3], 0 offset:664
	buffer_load_dword v173, off, s[0:3], 0 offset:660
	buffer_load_dword v172, off, s[0:3], 0 offset:656
	buffer_load_dword v153, off, s[0:3], 0 offset:716
	buffer_load_dword v152, off, s[0:3], 0 offset:712
	buffer_load_dword v155, off, s[0:3], 0 offset:708
	buffer_load_dword v154, off, s[0:3], 0 offset:704
	buffer_load_dword v177, off, s[0:3], 0 offset:700
	buffer_load_dword v176, off, s[0:3], 0 offset:696
	buffer_load_dword v181, off, s[0:3], 0 offset:692
	buffer_load_dword v180, off, s[0:3], 0 offset:688
	buffer_load_dword v157, off, s[0:3], 0 offset:748
	buffer_load_dword v156, off, s[0:3], 0 offset:744
	buffer_load_dword v159, off, s[0:3], 0 offset:740
	buffer_load_dword v158, off, s[0:3], 0 offset:736
	buffer_load_dword v185, off, s[0:3], 0 offset:732
	buffer_load_dword v184, off, s[0:3], 0 offset:728
	buffer_load_dword v189, off, s[0:3], 0 offset:724
	buffer_load_dword v188, off, s[0:3], 0 offset:720
	buffer_load_dword v163, off, s[0:3], 0 offset:780
	buffer_load_dword v162, off, s[0:3], 0 offset:776
	buffer_load_dword v167, off, s[0:3], 0 offset:772
	buffer_load_dword v166, off, s[0:3], 0 offset:768
	buffer_load_dword v193, off, s[0:3], 0 offset:764
	buffer_load_dword v192, off, s[0:3], 0 offset:760
	buffer_load_dword v195, off, s[0:3], 0 offset:756
	buffer_load_dword v194, off, s[0:3], 0 offset:752
	buffer_load_dword v171, off, s[0:3], 0 offset:812
	buffer_load_dword v170, off, s[0:3], 0 offset:808
	buffer_load_dword v175, off, s[0:3], 0 offset:804
	buffer_load_dword v174, off, s[0:3], 0 offset:800
	buffer_load_dword v197, off, s[0:3], 0 offset:796
	buffer_load_dword v196, off, s[0:3], 0 offset:792
	buffer_load_dword v199, off, s[0:3], 0 offset:788
	buffer_load_dword v198, off, s[0:3], 0 offset:784
	buffer_load_dword v179, off, s[0:3], 0 offset:844
	buffer_load_dword v178, off, s[0:3], 0 offset:840
	buffer_load_dword v183, off, s[0:3], 0 offset:836
	buffer_load_dword v182, off, s[0:3], 0 offset:832
	buffer_load_dword v201, off, s[0:3], 0 offset:828
	buffer_load_dword v200, off, s[0:3], 0 offset:824
	buffer_load_dword v203, off, s[0:3], 0 offset:820
	buffer_load_dword v202, off, s[0:3], 0 offset:816
	buffer_load_dword v187, off, s[0:3], 0 offset:876
	buffer_load_dword v186, off, s[0:3], 0 offset:872
	buffer_load_dword v191, off, s[0:3], 0 offset:868
	buffer_load_dword v190, off, s[0:3], 0 offset:864
	buffer_load_dword v205, off, s[0:3], 0 offset:860
	buffer_load_dword v204, off, s[0:3], 0 offset:856
	buffer_load_dword v207, off, s[0:3], 0 offset:852
	buffer_load_dword v206, off, s[0:3], 0 offset:848
	s_waitcnt vmcnt(62) lgkmcnt(8)
	v_mul_f64 v[0:1], v[74:75], v[106:107]
	v_fmac_f64_e32 v[0:1], v[76:77], v[84:85]
	v_add_f64 v[0:1], v[0:1], 0
	v_mul_f64 v[76:77], v[76:77], v[106:107]
	s_waitcnt lgkmcnt(7)
	v_mul_f64 v[10:11], v[78:79], v[96:97]
	v_fmac_f64_e32 v[10:11], v[80:81], v[82:83]
	s_waitcnt lgkmcnt(6)
	v_mul_f64 v[12:13], v[86:87], v[94:95]
	v_add_f64 v[0:1], v[0:1], v[10:11]
	s_waitcnt lgkmcnt(4)
	v_mul_f64 v[16:17], v[98:99], v[108:109]
	v_fma_f64 v[150:151], v[74:75], v[84:85], -v[76:77]
	v_fmac_f64_e32 v[16:17], v[100:101], v[114:115]
	v_mul_f64 v[80:81], v[80:81], v[96:97]
	v_mul_f64 v[14:15], v[90:91], v[116:117]
	v_fma_f64 v[234:235], v[78:79], v[82:83], -v[80:81]
	s_waitcnt lgkmcnt(2)
	v_mul_f64 v[20:21], v[110:111], v[240:241]
	v_mul_f64 v[100:101], v[100:101], v[108:109]
	;; [unrolled: 1-line block ×3, first 2 shown]
	s_waitcnt lgkmcnt(1)
	v_mul_f64 v[22:23], v[2:3], v[118:119]
	v_fmac_f64_e32 v[12:13], v[88:89], v[250:251]
	v_add_f64 v[0:1], v[0:1], v[12:13]
	v_fmac_f64_e32 v[14:15], v[92:93], v[248:249]
	v_add_f64 v[0:1], v[0:1], v[14:15]
	;; [unrolled: 2-line block ×4, first 2 shown]
	v_add_f64 v[0:1], v[0:1], v[20:21]
	s_waitcnt lgkmcnt(0)
	v_mul_f64 v[14:15], v[6:7], v[120:121]
	ds_read_b128 v[10:13], v232 offset:1520
	v_fmac_f64_e32 v[22:23], v[4:5], v[124:125]
	v_add_f64 v[0:1], v[0:1], v[22:23]
	v_fmac_f64_e32 v[14:15], v[8:9], v[122:123]
	v_add_f64 v[0:1], v[0:1], v[14:15]
	ds_read_b128 v[14:17], v232 offset:1536
	s_waitcnt lgkmcnt(1)
	v_mul_f64 v[18:19], v[10:11], v[130:131]
	v_fmac_f64_e32 v[18:19], v[12:13], v[132:133]
	v_add_f64 v[0:1], v[0:1], v[18:19]
	ds_read_b128 v[18:21], v232 offset:1552
	s_waitcnt lgkmcnt(1)
	v_mul_f64 v[22:23], v[14:15], v[126:127]
	;; [unrolled: 5-line block ×4, first 2 shown]
	v_fmac_f64_e32 v[30:31], v[24:25], v[136:137]
	v_add_f64 v[0:1], v[0:1], v[30:31]
	ds_read_b128 v[30:33], v232 offset:1600
	s_waitcnt vmcnt(58) lgkmcnt(1)
	v_mul_f64 v[34:35], v[26:27], v[160:161]
	s_waitcnt vmcnt(56)
	v_fmac_f64_e32 v[34:35], v[28:29], v[164:165]
	v_add_f64 v[0:1], v[0:1], v[34:35]
	ds_read_b128 v[34:37], v232 offset:1616
	s_waitcnt lgkmcnt(1)
	v_mul_f64 v[38:39], v[30:31], v[138:139]
	v_fmac_f64_e32 v[38:39], v[32:33], v[140:141]
	v_add_f64 v[0:1], v[0:1], v[38:39]
	ds_read_b128 v[38:41], v232 offset:1632
	s_waitcnt vmcnt(50) lgkmcnt(1)
	v_mul_f64 v[42:43], v[34:35], v[168:169]
	s_waitcnt vmcnt(48)
	v_fmac_f64_e32 v[42:43], v[36:37], v[172:173]
	v_add_f64 v[0:1], v[0:1], v[42:43]
	ds_read_b128 v[42:45], v232 offset:1648
	s_waitcnt lgkmcnt(1)
	v_mul_f64 v[46:47], v[38:39], v[146:147]
	v_fmac_f64_e32 v[46:47], v[40:41], v[148:149]
	v_add_f64 v[0:1], v[0:1], v[46:47]
	ds_read_b128 v[46:49], v232 offset:1664
	buffer_load_dword v209, off, s[0:3], 0 offset:908
	buffer_load_dword v211, off, s[0:3], 0 offset:892
	;; [unrolled: 1-line block ×12, first 2 shown]
	s_waitcnt vmcnt(54) lgkmcnt(1)
	v_mul_f64 v[50:51], v[42:43], v[176:177]
	s_waitcnt vmcnt(52)
	v_fmac_f64_e32 v[50:51], v[44:45], v[180:181]
	v_add_f64 v[0:1], v[0:1], v[50:51]
	ds_read_b128 v[50:53], v232 offset:1680
	s_waitcnt lgkmcnt(1)
	v_mul_f64 v[54:55], v[46:47], v[152:153]
	v_fmac_f64_e32 v[54:55], v[48:49], v[154:155]
	buffer_load_dword v223, off, s[0:3], 0 offset:940
	buffer_load_dword v222, off, s[0:3], 0 offset:936
	;; [unrolled: 1-line block ×12, first 2 shown]
	v_add_f64 v[0:1], v[0:1], v[54:55]
	ds_read_b128 v[54:57], v232 offset:1696
	s_waitcnt vmcnt(58) lgkmcnt(1)
	v_mul_f64 v[58:59], v[50:51], v[184:185]
	s_waitcnt vmcnt(56)
	v_fmac_f64_e32 v[58:59], v[52:53], v[188:189]
	v_add_f64 v[0:1], v[0:1], v[58:59]
	ds_read_b128 v[58:61], v232 offset:1712
	s_waitcnt lgkmcnt(1)
	v_mul_f64 v[62:63], v[54:55], v[156:157]
	v_fmac_f64_e32 v[62:63], v[56:57], v[158:159]
	v_add_f64 v[0:1], v[0:1], v[62:63]
	ds_read_b128 v[62:65], v232 offset:1728
	ds_read_b128 v[66:69], v232 offset:1744
	s_waitcnt vmcnt(50) lgkmcnt(2)
	v_mul_f64 v[70:71], v[58:59], v[192:193]
	s_waitcnt vmcnt(48)
	v_fmac_f64_e32 v[70:71], v[60:61], v[194:195]
	v_add_f64 v[0:1], v[0:1], v[70:71]
	s_waitcnt lgkmcnt(1)
	v_mul_f64 v[70:71], v[62:63], v[162:163]
	v_fmac_f64_e32 v[70:71], v[64:65], v[166:167]
	v_add_f64 v[0:1], v[0:1], v[70:71]
	s_waitcnt vmcnt(42) lgkmcnt(0)
	v_mul_f64 v[70:71], v[66:67], v[196:197]
	s_waitcnt vmcnt(40)
	v_fmac_f64_e32 v[70:71], v[68:69], v[198:199]
	v_add_f64 v[0:1], v[0:1], v[70:71]
	ds_read_b128 v[70:73], v232 offset:1760
	ds_read_b128 v[74:77], v232 offset:1776
	;; [unrolled: 1-line block ×3, first 2 shown]
	v_mul_f64 v[88:89], v[88:89], v[94:95]
	v_fma_f64 v[236:237], v[86:87], v[250:251], -v[88:89]
	ds_read_b128 v[86:89], v232 offset:1824
	s_waitcnt lgkmcnt(3)
	v_mul_f64 v[84:85], v[70:71], v[170:171]
	v_fmac_f64_e32 v[84:85], v[72:73], v[174:175]
	s_waitcnt vmcnt(34) lgkmcnt(2)
	v_mul_f64 v[82:83], v[74:75], v[200:201]
	v_add_f64 v[0:1], v[0:1], v[84:85]
	s_waitcnt vmcnt(32)
	v_fmac_f64_e32 v[82:83], v[76:77], v[202:203]
	v_add_f64 v[0:1], v[0:1], v[82:83]
	s_waitcnt lgkmcnt(1)
	v_mul_f64 v[82:83], v[78:79], v[178:179]
	v_fmac_f64_e32 v[82:83], v[80:81], v[182:183]
	v_add_f64 v[0:1], v[0:1], v[82:83]
	ds_read_b128 v[82:85], v232 offset:1808
	v_mul_f64 v[92:93], v[92:93], v[116:117]
	v_fma_f64 v[238:239], v[90:91], v[248:249], -v[92:93]
	ds_read_b128 v[90:93], v232 offset:1840
	v_fma_f64 v[248:249], v[98:99], v[114:115], -v[100:101]
	s_waitcnt vmcnt(26) lgkmcnt(1)
	v_mul_f64 v[94:95], v[82:83], v[204:205]
	s_waitcnt vmcnt(24)
	v_fmac_f64_e32 v[94:95], v[84:85], v[206:207]
	v_add_f64 v[0:1], v[0:1], v[94:95]
	v_mul_f64 v[94:95], v[86:87], v[186:187]
	v_fmac_f64_e32 v[94:95], v[88:89], v[190:191]
	v_add_f64 v[0:1], v[0:1], v[94:95]
	ds_read_b128 v[94:97], v232 offset:1856
	ds_read_b128 v[98:101], v232 offset:1872
	v_mul_f64 v[104:105], v[104:105], v[244:245]
	v_mul_f64 v[112:113], v[112:113], v[240:241]
	v_fma_f64 v[250:251], v[102:103], v[246:247], -v[104:105]
	v_fma_f64 v[252:253], v[110:111], v[242:243], -v[112:113]
	ds_read_b128 v[110:113], v232 offset:1920
	v_mul_f64 v[4:5], v[4:5], v[118:119]
	v_fma_f64 v[2:3], v[2:3], v[124:125], -v[4:5]
	ds_read_b128 v[102:105], v232 offset:1904
	s_waitcnt vmcnt(21) lgkmcnt(4)
	v_mul_f64 v[106:107], v[90:91], v[210:211]
	s_waitcnt vmcnt(19)
	v_fmac_f64_e32 v[106:107], v[92:93], v[216:217]
	v_add_f64 v[0:1], v[0:1], v[106:107]
	s_waitcnt vmcnt(18) lgkmcnt(3)
	v_mul_f64 v[106:107], v[94:95], v[208:209]
	s_waitcnt vmcnt(16)
	v_fmac_f64_e32 v[106:107], v[96:97], v[214:215]
	v_add_f64 v[0:1], v[0:1], v[106:107]
	ds_read_b128 v[106:109], v232 offset:1888
	buffer_load_dword v243, off, s[0:3], 0 offset:988
	buffer_load_dword v242, off, s[0:3], 0 offset:984
	;; [unrolled: 1-line block ×4, first 2 shown]
	s_waitcnt vmcnt(18) lgkmcnt(3)
	v_mul_f64 v[114:115], v[98:99], v[212:213]
	s_waitcnt vmcnt(16)
	v_fmac_f64_e32 v[114:115], v[100:101], v[218:219]
	v_add_f64 v[0:1], v[0:1], v[114:115]
	s_waitcnt vmcnt(14) lgkmcnt(0)
	v_mul_f64 v[114:115], v[106:107], v[222:223]
	s_waitcnt vmcnt(12)
	v_fmac_f64_e32 v[114:115], v[108:109], v[224:225]
	v_add_f64 v[0:1], v[0:1], v[114:115]
	s_waitcnt vmcnt(9)
	v_mul_f64 v[114:115], v[102:103], v[228:229]
	s_waitcnt vmcnt(7)
	v_fmac_f64_e32 v[114:115], v[104:105], v[230:231]
	v_add_f64 v[0:1], v[0:1], v[114:115]
	s_waitcnt vmcnt(5)
	v_mul_f64 v[114:115], v[110:111], v[220:221]
	s_waitcnt vmcnt(4)
	v_fmac_f64_e32 v[114:115], v[112:113], v[226:227]
	v_add_f64 v[0:1], v[0:1], v[114:115]
	ds_read_b128 v[114:117], v232 offset:1936
	s_waitcnt vmcnt(2) lgkmcnt(0)
	v_mul_f64 v[232:233], v[114:115], v[242:243]
	s_waitcnt vmcnt(0)
	v_fmac_f64_e32 v[232:233], v[116:117], v[244:245]
	v_add_f64 v[240:241], v[0:1], v[232:233]
	v_add_f64 v[0:1], v[150:151], 0
	;; [unrolled: 1-line block ×6, first 2 shown]
	buffer_load_dword v248, off, s[0:3], 0 offset:400
	buffer_load_dword v249, off, s[0:3], 0 offset:404
	buffer_load_dword v246, off, s[0:3], 0 offset:408
	buffer_load_dword v247, off, s[0:3], 0 offset:412
	v_add_f64 v[0:1], v[254:255], v[250:251]
	v_add_f64 v[0:1], v[0:1], v[252:253]
	;; [unrolled: 1-line block ×3, first 2 shown]
	v_mul_f64 v[2:3], v[8:9], v[120:121]
	v_fma_f64 v[2:3], v[6:7], v[122:123], -v[2:3]
	v_add_f64 v[0:1], v[0:1], v[2:3]
	v_mul_f64 v[2:3], v[12:13], v[130:131]
	v_fma_f64 v[2:3], v[10:11], v[132:133], -v[2:3]
	v_add_f64 v[0:1], v[0:1], v[2:3]
	;; [unrolled: 3-line block ×28, first 2 shown]
	v_accvgpr_read_b32 v233, a182
	s_waitcnt vmcnt(2)
	v_add_f64 v[0:1], v[248:249], -v[0:1]
	v_cmp_lt_u32_e32 vcc, 23, v233
	s_waitcnt vmcnt(0)
	v_add_f64 v[2:3], v[246:247], -v[240:241]
	buffer_store_dword v1, off, s[0:3], 0 offset:404
	buffer_store_dword v0, off, s[0:3], 0 offset:400
	;; [unrolled: 1-line block ×4, first 2 shown]
	s_and_saveexec_b64 s[4:5], vcc
	s_cbranch_execz .LBB60_345
; %bb.344:
	v_accvgpr_read_b32 v0, a159
	buffer_load_dword v2, v0, s[0:3], 0 offen
	buffer_load_dword v3, v0, s[0:3], 0 offen offset:4
	buffer_load_dword v4, v0, s[0:3], 0 offen offset:8
	;; [unrolled: 1-line block ×3, first 2 shown]
	v_mov_b32_e32 v0, 0
	v_accvgpr_read_b32 v1, a183
	buffer_store_dword v0, off, s[0:3], 0 offset:384
	buffer_store_dword v0, off, s[0:3], 0 offset:388
	buffer_store_dword v0, off, s[0:3], 0 offset:392
	buffer_store_dword v0, off, s[0:3], 0 offset:396
	s_waitcnt vmcnt(4)
	ds_write_b128 v1, v[2:5]
.LBB60_345:
	s_or_b64 exec, exec, s[4:5]
	s_waitcnt lgkmcnt(0)
	; wave barrier
	s_waitcnt lgkmcnt(0)
	buffer_load_dword v66, off, s[0:3], 0 offset:400
	buffer_load_dword v67, off, s[0:3], 0 offset:404
	;; [unrolled: 1-line block ×55, first 2 shown]
	v_mov_b32_e32 v232, 0
	ds_read_b128 v[74:77], v232 offset:1360
	ds_read_b128 v[86:89], v232 offset:1376
	;; [unrolled: 1-line block ×9, first 2 shown]
	buffer_load_dword v136, off, s[0:3], 0 offset:624
	buffer_load_dword v157, off, s[0:3], 0 offset:620
	;; [unrolled: 1-line block ×61, first 2 shown]
	v_cmp_lt_u32_e32 vcc, 22, v233
	s_waitcnt vmcnt(62) lgkmcnt(8)
	v_mul_f64 v[0:1], v[74:75], v[68:69]
	v_fmac_f64_e32 v[0:1], v[76:77], v[66:67]
	v_add_f64 v[0:1], v[0:1], 0
	v_mul_f64 v[68:69], v[76:77], v[68:69]
	s_waitcnt lgkmcnt(7)
	v_mul_f64 v[6:7], v[86:87], v[72:73]
	v_fmac_f64_e32 v[6:7], v[88:89], v[70:71]
	s_waitcnt lgkmcnt(6)
	v_mul_f64 v[8:9], v[98:99], v[78:79]
	v_add_f64 v[0:1], v[0:1], v[6:7]
	s_waitcnt lgkmcnt(4)
	v_mul_f64 v[12:13], v[114:115], v[90:91]
	v_fma_f64 v[150:151], v[74:75], v[66:67], -v[68:69]
	v_fmac_f64_e32 v[12:13], v[116:117], v[92:93]
	v_mul_f64 v[72:73], v[88:89], v[72:73]
	v_mul_f64 v[10:11], v[110:111], v[82:83]
	v_fma_f64 v[246:247], v[86:87], v[70:71], -v[72:73]
	s_waitcnt lgkmcnt(2)
	v_mul_f64 v[16:17], v[238:239], v[102:103]
	v_mul_f64 v[78:79], v[100:101], v[78:79]
	;; [unrolled: 1-line block ×5, first 2 shown]
	s_waitcnt lgkmcnt(1)
	v_mul_f64 v[18:19], v[242:243], v[106:107]
	v_fmac_f64_e32 v[18:19], v[244:245], v[108:109]
	v_fmac_f64_e32 v[8:9], v[100:101], v[80:81]
	v_add_f64 v[0:1], v[0:1], v[8:9]
	v_fmac_f64_e32 v[10:11], v[112:113], v[84:85]
	v_add_f64 v[0:1], v[0:1], v[10:11]
	;; [unrolled: 2-line block ×3, first 2 shown]
	ds_read_b128 v[6:9], v232 offset:1504
	v_fmac_f64_e32 v[16:17], v[240:241], v[104:105]
	v_add_f64 v[0:1], v[0:1], v[14:15]
	v_add_f64 v[0:1], v[0:1], v[16:17]
	s_waitcnt lgkmcnt(1)
	v_mul_f64 v[10:11], v[2:3], v[118:119]
	v_add_f64 v[0:1], v[0:1], v[18:19]
	v_fmac_f64_e32 v[10:11], v[4:5], v[120:121]
	v_add_f64 v[0:1], v[0:1], v[10:11]
	ds_read_b128 v[10:13], v232 offset:1520
	s_waitcnt lgkmcnt(1)
	v_mul_f64 v[14:15], v[6:7], v[126:127]
	v_fmac_f64_e32 v[14:15], v[8:9], v[128:129]
	v_add_f64 v[0:1], v[0:1], v[14:15]
	ds_read_b128 v[14:17], v232 offset:1536
	s_waitcnt lgkmcnt(1)
	v_mul_f64 v[18:19], v[10:11], v[122:123]
	;; [unrolled: 5-line block ×4, first 2 shown]
	v_fmac_f64_e32 v[26:27], v[20:21], v[132:133]
	v_add_f64 v[0:1], v[0:1], v[26:27]
	ds_read_b128 v[26:29], v232 offset:1584
	s_waitcnt vmcnt(58) lgkmcnt(1)
	v_mul_f64 v[30:31], v[22:23], v[156:157]
	s_waitcnt vmcnt(56)
	v_fmac_f64_e32 v[30:31], v[24:25], v[160:161]
	v_add_f64 v[0:1], v[0:1], v[30:31]
	ds_read_b128 v[30:33], v232 offset:1600
	s_waitcnt lgkmcnt(1)
	v_mul_f64 v[34:35], v[26:27], v[134:135]
	v_fmac_f64_e32 v[34:35], v[28:29], v[136:137]
	v_add_f64 v[0:1], v[0:1], v[34:35]
	ds_read_b128 v[34:37], v232 offset:1616
	s_waitcnt vmcnt(50) lgkmcnt(1)
	v_mul_f64 v[38:39], v[30:31], v[164:165]
	s_waitcnt vmcnt(48)
	v_fmac_f64_e32 v[38:39], v[32:33], v[168:169]
	v_add_f64 v[0:1], v[0:1], v[38:39]
	ds_read_b128 v[38:41], v232 offset:1632
	s_waitcnt lgkmcnt(1)
	v_mul_f64 v[42:43], v[34:35], v[142:143]
	v_fmac_f64_e32 v[42:43], v[36:37], v[144:145]
	v_add_f64 v[0:1], v[0:1], v[42:43]
	ds_read_b128 v[42:45], v232 offset:1648
	s_waitcnt vmcnt(42) lgkmcnt(1)
	v_mul_f64 v[46:47], v[38:39], v[172:173]
	s_waitcnt vmcnt(40)
	v_fmac_f64_e32 v[46:47], v[40:41], v[176:177]
	v_add_f64 v[0:1], v[0:1], v[46:47]
	ds_read_b128 v[46:49], v232 offset:1664
	buffer_load_dword v205, off, s[0:3], 0 offset:876
	buffer_load_dword v204, off, s[0:3], 0 offset:872
	;; [unrolled: 1-line block ×4, first 2 shown]
	s_waitcnt lgkmcnt(1)
	v_mul_f64 v[50:51], v[42:43], v[146:147]
	v_fmac_f64_e32 v[50:51], v[44:45], v[148:149]
	v_add_f64 v[0:1], v[0:1], v[50:51]
	ds_read_b128 v[50:53], v232 offset:1680
	buffer_load_dword v209, off, s[0:3], 0 offset:892
	buffer_load_dword v208, off, s[0:3], 0 offset:888
	;; [unrolled: 1-line block ×8, first 2 shown]
	s_waitcnt vmcnt(46) lgkmcnt(1)
	v_mul_f64 v[54:55], v[46:47], v[180:181]
	s_waitcnt vmcnt(44)
	v_fmac_f64_e32 v[54:55], v[48:49], v[184:185]
	v_add_f64 v[0:1], v[0:1], v[54:55]
	ds_read_b128 v[54:57], v232 offset:1696
	buffer_load_dword v219, off, s[0:3], 0 offset:924
	buffer_load_dword v218, off, s[0:3], 0 offset:920
	;; [unrolled: 1-line block ×12, first 2 shown]
	s_waitcnt lgkmcnt(1)
	v_mul_f64 v[58:59], v[50:51], v[152:153]
	v_fmac_f64_e32 v[58:59], v[52:53], v[154:155]
	v_add_f64 v[0:1], v[0:1], v[58:59]
	ds_read_b128 v[58:61], v232 offset:1712
	s_waitcnt vmcnt(50) lgkmcnt(1)
	v_mul_f64 v[62:63], v[54:55], v[188:189]
	s_waitcnt vmcnt(48)
	v_fmac_f64_e32 v[62:63], v[56:57], v[190:191]
	v_add_f64 v[0:1], v[0:1], v[62:63]
	buffer_load_dword v229, off, s[0:3], 0 offset:972
	buffer_load_dword v228, off, s[0:3], 0 offset:968
	buffer_load_dword v231, off, s[0:3], 0 offset:964
	buffer_load_dword v230, off, s[0:3], 0 offset:960
	s_waitcnt lgkmcnt(0)
	v_mul_f64 v[62:63], v[58:59], v[158:159]
	v_fmac_f64_e32 v[62:63], v[60:61], v[162:163]
	v_add_f64 v[0:1], v[0:1], v[62:63]
	ds_read_b128 v[62:65], v232 offset:1728
	ds_read_b128 v[66:69], v232 offset:1744
	;; [unrolled: 1-line block ×3, first 2 shown]
	v_fma_f64 v[248:249], v[98:99], v[80:81], -v[78:79]
	ds_read_b128 v[78:81], v232 offset:1792
	s_waitcnt vmcnt(46) lgkmcnt(3)
	v_mul_f64 v[74:75], v[62:63], v[192:193]
	s_waitcnt vmcnt(44)
	v_fmac_f64_e32 v[74:75], v[64:65], v[194:195]
	v_add_f64 v[0:1], v[0:1], v[74:75]
	s_waitcnt lgkmcnt(2)
	v_mul_f64 v[74:75], v[66:67], v[166:167]
	v_fmac_f64_e32 v[74:75], v[68:69], v[170:171]
	v_add_f64 v[0:1], v[0:1], v[74:75]
	ds_read_b128 v[74:77], v232 offset:1776
	s_waitcnt vmcnt(38) lgkmcnt(2)
	v_mul_f64 v[86:87], v[70:71], v[196:197]
	s_waitcnt vmcnt(36)
	v_fmac_f64_e32 v[86:87], v[72:73], v[198:199]
	v_fma_f64 v[252:253], v[110:111], v[84:85], -v[82:83]
	ds_read_b128 v[82:85], v232 offset:1808
	v_add_f64 v[0:1], v[0:1], v[86:87]
	s_waitcnt lgkmcnt(1)
	v_mul_f64 v[86:87], v[74:75], v[174:175]
	v_fmac_f64_e32 v[86:87], v[76:77], v[178:179]
	v_add_f64 v[0:1], v[0:1], v[86:87]
	s_waitcnt vmcnt(30)
	v_mul_f64 v[86:87], v[78:79], v[200:201]
	s_waitcnt vmcnt(28)
	v_fmac_f64_e32 v[86:87], v[80:81], v[202:203]
	v_add_f64 v[0:1], v[0:1], v[86:87]
	s_waitcnt lgkmcnt(0)
	v_mul_f64 v[86:87], v[82:83], v[182:183]
	v_fmac_f64_e32 v[86:87], v[84:85], v[186:187]
	v_add_f64 v[0:1], v[0:1], v[86:87]
	ds_read_b128 v[86:89], v232 offset:1824
	v_fma_f64 v[254:255], v[114:115], v[92:93], -v[90:91]
	ds_read_b128 v[90:93], v232 offset:1840
	v_mul_f64 v[94:95], v[236:237], v[94:95]
	v_fma_f64 v[234:235], v[234:235], v[96:97], -v[94:95]
	ds_read_b128 v[94:97], v232 offset:1856
	v_mul_f64 v[102:103], v[240:241], v[102:103]
	;; [unrolled: 3-line block ×3, first 2 shown]
	v_fma_f64 v[250:251], v[242:243], v[108:109], -v[106:107]
	v_mul_f64 v[4:5], v[4:5], v[118:119]
	v_fma_f64 v[2:3], v[2:3], v[120:121], -v[4:5]
	ds_read_b128 v[106:109], v232 offset:1904
	s_waitcnt vmcnt(26) lgkmcnt(4)
	v_mul_f64 v[98:99], v[86:87], v[204:205]
	s_waitcnt vmcnt(24)
	v_fmac_f64_e32 v[98:99], v[88:89], v[206:207]
	v_add_f64 v[0:1], v[0:1], v[98:99]
	s_waitcnt vmcnt(22) lgkmcnt(3)
	v_mul_f64 v[98:99], v[90:91], v[208:209]
	s_waitcnt vmcnt(20)
	v_fmac_f64_e32 v[98:99], v[92:93], v[212:213]
	v_add_f64 v[0:1], v[0:1], v[98:99]
	;; [unrolled: 5-line block ×3, first 2 shown]
	ds_read_b128 v[98:101], v232 offset:1872
	s_waitcnt vmcnt(14) lgkmcnt(0)
	v_mul_f64 v[110:111], v[98:99], v[218:219]
	s_waitcnt vmcnt(12)
	v_fmac_f64_e32 v[110:111], v[100:101], v[220:221]
	v_add_f64 v[0:1], v[0:1], v[110:111]
	s_waitcnt vmcnt(9)
	v_mul_f64 v[110:111], v[102:103], v[224:225]
	s_waitcnt vmcnt(7)
	v_fmac_f64_e32 v[110:111], v[104:105], v[226:227]
	v_add_f64 v[0:1], v[0:1], v[110:111]
	s_waitcnt vmcnt(5)
	v_mul_f64 v[110:111], v[106:107], v[216:217]
	s_waitcnt vmcnt(4)
	v_fmac_f64_e32 v[110:111], v[108:109], v[222:223]
	v_add_f64 v[0:1], v[0:1], v[110:111]
	ds_read_b128 v[110:113], v232 offset:1920
	buffer_load_dword v242, off, s[0:3], 0 offset:984
	buffer_load_dword v243, off, s[0:3], 0 offset:988
	;; [unrolled: 1-line block ×4, first 2 shown]
	s_waitcnt vmcnt(6) lgkmcnt(0)
	v_mul_f64 v[114:115], v[110:111], v[228:229]
	s_waitcnt vmcnt(4)
	v_fmac_f64_e32 v[114:115], v[112:113], v[230:231]
	v_add_f64 v[0:1], v[0:1], v[114:115]
	ds_read_b128 v[114:117], v232 offset:1936
	s_waitcnt vmcnt(2) lgkmcnt(0)
	v_mul_f64 v[238:239], v[114:115], v[242:243]
	s_waitcnt vmcnt(0)
	v_fmac_f64_e32 v[238:239], v[116:117], v[244:245]
	v_add_f64 v[240:241], v[0:1], v[238:239]
	v_add_f64 v[0:1], v[150:151], 0
	;; [unrolled: 1-line block ×4, first 2 shown]
	buffer_load_dword v248, off, s[0:3], 0 offset:384
	buffer_load_dword v249, off, s[0:3], 0 offset:388
	;; [unrolled: 1-line block ×4, first 2 shown]
	v_add_f64 v[0:1], v[0:1], v[252:253]
	v_add_f64 v[0:1], v[0:1], v[254:255]
	;; [unrolled: 1-line block ×6, first 2 shown]
	v_mul_f64 v[2:3], v[8:9], v[126:127]
	v_fma_f64 v[2:3], v[6:7], v[128:129], -v[2:3]
	v_add_f64 v[0:1], v[0:1], v[2:3]
	v_mul_f64 v[2:3], v[12:13], v[122:123]
	v_fma_f64 v[2:3], v[10:11], v[124:125], -v[2:3]
	v_add_f64 v[0:1], v[0:1], v[2:3]
	;; [unrolled: 3-line block ×28, first 2 shown]
	s_waitcnt vmcnt(2)
	v_add_f64 v[0:1], v[248:249], -v[0:1]
	s_waitcnt vmcnt(0)
	v_add_f64 v[2:3], v[246:247], -v[240:241]
	buffer_store_dword v1, off, s[0:3], 0 offset:388
	buffer_store_dword v0, off, s[0:3], 0 offset:384
	;; [unrolled: 1-line block ×4, first 2 shown]
	s_and_saveexec_b64 s[4:5], vcc
	s_cbranch_execz .LBB60_347
; %bb.346:
	v_accvgpr_read_b32 v0, a160
	buffer_load_dword v2, v0, s[0:3], 0 offen
	buffer_load_dword v3, v0, s[0:3], 0 offen offset:4
	buffer_load_dword v4, v0, s[0:3], 0 offen offset:8
	;; [unrolled: 1-line block ×3, first 2 shown]
	v_accvgpr_read_b32 v0, a183
	buffer_store_dword v232, off, s[0:3], 0 offset:368
	buffer_store_dword v232, off, s[0:3], 0 offset:372
	;; [unrolled: 1-line block ×4, first 2 shown]
	s_waitcnt vmcnt(4)
	ds_write_b128 v0, v[2:5]
.LBB60_347:
	s_or_b64 exec, exec, s[4:5]
	s_waitcnt lgkmcnt(0)
	; wave barrier
	s_waitcnt lgkmcnt(0)
	buffer_load_dword v66, off, s[0:3], 0 offset:384
	buffer_load_dword v67, off, s[0:3], 0 offset:388
	;; [unrolled: 1-line block ×42, first 2 shown]
	ds_read_b128 v[78:81], v232 offset:1344
	ds_read_b128 v[90:93], v232 offset:1360
	;; [unrolled: 1-line block ×10, first 2 shown]
	buffer_load_dword v129, off, s[0:3], 0 offset:532
	buffer_load_dword v128, off, s[0:3], 0 offset:528
	ds_read_b128 v[6:9], v232 offset:1504
	buffer_load_dword v125, off, s[0:3], 0 offset:588
	buffer_load_dword v124, off, s[0:3], 0 offset:584
	;; [unrolled: 1-line block ×80, first 2 shown]
	s_waitcnt vmcnt(62) lgkmcnt(9)
	v_mul_f64 v[10:11], v[90:91], v[64:65]
	v_fmac_f64_e32 v[10:11], v[92:93], v[62:63]
	s_waitcnt lgkmcnt(8)
	v_mul_f64 v[12:13], v[102:103], v[70:71]
	v_mul_f64 v[64:65], v[92:93], v[64:65]
	s_waitcnt lgkmcnt(6)
	v_mul_f64 v[16:17], v[114:115], v[82:83]
	v_fma_f64 v[254:255], v[90:91], v[62:63], -v[64:65]
	v_fmac_f64_e32 v[16:17], v[116:117], v[84:85]
	v_mul_f64 v[70:71], v[104:105], v[70:71]
	v_mul_f64 v[14:15], v[110:111], v[74:75]
	;; [unrolled: 1-line block ×3, first 2 shown]
	s_waitcnt lgkmcnt(4)
	v_mul_f64 v[20:21], v[238:239], v[94:95]
	v_mul_f64 v[82:83], v[116:117], v[82:83]
	v_fmac_f64_e32 v[20:21], v[240:241], v[96:97]
	v_mul_f64 v[94:95], v[240:241], v[94:95]
	v_mul_f64 v[18:19], v[234:235], v[86:87]
	;; [unrolled: 1-line block ×3, first 2 shown]
	s_waitcnt lgkmcnt(2)
	v_mul_f64 v[24:25], v[246:247], v[106:107]
	v_fma_f64 v[238:239], v[238:239], v[96:97], -v[94:95]
	v_mul_f64 v[106:107], v[248:249], v[106:107]
	v_mul_f64 v[22:23], v[242:243], v[98:99]
	s_waitcnt lgkmcnt(1)
	v_mul_f64 v[26:27], v[118:119], v[4:5]
	v_fmac_f64_e32 v[12:13], v[104:105], v[72:73]
	v_fma_f64 v[250:251], v[102:103], v[72:73], -v[70:71]
	v_fmac_f64_e32 v[14:15], v[112:113], v[76:77]
	v_fma_f64 v[252:253], v[110:111], v[76:77], -v[74:75]
	;; [unrolled: 2-line block ×3, first 2 shown]
	v_fmac_f64_e32 v[22:23], v[244:245], v[100:101]
	v_fmac_f64_e32 v[24:25], v[248:249], v[108:109]
	v_fma_f64 v[234:235], v[246:247], v[108:109], -v[106:107]
	v_pk_mov_b32 v[2:3], v[0:1], v[0:1] op_sel:[0,1]
	v_mul_f64 v[0:1], v[78:79], v[68:69]
	v_fmac_f64_e32 v[0:1], v[80:81], v[66:67]
	v_add_f64 v[0:1], v[0:1], 0
	v_add_f64 v[0:1], v[0:1], v[10:11]
	;; [unrolled: 1-line block ×8, first 2 shown]
	ds_read_b128 v[10:13], v232 offset:1520
	v_add_f64 v[0:1], v[0:1], v[24:25]
	v_fmac_f64_e32 v[26:27], v[120:121], v[128:129]
	s_waitcnt lgkmcnt(1)
	v_mul_f64 v[14:15], v[6:7], v[2:3]
	v_add_f64 v[0:1], v[0:1], v[26:27]
	v_fmac_f64_e32 v[14:15], v[8:9], v[122:123]
	v_add_f64 v[0:1], v[0:1], v[14:15]
	ds_read_b128 v[14:17], v232 offset:1536
	s_waitcnt lgkmcnt(1)
	v_mul_f64 v[18:19], v[10:11], v[130:131]
	v_fmac_f64_e32 v[18:19], v[12:13], v[146:147]
	v_add_f64 v[0:1], v[0:1], v[18:19]
	ds_read_b128 v[18:21], v232 offset:1552
	s_waitcnt lgkmcnt(1)
	v_mul_f64 v[22:23], v[14:15], v[124:125]
	;; [unrolled: 5-line block ×4, first 2 shown]
	v_fmac_f64_e32 v[30:31], v[24:25], v[134:135]
	v_add_f64 v[0:1], v[0:1], v[30:31]
	ds_read_b128 v[30:33], v232 offset:1600
	s_waitcnt vmcnt(58) lgkmcnt(1)
	v_mul_f64 v[34:35], v[26:27], v[160:161]
	s_waitcnt vmcnt(56)
	v_fmac_f64_e32 v[34:35], v[28:29], v[164:165]
	v_add_f64 v[0:1], v[0:1], v[34:35]
	ds_read_b128 v[34:37], v232 offset:1616
	s_waitcnt lgkmcnt(1)
	v_mul_f64 v[38:39], v[30:31], v[136:137]
	v_fmac_f64_e32 v[38:39], v[32:33], v[138:139]
	v_add_f64 v[0:1], v[0:1], v[38:39]
	ds_read_b128 v[38:41], v232 offset:1632
	s_waitcnt vmcnt(50) lgkmcnt(1)
	v_mul_f64 v[42:43], v[34:35], v[168:169]
	s_waitcnt vmcnt(48)
	v_fmac_f64_e32 v[42:43], v[36:37], v[172:173]
	v_add_f64 v[0:1], v[0:1], v[42:43]
	ds_read_b128 v[42:45], v232 offset:1648
	s_waitcnt lgkmcnt(1)
	v_mul_f64 v[46:47], v[38:39], v[140:141]
	v_fmac_f64_e32 v[46:47], v[40:41], v[142:143]
	v_add_f64 v[0:1], v[0:1], v[46:47]
	ds_read_b128 v[46:49], v232 offset:1664
	s_waitcnt vmcnt(42) lgkmcnt(1)
	v_mul_f64 v[50:51], v[42:43], v[176:177]
	s_waitcnt vmcnt(40)
	v_fmac_f64_e32 v[50:51], v[44:45], v[180:181]
	v_add_f64 v[0:1], v[0:1], v[50:51]
	ds_read_b128 v[50:53], v232 offset:1680
	buffer_load_dword v209, off, s[0:3], 0 offset:892
	buffer_load_dword v208, off, s[0:3], 0 offset:888
	;; [unrolled: 1-line block ×4, first 2 shown]
	s_waitcnt lgkmcnt(1)
	v_mul_f64 v[54:55], v[46:47], v[144:145]
	v_fmac_f64_e32 v[54:55], v[48:49], v[148:149]
	v_add_f64 v[0:1], v[0:1], v[54:55]
	ds_read_b128 v[54:57], v232 offset:1696
	buffer_load_dword v214, off, s[0:3], 0 offset:904
	buffer_load_dword v216, off, s[0:3], 0 offset:896
	;; [unrolled: 1-line block ×16, first 2 shown]
	s_waitcnt vmcnt(54) lgkmcnt(1)
	v_mul_f64 v[58:59], v[50:51], v[184:185]
	s_waitcnt vmcnt(52)
	v_fmac_f64_e32 v[58:59], v[52:53], v[188:189]
	v_add_f64 v[0:1], v[0:1], v[58:59]
	ds_read_b128 v[58:61], v232 offset:1712
	buffer_load_dword v228, off, s[0:3], 0 offset:968
	buffer_load_dword v230, off, s[0:3], 0 offset:960
	;; [unrolled: 1-line block ×4, first 2 shown]
	v_mul_f64 v[68:69], v[80:81], v[68:69]
	ds_read_b128 v[62:65], v232 offset:1728
	ds_read_b128 v[70:73], v232 offset:1760
	v_fma_f64 v[150:151], v[78:79], v[66:67], -v[68:69]
	s_waitcnt lgkmcnt(3)
	v_mul_f64 v[66:67], v[54:55], v[154:155]
	v_fmac_f64_e32 v[66:67], v[56:57], v[158:159]
	v_add_f64 v[0:1], v[0:1], v[66:67]
	s_waitcnt vmcnt(50) lgkmcnt(2)
	v_mul_f64 v[66:67], v[58:59], v[192:193]
	s_waitcnt vmcnt(48)
	v_fmac_f64_e32 v[66:67], v[60:61], v[194:195]
	v_add_f64 v[0:1], v[0:1], v[66:67]
	s_waitcnt lgkmcnt(1)
	v_mul_f64 v[66:67], v[62:63], v[162:163]
	v_fmac_f64_e32 v[66:67], v[64:65], v[166:167]
	v_add_f64 v[0:1], v[0:1], v[66:67]
	ds_read_b128 v[66:69], v232 offset:1744
	ds_read_b128 v[74:77], v232 offset:1776
	v_accvgpr_write_b32 a185, v3
	v_accvgpr_write_b32 a184, v2
	v_fma_f64 v[2:3], v[114:115], v[84:85], -v[82:83]
	s_waitcnt vmcnt(42) lgkmcnt(1)
	v_mul_f64 v[78:79], v[66:67], v[196:197]
	s_waitcnt vmcnt(40)
	v_fmac_f64_e32 v[78:79], v[68:69], v[198:199]
	v_add_f64 v[0:1], v[0:1], v[78:79]
	v_mul_f64 v[78:79], v[70:71], v[170:171]
	v_fmac_f64_e32 v[78:79], v[72:73], v[174:175]
	v_add_f64 v[0:1], v[0:1], v[78:79]
	ds_read_b128 v[78:81], v232 offset:1792
	ds_read_b128 v[82:85], v232 offset:1808
	s_waitcnt vmcnt(34) lgkmcnt(2)
	v_mul_f64 v[90:91], v[74:75], v[200:201]
	s_waitcnt vmcnt(32)
	v_fmac_f64_e32 v[90:91], v[76:77], v[202:203]
	ds_read_b128 v[86:89], v232 offset:1824
	ds_read_b128 v[94:97], v232 offset:1856
	v_add_f64 v[0:1], v[0:1], v[90:91]
	s_waitcnt lgkmcnt(3)
	v_mul_f64 v[90:91], v[78:79], v[178:179]
	v_fmac_f64_e32 v[90:91], v[80:81], v[182:183]
	v_add_f64 v[0:1], v[0:1], v[90:91]
	s_waitcnt vmcnt(26) lgkmcnt(2)
	v_mul_f64 v[90:91], v[82:83], v[204:205]
	s_waitcnt vmcnt(24)
	v_fmac_f64_e32 v[90:91], v[84:85], v[206:207]
	v_add_f64 v[0:1], v[0:1], v[90:91]
	s_waitcnt lgkmcnt(1)
	v_mul_f64 v[90:91], v[86:87], v[186:187]
	v_fmac_f64_e32 v[90:91], v[88:89], v[190:191]
	v_add_f64 v[0:1], v[0:1], v[90:91]
	ds_read_b128 v[90:93], v232 offset:1840
	ds_read_b128 v[106:109], v232 offset:1904
	v_add_f64 v[150:151], v[150:151], 0
	v_add_f64 v[150:151], v[150:151], v[254:255]
	v_add_f64 v[150:151], v[150:151], v[250:251]
	v_add_f64 v[150:151], v[150:151], v[252:253]
	v_add_f64 v[2:3], v[150:151], v[2:3]
	v_add_f64 v[2:3], v[2:3], v[236:237]
	v_add_f64 v[254:255], v[2:3], v[238:239]
	v_mul_f64 v[2:3], v[120:121], v[4:5]
	v_fma_f64 v[2:3], v[118:119], v[128:129], -v[2:3]
	s_waitcnt vmcnt(22) lgkmcnt(1)
	v_mul_f64 v[102:103], v[90:91], v[208:209]
	s_waitcnt vmcnt(20)
	v_fmac_f64_e32 v[102:103], v[92:93], v[210:211]
	v_add_f64 v[102:103], v[0:1], v[102:103]
	v_mul_f64 v[0:1], v[244:245], v[98:99]
	v_fma_f64 v[0:1], v[242:243], v[100:101], -v[0:1]
	ds_read_b128 v[98:101], v232 offset:1872
	s_waitcnt vmcnt(17)
	v_mul_f64 v[104:105], v[94:95], v[214:215]
	s_waitcnt vmcnt(16)
	v_fmac_f64_e32 v[104:105], v[96:97], v[216:217]
	v_add_f64 v[110:111], v[102:103], v[104:105]
	ds_read_b128 v[102:105], v232 offset:1888
	s_waitcnt vmcnt(13) lgkmcnt(1)
	v_mul_f64 v[112:113], v[98:99], v[218:219]
	s_waitcnt vmcnt(11)
	v_fmac_f64_e32 v[112:113], v[100:101], v[224:225]
	v_add_f64 v[110:111], v[110:111], v[112:113]
	v_add_f64 v[0:1], v[254:255], v[0:1]
	s_waitcnt vmcnt(10) lgkmcnt(0)
	v_mul_f64 v[112:113], v[102:103], v[212:213]
	s_waitcnt vmcnt(8)
	v_fmac_f64_e32 v[112:113], v[104:105], v[222:223]
	v_add_f64 v[110:111], v[110:111], v[112:113]
	s_waitcnt vmcnt(6)
	v_mul_f64 v[112:113], v[106:107], v[220:221]
	s_waitcnt vmcnt(4)
	v_fmac_f64_e32 v[112:113], v[108:109], v[226:227]
	v_add_f64 v[114:115], v[110:111], v[112:113]
	ds_read_b128 v[110:113], v232 offset:1920
	buffer_load_dword v243, off, s[0:3], 0 offset:988
	buffer_load_dword v242, off, s[0:3], 0 offset:984
	;; [unrolled: 1-line block ×4, first 2 shown]
	v_add_f64 v[0:1], v[0:1], v[234:235]
	v_add_f64 v[0:1], v[0:1], v[2:3]
	v_accvgpr_read_b32 v2, a184
	s_waitcnt vmcnt(5) lgkmcnt(0)
	v_mul_f64 v[116:117], v[110:111], v[228:229]
	s_waitcnt vmcnt(4)
	v_fmac_f64_e32 v[116:117], v[112:113], v[230:231]
	v_add_f64 v[240:241], v[114:115], v[116:117]
	ds_read_b128 v[114:117], v232 offset:1936
	buffer_load_dword v248, off, s[0:3], 0 offset:368
	buffer_load_dword v249, off, s[0:3], 0 offset:372
	;; [unrolled: 1-line block ×4, first 2 shown]
	v_accvgpr_read_b32 v3, a185
	v_mul_f64 v[2:3], v[8:9], v[2:3]
	v_fma_f64 v[2:3], v[6:7], v[122:123], -v[2:3]
	v_add_f64 v[0:1], v[0:1], v[2:3]
	v_mul_f64 v[2:3], v[12:13], v[130:131]
	v_fma_f64 v[2:3], v[10:11], v[146:147], -v[2:3]
	v_add_f64 v[0:1], v[0:1], v[2:3]
	;; [unrolled: 3-line block ×26, first 2 shown]
	v_mul_f64 v[2:3], v[112:113], v[228:229]
	v_fma_f64 v[2:3], v[110:111], v[230:231], -v[2:3]
	s_waitcnt vmcnt(6) lgkmcnt(0)
	v_mul_f64 v[232:233], v[114:115], v[242:243]
	v_add_f64 v[0:1], v[0:1], v[2:3]
	v_mul_f64 v[2:3], v[116:117], v[242:243]
	s_waitcnt vmcnt(4)
	v_fmac_f64_e32 v[232:233], v[116:117], v[244:245]
	v_fma_f64 v[2:3], v[114:115], v[244:245], -v[2:3]
	v_add_f64 v[240:241], v[240:241], v[232:233]
	v_add_f64 v[0:1], v[0:1], v[2:3]
	v_accvgpr_read_b32 v233, a182
	s_waitcnt vmcnt(2)
	v_add_f64 v[0:1], v[248:249], -v[0:1]
	v_cmp_lt_u32_e32 vcc, 21, v233
	s_waitcnt vmcnt(0)
	v_add_f64 v[2:3], v[246:247], -v[240:241]
	buffer_store_dword v1, off, s[0:3], 0 offset:372
	buffer_store_dword v0, off, s[0:3], 0 offset:368
	;; [unrolled: 1-line block ×4, first 2 shown]
	s_and_saveexec_b64 s[4:5], vcc
	s_cbranch_execz .LBB60_349
; %bb.348:
	v_accvgpr_read_b32 v0, a161
	buffer_load_dword v2, v0, s[0:3], 0 offen
	buffer_load_dword v3, v0, s[0:3], 0 offen offset:4
	buffer_load_dword v4, v0, s[0:3], 0 offen offset:8
	;; [unrolled: 1-line block ×3, first 2 shown]
	v_mov_b32_e32 v0, 0
	v_accvgpr_read_b32 v1, a183
	buffer_store_dword v0, off, s[0:3], 0 offset:352
	buffer_store_dword v0, off, s[0:3], 0 offset:356
	;; [unrolled: 1-line block ×4, first 2 shown]
	s_waitcnt vmcnt(4)
	ds_write_b128 v1, v[2:5]
.LBB60_349:
	s_or_b64 exec, exec, s[4:5]
	s_waitcnt lgkmcnt(0)
	; wave barrier
	s_waitcnt lgkmcnt(0)
	buffer_load_dword v54, off, s[0:3], 0 offset:368
	buffer_load_dword v55, off, s[0:3], 0 offset:372
	;; [unrolled: 1-line block ×49, first 2 shown]
	v_mov_b32_e32 v232, 0
	ds_read_b128 v[62:65], v232 offset:1328
	ds_read_b128 v[74:77], v232 offset:1344
	;; [unrolled: 1-line block ×11, first 2 shown]
	buffer_load_dword v126, off, s[0:3], 0 offset:552
	buffer_load_dword v143, off, s[0:3], 0 offset:548
	buffer_load_dword v142, off, s[0:3], 0 offset:544
	buffer_load_dword v129, off, s[0:3], 0 offset:604
	buffer_load_dword v128, off, s[0:3], 0 offset:600
	buffer_load_dword v131, off, s[0:3], 0 offset:596
	buffer_load_dword v130, off, s[0:3], 0 offset:592
	buffer_load_dword v147, off, s[0:3], 0 offset:588
	buffer_load_dword v146, off, s[0:3], 0 offset:584
	buffer_load_dword v153, off, s[0:3], 0 offset:580
	buffer_load_dword v152, off, s[0:3], 0 offset:576
	buffer_load_dword v133, off, s[0:3], 0 offset:636
	buffer_load_dword v132, off, s[0:3], 0 offset:632
	buffer_load_dword v135, off, s[0:3], 0 offset:628
	buffer_load_dword v134, off, s[0:3], 0 offset:624
	buffer_load_dword v157, off, s[0:3], 0 offset:620
	buffer_load_dword v156, off, s[0:3], 0 offset:616
	buffer_load_dword v161, off, s[0:3], 0 offset:612
	buffer_load_dword v160, off, s[0:3], 0 offset:608
	buffer_load_dword v137, off, s[0:3], 0 offset:668
	buffer_load_dword v136, off, s[0:3], 0 offset:664
	buffer_load_dword v139, off, s[0:3], 0 offset:660
	buffer_load_dword v138, off, s[0:3], 0 offset:656
	buffer_load_dword v165, off, s[0:3], 0 offset:652
	buffer_load_dword v164, off, s[0:3], 0 offset:648
	buffer_load_dword v169, off, s[0:3], 0 offset:644
	buffer_load_dword v168, off, s[0:3], 0 offset:640
	buffer_load_dword v141, off, s[0:3], 0 offset:700
	buffer_load_dword v140, off, s[0:3], 0 offset:696
	buffer_load_dword v145, off, s[0:3], 0 offset:692
	buffer_load_dword v144, off, s[0:3], 0 offset:688
	buffer_load_dword v173, off, s[0:3], 0 offset:684
	buffer_load_dword v172, off, s[0:3], 0 offset:680
	buffer_load_dword v177, off, s[0:3], 0 offset:676
	buffer_load_dword v176, off, s[0:3], 0 offset:672
	buffer_load_dword v149, off, s[0:3], 0 offset:732
	buffer_load_dword v148, off, s[0:3], 0 offset:728
	buffer_load_dword v155, off, s[0:3], 0 offset:724
	buffer_load_dword v154, off, s[0:3], 0 offset:720
	buffer_load_dword v181, off, s[0:3], 0 offset:716
	buffer_load_dword v180, off, s[0:3], 0 offset:712
	buffer_load_dword v185, off, s[0:3], 0 offset:708
	buffer_load_dword v184, off, s[0:3], 0 offset:704
	buffer_load_dword v159, off, s[0:3], 0 offset:764
	buffer_load_dword v158, off, s[0:3], 0 offset:760
	buffer_load_dword v163, off, s[0:3], 0 offset:756
	buffer_load_dword v162, off, s[0:3], 0 offset:752
	buffer_load_dword v189, off, s[0:3], 0 offset:748
	buffer_load_dword v188, off, s[0:3], 0 offset:744
	buffer_load_dword v191, off, s[0:3], 0 offset:740
	buffer_load_dword v190, off, s[0:3], 0 offset:736
	buffer_load_dword v167, off, s[0:3], 0 offset:796
	buffer_load_dword v166, off, s[0:3], 0 offset:792
	buffer_load_dword v171, off, s[0:3], 0 offset:788
	buffer_load_dword v170, off, s[0:3], 0 offset:784
	buffer_load_dword v193, off, s[0:3], 0 offset:780
	buffer_load_dword v192, off, s[0:3], 0 offset:776
	buffer_load_dword v195, off, s[0:3], 0 offset:772
	buffer_load_dword v194, off, s[0:3], 0 offset:768
	buffer_load_dword v175, off, s[0:3], 0 offset:828
	buffer_load_dword v174, off, s[0:3], 0 offset:824
	buffer_load_dword v179, off, s[0:3], 0 offset:820
	buffer_load_dword v178, off, s[0:3], 0 offset:816
	buffer_load_dword v197, off, s[0:3], 0 offset:812
	buffer_load_dword v196, off, s[0:3], 0 offset:808
	buffer_load_dword v199, off, s[0:3], 0 offset:804
	buffer_load_dword v198, off, s[0:3], 0 offset:800
	buffer_load_dword v183, off, s[0:3], 0 offset:860
	buffer_load_dword v182, off, s[0:3], 0 offset:856
	buffer_load_dword v187, off, s[0:3], 0 offset:852
	buffer_load_dword v186, off, s[0:3], 0 offset:848
	buffer_load_dword v201, off, s[0:3], 0 offset:844
	buffer_load_dword v200, off, s[0:3], 0 offset:840
	buffer_load_dword v203, off, s[0:3], 0 offset:836
	buffer_load_dword v202, off, s[0:3], 0 offset:832
	v_cmp_lt_u32_e32 vcc, 20, v233
	s_waitcnt vmcnt(62) lgkmcnt(9)
	v_mul_f64 v[6:7], v[74:75], v[60:61]
	v_fmac_f64_e32 v[6:7], v[76:77], v[58:59]
	s_waitcnt lgkmcnt(8)
	v_mul_f64 v[8:9], v[86:87], v[66:67]
	v_mul_f64 v[60:61], v[76:77], v[60:61]
	s_waitcnt lgkmcnt(6)
	v_mul_f64 v[12:13], v[110:111], v[78:79]
	v_fma_f64 v[246:247], v[74:75], v[58:59], -v[60:61]
	v_fmac_f64_e32 v[12:13], v[112:113], v[80:81]
	v_mul_f64 v[66:67], v[88:89], v[66:67]
	v_mul_f64 v[10:11], v[98:99], v[70:71]
	;; [unrolled: 1-line block ×3, first 2 shown]
	s_waitcnt lgkmcnt(4)
	v_mul_f64 v[16:17], v[228:229], v[90:91]
	v_mul_f64 v[78:79], v[112:113], v[78:79]
	v_fmac_f64_e32 v[16:17], v[230:231], v[92:93]
	v_fma_f64 v[254:255], v[110:111], v[80:81], -v[78:79]
	v_mul_f64 v[14:15], v[114:115], v[82:83]
	v_mul_f64 v[82:83], v[116:117], v[82:83]
	s_waitcnt lgkmcnt(2)
	v_mul_f64 v[20:21], v[238:239], v[102:103]
	v_mul_f64 v[90:91], v[230:231], v[90:91]
	;; [unrolled: 1-line block ×5, first 2 shown]
	s_waitcnt lgkmcnt(1)
	v_mul_f64 v[22:23], v[242:243], v[106:107]
	v_fmac_f64_e32 v[8:9], v[88:89], v[68:69]
	v_fma_f64 v[248:249], v[86:87], v[68:69], -v[66:67]
	v_fmac_f64_e32 v[10:11], v[100:101], v[72:73]
	v_fma_f64 v[252:253], v[98:99], v[72:73], -v[70:71]
	;; [unrolled: 2-line block ×3, first 2 shown]
	v_fmac_f64_e32 v[18:19], v[236:237], v[96:97]
	v_fmac_f64_e32 v[20:21], v[240:241], v[104:105]
	;; [unrolled: 1-line block ×3, first 2 shown]
	v_fma_f64 v[234:235], v[234:235], v[96:97], -v[94:95]
	v_pk_mov_b32 v[2:3], v[0:1], v[0:1] op_sel:[0,1]
	v_mul_f64 v[0:1], v[62:63], v[56:57]
	v_fmac_f64_e32 v[0:1], v[64:65], v[54:55]
	v_add_f64 v[0:1], v[0:1], 0
	v_add_f64 v[0:1], v[0:1], v[6:7]
	;; [unrolled: 1-line block ×9, first 2 shown]
	ds_read_b128 v[6:9], v232 offset:1504
	s_waitcnt lgkmcnt(1)
	v_mul_f64 v[10:11], v[118:119], v[4:5]
	v_add_f64 v[0:1], v[0:1], v[22:23]
	v_fmac_f64_e32 v[10:11], v[120:121], v[2:3]
	v_add_f64 v[0:1], v[0:1], v[10:11]
	ds_read_b128 v[10:13], v232 offset:1520
	s_waitcnt lgkmcnt(1)
	v_mul_f64 v[14:15], v[6:7], v[126:127]
	v_fmac_f64_e32 v[14:15], v[8:9], v[142:143]
	v_add_f64 v[0:1], v[0:1], v[14:15]
	ds_read_b128 v[14:17], v232 offset:1536
	s_waitcnt lgkmcnt(1)
	v_mul_f64 v[18:19], v[10:11], v[122:123]
	;; [unrolled: 5-line block ×4, first 2 shown]
	v_fmac_f64_e32 v[26:27], v[20:21], v[130:131]
	v_add_f64 v[0:1], v[0:1], v[26:27]
	ds_read_b128 v[26:29], v232 offset:1584
	s_waitcnt vmcnt(58) lgkmcnt(1)
	v_mul_f64 v[30:31], v[22:23], v[156:157]
	s_waitcnt vmcnt(56)
	v_fmac_f64_e32 v[30:31], v[24:25], v[160:161]
	v_add_f64 v[0:1], v[0:1], v[30:31]
	ds_read_b128 v[30:33], v232 offset:1600
	s_waitcnt lgkmcnt(1)
	v_mul_f64 v[34:35], v[26:27], v[132:133]
	v_fmac_f64_e32 v[34:35], v[28:29], v[134:135]
	v_add_f64 v[0:1], v[0:1], v[34:35]
	ds_read_b128 v[34:37], v232 offset:1616
	s_waitcnt vmcnt(50) lgkmcnt(1)
	v_mul_f64 v[38:39], v[30:31], v[164:165]
	s_waitcnt vmcnt(48)
	v_fmac_f64_e32 v[38:39], v[32:33], v[168:169]
	v_add_f64 v[0:1], v[0:1], v[38:39]
	ds_read_b128 v[38:41], v232 offset:1632
	s_waitcnt lgkmcnt(1)
	v_mul_f64 v[42:43], v[34:35], v[136:137]
	;; [unrolled: 11-line block ×3, first 2 shown]
	buffer_load_dword v205, off, s[0:3], 0 offset:876
	buffer_load_dword v204, off, s[0:3], 0 offset:872
	;; [unrolled: 1-line block ×4, first 2 shown]
	v_fmac_f64_e32 v[50:51], v[44:45], v[144:145]
	v_add_f64 v[0:1], v[0:1], v[50:51]
	ds_read_b128 v[50:53], v232 offset:1680
	buffer_load_dword v208, off, s[0:3], 0 offset:888
	buffer_load_dword v210, off, s[0:3], 0 offset:880
	;; [unrolled: 1-line block ×12, first 2 shown]
	s_waitcnt vmcnt(50) lgkmcnt(1)
	v_mul_f64 v[150:151], v[46:47], v[180:181]
	s_waitcnt vmcnt(48)
	v_fmac_f64_e32 v[150:151], v[48:49], v[184:185]
	v_mul_f64 v[56:57], v[64:65], v[56:57]
	v_add_f64 v[0:1], v[0:1], v[150:151]
	buffer_load_dword v212, off, s[0:3], 0 offset:952
	buffer_load_dword v225, off, s[0:3], 0 offset:940
	;; [unrolled: 1-line block ×8, first 2 shown]
	v_fma_f64 v[150:151], v[62:63], v[54:55], -v[56:57]
	ds_read_b128 v[54:57], v232 offset:1696
	ds_read_b128 v[58:61], v232 offset:1712
	s_waitcnt lgkmcnt(2)
	v_mul_f64 v[62:63], v[50:51], v[148:149]
	v_fmac_f64_e32 v[62:63], v[52:53], v[154:155]
	v_add_f64 v[0:1], v[0:1], v[62:63]
	s_waitcnt vmcnt(50) lgkmcnt(1)
	v_mul_f64 v[62:63], v[54:55], v[188:189]
	s_waitcnt vmcnt(48)
	v_fmac_f64_e32 v[62:63], v[56:57], v[190:191]
	v_add_f64 v[0:1], v[0:1], v[62:63]
	s_waitcnt lgkmcnt(0)
	v_mul_f64 v[62:63], v[58:59], v[158:159]
	v_fmac_f64_e32 v[62:63], v[60:61], v[162:163]
	v_add_f64 v[0:1], v[0:1], v[62:63]
	ds_read_b128 v[62:65], v232 offset:1728
	ds_read_b128 v[66:69], v232 offset:1744
	;; [unrolled: 1-line block ×5, first 2 shown]
	s_waitcnt vmcnt(42) lgkmcnt(4)
	v_mul_f64 v[74:75], v[62:63], v[192:193]
	s_waitcnt vmcnt(40)
	v_fmac_f64_e32 v[74:75], v[64:65], v[194:195]
	v_add_f64 v[0:1], v[0:1], v[74:75]
	s_waitcnt lgkmcnt(3)
	v_mul_f64 v[74:75], v[66:67], v[166:167]
	v_fmac_f64_e32 v[74:75], v[68:69], v[170:171]
	v_add_f64 v[0:1], v[0:1], v[74:75]
	ds_read_b128 v[74:77], v232 offset:1776
	s_waitcnt vmcnt(34) lgkmcnt(3)
	v_mul_f64 v[86:87], v[70:71], v[196:197]
	s_waitcnt vmcnt(32)
	v_fmac_f64_e32 v[86:87], v[72:73], v[198:199]
	v_add_f64 v[0:1], v[0:1], v[86:87]
	v_accvgpr_write_b32 a185, v3
	s_waitcnt lgkmcnt(0)
	v_mul_f64 v[86:87], v[74:75], v[174:175]
	v_fmac_f64_e32 v[86:87], v[76:77], v[178:179]
	v_add_f64 v[0:1], v[0:1], v[86:87]
	s_waitcnt vmcnt(26)
	v_mul_f64 v[86:87], v[78:79], v[200:201]
	s_waitcnt vmcnt(24)
	v_fmac_f64_e32 v[86:87], v[80:81], v[202:203]
	v_add_f64 v[0:1], v[0:1], v[86:87]
	v_mul_f64 v[86:87], v[82:83], v[182:183]
	v_fmac_f64_e32 v[86:87], v[84:85], v[186:187]
	v_add_f64 v[0:1], v[0:1], v[86:87]
	ds_read_b128 v[86:89], v232 offset:1824
	v_accvgpr_write_b32 a184, v2
	v_fma_f64 v[2:3], v[228:229], v[92:93], -v[90:91]
	ds_read_b128 v[90:93], v232 offset:1840
	ds_read_b128 v[94:97], v232 offset:1856
	v_fma_f64 v[236:237], v[238:239], v[104:105], -v[102:103]
	ds_read_b128 v[102:105], v232 offset:1888
	v_add_f64 v[150:151], v[150:151], 0
	v_add_f64 v[150:151], v[150:151], v[246:247]
	;; [unrolled: 1-line block ×9, first 2 shown]
	v_mul_f64 v[2:3], v[120:121], v[4:5]
	v_accvgpr_read_b32 v4, a184
	v_accvgpr_read_b32 v5, a185
	v_fma_f64 v[2:3], v[118:119], v[4:5], -v[2:3]
	s_waitcnt vmcnt(22) lgkmcnt(3)
	v_mul_f64 v[98:99], v[86:87], v[204:205]
	s_waitcnt vmcnt(20)
	v_fmac_f64_e32 v[98:99], v[88:89], v[206:207]
	v_add_f64 v[0:1], v[0:1], v[98:99]
	s_waitcnt vmcnt(17) lgkmcnt(2)
	v_mul_f64 v[98:99], v[90:91], v[208:209]
	s_waitcnt vmcnt(16)
	v_fmac_f64_e32 v[98:99], v[92:93], v[210:211]
	v_add_f64 v[0:1], v[0:1], v[98:99]
	ds_read_b128 v[98:101], v232 offset:1872
	s_waitcnt vmcnt(14) lgkmcnt(2)
	v_mul_f64 v[110:111], v[94:95], v[214:215]
	s_waitcnt vmcnt(12)
	v_fmac_f64_e32 v[110:111], v[96:97], v[218:219]
	v_add_f64 v[110:111], v[0:1], v[110:111]
	v_mul_f64 v[0:1], v[244:245], v[106:107]
	v_fma_f64 v[0:1], v[242:243], v[108:109], -v[0:1]
	ds_read_b128 v[106:109], v232 offset:1904
	buffer_load_dword v229, off, s[0:3], 0 offset:972
	buffer_load_dword v228, off, s[0:3], 0 offset:968
	;; [unrolled: 1-line block ×4, first 2 shown]
	s_waitcnt vmcnt(14) lgkmcnt(1)
	v_mul_f64 v[112:113], v[98:99], v[216:217]
	s_waitcnt vmcnt(12)
	v_fmac_f64_e32 v[112:113], v[100:101], v[220:221]
	v_add_f64 v[110:111], v[110:111], v[112:113]
	s_waitcnt vmcnt(9)
	v_mul_f64 v[112:113], v[102:103], v[224:225]
	s_waitcnt vmcnt(7)
	v_fmac_f64_e32 v[112:113], v[104:105], v[226:227]
	v_add_f64 v[110:111], v[110:111], v[112:113]
	s_waitcnt vmcnt(5) lgkmcnt(0)
	v_mul_f64 v[112:113], v[106:107], v[212:213]
	s_waitcnt vmcnt(4)
	v_fmac_f64_e32 v[112:113], v[108:109], v[222:223]
	v_add_f64 v[114:115], v[110:111], v[112:113]
	ds_read_b128 v[110:113], v232 offset:1920
	buffer_load_dword v242, off, s[0:3], 0 offset:984
	buffer_load_dword v243, off, s[0:3], 0 offset:988
	;; [unrolled: 1-line block ×4, first 2 shown]
	v_add_f64 v[0:1], v[252:253], v[0:1]
	v_add_f64 v[0:1], v[0:1], v[2:3]
	v_mul_f64 v[2:3], v[8:9], v[126:127]
	v_fma_f64 v[2:3], v[6:7], v[142:143], -v[2:3]
	v_add_f64 v[0:1], v[0:1], v[2:3]
	v_mul_f64 v[2:3], v[12:13], v[122:123]
	v_fma_f64 v[2:3], v[10:11], v[124:125], -v[2:3]
	;; [unrolled: 3-line block ×21, first 2 shown]
	v_add_f64 v[0:1], v[0:1], v[2:3]
	v_mul_f64 v[2:3], v[92:93], v[208:209]
	s_waitcnt vmcnt(6) lgkmcnt(0)
	v_mul_f64 v[116:117], v[110:111], v[228:229]
	v_fma_f64 v[2:3], v[90:91], v[210:211], -v[2:3]
	s_waitcnt vmcnt(4)
	v_fmac_f64_e32 v[116:117], v[112:113], v[230:231]
	v_add_f64 v[238:239], v[114:115], v[116:117]
	ds_read_b128 v[114:117], v232 offset:1936
	buffer_load_dword v248, off, s[0:3], 0 offset:352
	buffer_load_dword v249, off, s[0:3], 0 offset:356
	;; [unrolled: 1-line block ×4, first 2 shown]
	v_add_f64 v[0:1], v[0:1], v[2:3]
	v_mul_f64 v[2:3], v[96:97], v[214:215]
	v_fma_f64 v[2:3], v[94:95], v[218:219], -v[2:3]
	v_add_f64 v[0:1], v[0:1], v[2:3]
	v_mul_f64 v[2:3], v[100:101], v[216:217]
	v_fma_f64 v[2:3], v[98:99], v[220:221], -v[2:3]
	;; [unrolled: 3-line block ×5, first 2 shown]
	v_add_f64 v[0:1], v[0:1], v[2:3]
	s_waitcnt vmcnt(6) lgkmcnt(0)
	v_mul_f64 v[2:3], v[116:117], v[242:243]
	v_mul_f64 v[240:241], v[114:115], v[242:243]
	s_waitcnt vmcnt(4)
	v_fma_f64 v[2:3], v[114:115], v[244:245], -v[2:3]
	v_fmac_f64_e32 v[240:241], v[116:117], v[244:245]
	v_add_f64 v[0:1], v[0:1], v[2:3]
	v_add_f64 v[240:241], v[238:239], v[240:241]
	s_waitcnt vmcnt(2)
	v_add_f64 v[0:1], v[248:249], -v[0:1]
	s_waitcnt vmcnt(0)
	v_add_f64 v[2:3], v[246:247], -v[240:241]
	buffer_store_dword v1, off, s[0:3], 0 offset:356
	buffer_store_dword v0, off, s[0:3], 0 offset:352
	;; [unrolled: 1-line block ×4, first 2 shown]
	s_and_saveexec_b64 s[4:5], vcc
	s_cbranch_execz .LBB60_351
; %bb.350:
	v_accvgpr_read_b32 v0, a162
	buffer_load_dword v2, v0, s[0:3], 0 offen
	buffer_load_dword v3, v0, s[0:3], 0 offen offset:4
	buffer_load_dword v4, v0, s[0:3], 0 offen offset:8
	;; [unrolled: 1-line block ×3, first 2 shown]
	v_accvgpr_read_b32 v0, a183
	buffer_store_dword v232, off, s[0:3], 0 offset:336
	buffer_store_dword v232, off, s[0:3], 0 offset:340
	;; [unrolled: 1-line block ×4, first 2 shown]
	s_waitcnt vmcnt(4)
	ds_write_b128 v0, v[2:5]
.LBB60_351:
	s_or_b64 exec, exec, s[4:5]
	s_waitcnt lgkmcnt(0)
	; wave barrier
	s_waitcnt lgkmcnt(0)
	buffer_load_dword v56, off, s[0:3], 0 offset:352
	buffer_load_dword v57, off, s[0:3], 0 offset:356
	;; [unrolled: 1-line block ×42, first 2 shown]
	ds_read_b128 v[78:81], v232 offset:1312
	ds_read_b128 v[90:93], v232 offset:1328
	;; [unrolled: 1-line block ×10, first 2 shown]
	buffer_load_dword v1, off, s[0:3], 0 offset:500
	buffer_load_dword v0, off, s[0:3], 0 offset:496
	ds_read_b128 v[106:109], v232 offset:1472
	buffer_load_dword v3, off, s[0:3], 0 offset:556
	buffer_load_dword v2, off, s[0:3], 0 offset:552
	v_cmp_lt_u32_e32 vcc, 19, v233
	s_waitcnt vmcnt(38) lgkmcnt(9)
	v_mul_f64 v[4:5], v[90:91], v[62:63]
	v_fmac_f64_e32 v[4:5], v[92:93], v[54:55]
	s_waitcnt vmcnt(36) lgkmcnt(8)
	v_mul_f64 v[6:7], v[114:115], v[58:59]
	v_mul_f64 v[58:59], v[116:117], v[58:59]
	s_waitcnt vmcnt(34) lgkmcnt(6)
	v_mul_f64 v[10:11], v[234:235], v[70:71]
	v_mul_f64 v[70:71], v[236:237], v[70:71]
	s_waitcnt vmcnt(32)
	v_fmac_f64_e32 v[10:11], v[236:237], v[72:73]
	s_waitcnt vmcnt(30)
	v_mul_f64 v[8:9], v[228:229], v[64:65]
	s_waitcnt vmcnt(28) lgkmcnt(4)
	v_mul_f64 v[14:15], v[242:243], v[82:83]
	v_mul_f64 v[82:83], v[244:245], v[82:83]
	s_waitcnt vmcnt(26)
	v_fmac_f64_e32 v[14:15], v[244:245], v[84:85]
	s_waitcnt vmcnt(24)
	v_mul_f64 v[12:13], v[238:239], v[74:75]
	v_mul_f64 v[74:75], v[240:241], v[74:75]
	s_waitcnt vmcnt(22) lgkmcnt(2)
	v_mul_f64 v[18:19], v[250:251], v[94:95]
	v_mul_f64 v[94:95], v[252:253], v[94:95]
	s_waitcnt vmcnt(19)
	v_mul_f64 v[16:17], v[246:247], v[86:87]
	v_mul_f64 v[86:87], v[248:249], v[86:87]
	s_waitcnt vmcnt(17) lgkmcnt(1)
	v_mul_f64 v[20:21], v[98:99], v[102:103]
	s_waitcnt vmcnt(15)
	v_fmac_f64_e32 v[6:7], v[116:117], v[68:69]
	s_waitcnt vmcnt(13)
	v_fmac_f64_e32 v[8:9], v[230:231], v[66:67]
	;; [unrolled: 2-line block ×3, first 2 shown]
	v_fma_f64 v[238:239], v[238:239], v[76:77], -v[74:75]
	s_waitcnt vmcnt(9)
	v_fmac_f64_e32 v[16:17], v[248:249], v[88:89]
	s_waitcnt vmcnt(8)
	v_fmac_f64_e32 v[18:19], v[252:253], v[96:97]
	v_fma_f64 v[240:241], v[242:243], v[84:85], -v[82:83]
	v_fma_f64 v[246:247], v[246:247], v[88:89], -v[86:87]
	;; [unrolled: 1-line block ×3, first 2 shown]
	s_waitcnt vmcnt(2)
	v_fmac_f64_e32 v[20:21], v[100:101], v[0:1]
	v_mul_f64 v[100:101], v[100:101], v[102:103]
	s_waitcnt vmcnt(0)
	v_pk_mov_b32 v[22:23], v[2:3], v[2:3] op_sel:[0,1]
	buffer_load_dword v3, off, s[0:3], 0 offset:548
	buffer_load_dword v2, off, s[0:3], 0 offset:544
	;; [unrolled: 1-line block ×78, first 2 shown]
	ds_read_b128 v[118:121], v232 offset:1488
	v_accvgpr_write_b32 a185, v23
	v_accvgpr_write_b32 a184, v22
	v_fma_f64 v[250:251], v[98:99], v[0:1], -v[100:101]
	s_waitcnt vmcnt(62)
	v_pk_mov_b32 v[24:25], v[2:3], v[2:3] op_sel:[0,1]
	v_mul_f64 v[2:3], v[78:79], v[60:61]
	v_fmac_f64_e32 v[2:3], v[80:81], v[56:57]
	v_add_f64 v[2:3], v[2:3], 0
	v_add_f64 v[2:3], v[2:3], v[4:5]
	;; [unrolled: 1-line block ×9, first 2 shown]
	s_waitcnt lgkmcnt(1)
	v_mul_f64 v[8:9], v[106:107], v[110:111]
	v_add_f64 v[6:7], v[2:3], v[20:21]
	v_fmac_f64_e32 v[8:9], v[108:109], v[112:113]
	v_add_f64 v[10:11], v[6:7], v[8:9]
	ds_read_b128 v[6:9], v232 offset:1504
	s_waitcnt lgkmcnt(1)
	v_mul_f64 v[12:13], v[118:119], v[122:123]
	v_fmac_f64_e32 v[12:13], v[120:121], v[138:139]
	v_add_f64 v[14:15], v[10:11], v[12:13]
	ds_read_b128 v[10:13], v232 offset:1520
	s_waitcnt lgkmcnt(1)
	v_mul_f64 v[16:17], v[6:7], v[22:23]
	;; [unrolled: 5-line block ×3, first 2 shown]
	v_fmac_f64_e32 v[20:21], v[12:13], v[146:147]
	v_add_f64 v[22:23], v[18:19], v[20:21]
	ds_read_b128 v[18:21], v232 offset:1552
	v_accvgpr_write_b32 a187, v25
	v_accvgpr_write_b32 a186, v24
	s_waitcnt lgkmcnt(1)
	v_mul_f64 v[24:25], v[14:15], v[124:125]
	v_fmac_f64_e32 v[24:25], v[16:17], v[126:127]
	v_add_f64 v[26:27], v[22:23], v[24:25]
	ds_read_b128 v[22:25], v232 offset:1568
	s_waitcnt vmcnt(58) lgkmcnt(1)
	v_mul_f64 v[28:29], v[18:19], v[152:153]
	s_waitcnt vmcnt(56)
	v_fmac_f64_e32 v[28:29], v[20:21], v[156:157]
	v_add_f64 v[30:31], v[26:27], v[28:29]
	ds_read_b128 v[26:29], v232 offset:1584
	s_waitcnt lgkmcnt(1)
	v_mul_f64 v[32:33], v[22:23], v[128:129]
	v_fmac_f64_e32 v[32:33], v[24:25], v[130:131]
	v_add_f64 v[34:35], v[30:31], v[32:33]
	ds_read_b128 v[30:33], v232 offset:1600
	s_waitcnt vmcnt(50) lgkmcnt(1)
	v_mul_f64 v[36:37], v[26:27], v[160:161]
	s_waitcnt vmcnt(48)
	v_fmac_f64_e32 v[36:37], v[28:29], v[164:165]
	v_add_f64 v[38:39], v[34:35], v[36:37]
	ds_read_b128 v[34:37], v232 offset:1616
	;; [unrolled: 11-line block ×4, first 2 shown]
	buffer_load_dword v200, off, s[0:3], 0 offset:872
	buffer_load_dword v205, off, s[0:3], 0 offset:860
	;; [unrolled: 1-line block ×16, first 2 shown]
	s_waitcnt lgkmcnt(1)
	v_mul_f64 v[150:151], v[46:47], v[144:145]
	v_fmac_f64_e32 v[150:151], v[48:49], v[148:149]
	v_mul_f64 v[60:61], v[80:81], v[60:61]
	v_add_f64 v[104:105], v[104:105], v[150:151]
	s_waitcnt vmcnt(42) lgkmcnt(0)
	v_mul_f64 v[150:151], v[50:51], v[184:185]
	v_fma_f64 v[254:255], v[78:79], v[56:57], -v[60:61]
	v_mul_f64 v[56:57], v[92:93], v[62:63]
	v_fma_f64 v[2:3], v[90:91], v[54:55], -v[56:57]
	buffer_load_dword v212, off, s[0:3], 0 offset:936
	buffer_load_dword v221, off, s[0:3], 0 offset:924
	;; [unrolled: 1-line block ×12, first 2 shown]
	s_waitcnt vmcnt(52)
	v_fmac_f64_e32 v[150:151], v[52:53], v[186:187]
	ds_read_b128 v[54:57], v232 offset:1696
	v_add_f64 v[4:5], v[104:105], v[150:151]
	v_fma_f64 v[150:151], v[114:115], v[68:69], -v[58:59]
	ds_read_b128 v[58:61], v232 offset:1712
	v_mul_f64 v[62:63], v[230:231], v[64:65]
	v_fma_f64 v[78:79], v[228:229], v[66:67], -v[62:63]
	ds_read_b128 v[62:65], v232 offset:1728
	s_waitcnt lgkmcnt(2)
	v_mul_f64 v[68:69], v[54:55], v[154:155]
	v_fmac_f64_e32 v[68:69], v[56:57], v[158:159]
	s_waitcnt vmcnt(46) lgkmcnt(1)
	v_mul_f64 v[66:67], v[58:59], v[188:189]
	v_add_f64 v[4:5], v[4:5], v[68:69]
	s_waitcnt vmcnt(44)
	v_fmac_f64_e32 v[66:67], v[60:61], v[190:191]
	v_add_f64 v[4:5], v[4:5], v[66:67]
	v_fma_f64 v[80:81], v[234:235], v[72:73], -v[70:71]
	ds_read_b128 v[70:73], v232 offset:1760
	s_waitcnt lgkmcnt(1)
	v_mul_f64 v[66:67], v[62:63], v[162:163]
	v_fmac_f64_e32 v[66:67], v[64:65], v[166:167]
	v_add_f64 v[4:5], v[4:5], v[66:67]
	ds_read_b128 v[66:69], v232 offset:1744
	ds_read_b128 v[74:77], v232 offset:1776
	;; [unrolled: 1-line block ×6, first 2 shown]
	s_waitcnt vmcnt(38) lgkmcnt(5)
	v_mul_f64 v[90:91], v[66:67], v[192:193]
	s_waitcnt vmcnt(36)
	v_fmac_f64_e32 v[90:91], v[68:69], v[194:195]
	v_add_f64 v[4:5], v[4:5], v[90:91]
	v_mul_f64 v[90:91], v[70:71], v[170:171]
	v_fmac_f64_e32 v[90:91], v[72:73], v[174:175]
	v_add_f64 v[4:5], v[4:5], v[90:91]
	s_waitcnt vmcnt(30) lgkmcnt(4)
	v_mul_f64 v[90:91], v[74:75], v[196:197]
	s_waitcnt vmcnt(28)
	v_fmac_f64_e32 v[90:91], v[76:77], v[198:199]
	v_add_f64 v[4:5], v[4:5], v[90:91]
	s_waitcnt lgkmcnt(3)
	v_mul_f64 v[90:91], v[234:235], v[178:179]
	v_fmac_f64_e32 v[90:91], v[236:237], v[182:183]
	v_add_f64 v[4:5], v[4:5], v[90:91]
	ds_read_b128 v[98:101], v232 offset:1872
	s_waitcnt vmcnt(25) lgkmcnt(3)
	v_mul_f64 v[90:91], v[82:83], v[204:205]
	s_waitcnt vmcnt(23)
	v_fmac_f64_e32 v[90:91], v[84:85], v[206:207]
	v_add_f64 v[4:5], v[4:5], v[90:91]
	s_waitcnt vmcnt(21) lgkmcnt(2)
	v_mul_f64 v[90:91], v[86:87], v[200:201]
	s_waitcnt vmcnt(20)
	v_fmac_f64_e32 v[90:91], v[88:89], v[202:203]
	v_add_f64 v[4:5], v[4:5], v[90:91]
	ds_read_b128 v[90:93], v232 offset:1840
	s_waitcnt vmcnt(18) lgkmcnt(0)
	v_mul_f64 v[104:105], v[90:91], v[208:209]
	s_waitcnt vmcnt(16)
	v_fmac_f64_e32 v[104:105], v[92:93], v[210:211]
	v_add_f64 v[0:1], v[4:5], v[104:105]
	s_waitcnt vmcnt(14)
	v_mul_f64 v[4:5], v[94:95], v[214:215]
	s_waitcnt vmcnt(12)
	v_fmac_f64_e32 v[4:5], v[96:97], v[216:217]
	v_add_f64 v[0:1], v[0:1], v[4:5]
	v_mul_f64 v[4:5], v[108:109], v[110:111]
	ds_read_b128 v[102:105], v232 offset:1888
	v_fma_f64 v[252:253], v[106:107], v[112:113], -v[4:5]
	ds_read_b128 v[106:109], v232 offset:1904
	buffer_load_dword v228, off, s[0:3], 0 offset:968
	buffer_load_dword v229, off, s[0:3], 0 offset:972
	;; [unrolled: 1-line block ×4, first 2 shown]
	ds_read_b128 v[110:113], v232 offset:1920
	buffer_load_dword v243, off, s[0:3], 0 offset:988
	buffer_load_dword v242, off, s[0:3], 0 offset:984
	;; [unrolled: 1-line block ×4, first 2 shown]
	s_waitcnt vmcnt(17)
	v_mul_f64 v[4:5], v[98:99], v[220:221]
	s_waitcnt vmcnt(15)
	v_fmac_f64_e32 v[4:5], v[100:101], v[224:225]
	v_add_f64 v[0:1], v[0:1], v[4:5]
	s_waitcnt vmcnt(13) lgkmcnt(2)
	v_mul_f64 v[4:5], v[102:103], v[212:213]
	s_waitcnt vmcnt(12)
	v_fmac_f64_e32 v[4:5], v[104:105], v[218:219]
	ds_read_b128 v[114:117], v232 offset:1936
	v_add_f64 v[0:1], v[0:1], v[4:5]
	s_waitcnt vmcnt(10) lgkmcnt(2)
	v_mul_f64 v[4:5], v[106:107], v[222:223]
	s_waitcnt vmcnt(8)
	v_fmac_f64_e32 v[4:5], v[108:109], v[226:227]
	v_add_f64 v[0:1], v[0:1], v[4:5]
	s_waitcnt vmcnt(6) lgkmcnt(1)
	v_mul_f64 v[4:5], v[110:111], v[228:229]
	s_waitcnt vmcnt(4)
	v_fmac_f64_e32 v[4:5], v[112:113], v[230:231]
	v_add_f64 v[0:1], v[0:1], v[4:5]
	s_waitcnt vmcnt(2) lgkmcnt(0)
	v_mul_f64 v[4:5], v[114:115], v[242:243]
	s_waitcnt vmcnt(0)
	v_fmac_f64_e32 v[4:5], v[116:117], v[244:245]
	v_add_f64 v[0:1], v[0:1], v[4:5]
	v_add_f64 v[4:5], v[254:255], 0
	;; [unrolled: 1-line block ×10, first 2 shown]
	buffer_load_dword v248, off, s[0:3], 0 offset:336
	buffer_load_dword v249, off, s[0:3], 0 offset:340
	;; [unrolled: 1-line block ×4, first 2 shown]
	v_add_f64 v[2:3], v[254:255], v[250:251]
	v_mul_f64 v[4:5], v[120:121], v[122:123]
	v_add_f64 v[2:3], v[2:3], v[252:253]
	v_fma_f64 v[4:5], v[118:119], v[138:139], -v[4:5]
	v_add_f64 v[2:3], v[2:3], v[4:5]
	v_accvgpr_read_b32 v4, a184
	v_accvgpr_read_b32 v5, a185
	v_mul_f64 v[4:5], v[8:9], v[4:5]
	v_accvgpr_read_b32 v8, a186
	v_accvgpr_read_b32 v9, a187
	v_fma_f64 v[4:5], v[6:7], v[8:9], -v[4:5]
	v_add_f64 v[2:3], v[2:3], v[4:5]
	v_mul_f64 v[4:5], v[12:13], v[142:143]
	v_fma_f64 v[4:5], v[10:11], v[146:147], -v[4:5]
	v_add_f64 v[2:3], v[2:3], v[4:5]
	v_mul_f64 v[4:5], v[16:17], v[124:125]
	;; [unrolled: 3-line block ×27, first 2 shown]
	v_fma_f64 v[4:5], v[114:115], v[244:245], -v[4:5]
	v_add_f64 v[2:3], v[2:3], v[4:5]
	s_waitcnt vmcnt(2)
	v_add_f64 v[2:3], v[248:249], -v[2:3]
	s_waitcnt vmcnt(0)
	v_add_f64 v[0:1], v[246:247], -v[0:1]
	buffer_store_dword v3, off, s[0:3], 0 offset:340
	buffer_store_dword v2, off, s[0:3], 0 offset:336
	;; [unrolled: 1-line block ×4, first 2 shown]
	s_and_saveexec_b64 s[4:5], vcc
	s_cbranch_execz .LBB60_353
; %bb.352:
	v_accvgpr_read_b32 v0, a163
	buffer_load_dword v2, v0, s[0:3], 0 offen
	buffer_load_dword v3, v0, s[0:3], 0 offen offset:4
	buffer_load_dword v4, v0, s[0:3], 0 offen offset:8
	;; [unrolled: 1-line block ×3, first 2 shown]
	v_mov_b32_e32 v0, 0
	v_accvgpr_read_b32 v1, a183
	buffer_store_dword v0, off, s[0:3], 0 offset:320
	buffer_store_dword v0, off, s[0:3], 0 offset:324
	;; [unrolled: 1-line block ×4, first 2 shown]
	s_waitcnt vmcnt(4)
	ds_write_b128 v1, v[2:5]
.LBB60_353:
	s_or_b64 exec, exec, s[4:5]
	s_waitcnt lgkmcnt(0)
	; wave barrier
	s_waitcnt lgkmcnt(0)
	buffer_load_dword v54, off, s[0:3], 0 offset:336
	buffer_load_dword v55, off, s[0:3], 0 offset:340
	;; [unrolled: 1-line block ×46, first 2 shown]
	v_mov_b32_e32 v232, 0
	v_cmp_lt_u32_e32 vcc, 18, v233
	s_waitcnt vmcnt(0)
	v_pk_mov_b32 v[20:21], v[0:1], v[0:1] op_sel:[0,1]
	buffer_load_dword v1, off, s[0:3], 0 offset:532
	buffer_load_dword v0, off, s[0:3], 0 offset:528
	;; [unrolled: 1-line block ×3, first 2 shown]
	ds_read_b128 v[94:97], v232 offset:1296
	ds_read_b128 v[108:111], v232 offset:1312
	;; [unrolled: 1-line block ×11, first 2 shown]
	buffer_load_dword v106, off, s[0:3], 0 offset:520
	buffer_load_dword v151, off, s[0:3], 0 offset:516
	;; [unrolled: 1-line block ×75, first 2 shown]
	s_waitcnt lgkmcnt(9)
	v_mul_f64 v[2:3], v[108:109], v[62:63]
	s_waitcnt lgkmcnt(8)
	v_mul_f64 v[4:5], v[112:113], v[60:61]
	v_fmac_f64_e32 v[2:3], v[110:111], v[58:59]
	s_waitcnt lgkmcnt(7)
	v_mul_f64 v[6:7], v[224:225], v[68:69]
	v_fmac_f64_e32 v[4:5], v[114:115], v[84:85]
	;; [unrolled: 3-line block ×5, first 2 shown]
	ds_read_b128 v[116:119], v232 offset:1472
	ds_read_b128 v[120:123], v232 offset:1488
	s_waitcnt lgkmcnt(5)
	v_mul_f64 v[14:15], v[242:243], v[78:79]
	v_fmac_f64_e32 v[12:13], v[240:241], v[76:77]
	s_waitcnt lgkmcnt(4)
	v_mul_f64 v[16:17], v[246:247], v[86:87]
	v_fmac_f64_e32 v[14:15], v[244:245], v[80:81]
	s_waitcnt lgkmcnt(3)
	v_mul_f64 v[18:19], v[250:251], v[90:91]
	v_fmac_f64_e32 v[16:17], v[248:249], v[88:89]
	v_fmac_f64_e32 v[18:19], v[252:253], v[92:93]
	v_accvgpr_write_b32 a185, v21
	v_accvgpr_write_b32 a184, v20
	v_mul_f64 v[62:63], v[110:111], v[62:63]
	v_mul_f64 v[74:75], v[240:241], v[74:75]
	v_fma_f64 v[238:239], v[238:239], v[76:77], -v[74:75]
	v_mul_f64 v[78:79], v[244:245], v[78:79]
	v_fma_f64 v[240:241], v[242:243], v[80:81], -v[78:79]
	v_mul_f64 v[86:87], v[248:249], v[86:87]
	v_fma_f64 v[246:247], v[246:247], v[88:89], -v[86:87]
	v_mul_f64 v[90:91], v[252:253], v[90:91]
	v_fma_f64 v[248:249], v[250:251], v[92:93], -v[90:91]
	s_waitcnt vmcnt(62)
	v_pk_mov_b32 v[22:23], v[0:1], v[0:1] op_sel:[0,1]
	v_mul_f64 v[0:1], v[94:95], v[56:57]
	v_fmac_f64_e32 v[0:1], v[96:97], v[54:55]
	v_add_f64 v[0:1], v[0:1], 0
	v_add_f64 v[0:1], v[0:1], v[2:3]
	;; [unrolled: 1-line block ×9, first 2 shown]
	s_waitcnt lgkmcnt(2)
	v_mul_f64 v[2:3], v[98:99], v[102:103]
	v_add_f64 v[0:1], v[0:1], v[18:19]
	v_fmac_f64_e32 v[2:3], v[100:101], v[104:105]
	s_waitcnt lgkmcnt(1)
	v_mul_f64 v[6:7], v[116:117], v[106:107]
	v_add_f64 v[0:1], v[0:1], v[2:3]
	v_fmac_f64_e32 v[6:7], v[118:119], v[150:151]
	s_waitcnt lgkmcnt(0)
	v_mul_f64 v[10:11], v[120:121], v[20:21]
	v_add_f64 v[0:1], v[0:1], v[6:7]
	ds_read_b128 v[6:9], v232 offset:1504
	v_fmac_f64_e32 v[10:11], v[122:123], v[22:23]
	v_add_f64 v[0:1], v[0:1], v[10:11]
	ds_read_b128 v[10:13], v232 offset:1520
	v_accvgpr_write_b32 a187, v23
	s_waitcnt lgkmcnt(1)
	v_mul_f64 v[14:15], v[6:7], v[138:139]
	v_fmac_f64_e32 v[14:15], v[8:9], v[142:143]
	v_add_f64 v[0:1], v[0:1], v[14:15]
	s_waitcnt lgkmcnt(0)
	v_mul_f64 v[18:19], v[10:11], v[254:255]
	ds_read_b128 v[14:17], v232 offset:1536
	v_fmac_f64_e32 v[18:19], v[12:13], v[124:125]
	v_add_f64 v[0:1], v[0:1], v[18:19]
	ds_read_b128 v[18:21], v232 offset:1552
	v_accvgpr_write_b32 a186, v22
	s_waitcnt vmcnt(58) lgkmcnt(1)
	v_mul_f64 v[22:23], v[14:15], v[146:147]
	s_waitcnt vmcnt(56)
	v_fmac_f64_e32 v[22:23], v[16:17], v[152:153]
	v_add_f64 v[0:1], v[0:1], v[22:23]
	s_waitcnt lgkmcnt(0)
	v_mul_f64 v[26:27], v[18:19], v[126:127]
	ds_read_b128 v[22:25], v232 offset:1568
	v_fmac_f64_e32 v[26:27], v[20:21], v[128:129]
	v_add_f64 v[0:1], v[0:1], v[26:27]
	ds_read_b128 v[26:29], v232 offset:1584
	v_mul_f64 v[56:57], v[96:97], v[56:57]
	s_waitcnt vmcnt(50) lgkmcnt(1)
	v_mul_f64 v[30:31], v[22:23], v[156:157]
	s_waitcnt vmcnt(48)
	v_fmac_f64_e32 v[30:31], v[24:25], v[160:161]
	v_add_f64 v[0:1], v[0:1], v[30:31]
	s_waitcnt lgkmcnt(0)
	v_mul_f64 v[34:35], v[26:27], v[130:131]
	ds_read_b128 v[30:33], v232 offset:1600
	v_fmac_f64_e32 v[34:35], v[28:29], v[132:133]
	v_add_f64 v[0:1], v[0:1], v[34:35]
	ds_read_b128 v[34:37], v232 offset:1616
	v_fma_f64 v[4:5], v[94:95], v[54:55], -v[56:57]
	s_waitcnt vmcnt(42) lgkmcnt(1)
	v_mul_f64 v[38:39], v[30:31], v[164:165]
	s_waitcnt vmcnt(40)
	v_fmac_f64_e32 v[38:39], v[32:33], v[168:169]
	v_add_f64 v[0:1], v[0:1], v[38:39]
	s_waitcnt lgkmcnt(0)
	v_mul_f64 v[42:43], v[34:35], v[134:135]
	ds_read_b128 v[38:41], v232 offset:1632
	v_fmac_f64_e32 v[42:43], v[36:37], v[136:137]
	v_add_f64 v[0:1], v[0:1], v[42:43]
	ds_read_b128 v[42:45], v232 offset:1648
	v_fma_f64 v[96:97], v[108:109], v[58:59], -v[62:63]
	s_waitcnt vmcnt(34) lgkmcnt(1)
	v_mul_f64 v[46:47], v[38:39], v[172:173]
	s_waitcnt vmcnt(32)
	v_fmac_f64_e32 v[46:47], v[40:41], v[176:177]
	v_add_f64 v[0:1], v[0:1], v[46:47]
	s_waitcnt lgkmcnt(0)
	v_mul_f64 v[50:51], v[42:43], v[140:141]
	v_fmac_f64_e32 v[50:51], v[44:45], v[144:145]
	ds_read_b128 v[46:49], v232 offset:1664
	v_add_f64 v[0:1], v[0:1], v[50:51]
	ds_read_b128 v[50:53], v232 offset:1680
	buffer_load_dword v197, off, s[0:3], 0 offset:844
	buffer_load_dword v196, off, s[0:3], 0 offset:840
	;; [unrolled: 1-line block ×8, first 2 shown]
	s_waitcnt vmcnt(34) lgkmcnt(1)
	v_mul_f64 v[200:201], v[46:47], v[180:181]
	s_waitcnt vmcnt(32)
	v_fmac_f64_e32 v[200:201], v[48:49], v[182:183]
	v_add_f64 v[0:1], v[0:1], v[200:201]
	buffer_load_dword v201, off, s[0:3], 0 offset:892
	buffer_load_dword v207, off, s[0:3], 0 offset:876
	;; [unrolled: 1-line block ×8, first 2 shown]
	ds_read_b128 v[54:57], v232 offset:1696
	buffer_load_dword v213, off, s[0:3], 0 offset:908
	buffer_load_dword v212, off, s[0:3], 0 offset:904
	;; [unrolled: 1-line block ×12, first 2 shown]
	s_waitcnt lgkmcnt(1)
	v_mul_f64 v[94:95], v[50:51], v[148:149]
	v_mul_f64 v[58:59], v[114:115], v[60:61]
	v_fma_f64 v[2:3], v[112:113], v[84:85], -v[58:59]
	v_fmac_f64_e32 v[94:95], v[52:53], v[154:155]
	v_mul_f64 v[58:59], v[226:227], v[68:69]
	v_add_f64 v[0:1], v[0:1], v[94:95]
	v_fma_f64 v[94:95], v[224:225], v[82:83], -v[58:59]
	buffer_load_dword v224, off, s[0:3], 0 offset:952
	buffer_load_dword v226, off, s[0:3], 0 offset:944
	;; [unrolled: 1-line block ×4, first 2 shown]
	s_waitcnt vmcnt(50) lgkmcnt(0)
	v_mul_f64 v[58:59], v[54:55], v[184:185]
	s_waitcnt vmcnt(48)
	v_fmac_f64_e32 v[58:59], v[56:57], v[186:187]
	v_add_f64 v[0:1], v[0:1], v[58:59]
	ds_read_b128 v[58:61], v232 offset:1712
	v_mul_f64 v[62:63], v[230:231], v[64:65]
	v_fma_f64 v[228:229], v[228:229], v[66:67], -v[62:63]
	ds_read_b128 v[62:65], v232 offset:1728
	v_mul_f64 v[66:67], v[236:237], v[70:71]
	v_fma_f64 v[230:231], v[234:235], v[72:73], -v[66:67]
	ds_read_b128 v[66:69], v232 offset:1744
	ds_read_b128 v[74:77], v232 offset:1776
	s_waitcnt lgkmcnt(3)
	v_mul_f64 v[82:83], v[58:59], v[158:159]
	v_fmac_f64_e32 v[82:83], v[60:61], v[162:163]
	s_waitcnt vmcnt(42) lgkmcnt(2)
	v_mul_f64 v[70:71], v[62:63], v[188:189]
	v_add_f64 v[0:1], v[0:1], v[82:83]
	s_waitcnt vmcnt(40)
	v_fmac_f64_e32 v[70:71], v[64:65], v[190:191]
	v_add_f64 v[0:1], v[0:1], v[70:71]
	s_waitcnt lgkmcnt(1)
	v_mul_f64 v[70:71], v[66:67], v[166:167]
	v_fmac_f64_e32 v[70:71], v[68:69], v[170:171]
	v_add_f64 v[0:1], v[0:1], v[70:71]
	ds_read_b128 v[70:73], v232 offset:1760
	ds_read_b128 v[78:81], v232 offset:1792
	;; [unrolled: 1-line block ×4, first 2 shown]
	v_mul_f64 v[100:101], v[100:101], v[102:103]
	s_waitcnt vmcnt(34) lgkmcnt(3)
	v_mul_f64 v[82:83], v[70:71], v[192:193]
	s_waitcnt vmcnt(32)
	v_fmac_f64_e32 v[82:83], v[72:73], v[194:195]
	v_add_f64 v[0:1], v[0:1], v[82:83]
	v_mul_f64 v[82:83], v[74:75], v[174:175]
	v_fmac_f64_e32 v[82:83], v[76:77], v[178:179]
	v_add_f64 v[0:1], v[0:1], v[82:83]
	v_mul_f64 v[102:103], v[118:119], v[106:107]
	v_fma_f64 v[252:253], v[98:99], v[104:105], -v[100:101]
	ds_read_b128 v[98:101], v232 offset:1872
	v_fma_f64 v[102:103], v[116:117], v[150:151], -v[102:103]
	v_accvgpr_write_b32 a189, v103
	v_accvgpr_write_b32 a188, v102
	ds_read_b128 v[102:105], v232 offset:1888
	v_add_f64 v[4:5], v[4:5], 0
	v_add_f64 v[4:5], v[4:5], v[96:97]
	ds_read_b128 v[86:89], v232 offset:1824
	v_add_f64 v[2:3], v[4:5], v[2:3]
	v_add_f64 v[2:3], v[2:3], v[94:95]
	;; [unrolled: 1-line block ×8, first 2 shown]
	v_accvgpr_read_b32 v4, a184
	v_add_f64 v[252:253], v[2:3], v[252:253]
	v_accvgpr_read_b32 v2, a188
	v_accvgpr_read_b32 v5, a185
	v_accvgpr_read_b32 v94, a186
	v_accvgpr_read_b32 v3, a189
	v_mul_f64 v[4:5], v[122:123], v[4:5]
	v_accvgpr_read_b32 v95, a187
	v_add_f64 v[2:3], v[252:253], v[2:3]
	v_fma_f64 v[4:5], v[120:121], v[94:95], -v[4:5]
	v_add_f64 v[2:3], v[2:3], v[4:5]
	v_mul_f64 v[4:5], v[8:9], v[138:139]
	s_waitcnt vmcnt(30) lgkmcnt(5)
	v_mul_f64 v[82:83], v[78:79], v[196:197]
	v_fma_f64 v[4:5], v[6:7], v[142:143], -v[4:5]
	s_waitcnt vmcnt(28)
	v_fmac_f64_e32 v[82:83], v[80:81], v[198:199]
	v_add_f64 v[0:1], v[0:1], v[82:83]
	ds_read_b128 v[82:85], v232 offset:1808
	s_waitcnt vmcnt(9) lgkmcnt(3)
	v_mul_f64 v[106:107], v[98:99], v[216:217]
	s_waitcnt vmcnt(8)
	v_fmac_f64_e32 v[106:107], v[100:101], v[218:219]
	v_add_f64 v[2:3], v[2:3], v[4:5]
	v_mul_f64 v[4:5], v[12:13], v[254:255]
	s_waitcnt lgkmcnt(0)
	v_mul_f64 v[108:109], v[82:83], v[202:203]
	v_fmac_f64_e32 v[108:109], v[84:85], v[204:205]
	v_add_f64 v[0:1], v[0:1], v[108:109]
	v_mul_f64 v[108:109], v[86:87], v[206:207]
	v_fmac_f64_e32 v[108:109], v[88:89], v[210:211]
	v_add_f64 v[0:1], v[0:1], v[108:109]
	;; [unrolled: 3-line block ×4, first 2 shown]
	v_add_f64 v[0:1], v[0:1], v[106:107]
	s_waitcnt vmcnt(6)
	v_mul_f64 v[106:107], v[102:103], v[220:221]
	s_waitcnt vmcnt(4)
	v_fmac_f64_e32 v[106:107], v[104:105], v[222:223]
	v_add_f64 v[0:1], v[0:1], v[106:107]
	ds_read_b128 v[106:109], v232 offset:1904
	v_fma_f64 v[4:5], v[10:11], v[124:125], -v[4:5]
	v_add_f64 v[2:3], v[2:3], v[4:5]
	v_mul_f64 v[4:5], v[16:17], v[146:147]
	v_fma_f64 v[4:5], v[14:15], v[152:153], -v[4:5]
	s_waitcnt vmcnt(1) lgkmcnt(0)
	v_mul_f64 v[110:111], v[106:107], v[224:225]
	s_waitcnt vmcnt(0)
	v_fmac_f64_e32 v[110:111], v[108:109], v[226:227]
	v_add_f64 v[114:115], v[0:1], v[110:111]
	buffer_load_dword v1, off, s[0:3], 0 offset:972
	buffer_load_dword v0, off, s[0:3], 0 offset:968
	;; [unrolled: 1-line block ×4, first 2 shown]
	ds_read_b128 v[110:113], v232 offset:1920
	buffer_load_dword v242, off, s[0:3], 0 offset:984
	buffer_load_dword v243, off, s[0:3], 0 offset:988
	;; [unrolled: 1-line block ×4, first 2 shown]
	v_add_f64 v[2:3], v[2:3], v[4:5]
	v_mul_f64 v[4:5], v[20:21], v[126:127]
	v_fma_f64 v[4:5], v[18:19], v[128:129], -v[4:5]
	v_add_f64 v[2:3], v[2:3], v[4:5]
	v_mul_f64 v[4:5], v[24:25], v[156:157]
	v_fma_f64 v[4:5], v[22:23], v[160:161], -v[4:5]
	;; [unrolled: 3-line block ×23, first 2 shown]
	v_add_f64 v[2:3], v[2:3], v[4:5]
	s_waitcnt vmcnt(6) lgkmcnt(0)
	v_mul_f64 v[116:117], v[110:111], v[0:1]
	v_mul_f64 v[0:1], v[112:113], v[0:1]
	s_waitcnt vmcnt(4)
	v_fmac_f64_e32 v[116:117], v[112:113], v[118:119]
	v_add_f64 v[150:151], v[114:115], v[116:117]
	ds_read_b128 v[114:117], v232 offset:1936
	buffer_load_dword v248, off, s[0:3], 0 offset:320
	buffer_load_dword v249, off, s[0:3], 0 offset:324
	;; [unrolled: 1-line block ×4, first 2 shown]
	v_fma_f64 v[0:1], v[110:111], v[118:119], -v[0:1]
	v_add_f64 v[0:1], v[2:3], v[0:1]
	s_waitcnt vmcnt(6) lgkmcnt(0)
	v_mul_f64 v[2:3], v[116:117], v[242:243]
	v_mul_f64 v[250:251], v[114:115], v[242:243]
	s_waitcnt vmcnt(4)
	v_fma_f64 v[2:3], v[114:115], v[244:245], -v[2:3]
	v_fmac_f64_e32 v[250:251], v[116:117], v[244:245]
	v_add_f64 v[0:1], v[0:1], v[2:3]
	v_add_f64 v[150:151], v[150:151], v[250:251]
	s_waitcnt vmcnt(2)
	v_add_f64 v[0:1], v[248:249], -v[0:1]
	s_waitcnt vmcnt(0)
	v_add_f64 v[2:3], v[246:247], -v[150:151]
	buffer_store_dword v1, off, s[0:3], 0 offset:324
	buffer_store_dword v0, off, s[0:3], 0 offset:320
	;; [unrolled: 1-line block ×4, first 2 shown]
	s_and_saveexec_b64 s[4:5], vcc
	s_cbranch_execz .LBB60_355
; %bb.354:
	v_accvgpr_read_b32 v0, a164
	buffer_load_dword v2, v0, s[0:3], 0 offen
	buffer_load_dword v3, v0, s[0:3], 0 offen offset:4
	buffer_load_dword v4, v0, s[0:3], 0 offen offset:8
	buffer_load_dword v5, v0, s[0:3], 0 offen offset:12
	v_accvgpr_read_b32 v0, a183
	buffer_store_dword v232, off, s[0:3], 0 offset:304
	buffer_store_dword v232, off, s[0:3], 0 offset:308
	;; [unrolled: 1-line block ×4, first 2 shown]
	s_waitcnt vmcnt(4)
	ds_write_b128 v0, v[2:5]
.LBB60_355:
	s_or_b64 exec, exec, s[4:5]
	s_waitcnt lgkmcnt(0)
	; wave barrier
	s_waitcnt lgkmcnt(0)
	buffer_load_dword v58, off, s[0:3], 0 offset:320
	buffer_load_dword v59, off, s[0:3], 0 offset:324
	;; [unrolled: 1-line block ×42, first 2 shown]
	ds_read_b128 v[110:113], v232 offset:1280
	ds_read_b128 v[114:117], v232 offset:1296
	;; [unrolled: 1-line block ×10, first 2 shown]
	buffer_load_dword v1, off, s[0:3], 0 offset:468
	buffer_load_dword v0, off, s[0:3], 0 offset:464
	ds_read_b128 v[90:93], v232 offset:1440
	buffer_load_dword v105, off, s[0:3], 0 offset:524
	buffer_load_dword v104, off, s[0:3], 0 offset:520
	;; [unrolled: 1-line block ×6, first 2 shown]
	s_waitcnt vmcnt(46) lgkmcnt(10)
	v_mul_f64 v[2:3], v[110:111], v[60:61]
	v_fmac_f64_e32 v[2:3], v[112:113], v[58:59]
	v_add_f64 v[2:3], v[2:3], 0
	v_mul_f64 v[60:61], v[112:113], v[60:61]
	s_waitcnt vmcnt(42) lgkmcnt(9)
	v_mul_f64 v[4:5], v[114:115], v[62:63]
	v_fmac_f64_e32 v[4:5], v[116:117], v[56:57]
	v_add_f64 v[2:3], v[2:3], v[4:5]
	buffer_load_dword v151, off, s[0:3], 0 offset:500
	buffer_load_dword v150, off, s[0:3], 0 offset:496
	buffer_load_dword v5, off, s[0:3], 0 offset:556
	buffer_load_dword v4, off, s[0:3], 0 offset:552
	s_waitcnt vmcnt(44) lgkmcnt(8)
	v_mul_f64 v[6:7], v[212:213], v[220:221]
	s_waitcnt vmcnt(42) lgkmcnt(6)
	v_mul_f64 v[10:11], v[224:225], v[64:65]
	s_waitcnt vmcnt(40)
	v_fmac_f64_e32 v[10:11], v[226:227], v[66:67]
	s_waitcnt vmcnt(38)
	v_mul_f64 v[8:9], v[216:217], v[68:69]
	s_waitcnt vmcnt(36) lgkmcnt(4)
	v_mul_f64 v[14:15], v[234:235], v[70:71]
	s_waitcnt vmcnt(34)
	v_fmac_f64_e32 v[14:15], v[236:237], v[72:73]
	s_waitcnt vmcnt(32)
	v_mul_f64 v[12:13], v[228:229], v[74:75]
	s_waitcnt vmcnt(30) lgkmcnt(2)
	v_mul_f64 v[18:19], v[242:243], v[78:79]
	v_mul_f64 v[78:79], v[244:245], v[78:79]
	s_waitcnt vmcnt(27)
	v_mul_f64 v[16:17], v[238:239], v[76:77]
	s_waitcnt vmcnt(25) lgkmcnt(1)
	v_mul_f64 v[20:21], v[82:83], v[86:87]
	s_waitcnt vmcnt(23)
	v_fmac_f64_e32 v[6:7], v[214:215], v[100:101]
	v_add_f64 v[2:3], v[2:3], v[6:7]
	s_waitcnt vmcnt(21)
	v_fmac_f64_e32 v[8:9], v[218:219], v[98:99]
	v_add_f64 v[2:3], v[2:3], v[8:9]
	;; [unrolled: 3-line block ×3, first 2 shown]
	v_add_f64 v[2:3], v[2:3], v[12:13]
	s_waitcnt vmcnt(17)
	v_fmac_f64_e32 v[16:17], v[240:241], v[88:89]
	v_add_f64 v[2:3], v[2:3], v[14:15]
	s_waitcnt vmcnt(16)
	v_fmac_f64_e32 v[18:19], v[244:245], v[80:81]
	v_add_f64 v[2:3], v[2:3], v[16:17]
	v_add_f64 v[2:3], v[2:3], v[18:19]
	s_waitcnt vmcnt(10)
	v_fmac_f64_e32 v[20:21], v[84:85], v[0:1]
	v_add_f64 v[2:3], v[2:3], v[20:21]
	v_mul_f64 v[84:85], v[84:85], v[86:87]
	s_waitcnt vmcnt(0)
	v_pk_mov_b32 v[18:19], v[4:5], v[4:5] op_sel:[0,1]
	buffer_load_dword v5, off, s[0:3], 0 offset:548
	buffer_load_dword v4, off, s[0:3], 0 offset:544
	v_accvgpr_write_b32 a185, v19
	v_accvgpr_write_b32 a184, v18
	s_waitcnt vmcnt(0)
	v_pk_mov_b32 v[22:23], v[4:5], v[4:5] op_sel:[0,1]
	buffer_load_dword v135, off, s[0:3], 0 offset:540
	buffer_load_dword v134, off, s[0:3], 0 offset:536
	;; [unrolled: 1-line block ×6, first 2 shown]
	v_accvgpr_write_b32 a187, v23
	v_accvgpr_write_b32 a186, v22
	s_waitcnt vmcnt(0)
	v_pk_mov_b32 v[26:27], v[4:5], v[4:5] op_sel:[0,1]
	buffer_load_dword v5, off, s[0:3], 0 offset:580
	buffer_load_dword v4, off, s[0:3], 0 offset:576
	;; [unrolled: 1-line block ×62, first 2 shown]
	ds_read_b128 v[246:249], v232 offset:1456
	ds_read_b128 v[252:255], v232 offset:1472
	ds_read_b128 v[118:121], v232 offset:1488
	ds_read_b128 v[192:195], v232 offset:1504
	v_accvgpr_write_b32 a189, v27
	v_accvgpr_write_b32 a188, v26
	s_waitcnt lgkmcnt(2)
	v_mul_f64 v[8:9], v[252:253], v[104:105]
	v_fmac_f64_e32 v[8:9], v[254:255], v[106:107]
	s_waitcnt lgkmcnt(1)
	v_mul_f64 v[12:13], v[118:119], v[134:135]
	v_fmac_f64_e32 v[12:13], v[120:121], v[138:139]
	;; [unrolled: 3-line block ×3, first 2 shown]
	s_waitcnt vmcnt(60)
	v_pk_mov_b32 v[28:29], v[4:5], v[4:5] op_sel:[0,1]
	v_mul_f64 v[4:5], v[90:91], v[96:97]
	v_fmac_f64_e32 v[4:5], v[92:93], v[102:103]
	v_add_f64 v[2:3], v[2:3], v[4:5]
	v_mul_f64 v[4:5], v[246:247], v[108:109]
	v_fmac_f64_e32 v[4:5], v[248:249], v[150:151]
	v_add_f64 v[6:7], v[2:3], v[4:5]
	v_add_f64 v[10:11], v[6:7], v[8:9]
	;; [unrolled: 1-line block ×3, first 2 shown]
	ds_read_b128 v[10:13], v232 offset:1520
	v_add_f64 v[18:19], v[14:15], v[16:17]
	ds_read_b128 v[14:17], v232 offset:1536
	v_accvgpr_write_b32 a191, v29
	v_accvgpr_write_b32 a190, v28
	s_waitcnt vmcnt(58) lgkmcnt(1)
	v_mul_f64 v[20:21], v[10:11], v[142:143]
	s_waitcnt vmcnt(56)
	v_fmac_f64_e32 v[20:21], v[12:13], v[146:147]
	v_add_f64 v[22:23], v[18:19], v[20:21]
	ds_read_b128 v[18:21], v232 offset:1552
	s_waitcnt lgkmcnt(1)
	v_mul_f64 v[24:25], v[14:15], v[26:27]
	v_fmac_f64_e32 v[24:25], v[16:17], v[28:29]
	v_add_f64 v[26:27], v[22:23], v[24:25]
	ds_read_b128 v[22:25], v232 offset:1568
	s_waitcnt vmcnt(50) lgkmcnt(1)
	v_mul_f64 v[28:29], v[18:19], v[152:153]
	s_waitcnt vmcnt(48)
	v_fmac_f64_e32 v[28:29], v[20:21], v[156:157]
	v_add_f64 v[30:31], v[26:27], v[28:29]
	ds_read_b128 v[26:29], v232 offset:1584
	s_waitcnt lgkmcnt(1)
	v_mul_f64 v[32:33], v[22:23], v[126:127]
	v_fmac_f64_e32 v[32:33], v[24:25], v[128:129]
	v_add_f64 v[34:35], v[30:31], v[32:33]
	ds_read_b128 v[30:33], v232 offset:1600
	;; [unrolled: 11-line block ×4, first 2 shown]
	s_waitcnt vmcnt(26) lgkmcnt(1)
	v_mul_f64 v[52:53], v[42:43], v[176:177]
	s_waitcnt vmcnt(24)
	v_fmac_f64_e32 v[52:53], v[44:45], v[178:179]
	v_add_f64 v[250:251], v[50:51], v[52:53]
	ds_read_b128 v[50:53], v232 offset:1680
	buffer_load_dword v125, off, s[0:3], 0 offset:828
	buffer_load_dword v124, off, s[0:3], 0 offset:824
	;; [unrolled: 1-line block ×20, first 2 shown]
	v_mul_f64 v[4:5], v[116:117], v[62:63]
	v_fma_f64 v[6:7], v[114:115], v[56:57], -v[4:5]
	v_mul_f64 v[56:57], v[214:215], v[220:221]
	v_fma_f64 v[100:101], v[212:213], v[100:101], -v[56:57]
	;; [unrolled: 2-line block ×3, first 2 shown]
	buffer_load_dword v214, off, s[0:3], 0 offset:904
	buffer_load_dword v216, off, s[0:3], 0 offset:896
	;; [unrolled: 1-line block ×12, first 2 shown]
	s_waitcnt lgkmcnt(1)
	v_mul_f64 v[54:55], v[46:47], v[144:145]
	v_fmac_f64_e32 v[54:55], v[48:49], v[148:149]
	v_fma_f64 v[8:9], v[110:111], v[58:59], -v[60:61]
	v_add_f64 v[58:59], v[250:251], v[54:55]
	v_mul_f64 v[54:55], v[226:227], v[64:65]
	v_fma_f64 v[250:251], v[224:225], v[66:67], -v[54:55]
	buffer_load_dword v225, off, s[0:3], 0 offset:956
	buffer_load_dword v224, off, s[0:3], 0 offset:952
	;; [unrolled: 1-line block ×4, first 2 shown]
	s_waitcnt vmcnt(54) lgkmcnt(0)
	v_mul_f64 v[60:61], v[50:51], v[180:181]
	ds_read_b128 v[54:57], v232 offset:1696
	s_waitcnt vmcnt(52)
	v_fmac_f64_e32 v[60:61], v[52:53], v[182:183]
	v_add_f64 v[62:63], v[58:59], v[60:61]
	v_mul_f64 v[58:59], v[230:231], v[74:75]
	v_fma_f64 v[228:229], v[228:229], v[94:95], -v[58:59]
	ds_read_b128 v[58:61], v232 offset:1712
	s_waitcnt lgkmcnt(1)
	v_mul_f64 v[64:65], v[54:55], v[154:155]
	v_fmac_f64_e32 v[64:65], v[56:57], v[158:159]
	v_add_f64 v[74:75], v[62:63], v[64:65]
	ds_read_b128 v[62:65], v232 offset:1728
	v_mul_f64 v[66:67], v[236:237], v[70:71]
	s_waitcnt vmcnt(46) lgkmcnt(1)
	v_mul_f64 v[70:71], v[58:59], v[184:185]
	v_fma_f64 v[230:231], v[234:235], v[72:73], -v[66:67]
	ds_read_b128 v[66:69], v232 offset:1744
	s_waitcnt vmcnt(44)
	v_fmac_f64_e32 v[70:71], v[60:61], v[186:187]
	v_add_f64 v[74:75], v[74:75], v[70:71]
	v_mul_f64 v[70:71], v[240:241], v[76:77]
	v_fma_f64 v[240:241], v[238:239], v[88:89], -v[70:71]
	ds_read_b128 v[70:73], v232 offset:1760
	s_waitcnt lgkmcnt(2)
	v_mul_f64 v[94:95], v[62:63], v[162:163]
	v_fmac_f64_e32 v[94:95], v[64:65], v[166:167]
	s_waitcnt vmcnt(38) lgkmcnt(1)
	v_mul_f64 v[76:77], v[66:67], v[188:189]
	v_add_f64 v[74:75], v[74:75], v[94:95]
	s_waitcnt vmcnt(36)
	v_fmac_f64_e32 v[76:77], v[68:69], v[190:191]
	v_add_f64 v[74:75], v[74:75], v[76:77]
	v_fma_f64 v[4:5], v[242:243], v[80:81], -v[78:79]
	ds_read_b128 v[78:81], v232 offset:1792
	s_waitcnt lgkmcnt(1)
	v_mul_f64 v[76:77], v[70:71], v[170:171]
	v_fmac_f64_e32 v[76:77], v[72:73], v[174:175]
	v_add_f64 v[88:89], v[74:75], v[76:77]
	ds_read_b128 v[74:77], v232 offset:1776
	v_fma_f64 v[2:3], v[82:83], v[0:1], -v[84:85]
	ds_read_b128 v[82:85], v232 offset:1808
	v_mul_f64 v[92:93], v[92:93], v[96:97]
	v_fma_f64 v[0:1], v[90:91], v[102:103], -v[92:93]
	v_mul_f64 v[102:103], v[248:249], v[108:109]
	ds_read_b128 v[234:237], v232 offset:1856
	v_fma_f64 v[102:103], v[246:247], v[150:151], -v[102:103]
	v_accvgpr_write_b32 a193, v103
	v_accvgpr_write_b32 a192, v102
	v_mul_f64 v[102:103], v[254:255], v[104:105]
	v_fma_f64 v[252:253], v[252:253], v[106:107], -v[102:103]
	ds_read_b128 v[102:105], v232 offset:1888
	v_add_f64 v[8:9], v[8:9], 0
	v_add_f64 v[6:7], v[8:9], v[6:7]
	;; [unrolled: 1-line block ×5, first 2 shown]
	ds_read_b128 v[90:93], v232 offset:1840
	v_add_f64 v[6:7], v[6:7], v[228:229]
	v_add_f64 v[6:7], v[6:7], v[230:231]
	v_add_f64 v[6:7], v[6:7], v[240:241]
	v_add_f64 v[4:5], v[6:7], v[4:5]
	v_add_f64 v[2:3], v[4:5], v[2:3]
	v_add_f64 v[254:255], v[2:3], v[0:1]
	s_waitcnt vmcnt(25) lgkmcnt(3)
	v_mul_f64 v[96:97], v[82:83], v[202:203]
	v_accvgpr_read_b32 v0, a192
	s_waitcnt vmcnt(23)
	v_fmac_f64_e32 v[96:97], v[84:85], v[208:209]
	v_accvgpr_read_b32 v1, a193
	v_mul_f64 v[94:95], v[74:75], v[124:125]
	v_add_f64 v[0:1], v[254:255], v[0:1]
	v_fmac_f64_e32 v[94:95], v[76:77], v[122:123]
	v_mul_f64 v[86:87], v[78:79], v[198:199]
	v_add_f64 v[88:89], v[88:89], v[94:95]
	v_fmac_f64_e32 v[86:87], v[80:81], v[200:201]
	v_add_f64 v[94:95], v[88:89], v[86:87]
	ds_read_b128 v[86:89], v232 offset:1824
	v_add_f64 v[94:95], v[94:95], v[96:97]
	v_mul_f64 v[2:3], v[120:121], v[134:135]
	v_add_f64 v[0:1], v[0:1], v[252:253]
	v_fma_f64 v[2:3], v[118:119], v[138:139], -v[2:3]
	s_waitcnt vmcnt(22) lgkmcnt(0)
	v_mul_f64 v[96:97], v[86:87], v[196:197]
	s_waitcnt vmcnt(20)
	v_fmac_f64_e32 v[96:97], v[88:89], v[206:207]
	v_add_f64 v[94:95], v[94:95], v[96:97]
	s_waitcnt vmcnt(18)
	v_mul_f64 v[96:97], v[90:91], v[204:205]
	s_waitcnt vmcnt(16)
	v_fmac_f64_e32 v[96:97], v[92:93], v[210:211]
	v_add_f64 v[108:109], v[94:95], v[96:97]
	ds_read_b128 v[94:97], v232 offset:1872
	s_waitcnt vmcnt(13)
	v_mul_f64 v[106:107], v[234:235], v[214:215]
	s_waitcnt vmcnt(12)
	v_fmac_f64_e32 v[106:107], v[236:237], v[216:217]
	v_add_f64 v[106:107], v[108:109], v[106:107]
	v_add_f64 v[0:1], v[0:1], v[2:3]
	s_waitcnt vmcnt(9) lgkmcnt(0)
	v_mul_f64 v[108:109], v[94:95], v[220:221]
	s_waitcnt vmcnt(7)
	v_fmac_f64_e32 v[108:109], v[96:97], v[222:223]
	v_add_f64 v[106:107], v[106:107], v[108:109]
	s_waitcnt vmcnt(5)
	v_mul_f64 v[108:109], v[102:103], v[212:213]
	s_waitcnt vmcnt(4)
	v_fmac_f64_e32 v[108:109], v[104:105], v[218:219]
	v_add_f64 v[110:111], v[106:107], v[108:109]
	ds_read_b128 v[106:109], v232 offset:1904
	buffer_load_dword v150, off, s[0:3], 0 offset:968
	buffer_load_dword v151, off, s[0:3], 0 offset:972
	;; [unrolled: 1-line block ×4, first 2 shown]
	v_accvgpr_read_b32 v2, a184
	v_accvgpr_read_b32 v3, a185
	;; [unrolled: 1-line block ×3, first 2 shown]
	s_waitcnt vmcnt(6) lgkmcnt(0)
	v_mul_f64 v[112:113], v[106:107], v[224:225]
	s_waitcnt vmcnt(4)
	v_fmac_f64_e32 v[112:113], v[108:109], v[226:227]
	v_add_f64 v[114:115], v[110:111], v[112:113]
	ds_read_b128 v[110:113], v232 offset:1920
	buffer_load_dword v243, off, s[0:3], 0 offset:988
	buffer_load_dword v242, off, s[0:3], 0 offset:984
	;; [unrolled: 1-line block ×4, first 2 shown]
	v_mul_f64 v[2:3], v[194:195], v[2:3]
	v_accvgpr_read_b32 v5, a187
	v_fma_f64 v[2:3], v[192:193], v[4:5], -v[2:3]
	v_add_f64 v[0:1], v[0:1], v[2:3]
	v_mul_f64 v[2:3], v[12:13], v[142:143]
	v_fma_f64 v[2:3], v[10:11], v[146:147], -v[2:3]
	v_add_f64 v[0:1], v[0:1], v[2:3]
	v_accvgpr_read_b32 v2, a188
	v_accvgpr_read_b32 v3, a189
	;; [unrolled: 1-line block ×3, first 2 shown]
	v_mul_f64 v[2:3], v[16:17], v[2:3]
	v_accvgpr_read_b32 v5, a191
	v_fma_f64 v[2:3], v[14:15], v[4:5], -v[2:3]
	v_add_f64 v[0:1], v[0:1], v[2:3]
	v_mul_f64 v[2:3], v[20:21], v[152:153]
	v_fma_f64 v[2:3], v[18:19], v[156:157], -v[2:3]
	v_add_f64 v[0:1], v[0:1], v[2:3]
	v_mul_f64 v[2:3], v[24:25], v[126:127]
	;; [unrolled: 3-line block ×19, first 2 shown]
	s_waitcnt vmcnt(6) lgkmcnt(0)
	v_mul_f64 v[116:117], v[110:111], v[150:151]
	v_fma_f64 v[2:3], v[90:91], v[210:211], -v[2:3]
	s_waitcnt vmcnt(4)
	v_fmac_f64_e32 v[116:117], v[112:113], v[238:239]
	v_add_f64 v[246:247], v[114:115], v[116:117]
	ds_read_b128 v[114:117], v232 offset:1936
	v_add_f64 v[0:1], v[0:1], v[2:3]
	v_mul_f64 v[2:3], v[236:237], v[214:215]
	v_fma_f64 v[2:3], v[234:235], v[216:217], -v[2:3]
	v_add_f64 v[0:1], v[0:1], v[2:3]
	s_waitcnt vmcnt(2) lgkmcnt(0)
	v_mul_f64 v[232:233], v[114:115], v[242:243]
	s_waitcnt vmcnt(0)
	v_fmac_f64_e32 v[232:233], v[116:117], v[244:245]
	v_add_f64 v[232:233], v[246:247], v[232:233]
	buffer_load_dword v248, off, s[0:3], 0 offset:304
	buffer_load_dword v249, off, s[0:3], 0 offset:308
	;; [unrolled: 1-line block ×4, first 2 shown]
	v_mul_f64 v[2:3], v[96:97], v[220:221]
	v_fma_f64 v[2:3], v[94:95], v[222:223], -v[2:3]
	v_add_f64 v[0:1], v[0:1], v[2:3]
	v_mul_f64 v[2:3], v[104:105], v[212:213]
	v_fma_f64 v[2:3], v[102:103], v[218:219], -v[2:3]
	v_add_f64 v[0:1], v[0:1], v[2:3]
	;; [unrolled: 3-line block ×5, first 2 shown]
	s_waitcnt vmcnt(2)
	v_add_f64 v[0:1], v[248:249], -v[0:1]
	s_waitcnt vmcnt(0)
	v_add_f64 v[2:3], v[246:247], -v[232:233]
	buffer_store_dword v1, off, s[0:3], 0 offset:308
	buffer_store_dword v0, off, s[0:3], 0 offset:304
	;; [unrolled: 1-line block ×4, first 2 shown]
	v_accvgpr_read_b32 v0, a182
	v_cmp_lt_u32_e32 vcc, 17, v0
	s_and_saveexec_b64 s[4:5], vcc
	s_cbranch_execz .LBB60_357
; %bb.356:
	v_accvgpr_read_b32 v0, a165
	buffer_load_dword v2, v0, s[0:3], 0 offen
	buffer_load_dword v3, v0, s[0:3], 0 offen offset:4
	buffer_load_dword v4, v0, s[0:3], 0 offen offset:8
	;; [unrolled: 1-line block ×3, first 2 shown]
	v_mov_b32_e32 v0, 0
	v_accvgpr_read_b32 v1, a183
	buffer_store_dword v0, off, s[0:3], 0 offset:288
	buffer_store_dword v0, off, s[0:3], 0 offset:292
	;; [unrolled: 1-line block ×4, first 2 shown]
	s_waitcnt vmcnt(4)
	ds_write_b128 v1, v[2:5]
.LBB60_357:
	s_or_b64 exec, exec, s[4:5]
	s_waitcnt lgkmcnt(0)
	; wave barrier
	s_waitcnt lgkmcnt(0)
	buffer_load_dword v50, off, s[0:3], 0 offset:304
	buffer_load_dword v51, off, s[0:3], 0 offset:308
	;; [unrolled: 1-line block ×54, first 2 shown]
	v_mov_b32_e32 v236, 0
	ds_read_b128 v[102:105], v236 offset:1264
	ds_read_b128 v[106:109], v236 offset:1280
	;; [unrolled: 1-line block ×9, first 2 shown]
	s_waitcnt vmcnt(46) lgkmcnt(7)
	v_mul_f64 v[2:3], v[106:107], v[58:59]
	v_fmac_f64_e32 v[2:3], v[108:109], v[52:53]
	s_waitcnt vmcnt(44) lgkmcnt(6)
	v_mul_f64 v[4:5], v[110:111], v[54:55]
	s_waitcnt vmcnt(42) lgkmcnt(4)
	v_mul_f64 v[8:9], v[208:209], v[62:63]
	s_waitcnt vmcnt(40)
	v_fmac_f64_e32 v[8:9], v[210:211], v[60:61]
	s_waitcnt vmcnt(38)
	v_mul_f64 v[6:7], v[114:115], v[64:65]
	s_waitcnt vmcnt(36) lgkmcnt(2)
	v_mul_f64 v[12:13], v[228:229], v[66:67]
	s_waitcnt vmcnt(34)
	v_fmac_f64_e32 v[12:13], v[230:231], v[70:71]
	s_waitcnt vmcnt(32)
	;; [unrolled: 6-line block ×3, first 2 shown]
	v_fmac_f64_e32 v[6:7], v[116:117], v[212:213]
	s_waitcnt vmcnt(24)
	v_fmac_f64_e32 v[10:11], v[226:227], v[78:79]
	s_waitcnt vmcnt(22)
	;; [unrolled: 2-line block ×3, first 2 shown]
	v_pk_mov_b32 v[16:17], v[0:1], v[0:1] op_sel:[0,1]
	v_mul_f64 v[0:1], v[102:103], v[56:57]
	v_fmac_f64_e32 v[0:1], v[104:105], v[50:51]
	v_add_f64 v[0:1], v[0:1], 0
	v_add_f64 v[0:1], v[0:1], v[2:3]
	v_add_f64 v[0:1], v[0:1], v[4:5]
	v_add_f64 v[0:1], v[0:1], v[6:7]
	v_add_f64 v[0:1], v[0:1], v[8:9]
	v_add_f64 v[0:1], v[0:1], v[10:11]
	v_add_f64 v[2:3], v[0:1], v[12:13]
	buffer_load_dword v1, off, s[0:3], 0 offset:532
	buffer_load_dword v0, off, s[0:3], 0 offset:528
	v_add_f64 v[2:3], v[2:3], v[14:15]
	v_accvgpr_write_b32 a185, v17
	v_accvgpr_write_b32 a184, v16
	v_mul_f64 v[56:57], v[104:105], v[56:57]
	s_waitcnt vmcnt(0)
	v_pk_mov_b32 v[18:19], v[0:1], v[0:1] op_sel:[0,1]
	buffer_load_dword v181, off, s[0:3], 0 offset:524
	buffer_load_dword v180, off, s[0:3], 0 offset:520
	buffer_load_dword v1, off, s[0:3], 0 offset:516
	buffer_load_dword v0, off, s[0:3], 0 offset:512
	buffer_load_dword v5, off, s[0:3], 0 offset:572
	buffer_load_dword v4, off, s[0:3], 0 offset:568
	v_accvgpr_write_b32 a187, v19
	v_accvgpr_write_b32 a186, v18
	s_waitcnt vmcnt(0)
	v_pk_mov_b32 v[22:23], v[4:5], v[4:5] op_sel:[0,1]
	buffer_load_dword v5, off, s[0:3], 0 offset:564
	buffer_load_dword v4, off, s[0:3], 0 offset:560
	buffer_load_dword v139, off, s[0:3], 0 offset:556
	buffer_load_dword v138, off, s[0:3], 0 offset:552
	buffer_load_dword v143, off, s[0:3], 0 offset:548
	buffer_load_dword v142, off, s[0:3], 0 offset:544
	buffer_load_dword v255, off, s[0:3], 0 offset:604
	buffer_load_dword v254, off, s[0:3], 0 offset:600
	buffer_load_dword v151, off, s[0:3], 0 offset:596
	buffer_load_dword v150, off, s[0:3], 0 offset:592
	buffer_load_dword v147, off, s[0:3], 0 offset:588
	buffer_load_dword v146, off, s[0:3], 0 offset:584
	buffer_load_dword v153, off, s[0:3], 0 offset:580
	buffer_load_dword v152, off, s[0:3], 0 offset:576
	buffer_load_dword v131, off, s[0:3], 0 offset:636
	buffer_load_dword v130, off, s[0:3], 0 offset:632
	buffer_load_dword v133, off, s[0:3], 0 offset:628
	buffer_load_dword v132, off, s[0:3], 0 offset:624
	buffer_load_dword v157, off, s[0:3], 0 offset:620
	buffer_load_dword v156, off, s[0:3], 0 offset:616
	buffer_load_dword v161, off, s[0:3], 0 offset:612
	buffer_load_dword v160, off, s[0:3], 0 offset:608
	buffer_load_dword v135, off, s[0:3], 0 offset:668
	buffer_load_dword v134, off, s[0:3], 0 offset:664
	buffer_load_dword v137, off, s[0:3], 0 offset:660
	buffer_load_dword v136, off, s[0:3], 0 offset:656
	buffer_load_dword v165, off, s[0:3], 0 offset:652
	buffer_load_dword v164, off, s[0:3], 0 offset:648
	buffer_load_dword v167, off, s[0:3], 0 offset:644
	buffer_load_dword v166, off, s[0:3], 0 offset:640
	buffer_load_dword v141, off, s[0:3], 0 offset:700
	buffer_load_dword v140, off, s[0:3], 0 offset:696
	buffer_load_dword v145, off, s[0:3], 0 offset:692
	buffer_load_dword v144, off, s[0:3], 0 offset:688
	buffer_load_dword v169, off, s[0:3], 0 offset:684
	buffer_load_dword v168, off, s[0:3], 0 offset:680
	buffer_load_dword v171, off, s[0:3], 0 offset:676
	buffer_load_dword v170, off, s[0:3], 0 offset:672
	buffer_load_dword v149, off, s[0:3], 0 offset:732
	buffer_load_dword v148, off, s[0:3], 0 offset:728
	buffer_load_dword v155, off, s[0:3], 0 offset:724
	buffer_load_dword v154, off, s[0:3], 0 offset:720
	buffer_load_dword v173, off, s[0:3], 0 offset:716
	buffer_load_dword v172, off, s[0:3], 0 offset:712
	buffer_load_dword v175, off, s[0:3], 0 offset:708
	buffer_load_dword v174, off, s[0:3], 0 offset:704
	buffer_load_dword v159, off, s[0:3], 0 offset:764
	buffer_load_dword v158, off, s[0:3], 0 offset:760
	buffer_load_dword v163, off, s[0:3], 0 offset:756
	buffer_load_dword v162, off, s[0:3], 0 offset:752
	buffer_load_dword v177, off, s[0:3], 0 offset:748
	buffer_load_dword v176, off, s[0:3], 0 offset:744
	buffer_load_dword v179, off, s[0:3], 0 offset:740
	buffer_load_dword v178, off, s[0:3], 0 offset:736
	ds_read_b128 v[242:245], v236 offset:1408
	ds_read_b128 v[246:249], v236 offset:1424
	;; [unrolled: 1-line block ×7, first 2 shown]
	v_accvgpr_write_b32 a189, v23
	v_accvgpr_write_b32 a188, v22
	s_waitcnt lgkmcnt(2)
	v_mul_f64 v[8:9], v[80:81], v[180:181]
	v_fmac_f64_e32 v[8:9], v[82:83], v[0:1]
	s_waitcnt lgkmcnt(1)
	v_mul_f64 v[12:13], v[126:127], v[16:17]
	v_fmac_f64_e32 v[12:13], v[128:129], v[18:19]
	s_waitcnt vmcnt(52)
	v_pk_mov_b32 v[24:25], v[4:5], v[4:5] op_sel:[0,1]
	v_mul_f64 v[4:5], v[238:239], v[74:75]
	v_fmac_f64_e32 v[4:5], v[240:241], v[84:85]
	v_add_f64 v[2:3], v[2:3], v[4:5]
	v_mul_f64 v[4:5], v[242:243], v[90:91]
	v_fmac_f64_e32 v[4:5], v[244:245], v[92:93]
	v_add_f64 v[2:3], v[2:3], v[4:5]
	;; [unrolled: 3-line block ×5, first 2 shown]
	v_add_f64 v[10:11], v[6:7], v[8:9]
	v_add_f64 v[14:15], v[10:11], v[12:13]
	ds_read_b128 v[10:13], v236 offset:1520
	s_waitcnt vmcnt(50) lgkmcnt(1)
	v_mul_f64 v[16:17], v[122:123], v[138:139]
	s_waitcnt vmcnt(48)
	v_fmac_f64_e32 v[16:17], v[124:125], v[142:143]
	v_add_f64 v[18:19], v[14:15], v[16:17]
	ds_read_b128 v[14:17], v236 offset:1536
	s_waitcnt lgkmcnt(1)
	v_mul_f64 v[20:21], v[10:11], v[22:23]
	v_fmac_f64_e32 v[20:21], v[12:13], v[24:25]
	v_add_f64 v[22:23], v[18:19], v[20:21]
	ds_read_b128 v[18:21], v236 offset:1552
	v_accvgpr_write_b32 a191, v25
	v_accvgpr_write_b32 a190, v24
	s_waitcnt vmcnt(42) lgkmcnt(1)
	v_mul_f64 v[24:25], v[14:15], v[146:147]
	s_waitcnt vmcnt(40)
	v_fmac_f64_e32 v[24:25], v[16:17], v[152:153]
	s_waitcnt lgkmcnt(0)
	v_mul_f64 v[28:29], v[18:19], v[254:255]
	v_add_f64 v[26:27], v[22:23], v[24:25]
	ds_read_b128 v[22:25], v236 offset:1568
	v_fmac_f64_e32 v[28:29], v[20:21], v[150:151]
	v_add_f64 v[30:31], v[26:27], v[28:29]
	ds_read_b128 v[26:29], v236 offset:1584
	v_fma_f64 v[6:7], v[102:103], v[50:51], -v[56:57]
	s_waitcnt vmcnt(34) lgkmcnt(1)
	v_mul_f64 v[32:33], v[22:23], v[156:157]
	s_waitcnt vmcnt(32)
	v_fmac_f64_e32 v[32:33], v[24:25], v[160:161]
	v_add_f64 v[34:35], v[30:31], v[32:33]
	s_waitcnt lgkmcnt(0)
	v_mul_f64 v[36:37], v[26:27], v[130:131]
	ds_read_b128 v[30:33], v236 offset:1600
	v_fmac_f64_e32 v[36:37], v[28:29], v[132:133]
	v_add_f64 v[38:39], v[34:35], v[36:37]
	ds_read_b128 v[34:37], v236 offset:1616
	v_mul_f64 v[50:51], v[108:109], v[58:59]
	s_waitcnt vmcnt(26) lgkmcnt(1)
	v_mul_f64 v[40:41], v[30:31], v[164:165]
	s_waitcnt vmcnt(24)
	v_fmac_f64_e32 v[40:41], v[32:33], v[166:167]
	v_add_f64 v[42:43], v[38:39], v[40:41]
	s_waitcnt lgkmcnt(0)
	v_mul_f64 v[44:45], v[34:35], v[134:135]
	v_fmac_f64_e32 v[44:45], v[36:37], v[136:137]
	ds_read_b128 v[38:41], v236 offset:1632
	v_add_f64 v[46:47], v[42:43], v[44:45]
	ds_read_b128 v[42:45], v236 offset:1648
	buffer_load_dword v9, off, s[0:3], 0 offset:796
	buffer_load_dword v183, off, s[0:3], 0 offset:780
	;; [unrolled: 1-line block ×8, first 2 shown]
	v_fma_f64 v[102:103], v[106:107], v[52:53], -v[50:51]
	s_waitcnt vmcnt(26) lgkmcnt(1)
	v_mul_f64 v[48:49], v[38:39], v[168:169]
	s_waitcnt vmcnt(24)
	v_fmac_f64_e32 v[48:49], v[40:41], v[170:171]
	v_add_f64 v[192:193], v[46:47], v[48:49]
	ds_read_b128 v[46:49], v236 offset:1664
	buffer_load_dword v189, off, s[0:3], 0 offset:812
	buffer_load_dword v188, off, s[0:3], 0 offset:808
	;; [unrolled: 1-line block ×4, first 2 shown]
	s_waitcnt lgkmcnt(1)
	v_mul_f64 v[194:195], v[42:43], v[140:141]
	v_fmac_f64_e32 v[194:195], v[44:45], v[144:145]
	v_add_f64 v[2:3], v[192:193], v[194:195]
	buffer_load_dword v193, off, s[0:3], 0 offset:828
	buffer_load_dword v192, off, s[0:3], 0 offset:824
	;; [unrolled: 1-line block ×12, first 2 shown]
	v_mul_f64 v[50:51], v[112:113], v[54:55]
	v_fma_f64 v[104:105], v[110:111], v[204:205], -v[50:51]
	buffer_load_dword v205, off, s[0:3], 0 offset:876
	buffer_load_dword v204, off, s[0:3], 0 offset:872
	;; [unrolled: 1-line block ×4, first 2 shown]
	v_mul_f64 v[50:51], v[116:117], v[64:65]
	v_fma_f64 v[106:107], v[114:115], v[212:213], -v[50:51]
	v_mul_f64 v[50:51], v[210:211], v[62:63]
	buffer_load_dword v211, off, s[0:3], 0 offset:892
	buffer_load_dword v210, off, s[0:3], 0 offset:888
	;; [unrolled: 1-line block ×4, first 2 shown]
	v_fma_f64 v[108:109], v[208:209], v[60:61], -v[50:51]
	buffer_load_dword v209, off, s[0:3], 0 offset:924
	buffer_load_dword v215, off, s[0:3], 0 offset:908
	;; [unrolled: 1-line block ×12, first 2 shown]
	ds_read_b128 v[50:53], v236 offset:1680
	v_mul_f64 v[54:55], v[226:227], v[76:77]
	v_fma_f64 v[78:79], v[224:225], v[78:79], -v[54:55]
	ds_read_b128 v[54:57], v236 offset:1696
	s_waitcnt vmcnt(54) lgkmcnt(2)
	v_mul_f64 v[58:59], v[46:47], v[172:173]
	s_waitcnt vmcnt(52)
	v_fmac_f64_e32 v[58:59], v[48:49], v[174:175]
	v_add_f64 v[2:3], v[2:3], v[58:59]
	s_waitcnt lgkmcnt(1)
	v_mul_f64 v[58:59], v[50:51], v[148:149]
	v_fmac_f64_e32 v[58:59], v[52:53], v[154:155]
	v_add_f64 v[2:3], v[2:3], v[58:59]
	s_waitcnt vmcnt(46) lgkmcnt(0)
	v_mul_f64 v[58:59], v[54:55], v[176:177]
	s_waitcnt vmcnt(44)
	v_fmac_f64_e32 v[58:59], v[56:57], v[178:179]
	v_add_f64 v[2:3], v[2:3], v[58:59]
	ds_read_b128 v[58:61], v236 offset:1712
	v_mul_f64 v[62:63], v[230:231], v[66:67]
	v_fma_f64 v[226:227], v[228:229], v[70:71], -v[62:63]
	ds_read_b128 v[62:65], v236 offset:1728
	v_mul_f64 v[66:67], v[234:235], v[68:69]
	v_fma_f64 v[228:229], v[232:233], v[72:73], -v[66:67]
	ds_read_b128 v[66:69], v236 offset:1744
	s_waitcnt lgkmcnt(2)
	v_mul_f64 v[70:71], v[58:59], v[158:159]
	v_fmac_f64_e32 v[70:71], v[60:61], v[162:163]
	v_add_f64 v[2:3], v[2:3], v[70:71]
	v_mul_f64 v[74:75], v[240:241], v[74:75]
	v_fma_f64 v[84:85], v[238:239], v[84:85], -v[74:75]
	ds_read_b128 v[74:77], v236 offset:1776
	v_mul_f64 v[90:91], v[244:245], v[90:91]
	ds_read_b128 v[238:241], v236 offset:1808
	v_fma_f64 v[4:5], v[242:243], v[92:93], -v[90:91]
	v_mul_f64 v[86:87], v[248:249], v[86:87]
	v_fma_f64 v[246:247], v[246:247], v[88:89], -v[86:87]
	ds_read_b128 v[86:89], v236 offset:1824
	v_mul_f64 v[94:95], v[120:121], v[94:95]
	buffer_load_dword v224, off, s[0:3], 0 offset:952
	v_add_f64 v[6:7], v[6:7], 0
	v_add_f64 v[6:7], v[6:7], v[102:103]
	v_add_f64 v[6:7], v[6:7], v[104:105]
	ds_read_b128 v[232:235], v236 offset:1792
	v_add_f64 v[6:7], v[6:7], v[106:107]
	v_add_f64 v[6:7], v[6:7], v[108:109]
	;; [unrolled: 1-line block ×8, first 2 shown]
	v_accvgpr_read_b32 v6, a184
	v_accvgpr_read_b32 v7, a185
	;; [unrolled: 1-line block ×3, first 2 shown]
	v_mul_f64 v[6:7], v[128:129], v[6:7]
	v_accvgpr_read_b32 v79, a187
	v_fma_f64 v[6:7], v[126:127], v[78:79], -v[6:7]
	s_waitcnt vmcnt(42) lgkmcnt(5)
	v_mul_f64 v[70:71], v[62:63], v[182:183]
	s_waitcnt vmcnt(40)
	v_fmac_f64_e32 v[70:71], v[64:65], v[186:187]
	v_add_f64 v[2:3], v[2:3], v[70:71]
	s_waitcnt vmcnt(39) lgkmcnt(4)
	v_mul_f64 v[70:71], v[66:67], v[8:9]
	s_waitcnt vmcnt(37)
	v_fmac_f64_e32 v[70:71], v[68:69], v[184:185]
	v_add_f64 v[2:3], v[2:3], v[70:71]
	ds_read_b128 v[70:73], v236 offset:1760
	s_waitcnt vmcnt(31) lgkmcnt(4)
	v_mul_f64 v[90:91], v[74:75], v[192:193]
	s_waitcnt vmcnt(29)
	v_fmac_f64_e32 v[90:91], v[76:77], v[196:197]
	s_waitcnt lgkmcnt(0)
	v_mul_f64 v[110:111], v[70:71], v[188:189]
	v_fmac_f64_e32 v[110:111], v[72:73], v[190:191]
	v_add_f64 v[2:3], v[2:3], v[110:111]
	v_add_f64 v[2:3], v[2:3], v[90:91]
	s_waitcnt vmcnt(27)
	v_mul_f64 v[90:91], v[232:233], v[194:195]
	s_waitcnt vmcnt(25)
	v_fmac_f64_e32 v[90:91], v[234:235], v[198:199]
	v_add_f64 v[2:3], v[2:3], v[90:91]
	s_waitcnt vmcnt(22)
	v_mul_f64 v[90:91], v[238:239], v[200:201]
	s_waitcnt vmcnt(21)
	v_fmac_f64_e32 v[90:91], v[240:241], v[202:203]
	v_add_f64 v[2:3], v[2:3], v[90:91]
	v_mul_f64 v[90:91], v[252:253], v[98:99]
	v_fma_f64 v[248:249], v[250:251], v[100:101], -v[90:91]
	ds_read_b128 v[90:93], v236 offset:1840
	s_waitcnt vmcnt(19)
	v_mul_f64 v[98:99], v[86:87], v[204:205]
	s_waitcnt vmcnt(17)
	v_fmac_f64_e32 v[98:99], v[88:89], v[206:207]
	v_add_f64 v[2:3], v[2:3], v[98:99]
	v_fma_f64 v[252:253], v[118:119], v[96:97], -v[94:95]
	ds_read_b128 v[94:97], v236 offset:1856
	s_waitcnt vmcnt(15) lgkmcnt(1)
	v_mul_f64 v[98:99], v[90:91], v[210:211]
	s_waitcnt vmcnt(13)
	v_fmac_f64_e32 v[98:99], v[92:93], v[212:213]
	v_add_f64 v[110:111], v[2:3], v[98:99]
	v_mul_f64 v[2:3], v[82:83], v[180:181]
	ds_read_b128 v[98:101], v236 offset:1872
	v_fma_f64 v[0:1], v[80:81], v[0:1], -v[2:3]
	v_accvgpr_write_b32 a193, v1
	v_accvgpr_write_b32 a192, v0
	ds_read_b128 v[0:3], v236 offset:1888
	buffer_load_dword v118, off, s[0:3], 0 offset:944
	buffer_load_dword v225, off, s[0:3], 0 offset:956
	;; [unrolled: 1-line block ×3, first 2 shown]
	s_waitcnt vmcnt(13) lgkmcnt(2)
	v_mul_f64 v[80:81], v[94:95], v[214:215]
	s_waitcnt vmcnt(11)
	v_fmac_f64_e32 v[80:81], v[96:97], v[220:221]
	s_waitcnt vmcnt(10) lgkmcnt(1)
	v_mul_f64 v[82:83], v[98:99], v[208:209]
	v_add_f64 v[80:81], v[110:111], v[80:81]
	s_waitcnt vmcnt(8)
	v_fmac_f64_e32 v[82:83], v[100:101], v[218:219]
	v_add_f64 v[80:81], v[80:81], v[82:83]
	s_waitcnt vmcnt(6) lgkmcnt(0)
	v_mul_f64 v[82:83], v[0:1], v[216:217]
	s_waitcnt vmcnt(4)
	v_fmac_f64_e32 v[82:83], v[2:3], v[222:223]
	v_add_f64 v[110:111], v[80:81], v[82:83]
	ds_read_b128 v[80:83], v236 offset:1904
	buffer_load_dword v121, off, s[0:3], 0 offset:972
	buffer_load_dword v120, off, s[0:3], 0 offset:968
	;; [unrolled: 1-line block ×4, first 2 shown]
	v_add_f64 v[4:5], v[4:5], v[248:249]
	v_add_f64 v[252:253], v[4:5], v[252:253]
	v_accvgpr_read_b32 v4, a192
	v_accvgpr_read_b32 v5, a193
	v_add_f64 v[4:5], v[252:253], v[4:5]
	v_add_f64 v[4:5], v[4:5], v[6:7]
	v_mul_f64 v[6:7], v[124:125], v[138:139]
	v_fma_f64 v[6:7], v[122:123], v[142:143], -v[6:7]
	v_add_f64 v[4:5], v[4:5], v[6:7]
	v_accvgpr_read_b32 v6, a188
	v_accvgpr_read_b32 v7, a189
	v_mul_f64 v[6:7], v[12:13], v[6:7]
	v_accvgpr_read_b32 v12, a190
	v_accvgpr_read_b32 v13, a191
	v_fma_f64 v[6:7], v[10:11], v[12:13], -v[6:7]
	v_add_f64 v[4:5], v[4:5], v[6:7]
	v_mul_f64 v[6:7], v[16:17], v[146:147]
	v_fma_f64 v[6:7], v[14:15], v[152:153], -v[6:7]
	v_add_f64 v[4:5], v[4:5], v[6:7]
	v_mul_f64 v[6:7], v[20:21], v[254:255]
	;; [unrolled: 3-line block ×17, first 2 shown]
	v_fma_f64 v[6:7], v[232:233], v[198:199], -v[6:7]
	v_add_f64 v[4:5], v[4:5], v[6:7]
	s_waitcnt vmcnt(5) lgkmcnt(0)
	v_mul_f64 v[112:113], v[80:81], v[224:225]
	s_waitcnt vmcnt(4)
	v_fmac_f64_e32 v[112:113], v[82:83], v[118:119]
	v_add_f64 v[114:115], v[110:111], v[112:113]
	ds_read_b128 v[110:113], v236 offset:1920
	buffer_load_dword v242, off, s[0:3], 0 offset:984
	buffer_load_dword v243, off, s[0:3], 0 offset:988
	;; [unrolled: 1-line block ×4, first 2 shown]
	v_mul_f64 v[6:7], v[240:241], v[200:201]
	v_fma_f64 v[6:7], v[238:239], v[202:203], -v[6:7]
	v_add_f64 v[4:5], v[4:5], v[6:7]
	v_mul_f64 v[6:7], v[88:89], v[204:205]
	v_fma_f64 v[6:7], v[86:87], v[206:207], -v[6:7]
	s_waitcnt vmcnt(6) lgkmcnt(0)
	v_mul_f64 v[116:117], v[110:111], v[120:121]
	v_add_f64 v[4:5], v[4:5], v[6:7]
	s_waitcnt vmcnt(4)
	v_fmac_f64_e32 v[116:117], v[112:113], v[230:231]
	v_add_f64 v[180:181], v[114:115], v[116:117]
	ds_read_b128 v[114:117], v236 offset:1936
	buffer_load_dword v248, off, s[0:3], 0 offset:288
	buffer_load_dword v249, off, s[0:3], 0 offset:292
	;; [unrolled: 1-line block ×4, first 2 shown]
	v_mul_f64 v[6:7], v[92:93], v[210:211]
	v_fma_f64 v[6:7], v[90:91], v[212:213], -v[6:7]
	v_add_f64 v[4:5], v[4:5], v[6:7]
	v_mul_f64 v[6:7], v[96:97], v[214:215]
	v_fma_f64 v[6:7], v[94:95], v[220:221], -v[6:7]
	v_add_f64 v[4:5], v[4:5], v[6:7]
	v_mul_f64 v[6:7], v[100:101], v[208:209]
	v_fma_f64 v[6:7], v[98:99], v[218:219], -v[6:7]
	v_mul_f64 v[2:3], v[2:3], v[216:217]
	v_add_f64 v[4:5], v[4:5], v[6:7]
	v_fma_f64 v[0:1], v[0:1], v[222:223], -v[2:3]
	v_mul_f64 v[2:3], v[82:83], v[224:225]
	v_add_f64 v[0:1], v[4:5], v[0:1]
	v_fma_f64 v[2:3], v[80:81], v[118:119], -v[2:3]
	v_add_f64 v[0:1], v[0:1], v[2:3]
	v_mul_f64 v[2:3], v[112:113], v[120:121]
	v_fma_f64 v[2:3], v[110:111], v[230:231], -v[2:3]
	v_add_f64 v[0:1], v[0:1], v[2:3]
	s_waitcnt vmcnt(6) lgkmcnt(0)
	v_mul_f64 v[2:3], v[116:117], v[242:243]
	v_mul_f64 v[250:251], v[114:115], v[242:243]
	s_waitcnt vmcnt(4)
	v_fma_f64 v[2:3], v[114:115], v[244:245], -v[2:3]
	v_fmac_f64_e32 v[250:251], v[116:117], v[244:245]
	v_add_f64 v[0:1], v[0:1], v[2:3]
	v_add_f64 v[180:181], v[180:181], v[250:251]
	s_waitcnt vmcnt(2)
	v_add_f64 v[0:1], v[248:249], -v[0:1]
	s_waitcnt vmcnt(0)
	v_add_f64 v[2:3], v[246:247], -v[180:181]
	buffer_store_dword v1, off, s[0:3], 0 offset:292
	buffer_store_dword v0, off, s[0:3], 0 offset:288
	;; [unrolled: 1-line block ×4, first 2 shown]
	v_accvgpr_read_b32 v0, a182
	v_cmp_lt_u32_e32 vcc, 16, v0
	s_and_saveexec_b64 s[4:5], vcc
	s_cbranch_execz .LBB60_359
; %bb.358:
	v_accvgpr_read_b32 v0, a166
	buffer_load_dword v2, v0, s[0:3], 0 offen
	buffer_load_dword v3, v0, s[0:3], 0 offen offset:4
	buffer_load_dword v4, v0, s[0:3], 0 offen offset:8
	;; [unrolled: 1-line block ×3, first 2 shown]
	v_accvgpr_read_b32 v0, a183
	buffer_store_dword v236, off, s[0:3], 0 offset:272
	buffer_store_dword v236, off, s[0:3], 0 offset:276
	;; [unrolled: 1-line block ×4, first 2 shown]
	s_waitcnt vmcnt(4)
	ds_write_b128 v0, v[2:5]
.LBB60_359:
	s_or_b64 exec, exec, s[4:5]
	s_waitcnt lgkmcnt(0)
	; wave barrier
	s_waitcnt lgkmcnt(0)
	buffer_load_dword v186, off, s[0:3], 0 offset:288
	buffer_load_dword v187, off, s[0:3], 0 offset:292
	;; [unrolled: 1-line block ×36, first 2 shown]
	ds_read_b128 v[82:85], v236 offset:1248
	ds_read_b128 v[78:81], v236 offset:1264
	;; [unrolled: 1-line block ×9, first 2 shown]
	buffer_load_dword v227, off, s[0:3], 0 offset:460
	buffer_load_dword v226, off, s[0:3], 0 offset:456
	;; [unrolled: 1-line block ×19, first 2 shown]
	s_waitcnt vmcnt(51) lgkmcnt(8)
	v_mul_f64 v[0:1], v[82:83], v[194:195]
	v_fmac_f64_e32 v[0:1], v[84:85], v[186:187]
	v_add_f64 v[0:1], v[0:1], 0
	v_mul_f64 v[84:85], v[84:85], v[194:195]
	s_waitcnt vmcnt(47) lgkmcnt(7)
	v_mul_f64 v[2:3], v[78:79], v[198:199]
	v_fmac_f64_e32 v[2:3], v[80:81], v[196:197]
	v_add_f64 v[0:1], v[0:1], v[2:3]
	buffer_load_dword v244, off, s[0:3], 0 offset:512
	buffer_load_dword v255, off, s[0:3], 0 offset:508
	;; [unrolled: 1-line block ×7, first 2 shown]
	s_waitcnt vmcnt(52) lgkmcnt(6)
	v_mul_f64 v[4:5], v[74:75], v[202:203]
	s_waitcnt vmcnt(50) lgkmcnt(4)
	v_mul_f64 v[8:9], v[62:63], v[212:213]
	s_waitcnt vmcnt(48)
	v_fmac_f64_e32 v[8:9], v[64:65], v[214:215]
	v_mul_f64 v[80:81], v[80:81], v[198:199]
	s_waitcnt vmcnt(46)
	v_mul_f64 v[6:7], v[70:71], v[204:205]
	v_mul_f64 v[64:65], v[64:65], v[212:213]
	s_waitcnt vmcnt(44) lgkmcnt(2)
	v_mul_f64 v[12:13], v[54:55], v[104:105]
	v_fma_f64 v[212:213], v[62:63], v[214:215], -v[64:65]
	s_waitcnt vmcnt(42)
	v_fmac_f64_e32 v[12:13], v[56:57], v[108:109]
	v_mul_f64 v[56:57], v[56:57], v[104:105]
	s_waitcnt vmcnt(40)
	v_mul_f64 v[10:11], v[50:51], v[112:113]
	s_waitcnt vmcnt(38) lgkmcnt(1)
	v_mul_f64 v[14:15], v[58:59], v[106:107]
	s_waitcnt vmcnt(36)
	v_fmac_f64_e32 v[4:5], v[76:77], v[200:201]
	v_add_f64 v[0:1], v[0:1], v[4:5]
	s_waitcnt vmcnt(34)
	v_fmac_f64_e32 v[6:7], v[72:73], v[116:117]
	v_add_f64 v[0:1], v[0:1], v[6:7]
	v_add_f64 v[0:1], v[0:1], v[8:9]
	s_waitcnt vmcnt(32)
	v_fmac_f64_e32 v[10:11], v[52:53], v[114:115]
	v_add_f64 v[0:1], v[0:1], v[10:11]
	;; [unrolled: 4-line block ×3, first 2 shown]
	v_mul_f64 v[76:77], v[76:77], v[202:203]
	v_mul_f64 v[72:73], v[72:73], v[204:205]
	;; [unrolled: 1-line block ×4, first 2 shown]
	v_fma_f64 v[116:117], v[70:71], v[116:117], -v[72:73]
	s_waitcnt vmcnt(0)
	v_pk_mov_b32 v[4:5], v[2:3], v[2:3] op_sel:[0,1]
	buffer_load_dword v3, off, s[0:3], 0 offset:548
	buffer_load_dword v2, off, s[0:3], 0 offset:544
	v_accvgpr_write_b32 a185, v5
	v_accvgpr_write_b32 a184, v4
	s_waitcnt vmcnt(0)
	v_pk_mov_b32 v[8:9], v[2:3], v[2:3] op_sel:[0,1]
	buffer_load_dword v239, off, s[0:3], 0 offset:540
	buffer_load_dword v238, off, s[0:3], 0 offset:536
	;; [unrolled: 1-line block ×6, first 2 shown]
	v_accvgpr_write_b32 a187, v9
	v_accvgpr_write_b32 a186, v8
	s_waitcnt vmcnt(0)
	v_pk_mov_b32 v[12:13], v[2:3], v[2:3] op_sel:[0,1]
	buffer_load_dword v3, off, s[0:3], 0 offset:580
	buffer_load_dword v2, off, s[0:3], 0 offset:576
	v_accvgpr_write_b32 a189, v13
	v_accvgpr_write_b32 a188, v12
	s_waitcnt vmcnt(0)
	v_pk_mov_b32 v[24:25], v[2:3], v[2:3] op_sel:[0,1]
	buffer_load_dword v143, off, s[0:3], 0 offset:572
	buffer_load_dword v142, off, s[0:3], 0 offset:568
	;; [unrolled: 1-line block ×6, first 2 shown]
	v_accvgpr_write_b32 a191, v25
	v_accvgpr_write_b32 a190, v24
	s_waitcnt vmcnt(0)
	v_pk_mov_b32 v[32:33], v[2:3], v[2:3] op_sel:[0,1]
	buffer_load_dword v3, off, s[0:3], 0 offset:612
	buffer_load_dword v2, off, s[0:3], 0 offset:608
	v_accvgpr_write_b32 a193, v33
	v_accvgpr_write_b32 a192, v32
	s_waitcnt vmcnt(0)
	v_pk_mov_b32 v[34:35], v[2:3], v[2:3] op_sel:[0,1]
	buffer_load_dword v153, off, s[0:3], 0 offset:604
	buffer_load_dword v152, off, s[0:3], 0 offset:600
	;; [unrolled: 1-line block ×36, first 2 shown]
	ds_read_b128 v[250:253], v236 offset:1392
	ds_read_b128 v[118:121], v236 offset:1408
	;; [unrolled: 1-line block ×9, first 2 shown]
	v_accvgpr_write_b32 a195, v35
	s_waitcnt lgkmcnt(3)
	v_mul_f64 v[6:7], v[98:99], v[242:243]
	v_fmac_f64_e32 v[6:7], v[100:101], v[244:245]
	s_waitcnt lgkmcnt(2)
	v_mul_f64 v[10:11], v[130:131], v[238:239]
	v_fmac_f64_e32 v[10:11], v[132:133], v[138:139]
	s_waitcnt lgkmcnt(1)
	v_mul_f64 v[14:15], v[126:127], v[4:5]
	v_fmac_f64_e32 v[14:15], v[128:129], v[8:9]
	v_accvgpr_write_b32 a194, v34
	v_fma_f64 v[8:9], v[54:55], v[108:109], -v[56:57]
	v_mul_f64 v[70:71], v[252:253], v[230:231]
	v_mul_f64 v[100:101], v[100:101], v[242:243]
	s_waitcnt vmcnt(30)
	v_pk_mov_b32 v[40:41], v[2:3], v[2:3] op_sel:[0,1]
	v_mul_f64 v[2:3], v[66:67], v[102:103]
	v_fmac_f64_e32 v[2:3], v[68:69], v[224:225]
	v_add_f64 v[0:1], v[0:1], v[2:3]
	v_mul_f64 v[2:3], v[250:251], v[230:231]
	v_fmac_f64_e32 v[2:3], v[252:253], v[240:241]
	v_add_f64 v[0:1], v[0:1], v[2:3]
	;; [unrolled: 3-line block ×6, first 2 shown]
	v_add_f64 v[0:1], v[0:1], v[6:7]
	v_add_f64 v[0:1], v[0:1], v[10:11]
	;; [unrolled: 1-line block ×3, first 2 shown]
	ds_read_b128 v[14:17], v236 offset:1536
	s_waitcnt lgkmcnt(1)
	v_mul_f64 v[18:19], v[134:135], v[142:143]
	v_fmac_f64_e32 v[18:19], v[136:137], v[146:147]
	v_add_f64 v[0:1], v[0:1], v[18:19]
	ds_read_b128 v[18:21], v236 offset:1552
	s_waitcnt lgkmcnt(1)
	v_mul_f64 v[22:23], v[14:15], v[12:13]
	v_fmac_f64_e32 v[22:23], v[16:17], v[24:25]
	v_add_f64 v[0:1], v[0:1], v[22:23]
	;; [unrolled: 5-line block ×4, first 2 shown]
	ds_read_b128 v[30:33], v236 offset:1600
	s_waitcnt vmcnt(26) lgkmcnt(1)
	v_mul_f64 v[34:35], v[26:27], v[160:161]
	s_waitcnt vmcnt(24)
	v_fmac_f64_e32 v[34:35], v[28:29], v[162:163]
	v_add_f64 v[0:1], v[0:1], v[34:35]
	ds_read_b128 v[34:37], v236 offset:1616
	s_waitcnt lgkmcnt(1)
	v_mul_f64 v[38:39], v[30:31], v[40:41]
	v_accvgpr_write_b32 a197, v41
	v_fmac_f64_e32 v[38:39], v[32:33], v[150:151]
	v_accvgpr_write_b32 a196, v40
	v_add_f64 v[0:1], v[0:1], v[38:39]
	ds_read_b128 v[38:41], v236 offset:1632
	s_waitcnt vmcnt(18) lgkmcnt(1)
	v_mul_f64 v[42:43], v[34:35], v[164:165]
	s_waitcnt vmcnt(16)
	v_fmac_f64_e32 v[42:43], v[36:37], v[166:167]
	v_add_f64 v[46:47], v[0:1], v[42:43]
	ds_read_b128 v[42:45], v236 offset:1648
	buffer_load_dword v123, off, s[0:3], 0 offset:764
	buffer_load_dword v122, off, s[0:3], 0 offset:760
	buffer_load_dword v179, off, s[0:3], 0 offset:756
	buffer_load_dword v178, off, s[0:3], 0 offset:752
	s_waitcnt lgkmcnt(1)
	v_mul_f64 v[48:49], v[38:39], v[124:125]
	v_fmac_f64_e32 v[48:49], v[40:41], v[140:141]
	v_add_f64 v[180:181], v[46:47], v[48:49]
	ds_read_b128 v[46:49], v236 offset:1664
	buffer_load_dword v183, off, s[0:3], 0 offset:780
	buffer_load_dword v182, off, s[0:3], 0 offset:776
	;; [unrolled: 1-line block ×4, first 2 shown]
	s_waitcnt vmcnt(18) lgkmcnt(1)
	v_mul_f64 v[188:189], v[42:43], v[168:169]
	s_waitcnt vmcnt(16)
	v_fmac_f64_e32 v[188:189], v[44:45], v[170:171]
	v_add_f64 v[0:1], v[180:181], v[188:189]
	buffer_load_dword v181, off, s[0:3], 0 offset:812
	buffer_load_dword v189, off, s[0:3], 0 offset:796
	;; [unrolled: 1-line block ×8, first 2 shown]
	v_fma_f64 v[12:13], v[82:83], v[186:187], -v[84:85]
	buffer_load_dword v186, off, s[0:3], 0 offset:840
	buffer_load_dword v195, off, s[0:3], 0 offset:828
	;; [unrolled: 1-line block ×5, first 2 shown]
	v_fma_f64 v[82:83], v[78:79], v[196:197], -v[80:81]
	buffer_load_dword v196, off, s[0:3], 0 offset:832
	buffer_load_dword v187, off, s[0:3], 0 offset:844
	;; [unrolled: 1-line block ×3, first 2 shown]
	v_fma_f64 v[84:85], v[74:75], v[200:201], -v[76:77]
	buffer_load_dword v201, off, s[0:3], 0 offset:876
	buffer_load_dword v203, off, s[0:3], 0 offset:860
	buffer_load_dword v202, off, s[0:3], 0 offset:856
	buffer_load_dword v209, off, s[0:3], 0 offset:852
	buffer_load_dword v208, off, s[0:3], 0 offset:848
	buffer_load_dword v200, off, s[0:3], 0 offset:872
	buffer_load_dword v207, off, s[0:3], 0 offset:868
	buffer_load_dword v206, off, s[0:3], 0 offset:864
	buffer_load_dword v205, off, s[0:3], 0 offset:892
	buffer_load_dword v204, off, s[0:3], 0 offset:888
	buffer_load_dword v211, off, s[0:3], 0 offset:884
	buffer_load_dword v210, off, s[0:3], 0 offset:880
	v_fma_f64 v[10:11], v[50:51], v[114:115], -v[52:53]
	buffer_load_dword v215, off, s[0:3], 0 offset:908
	buffer_load_dword v214, off, s[0:3], 0 offset:904
	;; [unrolled: 1-line block ×12, first 2 shown]
	s_waitcnt lgkmcnt(0)
	v_mul_f64 v[50:51], v[46:47], v[144:145]
	v_fmac_f64_e32 v[50:51], v[48:49], v[148:149]
	v_add_f64 v[0:1], v[0:1], v[50:51]
	ds_read_b128 v[50:53], v236 offset:1680
	ds_read_b128 v[54:57], v236 offset:1696
	v_fma_f64 v[6:7], v[58:59], v[110:111], -v[60:61]
	ds_read_b128 v[58:61], v236 offset:1712
	v_mul_f64 v[68:69], v[68:69], v[102:103]
	s_waitcnt vmcnt(50) lgkmcnt(2)
	v_mul_f64 v[62:63], v[50:51], v[172:173]
	s_waitcnt vmcnt(48)
	v_fmac_f64_e32 v[62:63], v[52:53], v[174:175]
	v_add_f64 v[0:1], v[0:1], v[62:63]
	s_waitcnt lgkmcnt(1)
	v_mul_f64 v[62:63], v[54:55], v[154:155]
	v_fmac_f64_e32 v[62:63], v[56:57], v[158:159]
	v_add_f64 v[0:1], v[0:1], v[62:63]
	v_fma_f64 v[224:225], v[66:67], v[224:225], -v[68:69]
	ds_read_b128 v[66:69], v236 offset:1744
	v_fma_f64 v[240:241], v[250:251], v[240:241], -v[70:71]
	v_mul_f64 v[78:79], v[120:121], v[226:227]
	v_fma_f64 v[4:5], v[118:119], v[228:229], -v[78:79]
	v_mul_f64 v[88:89], v[88:89], v[232:233]
	v_fma_f64 v[2:3], v[86:87], v[234:235], -v[88:89]
	ds_read_b128 v[232:235], v236 offset:1808
	v_mul_f64 v[92:93], v[92:93], v[246:247]
	v_fma_f64 v[246:247], v[90:91], v[248:249], -v[92:93]
	ds_read_b128 v[90:93], v236 offset:1840
	ds_read_b128 v[118:121], v236 offset:1856
	v_mul_f64 v[96:97], v[96:97], v[254:255]
	v_fma_f64 v[250:251], v[94:95], v[176:177], -v[96:97]
	ds_read_b128 v[94:97], v236 offset:1872
	v_fma_f64 v[252:253], v[98:99], v[244:245], -v[100:101]
	v_add_f64 v[12:13], v[12:13], 0
	v_add_f64 v[12:13], v[12:13], v[82:83]
	;; [unrolled: 1-line block ×8, first 2 shown]
	ds_read_b128 v[70:73], v236 offset:1760
	v_add_f64 v[6:7], v[6:7], v[224:225]
	v_add_f64 v[6:7], v[6:7], v[240:241]
	;; [unrolled: 1-line block ×6, first 2 shown]
	v_mul_f64 v[4:5], v[132:133], v[238:239]
	v_add_f64 v[2:3], v[2:3], v[252:253]
	v_fma_f64 v[4:5], v[130:131], v[138:139], -v[4:5]
	v_add_f64 v[2:3], v[2:3], v[4:5]
	ds_read_b128 v[78:81], v236 offset:1792
	v_accvgpr_read_b32 v4, a184
	v_accvgpr_read_b32 v5, a185
	v_accvgpr_read_b32 v6, a186
	v_mul_f64 v[4:5], v[128:129], v[4:5]
	v_accvgpr_read_b32 v7, a187
	v_fma_f64 v[4:5], v[126:127], v[6:7], -v[4:5]
	v_add_f64 v[2:3], v[2:3], v[4:5]
	v_mul_f64 v[4:5], v[136:137], v[142:143]
	v_fma_f64 v[4:5], v[134:135], v[146:147], -v[4:5]
	s_waitcnt vmcnt(46) lgkmcnt(7)
	v_mul_f64 v[62:63], v[58:59], v[122:123]
	v_add_f64 v[2:3], v[2:3], v[4:5]
	s_waitcnt vmcnt(44)
	v_fmac_f64_e32 v[62:63], v[60:61], v[178:179]
	v_add_f64 v[0:1], v[0:1], v[62:63]
	ds_read_b128 v[62:65], v236 offset:1728
	v_accvgpr_read_b32 v4, a188
	v_accvgpr_read_b32 v5, a189
	;; [unrolled: 1-line block ×3, first 2 shown]
	v_mul_f64 v[4:5], v[16:17], v[4:5]
	s_waitcnt vmcnt(42) lgkmcnt(0)
	v_mul_f64 v[74:75], v[62:63], v[182:183]
	s_waitcnt vmcnt(40)
	v_fmac_f64_e32 v[74:75], v[64:65], v[184:185]
	v_add_f64 v[0:1], v[0:1], v[74:75]
	s_waitcnt vmcnt(37)
	v_mul_f64 v[74:75], v[66:67], v[188:189]
	s_waitcnt vmcnt(35)
	v_fmac_f64_e32 v[74:75], v[68:69], v[192:193]
	v_add_f64 v[0:1], v[0:1], v[74:75]
	s_waitcnt vmcnt(34)
	v_mul_f64 v[74:75], v[70:71], v[180:181]
	s_waitcnt vmcnt(32)
	v_fmac_f64_e32 v[74:75], v[72:73], v[190:191]
	v_add_f64 v[0:1], v[0:1], v[74:75]
	ds_read_b128 v[74:77], v236 offset:1776
	s_waitcnt vmcnt(25)
	v_mul_f64 v[86:87], v[78:79], v[186:187]
	s_waitcnt vmcnt(24)
	v_fmac_f64_e32 v[86:87], v[80:81], v[196:197]
	s_waitcnt vmcnt(10)
	v_mul_f64 v[98:99], v[118:119], v[214:215]
	s_waitcnt vmcnt(8)
	v_fmac_f64_e32 v[98:99], v[120:121], v[216:217]
	s_waitcnt lgkmcnt(0)
	v_mul_f64 v[102:103], v[74:75], v[194:195]
	v_fmac_f64_e32 v[102:103], v[76:77], v[198:199]
	v_add_f64 v[0:1], v[0:1], v[102:103]
	v_add_f64 v[0:1], v[0:1], v[86:87]
	ds_read_b128 v[86:89], v236 offset:1824
	v_mul_f64 v[102:103], v[232:233], v[202:203]
	v_fmac_f64_e32 v[102:103], v[234:235], v[208:209]
	v_add_f64 v[0:1], v[0:1], v[102:103]
	v_accvgpr_read_b32 v7, a191
	s_waitcnt lgkmcnt(0)
	v_mul_f64 v[102:103], v[86:87], v[200:201]
	v_fmac_f64_e32 v[102:103], v[88:89], v[206:207]
	v_add_f64 v[0:1], v[0:1], v[102:103]
	v_mul_f64 v[102:103], v[90:91], v[204:205]
	v_fmac_f64_e32 v[102:103], v[92:93], v[210:211]
	v_add_f64 v[0:1], v[0:1], v[102:103]
	ds_read_b128 v[102:105], v236 offset:1888
	v_add_f64 v[0:1], v[0:1], v[98:99]
	s_waitcnt vmcnt(5)
	v_mul_f64 v[98:99], v[94:95], v[220:221]
	s_waitcnt vmcnt(3)
	v_fmac_f64_e32 v[98:99], v[96:97], v[222:223]
	v_add_f64 v[0:1], v[0:1], v[98:99]
	s_waitcnt vmcnt(1) lgkmcnt(0)
	v_mul_f64 v[98:99], v[102:103], v[114:115]
	s_waitcnt vmcnt(0)
	v_fmac_f64_e32 v[98:99], v[104:105], v[218:219]
	v_add_f64 v[98:99], v[0:1], v[98:99]
	buffer_load_dword v1, off, s[0:3], 0 offset:956
	buffer_load_dword v0, off, s[0:3], 0 offset:952
	;; [unrolled: 1-line block ×4, first 2 shown]
	ds_read_b128 v[106:109], v236 offset:1904
	buffer_load_dword v228, off, s[0:3], 0 offset:968
	buffer_load_dword v229, off, s[0:3], 0 offset:972
	;; [unrolled: 1-line block ×4, first 2 shown]
	ds_read_b128 v[110:113], v236 offset:1920
	buffer_load_dword v243, off, s[0:3], 0 offset:988
	buffer_load_dword v242, off, s[0:3], 0 offset:984
	;; [unrolled: 1-line block ×4, first 2 shown]
	v_fma_f64 v[4:5], v[14:15], v[6:7], -v[4:5]
	v_add_f64 v[2:3], v[2:3], v[4:5]
	v_mul_f64 v[4:5], v[20:21], v[152:153]
	v_fma_f64 v[4:5], v[18:19], v[156:157], -v[4:5]
	v_add_f64 v[2:3], v[2:3], v[4:5]
	v_accvgpr_read_b32 v4, a192
	v_accvgpr_read_b32 v5, a193
	;; [unrolled: 1-line block ×3, first 2 shown]
	v_mul_f64 v[4:5], v[24:25], v[4:5]
	v_accvgpr_read_b32 v7, a195
	v_fma_f64 v[4:5], v[22:23], v[6:7], -v[4:5]
	v_add_f64 v[2:3], v[2:3], v[4:5]
	v_mul_f64 v[4:5], v[28:29], v[160:161]
	v_fma_f64 v[4:5], v[26:27], v[162:163], -v[4:5]
	v_add_f64 v[2:3], v[2:3], v[4:5]
	v_accvgpr_read_b32 v4, a196
	v_accvgpr_read_b32 v5, a197
	v_mul_f64 v[4:5], v[32:33], v[4:5]
	v_fma_f64 v[4:5], v[30:31], v[150:151], -v[4:5]
	v_add_f64 v[2:3], v[2:3], v[4:5]
	v_mul_f64 v[4:5], v[36:37], v[164:165]
	v_fma_f64 v[4:5], v[34:35], v[166:167], -v[4:5]
	v_add_f64 v[2:3], v[2:3], v[4:5]
	;; [unrolled: 3-line block ×18, first 2 shown]
	v_mul_f64 v[4:5], v[104:105], v[114:115]
	v_fma_f64 v[4:5], v[102:103], v[218:219], -v[4:5]
	s_waitcnt vmcnt(10) lgkmcnt(1)
	v_mul_f64 v[100:101], v[106:107], v[0:1]
	v_mul_f64 v[0:1], v[108:109], v[0:1]
	s_waitcnt vmcnt(8)
	v_fmac_f64_e32 v[100:101], v[108:109], v[226:227]
	v_add_f64 v[98:99], v[98:99], v[100:101]
	s_waitcnt vmcnt(6) lgkmcnt(0)
	v_mul_f64 v[100:101], v[110:111], v[228:229]
	s_waitcnt vmcnt(4)
	v_fmac_f64_e32 v[100:101], v[112:113], v[230:231]
	v_add_f64 v[176:177], v[98:99], v[100:101]
	ds_read_b128 v[98:101], v236 offset:1936
	buffer_load_dword v248, off, s[0:3], 0 offset:272
	buffer_load_dword v249, off, s[0:3], 0 offset:276
	;; [unrolled: 1-line block ×4, first 2 shown]
	v_add_f64 v[2:3], v[2:3], v[4:5]
	v_fma_f64 v[0:1], v[106:107], v[226:227], -v[0:1]
	v_add_f64 v[0:1], v[2:3], v[0:1]
	v_mul_f64 v[2:3], v[112:113], v[228:229]
	v_fma_f64 v[2:3], v[110:111], v[230:231], -v[2:3]
	v_add_f64 v[0:1], v[0:1], v[2:3]
	s_waitcnt vmcnt(6) lgkmcnt(0)
	v_mul_f64 v[2:3], v[100:101], v[242:243]
	v_mul_f64 v[236:237], v[98:99], v[242:243]
	s_waitcnt vmcnt(4)
	v_fma_f64 v[2:3], v[98:99], v[244:245], -v[2:3]
	v_fmac_f64_e32 v[236:237], v[100:101], v[244:245]
	v_add_f64 v[0:1], v[0:1], v[2:3]
	v_accvgpr_read_b32 v233, a182
	v_add_f64 v[176:177], v[176:177], v[236:237]
	v_cmp_lt_u32_e32 vcc, 15, v233
	s_waitcnt vmcnt(2)
	v_add_f64 v[0:1], v[248:249], -v[0:1]
	s_waitcnt vmcnt(0)
	v_add_f64 v[2:3], v[246:247], -v[176:177]
	buffer_store_dword v1, off, s[0:3], 0 offset:276
	buffer_store_dword v0, off, s[0:3], 0 offset:272
	;; [unrolled: 1-line block ×4, first 2 shown]
	s_and_saveexec_b64 s[4:5], vcc
	s_cbranch_execz .LBB60_361
; %bb.360:
	v_accvgpr_read_b32 v0, a167
	buffer_load_dword v2, v0, s[0:3], 0 offen
	buffer_load_dword v3, v0, s[0:3], 0 offen offset:4
	buffer_load_dword v4, v0, s[0:3], 0 offen offset:8
	buffer_load_dword v5, v0, s[0:3], 0 offen offset:12
	v_mov_b32_e32 v0, 0
	v_accvgpr_read_b32 v1, a183
	buffer_store_dword v0, off, s[0:3], 0 offset:256
	buffer_store_dword v0, off, s[0:3], 0 offset:260
	;; [unrolled: 1-line block ×4, first 2 shown]
	s_waitcnt vmcnt(4)
	ds_write_b128 v1, v[2:5]
.LBB60_361:
	s_or_b64 exec, exec, s[4:5]
	s_waitcnt lgkmcnt(0)
	; wave barrier
	s_waitcnt lgkmcnt(0)
	buffer_load_dword v56, off, s[0:3], 0 offset:272
	buffer_load_dword v57, off, s[0:3], 0 offset:276
	;; [unrolled: 1-line block ×36, first 2 shown]
	v_mov_b32_e32 v232, 0
	buffer_load_dword v87, off, s[0:3], 0 offset:444
	buffer_load_dword v86, off, s[0:3], 0 offset:440
	;; [unrolled: 1-line block ×18, first 2 shown]
	ds_read_b128 v[110:113], v232 offset:1232
	ds_read_b128 v[114:117], v232 offset:1248
	;; [unrolled: 1-line block ×9, first 2 shown]
	v_cmp_lt_u32_e32 vcc, 14, v233
	s_waitcnt vmcnt(50) lgkmcnt(8)
	v_mul_f64 v[0:1], v[110:111], v[58:59]
	v_fmac_f64_e32 v[0:1], v[112:113], v[56:57]
	v_add_f64 v[0:1], v[0:1], 0
	v_mul_f64 v[58:59], v[112:113], v[58:59]
	s_waitcnt vmcnt(46) lgkmcnt(7)
	v_mul_f64 v[2:3], v[114:115], v[54:55]
	v_fmac_f64_e32 v[2:3], v[116:117], v[52:53]
	s_waitcnt vmcnt(44) lgkmcnt(6)
	v_mul_f64 v[4:5], v[196:197], v[50:51]
	v_add_f64 v[0:1], v[0:1], v[2:3]
	s_waitcnt vmcnt(42) lgkmcnt(4)
	v_mul_f64 v[8:9], v[204:205], v[60:61]
	v_mul_f64 v[50:51], v[198:199], v[50:51]
	s_waitcnt vmcnt(40)
	v_fmac_f64_e32 v[8:9], v[206:207], v[62:63]
	v_mul_f64 v[54:55], v[116:117], v[54:55]
	s_waitcnt vmcnt(38)
	v_mul_f64 v[6:7], v[200:201], v[64:65]
	s_waitcnt vmcnt(36) lgkmcnt(2)
	v_mul_f64 v[12:13], v[214:215], v[74:75]
	s_waitcnt vmcnt(34)
	v_fmac_f64_e32 v[12:13], v[216:217], v[72:73]
	s_waitcnt vmcnt(32)
	v_mul_f64 v[10:11], v[208:209], v[76:77]
	s_waitcnt vmcnt(30) lgkmcnt(1)
	v_mul_f64 v[14:15], v[220:221], v[68:69]
	s_waitcnt vmcnt(28)
	v_fmac_f64_e32 v[4:5], v[198:199], v[82:83]
	v_add_f64 v[0:1], v[0:1], v[4:5]
	s_waitcnt vmcnt(26)
	v_fmac_f64_e32 v[6:7], v[202:203], v[80:81]
	v_add_f64 v[0:1], v[0:1], v[6:7]
	;; [unrolled: 3-line block ×3, first 2 shown]
	v_add_f64 v[0:1], v[0:1], v[10:11]
	v_add_f64 v[2:3], v[0:1], v[12:13]
	buffer_load_dword v105, off, s[0:3], 0 offset:500
	buffer_load_dword v104, off, s[0:3], 0 offset:496
	;; [unrolled: 1-line block ×8, first 2 shown]
	s_waitcnt vmcnt(30)
	v_fmac_f64_e32 v[14:15], v[222:223], v[70:71]
	s_waitcnt vmcnt(26) lgkmcnt(0)
	v_mul_f64 v[6:7], v[224:225], v[66:67]
	v_add_f64 v[2:3], v[2:3], v[14:15]
	v_fmac_f64_e32 v[6:7], v[226:227], v[84:85]
	v_add_f64 v[2:3], v[2:3], v[6:7]
	v_fma_f64 v[112:113], v[196:197], v[82:83], -v[50:51]
	v_mul_f64 v[50:51], v[202:203], v[64:65]
	v_fma_f64 v[80:81], v[200:201], v[80:81], -v[50:51]
	v_mul_f64 v[50:51], v[206:207], v[60:61]
	v_fma_f64 v[212:213], v[204:205], v[62:63], -v[50:51]
	s_waitcnt vmcnt(0)
	v_pk_mov_b32 v[8:9], v[4:5], v[4:5] op_sel:[0,1]
	buffer_load_dword v5, off, s[0:3], 0 offset:532
	buffer_load_dword v4, off, s[0:3], 0 offset:528
	v_accvgpr_write_b32 a185, v9
	v_accvgpr_write_b32 a184, v8
	s_waitcnt vmcnt(0)
	v_pk_mov_b32 v[12:13], v[4:5], v[4:5] op_sel:[0,1]
	buffer_load_dword v107, off, s[0:3], 0 offset:524
	buffer_load_dword v106, off, s[0:3], 0 offset:520
	;; [unrolled: 1-line block ×6, first 2 shown]
	v_accvgpr_write_b32 a187, v13
	v_accvgpr_write_b32 a186, v12
	s_waitcnt vmcnt(0)
	v_pk_mov_b32 v[20:21], v[4:5], v[4:5] op_sel:[0,1]
	buffer_load_dword v5, off, s[0:3], 0 offset:564
	buffer_load_dword v4, off, s[0:3], 0 offset:560
	v_accvgpr_write_b32 a189, v21
	v_accvgpr_write_b32 a188, v20
	s_waitcnt vmcnt(0)
	v_pk_mov_b32 v[22:23], v[4:5], v[4:5] op_sel:[0,1]
	buffer_load_dword v139, off, s[0:3], 0 offset:556
	buffer_load_dword v138, off, s[0:3], 0 offset:552
	;; [unrolled: 1-line block ×6, first 2 shown]
	v_accvgpr_write_b32 a191, v23
	v_accvgpr_write_b32 a190, v22
	s_waitcnt vmcnt(0)
	v_pk_mov_b32 v[28:29], v[4:5], v[4:5] op_sel:[0,1]
	buffer_load_dword v5, off, s[0:3], 0 offset:596
	buffer_load_dword v4, off, s[0:3], 0 offset:592
	v_accvgpr_write_b32 a193, v29
	v_accvgpr_write_b32 a192, v28
	s_waitcnt vmcnt(0)
	v_pk_mov_b32 v[30:31], v[4:5], v[4:5] op_sel:[0,1]
	buffer_load_dword v147, off, s[0:3], 0 offset:588
	buffer_load_dword v146, off, s[0:3], 0 offset:584
	;; [unrolled: 1-line block ×36, first 2 shown]
	ds_read_b128 v[228:231], v232 offset:1376
	ds_read_b128 v[234:237], v232 offset:1392
	;; [unrolled: 1-line block ×6, first 2 shown]
	s_waitcnt lgkmcnt(5)
	v_mul_f64 v[6:7], v[228:229], v[90:91]
	v_fmac_f64_e32 v[6:7], v[230:231], v[92:93]
	v_add_f64 v[2:3], v[2:3], v[6:7]
	s_waitcnt lgkmcnt(4)
	v_mul_f64 v[6:7], v[234:235], v[86:87]
	v_fmac_f64_e32 v[6:7], v[236:237], v[88:89]
	v_add_f64 v[2:3], v[2:3], v[6:7]
	;; [unrolled: 4-line block ×3, first 2 shown]
	s_waitcnt lgkmcnt(2)
	v_mul_f64 v[6:7], v[242:243], v[96:97]
	v_fmac_f64_e32 v[6:7], v[244:245], v[98:99]
	ds_read_b128 v[118:121], v232 offset:1472
	ds_read_b128 v[122:125], v232 offset:1488
	v_add_f64 v[2:3], v[2:3], v[6:7]
	s_waitcnt lgkmcnt(3)
	v_mul_f64 v[6:7], v[246:247], v[172:173]
	v_fmac_f64_e32 v[6:7], v[248:249], v[0:1]
	ds_read_b128 v[126:129], v232 offset:1504
	ds_read_b128 v[130:133], v232 offset:1520
	v_add_f64 v[2:3], v[2:3], v[6:7]
	s_waitcnt lgkmcnt(4)
	v_mul_f64 v[6:7], v[250:251], v[94:95]
	v_fmac_f64_e32 v[6:7], v[252:253], v[104:105]
	v_add_f64 v[2:3], v[2:3], v[6:7]
	s_waitcnt lgkmcnt(3)
	v_mul_f64 v[6:7], v[118:119], v[106:107]
	ds_read_b128 v[134:137], v232 offset:1536
	v_fmac_f64_e32 v[6:7], v[120:121], v[108:109]
	s_waitcnt lgkmcnt(3)
	v_mul_f64 v[10:11], v[122:123], v[8:9]
	v_add_f64 v[2:3], v[2:3], v[6:7]
	v_fmac_f64_e32 v[10:11], v[124:125], v[12:13]
	s_waitcnt lgkmcnt(2)
	v_mul_f64 v[14:15], v[126:127], v[138:139]
	v_add_f64 v[2:3], v[2:3], v[10:11]
	v_fmac_f64_e32 v[14:15], v[128:129], v[142:143]
	s_waitcnt lgkmcnt(1)
	v_mul_f64 v[18:19], v[130:131], v[20:21]
	v_add_f64 v[2:3], v[2:3], v[14:15]
	v_fmac_f64_e32 v[18:19], v[132:133], v[22:23]
	v_add_f64 v[2:3], v[2:3], v[18:19]
	ds_read_b128 v[18:21], v232 offset:1552
	v_accvgpr_write_b32 a195, v31
	v_accvgpr_write_b32 a194, v30
	v_fma_f64 v[12:13], v[110:111], v[56:57], -v[58:59]
	s_waitcnt vmcnt(34) lgkmcnt(1)
	v_mul_f64 v[22:23], v[134:135], v[146:147]
	s_waitcnt lgkmcnt(0)
	v_mul_f64 v[26:27], v[18:19], v[28:29]
	s_waitcnt vmcnt(32)
	v_fmac_f64_e32 v[22:23], v[136:137], v[152:153]
	v_add_f64 v[2:3], v[2:3], v[22:23]
	ds_read_b128 v[22:25], v232 offset:1568
	v_fmac_f64_e32 v[26:27], v[20:21], v[30:31]
	v_add_f64 v[2:3], v[2:3], v[26:27]
	ds_read_b128 v[26:29], v232 offset:1584
	v_fma_f64 v[110:111], v[114:115], v[52:53], -v[54:55]
	s_waitcnt vmcnt(26) lgkmcnt(1)
	v_mul_f64 v[30:31], v[22:23], v[156:157]
	s_waitcnt vmcnt(24)
	v_fmac_f64_e32 v[30:31], v[24:25], v[158:159]
	v_add_f64 v[2:3], v[2:3], v[30:31]
	ds_read_b128 v[30:33], v232 offset:1600
	s_waitcnt lgkmcnt(1)
	v_mul_f64 v[34:35], v[26:27], v[4:5]
	v_fmac_f64_e32 v[34:35], v[28:29], v[254:255]
	v_add_f64 v[2:3], v[2:3], v[34:35]
	ds_read_b128 v[34:37], v232 offset:1616
	s_waitcnt vmcnt(18) lgkmcnt(1)
	v_mul_f64 v[38:39], v[30:31], v[160:161]
	s_waitcnt vmcnt(16)
	v_fmac_f64_e32 v[38:39], v[32:33], v[162:163]
	v_add_f64 v[2:3], v[2:3], v[38:39]
	ds_read_b128 v[38:41], v232 offset:1632
	s_waitcnt lgkmcnt(1)
	v_mul_f64 v[42:43], v[34:35], v[16:17]
	v_fmac_f64_e32 v[42:43], v[36:37], v[150:151]
	v_add_f64 v[2:3], v[2:3], v[42:43]
	ds_read_b128 v[42:45], v232 offset:1648
	s_waitcnt vmcnt(10) lgkmcnt(1)
	v_mul_f64 v[46:47], v[38:39], v[164:165]
	s_waitcnt vmcnt(8)
	v_fmac_f64_e32 v[46:47], v[40:41], v[166:167]
	v_add_f64 v[174:175], v[2:3], v[46:47]
	ds_read_b128 v[46:49], v232 offset:1664
	buffer_load_dword v15, off, s[0:3], 0 offset:748
	buffer_load_dword v14, off, s[0:3], 0 offset:744
	;; [unrolled: 1-line block ×4, first 2 shown]
	s_waitcnt lgkmcnt(1)
	v_mul_f64 v[178:179], v[42:43], v[140:141]
	v_fmac_f64_e32 v[178:179], v[44:45], v[144:145]
	v_add_f64 v[2:3], v[174:175], v[178:179]
	buffer_load_dword v179, off, s[0:3], 0 offset:764
	buffer_load_dword v178, off, s[0:3], 0 offset:760
	;; [unrolled: 1-line block ×32, first 2 shown]
	ds_read_b128 v[50:53], v232 offset:1680
	v_mul_f64 v[54:55], v[210:211], v[76:77]
	v_fma_f64 v[114:115], v[208:209], v[78:79], -v[54:55]
	v_mul_f64 v[54:55], v[216:217], v[74:75]
	v_fma_f64 v[10:11], v[214:215], v[72:73], -v[54:55]
	s_waitcnt vmcnt(38) lgkmcnt(1)
	v_mul_f64 v[54:55], v[46:47], v[168:169]
	s_waitcnt vmcnt(36)
	v_fmac_f64_e32 v[54:55], v[48:49], v[170:171]
	v_add_f64 v[2:3], v[2:3], v[54:55]
	s_waitcnt lgkmcnt(0)
	v_mul_f64 v[54:55], v[50:51], v[148:149]
	v_mul_f64 v[56:57], v[222:223], v[68:69]
	v_fmac_f64_e32 v[54:55], v[52:53], v[154:155]
	buffer_load_dword v211, off, s[0:3], 0 offset:892
	buffer_load_dword v210, off, s[0:3], 0 offset:888
	;; [unrolled: 1-line block ×12, first 2 shown]
	v_fma_f64 v[8:9], v[220:221], v[70:71], -v[56:57]
	buffer_load_dword v221, off, s[0:3], 0 offset:940
	buffer_load_dword v220, off, s[0:3], 0 offset:936
	;; [unrolled: 1-line block ×4, first 2 shown]
	v_add_f64 v[2:3], v[2:3], v[54:55]
	ds_read_b128 v[54:57], v232 offset:1696
	v_mul_f64 v[58:59], v[226:227], v[66:67]
	v_fma_f64 v[224:225], v[224:225], v[84:85], -v[58:59]
	ds_read_b128 v[58:61], v232 offset:1712
	v_mul_f64 v[70:71], v[236:237], v[86:87]
	v_accvgpr_write_b32 a197, v5
	v_accvgpr_write_b32 a196, v4
	v_mul_f64 v[86:87], v[248:249], v[172:173]
	v_fma_f64 v[246:247], v[246:247], v[0:1], -v[86:87]
	v_add_f64 v[12:13], v[12:13], 0
	v_add_f64 v[12:13], v[12:13], v[110:111]
	;; [unrolled: 1-line block ×9, first 2 shown]
	s_waitcnt vmcnt(50) lgkmcnt(1)
	v_mul_f64 v[62:63], v[54:55], v[14:15]
	s_waitcnt vmcnt(48)
	v_fmac_f64_e32 v[62:63], v[56:57], v[176:177]
	v_add_f64 v[2:3], v[2:3], v[62:63]
	v_mul_f64 v[62:63], v[230:231], v[90:91]
	v_fma_f64 v[226:227], v[228:229], v[92:93], -v[62:63]
	ds_read_b128 v[62:65], v232 offset:1728
	s_waitcnt vmcnt(46) lgkmcnt(1)
	v_mul_f64 v[66:67], v[58:59], v[178:179]
	s_waitcnt vmcnt(44)
	v_fmac_f64_e32 v[66:67], v[60:61], v[180:181]
	v_add_f64 v[2:3], v[2:3], v[66:67]
	ds_read_b128 v[66:69], v232 offset:1744
	s_waitcnt vmcnt(41) lgkmcnt(1)
	v_mul_f64 v[74:75], v[62:63], v[184:185]
	v_fma_f64 v[228:229], v[234:235], v[88:89], -v[70:71]
	s_waitcnt vmcnt(39)
	v_fmac_f64_e32 v[74:75], v[64:65], v[188:189]
	ds_read_b128 v[70:73], v232 offset:1760
	v_add_f64 v[2:3], v[2:3], v[74:75]
	v_mul_f64 v[74:75], v[240:241], v[100:101]
	v_fma_f64 v[6:7], v[238:239], v[102:103], -v[74:75]
	ds_read_b128 v[74:77], v232 offset:1776
	s_waitcnt vmcnt(38) lgkmcnt(2)
	v_mul_f64 v[82:83], v[66:67], v[174:175]
	s_waitcnt vmcnt(36)
	v_fmac_f64_e32 v[82:83], v[68:69], v[186:187]
	v_add_f64 v[2:3], v[2:3], v[82:83]
	s_waitcnt vmcnt(33) lgkmcnt(1)
	v_mul_f64 v[82:83], v[70:71], v[192:193]
	s_waitcnt vmcnt(31)
	v_fmac_f64_e32 v[82:83], v[72:73], v[194:195]
	v_add_f64 v[2:3], v[2:3], v[82:83]
	s_waitcnt vmcnt(29) lgkmcnt(0)
	v_mul_f64 v[82:83], v[74:75], v[182:183]
	s_waitcnt vmcnt(28)
	v_fmac_f64_e32 v[82:83], v[76:77], v[190:191]
	ds_read_b128 v[234:237], v232 offset:1792
	v_add_f64 v[2:3], v[2:3], v[82:83]
	v_mul_f64 v[82:83], v[244:245], v[96:97]
	v_fma_f64 v[4:5], v[242:243], v[98:99], -v[82:83]
	ds_read_b128 v[82:85], v232 offset:1808
	ds_read_b128 v[86:89], v232 offset:1824
	s_waitcnt vmcnt(26) lgkmcnt(2)
	v_mul_f64 v[90:91], v[234:235], v[196:197]
	s_waitcnt vmcnt(24)
	v_fmac_f64_e32 v[90:91], v[236:237], v[198:199]
	v_add_f64 v[0:1], v[2:3], v[90:91]
	ds_read_b128 v[90:93], v232 offset:1840
	s_waitcnt vmcnt(22) lgkmcnt(2)
	v_mul_f64 v[2:3], v[82:83], v[200:201]
	s_waitcnt vmcnt(20)
	v_fmac_f64_e32 v[2:3], v[84:85], v[204:205]
	v_add_f64 v[0:1], v[0:1], v[2:3]
	s_waitcnt vmcnt(18) lgkmcnt(1)
	v_mul_f64 v[2:3], v[86:87], v[202:203]
	s_waitcnt vmcnt(16)
	v_fmac_f64_e32 v[2:3], v[88:89], v[206:207]
	v_add_f64 v[0:1], v[0:1], v[2:3]
	v_mul_f64 v[2:3], v[252:253], v[94:95]
	v_mul_f64 v[98:99], v[120:121], v[106:107]
	v_fma_f64 v[252:253], v[250:251], v[104:105], -v[2:3]
	ds_read_b128 v[94:97], v232 offset:1856
	v_fma_f64 v[250:251], v[118:119], v[108:109], -v[98:99]
	ds_read_b128 v[98:101], v232 offset:1872
	ds_read_b128 v[102:105], v232 offset:1888
	buffer_load_dword v120, off, s[0:3], 0 offset:952
	buffer_load_dword v121, off, s[0:3], 0 offset:956
	;; [unrolled: 1-line block ×4, first 2 shown]
	s_waitcnt vmcnt(18) lgkmcnt(3)
	v_mul_f64 v[2:3], v[90:91], v[210:211]
	s_waitcnt vmcnt(16)
	v_fmac_f64_e32 v[2:3], v[92:93], v[78:79]
	v_add_f64 v[0:1], v[0:1], v[2:3]
	s_waitcnt vmcnt(13) lgkmcnt(2)
	v_mul_f64 v[2:3], v[94:95], v[216:217]
	s_waitcnt vmcnt(11)
	v_fmac_f64_e32 v[2:3], v[96:97], v[218:219]
	ds_read_b128 v[106:109], v232 offset:1904
	buffer_load_dword v239, off, s[0:3], 0 offset:972
	buffer_load_dword v238, off, s[0:3], 0 offset:968
	;; [unrolled: 1-line block ×4, first 2 shown]
	v_add_f64 v[0:1], v[0:1], v[2:3]
	s_waitcnt vmcnt(13) lgkmcnt(2)
	v_mul_f64 v[2:3], v[98:99], v[208:209]
	s_waitcnt vmcnt(12)
	v_fmac_f64_e32 v[2:3], v[100:101], v[214:215]
	v_add_f64 v[0:1], v[0:1], v[2:3]
	s_waitcnt vmcnt(10) lgkmcnt(1)
	v_mul_f64 v[2:3], v[102:103], v[220:221]
	s_waitcnt vmcnt(8)
	v_fmac_f64_e32 v[2:3], v[104:105], v[222:223]
	v_add_f64 v[0:1], v[0:1], v[2:3]
	v_add_f64 v[8:9], v[8:9], v[226:227]
	;; [unrolled: 1-line block ×6, first 2 shown]
	v_accvgpr_read_b32 v6, a184
	v_accvgpr_read_b32 v7, a185
	;; [unrolled: 1-line block ×3, first 2 shown]
	v_add_f64 v[252:253], v[4:5], v[252:253]
	v_mul_f64 v[6:7], v[124:125], v[6:7]
	v_accvgpr_read_b32 v9, a187
	v_add_f64 v[4:5], v[252:253], v[250:251]
	v_fma_f64 v[6:7], v[122:123], v[8:9], -v[6:7]
	v_add_f64 v[4:5], v[4:5], v[6:7]
	v_mul_f64 v[6:7], v[128:129], v[138:139]
	v_fma_f64 v[6:7], v[126:127], v[142:143], -v[6:7]
	v_add_f64 v[4:5], v[4:5], v[6:7]
	v_accvgpr_read_b32 v6, a188
	v_accvgpr_read_b32 v7, a189
	;; [unrolled: 1-line block ×3, first 2 shown]
	v_mul_f64 v[6:7], v[132:133], v[6:7]
	v_accvgpr_read_b32 v9, a191
	v_fma_f64 v[6:7], v[130:131], v[8:9], -v[6:7]
	v_add_f64 v[4:5], v[4:5], v[6:7]
	v_mul_f64 v[6:7], v[136:137], v[146:147]
	v_fma_f64 v[6:7], v[134:135], v[152:153], -v[6:7]
	v_add_f64 v[4:5], v[4:5], v[6:7]
	v_accvgpr_read_b32 v6, a192
	v_accvgpr_read_b32 v7, a193
	;; [unrolled: 1-line block ×3, first 2 shown]
	v_mul_f64 v[6:7], v[20:21], v[6:7]
	v_accvgpr_read_b32 v9, a195
	v_fma_f64 v[6:7], v[18:19], v[8:9], -v[6:7]
	v_add_f64 v[4:5], v[4:5], v[6:7]
	v_mul_f64 v[6:7], v[24:25], v[156:157]
	v_fma_f64 v[6:7], v[22:23], v[158:159], -v[6:7]
	v_add_f64 v[4:5], v[4:5], v[6:7]
	v_accvgpr_read_b32 v6, a196
	v_accvgpr_read_b32 v7, a197
	v_mul_f64 v[6:7], v[28:29], v[6:7]
	v_fma_f64 v[6:7], v[26:27], v[254:255], -v[6:7]
	v_add_f64 v[4:5], v[4:5], v[6:7]
	v_mul_f64 v[6:7], v[32:33], v[160:161]
	v_fma_f64 v[6:7], v[30:31], v[162:163], -v[6:7]
	v_add_f64 v[4:5], v[4:5], v[6:7]
	;; [unrolled: 3-line block ×8, first 2 shown]
	s_waitcnt vmcnt(6) lgkmcnt(0)
	v_mul_f64 v[2:3], v[106:107], v[120:121]
	v_mul_f64 v[6:7], v[60:61], v[178:179]
	s_waitcnt vmcnt(4)
	v_fmac_f64_e32 v[2:3], v[108:109], v[172:173]
	v_add_f64 v[116:117], v[0:1], v[2:3]
	ds_read_b128 v[0:3], v232 offset:1920
	buffer_load_dword v242, off, s[0:3], 0 offset:984
	buffer_load_dword v243, off, s[0:3], 0 offset:988
	buffer_load_dword v244, off, s[0:3], 0 offset:976
	buffer_load_dword v245, off, s[0:3], 0 offset:980
	v_fma_f64 v[6:7], v[58:59], v[180:181], -v[6:7]
	v_add_f64 v[4:5], v[4:5], v[6:7]
	v_mul_f64 v[6:7], v[64:65], v[184:185]
	s_waitcnt vmcnt(6) lgkmcnt(0)
	v_mul_f64 v[118:119], v[0:1], v[238:239]
	s_waitcnt vmcnt(4)
	v_fmac_f64_e32 v[118:119], v[2:3], v[230:231]
	v_add_f64 v[240:241], v[116:117], v[118:119]
	ds_read_b128 v[116:119], v232 offset:1936
	v_fma_f64 v[6:7], v[62:63], v[188:189], -v[6:7]
	v_add_f64 v[4:5], v[4:5], v[6:7]
	v_mul_f64 v[6:7], v[68:69], v[174:175]
	v_fma_f64 v[6:7], v[66:67], v[186:187], -v[6:7]
	v_add_f64 v[4:5], v[4:5], v[6:7]
	v_mul_f64 v[6:7], v[72:73], v[192:193]
	;; [unrolled: 3-line block ×11, first 2 shown]
	v_fma_f64 v[6:7], v[106:107], v[172:173], -v[6:7]
	v_mul_f64 v[2:3], v[2:3], v[238:239]
	v_add_f64 v[4:5], v[4:5], v[6:7]
	v_fma_f64 v[0:1], v[0:1], v[230:231], -v[2:3]
	v_add_f64 v[0:1], v[4:5], v[0:1]
	s_waitcnt vmcnt(2) lgkmcnt(0)
	v_mul_f64 v[248:249], v[116:117], v[242:243]
	v_mul_f64 v[2:3], v[118:119], v[242:243]
	s_waitcnt vmcnt(0)
	v_fmac_f64_e32 v[248:249], v[118:119], v[244:245]
	v_add_f64 v[240:241], v[240:241], v[248:249]
	buffer_load_dword v248, off, s[0:3], 0 offset:256
	buffer_load_dword v249, off, s[0:3], 0 offset:260
	;; [unrolled: 1-line block ×4, first 2 shown]
	v_fma_f64 v[2:3], v[116:117], v[244:245], -v[2:3]
	v_add_f64 v[0:1], v[0:1], v[2:3]
	s_waitcnt vmcnt(2)
	v_add_f64 v[0:1], v[248:249], -v[0:1]
	s_waitcnt vmcnt(0)
	v_add_f64 v[2:3], v[246:247], -v[240:241]
	buffer_store_dword v1, off, s[0:3], 0 offset:260
	buffer_store_dword v0, off, s[0:3], 0 offset:256
	buffer_store_dword v3, off, s[0:3], 0 offset:268
	buffer_store_dword v2, off, s[0:3], 0 offset:264
	s_and_saveexec_b64 s[4:5], vcc
	s_cbranch_execz .LBB60_363
; %bb.362:
	v_accvgpr_read_b32 v0, a168
	buffer_load_dword v2, v0, s[0:3], 0 offen
	buffer_load_dword v3, v0, s[0:3], 0 offen offset:4
	buffer_load_dword v4, v0, s[0:3], 0 offen offset:8
	;; [unrolled: 1-line block ×3, first 2 shown]
	v_accvgpr_read_b32 v0, a183
	buffer_store_dword v232, off, s[0:3], 0 offset:240
	buffer_store_dword v232, off, s[0:3], 0 offset:244
	;; [unrolled: 1-line block ×4, first 2 shown]
	s_waitcnt vmcnt(4)
	ds_write_b128 v0, v[2:5]
.LBB60_363:
	s_or_b64 exec, exec, s[4:5]
	s_waitcnt lgkmcnt(0)
	; wave barrier
	s_waitcnt lgkmcnt(0)
	buffer_load_dword v60, off, s[0:3], 0 offset:256
	buffer_load_dword v61, off, s[0:3], 0 offset:260
	;; [unrolled: 1-line block ×42, first 2 shown]
	ds_read_b128 v[114:117], v232 offset:1216
	ds_read_b128 v[182:185], v232 offset:1232
	ds_read_b128 v[186:189], v232 offset:1248
	ds_read_b128 v[194:197], v232 offset:1264
	ds_read_b128 v[200:203], v232 offset:1280
	ds_read_b128 v[204:207], v232 offset:1296
	ds_read_b128 v[208:211], v232 offset:1312
	ds_read_b128 v[212:215], v232 offset:1328
	ds_read_b128 v[220:223], v232 offset:1344
	ds_read_b128 v[54:57], v232 offset:1360
	buffer_load_dword v1, off, s[0:3], 0 offset:404
	buffer_load_dword v0, off, s[0:3], 0 offset:400
	ds_read_b128 v[62:65], v232 offset:1376
	buffer_load_dword v101, off, s[0:3], 0 offset:460
	buffer_load_dword v100, off, s[0:3], 0 offset:456
	;; [unrolled: 1-line block ×6, first 2 shown]
	s_waitcnt vmcnt(46) lgkmcnt(10)
	v_mul_f64 v[2:3], v[114:115], v[66:67]
	v_fmac_f64_e32 v[2:3], v[116:117], v[60:61]
	v_add_f64 v[2:3], v[2:3], 0
	s_waitcnt vmcnt(42) lgkmcnt(9)
	v_mul_f64 v[4:5], v[182:183], v[58:59]
	v_fmac_f64_e32 v[4:5], v[184:185], v[50:51]
	v_add_f64 v[2:3], v[2:3], v[4:5]
	buffer_load_dword v151, off, s[0:3], 0 offset:436
	buffer_load_dword v150, off, s[0:3], 0 offset:432
	;; [unrolled: 1-line block ×20, first 2 shown]
	s_waitcnt vmcnt(60) lgkmcnt(8)
	v_mul_f64 v[6:7], v[186:187], v[52:53]
	s_waitcnt vmcnt(58) lgkmcnt(6)
	v_mul_f64 v[10:11], v[200:201], v[68:69]
	s_waitcnt vmcnt(56)
	v_fmac_f64_e32 v[10:11], v[202:203], v[70:71]
	v_mul_f64 v[58:59], v[184:185], v[58:59]
	s_waitcnt vmcnt(54)
	v_mul_f64 v[8:9], v[194:195], v[72:73]
	v_fma_f64 v[58:59], v[182:183], v[50:51], -v[58:59]
	s_waitcnt vmcnt(52) lgkmcnt(4)
	v_mul_f64 v[14:15], v[208:209], v[74:75]
	v_mul_f64 v[50:51], v[188:189], v[52:53]
	s_waitcnt vmcnt(50)
	v_fmac_f64_e32 v[14:15], v[210:211], v[76:77]
	s_waitcnt vmcnt(48)
	v_mul_f64 v[12:13], v[204:205], v[216:217]
	s_waitcnt vmcnt(46) lgkmcnt(2)
	v_mul_f64 v[18:19], v[220:221], v[82:83]
	s_waitcnt vmcnt(43)
	v_mul_f64 v[16:17], v[212:213], v[86:87]
	s_waitcnt vmcnt(41) lgkmcnt(1)
	v_mul_f64 v[20:21], v[54:55], v[80:81]
	s_waitcnt vmcnt(39)
	v_fmac_f64_e32 v[6:7], v[188:189], v[96:97]
	v_add_f64 v[2:3], v[2:3], v[6:7]
	s_waitcnt vmcnt(37)
	v_fmac_f64_e32 v[8:9], v[196:197], v[92:93]
	v_add_f64 v[2:3], v[2:3], v[8:9]
	;; [unrolled: 3-line block ×3, first 2 shown]
	v_add_f64 v[2:3], v[2:3], v[12:13]
	s_waitcnt vmcnt(33)
	v_fmac_f64_e32 v[16:17], v[214:215], v[88:89]
	v_add_f64 v[2:3], v[2:3], v[14:15]
	s_waitcnt vmcnt(32)
	v_fmac_f64_e32 v[18:19], v[222:223], v[84:85]
	v_add_f64 v[2:3], v[2:3], v[16:17]
	v_add_f64 v[2:3], v[2:3], v[18:19]
	s_waitcnt vmcnt(26)
	v_fmac_f64_e32 v[20:21], v[56:57], v[0:1]
	v_add_f64 v[2:3], v[2:3], v[20:21]
	v_mul_f64 v[56:57], v[56:57], v[80:81]
	s_waitcnt vmcnt(0)
	v_pk_mov_b32 v[18:19], v[4:5], v[4:5] op_sel:[0,1]
	buffer_load_dword v5, off, s[0:3], 0 offset:548
	buffer_load_dword v4, off, s[0:3], 0 offset:544
	v_accvgpr_write_b32 a187, v19
	v_accvgpr_write_b32 a186, v18
	s_waitcnt vmcnt(0)
	v_pk_mov_b32 v[22:23], v[4:5], v[4:5] op_sel:[0,1]
	buffer_load_dword v5, off, s[0:3], 0 offset:540
	buffer_load_dword v4, off, s[0:3], 0 offset:536
	v_accvgpr_write_b32 a189, v23
	v_accvgpr_write_b32 a188, v22
	s_waitcnt vmcnt(0)
	v_pk_mov_b32 v[14:15], v[4:5], v[4:5] op_sel:[0,1]
	buffer_load_dword v139, off, s[0:3], 0 offset:532
	buffer_load_dword v138, off, s[0:3], 0 offset:528
	buffer_load_dword v5, off, s[0:3], 0 offset:588
	buffer_load_dword v4, off, s[0:3], 0 offset:584
	v_accvgpr_write_b32 a185, v15
	v_accvgpr_write_b32 a184, v14
	s_waitcnt vmcnt(0)
	v_pk_mov_b32 v[26:27], v[4:5], v[4:5] op_sel:[0,1]
	buffer_load_dword v5, off, s[0:3], 0 offset:580
	buffer_load_dword v4, off, s[0:3], 0 offset:576
	v_accvgpr_write_b32 a191, v27
	v_accvgpr_write_b32 a190, v26
	s_waitcnt vmcnt(0)
	v_pk_mov_b32 v[28:29], v[4:5], v[4:5] op_sel:[0,1]
	buffer_load_dword v143, off, s[0:3], 0 offset:572
	buffer_load_dword v142, off, s[0:3], 0 offset:568
	buffer_load_dword v147, off, s[0:3], 0 offset:564
	buffer_load_dword v146, off, s[0:3], 0 offset:560
	buffer_load_dword v5, off, s[0:3], 0 offset:620
	buffer_load_dword v4, off, s[0:3], 0 offset:616
	v_accvgpr_write_b32 a193, v29
	v_accvgpr_write_b32 a192, v28
	s_waitcnt vmcnt(0)
	v_pk_mov_b32 v[34:35], v[4:5], v[4:5] op_sel:[0,1]
	buffer_load_dword v5, off, s[0:3], 0 offset:612
	buffer_load_dword v4, off, s[0:3], 0 offset:608
	v_accvgpr_write_b32 a195, v35
	v_accvgpr_write_b32 a194, v34
	s_waitcnt vmcnt(0)
	v_pk_mov_b32 v[36:37], v[4:5], v[4:5] op_sel:[0,1]
	buffer_load_dword v153, off, s[0:3], 0 offset:604
	buffer_load_dword v152, off, s[0:3], 0 offset:600
	;; [unrolled: 16-line block ×3, first 2 shown]
	buffer_load_dword v163, off, s[0:3], 0 offset:628
	buffer_load_dword v162, off, s[0:3], 0 offset:624
	;; [unrolled: 1-line block ×26, first 2 shown]
	ds_read_b128 v[224:227], v232 offset:1392
	ds_read_b128 v[228:231], v232 offset:1408
	;; [unrolled: 1-line block ×10, first 2 shown]
	s_waitcnt lgkmcnt(4)
	v_mul_f64 v[8:9], v[246:247], v[106:107]
	v_fmac_f64_e32 v[8:9], v[248:249], v[108:109]
	s_waitcnt lgkmcnt(3)
	v_mul_f64 v[12:13], v[134:135], v[14:15]
	v_fmac_f64_e32 v[12:13], v[136:137], v[138:139]
	;; [unrolled: 3-line block ×4, first 2 shown]
	ds_read_b128 v[118:121], v232 offset:1552
	s_waitcnt lgkmcnt(1)
	v_mul_f64 v[24:25], v[122:123], v[26:27]
	v_fmac_f64_e32 v[24:25], v[124:125], v[28:29]
	v_accvgpr_write_b32 a201, v45
	v_accvgpr_write_b32 a200, v44
	s_waitcnt vmcnt(22)
	v_pk_mov_b32 v[176:177], v[4:5], v[4:5] op_sel:[0,1]
	v_mul_f64 v[4:5], v[62:63], v[94:95]
	v_fmac_f64_e32 v[4:5], v[64:65], v[98:99]
	v_add_f64 v[2:3], v[2:3], v[4:5]
	v_mul_f64 v[4:5], v[224:225], v[104:105]
	v_fmac_f64_e32 v[4:5], v[226:227], v[150:151]
	v_add_f64 v[2:3], v[2:3], v[4:5]
	;; [unrolled: 3-line block ×6, first 2 shown]
	v_add_f64 v[10:11], v[6:7], v[8:9]
	v_add_f64 v[14:15], v[10:11], v[12:13]
	;; [unrolled: 1-line block ×5, first 2 shown]
	ds_read_b128 v[22:25], v232 offset:1568
	s_waitcnt lgkmcnt(1)
	v_mul_f64 v[28:29], v[118:119], v[152:153]
	v_fmac_f64_e32 v[28:29], v[120:121], v[156:157]
	v_add_f64 v[30:31], v[26:27], v[28:29]
	ds_read_b128 v[26:29], v232 offset:1584
	s_waitcnt lgkmcnt(1)
	v_mul_f64 v[32:33], v[22:23], v[34:35]
	v_fmac_f64_e32 v[32:33], v[24:25], v[36:37]
	v_add_f64 v[34:35], v[30:31], v[32:33]
	;; [unrolled: 5-line block ×4, first 2 shown]
	ds_read_b128 v[38:41], v232 offset:1632
	ds_read_b128 v[42:45], v232 offset:1648
	s_waitcnt vmcnt(18) lgkmcnt(2)
	v_mul_f64 v[48:49], v[34:35], v[164:165]
	s_waitcnt vmcnt(16)
	v_fmac_f64_e32 v[48:49], v[36:37], v[166:167]
	v_add_f64 v[46:47], v[46:47], v[48:49]
	s_waitcnt lgkmcnt(1)
	v_mul_f64 v[48:49], v[38:39], v[176:177]
	v_fmac_f64_e32 v[48:49], v[40:41], v[140:141]
	v_add_f64 v[46:47], v[46:47], v[48:49]
	s_waitcnt vmcnt(10) lgkmcnt(0)
	v_mul_f64 v[48:49], v[42:43], v[168:169]
	v_accvgpr_write_b32 a203, v177
	s_waitcnt vmcnt(8)
	v_fmac_f64_e32 v[48:49], v[44:45], v[170:171]
	v_accvgpr_write_b32 a202, v176
	v_add_f64 v[2:3], v[46:47], v[48:49]
	ds_read_b128 v[46:49], v232 offset:1664
	buffer_load_dword v177, off, s[0:3], 0 offset:764
	buffer_load_dword v176, off, s[0:3], 0 offset:760
	;; [unrolled: 1-line block ×8, first 2 shown]
	v_mul_f64 v[4:5], v[116:117], v[66:67]
	v_fma_f64 v[16:17], v[114:115], v[60:61], -v[4:5]
	v_fma_f64 v[60:61], v[186:187], v[96:97], -v[50:51]
	buffer_load_dword v187, off, s[0:3], 0 offset:796
	buffer_load_dword v186, off, s[0:3], 0 offset:792
	;; [unrolled: 1-line block ×8, first 2 shown]
	v_mul_f64 v[50:51], v[196:197], v[72:73]
	v_fma_f64 v[92:93], v[194:195], v[92:93], -v[50:51]
	buffer_load_dword v184, off, s[0:3], 0 offset:840
	buffer_load_dword v197, off, s[0:3], 0 offset:828
	;; [unrolled: 1-line block ×8, first 2 shown]
	v_mul_f64 v[50:51], v[202:203], v[68:69]
	v_fma_f64 v[200:201], v[200:201], v[70:71], -v[50:51]
	v_mul_f64 v[50:51], v[206:207], v[216:217]
	v_fma_f64 v[10:11], v[204:205], v[90:91], -v[50:51]
	buffer_load_dword v91, off, s[0:3], 0 offset:860
	buffer_load_dword v90, off, s[0:3], 0 offset:856
	buffer_load_dword v203, off, s[0:3], 0 offset:852
	buffer_load_dword v202, off, s[0:3], 0 offset:848
	v_mul_f64 v[8:9], v[210:211], v[74:75]
	v_fma_f64 v[8:9], v[208:209], v[76:77], -v[8:9]
	buffer_load_dword v206, off, s[0:3], 0 offset:872
	buffer_load_dword v208, off, s[0:3], 0 offset:864
	buffer_load_dword v207, off, s[0:3], 0 offset:876
	buffer_load_dword v209, off, s[0:3], 0 offset:868
	;; [unrolled: 6-line block ×3, first 2 shown]
	buffer_load_dword v216, off, s[0:3], 0 offset:880
	buffer_load_dword v204, off, s[0:3], 0 offset:904
	;; [unrolled: 1-line block ×8, first 2 shown]
	v_mul_f64 v[12:13], v[222:223], v[82:83]
	ds_read_b128 v[50:53], v232 offset:1680
	v_fma_f64 v[12:13], v[220:221], v[84:85], -v[12:13]
	buffer_load_dword v220, off, s[0:3], 0 offset:936
	buffer_load_dword v222, off, s[0:3], 0 offset:928
	;; [unrolled: 1-line block ×4, first 2 shown]
	v_fma_f64 v[4:5], v[54:55], v[0:1], -v[56:57]
	ds_read_b128 v[54:57], v232 offset:1696
	ds_read_b128 v[18:21], v232 offset:1712
	s_waitcnt lgkmcnt(3)
	v_mul_f64 v[66:67], v[46:47], v[144:145]
	v_mul_f64 v[64:65], v[64:65], v[94:95]
	v_fmac_f64_e32 v[66:67], v[48:49], v[148:149]
	s_waitcnt vmcnt(50) lgkmcnt(2)
	v_mul_f64 v[14:15], v[50:51], v[172:173]
	v_fma_f64 v[0:1], v[62:63], v[98:99], -v[64:65]
	ds_read_b128 v[62:65], v232 offset:1728
	v_add_f64 v[2:3], v[2:3], v[66:67]
	ds_read_b128 v[66:69], v232 offset:1744
	s_waitcnt vmcnt(48)
	v_fmac_f64_e32 v[14:15], v[52:53], v[174:175]
	v_add_f64 v[2:3], v[2:3], v[14:15]
	s_waitcnt lgkmcnt(3)
	v_mul_f64 v[14:15], v[54:55], v[154:155]
	v_fmac_f64_e32 v[14:15], v[56:57], v[158:159]
	v_add_f64 v[2:3], v[2:3], v[14:15]
	v_mul_f64 v[74:75], v[230:231], v[100:101]
	v_mul_f64 v[82:83], v[236:237], v[250:251]
	v_fma_f64 v[250:251], v[234:235], v[252:253], -v[82:83]
	ds_read_b128 v[234:237], v232 offset:1792
	ds_read_b128 v[82:85], v232 offset:1808
	;; [unrolled: 1-line block ×3, first 2 shown]
	v_mul_f64 v[98:99], v[248:249], v[106:107]
	v_fma_f64 v[252:253], v[246:247], v[108:109], -v[98:99]
	v_add_f64 v[16:17], v[16:17], 0
	v_add_f64 v[16:17], v[16:17], v[58:59]
	;; [unrolled: 1-line block ×11, first 2 shown]
	v_accvgpr_read_b32 v4, a188
	v_accvgpr_read_b32 v5, a189
	ds_read_b128 v[98:101], v232 offset:1872
	s_waitcnt vmcnt(46) lgkmcnt(6)
	v_mul_f64 v[14:15], v[18:19], v[176:177]
	s_waitcnt vmcnt(44)
	v_fmac_f64_e32 v[14:15], v[20:21], v[180:181]
	s_waitcnt vmcnt(41) lgkmcnt(5)
	v_mul_f64 v[70:71], v[62:63], v[178:179]
	v_add_f64 v[2:3], v[2:3], v[14:15]
	s_waitcnt vmcnt(40)
	v_fmac_f64_e32 v[70:71], v[64:65], v[182:183]
	v_add_f64 v[2:3], v[2:3], v[70:71]
	ds_read_b128 v[70:73], v232 offset:1760
	v_mul_f64 v[14:15], v[226:227], v[104:105]
	v_fma_f64 v[14:15], v[224:225], v[150:151], -v[14:15]
	v_fma_f64 v[150:151], v[228:229], v[102:103], -v[74:75]
	ds_read_b128 v[74:77], v232 offset:1776
	s_waitcnt vmcnt(38) lgkmcnt(6)
	v_mul_f64 v[80:81], v[66:67], v[186:187]
	s_waitcnt vmcnt(36)
	v_fmac_f64_e32 v[80:81], v[68:69], v[190:191]
	v_add_f64 v[2:3], v[2:3], v[80:81]
	s_waitcnt vmcnt(34) lgkmcnt(1)
	v_mul_f64 v[80:81], v[70:71], v[188:189]
	s_waitcnt vmcnt(32)
	v_fmac_f64_e32 v[80:81], v[72:73], v[192:193]
	v_add_f64 v[2:3], v[2:3], v[80:81]
	;; [unrolled: 5-line block ×3, first 2 shown]
	s_waitcnt vmcnt(25)
	v_mul_f64 v[80:81], v[234:235], v[184:185]
	s_waitcnt vmcnt(24)
	v_fmac_f64_e32 v[80:81], v[236:237], v[194:195]
	v_add_f64 v[2:3], v[2:3], v[80:81]
	v_mul_f64 v[80:81], v[240:241], v[110:111]
	v_fma_f64 v[238:239], v[238:239], v[112:113], -v[80:81]
	s_waitcnt vmcnt(22)
	v_mul_f64 v[80:81], v[82:83], v[90:91]
	s_waitcnt vmcnt(20)
	v_fmac_f64_e32 v[80:81], v[84:85], v[202:203]
	v_add_f64 v[94:95], v[2:3], v[80:81]
	v_mul_f64 v[2:3], v[244:245], v[254:255]
	v_fma_f64 v[2:3], v[242:243], v[78:79], -v[2:3]
	ds_read_b128 v[78:81], v232 offset:1840
	s_waitcnt vmcnt(17)
	v_mul_f64 v[96:97], v[86:87], v[206:207]
	s_waitcnt vmcnt(16)
	v_fmac_f64_e32 v[96:97], v[88:89], v[208:209]
	v_add_f64 v[102:103], v[94:95], v[96:97]
	ds_read_b128 v[94:97], v232 offset:1856
	s_waitcnt vmcnt(13) lgkmcnt(1)
	v_mul_f64 v[104:105], v[78:79], v[210:211]
	s_waitcnt vmcnt(11)
	v_fmac_f64_e32 v[104:105], v[80:81], v[216:217]
	v_add_f64 v[102:103], v[102:103], v[104:105]
	v_add_f64 v[0:1], v[0:1], v[14:15]
	s_waitcnt vmcnt(10) lgkmcnt(0)
	v_mul_f64 v[104:105], v[94:95], v[204:205]
	s_waitcnt vmcnt(8)
	v_fmac_f64_e32 v[104:105], v[96:97], v[214:215]
	v_add_f64 v[102:103], v[102:103], v[104:105]
	s_waitcnt vmcnt(6)
	v_mul_f64 v[104:105], v[98:99], v[212:213]
	s_waitcnt vmcnt(4)
	v_fmac_f64_e32 v[104:105], v[100:101], v[218:219]
	v_add_f64 v[106:107], v[102:103], v[104:105]
	ds_read_b128 v[102:105], v232 offset:1888
	buffer_load_dword v225, off, s[0:3], 0 offset:956
	buffer_load_dword v224, off, s[0:3], 0 offset:952
	buffer_load_dword v227, off, s[0:3], 0 offset:948
	buffer_load_dword v226, off, s[0:3], 0 offset:944
	v_add_f64 v[0:1], v[0:1], v[150:151]
	v_add_f64 v[0:1], v[0:1], v[250:251]
	;; [unrolled: 1-line block ×3, first 2 shown]
	s_waitcnt vmcnt(5) lgkmcnt(0)
	v_mul_f64 v[108:109], v[102:103], v[220:221]
	s_waitcnt vmcnt(4)
	v_fmac_f64_e32 v[108:109], v[104:105], v[222:223]
	v_add_f64 v[110:111], v[106:107], v[108:109]
	ds_read_b128 v[106:109], v232 offset:1904
	buffer_load_dword v228, off, s[0:3], 0 offset:968
	buffer_load_dword v229, off, s[0:3], 0 offset:972
	;; [unrolled: 1-line block ×4, first 2 shown]
	v_add_f64 v[0:1], v[254:255], v[2:3]
	v_accvgpr_read_b32 v2, a184
	v_accvgpr_read_b32 v3, a185
	v_mul_f64 v[2:3], v[136:137], v[2:3]
	v_add_f64 v[0:1], v[0:1], v[252:253]
	v_fma_f64 v[2:3], v[134:135], v[138:139], -v[2:3]
	v_add_f64 v[0:1], v[0:1], v[2:3]
	v_accvgpr_read_b32 v2, a186
	v_accvgpr_read_b32 v3, a187
	v_mul_f64 v[2:3], v[132:133], v[2:3]
	v_fma_f64 v[2:3], v[130:131], v[4:5], -v[2:3]
	v_add_f64 v[0:1], v[0:1], v[2:3]
	v_mul_f64 v[2:3], v[128:129], v[142:143]
	v_fma_f64 v[2:3], v[126:127], v[146:147], -v[2:3]
	v_add_f64 v[0:1], v[0:1], v[2:3]
	v_accvgpr_read_b32 v2, a190
	v_accvgpr_read_b32 v3, a191
	v_accvgpr_read_b32 v4, a192
	v_mul_f64 v[2:3], v[124:125], v[2:3]
	v_accvgpr_read_b32 v5, a193
	v_fma_f64 v[2:3], v[122:123], v[4:5], -v[2:3]
	v_add_f64 v[0:1], v[0:1], v[2:3]
	v_mul_f64 v[2:3], v[120:121], v[152:153]
	v_fma_f64 v[2:3], v[118:119], v[156:157], -v[2:3]
	v_add_f64 v[0:1], v[0:1], v[2:3]
	v_accvgpr_read_b32 v2, a194
	v_accvgpr_read_b32 v3, a195
	v_accvgpr_read_b32 v4, a196
	v_mul_f64 v[2:3], v[24:25], v[2:3]
	v_accvgpr_read_b32 v5, a197
	;; [unrolled: 10-line block ×3, first 2 shown]
	v_fma_f64 v[2:3], v[30:31], v[4:5], -v[2:3]
	v_add_f64 v[0:1], v[0:1], v[2:3]
	v_mul_f64 v[2:3], v[36:37], v[164:165]
	v_fma_f64 v[2:3], v[34:35], v[166:167], -v[2:3]
	v_add_f64 v[0:1], v[0:1], v[2:3]
	v_accvgpr_read_b32 v2, a202
	v_accvgpr_read_b32 v3, a203
	v_mul_f64 v[2:3], v[40:41], v[2:3]
	v_fma_f64 v[2:3], v[38:39], v[140:141], -v[2:3]
	v_add_f64 v[0:1], v[0:1], v[2:3]
	v_mul_f64 v[2:3], v[44:45], v[168:169]
	v_fma_f64 v[2:3], v[42:43], v[170:171], -v[2:3]
	v_add_f64 v[0:1], v[0:1], v[2:3]
	;; [unrolled: 3-line block ×7, first 2 shown]
	v_mul_f64 v[2:3], v[68:69], v[186:187]
	s_waitcnt vmcnt(6) lgkmcnt(0)
	v_mul_f64 v[112:113], v[106:107], v[224:225]
	v_fma_f64 v[2:3], v[66:67], v[190:191], -v[2:3]
	s_waitcnt vmcnt(4)
	v_fmac_f64_e32 v[112:113], v[108:109], v[226:227]
	v_add_f64 v[114:115], v[110:111], v[112:113]
	ds_read_b128 v[110:113], v232 offset:1920
	buffer_load_dword v243, off, s[0:3], 0 offset:988
	buffer_load_dword v242, off, s[0:3], 0 offset:984
	;; [unrolled: 1-line block ×4, first 2 shown]
	v_add_f64 v[0:1], v[0:1], v[2:3]
	v_mul_f64 v[2:3], v[72:73], v[188:189]
	v_fma_f64 v[2:3], v[70:71], v[192:193], -v[2:3]
	s_waitcnt vmcnt(6) lgkmcnt(0)
	v_mul_f64 v[116:117], v[110:111], v[228:229]
	s_waitcnt vmcnt(4)
	v_fmac_f64_e32 v[116:117], v[112:113], v[230:231]
	v_add_f64 v[240:241], v[114:115], v[116:117]
	ds_read_b128 v[114:117], v232 offset:1936
	buffer_load_dword v248, off, s[0:3], 0 offset:240
	buffer_load_dword v249, off, s[0:3], 0 offset:244
	;; [unrolled: 1-line block ×4, first 2 shown]
	v_add_f64 v[0:1], v[0:1], v[2:3]
	v_mul_f64 v[2:3], v[76:77], v[196:197]
	v_fma_f64 v[2:3], v[74:75], v[198:199], -v[2:3]
	v_add_f64 v[0:1], v[0:1], v[2:3]
	v_mul_f64 v[2:3], v[236:237], v[184:185]
	v_fma_f64 v[2:3], v[234:235], v[194:195], -v[2:3]
	;; [unrolled: 3-line block ×10, first 2 shown]
	v_add_f64 v[0:1], v[0:1], v[2:3]
	s_waitcnt vmcnt(6) lgkmcnt(0)
	v_mul_f64 v[232:233], v[114:115], v[242:243]
	v_mul_f64 v[2:3], v[116:117], v[242:243]
	s_waitcnt vmcnt(4)
	v_fmac_f64_e32 v[232:233], v[116:117], v[244:245]
	v_fma_f64 v[2:3], v[114:115], v[244:245], -v[2:3]
	v_add_f64 v[240:241], v[240:241], v[232:233]
	v_add_f64 v[0:1], v[0:1], v[2:3]
	v_accvgpr_read_b32 v233, a182
	v_cmp_lt_u32_e32 vcc, 13, v233
	s_waitcnt vmcnt(2)
	v_add_f64 v[0:1], v[248:249], -v[0:1]
	s_waitcnt vmcnt(0)
	v_add_f64 v[2:3], v[246:247], -v[240:241]
	buffer_store_dword v1, off, s[0:3], 0 offset:244
	buffer_store_dword v0, off, s[0:3], 0 offset:240
	;; [unrolled: 1-line block ×4, first 2 shown]
	s_and_saveexec_b64 s[4:5], vcc
	s_cbranch_execz .LBB60_365
; %bb.364:
	v_accvgpr_read_b32 v0, a169
	buffer_load_dword v2, v0, s[0:3], 0 offen
	buffer_load_dword v3, v0, s[0:3], 0 offen offset:4
	buffer_load_dword v4, v0, s[0:3], 0 offen offset:8
	buffer_load_dword v5, v0, s[0:3], 0 offen offset:12
	v_mov_b32_e32 v0, 0
	v_accvgpr_read_b32 v1, a183
	buffer_store_dword v0, off, s[0:3], 0 offset:224
	buffer_store_dword v0, off, s[0:3], 0 offset:228
	;; [unrolled: 1-line block ×4, first 2 shown]
	s_waitcnt vmcnt(4)
	ds_write_b128 v1, v[2:5]
.LBB60_365:
	s_or_b64 exec, exec, s[4:5]
	s_waitcnt lgkmcnt(0)
	; wave barrier
	s_waitcnt lgkmcnt(0)
	buffer_load_dword v48, off, s[0:3], 0 offset:240
	buffer_load_dword v49, off, s[0:3], 0 offset:244
	;; [unrolled: 1-line block ×42, first 2 shown]
	v_mov_b32_e32 v232, 0
	buffer_load_dword v99, off, s[0:3], 0 offset:388
	buffer_load_dword v98, off, s[0:3], 0 offset:384
	buffer_load_dword v93, off, s[0:3], 0 offset:444
	buffer_load_dword v92, off, s[0:3], 0 offset:440
	buffer_load_dword v95, off, s[0:3], 0 offset:436
	buffer_load_dword v94, off, s[0:3], 0 offset:432
	buffer_load_dword v97, off, s[0:3], 0 offset:428
	ds_read_b128 v[112:115], v232 offset:1200
	ds_read_b128 v[172:175], v232 offset:1216
	;; [unrolled: 1-line block ×11, first 2 shown]
	v_cmp_lt_u32_e32 vcc, 12, v233
	s_waitcnt vmcnt(45) lgkmcnt(10)
	v_mul_f64 v[0:1], v[112:113], v[52:53]
	v_fmac_f64_e32 v[0:1], v[114:115], v[48:49]
	v_add_f64 v[0:1], v[0:1], 0
	s_waitcnt vmcnt(41) lgkmcnt(9)
	v_mul_f64 v[2:3], v[172:173], v[54:55]
	v_fmac_f64_e32 v[2:3], v[174:175], v[50:51]
	s_waitcnt vmcnt(39) lgkmcnt(8)
	v_mul_f64 v[4:5], v[180:181], v[46:47]
	v_add_f64 v[0:1], v[0:1], v[2:3]
	s_waitcnt vmcnt(37) lgkmcnt(6)
	v_mul_f64 v[8:9], v[190:191], v[62:63]
	v_mul_f64 v[46:47], v[182:183], v[46:47]
	s_waitcnt vmcnt(35)
	v_fmac_f64_e32 v[8:9], v[192:193], v[56:57]
	s_waitcnt vmcnt(33)
	v_mul_f64 v[6:7], v[184:185], v[64:65]
	s_waitcnt vmcnt(31) lgkmcnt(4)
	v_mul_f64 v[12:13], v[200:201], v[66:67]
	s_waitcnt vmcnt(29)
	v_fmac_f64_e32 v[12:13], v[202:203], v[68:69]
	s_waitcnt vmcnt(27)
	v_mul_f64 v[10:11], v[196:197], v[70:71]
	s_waitcnt vmcnt(25) lgkmcnt(2)
	v_mul_f64 v[16:17], v[214:215], v[76:77]
	s_waitcnt vmcnt(22)
	v_mul_f64 v[14:15], v[204:205], v[78:79]
	s_waitcnt vmcnt(20) lgkmcnt(1)
	v_mul_f64 v[18:19], v[220:221], v[72:73]
	s_waitcnt vmcnt(18)
	v_fmac_f64_e32 v[4:5], v[182:183], v[90:91]
	v_add_f64 v[0:1], v[0:1], v[4:5]
	s_waitcnt vmcnt(16)
	v_fmac_f64_e32 v[6:7], v[186:187], v[88:89]
	v_add_f64 v[0:1], v[0:1], v[6:7]
	;; [unrolled: 3-line block ×3, first 2 shown]
	v_add_f64 v[0:1], v[0:1], v[10:11]
	s_waitcnt vmcnt(12)
	v_fmac_f64_e32 v[14:15], v[206:207], v[80:81]
	v_add_f64 v[0:1], v[0:1], v[12:13]
	s_waitcnt vmcnt(11)
	v_fmac_f64_e32 v[16:17], v[216:217], v[74:75]
	v_add_f64 v[0:1], v[0:1], v[14:15]
	v_add_f64 v[2:3], v[0:1], v[16:17]
	buffer_load_dword v96, off, s[0:3], 0 offset:424
	buffer_load_dword v117, off, s[0:3], 0 offset:420
	;; [unrolled: 1-line block ×21, first 2 shown]
	s_waitcnt vmcnt(26)
	v_fmac_f64_e32 v[18:19], v[222:223], v[98:99]
	v_add_f64 v[2:3], v[2:3], v[18:19]
	v_fma_f64 v[90:91], v[180:181], v[90:91], -v[46:47]
	v_mul_f64 v[46:47], v[186:187], v[64:65]
	s_waitcnt vmcnt(0)
	v_pk_mov_b32 v[8:9], v[4:5], v[4:5] op_sel:[0,1]
	buffer_load_dword v5, off, s[0:3], 0 offset:532
	buffer_load_dword v4, off, s[0:3], 0 offset:528
	v_accvgpr_write_b32 a185, v9
	v_accvgpr_write_b32 a184, v8
	s_waitcnt vmcnt(0)
	v_pk_mov_b32 v[12:13], v[4:5], v[4:5] op_sel:[0,1]
	buffer_load_dword v105, off, s[0:3], 0 offset:524
	buffer_load_dword v104, off, s[0:3], 0 offset:520
	buffer_load_dword v107, off, s[0:3], 0 offset:516
	buffer_load_dword v106, off, s[0:3], 0 offset:512
	buffer_load_dword v5, off, s[0:3], 0 offset:572
	buffer_load_dword v4, off, s[0:3], 0 offset:568
	v_accvgpr_write_b32 a187, v13
	v_accvgpr_write_b32 a186, v12
	s_waitcnt vmcnt(0)
	v_pk_mov_b32 v[16:17], v[4:5], v[4:5] op_sel:[0,1]
	buffer_load_dword v5, off, s[0:3], 0 offset:564
	buffer_load_dword v4, off, s[0:3], 0 offset:560
	v_accvgpr_write_b32 a189, v17
	v_accvgpr_write_b32 a188, v16
	s_waitcnt vmcnt(0)
	v_pk_mov_b32 v[22:23], v[4:5], v[4:5] op_sel:[0,1]
	buffer_load_dword v139, off, s[0:3], 0 offset:556
	buffer_load_dword v138, off, s[0:3], 0 offset:552
	buffer_load_dword v143, off, s[0:3], 0 offset:548
	buffer_load_dword v142, off, s[0:3], 0 offset:544
	buffer_load_dword v5, off, s[0:3], 0 offset:604
	buffer_load_dword v4, off, s[0:3], 0 offset:600
	v_accvgpr_write_b32 a191, v23
	v_accvgpr_write_b32 a190, v22
	;; [unrolled: 16-line block ×3, first 2 shown]
	s_waitcnt vmcnt(0)
	v_pk_mov_b32 v[36:37], v[4:5], v[4:5] op_sel:[0,1]
	buffer_load_dword v5, off, s[0:3], 0 offset:628
	buffer_load_dword v4, off, s[0:3], 0 offset:624
	;; [unrolled: 1-line block ×30, first 2 shown]
	ds_read_b128 v[224:227], v232 offset:1376
	ds_read_b128 v[228:231], v232 offset:1392
	;; [unrolled: 1-line block ×12, first 2 shown]
	s_waitcnt lgkmcnt(4)
	v_mul_f64 v[10:11], v[118:119], v[8:9]
	v_fmac_f64_e32 v[10:11], v[120:121], v[12:13]
	s_waitcnt lgkmcnt(3)
	v_mul_f64 v[14:15], v[122:123], v[138:139]
	v_fmac_f64_e32 v[14:15], v[124:125], v[142:143]
	;; [unrolled: 3-line block ×5, first 2 shown]
	v_accvgpr_write_b32 a197, v37
	v_accvgpr_write_b32 a196, v36
	s_waitcnt vmcnt(28)
	v_accvgpr_write_b32 a199, v5
	v_accvgpr_write_b32 a198, v4
	s_waitcnt vmcnt(20)
	v_pk_mov_b32 v[44:45], v[6:7], v[6:7] op_sel:[0,1]
	v_mul_f64 v[6:7], v[58:59], v[84:85]
	v_fmac_f64_e32 v[6:7], v[60:61], v[86:87]
	v_add_f64 v[2:3], v[2:3], v[6:7]
	v_mul_f64 v[6:7], v[224:225], v[96:97]
	v_fmac_f64_e32 v[6:7], v[226:227], v[116:117]
	v_add_f64 v[2:3], v[2:3], v[6:7]
	v_mul_f64 v[6:7], v[228:229], v[92:93]
	v_fmac_f64_e32 v[6:7], v[230:231], v[94:95]
	v_add_f64 v[2:3], v[2:3], v[6:7]
	v_mul_f64 v[6:7], v[234:235], v[150:151]
	v_fmac_f64_e32 v[6:7], v[236:237], v[254:255]
	v_add_f64 v[2:3], v[2:3], v[6:7]
	v_mul_f64 v[6:7], v[238:239], v[108:109]
	v_fmac_f64_e32 v[6:7], v[240:241], v[110:111]
	v_add_f64 v[2:3], v[2:3], v[6:7]
	v_mul_f64 v[6:7], v[242:243], v[176:177]
	v_fmac_f64_e32 v[6:7], v[244:245], v[0:1]
	v_add_f64 v[2:3], v[2:3], v[6:7]
	v_mul_f64 v[6:7], v[246:247], v[100:101]
	v_fmac_f64_e32 v[6:7], v[248:249], v[102:103]
	v_add_f64 v[2:3], v[2:3], v[6:7]
	v_mul_f64 v[6:7], v[250:251], v[104:105]
	v_fmac_f64_e32 v[6:7], v[252:253], v[106:107]
	v_add_f64 v[2:3], v[2:3], v[6:7]
	v_add_f64 v[2:3], v[2:3], v[10:11]
	v_add_f64 v[2:3], v[2:3], v[14:15]
	;; [unrolled: 1-line block ×4, first 2 shown]
	ds_read_b128 v[22:25], v232 offset:1568
	v_add_f64 v[2:3], v[2:3], v[26:27]
	ds_read_b128 v[26:29], v232 offset:1584
	v_accvgpr_write_b32 a201, v45
	v_mul_f64 v[6:7], v[174:175], v[54:55]
	s_waitcnt lgkmcnt(1)
	v_mul_f64 v[30:31], v[22:23], v[156:157]
	v_fmac_f64_e32 v[30:31], v[24:25], v[158:159]
	s_waitcnt lgkmcnt(0)
	v_mul_f64 v[34:35], v[26:27], v[36:37]
	v_add_f64 v[2:3], v[2:3], v[30:31]
	ds_read_b128 v[30:33], v232 offset:1600
	v_fmac_f64_e32 v[34:35], v[28:29], v[4:5]
	v_add_f64 v[2:3], v[2:3], v[34:35]
	ds_read_b128 v[34:37], v232 offset:1616
	v_mul_f64 v[4:5], v[114:115], v[52:53]
	s_waitcnt vmcnt(18) lgkmcnt(1)
	v_mul_f64 v[38:39], v[30:31], v[160:161]
	s_waitcnt vmcnt(16)
	v_fmac_f64_e32 v[38:39], v[32:33], v[162:163]
	v_add_f64 v[2:3], v[2:3], v[38:39]
	s_waitcnt lgkmcnt(0)
	v_mul_f64 v[42:43], v[34:35], v[20:21]
	v_fmac_f64_e32 v[42:43], v[36:37], v[44:45]
	ds_read_b128 v[38:41], v232 offset:1632
	v_accvgpr_write_b32 a200, v44
	v_add_f64 v[2:3], v[2:3], v[42:43]
	ds_read_b128 v[42:45], v232 offset:1648
	v_fma_f64 v[16:17], v[112:113], v[48:49], -v[4:5]
	v_fma_f64 v[112:113], v[172:173], v[50:51], -v[6:7]
	buffer_load_dword v173, off, s[0:3], 0 offset:748
	buffer_load_dword v172, off, s[0:3], 0 offset:744
	;; [unrolled: 1-line block ×8, first 2 shown]
	v_fma_f64 v[14:15], v[184:185], v[88:89], -v[46:47]
	buffer_load_dword v181, off, s[0:3], 0 offset:796
	buffer_load_dword v185, off, s[0:3], 0 offset:780
	;; [unrolled: 1-line block ×8, first 2 shown]
	v_mul_f64 v[46:47], v[192:193], v[62:63]
	v_fma_f64 v[12:13], v[190:191], v[56:57], -v[46:47]
	buffer_load_dword v182, off, s[0:3], 0 offset:824
	buffer_load_dword v193, off, s[0:3], 0 offset:812
	;; [unrolled: 1-line block ×8, first 2 shown]
	v_mul_f64 v[50:51], v[198:199], v[70:71]
	ds_read_b128 v[46:49], v232 offset:1664
	v_fma_f64 v[10:11], v[196:197], v[82:83], -v[50:51]
	buffer_load_dword v197, off, s[0:3], 0 offset:844
	buffer_load_dword v196, off, s[0:3], 0 offset:840
	;; [unrolled: 1-line block ×4, first 2 shown]
	v_mul_f64 v[50:51], v[202:203], v[66:67]
	v_fma_f64 v[8:9], v[200:201], v[68:69], -v[50:51]
	buffer_load_dword v200, off, s[0:3], 0 offset:856
	buffer_load_dword v202, off, s[0:3], 0 offset:848
	;; [unrolled: 1-line block ×4, first 2 shown]
	v_mul_f64 v[50:51], v[206:207], v[78:79]
	buffer_load_dword v207, off, s[0:3], 0 offset:876
	buffer_load_dword v206, off, s[0:3], 0 offset:872
	;; [unrolled: 1-line block ×8, first 2 shown]
	s_waitcnt vmcnt(50) lgkmcnt(2)
	v_mul_f64 v[52:53], v[38:39], v[164:165]
	v_fma_f64 v[6:7], v[204:205], v[80:81], -v[50:51]
	v_mul_f64 v[50:51], v[216:217], v[76:77]
	s_waitcnt vmcnt(48)
	v_fmac_f64_e32 v[52:53], v[40:41], v[166:167]
	v_fma_f64 v[4:5], v[214:215], v[74:75], -v[50:51]
	v_mul_f64 v[50:51], v[222:223], v[72:73]
	buffer_load_dword v204, off, s[0:3], 0 offset:920
	buffer_load_dword v217, off, s[0:3], 0 offset:908
	;; [unrolled: 1-line block ×8, first 2 shown]
	v_add_f64 v[2:3], v[2:3], v[52:53]
	v_fma_f64 v[220:221], v[220:221], v[98:99], -v[50:51]
	ds_read_b128 v[50:53], v232 offset:1680
	s_waitcnt lgkmcnt(2)
	v_mul_f64 v[54:55], v[42:43], v[140:141]
	v_fmac_f64_e32 v[54:55], v[44:45], v[144:145]
	v_add_f64 v[2:3], v[2:3], v[54:55]
	s_waitcnt vmcnt(50) lgkmcnt(1)
	v_mul_f64 v[54:55], v[46:47], v[168:169]
	s_waitcnt vmcnt(48)
	v_fmac_f64_e32 v[54:55], v[48:49], v[170:171]
	v_mul_f64 v[60:61], v[60:61], v[84:85]
	v_add_f64 v[2:3], v[2:3], v[54:55]
	v_fma_f64 v[222:223], v[58:59], v[86:87], -v[60:61]
	ds_read_b128 v[58:61], v232 offset:1712
	s_waitcnt lgkmcnt(1)
	v_mul_f64 v[54:55], v[50:51], v[148:149]
	v_fmac_f64_e32 v[54:55], v[52:53], v[154:155]
	v_add_f64 v[2:3], v[2:3], v[54:55]
	ds_read_b128 v[54:57], v232 offset:1696
	v_mul_f64 v[70:71], v[230:231], v[92:93]
	v_fma_f64 v[92:93], v[228:229], v[94:95], -v[70:71]
	ds_read_b128 v[70:73], v232 offset:1760
	v_mul_f64 v[82:83], v[240:241], v[108:109]
	v_fma_f64 v[238:239], v[238:239], v[110:111], -v[82:83]
	v_add_f64 v[16:17], v[16:17], 0
	v_add_f64 v[16:17], v[16:17], v[112:113]
	;; [unrolled: 1-line block ×10, first 2 shown]
	ds_read_b128 v[82:85], v232 offset:1808
	v_add_f64 v[4:5], v[4:5], v[222:223]
	s_waitcnt vmcnt(46) lgkmcnt(2)
	v_mul_f64 v[62:63], v[54:55], v[172:173]
	s_waitcnt vmcnt(44)
	v_fmac_f64_e32 v[62:63], v[56:57], v[178:179]
	v_add_f64 v[2:3], v[2:3], v[62:63]
	v_mul_f64 v[62:63], v[226:227], v[96:97]
	v_fma_f64 v[224:225], v[224:225], v[116:117], -v[62:63]
	ds_read_b128 v[62:65], v232 offset:1728
	s_waitcnt vmcnt(41)
	v_mul_f64 v[66:67], v[58:59], v[174:175]
	s_waitcnt vmcnt(40)
	v_fmac_f64_e32 v[66:67], v[60:61], v[18:19]
	v_add_f64 v[2:3], v[2:3], v[66:67]
	ds_read_b128 v[66:69], v232 offset:1744
	s_waitcnt vmcnt(37) lgkmcnt(1)
	v_mul_f64 v[74:75], v[62:63], v[184:185]
	s_waitcnt vmcnt(35)
	v_fmac_f64_e32 v[74:75], v[64:65], v[186:187]
	v_add_f64 v[2:3], v[2:3], v[74:75]
	v_mul_f64 v[74:75], v[236:237], v[150:151]
	v_fma_f64 v[254:255], v[234:235], v[254:255], -v[74:75]
	ds_read_b128 v[74:77], v232 offset:1776
	s_waitcnt vmcnt(34) lgkmcnt(1)
	v_mul_f64 v[78:79], v[66:67], v[180:181]
	s_waitcnt vmcnt(32)
	v_fmac_f64_e32 v[78:79], v[68:69], v[188:189]
	v_add_f64 v[2:3], v[2:3], v[78:79]
	s_waitcnt vmcnt(29)
	v_mul_f64 v[78:79], v[70:71], v[192:193]
	s_waitcnt vmcnt(27)
	v_fmac_f64_e32 v[78:79], v[72:73], v[194:195]
	v_add_f64 v[2:3], v[2:3], v[78:79]
	s_waitcnt vmcnt(25) lgkmcnt(0)
	v_mul_f64 v[78:79], v[74:75], v[182:183]
	s_waitcnt vmcnt(24)
	v_fmac_f64_e32 v[78:79], v[76:77], v[190:191]
	v_add_f64 v[2:3], v[2:3], v[78:79]
	ds_read_b128 v[78:81], v232 offset:1792
	ds_read_b128 v[234:237], v232 offset:1840
	s_waitcnt vmcnt(17)
	v_mul_f64 v[94:95], v[82:83], v[200:201]
	s_waitcnt vmcnt(16)
	v_fmac_f64_e32 v[94:95], v[84:85], v[202:203]
	v_add_f64 v[4:5], v[4:5], v[224:225]
	s_waitcnt lgkmcnt(1)
	v_mul_f64 v[86:87], v[78:79], v[196:197]
	v_fmac_f64_e32 v[86:87], v[80:81], v[198:199]
	v_add_f64 v[2:3], v[2:3], v[86:87]
	v_mul_f64 v[86:87], v[244:245], v[176:177]
	v_fma_f64 v[0:1], v[242:243], v[0:1], -v[86:87]
	ds_read_b128 v[86:89], v232 offset:1824
	v_add_f64 v[2:3], v[2:3], v[94:95]
	v_mul_f64 v[94:95], v[248:249], v[100:101]
	v_fma_f64 v[246:247], v[246:247], v[102:103], -v[94:95]
	ds_read_b128 v[94:97], v232 offset:1856
	s_waitcnt vmcnt(14) lgkmcnt(1)
	v_mul_f64 v[98:99], v[86:87], v[206:207]
	s_waitcnt vmcnt(12)
	v_fmac_f64_e32 v[98:99], v[88:89], v[210:211]
	v_add_f64 v[102:103], v[2:3], v[98:99]
	ds_read_b128 v[98:101], v232 offset:1872
	buffer_load_dword v177, off, s[0:3], 0 offset:940
	buffer_load_dword v176, off, s[0:3], 0 offset:936
	;; [unrolled: 1-line block ×4, first 2 shown]
	s_waitcnt vmcnt(14)
	v_mul_f64 v[108:109], v[234:235], v[208:209]
	s_waitcnt vmcnt(12)
	v_fmac_f64_e32 v[108:109], v[236:237], v[212:213]
	v_mul_f64 v[2:3], v[252:253], v[104:105]
	s_waitcnt vmcnt(9) lgkmcnt(1)
	v_mul_f64 v[104:105], v[94:95], v[216:217]
	v_add_f64 v[102:103], v[102:103], v[108:109]
	s_waitcnt vmcnt(7)
	v_fmac_f64_e32 v[104:105], v[96:97], v[218:219]
	v_add_f64 v[102:103], v[102:103], v[104:105]
	s_waitcnt vmcnt(5) lgkmcnt(0)
	v_mul_f64 v[104:105], v[98:99], v[204:205]
	s_waitcnt vmcnt(4)
	v_fmac_f64_e32 v[104:105], v[100:101], v[214:215]
	v_fma_f64 v[2:3], v[250:251], v[106:107], -v[2:3]
	v_add_f64 v[106:107], v[102:103], v[104:105]
	ds_read_b128 v[102:105], v232 offset:1888
	buffer_load_dword v150, off, s[0:3], 0 offset:952
	buffer_load_dword v151, off, s[0:3], 0 offset:956
	;; [unrolled: 1-line block ×4, first 2 shown]
	v_add_f64 v[4:5], v[4:5], v[92:93]
	v_add_f64 v[4:5], v[4:5], v[254:255]
	;; [unrolled: 1-line block ×6, first 2 shown]
	v_accvgpr_read_b32 v2, a184
	v_accvgpr_read_b32 v3, a185
	v_accvgpr_read_b32 v4, a186
	v_mul_f64 v[2:3], v[120:121], v[2:3]
	v_accvgpr_read_b32 v5, a187
	v_fma_f64 v[2:3], v[118:119], v[4:5], -v[2:3]
	v_add_f64 v[0:1], v[0:1], v[2:3]
	v_mul_f64 v[2:3], v[124:125], v[138:139]
	v_fma_f64 v[2:3], v[122:123], v[142:143], -v[2:3]
	v_add_f64 v[0:1], v[0:1], v[2:3]
	v_accvgpr_read_b32 v2, a188
	v_accvgpr_read_b32 v3, a189
	v_accvgpr_read_b32 v4, a190
	v_mul_f64 v[2:3], v[128:129], v[2:3]
	v_accvgpr_read_b32 v5, a191
	v_fma_f64 v[2:3], v[126:127], v[4:5], -v[2:3]
	v_add_f64 v[0:1], v[0:1], v[2:3]
	v_mul_f64 v[2:3], v[132:133], v[146:147]
	v_fma_f64 v[2:3], v[130:131], v[152:153], -v[2:3]
	v_add_f64 v[0:1], v[0:1], v[2:3]
	;; [unrolled: 10-line block ×3, first 2 shown]
	v_accvgpr_read_b32 v2, a196
	v_accvgpr_read_b32 v3, a197
	;; [unrolled: 1-line block ×3, first 2 shown]
	v_mul_f64 v[2:3], v[28:29], v[2:3]
	v_accvgpr_read_b32 v5, a199
	v_fma_f64 v[2:3], v[26:27], v[4:5], -v[2:3]
	v_add_f64 v[0:1], v[0:1], v[2:3]
	v_mul_f64 v[2:3], v[32:33], v[160:161]
	v_fma_f64 v[2:3], v[30:31], v[162:163], -v[2:3]
	v_accvgpr_read_b32 v4, a200
	v_add_f64 v[0:1], v[0:1], v[2:3]
	v_mul_f64 v[2:3], v[36:37], v[20:21]
	v_accvgpr_read_b32 v5, a201
	v_fma_f64 v[2:3], v[34:35], v[4:5], -v[2:3]
	v_add_f64 v[0:1], v[0:1], v[2:3]
	v_mul_f64 v[2:3], v[40:41], v[164:165]
	v_fma_f64 v[2:3], v[38:39], v[166:167], -v[2:3]
	v_add_f64 v[0:1], v[0:1], v[2:3]
	v_mul_f64 v[2:3], v[44:45], v[140:141]
	;; [unrolled: 3-line block ×5, first 2 shown]
	s_waitcnt vmcnt(6) lgkmcnt(0)
	v_mul_f64 v[108:109], v[102:103], v[176:177]
	v_fma_f64 v[2:3], v[54:55], v[178:179], -v[2:3]
	s_waitcnt vmcnt(4)
	v_fmac_f64_e32 v[108:109], v[104:105], v[110:111]
	v_add_f64 v[114:115], v[106:107], v[108:109]
	ds_read_b128 v[106:109], v232 offset:1904
	buffer_load_dword v229, off, s[0:3], 0 offset:972
	buffer_load_dword v228, off, s[0:3], 0 offset:968
	;; [unrolled: 1-line block ×4, first 2 shown]
	ds_read_b128 v[250:253], v232 offset:1920
	buffer_load_dword v242, off, s[0:3], 0 offset:984
	buffer_load_dword v243, off, s[0:3], 0 offset:988
	;; [unrolled: 1-line block ×4, first 2 shown]
	v_add_f64 v[0:1], v[0:1], v[2:3]
	v_mul_f64 v[2:3], v[60:61], v[174:175]
	v_fma_f64 v[2:3], v[58:59], v[18:19], -v[2:3]
	v_add_f64 v[0:1], v[0:1], v[2:3]
	v_mul_f64 v[2:3], v[64:65], v[184:185]
	s_waitcnt vmcnt(10) lgkmcnt(1)
	v_mul_f64 v[116:117], v[106:107], v[150:151]
	v_fma_f64 v[2:3], v[62:63], v[186:187], -v[2:3]
	s_waitcnt vmcnt(8)
	v_fmac_f64_e32 v[116:117], v[108:109], v[226:227]
	v_add_f64 v[114:115], v[114:115], v[116:117]
	v_add_f64 v[0:1], v[0:1], v[2:3]
	v_mul_f64 v[2:3], v[68:69], v[180:181]
	v_fma_f64 v[2:3], v[66:67], v[188:189], -v[2:3]
	v_add_f64 v[0:1], v[0:1], v[2:3]
	v_mul_f64 v[2:3], v[72:73], v[192:193]
	v_fma_f64 v[2:3], v[70:71], v[194:195], -v[2:3]
	;; [unrolled: 3-line block ×11, first 2 shown]
	v_add_f64 v[0:1], v[0:1], v[2:3]
	s_waitcnt vmcnt(6) lgkmcnt(0)
	v_mul_f64 v[116:117], v[250:251], v[228:229]
	v_mul_f64 v[2:3], v[252:253], v[228:229]
	s_waitcnt vmcnt(4)
	v_fmac_f64_e32 v[116:117], v[252:253], v[230:231]
	v_add_f64 v[240:241], v[114:115], v[116:117]
	ds_read_b128 v[114:117], v232 offset:1936
	v_fma_f64 v[2:3], v[250:251], v[230:231], -v[2:3]
	v_add_f64 v[0:1], v[0:1], v[2:3]
	s_waitcnt vmcnt(2) lgkmcnt(0)
	v_mul_f64 v[248:249], v[114:115], v[242:243]
	s_waitcnt vmcnt(0)
	v_fmac_f64_e32 v[248:249], v[116:117], v[244:245]
	v_add_f64 v[240:241], v[240:241], v[248:249]
	buffer_load_dword v248, off, s[0:3], 0 offset:224
	buffer_load_dword v249, off, s[0:3], 0 offset:228
	;; [unrolled: 1-line block ×4, first 2 shown]
	v_mul_f64 v[2:3], v[116:117], v[242:243]
	v_fma_f64 v[2:3], v[114:115], v[244:245], -v[2:3]
	v_add_f64 v[0:1], v[0:1], v[2:3]
	s_waitcnt vmcnt(2)
	v_add_f64 v[0:1], v[248:249], -v[0:1]
	s_waitcnt vmcnt(0)
	v_add_f64 v[2:3], v[246:247], -v[240:241]
	buffer_store_dword v1, off, s[0:3], 0 offset:228
	buffer_store_dword v0, off, s[0:3], 0 offset:224
	;; [unrolled: 1-line block ×4, first 2 shown]
	s_and_saveexec_b64 s[4:5], vcc
	s_cbranch_execz .LBB60_367
; %bb.366:
	v_accvgpr_read_b32 v0, a170
	buffer_load_dword v2, v0, s[0:3], 0 offen
	buffer_load_dword v3, v0, s[0:3], 0 offen offset:4
	buffer_load_dword v4, v0, s[0:3], 0 offen offset:8
	;; [unrolled: 1-line block ×3, first 2 shown]
	v_accvgpr_read_b32 v0, a183
	buffer_store_dword v232, off, s[0:3], 0 offset:208
	buffer_store_dword v232, off, s[0:3], 0 offset:212
	;; [unrolled: 1-line block ×4, first 2 shown]
	s_waitcnt vmcnt(4)
	ds_write_b128 v0, v[2:5]
.LBB60_367:
	s_or_b64 exec, exec, s[4:5]
	s_waitcnt lgkmcnt(0)
	; wave barrier
	s_waitcnt lgkmcnt(0)
	buffer_load_dword v42, off, s[0:3], 0 offset:224
	buffer_load_dword v43, off, s[0:3], 0 offset:228
	;; [unrolled: 1-line block ×42, first 2 shown]
	ds_read_b128 v[110:113], v232 offset:1184
	ds_read_b128 v[114:117], v232 offset:1200
	;; [unrolled: 1-line block ×10, first 2 shown]
	buffer_load_dword v1, off, s[0:3], 0 offset:372
	buffer_load_dword v0, off, s[0:3], 0 offset:368
	ds_read_b128 v[50:53], v232 offset:1344
	buffer_load_dword v89, off, s[0:3], 0 offset:428
	buffer_load_dword v88, off, s[0:3], 0 offset:424
	;; [unrolled: 1-line block ×8, first 2 shown]
	s_waitcnt vmcnt(48) lgkmcnt(10)
	v_mul_f64 v[2:3], v[110:111], v[48:49]
	v_fmac_f64_e32 v[2:3], v[112:113], v[42:43]
	v_add_f64 v[2:3], v[2:3], 0
	v_mul_f64 v[48:49], v[112:113], v[48:49]
	s_waitcnt vmcnt(44) lgkmcnt(9)
	v_mul_f64 v[4:5], v[114:115], v[54:55]
	v_fmac_f64_e32 v[4:5], v[116:117], v[44:45]
	s_waitcnt vmcnt(42) lgkmcnt(8)
	v_mul_f64 v[6:7], v[176:177], v[46:47]
	v_add_f64 v[2:3], v[2:3], v[4:5]
	s_waitcnt vmcnt(40) lgkmcnt(6)
	v_mul_f64 v[10:11], v[188:189], v[58:59]
	v_mul_f64 v[46:47], v[178:179], v[46:47]
	s_waitcnt vmcnt(38)
	v_fmac_f64_e32 v[10:11], v[190:191], v[56:57]
	s_waitcnt vmcnt(36)
	v_mul_f64 v[8:9], v[180:181], v[60:61]
	s_waitcnt vmcnt(34) lgkmcnt(4)
	v_mul_f64 v[14:15], v[196:197], v[62:63]
	s_waitcnt vmcnt(32)
	v_fmac_f64_e32 v[14:15], v[198:199], v[64:65]
	s_waitcnt vmcnt(30)
	v_mul_f64 v[12:13], v[192:193], v[66:67]
	s_waitcnt vmcnt(28) lgkmcnt(2)
	v_mul_f64 v[18:19], v[204:205], v[68:69]
	s_waitcnt vmcnt(25)
	v_mul_f64 v[16:17], v[200:201], v[208:209]
	s_waitcnt vmcnt(23) lgkmcnt(1)
	v_mul_f64 v[20:21], v[210:211], v[72:73]
	s_waitcnt vmcnt(21)
	v_fmac_f64_e32 v[6:7], v[178:179], v[82:83]
	v_add_f64 v[2:3], v[2:3], v[6:7]
	s_waitcnt vmcnt(19)
	v_fmac_f64_e32 v[8:9], v[182:183], v[80:81]
	v_add_f64 v[2:3], v[2:3], v[8:9]
	;; [unrolled: 3-line block ×3, first 2 shown]
	v_add_f64 v[2:3], v[2:3], v[12:13]
	s_waitcnt vmcnt(15)
	v_fmac_f64_e32 v[16:17], v[202:203], v[76:77]
	v_add_f64 v[2:3], v[2:3], v[14:15]
	s_waitcnt vmcnt(14)
	v_fmac_f64_e32 v[18:19], v[206:207], v[70:71]
	v_add_f64 v[2:3], v[2:3], v[16:17]
	v_add_f64 v[6:7], v[2:3], v[18:19]
	buffer_load_dword v107, off, s[0:3], 0 offset:460
	buffer_load_dword v106, off, s[0:3], 0 offset:456
	;; [unrolled: 1-line block ×26, first 2 shown]
	s_waitcnt vmcnt(34)
	v_fmac_f64_e32 v[20:21], v[212:213], v[0:1]
	v_add_f64 v[6:7], v[6:7], v[20:21]
	v_fma_f64 v[216:217], v[176:177], v[82:83], -v[46:47]
	v_mul_f64 v[46:47], v[182:183], v[60:61]
	v_fma_f64 v[80:81], v[180:181], v[80:81], -v[46:47]
	v_mul_f64 v[46:47], v[190:191], v[58:59]
	;; [unrolled: 2-line block ×3, first 2 shown]
	s_waitcnt vmcnt(0)
	v_pk_mov_b32 v[18:19], v[4:5], v[4:5] op_sel:[0,1]
	buffer_load_dword v5, off, s[0:3], 0 offset:548
	buffer_load_dword v9, off, s[0:3], 0 offset:540
	;; [unrolled: 1-line block ×3, first 2 shown]
	v_accvgpr_write_b32 a189, v19
	v_accvgpr_write_b32 a188, v18
	s_waitcnt vmcnt(0)
	v_pk_mov_b32 v[14:15], v[8:9], v[8:9] op_sel:[0,1]
	buffer_load_dword v9, off, s[0:3], 0 offset:532
	buffer_load_dword v8, off, s[0:3], 0 offset:528
	;; [unrolled: 1-line block ×3, first 2 shown]
	v_accvgpr_write_b32 a185, v15
	v_accvgpr_write_b32 a184, v14
	s_waitcnt vmcnt(1)
	v_pk_mov_b32 v[16:17], v[8:9], v[8:9] op_sel:[0,1]
	s_waitcnt vmcnt(0)
	v_pk_mov_b32 v[22:23], v[4:5], v[4:5] op_sel:[0,1]
	buffer_load_dword v5, off, s[0:3], 0 offset:588
	buffer_load_dword v4, off, s[0:3], 0 offset:584
	v_accvgpr_write_b32 a187, v17
	v_accvgpr_write_b32 a186, v16
	;; [unrolled: 1-line block ×4, first 2 shown]
	s_waitcnt vmcnt(0)
	v_pk_mov_b32 v[26:27], v[4:5], v[4:5] op_sel:[0,1]
	buffer_load_dword v5, off, s[0:3], 0 offset:580
	buffer_load_dword v9, off, s[0:3], 0 offset:572
	;; [unrolled: 1-line block ×6, first 2 shown]
	v_accvgpr_write_b32 a195, v27
	v_accvgpr_write_b32 a194, v26
	s_waitcnt vmcnt(3)
	v_pk_mov_b32 v[24:25], v[8:9], v[8:9] op_sel:[0,1]
	s_waitcnt vmcnt(0)
	v_pk_mov_b32 v[28:29], v[4:5], v[4:5] op_sel:[0,1]
	buffer_load_dword v5, off, s[0:3], 0 offset:620
	buffer_load_dword v4, off, s[0:3], 0 offset:616
	s_waitcnt lgkmcnt(0)
	v_mul_f64 v[8:9], v[50:51], v[84:85]
	v_fmac_f64_e32 v[8:9], v[52:53], v[86:87]
	v_add_f64 v[6:7], v[6:7], v[8:9]
	v_accvgpr_write_b32 a193, v25
	v_accvgpr_write_b32 a192, v24
	;; [unrolled: 1-line block ×4, first 2 shown]
	s_waitcnt vmcnt(0)
	v_pk_mov_b32 v[34:35], v[4:5], v[4:5] op_sel:[0,1]
	buffer_load_dword v5, off, s[0:3], 0 offset:612
	buffer_load_dword v149, off, s[0:3], 0 offset:604
	;; [unrolled: 1-line block ×6, first 2 shown]
	v_accvgpr_write_b32 a199, v35
	v_accvgpr_write_b32 a198, v34
	s_waitcnt vmcnt(0)
	v_pk_mov_b32 v[36:37], v[4:5], v[4:5] op_sel:[0,1]
	buffer_load_dword v5, off, s[0:3], 0 offset:652
	buffer_load_dword v4, off, s[0:3], 0 offset:648
	v_accvgpr_write_b32 a201, v37
	v_accvgpr_write_b32 a200, v36
	s_waitcnt vmcnt(0)
	v_pk_mov_b32 v[38:39], v[4:5], v[4:5] op_sel:[0,1]
	buffer_load_dword v5, off, s[0:3], 0 offset:644
	buffer_load_dword v155, off, s[0:3], 0 offset:636
	;; [unrolled: 1-line block ×6, first 2 shown]
	v_accvgpr_write_b32 a203, v39
	v_accvgpr_write_b32 a202, v38
	s_waitcnt vmcnt(0)
	v_pk_mov_b32 v[40:41], v[4:5], v[4:5] op_sel:[0,1]
	buffer_load_dword v5, off, s[0:3], 0 offset:684
	buffer_load_dword v4, off, s[0:3], 0 offset:680
	;; [unrolled: 1-line block ×14, first 2 shown]
	ds_read_b128 v[220:223], v232 offset:1360
	ds_read_b128 v[224:227], v232 offset:1376
	;; [unrolled: 1-line block ×6, first 2 shown]
	s_waitcnt lgkmcnt(5)
	v_mul_f64 v[8:9], v[220:221], v[96:97]
	v_fmac_f64_e32 v[8:9], v[222:223], v[150:151]
	v_add_f64 v[6:7], v[6:7], v[8:9]
	s_waitcnt lgkmcnt(4)
	v_mul_f64 v[8:9], v[224:225], v[88:89]
	v_fmac_f64_e32 v[8:9], v[226:227], v[90:91]
	v_add_f64 v[6:7], v[6:7], v[8:9]
	;; [unrolled: 4-line block ×3, first 2 shown]
	s_waitcnt lgkmcnt(2)
	v_mul_f64 v[8:9], v[234:235], v[106:107]
	v_fmac_f64_e32 v[8:9], v[236:237], v[108:109]
	ds_read_b128 v[246:249], v232 offset:1456
	ds_read_b128 v[252:255], v232 offset:1472
	v_add_f64 v[6:7], v[6:7], v[8:9]
	s_waitcnt lgkmcnt(3)
	v_mul_f64 v[8:9], v[238:239], v[2:3]
	v_fmac_f64_e32 v[8:9], v[240:241], v[74:75]
	v_add_f64 v[6:7], v[6:7], v[8:9]
	s_waitcnt lgkmcnt(2)
	v_mul_f64 v[8:9], v[242:243], v[92:93]
	ds_read_b128 v[138:141], v232 offset:1488
	ds_read_b128 v[134:137], v232 offset:1504
	v_fmac_f64_e32 v[8:9], v[244:245], v[94:95]
	v_add_f64 v[6:7], v[6:7], v[8:9]
	s_waitcnt lgkmcnt(3)
	v_mul_f64 v[8:9], v[246:247], v[102:103]
	ds_read_b128 v[130:133], v232 offset:1520
	ds_read_b128 v[126:129], v232 offset:1536
	;; [unrolled: 6-line block ×3, first 2 shown]
	v_fmac_f64_e32 v[8:9], v[254:255], v[100:101]
	s_waitcnt lgkmcnt(5)
	v_mul_f64 v[12:13], v[138:139], v[14:15]
	v_add_f64 v[10:11], v[6:7], v[8:9]
	v_fmac_f64_e32 v[12:13], v[140:141], v[16:17]
	s_waitcnt lgkmcnt(4)
	v_mul_f64 v[16:17], v[134:135], v[18:19]
	v_add_f64 v[14:15], v[10:11], v[12:13]
	;; [unrolled: 4-line block ×5, first 2 shown]
	v_fmac_f64_e32 v[28:29], v[124:125], v[152:153]
	v_add_f64 v[30:31], v[26:27], v[28:29]
	ds_read_b128 v[26:29], v232 offset:1584
	s_waitcnt lgkmcnt(1)
	v_mul_f64 v[32:33], v[118:119], v[34:35]
	v_fmac_f64_e32 v[32:33], v[120:121], v[36:37]
	v_add_f64 v[34:35], v[30:31], v[32:33]
	ds_read_b128 v[30:33], v232 offset:1600
	s_waitcnt lgkmcnt(1)
	v_mul_f64 v[36:37], v[26:27], v[154:155]
	;; [unrolled: 5-line block ×3, first 2 shown]
	v_accvgpr_write_b32 a205, v41
	v_fmac_f64_e32 v[168:169], v[32:33], v[40:41]
	v_accvgpr_write_b32 a204, v40
	ds_read_b128 v[38:41], v232 offset:1632
	v_add_f64 v[166:167], v[166:167], v[168:169]
	s_waitcnt vmcnt(12)
	v_accvgpr_write_b32 a207, v5
	v_accvgpr_write_b32 a206, v4
	s_waitcnt vmcnt(9) lgkmcnt(1)
	v_mul_f64 v[168:169], v[34:35], v[158:159]
	v_mul_f64 v[8:9], v[116:117], v[54:55]
	s_waitcnt vmcnt(7)
	v_fmac_f64_e32 v[168:169], v[36:37], v[162:163]
	v_add_f64 v[166:167], v[166:167], v[168:169]
	s_waitcnt lgkmcnt(0)
	v_mul_f64 v[168:169], v[38:39], v[4:5]
	s_waitcnt vmcnt(6)
	v_fmac_f64_e32 v[168:169], v[40:41], v[142:143]
	v_add_f64 v[4:5], v[166:167], v[168:169]
	buffer_load_dword v169, off, s[0:3], 0 offset:708
	buffer_load_dword v168, off, s[0:3], 0 offset:704
	;; [unrolled: 1-line block ×10, first 2 shown]
	v_fma_f64 v[18:19], v[110:111], v[42:43], -v[48:49]
	v_fma_f64 v[14:15], v[114:115], v[44:45], -v[8:9]
	ds_read_b128 v[42:45], v232 offset:1648
	buffer_load_dword v177, off, s[0:3], 0 offset:764
	buffer_load_dword v176, off, s[0:3], 0 offset:760
	;; [unrolled: 1-line block ×13, first 2 shown]
	v_fma_f64 v[10:11], v[192:193], v[78:79], -v[46:47]
	buffer_load_dword v192, off, s[0:3], 0 offset:800
	buffer_load_dword v189, off, s[0:3], 0 offset:812
	;; [unrolled: 1-line block ×3, first 2 shown]
	v_mul_f64 v[12:13], v[198:199], v[62:63]
	v_fma_f64 v[12:13], v[196:197], v[64:65], -v[12:13]
	buffer_load_dword v78, off, s[0:3], 0 offset:840
	buffer_load_dword v197, off, s[0:3], 0 offset:828
	;; [unrolled: 1-line block ×8, first 2 shown]
	v_mul_f64 v[48:49], v[202:203], v[208:209]
	v_fma_f64 v[8:9], v[200:201], v[76:77], -v[48:49]
	buffer_load_dword v201, off, s[0:3], 0 offset:860
	buffer_load_dword v200, off, s[0:3], 0 offset:856
	buffer_load_dword v203, off, s[0:3], 0 offset:852
	buffer_load_dword v202, off, s[0:3], 0 offset:848
	v_mul_f64 v[16:17], v[206:207], v[68:69]
	buffer_load_dword v207, off, s[0:3], 0 offset:876
	buffer_load_dword v206, off, s[0:3], 0 offset:872
	;; [unrolled: 1-line block ×4, first 2 shown]
	v_mul_f64 v[48:49], v[212:213], v[72:73]
	v_fma_f64 v[16:17], v[204:205], v[70:71], -v[16:17]
	v_fma_f64 v[6:7], v[210:211], v[0:1], -v[48:49]
	buffer_load_dword v204, off, s[0:3], 0 offset:904
	buffer_load_dword v213, off, s[0:3], 0 offset:892
	;; [unrolled: 1-line block ×12, first 2 shown]
	s_waitcnt vmcnt(56) lgkmcnt(0)
	v_mul_f64 v[46:47], v[42:43], v[160:161]
	s_waitcnt vmcnt(54)
	v_fmac_f64_e32 v[46:47], v[44:45], v[164:165]
	v_add_f64 v[4:5], v[4:5], v[46:47]
	ds_read_b128 v[46:49], v232 offset:1664
	v_mul_f64 v[20:21], v[52:53], v[84:85]
	v_fma_f64 v[20:21], v[50:51], v[86:87], -v[20:21]
	ds_read_b128 v[50:53], v232 offset:1680
	v_mul_f64 v[54:55], v[222:223], v[96:97]
	v_fma_f64 v[150:151], v[220:221], v[150:151], -v[54:55]
	ds_read_b128 v[54:57], v232 offset:1696
	s_waitcnt lgkmcnt(2)
	v_mul_f64 v[58:59], v[46:47], v[146:147]
	v_mul_f64 v[62:63], v[226:227], v[88:89]
	v_fma_f64 v[220:221], v[224:225], v[90:91], -v[62:63]
	ds_read_b128 v[62:65], v232 offset:1728
	v_mul_f64 v[66:67], v[230:231], v[250:251]
	v_fma_f64 v[214:215], v[228:229], v[214:215], -v[66:67]
	v_mul_f64 v[2:3], v[240:241], v[2:3]
	v_fma_f64 v[240:241], v[238:239], v[74:75], -v[2:3]
	;; [unrolled: 2-line block ×4, first 2 shown]
	ds_read_b128 v[94:97], v232 offset:1856
	v_add_f64 v[18:19], v[18:19], 0
	v_add_f64 v[14:15], v[18:19], v[14:15]
	;; [unrolled: 1-line block ×14, first 2 shown]
	v_accvgpr_read_b32 v8, a186
	v_accvgpr_read_b32 v9, a187
	ds_read_b128 v[66:69], v232 offset:1744
	ds_read_b128 v[86:89], v232 offset:1824
	ds_read_b128 v[90:93], v232 offset:1840
	s_waitcnt vmcnt(52)
	v_fmac_f64_e32 v[58:59], v[48:49], v[168:169]
	v_add_f64 v[4:5], v[4:5], v[58:59]
	s_waitcnt vmcnt(49) lgkmcnt(6)
	v_mul_f64 v[58:59], v[50:51], v[172:173]
	s_waitcnt vmcnt(47)
	v_fmac_f64_e32 v[58:59], v[52:53], v[174:175]
	v_add_f64 v[4:5], v[4:5], v[58:59]
	s_waitcnt vmcnt(45) lgkmcnt(5)
	v_mul_f64 v[58:59], v[54:55], v[166:167]
	s_waitcnt vmcnt(44)
	v_fmac_f64_e32 v[58:59], v[56:57], v[170:171]
	v_add_f64 v[4:5], v[4:5], v[58:59]
	ds_read_b128 v[58:61], v232 offset:1712
	s_waitcnt vmcnt(42) lgkmcnt(0)
	v_mul_f64 v[70:71], v[58:59], v[176:177]
	s_waitcnt vmcnt(40)
	v_fmac_f64_e32 v[70:71], v[60:61], v[178:179]
	v_add_f64 v[4:5], v[4:5], v[70:71]
	s_waitcnt vmcnt(38)
	v_mul_f64 v[70:71], v[62:63], v[180:181]
	s_waitcnt vmcnt(36)
	v_fmac_f64_e32 v[70:71], v[64:65], v[184:185]
	v_add_f64 v[4:5], v[4:5], v[70:71]
	s_waitcnt vmcnt(34)
	v_mul_f64 v[70:71], v[66:67], v[182:183]
	s_waitcnt vmcnt(32)
	v_fmac_f64_e32 v[70:71], v[68:69], v[186:187]
	v_add_f64 v[82:83], v[4:5], v[70:71]
	ds_read_b128 v[70:73], v232 offset:1760
	v_mul_f64 v[4:5], v[236:237], v[106:107]
	v_fma_f64 v[250:251], v[234:235], v[108:109], -v[4:5]
	ds_read_b128 v[234:237], v232 offset:1776
	ds_read_b128 v[2:5], v232 offset:1792
	s_waitcnt vmcnt(29) lgkmcnt(2)
	v_mul_f64 v[84:85], v[70:71], v[188:189]
	s_waitcnt vmcnt(28)
	v_fmac_f64_e32 v[84:85], v[72:73], v[192:193]
	v_add_f64 v[74:75], v[82:83], v[84:85]
	s_waitcnt vmcnt(25) lgkmcnt(1)
	v_mul_f64 v[82:83], v[234:235], v[196:197]
	s_waitcnt vmcnt(23)
	v_fmac_f64_e32 v[82:83], v[236:237], v[198:199]
	v_add_f64 v[74:75], v[74:75], v[82:83]
	;; [unrolled: 5-line block ×3, first 2 shown]
	ds_read_b128 v[82:85], v232 offset:1808
	v_add_f64 v[6:7], v[6:7], v[250:251]
	v_add_f64 v[6:7], v[6:7], v[240:241]
	v_mul_f64 v[4:5], v[4:5], v[78:79]
	v_fma_f64 v[2:3], v[2:3], v[194:195], -v[4:5]
	s_waitcnt vmcnt(18) lgkmcnt(0)
	v_mul_f64 v[24:25], v[82:83], v[200:201]
	s_waitcnt vmcnt(16)
	v_fmac_f64_e32 v[24:25], v[84:85], v[202:203]
	v_add_f64 v[24:25], v[74:75], v[24:25]
	s_waitcnt vmcnt(14)
	v_mul_f64 v[74:75], v[86:87], v[206:207]
	s_waitcnt vmcnt(12)
	v_fmac_f64_e32 v[74:75], v[88:89], v[208:209]
	v_add_f64 v[24:25], v[24:25], v[74:75]
	v_mul_f64 v[74:75], v[254:255], v[98:99]
	v_fma_f64 v[252:253], v[252:253], v[100:101], -v[74:75]
	ds_read_b128 v[98:101], v232 offset:1872
	s_waitcnt vmcnt(9)
	v_mul_f64 v[74:75], v[90:91], v[212:213]
	s_waitcnt vmcnt(7)
	v_fmac_f64_e32 v[74:75], v[92:93], v[76:77]
	v_add_f64 v[24:25], v[24:25], v[74:75]
	s_waitcnt vmcnt(5)
	v_mul_f64 v[74:75], v[94:95], v[204:205]
	s_waitcnt vmcnt(4)
	v_fmac_f64_e32 v[74:75], v[96:97], v[210:211]
	v_add_f64 v[24:25], v[24:25], v[74:75]
	s_waitcnt vmcnt(2) lgkmcnt(0)
	v_mul_f64 v[74:75], v[98:99], v[22:23]
	s_waitcnt vmcnt(0)
	v_fmac_f64_e32 v[74:75], v[100:101], v[218:219]
	v_add_f64 v[24:25], v[24:25], v[74:75]
	buffer_load_dword v74, off, s[0:3], 0 offset:936
	buffer_load_dword v75, off, s[0:3], 0 offset:940
	;; [unrolled: 1-line block ×4, first 2 shown]
	ds_read_b128 v[102:105], v232 offset:1888
	buffer_load_dword v225, off, s[0:3], 0 offset:956
	buffer_load_dword v224, off, s[0:3], 0 offset:952
	;; [unrolled: 1-line block ×4, first 2 shown]
	v_add_f64 v[254:255], v[6:7], v[0:1]
	v_accvgpr_read_b32 v6, a184
	v_accvgpr_read_b32 v7, a185
	v_add_f64 v[0:1], v[254:255], v[238:239]
	v_mul_f64 v[6:7], v[140:141], v[6:7]
	v_add_f64 v[0:1], v[0:1], v[252:253]
	v_fma_f64 v[6:7], v[138:139], v[8:9], -v[6:7]
	v_add_f64 v[0:1], v[0:1], v[6:7]
	v_accvgpr_read_b32 v6, a188
	v_accvgpr_read_b32 v7, a189
	;; [unrolled: 1-line block ×3, first 2 shown]
	v_mul_f64 v[6:7], v[136:137], v[6:7]
	v_accvgpr_read_b32 v9, a191
	v_fma_f64 v[6:7], v[134:135], v[8:9], -v[6:7]
	v_add_f64 v[0:1], v[0:1], v[6:7]
	v_accvgpr_read_b32 v6, a192
	v_accvgpr_read_b32 v7, a193
	v_mul_f64 v[6:7], v[132:133], v[6:7]
	v_fma_f64 v[6:7], v[130:131], v[144:145], -v[6:7]
	v_add_f64 v[0:1], v[0:1], v[6:7]
	v_accvgpr_read_b32 v6, a194
	v_accvgpr_read_b32 v7, a195
	v_accvgpr_read_b32 v8, a196
	v_mul_f64 v[6:7], v[128:129], v[6:7]
	v_accvgpr_read_b32 v9, a197
	v_fma_f64 v[6:7], v[126:127], v[8:9], -v[6:7]
	v_add_f64 v[0:1], v[0:1], v[6:7]
	v_mul_f64 v[6:7], v[124:125], v[148:149]
	v_fma_f64 v[6:7], v[122:123], v[152:153], -v[6:7]
	v_add_f64 v[0:1], v[0:1], v[6:7]
	v_accvgpr_read_b32 v6, a198
	v_accvgpr_read_b32 v7, a199
	v_accvgpr_read_b32 v8, a200
	v_mul_f64 v[6:7], v[120:121], v[6:7]
	v_accvgpr_read_b32 v9, a201
	v_fma_f64 v[6:7], v[118:119], v[8:9], -v[6:7]
	v_add_f64 v[0:1], v[0:1], v[6:7]
	v_mul_f64 v[6:7], v[28:29], v[154:155]
	v_fma_f64 v[6:7], v[26:27], v[156:157], -v[6:7]
	v_add_f64 v[0:1], v[0:1], v[6:7]
	v_accvgpr_read_b32 v6, a202
	v_accvgpr_read_b32 v7, a203
	v_accvgpr_read_b32 v8, a204
	v_mul_f64 v[6:7], v[32:33], v[6:7]
	v_accvgpr_read_b32 v9, a205
	v_fma_f64 v[6:7], v[30:31], v[8:9], -v[6:7]
	v_add_f64 v[0:1], v[0:1], v[6:7]
	v_mul_f64 v[6:7], v[36:37], v[158:159]
	v_fma_f64 v[6:7], v[34:35], v[162:163], -v[6:7]
	v_add_f64 v[0:1], v[0:1], v[6:7]
	v_accvgpr_read_b32 v6, a206
	v_accvgpr_read_b32 v7, a207
	v_mul_f64 v[6:7], v[40:41], v[6:7]
	v_fma_f64 v[6:7], v[38:39], v[142:143], -v[6:7]
	v_add_f64 v[0:1], v[0:1], v[6:7]
	v_mul_f64 v[6:7], v[44:45], v[160:161]
	v_fma_f64 v[6:7], v[42:43], v[164:165], -v[6:7]
	v_add_f64 v[0:1], v[0:1], v[6:7]
	;; [unrolled: 3-line block ×7, first 2 shown]
	v_mul_f64 v[6:7], v[68:69], v[182:183]
	v_fma_f64 v[6:7], v[66:67], v[186:187], -v[6:7]
	s_waitcnt vmcnt(6) lgkmcnt(0)
	v_mul_f64 v[106:107], v[102:103], v[74:75]
	v_add_f64 v[0:1], v[0:1], v[6:7]
	s_waitcnt vmcnt(4)
	v_fmac_f64_e32 v[106:107], v[104:105], v[222:223]
	v_add_f64 v[24:25], v[24:25], v[106:107]
	ds_read_b128 v[106:109], v232 offset:1904
	buffer_load_dword v228, off, s[0:3], 0 offset:968
	buffer_load_dword v229, off, s[0:3], 0 offset:972
	;; [unrolled: 1-line block ×4, first 2 shown]
	v_mul_f64 v[6:7], v[72:73], v[188:189]
	v_fma_f64 v[6:7], v[70:71], v[192:193], -v[6:7]
	v_add_f64 v[0:1], v[0:1], v[6:7]
	s_waitcnt vmcnt(6) lgkmcnt(0)
	v_mul_f64 v[110:111], v[106:107], v[224:225]
	s_waitcnt vmcnt(4)
	v_fmac_f64_e32 v[110:111], v[108:109], v[226:227]
	v_add_f64 v[24:25], v[24:25], v[110:111]
	ds_read_b128 v[110:113], v232 offset:1920
	buffer_load_dword v243, off, s[0:3], 0 offset:988
	buffer_load_dword v242, off, s[0:3], 0 offset:984
	;; [unrolled: 1-line block ×4, first 2 shown]
	v_mul_f64 v[6:7], v[236:237], v[196:197]
	v_fma_f64 v[6:7], v[234:235], v[198:199], -v[6:7]
	v_add_f64 v[0:1], v[0:1], v[6:7]
	v_add_f64 v[0:1], v[0:1], v[2:3]
	v_mul_f64 v[2:3], v[84:85], v[200:201]
	v_fma_f64 v[2:3], v[82:83], v[202:203], -v[2:3]
	v_add_f64 v[0:1], v[0:1], v[2:3]
	v_mul_f64 v[2:3], v[88:89], v[206:207]
	v_fma_f64 v[2:3], v[86:87], v[208:209], -v[2:3]
	;; [unrolled: 3-line block ×7, first 2 shown]
	v_add_f64 v[0:1], v[0:1], v[2:3]
	s_waitcnt vmcnt(6) lgkmcnt(0)
	v_mul_f64 v[114:115], v[110:111], v[228:229]
	v_mul_f64 v[2:3], v[112:113], v[228:229]
	s_waitcnt vmcnt(4)
	v_fmac_f64_e32 v[114:115], v[112:113], v[230:231]
	v_add_f64 v[24:25], v[24:25], v[114:115]
	ds_read_b128 v[114:117], v232 offset:1936
	buffer_load_dword v248, off, s[0:3], 0 offset:208
	buffer_load_dword v249, off, s[0:3], 0 offset:212
	;; [unrolled: 1-line block ×4, first 2 shown]
	v_fma_f64 v[2:3], v[110:111], v[230:231], -v[2:3]
	v_add_f64 v[0:1], v[0:1], v[2:3]
	s_waitcnt vmcnt(6) lgkmcnt(0)
	v_mul_f64 v[232:233], v[114:115], v[242:243]
	s_waitcnt vmcnt(4)
	v_fmac_f64_e32 v[232:233], v[116:117], v[244:245]
	v_mul_f64 v[2:3], v[116:117], v[242:243]
	v_add_f64 v[232:233], v[24:25], v[232:233]
	v_fma_f64 v[2:3], v[114:115], v[244:245], -v[2:3]
	v_add_f64 v[0:1], v[0:1], v[2:3]
	s_waitcnt vmcnt(2)
	v_add_f64 v[0:1], v[248:249], -v[0:1]
	s_waitcnt vmcnt(0)
	v_add_f64 v[2:3], v[246:247], -v[232:233]
	v_accvgpr_read_b32 v233, a182
	v_cmp_lt_u32_e32 vcc, 11, v233
	buffer_store_dword v1, off, s[0:3], 0 offset:212
	buffer_store_dword v0, off, s[0:3], 0 offset:208
	;; [unrolled: 1-line block ×4, first 2 shown]
	s_and_saveexec_b64 s[4:5], vcc
	s_cbranch_execz .LBB60_369
; %bb.368:
	v_accvgpr_read_b32 v0, a171
	buffer_load_dword v2, v0, s[0:3], 0 offen
	buffer_load_dword v3, v0, s[0:3], 0 offen offset:4
	buffer_load_dword v4, v0, s[0:3], 0 offen offset:8
	;; [unrolled: 1-line block ×3, first 2 shown]
	v_mov_b32_e32 v0, 0
	v_accvgpr_read_b32 v1, a183
	buffer_store_dword v0, off, s[0:3], 0 offset:192
	buffer_store_dword v0, off, s[0:3], 0 offset:196
	;; [unrolled: 1-line block ×4, first 2 shown]
	s_waitcnt vmcnt(4)
	ds_write_b128 v1, v[2:5]
.LBB60_369:
	s_or_b64 exec, exec, s[4:5]
	s_waitcnt lgkmcnt(0)
	; wave barrier
	s_waitcnt lgkmcnt(0)
	buffer_load_dword v38, off, s[0:3], 0 offset:208
	buffer_load_dword v39, off, s[0:3], 0 offset:212
	;; [unrolled: 1-line block ×42, first 2 shown]
	v_mov_b32_e32 v232, 0
	buffer_load_dword v99, off, s[0:3], 0 offset:356
	buffer_load_dword v98, off, s[0:3], 0 offset:352
	;; [unrolled: 1-line block ×7, first 2 shown]
	ds_read_b128 v[108:111], v232 offset:1168
	ds_read_b128 v[112:115], v232 offset:1184
	;; [unrolled: 1-line block ×11, first 2 shown]
	v_cmp_lt_u32_e32 vcc, 10, v233
	s_waitcnt vmcnt(45) lgkmcnt(10)
	v_mul_f64 v[0:1], v[108:109], v[40:41]
	v_fmac_f64_e32 v[0:1], v[110:111], v[38:39]
	v_add_f64 v[0:1], v[0:1], 0
	v_mul_f64 v[40:41], v[110:111], v[40:41]
	s_waitcnt vmcnt(41) lgkmcnt(9)
	v_mul_f64 v[2:3], v[112:113], v[46:47]
	v_fmac_f64_e32 v[2:3], v[114:115], v[44:45]
	s_waitcnt vmcnt(39) lgkmcnt(8)
	v_mul_f64 v[4:5], v[172:173], v[42:43]
	v_add_f64 v[0:1], v[0:1], v[2:3]
	s_waitcnt vmcnt(37) lgkmcnt(6)
	v_mul_f64 v[8:9], v[182:183], v[48:49]
	v_mul_f64 v[42:43], v[174:175], v[42:43]
	s_waitcnt vmcnt(35)
	v_fmac_f64_e32 v[8:9], v[184:185], v[50:51]
	s_waitcnt vmcnt(33)
	v_mul_f64 v[6:7], v[176:177], v[52:53]
	s_waitcnt vmcnt(31) lgkmcnt(4)
	v_mul_f64 v[12:13], v[192:193], v[56:57]
	s_waitcnt vmcnt(29)
	v_fmac_f64_e32 v[12:13], v[194:195], v[54:55]
	s_waitcnt vmcnt(27)
	v_mul_f64 v[10:11], v[186:187], v[58:59]
	s_waitcnt vmcnt(25) lgkmcnt(2)
	v_mul_f64 v[16:17], v[200:201], v[64:65]
	s_waitcnt vmcnt(22)
	v_mul_f64 v[14:15], v[196:197], v[66:67]
	s_waitcnt vmcnt(20) lgkmcnt(1)
	v_mul_f64 v[18:19], v[204:205], v[60:61]
	s_waitcnt vmcnt(18)
	v_fmac_f64_e32 v[4:5], v[174:175], v[74:75]
	v_add_f64 v[0:1], v[0:1], v[4:5]
	s_waitcnt vmcnt(16)
	v_fmac_f64_e32 v[6:7], v[178:179], v[72:73]
	v_add_f64 v[0:1], v[0:1], v[6:7]
	;; [unrolled: 3-line block ×3, first 2 shown]
	v_add_f64 v[0:1], v[0:1], v[10:11]
	s_waitcnt vmcnt(12)
	v_fmac_f64_e32 v[14:15], v[198:199], v[68:69]
	v_add_f64 v[0:1], v[0:1], v[12:13]
	s_waitcnt vmcnt(11)
	v_fmac_f64_e32 v[16:17], v[202:203], v[62:63]
	v_add_f64 v[0:1], v[0:1], v[14:15]
	v_add_f64 v[2:3], v[0:1], v[16:17]
	buffer_load_dword v84, off, s[0:3], 0 offset:392
	buffer_load_dword v117, off, s[0:3], 0 offset:388
	;; [unrolled: 1-line block ×29, first 2 shown]
	s_waitcnt vmcnt(34)
	v_fmac_f64_e32 v[18:19], v[206:207], v[98:99]
	s_waitcnt lgkmcnt(0)
	v_mul_f64 v[6:7], v[208:209], v[76:77]
	v_add_f64 v[2:3], v[2:3], v[18:19]
	v_fmac_f64_e32 v[6:7], v[210:211], v[82:83]
	v_add_f64 v[2:3], v[2:3], v[6:7]
	v_fma_f64 v[74:75], v[172:173], v[74:75], -v[42:43]
	v_mul_f64 v[42:43], v[178:179], v[52:53]
	v_fma_f64 v[212:213], v[176:177], v[72:73], -v[42:43]
	v_mul_f64 v[52:53], v[206:207], v[60:61]
	s_waitcnt vmcnt(0)
	v_pk_mov_b32 v[8:9], v[4:5], v[4:5] op_sel:[0,1]
	buffer_load_dword v5, off, s[0:3], 0 offset:532
	buffer_load_dword v4, off, s[0:3], 0 offset:528
	v_accvgpr_write_b32 a185, v9
	v_accvgpr_write_b32 a184, v8
	s_waitcnt vmcnt(0)
	v_pk_mov_b32 v[12:13], v[4:5], v[4:5] op_sel:[0,1]
	buffer_load_dword v95, off, s[0:3], 0 offset:524
	buffer_load_dword v94, off, s[0:3], 0 offset:520
	;; [unrolled: 1-line block ×6, first 2 shown]
	v_accvgpr_write_b32 a187, v13
	v_accvgpr_write_b32 a186, v12
	s_waitcnt vmcnt(0)
	v_pk_mov_b32 v[16:17], v[4:5], v[4:5] op_sel:[0,1]
	buffer_load_dword v5, off, s[0:3], 0 offset:564
	buffer_load_dword v4, off, s[0:3], 0 offset:560
	v_accvgpr_write_b32 a191, v17
	v_accvgpr_write_b32 a190, v16
	s_waitcnt vmcnt(0)
	v_pk_mov_b32 v[20:21], v[4:5], v[4:5] op_sel:[0,1]
	buffer_load_dword v5, off, s[0:3], 0 offset:556
	buffer_load_dword v4, off, s[0:3], 0 offset:552
	;; [unrolled: 6-line block ×3, first 2 shown]
	buffer_load_dword v5, off, s[0:3], 0 offset:604
	buffer_load_dword v4, off, s[0:3], 0 offset:600
	v_accvgpr_write_b32 a189, v23
	v_accvgpr_write_b32 a188, v22
	s_waitcnt vmcnt(0)
	v_pk_mov_b32 v[24:25], v[4:5], v[4:5] op_sel:[0,1]
	buffer_load_dword v5, off, s[0:3], 0 offset:596
	buffer_load_dword v4, off, s[0:3], 0 offset:592
	v_accvgpr_write_b32 a195, v25
	v_accvgpr_write_b32 a194, v24
	s_waitcnt vmcnt(0)
	v_pk_mov_b32 v[28:29], v[4:5], v[4:5] op_sel:[0,1]
	buffer_load_dword v147, off, s[0:3], 0 offset:588
	buffer_load_dword v146, off, s[0:3], 0 offset:584
	buffer_load_dword v149, off, s[0:3], 0 offset:580
	buffer_load_dword v148, off, s[0:3], 0 offset:576
	buffer_load_dword v5, off, s[0:3], 0 offset:636
	buffer_load_dword v4, off, s[0:3], 0 offset:632
	v_accvgpr_write_b32 a197, v29
	v_accvgpr_write_b32 a196, v28
	s_waitcnt vmcnt(0)
	v_pk_mov_b32 v[36:37], v[4:5], v[4:5] op_sel:[0,1]
	buffer_load_dword v5, off, s[0:3], 0 offset:628
	buffer_load_dword v4, off, s[0:3], 0 offset:624
	v_accvgpr_write_b32 a199, v37
	v_accvgpr_write_b32 a198, v36
	s_waitcnt vmcnt(0)
	v_pk_mov_b32 v[166:167], v[4:5], v[4:5] op_sel:[0,1]
	buffer_load_dword v153, off, s[0:3], 0 offset:620
	buffer_load_dword v152, off, s[0:3], 0 offset:616
	buffer_load_dword v155, off, s[0:3], 0 offset:612
	buffer_load_dword v154, off, s[0:3], 0 offset:608
	;; [unrolled: 16-line block ×3, first 2 shown]
	buffer_load_dword v5, off, s[0:3], 0 offset:700
	buffer_load_dword v4, off, s[0:3], 0 offset:696
	buffer_load_dword v145, off, s[0:3], 0 offset:692
	buffer_load_dword v144, off, s[0:3], 0 offset:688
	buffer_load_dword v161, off, s[0:3], 0 offset:684
	buffer_load_dword v160, off, s[0:3], 0 offset:680
	buffer_load_dword v163, off, s[0:3], 0 offset:676
	buffer_load_dword v162, off, s[0:3], 0 offset:672
	ds_read_b128 v[216:219], v232 offset:1344
	ds_read_b128 v[220:223], v232 offset:1360
	;; [unrolled: 1-line block ×6, first 2 shown]
	s_waitcnt lgkmcnt(5)
	v_mul_f64 v[6:7], v[216:217], v[84:85]
	v_fmac_f64_e32 v[6:7], v[218:219], v[116:117]
	v_add_f64 v[2:3], v[2:3], v[6:7]
	s_waitcnt lgkmcnt(4)
	v_mul_f64 v[6:7], v[220:221], v[78:79]
	v_fmac_f64_e32 v[6:7], v[222:223], v[80:81]
	v_add_f64 v[2:3], v[2:3], v[6:7]
	s_waitcnt lgkmcnt(3)
	v_mul_f64 v[6:7], v[224:225], v[150:151]
	v_fmac_f64_e32 v[6:7], v[226:227], v[254:255]
	v_add_f64 v[2:3], v[2:3], v[6:7]
	s_waitcnt lgkmcnt(2)
	v_mul_f64 v[6:7], v[228:229], v[104:105]
	v_fmac_f64_e32 v[6:7], v[230:231], v[106:107]
	ds_read_b128 v[242:245], v232 offset:1440
	ds_read_b128 v[246:249], v232 offset:1456
	v_add_f64 v[2:3], v[2:3], v[6:7]
	s_waitcnt lgkmcnt(3)
	v_mul_f64 v[6:7], v[234:235], v[164:165]
	v_fmac_f64_e32 v[6:7], v[236:237], v[0:1]
	v_add_f64 v[2:3], v[2:3], v[6:7]
	s_waitcnt lgkmcnt(2)
	v_mul_f64 v[6:7], v[238:239], v[86:87]
	v_fmac_f64_e32 v[6:7], v[240:241], v[88:89]
	ds_read_b128 v[250:253], v232 offset:1472
	ds_read_b128 v[118:121], v232 offset:1488
	v_add_f64 v[2:3], v[2:3], v[6:7]
	s_waitcnt lgkmcnt(3)
	v_mul_f64 v[6:7], v[242:243], v[100:101]
	v_fmac_f64_e32 v[6:7], v[244:245], v[102:103]
	ds_read_b128 v[122:125], v232 offset:1504
	ds_read_b128 v[126:129], v232 offset:1520
	;; [unrolled: 6-line block ×3, first 2 shown]
	v_add_f64 v[2:3], v[2:3], v[6:7]
	s_waitcnt lgkmcnt(5)
	v_mul_f64 v[6:7], v[250:251], v[94:95]
	v_fmac_f64_e32 v[6:7], v[252:253], v[96:97]
	s_waitcnt lgkmcnt(4)
	v_mul_f64 v[10:11], v[118:119], v[8:9]
	v_add_f64 v[2:3], v[2:3], v[6:7]
	v_fmac_f64_e32 v[10:11], v[120:121], v[12:13]
	s_waitcnt lgkmcnt(3)
	v_mul_f64 v[14:15], v[122:123], v[22:23]
	v_add_f64 v[2:3], v[2:3], v[10:11]
	;; [unrolled: 4-line block ×5, first 2 shown]
	ds_read_b128 v[138:141], v232 offset:1568
	v_fmac_f64_e32 v[26:27], v[136:137], v[28:29]
	v_add_f64 v[2:3], v[2:3], v[26:27]
	ds_read_b128 v[26:29], v232 offset:1584
	v_fma_f64 v[22:23], v[108:109], v[38:39], -v[40:41]
	s_waitcnt lgkmcnt(1)
	v_mul_f64 v[30:31], v[138:139], v[152:153]
	v_fmac_f64_e32 v[30:31], v[140:141], v[154:155]
	v_add_f64 v[2:3], v[2:3], v[30:31]
	s_waitcnt lgkmcnt(0)
	v_mul_f64 v[34:35], v[26:27], v[36:37]
	ds_read_b128 v[30:33], v232 offset:1600
	v_fmac_f64_e32 v[34:35], v[28:29], v[166:167]
	v_add_f64 v[2:3], v[2:3], v[34:35]
	ds_read_b128 v[34:37], v232 offset:1616
	ds_read_b128 v[38:41], v232 offset:1632
	buffer_load_dword v25, off, s[0:3], 0 offset:716
	buffer_load_dword v24, off, s[0:3], 0 offset:712
	;; [unrolled: 1-line block ×4, first 2 shown]
	s_waitcnt vmcnt(14) lgkmcnt(2)
	v_mul_f64 v[108:109], v[30:31], v[156:157]
	v_accvgpr_write_b32 a205, v171
	s_waitcnt vmcnt(12)
	v_fmac_f64_e32 v[108:109], v[32:33], v[158:159]
	v_add_f64 v[2:3], v[2:3], v[108:109]
	s_waitcnt lgkmcnt(1)
	v_mul_f64 v[108:109], v[34:35], v[168:169]
	v_fmac_f64_e32 v[108:109], v[36:37], v[170:171]
	v_accvgpr_write_b32 a204, v170
	buffer_load_dword v168, off, s[0:3], 0 offset:728
	buffer_load_dword v170, off, s[0:3], 0 offset:720
	;; [unrolled: 1-line block ×12, first 2 shown]
	v_add_f64 v[108:109], v[2:3], v[108:109]
	v_mul_f64 v[2:3], v[114:115], v[46:47]
	v_mul_f64 v[46:47], v[184:185], v[48:49]
	v_fma_f64 v[20:21], v[112:113], v[44:45], -v[2:3]
	ds_read_b128 v[42:45], v232 offset:1648
	v_fma_f64 v[18:19], v[182:183], v[50:51], -v[46:47]
	buffer_load_dword v176, off, s[0:3], 0 offset:792
	buffer_load_dword v183, off, s[0:3], 0 offset:780
	;; [unrolled: 1-line block ×5, first 2 shown]
	v_mul_f64 v[46:47], v[188:189], v[58:59]
	v_fma_f64 v[16:17], v[186:187], v[70:71], -v[46:47]
	buffer_load_dword v186, off, s[0:3], 0 offset:784
	buffer_load_dword v177, off, s[0:3], 0 offset:796
	;; [unrolled: 1-line block ×7, first 2 shown]
	v_mul_f64 v[46:47], v[194:195], v[56:57]
	v_fma_f64 v[14:15], v[192:193], v[54:55], -v[46:47]
	v_mul_f64 v[46:47], v[198:199], v[66:67]
	v_fma_f64 v[12:13], v[196:197], v[68:69], -v[46:47]
	buffer_load_dword v194, off, s[0:3], 0 offset:824
	buffer_load_dword v196, off, s[0:3], 0 offset:816
	;; [unrolled: 1-line block ×4, first 2 shown]
	v_mul_f64 v[46:47], v[202:203], v[64:65]
	v_fma_f64 v[10:11], v[200:201], v[62:63], -v[46:47]
	buffer_load_dword v193, off, s[0:3], 0 offset:860
	buffer_load_dword v199, off, s[0:3], 0 offset:844
	;; [unrolled: 1-line block ×8, first 2 shown]
	ds_read_b128 v[46:49], v232 offset:1664
	v_fma_f64 v[8:9], v[204:205], v[98:99], -v[52:53]
	buffer_load_dword v205, off, s[0:3], 0 offset:876
	buffer_load_dword v204, off, s[0:3], 0 offset:872
	;; [unrolled: 1-line block ×4, first 2 shown]
	v_mul_f64 v[52:53], v[210:211], v[76:77]
	v_fma_f64 v[6:7], v[208:209], v[82:83], -v[52:53]
	buffer_load_dword v208, off, s[0:3], 0 offset:888
	buffer_load_dword v210, off, s[0:3], 0 offset:880
	;; [unrolled: 1-line block ×8, first 2 shown]
	s_waitcnt vmcnt(58)
	v_accvgpr_write_b32 a207, v5
	v_mul_f64 v[52:53], v[218:219], v[84:85]
	s_waitcnt lgkmcnt(1)
	v_mul_f64 v[50:51], v[42:43], v[4:5]
	v_accvgpr_write_b32 a206, v4
	v_fma_f64 v[4:5], v[216:217], v[116:117], -v[52:53]
	buffer_load_dword v216, off, s[0:3], 0 offset:920
	buffer_load_dword v218, off, s[0:3], 0 offset:912
	;; [unrolled: 1-line block ×4, first 2 shown]
	s_waitcnt vmcnt(58)
	v_mul_f64 v[110:111], v[38:39], v[160:161]
	s_waitcnt vmcnt(56)
	v_fmac_f64_e32 v[110:111], v[40:41], v[162:163]
	v_add_f64 v[108:109], v[108:109], v[110:111]
	v_fmac_f64_e32 v[50:51], v[44:45], v[144:145]
	v_add_f64 v[50:51], v[108:109], v[50:51]
	v_mul_f64 v[54:55], v[222:223], v[78:79]
	v_fma_f64 v[220:221], v[220:221], v[80:81], -v[54:55]
	ds_read_b128 v[54:57], v232 offset:1696
	v_mul_f64 v[58:59], v[226:227], v[150:151]
	v_fma_f64 v[150:151], v[224:225], v[254:255], -v[58:59]
	ds_read_b128 v[58:61], v232 offset:1712
	;; [unrolled: 3-line block ×6, first 2 shown]
	v_mul_f64 v[94:95], v[252:253], v[94:95]
	v_fma_f64 v[250:251], v[250:251], v[96:97], -v[94:95]
	v_add_f64 v[22:23], v[22:23], 0
	v_add_f64 v[20:21], v[22:23], v[20:21]
	;; [unrolled: 1-line block ×7, first 2 shown]
	ds_read_b128 v[70:73], v232 offset:1760
	v_add_f64 v[12:13], v[14:15], v[12:13]
	v_add_f64 v[10:11], v[12:13], v[10:11]
	;; [unrolled: 1-line block ×4, first 2 shown]
	s_waitcnt vmcnt(54) lgkmcnt(7)
	v_mul_f64 v[52:53], v[46:47], v[24:25]
	v_add_f64 v[4:5], v[6:7], v[4:5]
	s_waitcnt vmcnt(52)
	v_fmac_f64_e32 v[52:53], v[48:49], v[166:167]
	v_add_f64 v[62:63], v[50:51], v[52:53]
	ds_read_b128 v[50:53], v232 offset:1680
	v_add_f64 v[4:5], v[4:5], v[220:221]
	v_add_f64 v[4:5], v[4:5], v[150:151]
	;; [unrolled: 1-line block ×4, first 2 shown]
	s_waitcnt vmcnt(49) lgkmcnt(0)
	v_mul_f64 v[64:65], v[50:51], v[168:169]
	s_waitcnt vmcnt(48)
	v_fmac_f64_e32 v[64:65], v[52:53], v[170:171]
	v_add_f64 v[62:63], v[62:63], v[64:65]
	s_waitcnt vmcnt(45)
	v_mul_f64 v[64:65], v[54:55], v[174:175]
	s_waitcnt vmcnt(43)
	v_fmac_f64_e32 v[64:65], v[56:57], v[180:181]
	v_add_f64 v[62:63], v[62:63], v[64:65]
	s_waitcnt vmcnt(42)
	v_mul_f64 v[64:65], v[58:59], v[172:173]
	s_waitcnt vmcnt(40)
	v_fmac_f64_e32 v[64:65], v[60:61], v[178:179]
	v_add_f64 v[78:79], v[62:63], v[64:65]
	ds_read_b128 v[62:65], v232 offset:1728
	ds_read_b128 v[94:97], v232 offset:1856
	v_accvgpr_read_b32 v6, a186
	v_accvgpr_read_b32 v7, a187
	s_waitcnt vmcnt(37) lgkmcnt(1)
	v_mul_f64 v[80:81], v[62:63], v[182:183]
	s_waitcnt vmcnt(35)
	v_fmac_f64_e32 v[80:81], v[64:65], v[184:185]
	v_add_f64 v[0:1], v[78:79], v[80:81]
	s_waitcnt vmcnt(33)
	v_mul_f64 v[78:79], v[66:67], v[176:177]
	s_waitcnt vmcnt(32)
	v_fmac_f64_e32 v[78:79], v[68:69], v[186:187]
	v_add_f64 v[0:1], v[0:1], v[78:79]
	s_waitcnt vmcnt(30)
	v_mul_f64 v[78:79], v[70:71], v[188:189]
	s_waitcnt vmcnt(28)
	v_fmac_f64_e32 v[78:79], v[72:73], v[190:191]
	v_add_f64 v[0:1], v[0:1], v[78:79]
	v_mul_f64 v[78:79], v[240:241], v[86:87]
	v_fma_f64 v[238:239], v[238:239], v[88:89], -v[78:79]
	ds_read_b128 v[78:81], v232 offset:1792
	s_waitcnt vmcnt(25)
	v_mul_f64 v[86:87], v[234:235], v[194:195]
	s_waitcnt vmcnt(24)
	v_fmac_f64_e32 v[86:87], v[236:237], v[196:197]
	v_add_f64 v[0:1], v[0:1], v[86:87]
	v_add_f64 v[4:5], v[4:5], v[238:239]
	s_waitcnt vmcnt(21) lgkmcnt(0)
	v_mul_f64 v[86:87], v[78:79], v[198:199]
	s_waitcnt vmcnt(19)
	v_fmac_f64_e32 v[86:87], v[80:81], v[202:203]
	v_add_f64 v[0:1], v[0:1], v[86:87]
	s_waitcnt vmcnt(18)
	v_mul_f64 v[86:87], v[82:83], v[192:193]
	s_waitcnt vmcnt(16)
	v_fmac_f64_e32 v[86:87], v[84:85], v[200:201]
	v_add_f64 v[0:1], v[0:1], v[86:87]
	ds_read_b128 v[86:89], v232 offset:1824
	v_add_f64 v[2:3], v[4:5], v[2:3]
	v_add_f64 v[252:253], v[2:3], v[246:247]
	v_accvgpr_read_b32 v4, a184
	v_accvgpr_read_b32 v5, a185
	s_waitcnt vmcnt(14) lgkmcnt(0)
	v_mul_f64 v[98:99], v[86:87], v[204:205]
	s_waitcnt vmcnt(12)
	v_fmac_f64_e32 v[98:99], v[88:89], v[206:207]
	v_add_f64 v[0:1], v[0:1], v[98:99]
	s_waitcnt vmcnt(9)
	v_mul_f64 v[98:99], v[90:91], v[208:209]
	s_waitcnt vmcnt(8)
	v_fmac_f64_e32 v[98:99], v[92:93], v[210:211]
	v_add_f64 v[0:1], v[0:1], v[98:99]
	s_waitcnt vmcnt(6)
	v_mul_f64 v[98:99], v[94:95], v[76:77]
	s_waitcnt vmcnt(4)
	v_fmac_f64_e32 v[98:99], v[96:97], v[214:215]
	v_add_f64 v[0:1], v[0:1], v[98:99]
	ds_read_b128 v[98:101], v232 offset:1872
	v_mul_f64 v[4:5], v[120:121], v[4:5]
	v_add_f64 v[2:3], v[252:253], v[250:251]
	v_fma_f64 v[4:5], v[118:119], v[6:7], -v[4:5]
	v_add_f64 v[2:3], v[2:3], v[4:5]
	s_waitcnt vmcnt(1) lgkmcnt(0)
	v_mul_f64 v[102:103], v[98:99], v[216:217]
	s_waitcnt vmcnt(0)
	v_fmac_f64_e32 v[102:103], v[100:101], v[218:219]
	v_add_f64 v[106:107], v[0:1], v[102:103]
	buffer_load_dword v1, off, s[0:3], 0 offset:940
	buffer_load_dword v0, off, s[0:3], 0 offset:936
	;; [unrolled: 1-line block ×4, first 2 shown]
	ds_read_b128 v[102:105], v232 offset:1888
	buffer_load_dword v224, off, s[0:3], 0 offset:952
	buffer_load_dword v225, off, s[0:3], 0 offset:956
	;; [unrolled: 1-line block ×4, first 2 shown]
	v_accvgpr_read_b32 v4, a188
	v_accvgpr_read_b32 v5, a189
	v_mul_f64 v[4:5], v[124:125], v[4:5]
	v_fma_f64 v[4:5], v[122:123], v[142:143], -v[4:5]
	v_add_f64 v[2:3], v[2:3], v[4:5]
	v_accvgpr_read_b32 v4, a190
	v_accvgpr_read_b32 v5, a191
	v_accvgpr_read_b32 v6, a192
	v_mul_f64 v[4:5], v[128:129], v[4:5]
	v_accvgpr_read_b32 v7, a193
	v_fma_f64 v[4:5], v[126:127], v[6:7], -v[4:5]
	v_add_f64 v[2:3], v[2:3], v[4:5]
	v_mul_f64 v[4:5], v[132:133], v[146:147]
	v_fma_f64 v[4:5], v[130:131], v[148:149], -v[4:5]
	v_add_f64 v[2:3], v[2:3], v[4:5]
	v_accvgpr_read_b32 v4, a194
	v_accvgpr_read_b32 v5, a195
	v_accvgpr_read_b32 v6, a196
	v_mul_f64 v[4:5], v[136:137], v[4:5]
	v_accvgpr_read_b32 v7, a197
	v_fma_f64 v[4:5], v[134:135], v[6:7], -v[4:5]
	v_add_f64 v[2:3], v[2:3], v[4:5]
	;; [unrolled: 10-line block ×4, first 2 shown]
	v_mul_f64 v[4:5], v[40:41], v[160:161]
	v_fma_f64 v[4:5], v[38:39], v[162:163], -v[4:5]
	v_add_f64 v[2:3], v[2:3], v[4:5]
	v_accvgpr_read_b32 v4, a206
	v_accvgpr_read_b32 v5, a207
	v_mul_f64 v[4:5], v[44:45], v[4:5]
	v_fma_f64 v[4:5], v[42:43], v[144:145], -v[4:5]
	v_add_f64 v[2:3], v[2:3], v[4:5]
	v_mul_f64 v[4:5], v[48:49], v[24:25]
	v_fma_f64 v[4:5], v[46:47], v[166:167], -v[4:5]
	v_add_f64 v[2:3], v[2:3], v[4:5]
	;; [unrolled: 3-line block ×9, first 2 shown]
	v_mul_f64 v[4:5], v[80:81], v[198:199]
	s_waitcnt vmcnt(6) lgkmcnt(0)
	v_mul_f64 v[108:109], v[102:103], v[0:1]
	v_fma_f64 v[4:5], v[78:79], v[202:203], -v[4:5]
	s_waitcnt vmcnt(4)
	v_fmac_f64_e32 v[108:109], v[104:105], v[222:223]
	v_add_f64 v[110:111], v[106:107], v[108:109]
	ds_read_b128 v[106:109], v232 offset:1904
	buffer_load_dword v229, off, s[0:3], 0 offset:972
	buffer_load_dword v228, off, s[0:3], 0 offset:968
	;; [unrolled: 1-line block ×4, first 2 shown]
	v_add_f64 v[2:3], v[2:3], v[4:5]
	v_mul_f64 v[4:5], v[84:85], v[192:193]
	v_fma_f64 v[4:5], v[82:83], v[200:201], -v[4:5]
	s_waitcnt vmcnt(6) lgkmcnt(0)
	v_mul_f64 v[112:113], v[106:107], v[224:225]
	s_waitcnt vmcnt(4)
	v_fmac_f64_e32 v[112:113], v[108:109], v[226:227]
	v_add_f64 v[114:115], v[110:111], v[112:113]
	ds_read_b128 v[110:113], v232 offset:1920
	buffer_load_dword v242, off, s[0:3], 0 offset:984
	buffer_load_dword v243, off, s[0:3], 0 offset:988
	buffer_load_dword v244, off, s[0:3], 0 offset:976
	buffer_load_dword v245, off, s[0:3], 0 offset:980
	v_add_f64 v[2:3], v[2:3], v[4:5]
	v_mul_f64 v[4:5], v[88:89], v[204:205]
	v_fma_f64 v[4:5], v[86:87], v[206:207], -v[4:5]
	v_add_f64 v[2:3], v[2:3], v[4:5]
	v_mul_f64 v[4:5], v[92:93], v[208:209]
	v_fma_f64 v[4:5], v[90:91], v[210:211], -v[4:5]
	;; [unrolled: 3-line block ×4, first 2 shown]
	v_mul_f64 v[0:1], v[104:105], v[0:1]
	v_add_f64 v[2:3], v[2:3], v[4:5]
	v_fma_f64 v[0:1], v[102:103], v[222:223], -v[0:1]
	v_add_f64 v[0:1], v[2:3], v[0:1]
	v_mul_f64 v[2:3], v[108:109], v[224:225]
	v_fma_f64 v[2:3], v[106:107], v[226:227], -v[2:3]
	v_add_f64 v[0:1], v[0:1], v[2:3]
	s_waitcnt vmcnt(6) lgkmcnt(0)
	v_mul_f64 v[116:117], v[110:111], v[228:229]
	v_mul_f64 v[2:3], v[112:113], v[228:229]
	s_waitcnt vmcnt(4)
	v_fmac_f64_e32 v[116:117], v[112:113], v[230:231]
	v_add_f64 v[240:241], v[114:115], v[116:117]
	ds_read_b128 v[114:117], v232 offset:1936
	v_fma_f64 v[2:3], v[110:111], v[230:231], -v[2:3]
	v_add_f64 v[0:1], v[0:1], v[2:3]
	s_waitcnt vmcnt(2) lgkmcnt(0)
	v_mul_f64 v[248:249], v[114:115], v[242:243]
	s_waitcnt vmcnt(0)
	v_fmac_f64_e32 v[248:249], v[116:117], v[244:245]
	v_add_f64 v[240:241], v[240:241], v[248:249]
	buffer_load_dword v248, off, s[0:3], 0 offset:192
	buffer_load_dword v249, off, s[0:3], 0 offset:196
	;; [unrolled: 1-line block ×4, first 2 shown]
	v_mul_f64 v[2:3], v[116:117], v[242:243]
	v_fma_f64 v[2:3], v[114:115], v[244:245], -v[2:3]
	v_add_f64 v[0:1], v[0:1], v[2:3]
	s_waitcnt vmcnt(2)
	v_add_f64 v[0:1], v[248:249], -v[0:1]
	s_waitcnt vmcnt(0)
	v_add_f64 v[2:3], v[246:247], -v[240:241]
	buffer_store_dword v1, off, s[0:3], 0 offset:196
	buffer_store_dword v0, off, s[0:3], 0 offset:192
	;; [unrolled: 1-line block ×4, first 2 shown]
	s_and_saveexec_b64 s[4:5], vcc
	s_cbranch_execz .LBB60_371
; %bb.370:
	v_accvgpr_read_b32 v0, a172
	buffer_load_dword v2, v0, s[0:3], 0 offen
	buffer_load_dword v3, v0, s[0:3], 0 offen offset:4
	buffer_load_dword v4, v0, s[0:3], 0 offen offset:8
	;; [unrolled: 1-line block ×3, first 2 shown]
	v_accvgpr_read_b32 v0, a183
	buffer_store_dword v232, off, s[0:3], 0 offset:176
	buffer_store_dword v232, off, s[0:3], 0 offset:180
	;; [unrolled: 1-line block ×4, first 2 shown]
	s_waitcnt vmcnt(4)
	ds_write_b128 v0, v[2:5]
.LBB60_371:
	s_or_b64 exec, exec, s[4:5]
	s_waitcnt lgkmcnt(0)
	; wave barrier
	s_waitcnt lgkmcnt(0)
	buffer_load_dword v34, off, s[0:3], 0 offset:192
	buffer_load_dword v35, off, s[0:3], 0 offset:196
	;; [unrolled: 1-line block ×42, first 2 shown]
	ds_read_b128 v[42:45], v232 offset:1152
	ds_read_b128 v[108:111], v232 offset:1168
	;; [unrolled: 1-line block ×10, first 2 shown]
	buffer_load_dword v1, off, s[0:3], 0 offset:340
	buffer_load_dword v0, off, s[0:3], 0 offset:336
	ds_read_b128 v[46:49], v232 offset:1312
	buffer_load_dword v85, off, s[0:3], 0 offset:396
	buffer_load_dword v84, off, s[0:3], 0 offset:392
	;; [unrolled: 1-line block ×6, first 2 shown]
	s_waitcnt vmcnt(46) lgkmcnt(10)
	v_mul_f64 v[2:3], v[42:43], v[36:37]
	v_fmac_f64_e32 v[2:3], v[44:45], v[34:35]
	v_add_f64 v[2:3], v[2:3], 0
	v_mul_f64 v[36:37], v[44:45], v[36:37]
	s_waitcnt vmcnt(42) lgkmcnt(9)
	v_mul_f64 v[4:5], v[108:109], v[40:41]
	v_fmac_f64_e32 v[4:5], v[110:111], v[38:39]
	s_waitcnt vmcnt(40) lgkmcnt(8)
	v_mul_f64 v[6:7], v[112:113], v[160:161]
	v_add_f64 v[2:3], v[2:3], v[4:5]
	s_waitcnt vmcnt(38) lgkmcnt(6)
	v_mul_f64 v[10:11], v[172:173], v[52:53]
	v_mul_f64 v[52:53], v[174:175], v[52:53]
	s_waitcnt vmcnt(36)
	v_fmac_f64_e32 v[10:11], v[174:175], v[54:55]
	s_waitcnt vmcnt(34)
	v_mul_f64 v[8:9], v[168:169], v[56:57]
	v_mul_f64 v[56:57], v[170:171], v[56:57]
	s_waitcnt vmcnt(32) lgkmcnt(4)
	v_mul_f64 v[14:15], v[184:185], v[58:59]
	s_waitcnt vmcnt(30)
	v_fmac_f64_e32 v[14:15], v[186:187], v[60:61]
	s_waitcnt vmcnt(28)
	v_mul_f64 v[12:13], v[180:181], v[202:203]
	s_waitcnt vmcnt(26) lgkmcnt(2)
	v_mul_f64 v[18:19], v[192:193], v[64:65]
	s_waitcnt vmcnt(23)
	v_mul_f64 v[16:17], v[188:189], v[70:71]
	s_waitcnt vmcnt(21) lgkmcnt(1)
	v_mul_f64 v[20:21], v[196:197], v[68:69]
	s_waitcnt vmcnt(19)
	v_fmac_f64_e32 v[6:7], v[114:115], v[78:79]
	v_add_f64 v[2:3], v[2:3], v[6:7]
	s_waitcnt vmcnt(17)
	v_fmac_f64_e32 v[8:9], v[170:171], v[76:77]
	v_add_f64 v[2:3], v[2:3], v[8:9]
	;; [unrolled: 3-line block ×3, first 2 shown]
	v_add_f64 v[2:3], v[2:3], v[12:13]
	s_waitcnt vmcnt(13)
	v_fmac_f64_e32 v[16:17], v[190:191], v[72:73]
	v_add_f64 v[2:3], v[2:3], v[14:15]
	s_waitcnt vmcnt(12)
	v_fmac_f64_e32 v[18:19], v[194:195], v[66:67]
	v_add_f64 v[2:3], v[2:3], v[16:17]
	v_add_f64 v[6:7], v[2:3], v[18:19]
	buffer_load_dword v151, off, s[0:3], 0 offset:372
	buffer_load_dword v150, off, s[0:3], 0 offset:368
	;; [unrolled: 1-line block ×36, first 2 shown]
	s_waitcnt vmcnt(42)
	v_fmac_f64_e32 v[20:21], v[198:199], v[0:1]
	s_waitcnt lgkmcnt(0)
	v_mul_f64 v[8:9], v[46:47], v[80:81]
	v_add_f64 v[6:7], v[6:7], v[20:21]
	v_fmac_f64_e32 v[8:9], v[48:49], v[82:83]
	v_add_f64 v[6:7], v[6:7], v[8:9]
	v_fma_f64 v[210:211], v[168:169], v[76:77], -v[56:57]
	v_fma_f64 v[76:77], v[172:173], v[54:55], -v[52:53]
	v_mul_f64 v[52:53], v[182:183], v[202:203]
	v_fma_f64 v[74:75], v[180:181], v[74:75], -v[52:53]
	v_mul_f64 v[52:53], v[186:187], v[58:59]
	s_waitcnt vmcnt(0)
	v_pk_mov_b32 v[18:19], v[4:5], v[4:5] op_sel:[0,1]
	buffer_load_dword v5, off, s[0:3], 0 offset:548
	buffer_load_dword v4, off, s[0:3], 0 offset:544
	v_accvgpr_write_b32 a189, v19
	v_accvgpr_write_b32 a188, v18
	s_waitcnt vmcnt(0)
	v_pk_mov_b32 v[22:23], v[4:5], v[4:5] op_sel:[0,1]
	buffer_load_dword v5, off, s[0:3], 0 offset:540
	buffer_load_dword v4, off, s[0:3], 0 offset:536
	v_accvgpr_write_b32 a191, v23
	v_accvgpr_write_b32 a190, v22
	;; [unrolled: 6-line block ×9, first 2 shown]
	s_waitcnt vmcnt(0)
	v_pk_mov_b32 v[164:165], v[4:5], v[4:5] op_sel:[0,1]
	buffer_load_dword v147, off, s[0:3], 0 offset:604
	buffer_load_dword v146, off, s[0:3], 0 offset:600
	;; [unrolled: 1-line block ×6, first 2 shown]
	v_accvgpr_write_b32 a203, v165
	v_accvgpr_write_b32 a202, v164
	s_waitcnt vmcnt(0)
	v_pk_mov_b32 v[166:167], v[4:5], v[4:5] op_sel:[0,1]
	buffer_load_dword v5, off, s[0:3], 0 offset:644
	buffer_load_dword v4, off, s[0:3], 0 offset:640
	v_accvgpr_write_b32 a205, v167
	v_accvgpr_write_b32 a204, v166
	s_waitcnt vmcnt(0)
	v_pk_mov_b32 v[176:177], v[4:5], v[4:5] op_sel:[0,1]
	buffer_load_dword v153, off, s[0:3], 0 offset:636
	buffer_load_dword v152, off, s[0:3], 0 offset:632
	;; [unrolled: 1-line block ×6, first 2 shown]
	v_accvgpr_write_b32 a207, v177
	v_accvgpr_write_b32 a206, v176
	s_waitcnt vmcnt(0)
	v_pk_mov_b32 v[212:213], v[4:5], v[4:5] op_sel:[0,1]
	buffer_load_dword v5, off, s[0:3], 0 offset:676
	buffer_load_dword v4, off, s[0:3], 0 offset:672
	;; [unrolled: 1-line block ×6, first 2 shown]
	ds_read_b128 v[204:207], v232 offset:1328
	ds_read_b128 v[216:219], v232 offset:1344
	;; [unrolled: 1-line block ×6, first 2 shown]
	s_waitcnt lgkmcnt(5)
	v_mul_f64 v[8:9], v[204:205], v[116:117]
	v_fmac_f64_e32 v[8:9], v[206:207], v[150:151]
	v_add_f64 v[6:7], v[6:7], v[8:9]
	s_waitcnt lgkmcnt(4)
	v_mul_f64 v[8:9], v[216:217], v[84:85]
	v_fmac_f64_e32 v[8:9], v[218:219], v[86:87]
	v_add_f64 v[6:7], v[6:7], v[8:9]
	;; [unrolled: 4-line block ×3, first 2 shown]
	s_waitcnt lgkmcnt(2)
	v_mul_f64 v[8:9], v[224:225], v[250:251]
	v_fmac_f64_e32 v[8:9], v[226:227], v[200:201]
	ds_read_b128 v[238:241], v232 offset:1424
	ds_read_b128 v[242:245], v232 offset:1440
	v_add_f64 v[6:7], v[6:7], v[8:9]
	s_waitcnt lgkmcnt(3)
	v_mul_f64 v[8:9], v[228:229], v[2:3]
	v_fmac_f64_e32 v[8:9], v[230:231], v[62:63]
	v_add_f64 v[6:7], v[6:7], v[8:9]
	s_waitcnt lgkmcnt(2)
	v_mul_f64 v[8:9], v[234:235], v[100:101]
	v_fmac_f64_e32 v[8:9], v[236:237], v[102:103]
	ds_read_b128 v[246:249], v232 offset:1456
	ds_read_b128 v[252:255], v232 offset:1472
	v_add_f64 v[6:7], v[6:7], v[8:9]
	s_waitcnt lgkmcnt(3)
	v_mul_f64 v[8:9], v[238:239], v[104:105]
	v_fmac_f64_e32 v[8:9], v[240:241], v[106:107]
	v_add_f64 v[6:7], v[6:7], v[8:9]
	s_waitcnt lgkmcnt(2)
	v_mul_f64 v[8:9], v[242:243], v[88:89]
	ds_read_b128 v[142:145], v232 offset:1488
	ds_read_b128 v[138:141], v232 offset:1504
	v_fmac_f64_e32 v[8:9], v[244:245], v[92:93]
	v_add_f64 v[6:7], v[6:7], v[8:9]
	s_waitcnt lgkmcnt(3)
	v_mul_f64 v[8:9], v[246:247], v[90:91]
	ds_read_b128 v[134:137], v232 offset:1520
	ds_read_b128 v[130:133], v232 offset:1536
	;; [unrolled: 6-line block ×3, first 2 shown]
	v_fmac_f64_e32 v[8:9], v[254:255], v[96:97]
	s_waitcnt lgkmcnt(5)
	v_mul_f64 v[12:13], v[142:143], v[14:15]
	v_add_f64 v[10:11], v[6:7], v[8:9]
	v_fmac_f64_e32 v[12:13], v[144:145], v[16:17]
	s_waitcnt lgkmcnt(4)
	v_mul_f64 v[16:17], v[138:139], v[18:19]
	v_add_f64 v[14:15], v[10:11], v[12:13]
	v_fmac_f64_e32 v[16:17], v[140:141], v[22:23]
	s_waitcnt lgkmcnt(3)
	v_mul_f64 v[20:21], v[134:135], v[24:25]
	v_add_f64 v[18:19], v[14:15], v[16:17]
	v_fmac_f64_e32 v[20:21], v[136:137], v[30:31]
	s_waitcnt lgkmcnt(2)
	v_mul_f64 v[24:25], v[130:131], v[26:27]
	v_add_f64 v[22:23], v[18:19], v[20:21]
	v_fmac_f64_e32 v[24:25], v[132:133], v[28:29]
	s_waitcnt lgkmcnt(1)
	v_mul_f64 v[28:29], v[126:127], v[146:147]
	v_add_f64 v[26:27], v[22:23], v[24:25]
	v_fmac_f64_e32 v[28:29], v[128:129], v[148:149]
	s_waitcnt lgkmcnt(0)
	v_mul_f64 v[32:33], v[122:123], v[162:163]
	v_add_f64 v[30:31], v[26:27], v[28:29]
	ds_read_b128 v[118:121], v232 offset:1584
	v_fmac_f64_e32 v[32:33], v[124:125], v[164:165]
	v_add_f64 v[162:163], v[30:31], v[32:33]
	ds_read_b128 v[30:33], v232 offset:1600
	v_fma_f64 v[22:23], v[42:43], v[34:35], -v[36:37]
	ds_read_b128 v[34:37], v232 offset:1616
	s_waitcnt lgkmcnt(2)
	v_mul_f64 v[42:43], v[118:119], v[152:153]
	v_fmac_f64_e32 v[42:43], v[120:121], v[154:155]
	s_waitcnt lgkmcnt(1)
	v_mul_f64 v[44:45], v[30:31], v[166:167]
	v_add_f64 v[42:43], v[162:163], v[42:43]
	v_fmac_f64_e32 v[44:45], v[32:33], v[176:177]
	v_add_f64 v[42:43], v[42:43], v[44:45]
	v_mul_f64 v[8:9], v[110:111], v[40:41]
	v_fma_f64 v[18:19], v[108:109], v[38:39], -v[8:9]
	v_mul_f64 v[108:109], v[114:115], v[160:161]
	s_waitcnt vmcnt(2) lgkmcnt(0)
	v_mul_f64 v[44:45], v[34:35], v[156:157]
	v_fma_f64 v[14:15], v[184:185], v[60:61], -v[52:53]
	s_waitcnt vmcnt(0)
	v_fmac_f64_e32 v[44:45], v[36:37], v[158:159]
	v_add_f64 v[24:25], v[42:43], v[44:45]
	ds_read_b128 v[42:45], v232 offset:1632
	ds_read_b128 v[38:41], v232 offset:1648
	buffer_load_dword v160, off, s[0:3], 0 offset:712
	buffer_load_dword v165, off, s[0:3], 0 offset:700
	;; [unrolled: 1-line block ×28, first 2 shown]
	v_mul_f64 v[52:53], v[190:191], v[70:71]
	v_mul_f64 v[16:17], v[194:195], v[64:65]
	buffer_load_dword v190, off, s[0:3], 0 offset:808
	v_fma_f64 v[16:17], v[192:193], v[66:67], -v[16:17]
	buffer_load_dword v192, off, s[0:3], 0 offset:800
	buffer_load_dword v191, off, s[0:3], 0 offset:812
	;; [unrolled: 1-line block ×3, first 2 shown]
	v_fma_f64 v[10:11], v[188:189], v[72:73], -v[52:53]
	v_mul_f64 v[52:53], v[198:199], v[68:69]
	v_fma_f64 v[8:9], v[196:197], v[0:1], -v[52:53]
	buffer_load_dword v189, off, s[0:3], 0 offset:844
	buffer_load_dword v195, off, s[0:3], 0 offset:828
	;; [unrolled: 1-line block ×12, first 2 shown]
	v_mul_f64 v[20:21], v[48:49], v[80:81]
	v_accvgpr_write_b32 a208, v212
	v_fma_f64 v[20:21], v[46:47], v[82:83], -v[20:21]
	v_mul_f64 v[46:47], v[206:207], v[116:117]
	s_waitcnt lgkmcnt(1)
	v_mul_f64 v[12:13], v[42:43], v[212:213]
	v_accvgpr_write_b32 a209, v213
	v_fma_f64 v[6:7], v[204:205], v[150:151], -v[46:47]
	buffer_load_dword v206, off, s[0:3], 0 offset:872
	buffer_load_dword v150, off, s[0:3], 0 offset:864
	;; [unrolled: 1-line block ×12, first 2 shown]
	v_fmac_f64_e32 v[12:13], v[44:45], v[4:5]
	v_accvgpr_write_b32 a211, v5
	v_accvgpr_write_b32 a210, v4
	v_add_f64 v[4:5], v[24:25], v[12:13]
	v_mul_f64 v[12:13], v[218:219], v[84:85]
	v_fma_f64 v[12:13], v[216:217], v[86:87], -v[12:13]
	buffer_load_dword v217, off, s[0:3], 0 offset:924
	buffer_load_dword v216, off, s[0:3], 0 offset:920
	;; [unrolled: 1-line block ×4, first 2 shown]
	ds_read_b128 v[46:49], v232 offset:1664
	v_mul_f64 v[58:59], v[226:227], v[250:251]
	v_fma_f64 v[200:201], v[224:225], v[200:201], -v[58:59]
	v_mul_f64 v[2:3], v[230:231], v[2:3]
	ds_read_b128 v[70:73], v232 offset:1760
	v_mul_f64 v[82:83], v[244:245], v[88:89]
	v_fma_f64 v[0:1], v[242:243], v[92:93], -v[82:83]
	v_mul_f64 v[88:89], v[248:249], v[90:91]
	ds_read_b128 v[90:93], v232 offset:1824
	v_mul_f64 v[94:95], v[254:255], v[94:95]
	v_fma_f64 v[252:253], v[252:253], v[96:97], -v[94:95]
	ds_read_b128 v[94:97], v232 offset:1856
	v_fma_f64 v[78:79], v[112:113], v[78:79], -v[108:109]
	v_add_f64 v[22:23], v[22:23], 0
	v_add_f64 v[18:19], v[22:23], v[18:19]
	;; [unrolled: 1-line block ×13, first 2 shown]
	v_accvgpr_read_b32 v8, a186
	v_accvgpr_read_b32 v9, a187
	ds_read_b128 v[58:61], v232 offset:1712
	ds_read_b128 v[82:85], v232 offset:1808
	s_waitcnt vmcnt(57) lgkmcnt(6)
	v_mul_f64 v[24:25], v[38:39], v[164:165]
	s_waitcnt vmcnt(55)
	v_fmac_f64_e32 v[24:25], v[40:41], v[166:167]
	v_add_f64 v[4:5], v[4:5], v[24:25]
	v_mul_f64 v[24:25], v[222:223], v[208:209]
	v_fma_f64 v[24:25], v[220:221], v[50:51], -v[24:25]
	ds_read_b128 v[50:53], v232 offset:1680
	s_waitcnt vmcnt(53) lgkmcnt(6)
	v_mul_f64 v[54:55], v[46:47], v[160:161]
	s_waitcnt vmcnt(52)
	v_fmac_f64_e32 v[54:55], v[48:49], v[168:169]
	v_add_f64 v[4:5], v[4:5], v[54:55]
	ds_read_b128 v[54:57], v232 offset:1696
	s_waitcnt vmcnt(48) lgkmcnt(1)
	v_mul_f64 v[64:65], v[50:51], v[176:177]
	s_waitcnt vmcnt(46)
	v_fmac_f64_e32 v[64:65], v[52:53], v[178:179]
	v_add_f64 v[4:5], v[4:5], v[64:65]
	v_fma_f64 v[208:209], v[228:229], v[62:63], -v[2:3]
	ds_read_b128 v[62:65], v232 offset:1728
	s_waitcnt lgkmcnt(1)
	v_mul_f64 v[66:67], v[54:55], v[162:163]
	s_waitcnt vmcnt(44)
	v_fmac_f64_e32 v[66:67], v[56:57], v[174:175]
	v_add_f64 v[2:3], v[4:5], v[66:67]
	ds_read_b128 v[66:69], v232 offset:1744
	s_waitcnt vmcnt(40)
	v_mul_f64 v[4:5], v[58:59], v[180:181]
	s_waitcnt vmcnt(38)
	v_fmac_f64_e32 v[4:5], v[60:61], v[182:183]
	v_add_f64 v[2:3], v[2:3], v[4:5]
	s_waitcnt vmcnt(37) lgkmcnt(1)
	v_mul_f64 v[4:5], v[62:63], v[170:171]
	s_waitcnt vmcnt(36)
	v_fmac_f64_e32 v[4:5], v[64:65], v[172:173]
	v_add_f64 v[2:3], v[2:3], v[4:5]
	v_mul_f64 v[4:5], v[236:237], v[100:101]
	v_fma_f64 v[250:251], v[234:235], v[102:103], -v[4:5]
	s_waitcnt vmcnt(34) lgkmcnt(0)
	v_mul_f64 v[4:5], v[66:67], v[184:185]
	s_waitcnt vmcnt(32)
	v_fmac_f64_e32 v[4:5], v[68:69], v[186:187]
	v_add_f64 v[2:3], v[2:3], v[4:5]
	v_mul_f64 v[4:5], v[240:241], v[104:105]
	v_fma_f64 v[240:241], v[238:239], v[106:107], -v[4:5]
	ds_read_b128 v[234:237], v232 offset:1776
	s_waitcnt vmcnt(29)
	v_mul_f64 v[4:5], v[70:71], v[190:191]
	s_waitcnt vmcnt(28)
	v_fmac_f64_e32 v[4:5], v[72:73], v[192:193]
	v_add_f64 v[86:87], v[2:3], v[4:5]
	ds_read_b128 v[2:5], v232 offset:1792
	s_waitcnt vmcnt(25) lgkmcnt(1)
	v_mul_f64 v[28:29], v[234:235], v[194:195]
	s_waitcnt vmcnt(23)
	v_fmac_f64_e32 v[28:29], v[236:237], v[26:27]
	v_add_f64 v[28:29], v[86:87], v[28:29]
	v_fma_f64 v[238:239], v[246:247], v[98:99], -v[88:89]
	s_waitcnt vmcnt(22) lgkmcnt(0)
	v_mul_f64 v[86:87], v[2:3], v[188:189]
	s_waitcnt vmcnt(20)
	v_fmac_f64_e32 v[86:87], v[4:5], v[198:199]
	v_add_f64 v[28:29], v[28:29], v[86:87]
	s_waitcnt vmcnt(18)
	v_mul_f64 v[86:87], v[82:83], v[196:197]
	s_waitcnt vmcnt(16)
	v_fmac_f64_e32 v[86:87], v[84:85], v[202:203]
	v_add_f64 v[28:29], v[28:29], v[86:87]
	ds_read_b128 v[86:89], v232 offset:1840
	s_waitcnt vmcnt(13)
	v_mul_f64 v[98:99], v[90:91], v[206:207]
	s_waitcnt vmcnt(12)
	v_fmac_f64_e32 v[98:99], v[92:93], v[150:151]
	v_add_f64 v[28:29], v[28:29], v[98:99]
	v_add_f64 v[6:7], v[6:7], v[24:25]
	s_waitcnt vmcnt(9) lgkmcnt(0)
	v_mul_f64 v[98:99], v[86:87], v[212:213]
	s_waitcnt vmcnt(7)
	v_fmac_f64_e32 v[98:99], v[88:89], v[214:215]
	v_add_f64 v[28:29], v[28:29], v[98:99]
	s_waitcnt vmcnt(5)
	v_mul_f64 v[98:99], v[94:95], v[204:205]
	s_waitcnt vmcnt(4)
	v_fmac_f64_e32 v[98:99], v[96:97], v[80:81]
	v_add_f64 v[28:29], v[28:29], v[98:99]
	ds_read_b128 v[98:101], v232 offset:1872
	buffer_load_dword v220, off, s[0:3], 0 offset:936
	buffer_load_dword v221, off, s[0:3], 0 offset:940
	;; [unrolled: 1-line block ×4, first 2 shown]
	v_add_f64 v[6:7], v[6:7], v[200:201]
	v_add_f64 v[6:7], v[6:7], v[208:209]
	;; [unrolled: 1-line block ×3, first 2 shown]
	s_waitcnt vmcnt(6) lgkmcnt(0)
	v_mul_f64 v[102:103], v[98:99], v[216:217]
	s_waitcnt vmcnt(4)
	v_fmac_f64_e32 v[102:103], v[100:101], v[218:219]
	v_add_f64 v[28:29], v[28:29], v[102:103]
	ds_read_b128 v[102:105], v232 offset:1888
	buffer_load_dword v225, off, s[0:3], 0 offset:956
	buffer_load_dword v224, off, s[0:3], 0 offset:952
	;; [unrolled: 1-line block ×4, first 2 shown]
	v_add_f64 v[6:7], v[6:7], v[240:241]
	v_add_f64 v[254:255], v[6:7], v[0:1]
	v_accvgpr_read_b32 v6, a184
	v_accvgpr_read_b32 v7, a185
	v_add_f64 v[0:1], v[254:255], v[238:239]
	v_mul_f64 v[6:7], v[144:145], v[6:7]
	v_add_f64 v[0:1], v[0:1], v[252:253]
	v_fma_f64 v[6:7], v[142:143], v[8:9], -v[6:7]
	v_add_f64 v[0:1], v[0:1], v[6:7]
	v_accvgpr_read_b32 v6, a188
	v_accvgpr_read_b32 v7, a189
	v_accvgpr_read_b32 v8, a190
	v_mul_f64 v[6:7], v[140:141], v[6:7]
	v_accvgpr_read_b32 v9, a191
	v_fma_f64 v[6:7], v[138:139], v[8:9], -v[6:7]
	v_add_f64 v[0:1], v[0:1], v[6:7]
	v_accvgpr_read_b32 v6, a192
	v_accvgpr_read_b32 v7, a193
	v_accvgpr_read_b32 v8, a194
	v_mul_f64 v[6:7], v[136:137], v[6:7]
	v_accvgpr_read_b32 v9, a195
	;; [unrolled: 7-line block ×3, first 2 shown]
	v_fma_f64 v[6:7], v[130:131], v[8:9], -v[6:7]
	v_add_f64 v[0:1], v[0:1], v[6:7]
	v_mul_f64 v[6:7], v[128:129], v[146:147]
	v_fma_f64 v[6:7], v[126:127], v[148:149], -v[6:7]
	v_add_f64 v[0:1], v[0:1], v[6:7]
	v_accvgpr_read_b32 v6, a200
	v_accvgpr_read_b32 v7, a201
	v_accvgpr_read_b32 v8, a202
	v_mul_f64 v[6:7], v[124:125], v[6:7]
	v_accvgpr_read_b32 v9, a203
	v_fma_f64 v[6:7], v[122:123], v[8:9], -v[6:7]
	v_add_f64 v[0:1], v[0:1], v[6:7]
	v_mul_f64 v[6:7], v[120:121], v[152:153]
	v_fma_f64 v[6:7], v[118:119], v[154:155], -v[6:7]
	v_add_f64 v[0:1], v[0:1], v[6:7]
	v_accvgpr_read_b32 v6, a204
	v_accvgpr_read_b32 v7, a205
	v_accvgpr_read_b32 v8, a206
	v_mul_f64 v[6:7], v[32:33], v[6:7]
	v_accvgpr_read_b32 v9, a207
	;; [unrolled: 10-line block ×3, first 2 shown]
	v_fma_f64 v[6:7], v[42:43], v[8:9], -v[6:7]
	v_add_f64 v[0:1], v[0:1], v[6:7]
	v_mul_f64 v[6:7], v[40:41], v[164:165]
	v_fma_f64 v[6:7], v[38:39], v[166:167], -v[6:7]
	v_add_f64 v[0:1], v[0:1], v[6:7]
	v_mul_f64 v[6:7], v[48:49], v[160:161]
	v_fma_f64 v[6:7], v[46:47], v[168:169], -v[6:7]
	v_add_f64 v[0:1], v[0:1], v[6:7]
	v_mul_f64 v[6:7], v[52:53], v[176:177]
	v_fma_f64 v[6:7], v[50:51], v[178:179], -v[6:7]
	v_add_f64 v[0:1], v[0:1], v[6:7]
	s_waitcnt vmcnt(6) lgkmcnt(0)
	v_mul_f64 v[106:107], v[102:103], v[220:221]
	v_mul_f64 v[6:7], v[56:57], v[162:163]
	s_waitcnt vmcnt(4)
	v_fmac_f64_e32 v[106:107], v[104:105], v[222:223]
	v_add_f64 v[28:29], v[28:29], v[106:107]
	ds_read_b128 v[106:109], v232 offset:1904
	buffer_load_dword v228, off, s[0:3], 0 offset:968
	buffer_load_dword v229, off, s[0:3], 0 offset:972
	;; [unrolled: 1-line block ×4, first 2 shown]
	v_fma_f64 v[6:7], v[54:55], v[174:175], -v[6:7]
	v_add_f64 v[0:1], v[0:1], v[6:7]
	v_mul_f64 v[6:7], v[60:61], v[180:181]
	s_waitcnt vmcnt(6) lgkmcnt(0)
	v_mul_f64 v[110:111], v[106:107], v[224:225]
	s_waitcnt vmcnt(4)
	v_fmac_f64_e32 v[110:111], v[108:109], v[226:227]
	v_add_f64 v[28:29], v[28:29], v[110:111]
	ds_read_b128 v[110:113], v232 offset:1920
	buffer_load_dword v243, off, s[0:3], 0 offset:988
	buffer_load_dword v242, off, s[0:3], 0 offset:984
	;; [unrolled: 1-line block ×4, first 2 shown]
	v_fma_f64 v[6:7], v[58:59], v[182:183], -v[6:7]
	v_add_f64 v[0:1], v[0:1], v[6:7]
	v_mul_f64 v[6:7], v[64:65], v[170:171]
	v_fma_f64 v[6:7], v[62:63], v[172:173], -v[6:7]
	v_add_f64 v[0:1], v[0:1], v[6:7]
	v_mul_f64 v[6:7], v[68:69], v[184:185]
	;; [unrolled: 3-line block ×4, first 2 shown]
	v_fma_f64 v[6:7], v[234:235], v[26:27], -v[6:7]
	v_mul_f64 v[4:5], v[4:5], v[188:189]
	v_add_f64 v[0:1], v[0:1], v[6:7]
	v_fma_f64 v[2:3], v[2:3], v[198:199], -v[4:5]
	v_add_f64 v[0:1], v[0:1], v[2:3]
	v_mul_f64 v[2:3], v[84:85], v[196:197]
	v_fma_f64 v[2:3], v[82:83], v[202:203], -v[2:3]
	v_add_f64 v[0:1], v[0:1], v[2:3]
	v_mul_f64 v[2:3], v[92:93], v[206:207]
	;; [unrolled: 3-line block ×7, first 2 shown]
	v_fma_f64 v[2:3], v[106:107], v[226:227], -v[2:3]
	v_add_f64 v[0:1], v[0:1], v[2:3]
	v_accvgpr_read_b32 v155, a182
	v_cmp_lt_u32_e32 vcc, 9, v155
	s_waitcnt vmcnt(6) lgkmcnt(0)
	v_mul_f64 v[114:115], v[110:111], v[228:229]
	v_mul_f64 v[2:3], v[112:113], v[228:229]
	s_waitcnt vmcnt(4)
	v_fmac_f64_e32 v[114:115], v[112:113], v[230:231]
	v_add_f64 v[28:29], v[28:29], v[114:115]
	ds_read_b128 v[114:117], v232 offset:1936
	buffer_load_dword v248, off, s[0:3], 0 offset:176
	buffer_load_dword v249, off, s[0:3], 0 offset:180
	;; [unrolled: 1-line block ×4, first 2 shown]
	v_fma_f64 v[2:3], v[110:111], v[230:231], -v[2:3]
	v_add_f64 v[0:1], v[0:1], v[2:3]
	s_waitcnt vmcnt(6) lgkmcnt(0)
	v_mul_f64 v[2:3], v[116:117], v[242:243]
	v_mul_f64 v[232:233], v[114:115], v[242:243]
	s_waitcnt vmcnt(4)
	v_fma_f64 v[2:3], v[114:115], v[244:245], -v[2:3]
	v_fmac_f64_e32 v[232:233], v[116:117], v[244:245]
	v_add_f64 v[0:1], v[0:1], v[2:3]
	v_add_f64 v[232:233], v[28:29], v[232:233]
	s_waitcnt vmcnt(2)
	v_add_f64 v[0:1], v[248:249], -v[0:1]
	s_waitcnt vmcnt(0)
	v_add_f64 v[2:3], v[246:247], -v[232:233]
	buffer_store_dword v1, off, s[0:3], 0 offset:180
	buffer_store_dword v0, off, s[0:3], 0 offset:176
	buffer_store_dword v3, off, s[0:3], 0 offset:188
	buffer_store_dword v2, off, s[0:3], 0 offset:184
	s_and_saveexec_b64 s[4:5], vcc
	s_cbranch_execz .LBB60_373
; %bb.372:
	v_accvgpr_read_b32 v0, a173
	buffer_load_dword v2, v0, s[0:3], 0 offen
	buffer_load_dword v3, v0, s[0:3], 0 offen offset:4
	buffer_load_dword v4, v0, s[0:3], 0 offen offset:8
	;; [unrolled: 1-line block ×3, first 2 shown]
	v_mov_b32_e32 v0, 0
	v_accvgpr_read_b32 v1, a183
	buffer_store_dword v0, off, s[0:3], 0 offset:160
	buffer_store_dword v0, off, s[0:3], 0 offset:164
	;; [unrolled: 1-line block ×4, first 2 shown]
	s_waitcnt vmcnt(4)
	ds_write_b128 v1, v[2:5]
.LBB60_373:
	s_or_b64 exec, exec, s[4:5]
	s_waitcnt lgkmcnt(0)
	; wave barrier
	s_waitcnt lgkmcnt(0)
	buffer_load_dword v30, off, s[0:3], 0 offset:176
	buffer_load_dword v31, off, s[0:3], 0 offset:180
	buffer_load_dword v32, off, s[0:3], 0 offset:184
	buffer_load_dword v33, off, s[0:3], 0 offset:188
	buffer_load_dword v36, off, s[0:3], 0 offset:192
	buffer_load_dword v37, off, s[0:3], 0 offset:196
	buffer_load_dword v38, off, s[0:3], 0 offset:200
	buffer_load_dword v39, off, s[0:3], 0 offset:204
	buffer_load_dword v34, off, s[0:3], 0 offset:216
	buffer_load_dword v35, off, s[0:3], 0 offset:220
	buffer_load_dword v41, off, s[0:3], 0 offset:252
	buffer_load_dword v40, off, s[0:3], 0 offset:248
	buffer_load_dword v43, off, s[0:3], 0 offset:244
	buffer_load_dword v42, off, s[0:3], 0 offset:240
	buffer_load_dword v45, off, s[0:3], 0 offset:236
	buffer_load_dword v44, off, s[0:3], 0 offset:232
	buffer_load_dword v49, off, s[0:3], 0 offset:284
	buffer_load_dword v48, off, s[0:3], 0 offset:280
	buffer_load_dword v51, off, s[0:3], 0 offset:276
	buffer_load_dword v50, off, s[0:3], 0 offset:272
	buffer_load_dword v57, off, s[0:3], 0 offset:268
	buffer_load_dword v56, off, s[0:3], 0 offset:264
	buffer_load_dword v53, off, s[0:3], 0 offset:300
	buffer_load_dword v52, off, s[0:3], 0 offset:296
	buffer_load_dword v62, off, s[0:3], 0 offset:208
	buffer_load_dword v63, off, s[0:3], 0 offset:212
	buffer_load_dword v61, off, s[0:3], 0 offset:228
	buffer_load_dword v60, off, s[0:3], 0 offset:224
	buffer_load_dword v59, off, s[0:3], 0 offset:260
	buffer_load_dword v58, off, s[0:3], 0 offset:256
	buffer_load_dword v55, off, s[0:3], 0 offset:292
	buffer_load_dword v54, off, s[0:3], 0 offset:288
	buffer_load_dword v46, off, s[0:3], 0 offset:312
	buffer_load_dword v64, off, s[0:3], 0 offset:304
	buffer_load_dword v65, off, s[0:3], 0 offset:308
	buffer_load_dword v47, off, s[0:3], 0 offset:316
	v_mov_b32_e32 v154, 0
	buffer_load_dword v67, off, s[0:3], 0 offset:348
	buffer_load_dword v66, off, s[0:3], 0 offset:344
	;; [unrolled: 1-line block ×18, first 2 shown]
	ds_read_b128 v[114:117], v154 offset:1136
	ds_read_b128 v[158:161], v154 offset:1152
	;; [unrolled: 1-line block ×9, first 2 shown]
	v_cmp_lt_u32_e32 vcc, 8, v155
	s_waitcnt vmcnt(50) lgkmcnt(8)
	v_mul_f64 v[0:1], v[114:115], v[32:33]
	v_fmac_f64_e32 v[0:1], v[116:117], v[30:31]
	v_add_f64 v[0:1], v[0:1], 0
	v_mul_f64 v[32:33], v[116:117], v[32:33]
	s_waitcnt vmcnt(46) lgkmcnt(7)
	v_mul_f64 v[2:3], v[158:159], v[38:39]
	v_fmac_f64_e32 v[2:3], v[160:161], v[36:37]
	v_add_f64 v[0:1], v[0:1], v[2:3]
	buffer_load_dword v109, off, s[0:3], 0 offset:404
	buffer_load_dword v108, off, s[0:3], 0 offset:400
	;; [unrolled: 1-line block ×32, first 2 shown]
	s_waitcnt vmcnt(62) lgkmcnt(6)
	v_mul_f64 v[4:5], v[168:169], v[34:35]
	s_waitcnt lgkmcnt(4)
	v_mul_f64 v[8:9], v[176:177], v[40:41]
	v_fmac_f64_e32 v[8:9], v[178:179], v[42:43]
	v_mul_f64 v[38:39], v[160:161], v[38:39]
	v_mul_f64 v[6:7], v[172:173], v[44:45]
	v_fma_f64 v[212:213], v[158:159], v[36:37], -v[38:39]
	s_waitcnt lgkmcnt(2)
	v_mul_f64 v[12:13], v[184:185], v[48:49]
	v_mul_f64 v[34:35], v[170:171], v[34:35]
	v_fmac_f64_e32 v[12:13], v[186:187], v[50:51]
	v_mul_f64 v[10:11], v[180:181], v[56:57]
	s_waitcnt lgkmcnt(1)
	v_mul_f64 v[14:15], v[188:189], v[52:53]
	s_waitcnt vmcnt(60)
	v_fmac_f64_e32 v[4:5], v[170:171], v[62:63]
	v_add_f64 v[0:1], v[0:1], v[4:5]
	s_waitcnt vmcnt(58)
	v_fmac_f64_e32 v[6:7], v[174:175], v[60:61]
	v_add_f64 v[0:1], v[0:1], v[6:7]
	v_add_f64 v[0:1], v[0:1], v[8:9]
	s_waitcnt vmcnt(56)
	v_fmac_f64_e32 v[10:11], v[182:183], v[58:59]
	v_add_f64 v[0:1], v[0:1], v[10:11]
	v_add_f64 v[0:1], v[0:1], v[12:13]
	s_waitcnt vmcnt(54)
	v_fmac_f64_e32 v[14:15], v[190:191], v[54:55]
	v_add_f64 v[0:1], v[0:1], v[14:15]
	s_waitcnt vmcnt(0)
	v_pk_mov_b32 v[4:5], v[2:3], v[2:3] op_sel:[0,1]
	buffer_load_dword v3, off, s[0:3], 0 offset:532
	buffer_load_dword v2, off, s[0:3], 0 offset:528
	v_accvgpr_write_b32 a185, v5
	v_accvgpr_write_b32 a184, v4
	s_waitcnt vmcnt(0)
	v_pk_mov_b32 v[8:9], v[2:3], v[2:3] op_sel:[0,1]
	buffer_load_dword v95, off, s[0:3], 0 offset:524
	buffer_load_dword v94, off, s[0:3], 0 offset:520
	;; [unrolled: 1-line block ×6, first 2 shown]
	v_accvgpr_write_b32 a187, v9
	v_accvgpr_write_b32 a186, v8
	s_waitcnt vmcnt(0)
	v_pk_mov_b32 v[12:13], v[2:3], v[2:3] op_sel:[0,1]
	buffer_load_dword v3, off, s[0:3], 0 offset:564
	buffer_load_dword v2, off, s[0:3], 0 offset:560
	v_accvgpr_write_b32 a193, v13
	v_accvgpr_write_b32 a192, v12
	s_waitcnt vmcnt(0)
	v_pk_mov_b32 v[16:17], v[2:3], v[2:3] op_sel:[0,1]
	buffer_load_dword v3, off, s[0:3], 0 offset:556
	buffer_load_dword v2, off, s[0:3], 0 offset:552
	v_accvgpr_write_b32 a195, v17
	v_accvgpr_write_b32 a194, v16
	s_waitcnt vmcnt(0)
	v_pk_mov_b32 v[18:19], v[2:3], v[2:3] op_sel:[0,1]
	buffer_load_dword v3, off, s[0:3], 0 offset:548
	buffer_load_dword v2, off, s[0:3], 0 offset:544
	v_accvgpr_write_b32 a189, v19
	v_accvgpr_write_b32 a188, v18
	s_waitcnt vmcnt(0)
	v_pk_mov_b32 v[26:27], v[2:3], v[2:3] op_sel:[0,1]
	buffer_load_dword v3, off, s[0:3], 0 offset:604
	buffer_load_dword v2, off, s[0:3], 0 offset:600
	v_accvgpr_write_b32 a191, v27
	v_accvgpr_write_b32 a190, v26
	s_waitcnt vmcnt(0)
	v_pk_mov_b32 v[20:21], v[2:3], v[2:3] op_sel:[0,1]
	buffer_load_dword v3, off, s[0:3], 0 offset:596
	buffer_load_dword v2, off, s[0:3], 0 offset:592
	v_accvgpr_write_b32 a201, v21
	v_accvgpr_write_b32 a200, v20
	s_waitcnt vmcnt(0)
	v_pk_mov_b32 v[22:23], v[2:3], v[2:3] op_sel:[0,1]
	buffer_load_dword v3, off, s[0:3], 0 offset:588
	buffer_load_dword v2, off, s[0:3], 0 offset:584
	v_accvgpr_write_b32 a203, v23
	v_accvgpr_write_b32 a202, v22
	s_waitcnt vmcnt(0)
	v_pk_mov_b32 v[138:139], v[2:3], v[2:3] op_sel:[0,1]
	buffer_load_dword v3, off, s[0:3], 0 offset:580
	buffer_load_dword v2, off, s[0:3], 0 offset:576
	v_accvgpr_write_b32 a197, v139
	v_accvgpr_write_b32 a196, v138
	s_waitcnt vmcnt(0)
	v_pk_mov_b32 v[140:141], v[2:3], v[2:3] op_sel:[0,1]
	buffer_load_dword v3, off, s[0:3], 0 offset:636
	buffer_load_dword v2, off, s[0:3], 0 offset:632
	v_accvgpr_write_b32 a199, v141
	v_accvgpr_write_b32 a198, v140
	s_waitcnt vmcnt(0)
	v_pk_mov_b32 v[24:25], v[2:3], v[2:3] op_sel:[0,1]
	buffer_load_dword v3, off, s[0:3], 0 offset:628
	buffer_load_dword v2, off, s[0:3], 0 offset:624
	v_accvgpr_write_b32 a209, v25
	v_accvgpr_write_b32 a208, v24
	s_waitcnt vmcnt(0)
	v_pk_mov_b32 v[28:29], v[2:3], v[2:3] op_sel:[0,1]
	buffer_load_dword v3, off, s[0:3], 0 offset:620
	buffer_load_dword v2, off, s[0:3], 0 offset:616
	v_accvgpr_write_b32 a211, v29
	v_accvgpr_write_b32 a210, v28
	s_waitcnt vmcnt(0)
	v_pk_mov_b32 v[142:143], v[2:3], v[2:3] op_sel:[0,1]
	buffer_load_dword v3, off, s[0:3], 0 offset:612
	buffer_load_dword v2, off, s[0:3], 0 offset:608
	ds_read_b128 v[196:199], v154 offset:1280
	ds_read_b128 v[200:203], v154 offset:1296
	;; [unrolled: 1-line block ×8, first 2 shown]
	buffer_load_dword v233, off, s[0:3], 0 offset:668
	buffer_load_dword v149, off, s[0:3], 0 offset:652
	;; [unrolled: 1-line block ×8, first 2 shown]
	ds_read_b128 v[234:237], v154 offset:1408
	ds_read_b128 v[238:241], v154 offset:1424
	;; [unrolled: 1-line block ×10, first 2 shown]
	s_waitcnt lgkmcnt(5)
	v_mul_f64 v[6:7], v[250:251], v[94:95]
	v_fmac_f64_e32 v[6:7], v[252:253], v[96:97]
	s_waitcnt lgkmcnt(4)
	v_mul_f64 v[10:11], v[118:119], v[4:5]
	s_waitcnt lgkmcnt(3)
	v_mul_f64 v[14:15], v[122:123], v[18:19]
	v_fmac_f64_e32 v[10:11], v[120:121], v[8:9]
	v_fmac_f64_e32 v[14:15], v[124:125], v[26:27]
	s_waitcnt lgkmcnt(1)
	v_mul_f64 v[26:27], v[130:131], v[138:139]
	v_mul_f64 v[18:19], v[126:127], v[12:13]
	v_fmac_f64_e32 v[26:27], v[132:133], v[140:141]
	ds_read_b128 v[138:141], v154 offset:1568
	v_fmac_f64_e32 v[18:19], v[128:129], v[16:17]
	v_accvgpr_write_b32 a205, v143
	v_accvgpr_write_b32 a204, v142
	v_mul_f64 v[4:5], v[182:183], v[56:57]
	v_mul_f64 v[94:95], v[252:253], v[94:95]
	v_fma_f64 v[250:251], v[250:251], v[96:97], -v[94:95]
	s_waitcnt vmcnt(8)
	v_pk_mov_b32 v[144:145], v[2:3], v[2:3] op_sel:[0,1]
	v_mul_f64 v[2:3], v[192:193], v[46:47]
	v_fmac_f64_e32 v[2:3], v[194:195], v[64:65]
	v_add_f64 v[0:1], v[0:1], v[2:3]
	v_mul_f64 v[2:3], v[196:197], v[70:71]
	v_fmac_f64_e32 v[2:3], v[198:199], v[72:73]
	v_add_f64 v[0:1], v[0:1], v[2:3]
	;; [unrolled: 3-line block ×13, first 2 shown]
	v_add_f64 v[0:1], v[0:1], v[6:7]
	v_add_f64 v[0:1], v[0:1], v[10:11]
	;; [unrolled: 1-line block ×5, first 2 shown]
	s_waitcnt lgkmcnt(1)
	v_mul_f64 v[26:27], v[134:135], v[20:21]
	v_fmac_f64_e32 v[26:27], v[136:137], v[22:23]
	v_add_f64 v[0:1], v[0:1], v[26:27]
	s_waitcnt lgkmcnt(0)
	v_mul_f64 v[26:27], v[138:139], v[142:143]
	v_accvgpr_write_b32 a207, v145
	v_fmac_f64_e32 v[26:27], v[140:141], v[144:145]
	v_accvgpr_write_b32 a206, v144
	ds_read_b128 v[142:145], v154 offset:1584
	v_add_f64 v[0:1], v[0:1], v[26:27]
	v_fma_f64 v[26:27], v[114:115], v[30:31], -v[32:33]
	ds_read_b128 v[30:33], v154 offset:1600
	buffer_load_dword v157, off, s[0:3], 0 offset:700
	buffer_load_dword v156, off, s[0:3], 0 offset:696
	;; [unrolled: 1-line block ×8, first 2 shown]
	s_waitcnt lgkmcnt(1)
	v_mul_f64 v[114:115], v[142:143], v[24:25]
	v_fmac_f64_e32 v[114:115], v[144:145], v[28:29]
	v_add_f64 v[0:1], v[0:1], v[114:115]
	v_fma_f64 v[114:115], v[168:169], v[62:63], -v[34:35]
	buffer_load_dword v160, off, s[0:3], 0 offset:728
	buffer_load_dword v165, off, s[0:3], 0 offset:716
	buffer_load_dword v164, off, s[0:3], 0 offset:712
	buffer_load_dword v169, off, s[0:3], 0 offset:708
	buffer_load_dword v168, off, s[0:3], 0 offset:704
	v_mul_f64 v[34:35], v[174:175], v[44:45]
	v_fma_f64 v[116:117], v[172:173], v[60:61], -v[34:35]
	ds_read_b128 v[34:37], v154 offset:1616
	s_waitcnt vmcnt(18) lgkmcnt(1)
	v_mul_f64 v[38:39], v[30:31], v[148:149]
	s_waitcnt vmcnt(16)
	v_fmac_f64_e32 v[38:39], v[32:33], v[152:153]
	buffer_load_dword v170, off, s[0:3], 0 offset:720
	buffer_load_dword v161, off, s[0:3], 0 offset:732
	;; [unrolled: 1-line block ×3, first 2 shown]
	v_add_f64 v[0:1], v[0:1], v[38:39]
	s_waitcnt vmcnt(18) lgkmcnt(0)
	v_mul_f64 v[38:39], v[34:35], v[232:233]
	s_waitcnt vmcnt(16)
	v_fmac_f64_e32 v[38:39], v[36:37], v[146:147]
	v_add_f64 v[60:61], v[0:1], v[38:39]
	v_mul_f64 v[0:1], v[178:179], v[40:41]
	v_fma_f64 v[24:25], v[176:177], v[42:43], -v[0:1]
	buffer_load_dword v173, off, s[0:3], 0 offset:764
	buffer_load_dword v175, off, s[0:3], 0 offset:748
	;; [unrolled: 1-line block ×8, first 2 shown]
	v_fma_f64 v[22:23], v[180:181], v[58:59], -v[4:5]
	ds_read_b128 v[38:41], v154 offset:1632
	buffer_load_dword v181, off, s[0:3], 0 offset:780
	buffer_load_dword v180, off, s[0:3], 0 offset:776
	;; [unrolled: 1-line block ×4, first 2 shown]
	v_mul_f64 v[4:5], v[186:187], v[48:49]
	v_fma_f64 v[20:21], v[184:185], v[50:51], -v[4:5]
	v_mul_f64 v[4:5], v[190:191], v[52:53]
	v_fma_f64 v[18:19], v[188:189], v[54:55], -v[4:5]
	buffer_load_dword v185, off, s[0:3], 0 offset:796
	buffer_load_dword v184, off, s[0:3], 0 offset:792
	;; [unrolled: 1-line block ×8, first 2 shown]
	v_mul_f64 v[4:5], v[194:195], v[46:47]
	v_fma_f64 v[16:17], v[192:193], v[64:65], -v[4:5]
	buffer_load_dword v192, off, s[0:3], 0 offset:824
	buffer_load_dword v194, off, s[0:3], 0 offset:816
	;; [unrolled: 1-line block ×4, first 2 shown]
	v_mul_f64 v[4:5], v[198:199], v[70:71]
	v_fma_f64 v[14:15], v[196:197], v[72:73], -v[4:5]
	v_mul_f64 v[4:5], v[202:203], v[66:67]
	buffer_load_dword v197, off, s[0:3], 0 offset:844
	buffer_load_dword v196, off, s[0:3], 0 offset:840
	;; [unrolled: 1-line block ×4, first 2 shown]
	v_fma_f64 v[12:13], v[200:201], v[68:69], -v[4:5]
	v_mul_f64 v[4:5], v[206:207], v[100:101]
	v_fma_f64 v[10:11], v[204:205], v[104:105], -v[4:5]
	buffer_load_dword v203, off, s[0:3], 0 offset:860
	buffer_load_dword v202, off, s[0:3], 0 offset:856
	buffer_load_dword v205, off, s[0:3], 0 offset:852
	buffer_load_dword v204, off, s[0:3], 0 offset:848
	v_mul_f64 v[4:5], v[210:211], v[92:93]
	v_fma_f64 v[8:9], v[208:209], v[76:77], -v[4:5]
	buffer_load_dword v201, off, s[0:3], 0 offset:892
	buffer_load_dword v207, off, s[0:3], 0 offset:876
	;; [unrolled: 1-line block ×12, first 2 shown]
	ds_read_b128 v[42:45], v154 offset:1648
	v_mul_f64 v[46:47], v[218:219], v[150:151]
	v_fma_f64 v[150:151], v[216:217], v[254:255], -v[46:47]
	ds_read_b128 v[46:49], v154 offset:1664
	v_mul_f64 v[54:55], v[222:223], v[74:75]
	v_fma_f64 v[254:255], v[220:221], v[108:109], -v[54:55]
	;; [unrolled: 3-line block ×3, first 2 shown]
	v_mul_f64 v[66:67], v[230:231], v[90:91]
	v_fma_f64 v[6:7], v[228:229], v[98:99], -v[66:67]
	ds_read_b128 v[66:69], v154 offset:1744
	v_mul_f64 v[70:71], v[236:237], v[102:103]
	v_fma_f64 v[4:5], v[234:235], v[106:107], -v[70:71]
	v_mul_f64 v[78:79], v[240:241], v[78:79]
	v_fma_f64 v[2:3], v[238:239], v[80:81], -v[78:79]
	v_mul_f64 v[82:83], v[244:245], v[82:83]
	ds_read_b128 v[70:73], v154 offset:1760
	v_fma_f64 v[0:1], v[242:243], v[84:85], -v[82:83]
	ds_read_b128 v[82:85], v154 offset:1808
	v_mul_f64 v[86:87], v[248:249], v[86:87]
	v_fma_f64 v[246:247], v[246:247], v[88:89], -v[86:87]
	ds_read_b128 v[86:89], v154 offset:1824
	buffer_load_dword v238, off, s[0:3], 0 offset:920
	v_add_f64 v[26:27], v[26:27], 0
	v_add_f64 v[26:27], v[26:27], v[212:213]
	;; [unrolled: 1-line block ×4, first 2 shown]
	ds_read_b128 v[78:81], v154 offset:1792
	v_add_f64 v[24:25], v[26:27], v[24:25]
	v_add_f64 v[22:23], v[24:25], v[22:23]
	;; [unrolled: 1-line block ×6, first 2 shown]
	s_waitcnt vmcnt(55) lgkmcnt(8)
	v_mul_f64 v[50:51], v[38:39], v[162:163]
	s_waitcnt lgkmcnt(7)
	v_mul_f64 v[52:53], v[42:43], v[156:157]
	s_waitcnt vmcnt(53)
	v_fmac_f64_e32 v[50:51], v[40:41], v[166:167]
	v_add_f64 v[50:51], v[60:61], v[50:51]
	v_fmac_f64_e32 v[52:53], v[44:45], v[158:159]
	v_add_f64 v[50:51], v[50:51], v[52:53]
	s_waitcnt vmcnt(50) lgkmcnt(6)
	v_mul_f64 v[52:53], v[46:47], v[164:165]
	ds_read_b128 v[58:61], v154 offset:1712
	s_waitcnt vmcnt(48)
	v_fmac_f64_e32 v[52:53], v[48:49], v[168:169]
	v_add_f64 v[62:63], v[50:51], v[52:53]
	ds_read_b128 v[50:53], v154 offset:1680
	ds_read_b128 v[94:97], v154 offset:1856
	v_add_f64 v[12:13], v[14:15], v[12:13]
	v_add_f64 v[10:11], v[12:13], v[10:11]
	;; [unrolled: 1-line block ×3, first 2 shown]
	s_waitcnt vmcnt(46) lgkmcnt(1)
	v_mul_f64 v[64:65], v[50:51], v[160:161]
	s_waitcnt vmcnt(45)
	v_fmac_f64_e32 v[64:65], v[52:53], v[170:171]
	v_add_f64 v[62:63], v[62:63], v[64:65]
	s_waitcnt vmcnt(42)
	v_mul_f64 v[64:65], v[54:55], v[174:175]
	s_waitcnt vmcnt(40)
	v_fmac_f64_e32 v[64:65], v[56:57], v[178:179]
	v_add_f64 v[62:63], v[62:63], v[64:65]
	s_waitcnt vmcnt(39)
	v_mul_f64 v[64:65], v[58:59], v[172:173]
	s_waitcnt vmcnt(37)
	v_fmac_f64_e32 v[64:65], v[60:61], v[176:177]
	v_add_f64 v[74:75], v[62:63], v[64:65]
	ds_read_b128 v[62:65], v154 offset:1728
	v_add_f64 v[8:9], v[8:9], v[150:151]
	v_add_f64 v[8:9], v[8:9], v[254:255]
	v_add_f64 v[8:9], v[8:9], v[216:217]
	v_add_f64 v[6:7], v[8:9], v[6:7]
	s_waitcnt vmcnt(35) lgkmcnt(0)
	v_mul_f64 v[76:77], v[62:63], v[180:181]
	s_waitcnt vmcnt(33)
	v_fmac_f64_e32 v[76:77], v[64:65], v[182:183]
	v_add_f64 v[74:75], v[74:75], v[76:77]
	s_waitcnt vmcnt(31)
	v_mul_f64 v[76:77], v[66:67], v[184:185]
	s_waitcnt vmcnt(29)
	v_fmac_f64_e32 v[76:77], v[68:69], v[188:189]
	v_add_f64 v[74:75], v[74:75], v[76:77]
	s_waitcnt vmcnt(27)
	v_mul_f64 v[76:77], v[70:71], v[186:187]
	s_waitcnt vmcnt(25)
	v_fmac_f64_e32 v[76:77], v[72:73], v[190:191]
	v_add_f64 v[90:91], v[74:75], v[76:77]
	ds_read_b128 v[74:77], v154 offset:1776
	s_waitcnt vmcnt(10)
	v_mul_f64 v[100:101], v[86:87], v[206:207]
	s_waitcnt vmcnt(8)
	v_fmac_f64_e32 v[100:101], v[88:89], v[28:29]
	v_add_f64 v[4:5], v[6:7], v[4:5]
	v_add_f64 v[2:3], v[4:5], v[2:3]
	s_waitcnt lgkmcnt(0)
	v_mul_f64 v[92:93], v[74:75], v[192:193]
	v_fmac_f64_e32 v[92:93], v[76:77], v[194:195]
	v_add_f64 v[90:91], v[90:91], v[92:93]
	v_mul_f64 v[92:93], v[78:79], v[196:197]
	v_fmac_f64_e32 v[92:93], v[80:81], v[198:199]
	v_add_f64 v[90:91], v[90:91], v[92:93]
	;; [unrolled: 3-line block ×3, first 2 shown]
	ds_read_b128 v[90:93], v154 offset:1840
	buffer_load_dword v218, off, s[0:3], 0 offset:912
	buffer_load_dword v239, off, s[0:3], 0 offset:924
	;; [unrolled: 1-line block ×3, first 2 shown]
	v_add_f64 v[98:99], v[98:99], v[100:101]
	v_add_f64 v[0:1], v[2:3], v[0:1]
	;; [unrolled: 1-line block ×3, first 2 shown]
	s_waitcnt vmcnt(10) lgkmcnt(0)
	v_mul_f64 v[100:101], v[90:91], v[200:201]
	s_waitcnt vmcnt(8)
	v_fmac_f64_e32 v[100:101], v[92:93], v[210:211]
	v_add_f64 v[98:99], v[98:99], v[100:101]
	s_waitcnt vmcnt(6)
	v_mul_f64 v[100:101], v[94:95], v[208:209]
	s_waitcnt vmcnt(4)
	v_fmac_f64_e32 v[100:101], v[96:97], v[214:215]
	v_add_f64 v[102:103], v[98:99], v[100:101]
	ds_read_b128 v[98:101], v154 offset:1872
	buffer_load_dword v221, off, s[0:3], 0 offset:940
	buffer_load_dword v220, off, s[0:3], 0 offset:936
	buffer_load_dword v223, off, s[0:3], 0 offset:932
	buffer_load_dword v222, off, s[0:3], 0 offset:928
	v_accvgpr_read_b32 v2, a184
	v_accvgpr_read_b32 v3, a185
	;; [unrolled: 1-line block ×3, first 2 shown]
	v_mul_f64 v[2:3], v[120:121], v[2:3]
	v_accvgpr_read_b32 v5, a187
	v_add_f64 v[0:1], v[252:253], v[250:251]
	v_fma_f64 v[2:3], v[118:119], v[4:5], -v[2:3]
	v_add_f64 v[0:1], v[0:1], v[2:3]
	v_accvgpr_read_b32 v2, a188
	v_accvgpr_read_b32 v3, a189
	v_accvgpr_read_b32 v4, a190
	v_mul_f64 v[2:3], v[124:125], v[2:3]
	v_accvgpr_read_b32 v5, a191
	v_fma_f64 v[2:3], v[122:123], v[4:5], -v[2:3]
	v_add_f64 v[0:1], v[0:1], v[2:3]
	v_accvgpr_read_b32 v2, a192
	v_accvgpr_read_b32 v3, a193
	v_accvgpr_read_b32 v4, a194
	v_mul_f64 v[2:3], v[128:129], v[2:3]
	v_accvgpr_read_b32 v5, a195
	;; [unrolled: 7-line block ×6, first 2 shown]
	v_fma_f64 v[2:3], v[142:143], v[4:5], -v[2:3]
	v_add_f64 v[0:1], v[0:1], v[2:3]
	v_mul_f64 v[2:3], v[32:33], v[148:149]
	v_fma_f64 v[2:3], v[30:31], v[152:153], -v[2:3]
	v_add_f64 v[0:1], v[0:1], v[2:3]
	v_mul_f64 v[2:3], v[36:37], v[232:233]
	;; [unrolled: 3-line block ×6, first 2 shown]
	v_fma_f64 v[2:3], v[50:51], v[170:171], -v[2:3]
	s_waitcnt vmcnt(5) lgkmcnt(0)
	v_mul_f64 v[104:105], v[98:99], v[238:239]
	s_waitcnt vmcnt(4)
	v_fmac_f64_e32 v[104:105], v[100:101], v[218:219]
	v_add_f64 v[106:107], v[102:103], v[104:105]
	ds_read_b128 v[102:105], v154 offset:1888
	buffer_load_dword v224, off, s[0:3], 0 offset:952
	buffer_load_dword v225, off, s[0:3], 0 offset:956
	;; [unrolled: 1-line block ×4, first 2 shown]
	v_add_f64 v[0:1], v[0:1], v[2:3]
	v_mul_f64 v[2:3], v[56:57], v[174:175]
	v_fma_f64 v[2:3], v[54:55], v[178:179], -v[2:3]
	v_add_f64 v[0:1], v[0:1], v[2:3]
	v_mul_f64 v[2:3], v[60:61], v[172:173]
	s_waitcnt vmcnt(6) lgkmcnt(0)
	v_mul_f64 v[108:109], v[102:103], v[220:221]
	v_fma_f64 v[2:3], v[58:59], v[176:177], -v[2:3]
	s_waitcnt vmcnt(4)
	v_fmac_f64_e32 v[108:109], v[104:105], v[222:223]
	v_add_f64 v[110:111], v[106:107], v[108:109]
	ds_read_b128 v[106:109], v154 offset:1904
	buffer_load_dword v229, off, s[0:3], 0 offset:972
	buffer_load_dword v228, off, s[0:3], 0 offset:968
	;; [unrolled: 1-line block ×4, first 2 shown]
	v_add_f64 v[0:1], v[0:1], v[2:3]
	v_mul_f64 v[2:3], v[64:65], v[180:181]
	v_fma_f64 v[2:3], v[62:63], v[182:183], -v[2:3]
	v_add_f64 v[0:1], v[0:1], v[2:3]
	v_mul_f64 v[2:3], v[68:69], v[184:185]
	v_fma_f64 v[2:3], v[66:67], v[188:189], -v[2:3]
	;; [unrolled: 3-line block ×11, first 2 shown]
	v_add_f64 v[0:1], v[0:1], v[2:3]
	s_waitcnt vmcnt(6) lgkmcnt(0)
	v_mul_f64 v[112:113], v[106:107], v[224:225]
	v_mul_f64 v[2:3], v[108:109], v[224:225]
	s_waitcnt vmcnt(4)
	v_fmac_f64_e32 v[112:113], v[108:109], v[226:227]
	v_add_f64 v[234:235], v[110:111], v[112:113]
	ds_read_b128 v[110:113], v154 offset:1920
	buffer_load_dword v242, off, s[0:3], 0 offset:984
	buffer_load_dword v243, off, s[0:3], 0 offset:988
	buffer_load_dword v244, off, s[0:3], 0 offset:976
	buffer_load_dword v245, off, s[0:3], 0 offset:980
	v_fma_f64 v[2:3], v[106:107], v[226:227], -v[2:3]
	v_add_f64 v[0:1], v[0:1], v[2:3]
	s_waitcnt vmcnt(6) lgkmcnt(0)
	v_mul_f64 v[236:237], v[110:111], v[228:229]
	v_mul_f64 v[2:3], v[112:113], v[228:229]
	s_waitcnt vmcnt(4)
	v_fmac_f64_e32 v[236:237], v[112:113], v[230:231]
	v_add_f64 v[240:241], v[234:235], v[236:237]
	ds_read_b128 v[234:237], v154 offset:1936
	v_fma_f64 v[2:3], v[110:111], v[230:231], -v[2:3]
	v_add_f64 v[0:1], v[0:1], v[2:3]
	s_waitcnt vmcnt(2) lgkmcnt(0)
	v_mul_f64 v[248:249], v[234:235], v[242:243]
	v_mul_f64 v[2:3], v[236:237], v[242:243]
	s_waitcnt vmcnt(0)
	v_fmac_f64_e32 v[248:249], v[236:237], v[244:245]
	v_add_f64 v[240:241], v[240:241], v[248:249]
	buffer_load_dword v248, off, s[0:3], 0 offset:160
	buffer_load_dword v249, off, s[0:3], 0 offset:164
	buffer_load_dword v246, off, s[0:3], 0 offset:168
	buffer_load_dword v247, off, s[0:3], 0 offset:172
	v_fma_f64 v[2:3], v[234:235], v[244:245], -v[2:3]
	v_add_f64 v[0:1], v[0:1], v[2:3]
	s_waitcnt vmcnt(2)
	v_add_f64 v[0:1], v[248:249], -v[0:1]
	s_waitcnt vmcnt(0)
	v_add_f64 v[2:3], v[246:247], -v[240:241]
	buffer_store_dword v1, off, s[0:3], 0 offset:164
	buffer_store_dword v0, off, s[0:3], 0 offset:160
	;; [unrolled: 1-line block ×4, first 2 shown]
	s_and_saveexec_b64 s[4:5], vcc
	s_cbranch_execz .LBB60_375
; %bb.374:
	v_accvgpr_read_b32 v0, a174
	buffer_load_dword v2, v0, s[0:3], 0 offen
	buffer_load_dword v3, v0, s[0:3], 0 offen offset:4
	buffer_load_dword v4, v0, s[0:3], 0 offen offset:8
	;; [unrolled: 1-line block ×3, first 2 shown]
	v_accvgpr_read_b32 v0, a183
	buffer_store_dword v154, off, s[0:3], 0 offset:144
	buffer_store_dword v154, off, s[0:3], 0 offset:148
	;; [unrolled: 1-line block ×4, first 2 shown]
	s_waitcnt vmcnt(4)
	ds_write_b128 v0, v[2:5]
.LBB60_375:
	s_or_b64 exec, exec, s[4:5]
	s_waitcnt lgkmcnt(0)
	; wave barrier
	s_waitcnt lgkmcnt(0)
	buffer_load_dword v22, off, s[0:3], 0 offset:160
	buffer_load_dword v23, off, s[0:3], 0 offset:164
	;; [unrolled: 1-line block ×36, first 2 shown]
	ds_read_b128 v[18:21], v154 offset:1120
	ds_read_b128 v[26:29], v154 offset:1136
	;; [unrolled: 1-line block ×9, first 2 shown]
	buffer_load_dword v91, off, s[0:3], 0 offset:332
	buffer_load_dword v90, off, s[0:3], 0 offset:328
	;; [unrolled: 1-line block ×19, first 2 shown]
	v_accvgpr_write_b32 a232, v155          ;  Reload Reuse
	v_cmp_lt_u32_e32 vcc, 7, v155
	s_waitcnt vmcnt(51) lgkmcnt(8)
	v_mul_f64 v[0:1], v[18:19], v[24:25]
	v_fmac_f64_e32 v[0:1], v[20:21], v[22:23]
	v_add_f64 v[0:1], v[0:1], 0
	v_mul_f64 v[20:21], v[20:21], v[24:25]
	s_waitcnt vmcnt(47) lgkmcnt(7)
	v_mul_f64 v[2:3], v[26:27], v[162:163]
	v_fmac_f64_e32 v[2:3], v[28:29], v[160:161]
	v_add_f64 v[0:1], v[0:1], v[2:3]
	buffer_load_dword v104, off, s[0:3], 0 offset:384
	buffer_load_dword v143, off, s[0:3], 0 offset:380
	;; [unrolled: 1-line block ×39, first 2 shown]
	s_waitcnt vmcnt(62) lgkmcnt(6)
	v_mul_f64 v[4:5], v[54:55], v[158:159]
	s_waitcnt lgkmcnt(4)
	v_mul_f64 v[8:9], v[34:35], v[64:65]
	v_fmac_f64_e32 v[8:9], v[36:37], v[66:67]
	v_mul_f64 v[28:29], v[28:29], v[162:163]
	v_mul_f64 v[6:7], v[30:31], v[68:69]
	s_waitcnt lgkmcnt(2)
	v_mul_f64 v[12:13], v[50:51], v[74:75]
	v_fmac_f64_e32 v[12:13], v[52:53], v[76:77]
	v_mul_f64 v[52:53], v[52:53], v[74:75]
	v_mul_f64 v[10:11], v[38:39], v[80:81]
	s_waitcnt lgkmcnt(1)
	v_mul_f64 v[14:15], v[46:47], v[72:73]
	v_fmac_f64_e32 v[4:5], v[56:57], v[164:165]
	v_add_f64 v[0:1], v[0:1], v[4:5]
	v_fmac_f64_e32 v[6:7], v[32:33], v[166:167]
	v_add_f64 v[0:1], v[0:1], v[6:7]
	;; [unrolled: 2-line block ×3, first 2 shown]
	v_add_f64 v[0:1], v[0:1], v[10:11]
	v_fmac_f64_e32 v[14:15], v[48:49], v[78:79]
	v_add_f64 v[0:1], v[0:1], v[12:13]
	v_add_f64 v[0:1], v[0:1], v[14:15]
	v_mul_f64 v[56:57], v[56:57], v[158:159]
	v_mul_f64 v[32:33], v[32:33], v[68:69]
	;; [unrolled: 1-line block ×3, first 2 shown]
	s_waitcnt vmcnt(0)
	v_pk_mov_b32 v[122:123], v[2:3], v[2:3] op_sel:[0,1]
	buffer_load_dword v3, off, s[0:3], 0 offset:548
	buffer_load_dword v2, off, s[0:3], 0 offset:544
	v_accvgpr_write_b32 a191, v123
	v_accvgpr_write_b32 a190, v122
	s_waitcnt vmcnt(0)
	v_pk_mov_b32 v[126:127], v[2:3], v[2:3] op_sel:[0,1]
	buffer_load_dword v3, off, s[0:3], 0 offset:540
	buffer_load_dword v2, off, s[0:3], 0 offset:536
	v_accvgpr_write_b32 a193, v127
	v_accvgpr_write_b32 a192, v126
	s_waitcnt vmcnt(0)
	v_pk_mov_b32 v[16:17], v[2:3], v[2:3] op_sel:[0,1]
	buffer_load_dword v3, off, s[0:3], 0 offset:532
	buffer_load_dword v2, off, s[0:3], 0 offset:528
	v_pk_mov_b32 v[156:157], v[16:17], v[16:17] op_sel:[0,1]
	s_waitcnt vmcnt(0)
	v_pk_mov_b32 v[128:129], v[2:3], v[2:3] op_sel:[0,1]
	buffer_load_dword v3, off, s[0:3], 0 offset:588
	buffer_load_dword v2, off, s[0:3], 0 offset:584
	v_accvgpr_write_b32 a189, v129
	v_accvgpr_write_b32 a188, v128
	s_waitcnt vmcnt(0)
	v_pk_mov_b32 v[148:149], v[2:3], v[2:3] op_sel:[0,1]
	buffer_load_dword v3, off, s[0:3], 0 offset:580
	buffer_load_dword v2, off, s[0:3], 0 offset:576
	v_accvgpr_write_b32 a199, v149
	v_accvgpr_write_b32 a198, v148
	;; [unrolled: 6-line block ×7, first 2 shown]
	s_waitcnt vmcnt(0)
	v_pk_mov_b32 v[182:183], v[2:3], v[2:3] op_sel:[0,1]
	buffer_load_dword v3, off, s[0:3], 0 offset:596
	buffer_load_dword v2, off, s[0:3], 0 offset:592
	ds_read_b128 v[184:187], v154 offset:1264
	ds_read_b128 v[196:199], v154 offset:1280
	;; [unrolled: 1-line block ×9, first 2 shown]
	v_accvgpr_write_b32 a203, v183
	v_accvgpr_write_b32 a202, v182
	s_waitcnt lgkmcnt(1)
	v_mul_f64 v[4:5], v[242:243], v[220:221]
	v_fmac_f64_e32 v[4:5], v[244:245], v[222:223]
	s_waitcnt vmcnt(0)
	v_pk_mov_b32 v[190:191], v[2:3], v[2:3] op_sel:[0,1]
	v_mul_f64 v[2:3], v[42:43], v[70:71]
	v_fmac_f64_e32 v[2:3], v[44:45], v[188:189]
	v_add_f64 v[0:1], v[0:1], v[2:3]
	v_mul_f64 v[2:3], v[184:185], v[94:95]
	v_fmac_f64_e32 v[2:3], v[186:187], v[98:99]
	v_add_f64 v[0:1], v[0:1], v[2:3]
	v_mul_f64 v[2:3], v[196:197], v[90:91]
	v_fmac_f64_e32 v[2:3], v[198:199], v[92:93]
	v_add_f64 v[0:1], v[0:1], v[2:3]
	v_mul_f64 v[2:3], v[200:201], v[192:193]
	v_fmac_f64_e32 v[2:3], v[202:203], v[194:195]
	v_add_f64 v[0:1], v[0:1], v[2:3]
	v_mul_f64 v[2:3], v[208:209], v[204:205]
	v_fmac_f64_e32 v[2:3], v[210:211], v[206:207]
	v_add_f64 v[0:1], v[0:1], v[2:3]
	v_mul_f64 v[2:3], v[212:213], v[142:143]
	v_fmac_f64_e32 v[2:3], v[214:215], v[62:63]
	v_add_f64 v[0:1], v[0:1], v[2:3]
	v_mul_f64 v[2:3], v[234:235], v[102:103]
	v_fmac_f64_e32 v[2:3], v[236:237], v[104:105]
	v_add_f64 v[0:1], v[0:1], v[2:3]
	v_mul_f64 v[2:3], v[238:239], v[228:229]
	v_fmac_f64_e32 v[2:3], v[240:241], v[230:231]
	v_add_f64 v[2:3], v[0:1], v[2:3]
	buffer_load_dword v1, off, s[0:3], 0 offset:636
	buffer_load_dword v0, off, s[0:3], 0 offset:632
	;; [unrolled: 1-line block ×4, first 2 shown]
	ds_read_b128 v[250:253], v154 offset:1408
	buffer_load_dword v233, off, s[0:3], 0 offset:652
	buffer_load_dword v232, off, s[0:3], 0 offset:648
	;; [unrolled: 1-line block ×8, first 2 shown]
	ds_read_b128 v[118:121], v154 offset:1424
	ds_read_b128 v[58:61], v154 offset:1440
	v_add_f64 v[2:3], v[2:3], v[4:5]
	s_waitcnt lgkmcnt(3)
	v_mul_f64 v[4:5], v[246:247], v[224:225]
	v_fmac_f64_e32 v[4:5], v[248:249], v[226:227]
	v_add_f64 v[2:3], v[2:3], v[4:5]
	s_waitcnt lgkmcnt(2)
	v_mul_f64 v[4:5], v[250:251], v[114:115]
	v_fmac_f64_e32 v[4:5], v[252:253], v[116:117]
	ds_read_b128 v[82:85], v154 offset:1456
	ds_read_b128 v[86:89], v154 offset:1472
	v_add_f64 v[2:3], v[2:3], v[4:5]
	s_waitcnt lgkmcnt(3)
	v_mul_f64 v[4:5], v[118:119], v[216:217]
	v_fmac_f64_e32 v[4:5], v[120:121], v[218:219]
	v_add_f64 v[2:3], v[2:3], v[4:5]
	s_waitcnt lgkmcnt(2)
	v_mul_f64 v[4:5], v[58:59], v[106:107]
	v_fmac_f64_e32 v[4:5], v[60:61], v[110:111]
	v_add_f64 v[2:3], v[2:3], v[4:5]
	s_waitcnt lgkmcnt(1)
	v_mul_f64 v[4:5], v[82:83], v[108:109]
	v_fmac_f64_e32 v[4:5], v[84:85], v[112:113]
	v_add_f64 v[6:7], v[2:3], v[4:5]
	ds_read_b128 v[2:5], v154 offset:1488
	ds_read_b128 v[138:141], v154 offset:1504
	buffer_load_dword v125, off, s[0:3], 0 offset:684
	buffer_load_dword v124, off, s[0:3], 0 offset:680
	ds_read_b128 v[134:137], v154 offset:1520
	ds_read_b128 v[130:133], v154 offset:1536
	s_waitcnt lgkmcnt(4)
	v_mul_f64 v[8:9], v[86:87], v[96:97]
	s_waitcnt lgkmcnt(3)
	v_mul_f64 v[12:13], v[2:3], v[16:17]
	;; [unrolled: 2-line block ×3, first 2 shown]
	v_fmac_f64_e32 v[8:9], v[88:89], v[100:101]
	v_fmac_f64_e32 v[12:13], v[4:5], v[128:129]
	;; [unrolled: 1-line block ×3, first 2 shown]
	ds_read_b128 v[126:129], v154 offset:1552
	s_waitcnt lgkmcnt(1)
	v_mul_f64 v[24:25], v[130:131], v[148:149]
	v_add_f64 v[10:11], v[6:7], v[8:9]
	v_fmac_f64_e32 v[24:25], v[132:133], v[150:151]
	ds_read_b128 v[148:151], v154 offset:1568
	v_add_f64 v[14:15], v[10:11], v[12:13]
	v_mul_f64 v[172:173], v[134:135], v[178:179]
	v_add_f64 v[170:171], v[14:15], v[16:17]
	v_fmac_f64_e32 v[172:173], v[136:137], v[180:181]
	v_fma_f64 v[122:123], v[18:19], v[22:23], -v[20:21]
	v_add_f64 v[22:23], v[170:171], v[172:173]
	v_accvgpr_write_b32 a187, v5
	v_add_f64 v[22:23], v[22:23], v[24:25]
	s_waitcnt lgkmcnt(1)
	v_mul_f64 v[24:25], v[126:127], v[182:183]
	v_fma_f64 v[18:19], v[26:27], v[160:161], -v[28:29]
	ds_read_b128 v[26:29], v154 offset:1584
	v_accvgpr_write_b32 a186, v4
	v_accvgpr_write_b32 a185, v3
	;; [unrolled: 1-line block ×3, first 2 shown]
	v_fmac_f64_e32 v[24:25], v[128:129], v[190:191]
	s_waitcnt lgkmcnt(1)
	v_mul_f64 v[4:5], v[148:149], v[174:175]
	v_add_f64 v[170:171], v[22:23], v[24:25]
	v_fmac_f64_e32 v[4:5], v[150:151], v[176:177]
	v_add_f64 v[4:5], v[170:171], v[4:5]
	buffer_load_dword v163, off, s[0:3], 0 offset:676
	buffer_load_dword v162, off, s[0:3], 0 offset:672
	v_fma_f64 v[170:171], v[54:55], v[164:165], -v[56:57]
	buffer_load_dword v158, off, s[0:3], 0 offset:712
	buffer_load_dword v160, off, s[0:3], 0 offset:704
	;; [unrolled: 1-line block ×4, first 2 shown]
	v_fma_f64 v[14:15], v[30:31], v[166:167], -v[32:33]
	buffer_load_dword v167, off, s[0:3], 0 offset:692
	buffer_load_dword v166, off, s[0:3], 0 offset:688
	;; [unrolled: 1-line block ×4, first 2 shown]
	ds_read_b128 v[30:33], v154 offset:1600
	v_mul_f64 v[44:45], v[44:45], v[70:71]
	v_accvgpr_write_b32 a205, v191
	v_accvgpr_write_b32 a204, v190
	v_mul_f64 v[24:25], v[202:203], v[192:193]
	v_fma_f64 v[24:25], v[200:201], v[194:195], -v[24:25]
	v_mul_f64 v[16:17], v[48:49], v[72:73]
	v_fma_f64 v[16:17], v[46:47], v[78:79], -v[16:17]
	v_fma_f64 v[6:7], v[50:51], v[76:77], -v[52:53]
	v_mul_f64 v[50:51], v[240:241], v[228:229]
	v_fma_f64 v[238:239], v[238:239], v[230:231], -v[50:51]
	v_mul_f64 v[70:71], v[252:253], v[114:115]
	v_mul_f64 v[60:61], v[60:61], v[106:107]
	s_waitcnt vmcnt(22) lgkmcnt(1)
	v_mul_f64 v[8:9], v[26:27], v[0:1]
	v_accvgpr_write_b32 a211, v1
	s_waitcnt vmcnt(20)
	v_fmac_f64_e32 v[8:9], v[28:29], v[146:147]
	v_add_f64 v[4:5], v[4:5], v[8:9]
	v_mul_f64 v[8:9], v[36:37], v[64:65]
	v_fma_f64 v[10:11], v[34:35], v[66:67], -v[8:9]
	ds_read_b128 v[34:37], v154 offset:1616
	v_fma_f64 v[8:9], v[38:39], v[168:169], -v[40:41]
	ds_read_b128 v[38:41], v154 offset:1632
	buffer_load_dword v169, off, s[0:3], 0 offset:732
	buffer_load_dword v168, off, s[0:3], 0 offset:728
	;; [unrolled: 1-line block ×16, first 2 shown]
	s_waitcnt vmcnt(34) lgkmcnt(2)
	v_mul_f64 v[54:55], v[30:31], v[232:233]
	s_waitcnt vmcnt(32)
	v_fmac_f64_e32 v[54:55], v[32:33], v[152:153]
	s_waitcnt vmcnt(30) lgkmcnt(1)
	v_mul_f64 v[12:13], v[34:35], v[254:255]
	v_add_f64 v[4:5], v[4:5], v[54:55]
	s_waitcnt vmcnt(28)
	v_fmac_f64_e32 v[12:13], v[36:37], v[144:145]
	v_add_f64 v[12:13], v[4:5], v[12:13]
	v_fma_f64 v[4:5], v[42:43], v[188:189], -v[44:45]
	v_mul_f64 v[42:43], v[186:187], v[94:95]
	v_fma_f64 v[94:95], v[184:185], v[98:99], -v[42:43]
	buffer_load_dword v185, off, s[0:3], 0 offset:796
	buffer_load_dword v184, off, s[0:3], 0 offset:792
	buffer_load_dword v191, off, s[0:3], 0 offset:788
	buffer_load_dword v190, off, s[0:3], 0 offset:784
	buffer_load_dword v186, off, s[0:3], 0 offset:808
	buffer_load_dword v188, off, s[0:3], 0 offset:800
	buffer_load_dword v187, off, s[0:3], 0 offset:812
	buffer_load_dword v189, off, s[0:3], 0 offset:804
	v_mul_f64 v[42:43], v[198:199], v[90:91]
	v_fma_f64 v[2:3], v[196:197], v[92:93], -v[42:43]
	buffer_load_dword v193, off, s[0:3], 0 offset:844
	buffer_load_dword v195, off, s[0:3], 0 offset:828
	;; [unrolled: 1-line block ×12, first 2 shown]
	v_mul_f64 v[42:43], v[210:211], v[204:205]
	v_fma_f64 v[204:205], v[208:209], v[206:207], -v[42:43]
	v_mul_f64 v[42:43], v[214:215], v[142:143]
	v_accvgpr_write_b32 a210, v0
	v_fma_f64 v[0:1], v[212:213], v[62:63], -v[42:43]
	buffer_load_dword v207, off, s[0:3], 0 offset:876
	buffer_load_dword v206, off, s[0:3], 0 offset:872
	;; [unrolled: 1-line block ×12, first 2 shown]
	ds_read_b128 v[42:45], v154 offset:1648
	ds_read_b128 v[46:49], v154 offset:1664
	s_waitcnt vmcnt(58) lgkmcnt(2)
	v_mul_f64 v[20:21], v[38:39], v[124:125]
	ds_read_b128 v[50:53], v154 offset:1680
	v_mul_f64 v[62:63], v[244:245], v[220:221]
	v_fma_f64 v[240:241], v[242:243], v[222:223], -v[62:63]
	v_mul_f64 v[62:63], v[248:249], v[224:225]
	v_fma_f64 v[246:247], v[246:247], v[226:227], -v[62:63]
	v_fma_f64 v[248:249], v[250:251], v[116:117], -v[70:71]
	v_mul_f64 v[84:85], v[84:85], v[108:109]
	v_mul_f64 v[88:89], v[88:89], v[96:97]
	v_fma_f64 v[250:251], v[82:83], v[112:113], -v[84:85]
	ds_read_b128 v[82:85], v154 offset:1840
	v_fma_f64 v[252:253], v[86:87], v[100:101], -v[88:89]
	ds_read_b128 v[86:89], v154 offset:1856
	ds_read_b128 v[62:65], v154 offset:1728
	;; [unrolled: 1-line block ×3, first 2 shown]
	s_waitcnt vmcnt(56)
	v_fmac_f64_e32 v[20:21], v[40:41], v[162:163]
	v_add_f64 v[12:13], v[12:13], v[20:21]
	s_waitcnt vmcnt(52) lgkmcnt(6)
	v_mul_f64 v[54:55], v[42:43], v[164:165]
	s_waitcnt vmcnt(50)
	v_fmac_f64_e32 v[54:55], v[44:45], v[166:167]
	v_add_f64 v[12:13], v[12:13], v[54:55]
	s_waitcnt vmcnt(49) lgkmcnt(5)
	v_mul_f64 v[54:55], v[46:47], v[158:159]
	v_mul_f64 v[20:21], v[236:237], v[102:103]
	s_waitcnt vmcnt(48)
	v_fmac_f64_e32 v[54:55], v[48:49], v[160:161]
	v_fma_f64 v[20:21], v[234:235], v[104:105], -v[20:21]
	v_add_f64 v[12:13], v[12:13], v[54:55]
	ds_read_b128 v[234:237], v154 offset:1712
	s_waitcnt vmcnt(46) lgkmcnt(5)
	v_mul_f64 v[54:55], v[50:51], v[168:169]
	s_waitcnt vmcnt(44)
	v_fmac_f64_e32 v[54:55], v[52:53], v[22:23]
	v_add_f64 v[12:13], v[12:13], v[54:55]
	ds_read_b128 v[54:57], v154 offset:1696
	s_waitcnt vmcnt(42) lgkmcnt(0)
	v_mul_f64 v[66:67], v[54:55], v[174:175]
	s_waitcnt vmcnt(40)
	v_fmac_f64_e32 v[66:67], v[56:57], v[176:177]
	v_add_f64 v[12:13], v[12:13], v[66:67]
	s_waitcnt vmcnt(36)
	v_mul_f64 v[66:67], v[234:235], v[180:181]
	s_waitcnt vmcnt(34)
	v_fmac_f64_e32 v[66:67], v[236:237], v[182:183]
	v_add_f64 v[12:13], v[12:13], v[66:67]
	v_mul_f64 v[66:67], v[62:63], v[172:173]
	s_waitcnt vmcnt(32)
	v_fmac_f64_e32 v[66:67], v[64:65], v[178:179]
	v_add_f64 v[12:13], v[12:13], v[66:67]
	ds_read_b128 v[66:69], v154 offset:1744
	s_waitcnt vmcnt(25)
	v_mul_f64 v[78:79], v[70:71], v[186:187]
	s_waitcnt vmcnt(24)
	v_fmac_f64_e32 v[78:79], v[72:73], v[188:189]
	s_waitcnt lgkmcnt(0)
	v_mul_f64 v[74:75], v[66:67], v[184:185]
	v_fmac_f64_e32 v[74:75], v[68:69], v[190:191]
	v_add_f64 v[12:13], v[12:13], v[74:75]
	v_mul_f64 v[74:75], v[120:121], v[216:217]
	v_fma_f64 v[118:119], v[118:119], v[218:219], -v[74:75]
	ds_read_b128 v[74:77], v154 offset:1776
	v_add_f64 v[12:13], v[12:13], v[78:79]
	ds_read_b128 v[78:81], v154 offset:1792
	v_fma_f64 v[120:121], v[58:59], v[110:111], -v[60:61]
	ds_read_b128 v[58:61], v154 offset:1808
	s_waitcnt vmcnt(21) lgkmcnt(2)
	v_mul_f64 v[90:91], v[74:75], v[194:195]
	s_waitcnt vmcnt(19)
	v_fmac_f64_e32 v[90:91], v[76:77], v[200:201]
	v_add_f64 v[12:13], v[12:13], v[90:91]
	s_waitcnt vmcnt(18) lgkmcnt(1)
	v_mul_f64 v[90:91], v[78:79], v[192:193]
	s_waitcnt vmcnt(16)
	v_fmac_f64_e32 v[90:91], v[80:81], v[198:199]
	v_add_f64 v[12:13], v[12:13], v[90:91]
	ds_read_b128 v[90:93], v154 offset:1824
	s_waitcnt vmcnt(14) lgkmcnt(1)
	v_mul_f64 v[98:99], v[58:59], v[196:197]
	buffer_load_dword v217, off, s[0:3], 0 offset:924
	buffer_load_dword v216, off, s[0:3], 0 offset:920
	;; [unrolled: 1-line block ×4, first 2 shown]
	s_waitcnt vmcnt(16)
	v_fmac_f64_e32 v[98:99], v[60:61], v[202:203]
	v_add_f64 v[12:13], v[12:13], v[98:99]
	ds_read_b128 v[98:101], v154 offset:1872
	buffer_load_dword v220, off, s[0:3], 0 offset:936
	buffer_load_dword v221, off, s[0:3], 0 offset:940
	buffer_load_dword v222, off, s[0:3], 0 offset:928
	buffer_load_dword v223, off, s[0:3], 0 offset:932
	ds_read_b128 v[102:105], v154 offset:1888
	buffer_load_dword v225, off, s[0:3], 0 offset:956
	buffer_load_dword v224, off, s[0:3], 0 offset:952
	buffer_load_dword v227, off, s[0:3], 0 offset:948
	buffer_load_dword v226, off, s[0:3], 0 offset:944
	;; [unrolled: 5-line block ×4, first 2 shown]
	s_waitcnt vmcnt(30) lgkmcnt(4)
	v_mul_f64 v[96:97], v[90:91], v[206:207]
	s_waitcnt vmcnt(28)
	v_fmac_f64_e32 v[96:97], v[92:93], v[208:209]
	v_add_f64 v[12:13], v[12:13], v[96:97]
	s_waitcnt vmcnt(25)
	v_mul_f64 v[96:97], v[82:83], v[212:213]
	s_waitcnt vmcnt(23)
	v_fmac_f64_e32 v[96:97], v[84:85], v[214:215]
	v_add_f64 v[12:13], v[12:13], v[96:97]
	s_waitcnt vmcnt(21)
	v_mul_f64 v[96:97], v[86:87], v[142:143]
	s_waitcnt vmcnt(20)
	v_fmac_f64_e32 v[96:97], v[88:89], v[210:211]
	v_add_f64 v[12:13], v[12:13], v[96:97]
	ds_read_b128 v[114:117], v154 offset:1936
	s_waitcnt vmcnt(18) lgkmcnt(4)
	v_mul_f64 v[96:97], v[98:99], v[216:217]
	s_waitcnt vmcnt(16)
	v_fmac_f64_e32 v[96:97], v[100:101], v[218:219]
	v_add_f64 v[12:13], v[12:13], v[96:97]
	s_waitcnt vmcnt(14) lgkmcnt(3)
	v_mul_f64 v[96:97], v[102:103], v[220:221]
	s_waitcnt vmcnt(12)
	v_fmac_f64_e32 v[96:97], v[104:105], v[222:223]
	v_add_f64 v[12:13], v[12:13], v[96:97]
	;; [unrolled: 5-line block ×5, first 2 shown]
	v_add_f64 v[96:97], v[122:123], 0
	v_add_f64 v[18:19], v[96:97], v[18:19]
	;; [unrolled: 1-line block ×19, first 2 shown]
	buffer_load_dword v248, off, s[0:3], 0 offset:144
	buffer_load_dword v249, off, s[0:3], 0 offset:148
	;; [unrolled: 1-line block ×4, first 2 shown]
	v_accvgpr_read_b32 v4, a184
	v_add_f64 v[0:1], v[0:1], v[118:119]
	v_accvgpr_read_b32 v6, a186
	v_accvgpr_read_b32 v7, a187
	v_add_f64 v[118:119], v[0:1], v[120:121]
	v_mul_f64 v[2:3], v[6:7], v[156:157]
	v_accvgpr_read_b32 v6, a188
	v_add_f64 v[0:1], v[118:119], v[250:251]
	v_accvgpr_read_b32 v5, a185
	v_accvgpr_read_b32 v7, a189
	v_add_f64 v[0:1], v[0:1], v[252:253]
	v_fma_f64 v[2:3], v[4:5], v[6:7], -v[2:3]
	v_add_f64 v[0:1], v[0:1], v[2:3]
	v_accvgpr_read_b32 v2, a190
	v_accvgpr_read_b32 v3, a191
	v_accvgpr_read_b32 v4, a192
	v_mul_f64 v[2:3], v[140:141], v[2:3]
	v_accvgpr_read_b32 v5, a193
	v_fma_f64 v[2:3], v[138:139], v[4:5], -v[2:3]
	v_add_f64 v[0:1], v[0:1], v[2:3]
	v_accvgpr_read_b32 v2, a194
	v_accvgpr_read_b32 v3, a195
	v_accvgpr_read_b32 v4, a196
	v_mul_f64 v[2:3], v[136:137], v[2:3]
	v_accvgpr_read_b32 v5, a197
	;; [unrolled: 7-line block ×5, first 2 shown]
	v_fma_f64 v[2:3], v[148:149], v[4:5], -v[2:3]
	v_add_f64 v[0:1], v[0:1], v[2:3]
	v_accvgpr_read_b32 v2, a210
	v_accvgpr_read_b32 v3, a211
	v_mul_f64 v[2:3], v[28:29], v[2:3]
	v_fma_f64 v[2:3], v[26:27], v[146:147], -v[2:3]
	v_add_f64 v[0:1], v[0:1], v[2:3]
	v_mul_f64 v[2:3], v[32:33], v[232:233]
	v_fma_f64 v[2:3], v[30:31], v[152:153], -v[2:3]
	v_add_f64 v[0:1], v[0:1], v[2:3]
	;; [unrolled: 3-line block ×23, first 2 shown]
	s_waitcnt vmcnt(2)
	v_add_f64 v[0:1], v[248:249], -v[0:1]
	s_waitcnt vmcnt(0)
	v_add_f64 v[2:3], v[246:247], -v[12:13]
	buffer_store_dword v1, off, s[0:3], 0 offset:148
	buffer_store_dword v0, off, s[0:3], 0 offset:144
	buffer_store_dword v3, off, s[0:3], 0 offset:156
	buffer_store_dword v2, off, s[0:3], 0 offset:152
	s_and_saveexec_b64 s[4:5], vcc
	s_cbranch_execz .LBB60_377
; %bb.376:
	v_accvgpr_read_b32 v0, a175
	buffer_load_dword v2, v0, s[0:3], 0 offen
	buffer_load_dword v3, v0, s[0:3], 0 offen offset:4
	buffer_load_dword v4, v0, s[0:3], 0 offen offset:8
	;; [unrolled: 1-line block ×3, first 2 shown]
	v_mov_b32_e32 v0, 0
	v_accvgpr_read_b32 v1, a183
	buffer_store_dword v0, off, s[0:3], 0 offset:128
	buffer_store_dword v0, off, s[0:3], 0 offset:132
	;; [unrolled: 1-line block ×4, first 2 shown]
	s_waitcnt vmcnt(4)
	ds_write_b128 v1, v[2:5]
.LBB60_377:
	s_or_b64 exec, exec, s[4:5]
	s_waitcnt lgkmcnt(0)
	; wave barrier
	s_waitcnt lgkmcnt(0)
	buffer_load_dword v130, off, s[0:3], 0 offset:144
	buffer_load_dword v131, off, s[0:3], 0 offset:148
	;; [unrolled: 1-line block ×36, first 2 shown]
	v_mov_b32_e32 v52, 0
	buffer_load_dword v55, off, s[0:3], 0 offset:316
	buffer_load_dword v54, off, s[0:3], 0 offset:312
	;; [unrolled: 1-line block ×18, first 2 shown]
	ds_read_b128 v[22:25], v52 offset:1104
	ds_read_b128 v[110:113], v52 offset:1120
	;; [unrolled: 1-line block ×9, first 2 shown]
	s_waitcnt vmcnt(50) lgkmcnt(8)
	v_mul_f64 v[0:1], v[22:23], v[16:17]
	v_fmac_f64_e32 v[0:1], v[24:25], v[130:131]
	v_add_f64 v[0:1], v[0:1], 0
	v_mul_f64 v[16:17], v[24:25], v[16:17]
	s_waitcnt vmcnt(46) lgkmcnt(7)
	v_mul_f64 v[2:3], v[110:111], v[20:21]
	v_fmac_f64_e32 v[2:3], v[112:113], v[142:143]
	v_add_f64 v[0:1], v[0:1], v[2:3]
	buffer_load_dword v109, off, s[0:3], 0 offset:372
	buffer_load_dword v108, off, s[0:3], 0 offset:368
	;; [unrolled: 1-line block ×40, first 2 shown]
	s_waitcnt vmcnt(62) lgkmcnt(6)
	v_mul_f64 v[4:5], v[114:115], v[26:27]
	s_waitcnt lgkmcnt(4)
	v_mul_f64 v[8:9], v[166:167], v[134:135]
	v_fmac_f64_e32 v[8:9], v[168:169], v[32:33]
	v_fma_f64 v[252:253], v[22:23], v[130:131], -v[16:17]
	v_mul_f64 v[6:7], v[162:163], v[30:31]
	v_mul_f64 v[26:27], v[116:117], v[26:27]
	s_waitcnt lgkmcnt(2)
	v_mul_f64 v[12:13], v[174:175], v[44:45]
	v_mul_f64 v[20:21], v[112:113], v[20:21]
	v_fmac_f64_e32 v[12:13], v[176:177], v[46:47]
	v_fma_f64 v[254:255], v[110:111], v[142:143], -v[20:21]
	v_mul_f64 v[10:11], v[170:171], v[34:35]
	v_mul_f64 v[34:35], v[172:173], v[34:35]
	s_waitcnt lgkmcnt(1)
	v_mul_f64 v[138:139], v[178:179], v[42:43]
	v_mul_f64 v[44:45], v[176:177], v[44:45]
	v_fmac_f64_e32 v[4:5], v[116:117], v[40:41]
	v_add_f64 v[0:1], v[0:1], v[4:5]
	v_fmac_f64_e32 v[6:7], v[164:165], v[38:39]
	v_add_f64 v[0:1], v[0:1], v[6:7]
	v_add_f64 v[0:1], v[0:1], v[8:9]
	v_fmac_f64_e32 v[10:11], v[172:173], v[36:37]
	v_add_f64 v[0:1], v[0:1], v[10:11]
	;; [unrolled: 3-line block ×3, first 2 shown]
	v_fma_f64 v[250:251], v[114:115], v[40:41], -v[26:27]
	v_fma_f64 v[112:113], v[170:171], v[36:37], -v[34:35]
	v_mul_f64 v[42:43], v[180:181], v[42:43]
	v_fma_f64 v[24:25], v[178:179], v[50:51], -v[42:43]
	s_waitcnt vmcnt(58) lgkmcnt(0)
	v_mul_f64 v[42:43], v[184:185], v[48:49]
	s_waitcnt vmcnt(0)
	v_pk_mov_b32 v[4:5], v[2:3], v[2:3] op_sel:[0,1]
	buffer_load_dword v3, off, s[0:3], 0 offset:532
	buffer_load_dword v2, off, s[0:3], 0 offset:528
	v_accvgpr_write_b32 a193, v5
	v_accvgpr_write_b32 a192, v4
	s_waitcnt vmcnt(0)
	v_pk_mov_b32 v[6:7], v[2:3], v[2:3] op_sel:[0,1]
	buffer_load_dword v91, off, s[0:3], 0 offset:524
	buffer_load_dword v90, off, s[0:3], 0 offset:520
	;; [unrolled: 1-line block ×6, first 2 shown]
	v_accvgpr_write_b32 a195, v7
	v_accvgpr_write_b32 a194, v6
	s_waitcnt vmcnt(0)
	v_pk_mov_b32 v[8:9], v[2:3], v[2:3] op_sel:[0,1]
	buffer_load_dword v3, off, s[0:3], 0 offset:564
	buffer_load_dword v2, off, s[0:3], 0 offset:560
	v_accvgpr_write_b32 a205, v9
	v_accvgpr_write_b32 a204, v8
	s_waitcnt vmcnt(0)
	v_pk_mov_b32 v[12:13], v[2:3], v[2:3] op_sel:[0,1]
	buffer_load_dword v3, off, s[0:3], 0 offset:556
	buffer_load_dword v2, off, s[0:3], 0 offset:552
	v_accvgpr_write_b32 a207, v13
	v_accvgpr_write_b32 a206, v12
	s_waitcnt vmcnt(0)
	v_pk_mov_b32 v[122:123], v[2:3], v[2:3] op_sel:[0,1]
	buffer_load_dword v3, off, s[0:3], 0 offset:548
	buffer_load_dword v2, off, s[0:3], 0 offset:544
	v_accvgpr_write_b32 a197, v123
	v_accvgpr_write_b32 a196, v122
	s_waitcnt vmcnt(0)
	v_pk_mov_b32 v[124:125], v[2:3], v[2:3] op_sel:[0,1]
	buffer_load_dword v3, off, s[0:3], 0 offset:604
	buffer_load_dword v2, off, s[0:3], 0 offset:600
	v_accvgpr_write_b32 a199, v125
	v_accvgpr_write_b32 a198, v124
	s_waitcnt vmcnt(0)
	v_pk_mov_b32 v[118:119], v[2:3], v[2:3] op_sel:[0,1]
	buffer_load_dword v3, off, s[0:3], 0 offset:596
	buffer_load_dword v2, off, s[0:3], 0 offset:592
	v_accvgpr_write_b32 a213, v119
	v_accvgpr_write_b32 a212, v118
	s_waitcnt vmcnt(0)
	v_pk_mov_b32 v[120:121], v[2:3], v[2:3] op_sel:[0,1]
	buffer_load_dword v3, off, s[0:3], 0 offset:588
	buffer_load_dword v2, off, s[0:3], 0 offset:584
	v_accvgpr_write_b32 a215, v121
	v_accvgpr_write_b32 a214, v120
	s_waitcnt vmcnt(0)
	v_pk_mov_b32 v[126:127], v[2:3], v[2:3] op_sel:[0,1]
	buffer_load_dword v3, off, s[0:3], 0 offset:580
	buffer_load_dword v2, off, s[0:3], 0 offset:576
	ds_read_b128 v[186:189], v52 offset:1248
	ds_read_b128 v[190:193], v52 offset:1264
	;; [unrolled: 1-line block ×9, first 2 shown]
	buffer_load_dword v19, off, s[0:3], 0 offset:620
	buffer_load_dword v18, off, s[0:3], 0 offset:616
	;; [unrolled: 1-line block ×4, first 2 shown]
	ds_read_b128 v[224:227], v52 offset:1392
	buffer_load_dword v153, off, s[0:3], 0 offset:636
	buffer_load_dword v152, off, s[0:3], 0 offset:632
	;; [unrolled: 1-line block ×12, first 2 shown]
	ds_read_b128 v[228:231], v52 offset:1408
	ds_read_b128 v[234:237], v52 offset:1424
	;; [unrolled: 1-line block ×7, first 2 shown]
	v_accvgpr_write_b32 a209, v127
	v_accvgpr_write_b32 a208, v126
	s_waitcnt lgkmcnt(2)
	v_mul_f64 v[10:11], v[246:247], v[90:91]
	v_fmac_f64_e32 v[10:11], v[248:249], v[92:93]
	s_waitcnt lgkmcnt(1)
	v_accvgpr_write_b32 a187, v139
	v_accvgpr_write_b32 a186, v138
	;; [unrolled: 1-line block ×4, first 2 shown]
	v_mul_f64 v[16:17], v[200:201], v[64:65]
	v_fma_f64 v[16:17], v[198:199], v[66:67], -v[16:17]
	v_mul_f64 v[50:51], v[218:219], v[84:85]
	ds_read_b128 v[156:159], v52 offset:1552
	s_waitcnt lgkmcnt(0)
	v_mul_f64 v[26:27], v[156:157], v[118:119]
	v_fmac_f64_e32 v[26:27], v[158:159], v[120:121]
	s_waitcnt vmcnt(16)
	v_pk_mov_b32 v[128:129], v[2:3], v[2:3] op_sel:[0,1]
	v_mul_f64 v[2:3], v[182:183], v[48:49]
	v_fmac_f64_e32 v[2:3], v[184:185], v[28:29]
	v_add_f64 v[0:1], v[0:1], v[2:3]
	v_mul_f64 v[2:3], v[186:187], v[58:59]
	v_fmac_f64_e32 v[2:3], v[188:189], v[60:61]
	v_add_f64 v[0:1], v[0:1], v[2:3]
	v_mul_f64 v[2:3], v[190:191], v[54:55]
	v_fmac_f64_e32 v[2:3], v[192:193], v[56:57]
	v_add_f64 v[0:1], v[0:1], v[2:3]
	v_mul_f64 v[2:3], v[194:195], v[96:97]
	v_fmac_f64_e32 v[2:3], v[196:197], v[98:99]
	v_add_f64 v[0:1], v[0:1], v[2:3]
	v_mul_f64 v[2:3], v[198:199], v[64:65]
	v_fmac_f64_e32 v[2:3], v[200:201], v[66:67]
	v_add_f64 v[0:1], v[0:1], v[2:3]
	v_mul_f64 v[2:3], v[202:203], v[150:151]
	v_fmac_f64_e32 v[2:3], v[204:205], v[210:211]
	v_add_f64 v[0:1], v[0:1], v[2:3]
	v_mul_f64 v[2:3], v[206:207], v[62:63]
	v_fmac_f64_e32 v[2:3], v[208:209], v[108:109]
	v_add_f64 v[0:1], v[0:1], v[2:3]
	v_mul_f64 v[2:3], v[212:213], v[104:105]
	v_fmac_f64_e32 v[2:3], v[214:215], v[106:107]
	v_add_f64 v[0:1], v[0:1], v[2:3]
	v_mul_f64 v[2:3], v[216:217], v[84:85]
	v_fmac_f64_e32 v[2:3], v[218:219], v[94:95]
	v_add_f64 v[0:1], v[0:1], v[2:3]
	v_mul_f64 v[2:3], v[220:221], v[100:101]
	v_fmac_f64_e32 v[2:3], v[222:223], v[102:103]
	v_add_f64 v[0:1], v[0:1], v[2:3]
	v_mul_f64 v[2:3], v[224:225], v[68:69]
	v_fmac_f64_e32 v[2:3], v[226:227], v[70:71]
	v_add_f64 v[0:1], v[0:1], v[2:3]
	v_mul_f64 v[2:3], v[228:229], v[72:73]
	v_fmac_f64_e32 v[2:3], v[230:231], v[82:83]
	v_add_f64 v[0:1], v[0:1], v[2:3]
	v_mul_f64 v[2:3], v[234:235], v[74:75]
	v_fmac_f64_e32 v[2:3], v[236:237], v[76:77]
	v_add_f64 v[0:1], v[0:1], v[2:3]
	v_mul_f64 v[2:3], v[238:239], v[78:79]
	v_fmac_f64_e32 v[2:3], v[240:241], v[80:81]
	v_add_f64 v[0:1], v[0:1], v[2:3]
	v_mul_f64 v[2:3], v[242:243], v[86:87]
	v_fmac_f64_e32 v[2:3], v[244:245], v[88:89]
	v_add_f64 v[0:1], v[0:1], v[2:3]
	v_add_f64 v[0:1], v[0:1], v[10:11]
	v_mul_f64 v[10:11], v[136:137], v[4:5]
	ds_read_b128 v[2:5], v52 offset:1520
	v_fmac_f64_e32 v[10:11], v[138:139], v[6:7]
	v_add_f64 v[0:1], v[0:1], v[10:11]
	v_mul_f64 v[10:11], v[144:145], v[122:123]
	v_accvgpr_write_b32 a191, v147
	v_fmac_f64_e32 v[10:11], v[146:147], v[124:125]
	v_accvgpr_write_b32 a190, v146
	v_accvgpr_write_b32 a189, v145
	;; [unrolled: 1-line block ×3, first 2 shown]
	ds_read_b128 v[144:147], v52 offset:1536
	s_waitcnt lgkmcnt(1)
	v_mul_f64 v[22:23], v[2:3], v[8:9]
	v_add_f64 v[0:1], v[0:1], v[10:11]
	v_fmac_f64_e32 v[22:23], v[4:5], v[12:13]
	v_add_f64 v[0:1], v[0:1], v[22:23]
	s_waitcnt lgkmcnt(0)
	v_mul_f64 v[22:23], v[144:145], v[126:127]
	v_fmac_f64_e32 v[22:23], v[146:147], v[128:129]
	v_add_f64 v[0:1], v[0:1], v[22:23]
	ds_read_b128 v[136:139], v52 offset:1568
	buffer_load_dword v131, off, s[0:3], 0 offset:684
	buffer_load_dword v130, off, s[0:3], 0 offset:680
	v_add_f64 v[0:1], v[0:1], v[26:27]
	v_mul_f64 v[26:27], v[164:165], v[30:31]
	buffer_load_dword v142, off, s[0:3], 0 offset:696
	buffer_load_dword v232, off, s[0:3], 0 offset:688
	v_fma_f64 v[40:41], v[162:163], v[38:39], -v[26:27]
	buffer_load_dword v163, off, s[0:3], 0 offset:676
	buffer_load_dword v162, off, s[0:3], 0 offset:672
	;; [unrolled: 1-line block ×4, first 2 shown]
	v_accvgpr_write_b32 a211, v129
	v_accvgpr_write_b32 a210, v128
	ds_read_b128 v[126:129], v52 offset:1584
	ds_read_b128 v[122:125], v52 offset:1600
	v_mul_f64 v[30:31], v[168:169], v[134:135]
	ds_read_b128 v[118:121], v52 offset:1616
	ds_read_b128 v[34:37], v52 offset:1632
	buffer_load_dword v165, off, s[0:3], 0 offset:716
	buffer_load_dword v164, off, s[0:3], 0 offset:712
	;; [unrolled: 1-line block ×6, first 2 shown]
	v_fma_f64 v[110:111], v[166:167], v[32:33], -v[30:31]
	buffer_load_dword v173, off, s[0:3], 0 offset:724
	buffer_load_dword v172, off, s[0:3], 0 offset:720
	;; [unrolled: 1-line block ×3, first 2 shown]
	v_fma_f64 v[134:135], v[174:175], v[46:47], -v[44:45]
	buffer_load_dword v177, off, s[0:3], 0 offset:748
	buffer_load_dword v176, off, s[0:3], 0 offset:744
	;; [unrolled: 1-line block ×8, first 2 shown]
	v_fma_f64 v[22:23], v[182:183], v[28:29], -v[42:43]
	v_mul_f64 v[42:43], v[188:189], v[58:59]
	v_fma_f64 v[20:21], v[186:187], v[60:61], -v[42:43]
	buffer_load_dword v185, off, s[0:3], 0 offset:780
	buffer_load_dword v184, off, s[0:3], 0 offset:776
	;; [unrolled: 1-line block ×7, first 2 shown]
	s_waitcnt vmcnt(46)
	v_accvgpr_write_b32 a217, v19
	v_mul_f64 v[42:43], v[192:193], v[54:55]
	s_waitcnt lgkmcnt(4)
	v_mul_f64 v[26:27], v[136:137], v[18:19]
	v_accvgpr_write_b32 a216, v18
	v_fma_f64 v[18:19], v[190:191], v[56:57], -v[42:43]
	buffer_load_dword v189, off, s[0:3], 0 offset:812
	buffer_load_dword v188, off, s[0:3], 0 offset:808
	;; [unrolled: 1-line block ×4, first 2 shown]
	s_waitcnt vmcnt(48)
	v_accvgpr_write_b32 a219, v15
	v_mul_f64 v[42:43], v[196:197], v[96:97]
	v_fmac_f64_e32 v[26:27], v[138:139], v[14:15]
	v_accvgpr_write_b32 a218, v14
	v_fma_f64 v[14:15], v[194:195], v[98:99], -v[42:43]
	buffer_load_dword v193, off, s[0:3], 0 offset:828
	buffer_load_dword v192, off, s[0:3], 0 offset:824
	;; [unrolled: 1-line block ×8, first 2 shown]
	v_mul_f64 v[42:43], v[204:205], v[150:151]
	v_fma_f64 v[150:151], v[202:203], v[210:211], -v[42:43]
	buffer_load_dword v203, off, s[0:3], 0 offset:860
	buffer_load_dword v202, off, s[0:3], 0 offset:856
	;; [unrolled: 1-line block ×4, first 2 shown]
	v_mul_f64 v[42:43], v[208:209], v[62:63]
	v_fma_f64 v[12:13], v[206:207], v[108:109], -v[42:43]
	buffer_load_dword v200, off, s[0:3], 0 offset:888
	buffer_load_dword v209, off, s[0:3], 0 offset:876
	;; [unrolled: 1-line block ×8, first 2 shown]
	v_mul_f64 v[48:49], v[214:215], v[104:105]
	ds_read_b128 v[42:45], v52 offset:1648
	v_fma_f64 v[10:11], v[212:213], v[106:107], -v[48:49]
	buffer_load_dword v213, off, s[0:3], 0 offset:908
	buffer_load_dword v212, off, s[0:3], 0 offset:904
	;; [unrolled: 1-line block ×4, first 2 shown]
	s_waitcnt vmcnt(62) lgkmcnt(4)
	v_mul_f64 v[38:39], v[126:127], v[152:153]
	v_add_f64 v[0:1], v[0:1], v[26:27]
	v_fmac_f64_e32 v[38:39], v[128:129], v[154:155]
	v_add_f64 v[0:1], v[0:1], v[38:39]
	s_waitcnt lgkmcnt(3)
	v_mul_f64 v[38:39], v[122:123], v[148:149]
	v_fmac_f64_e32 v[38:39], v[124:125], v[132:133]
	v_add_f64 v[0:1], v[0:1], v[38:39]
	s_waitcnt lgkmcnt(2)
	v_mul_f64 v[38:39], v[118:119], v[140:141]
	s_waitcnt vmcnt(60)
	v_fmac_f64_e32 v[38:39], v[120:121], v[160:161]
	v_add_f64 v[0:1], v[0:1], v[38:39]
	ds_read_b128 v[30:33], v52 offset:1680
	v_mul_f64 v[62:63], v[226:227], v[68:69]
	v_fma_f64 v[6:7], v[224:225], v[70:71], -v[62:63]
	ds_read_b128 v[62:65], v52 offset:1728
	v_accvgpr_write_b32 a203, v5
	v_accvgpr_write_b32 a202, v4
	v_accvgpr_write_b32 a201, v3
	v_accvgpr_write_b32 a200, v2
	v_mul_f64 v[78:79], v[240:241], v[78:79]
	v_fma_f64 v[2:3], v[238:239], v[80:81], -v[78:79]
	ds_read_b128 v[78:81], v52 offset:1792
	v_fma_f64 v[216:217], v[216:217], v[94:95], -v[50:51]
	s_waitcnt vmcnt(58) lgkmcnt(4)
	v_mul_f64 v[46:47], v[34:35], v[130:131]
	s_waitcnt vmcnt(54)
	v_fmac_f64_e32 v[46:47], v[36:37], v[162:163]
	v_add_f64 v[0:1], v[0:1], v[46:47]
	s_waitcnt vmcnt(53) lgkmcnt(3)
	v_mul_f64 v[46:47], v[42:43], v[142:143]
	s_waitcnt vmcnt(52)
	v_fmac_f64_e32 v[46:47], v[44:45], v[232:233]
	v_add_f64 v[0:1], v[0:1], v[46:47]
	ds_read_b128 v[46:49], v52 offset:1664
	s_waitcnt vmcnt(50) lgkmcnt(0)
	v_mul_f64 v[54:55], v[46:47], v[164:165]
	s_waitcnt vmcnt(48)
	v_fmac_f64_e32 v[54:55], v[48:49], v[170:171]
	v_add_f64 v[0:1], v[0:1], v[54:55]
	v_mul_f64 v[54:55], v[222:223], v[100:101]
	v_fma_f64 v[8:9], v[220:221], v[102:103], -v[54:55]
	ds_read_b128 v[54:57], v52 offset:1696
	s_waitcnt vmcnt(46)
	v_mul_f64 v[58:59], v[30:31], v[168:169]
	s_waitcnt vmcnt(44)
	v_fmac_f64_e32 v[58:59], v[32:33], v[172:173]
	v_add_f64 v[0:1], v[0:1], v[58:59]
	ds_read_b128 v[58:61], v52 offset:1712
	s_waitcnt vmcnt(41) lgkmcnt(1)
	v_mul_f64 v[66:67], v[54:55], v[176:177]
	s_waitcnt vmcnt(39)
	v_fmac_f64_e32 v[66:67], v[56:57], v[180:181]
	v_add_f64 v[0:1], v[0:1], v[66:67]
	v_mul_f64 v[66:67], v[230:231], v[72:73]
	v_fma_f64 v[4:5], v[228:229], v[82:83], -v[66:67]
	ds_read_b128 v[66:69], v52 offset:1744
	s_waitcnt vmcnt(38) lgkmcnt(1)
	v_mul_f64 v[70:71], v[58:59], v[166:167]
	s_waitcnt vmcnt(36)
	v_fmac_f64_e32 v[70:71], v[60:61], v[178:179]
	s_waitcnt vmcnt(33)
	v_mul_f64 v[26:27], v[62:63], v[184:185]
	v_add_f64 v[0:1], v[0:1], v[70:71]
	s_waitcnt vmcnt(31)
	v_fmac_f64_e32 v[26:27], v[64:65], v[186:187]
	v_add_f64 v[0:1], v[0:1], v[26:27]
	s_waitcnt vmcnt(29) lgkmcnt(0)
	v_mul_f64 v[26:27], v[66:67], v[174:175]
	s_waitcnt vmcnt(28)
	v_fmac_f64_e32 v[26:27], v[68:69], v[182:183]
	v_add_f64 v[0:1], v[0:1], v[26:27]
	ds_read_b128 v[70:73], v52 offset:1760
	v_mul_f64 v[26:27], v[236:237], v[74:75]
	v_fma_f64 v[26:27], v[234:235], v[76:77], -v[26:27]
	ds_read_b128 v[74:77], v52 offset:1776
	s_waitcnt vmcnt(26) lgkmcnt(1)
	v_mul_f64 v[82:83], v[70:71], v[188:189]
	s_waitcnt vmcnt(24)
	v_fmac_f64_e32 v[82:83], v[72:73], v[190:191]
	v_add_f64 v[0:1], v[0:1], v[82:83]
	s_waitcnt vmcnt(22) lgkmcnt(0)
	v_mul_f64 v[38:39], v[74:75], v[192:193]
	s_waitcnt vmcnt(20)
	v_fmac_f64_e32 v[38:39], v[76:77], v[196:197]
	v_add_f64 v[0:1], v[0:1], v[38:39]
	ds_read_b128 v[82:85], v52 offset:1808
	s_waitcnt vmcnt(18)
	v_mul_f64 v[38:39], v[78:79], v[194:195]
	s_waitcnt vmcnt(16)
	v_fmac_f64_e32 v[38:39], v[80:81], v[198:199]
	v_add_f64 v[38:39], v[0:1], v[38:39]
	v_mul_f64 v[0:1], v[244:245], v[86:87]
	v_fma_f64 v[240:241], v[242:243], v[88:89], -v[0:1]
	ds_read_b128 v[86:89], v52 offset:1824
	v_mul_f64 v[0:1], v[248:249], v[90:91]
	v_fma_f64 v[0:1], v[246:247], v[92:93], -v[0:1]
	ds_read_b128 v[90:93], v52 offset:1840
	s_waitcnt vmcnt(14) lgkmcnt(2)
	v_mul_f64 v[94:95], v[82:83], v[202:203]
	s_waitcnt vmcnt(12)
	v_fmac_f64_e32 v[94:95], v[84:85], v[204:205]
	v_add_f64 v[38:39], v[38:39], v[94:95]
	s_waitcnt vmcnt(9) lgkmcnt(1)
	v_mul_f64 v[94:95], v[86:87], v[208:209]
	s_waitcnt vmcnt(7)
	v_fmac_f64_e32 v[94:95], v[88:89], v[210:211]
	v_add_f64 v[38:39], v[38:39], v[94:95]
	;; [unrolled: 5-line block ×3, first 2 shown]
	ds_read_b128 v[94:97], v52 offset:1856
	buffer_load_dword v238, off, s[0:3], 0 offset:920
	buffer_load_dword v239, off, s[0:3], 0 offset:924
	buffer_load_dword v218, off, s[0:3], 0 offset:912
	buffer_load_dword v219, off, s[0:3], 0 offset:916
	s_waitcnt vmcnt(6) lgkmcnt(0)
	v_mul_f64 v[98:99], v[94:95], v[212:213]
	s_waitcnt vmcnt(4)
	v_fmac_f64_e32 v[98:99], v[96:97], v[214:215]
	v_add_f64 v[38:39], v[38:39], v[98:99]
	ds_read_b128 v[98:101], v52 offset:1872
	buffer_load_dword v221, off, s[0:3], 0 offset:940
	buffer_load_dword v220, off, s[0:3], 0 offset:936
	buffer_load_dword v223, off, s[0:3], 0 offset:932
	buffer_load_dword v222, off, s[0:3], 0 offset:928
	s_waitcnt vmcnt(6) lgkmcnt(0)
	v_mul_f64 v[102:103], v[98:99], v[238:239]
	s_waitcnt vmcnt(4)
	v_fmac_f64_e32 v[102:103], v[100:101], v[218:219]
	v_add_f64 v[38:39], v[38:39], v[102:103]
	;; [unrolled: 10-line block ×3, first 2 shown]
	ds_read_b128 v[106:109], v52 offset:1904
	buffer_load_dword v229, off, s[0:3], 0 offset:972
	buffer_load_dword v228, off, s[0:3], 0 offset:968
	;; [unrolled: 1-line block ×4, first 2 shown]
	ds_read_b128 v[234:237], v52 offset:1920
	buffer_load_dword v242, off, s[0:3], 0 offset:984
	buffer_load_dword v243, off, s[0:3], 0 offset:988
	;; [unrolled: 1-line block ×4, first 2 shown]
	s_waitcnt vmcnt(10) lgkmcnt(1)
	v_mul_f64 v[114:115], v[106:107], v[224:225]
	s_waitcnt vmcnt(8)
	v_fmac_f64_e32 v[114:115], v[108:109], v[226:227]
	v_add_f64 v[38:39], v[38:39], v[114:115]
	s_waitcnt vmcnt(6) lgkmcnt(0)
	v_mul_f64 v[114:115], v[234:235], v[228:229]
	s_waitcnt vmcnt(4)
	v_fmac_f64_e32 v[114:115], v[236:237], v[230:231]
	v_add_f64 v[38:39], v[38:39], v[114:115]
	ds_read_b128 v[114:117], v52 offset:1936
	buffer_load_dword v248, off, s[0:3], 0 offset:128
	buffer_load_dword v249, off, s[0:3], 0 offset:132
	s_waitcnt vmcnt(4) lgkmcnt(0)
	v_mul_f64 v[246:247], v[114:115], v[242:243]
	s_waitcnt vmcnt(2)
	v_fmac_f64_e32 v[246:247], v[116:117], v[244:245]
	v_add_f64 v[38:39], v[38:39], v[246:247]
	v_add_f64 v[246:247], v[252:253], 0
	;; [unrolled: 1-line block ×19, first 2 shown]
	buffer_load_dword v246, off, s[0:3], 0 offset:136
	buffer_load_dword v247, off, s[0:3], 0 offset:140
	v_add_f64 v[6:7], v[8:9], v[6:7]
	v_add_f64 v[4:5], v[6:7], v[4:5]
	;; [unrolled: 1-line block ×5, first 2 shown]
	v_accvgpr_read_b32 v4, a184
	v_accvgpr_read_b32 v2, a192
	;; [unrolled: 1-line block ×5, first 2 shown]
	v_mul_f64 v[2:3], v[6:7], v[2:3]
	v_accvgpr_read_b32 v6, a194
	v_accvgpr_read_b32 v5, a185
	;; [unrolled: 1-line block ×3, first 2 shown]
	v_add_f64 v[0:1], v[252:253], v[0:1]
	v_fma_f64 v[2:3], v[4:5], v[6:7], -v[2:3]
	v_add_f64 v[0:1], v[0:1], v[2:3]
	v_accvgpr_read_b32 v4, a188
	v_accvgpr_read_b32 v2, a196
	;; [unrolled: 1-line block ×5, first 2 shown]
	v_mul_f64 v[2:3], v[6:7], v[2:3]
	v_accvgpr_read_b32 v6, a198
	v_accvgpr_read_b32 v5, a189
	;; [unrolled: 1-line block ×3, first 2 shown]
	v_fma_f64 v[2:3], v[4:5], v[6:7], -v[2:3]
	v_add_f64 v[0:1], v[0:1], v[2:3]
	v_accvgpr_read_b32 v4, a200
	v_accvgpr_read_b32 v2, a204
	;; [unrolled: 1-line block ×5, first 2 shown]
	v_mul_f64 v[2:3], v[6:7], v[2:3]
	v_accvgpr_read_b32 v6, a206
	v_accvgpr_read_b32 v5, a201
	;; [unrolled: 1-line block ×3, first 2 shown]
	v_fma_f64 v[2:3], v[4:5], v[6:7], -v[2:3]
	v_add_f64 v[0:1], v[0:1], v[2:3]
	v_accvgpr_read_b32 v2, a208
	v_accvgpr_read_b32 v3, a209
	v_accvgpr_read_b32 v4, a210
	v_mul_f64 v[2:3], v[146:147], v[2:3]
	v_accvgpr_read_b32 v5, a211
	v_fma_f64 v[2:3], v[144:145], v[4:5], -v[2:3]
	v_add_f64 v[0:1], v[0:1], v[2:3]
	v_accvgpr_read_b32 v2, a212
	v_accvgpr_read_b32 v3, a213
	v_accvgpr_read_b32 v4, a214
	v_mul_f64 v[2:3], v[158:159], v[2:3]
	v_accvgpr_read_b32 v5, a215
	;; [unrolled: 7-line block ×3, first 2 shown]
	v_fma_f64 v[2:3], v[136:137], v[4:5], -v[2:3]
	v_add_f64 v[0:1], v[0:1], v[2:3]
	v_mul_f64 v[2:3], v[128:129], v[152:153]
	v_fma_f64 v[2:3], v[126:127], v[154:155], -v[2:3]
	v_add_f64 v[0:1], v[0:1], v[2:3]
	v_mul_f64 v[2:3], v[124:125], v[148:149]
	;; [unrolled: 3-line block ×23, first 2 shown]
	v_fma_f64 v[2:3], v[114:115], v[244:245], -v[2:3]
	v_add_f64 v[0:1], v[0:1], v[2:3]
	s_waitcnt vmcnt(2)
	v_add_f64 v[0:1], v[248:249], -v[0:1]
	s_waitcnt vmcnt(0)
	v_add_f64 v[2:3], v[246:247], -v[38:39]
	buffer_store_dword v1, off, s[0:3], 0 offset:132
	buffer_store_dword v0, off, s[0:3], 0 offset:128
	;; [unrolled: 1-line block ×4, first 2 shown]
	v_accvgpr_read_b32 v0, a232             ;  Reload Reuse
	v_cmp_lt_u32_e32 vcc, 6, v0
	s_and_saveexec_b64 s[4:5], vcc
	s_cbranch_execz .LBB60_379
; %bb.378:
	v_accvgpr_read_b32 v0, a176
	buffer_load_dword v2, v0, s[0:3], 0 offen
	buffer_load_dword v3, v0, s[0:3], 0 offen offset:4
	buffer_load_dword v4, v0, s[0:3], 0 offen offset:8
	;; [unrolled: 1-line block ×3, first 2 shown]
	v_accvgpr_read_b32 v0, a183
	buffer_store_dword v52, off, s[0:3], 0 offset:112
	buffer_store_dword v52, off, s[0:3], 0 offset:116
	;; [unrolled: 1-line block ×4, first 2 shown]
	s_waitcnt vmcnt(4)
	ds_write_b128 v0, v[2:5]
.LBB60_379:
	s_or_b64 exec, exec, s[4:5]
	s_waitcnt lgkmcnt(0)
	; wave barrier
	s_waitcnt lgkmcnt(0)
	buffer_load_dword v128, off, s[0:3], 0 offset:128
	buffer_load_dword v129, off, s[0:3], 0 offset:132
	;; [unrolled: 1-line block ×42, first 2 shown]
	ds_read_b128 v[14:17], v52 offset:1088
	ds_read_b128 v[26:29], v52 offset:1104
	;; [unrolled: 1-line block ×10, first 2 shown]
	buffer_load_dword v105, off, s[0:3], 0 offset:276
	buffer_load_dword v104, off, s[0:3], 0 offset:272
	ds_read_b128 v[42:45], v52 offset:1248
	buffer_load_dword v65, off, s[0:3], 0 offset:332
	buffer_load_dword v64, off, s[0:3], 0 offset:328
	;; [unrolled: 1-line block ×6, first 2 shown]
	s_waitcnt vmcnt(46) lgkmcnt(10)
	v_mul_f64 v[2:3], v[14:15], v[8:9]
	v_fmac_f64_e32 v[2:3], v[16:17], v[128:129]
	v_add_f64 v[2:3], v[2:3], 0
	v_mul_f64 v[8:9], v[16:17], v[8:9]
	s_waitcnt vmcnt(42) lgkmcnt(9)
	v_mul_f64 v[4:5], v[26:27], v[12:13]
	v_fmac_f64_e32 v[4:5], v[28:29], v[138:139]
	s_waitcnt vmcnt(40) lgkmcnt(8)
	v_mul_f64 v[66:67], v[106:107], v[18:19]
	v_add_f64 v[2:3], v[2:3], v[4:5]
	s_waitcnt vmcnt(38) lgkmcnt(6)
	v_mul_f64 v[72:73], v[114:115], v[30:31]
	v_fma_f64 v[128:129], v[14:15], v[128:129], -v[8:9]
	s_waitcnt vmcnt(36)
	v_fmac_f64_e32 v[72:73], v[116:117], v[32:33]
	v_mul_f64 v[12:13], v[28:29], v[12:13]
	s_waitcnt vmcnt(34)
	v_mul_f64 v[68:69], v[110:111], v[22:23]
	v_mul_f64 v[18:19], v[108:109], v[18:19]
	s_waitcnt vmcnt(32) lgkmcnt(4)
	v_mul_f64 v[76:77], v[164:165], v[38:39]
	v_mul_f64 v[22:23], v[112:113], v[22:23]
	s_waitcnt vmcnt(30)
	v_fmac_f64_e32 v[76:77], v[166:167], v[40:41]
	v_mul_f64 v[30:31], v[116:117], v[30:31]
	s_waitcnt vmcnt(28)
	v_mul_f64 v[74:75], v[156:157], v[34:35]
	v_mul_f64 v[34:35], v[158:159], v[34:35]
	s_waitcnt vmcnt(26) lgkmcnt(2)
	v_mul_f64 v[80:81], v[172:173], v[148:149]
	s_waitcnt vmcnt(23)
	v_mul_f64 v[78:79], v[168:169], v[56:57]
	s_waitcnt vmcnt(21) lgkmcnt(1)
	v_mul_f64 v[142:143], v[46:47], v[50:51]
	s_waitcnt vmcnt(19)
	v_fmac_f64_e32 v[66:67], v[108:109], v[186:187]
	v_add_f64 v[2:3], v[2:3], v[66:67]
	s_waitcnt vmcnt(17)
	v_fmac_f64_e32 v[68:69], v[112:113], v[24:25]
	v_add_f64 v[2:3], v[2:3], v[68:69]
	;; [unrolled: 3-line block ×3, first 2 shown]
	v_add_f64 v[2:3], v[2:3], v[74:75]
	s_waitcnt vmcnt(13)
	v_fmac_f64_e32 v[78:79], v[170:171], v[58:59]
	v_add_f64 v[2:3], v[2:3], v[76:77]
	s_waitcnt vmcnt(12)
	v_fmac_f64_e32 v[80:81], v[174:175], v[54:55]
	v_add_f64 v[2:3], v[2:3], v[78:79]
	v_add_f64 v[2:3], v[2:3], v[80:81]
	buffer_load_dword v151, off, s[0:3], 0 offset:308
	buffer_load_dword v150, off, s[0:3], 0 offset:304
	;; [unrolled: 1-line block ×52, first 2 shown]
	s_waitcnt vmcnt(58)
	v_fmac_f64_e32 v[142:143], v[48:49], v[104:105]
	v_add_f64 v[2:3], v[2:3], v[142:143]
	v_fma_f64 v[186:187], v[106:107], v[186:187], -v[18:19]
	v_fma_f64 v[106:107], v[110:111], v[24:25], -v[22:23]
	;; [unrolled: 1-line block ×4, first 2 shown]
	s_waitcnt vmcnt(0)
	v_pk_mov_b32 v[120:121], v[4:5], v[4:5] op_sel:[0,1]
	buffer_load_dword v5, off, s[0:3], 0 offset:548
	buffer_load_dword v4, off, s[0:3], 0 offset:544
	v_accvgpr_write_b32 a191, v121
	v_accvgpr_write_b32 a190, v120
	s_waitcnt vmcnt(0)
	v_pk_mov_b32 v[122:123], v[4:5], v[4:5] op_sel:[0,1]
	buffer_load_dword v5, off, s[0:3], 0 offset:540
	buffer_load_dword v4, off, s[0:3], 0 offset:536
	v_accvgpr_write_b32 a193, v123
	v_accvgpr_write_b32 a192, v122
	s_waitcnt vmcnt(0)
	v_pk_mov_b32 v[130:131], v[4:5], v[4:5] op_sel:[0,1]
	buffer_load_dword v5, off, s[0:3], 0 offset:532
	buffer_load_dword v4, off, s[0:3], 0 offset:528
	v_accvgpr_write_b32 a223, v131
	v_accvgpr_write_b32 a222, v130
	s_waitcnt vmcnt(0)
	v_pk_mov_b32 v[132:133], v[4:5], v[4:5] op_sel:[0,1]
	buffer_load_dword v5, off, s[0:3], 0 offset:588
	buffer_load_dword v4, off, s[0:3], 0 offset:584
	v_accvgpr_write_b32 a189, v133
	v_accvgpr_write_b32 a188, v132
	s_waitcnt vmcnt(0)
	v_pk_mov_b32 v[124:125], v[4:5], v[4:5] op_sel:[0,1]
	buffer_load_dword v5, off, s[0:3], 0 offset:580
	buffer_load_dword v4, off, s[0:3], 0 offset:576
	v_accvgpr_write_b32 a199, v125
	v_accvgpr_write_b32 a198, v124
	s_waitcnt vmcnt(0)
	v_pk_mov_b32 v[126:127], v[4:5], v[4:5] op_sel:[0,1]
	buffer_load_dword v5, off, s[0:3], 0 offset:572
	buffer_load_dword v4, off, s[0:3], 0 offset:568
	v_accvgpr_write_b32 a201, v127
	v_accvgpr_write_b32 a200, v126
	s_waitcnt vmcnt(0)
	v_pk_mov_b32 v[144:145], v[4:5], v[4:5] op_sel:[0,1]
	buffer_load_dword v5, off, s[0:3], 0 offset:564
	buffer_load_dword v4, off, s[0:3], 0 offset:560
	v_accvgpr_write_b32 a195, v145
	v_accvgpr_write_b32 a194, v144
	s_waitcnt vmcnt(0)
	v_pk_mov_b32 v[146:147], v[4:5], v[4:5] op_sel:[0,1]
	buffer_load_dword v5, off, s[0:3], 0 offset:620
	buffer_load_dword v4, off, s[0:3], 0 offset:616
	v_accvgpr_write_b32 a197, v147
	v_accvgpr_write_b32 a196, v146
	s_waitcnt vmcnt(0)
	v_pk_mov_b32 v[162:163], v[4:5], v[4:5] op_sel:[0,1]
	buffer_load_dword v5, off, s[0:3], 0 offset:612
	buffer_load_dword v4, off, s[0:3], 0 offset:608
	v_accvgpr_write_b32 a203, v163
	v_accvgpr_write_b32 a202, v162
	s_waitcnt vmcnt(0)
	v_pk_mov_b32 v[182:183], v[4:5], v[4:5] op_sel:[0,1]
	buffer_load_dword v5, off, s[0:3], 0 offset:604
	buffer_load_dword v4, off, s[0:3], 0 offset:600
	v_accvgpr_write_b32 a205, v183
	v_accvgpr_write_b32 a204, v182
	s_waitcnt vmcnt(0)
	v_pk_mov_b32 v[184:185], v[4:5], v[4:5] op_sel:[0,1]
	buffer_load_dword v5, off, s[0:3], 0 offset:596
	buffer_load_dword v4, off, s[0:3], 0 offset:592
	ds_read_b128 v[176:179], v52 offset:1264
	ds_read_b128 v[192:195], v52 offset:1280
	;; [unrolled: 1-line block ×7, first 2 shown]
	buffer_load_dword v11, off, s[0:3], 0 offset:636
	buffer_load_dword v10, off, s[0:3], 0 offset:632
	;; [unrolled: 1-line block ×4, first 2 shown]
	ds_read_b128 v[220:223], v52 offset:1376
	v_accvgpr_write_b32 a207, v185
	v_accvgpr_write_b32 a206, v184
	s_waitcnt lgkmcnt(5)
	v_mul_f64 v[24:25], v[198:199], v[250:251]
	v_fma_f64 v[24:25], v[196:197], v[252:253], -v[24:25]
	s_waitcnt vmcnt(4)
	v_pk_mov_b32 v[188:189], v[4:5], v[4:5] op_sel:[0,1]
	v_mul_f64 v[4:5], v[42:43], v[60:61]
	v_fmac_f64_e32 v[4:5], v[44:45], v[62:63]
	v_add_f64 v[2:3], v[2:3], v[4:5]
	v_mul_f64 v[4:5], v[176:177], v[0:1]
	v_fmac_f64_e32 v[4:5], v[178:179], v[150:151]
	v_add_f64 v[2:3], v[2:3], v[4:5]
	v_mul_f64 v[4:5], v[192:193], v[64:65]
	s_waitcnt vmcnt(0)
	v_pk_mov_b32 v[190:191], v[118:119], v[118:119] op_sel:[0,1]
	buffer_load_dword v118, off, s[0:3], 0 offset:648
	buffer_load_dword v119, off, s[0:3], 0 offset:652
	;; [unrolled: 1-line block ×4, first 2 shown]
	ds_read_b128 v[224:227], v52 offset:1392
	ds_read_b128 v[228:231], v52 offset:1408
	ds_read_b128 v[234:237], v52 offset:1424
	ds_read_b128 v[238:241], v52 offset:1440
	buffer_load_dword v21, off, s[0:3], 0 offset:668
	buffer_load_dword v20, off, s[0:3], 0 offset:664
	buffer_load_dword v233, off, s[0:3], 0 offset:660
	buffer_load_dword v232, off, s[0:3], 0 offset:656
	v_fmac_f64_e32 v[4:5], v[194:195], v[70:71]
	v_add_f64 v[2:3], v[2:3], v[4:5]
	v_mul_f64 v[4:5], v[196:197], v[250:251]
	v_fmac_f64_e32 v[4:5], v[198:199], v[252:253]
	v_add_f64 v[2:3], v[2:3], v[4:5]
	s_waitcnt lgkmcnt(8)
	v_mul_f64 v[4:5], v[200:201], v[208:209]
	v_fmac_f64_e32 v[4:5], v[202:203], v[210:211]
	v_add_f64 v[2:3], v[2:3], v[4:5]
	s_waitcnt lgkmcnt(7)
	;; [unrolled: 4-line block ×7, first 2 shown]
	v_mul_f64 v[4:5], v[228:229], v[66:67]
	v_fmac_f64_e32 v[4:5], v[230:231], v[68:69]
	ds_read_b128 v[242:245], v52 offset:1456
	ds_read_b128 v[246:249], v52 offset:1472
	v_add_f64 v[2:3], v[2:3], v[4:5]
	s_waitcnt lgkmcnt(3)
	v_mul_f64 v[4:5], v[234:235], v[72:73]
	v_fmac_f64_e32 v[4:5], v[236:237], v[74:75]
	v_add_f64 v[2:3], v[2:3], v[4:5]
	s_waitcnt lgkmcnt(2)
	v_mul_f64 v[4:5], v[238:239], v[78:79]
	v_fmac_f64_e32 v[4:5], v[240:241], v[80:81]
	ds_read_b128 v[134:137], v52 offset:1488
	ds_read_b128 v[152:155], v52 offset:1504
	v_add_f64 v[2:3], v[2:3], v[4:5]
	s_waitcnt lgkmcnt(3)
	v_mul_f64 v[4:5], v[242:243], v[82:83]
	v_fmac_f64_e32 v[4:5], v[244:245], v[84:85]
	v_add_f64 v[2:3], v[2:3], v[4:5]
	s_waitcnt lgkmcnt(2)
	v_mul_f64 v[4:5], v[246:247], v[90:91]
	v_fmac_f64_e32 v[4:5], v[248:249], v[92:93]
	v_add_f64 v[160:161], v[2:3], v[4:5]
	s_waitcnt lgkmcnt(1)
	v_mul_f64 v[4:5], v[134:135], v[130:131]
	v_accvgpr_write_b32 a187, v137
	v_fmac_f64_e32 v[4:5], v[136:137], v[132:133]
	v_accvgpr_write_b32 a186, v136
	v_accvgpr_write_b32 a185, v135
	;; [unrolled: 1-line block ×3, first 2 shown]
	ds_read_b128 v[134:137], v52 offset:1520
	ds_read_b128 v[130:133], v52 offset:1536
	s_waitcnt lgkmcnt(2)
	v_mul_f64 v[14:15], v[152:153], v[120:121]
	v_add_f64 v[4:5], v[160:161], v[4:5]
	v_fma_f64 v[160:161], v[26:27], v[138:139], -v[12:13]
	v_fmac_f64_e32 v[14:15], v[154:155], v[122:123]
	s_waitcnt lgkmcnt(1)
	v_mul_f64 v[26:27], v[134:135], v[144:145]
	ds_read_b128 v[138:141], v52 offset:1552
	ds_read_b128 v[142:145], v52 offset:1568
	v_add_f64 v[4:5], v[4:5], v[14:15]
	v_fmac_f64_e32 v[26:27], v[136:137], v[146:147]
	v_add_f64 v[4:5], v[4:5], v[26:27]
	s_waitcnt lgkmcnt(2)
	v_mul_f64 v[26:27], v[130:131], v[124:125]
	v_fmac_f64_e32 v[26:27], v[132:133], v[126:127]
	ds_read_b128 v[124:127], v52 offset:1584
	ds_read_b128 v[120:123], v52 offset:1600
	v_add_f64 v[4:5], v[4:5], v[26:27]
	s_waitcnt lgkmcnt(3)
	v_mul_f64 v[26:27], v[138:139], v[184:185]
	v_fmac_f64_e32 v[26:27], v[140:141], v[188:189]
	v_add_f64 v[4:5], v[4:5], v[26:27]
	s_waitcnt lgkmcnt(2)
	v_mul_f64 v[26:27], v[142:143], v[162:163]
	v_fmac_f64_e32 v[26:27], v[144:145], v[182:183]
	s_waitcnt lgkmcnt(1)
	v_mul_f64 v[110:111], v[124:125], v[10:11]
	v_add_f64 v[4:5], v[4:5], v[26:27]
	v_fmac_f64_e32 v[110:111], v[126:127], v[190:191]
	ds_read_b128 v[34:37], v52 offset:1616
	s_waitcnt vmcnt(6) lgkmcnt(1)
	v_mul_f64 v[8:9], v[120:121], v[118:119]
	v_add_f64 v[4:5], v[4:5], v[110:111]
	buffer_load_dword v157, off, s[0:3], 0 offset:684
	buffer_load_dword v156, off, s[0:3], 0 offset:680
	s_waitcnt vmcnt(6)
	v_fmac_f64_e32 v[8:9], v[122:123], v[6:7]
	v_add_f64 v[8:9], v[4:5], v[8:9]
	buffer_load_dword v163, off, s[0:3], 0 offset:676
	buffer_load_dword v162, off, s[0:3], 0 offset:672
	v_mul_f64 v[4:5], v[166:167], v[38:39]
	v_fma_f64 v[182:183], v[164:165], v[40:41], -v[4:5]
	buffer_load_dword v158, off, s[0:3], 0 offset:712
	buffer_load_dword v30, off, s[0:3], 0 offset:704
	;; [unrolled: 1-line block ×4, first 2 shown]
	s_waitcnt vmcnt(10) lgkmcnt(0)
	v_mul_f64 v[14:15], v[34:35], v[20:21]
	buffer_load_dword v167, off, s[0:3], 0 offset:692
	buffer_load_dword v166, off, s[0:3], 0 offset:688
	;; [unrolled: 1-line block ×4, first 2 shown]
	s_waitcnt vmcnt(12)
	v_fmac_f64_e32 v[14:15], v[36:37], v[232:233]
	v_accvgpr_write_b32 a213, v11
	v_mul_f64 v[38:39], v[170:171], v[56:57]
	v_add_f64 v[14:15], v[8:9], v[14:15]
	v_mul_f64 v[8:9], v[174:175], v[148:149]
	v_accvgpr_write_b32 a212, v10
	v_fma_f64 v[16:17], v[168:169], v[58:59], -v[38:39]
	ds_read_b128 v[38:41], v52 offset:1632
	v_fma_f64 v[10:11], v[172:173], v[54:55], -v[8:9]
	buffer_load_dword v169, off, s[0:3], 0 offset:732
	buffer_load_dword v168, off, s[0:3], 0 offset:728
	;; [unrolled: 1-line block ×8, first 2 shown]
	v_accvgpr_write_b32 a219, v21
	v_accvgpr_write_b32 a218, v20
	v_mul_f64 v[20:21], v[178:179], v[0:1]
	buffer_load_dword v179, off, s[0:3], 0 offset:764
	buffer_load_dword v178, off, s[0:3], 0 offset:760
	;; [unrolled: 1-line block ×8, first 2 shown]
	v_accvgpr_write_b32 a209, v189
	v_accvgpr_write_b32 a211, v191
	;; [unrolled: 1-line block ×4, first 2 shown]
	v_fma_f64 v[20:21], v[176:177], v[150:151], -v[20:21]
	buffer_load_dword v176, off, s[0:3], 0 offset:808
	buffer_load_dword v189, off, s[0:3], 0 offset:796
	buffer_load_dword v188, off, s[0:3], 0 offset:792
	buffer_load_dword v191, off, s[0:3], 0 offset:788
	buffer_load_dword v190, off, s[0:3], 0 offset:784
	buffer_load_dword v150, off, s[0:3], 0 offset:800
	buffer_load_dword v177, off, s[0:3], 0 offset:812
	buffer_load_dword v151, off, s[0:3], 0 offset:804
	v_mul_f64 v[8:9], v[48:49], v[50:51]
	v_fma_f64 v[12:13], v[46:47], v[104:105], -v[8:9]
	v_mul_f64 v[8:9], v[44:45], v[60:61]
	v_accvgpr_write_b32 a217, v7
	v_fma_f64 v[8:9], v[42:43], v[62:63], -v[8:9]
	v_mul_f64 v[42:43], v[194:195], v[64:65]
	v_accvgpr_write_b32 a216, v6
	v_fma_f64 v[6:7], v[192:193], v[70:71], -v[42:43]
	buffer_load_dword v193, off, s[0:3], 0 offset:828
	buffer_load_dword v192, off, s[0:3], 0 offset:824
	;; [unrolled: 1-line block ×4, first 2 shown]
	v_mul_f64 v[42:43], v[202:203], v[208:209]
	v_fma_f64 v[250:251], v[200:201], v[210:211], -v[42:43]
	buffer_load_dword v198, off, s[0:3], 0 offset:840
	buffer_load_dword v200, off, s[0:3], 0 offset:832
	;; [unrolled: 1-line block ×4, first 2 shown]
	v_mul_f64 v[42:43], v[206:207], v[254:255]
	v_fma_f64 v[180:181], v[204:205], v[180:181], -v[42:43]
	buffer_load_dword v197, off, s[0:3], 0 offset:876
	buffer_load_dword v203, off, s[0:3], 0 offset:860
	buffer_load_dword v202, off, s[0:3], 0 offset:856
	buffer_load_dword v209, off, s[0:3], 0 offset:852
	buffer_load_dword v208, off, s[0:3], 0 offset:848
	buffer_load_dword v196, off, s[0:3], 0 offset:872
	buffer_load_dword v207, off, s[0:3], 0 offset:868
	buffer_load_dword v206, off, s[0:3], 0 offset:864
	buffer_load_dword v205, off, s[0:3], 0 offset:892
	buffer_load_dword v204, off, s[0:3], 0 offset:888
	buffer_load_dword v211, off, s[0:3], 0 offset:884
	buffer_load_dword v210, off, s[0:3], 0 offset:880
	ds_read_b128 v[42:45], v52 offset:1648
	v_mul_f64 v[46:47], v[214:215], v[96:97]
	v_fma_f64 v[254:255], v[212:213], v[98:99], -v[46:47]
	v_mul_f64 v[46:47], v[218:219], v[100:101]
	buffer_load_dword v212, off, s[0:3], 0 offset:904
	buffer_load_dword v214, off, s[0:3], 0 offset:896
	;; [unrolled: 1-line block ×4, first 2 shown]
	v_fma_f64 v[252:253], v[216:217], v[102:103], -v[46:47]
	ds_read_b128 v[46:49], v52 offset:1664
	ds_read_b128 v[146:149], v52 offset:1680
	v_mul_f64 v[54:55], v[222:223], v[76:77]
	v_fma_f64 v[4:5], v[220:221], v[86:87], -v[54:55]
	ds_read_b128 v[54:57], v52 offset:1696
	ds_read_b128 v[62:65], v52 offset:1728
	v_mul_f64 v[90:91], v[248:249], v[90:91]
	v_accvgpr_write_b32 a215, v119
	v_accvgpr_write_b32 a214, v118
	v_add_f64 v[118:119], v[128:129], 0
	v_add_f64 v[118:119], v[118:119], v[160:161]
	;; [unrolled: 1-line block ×19, first 2 shown]
	v_accvgpr_write_b32 a220, v232
	s_waitcnt vmcnt(58) lgkmcnt(5)
	v_mul_f64 v[50:51], v[38:39], v[156:157]
	v_accvgpr_write_b32 a221, v233
	s_waitcnt vmcnt(56)
	v_fmac_f64_e32 v[50:51], v[40:41], v[162:163]
	v_add_f64 v[14:15], v[14:15], v[50:51]
	s_waitcnt vmcnt(52) lgkmcnt(4)
	v_mul_f64 v[50:51], v[42:43], v[164:165]
	s_waitcnt vmcnt(50)
	v_fmac_f64_e32 v[50:51], v[44:45], v[166:167]
	v_add_f64 v[14:15], v[14:15], v[50:51]
	s_waitcnt vmcnt(49) lgkmcnt(3)
	v_mul_f64 v[50:51], v[46:47], v[158:159]
	;; [unrolled: 5-line block ×3, first 2 shown]
	s_waitcnt vmcnt(44)
	v_fmac_f64_e32 v[58:59], v[148:149], v[172:173]
	v_add_f64 v[14:15], v[14:15], v[58:59]
	v_mul_f64 v[58:59], v[226:227], v[88:89]
	v_fma_f64 v[2:3], v[224:225], v[94:95], -v[58:59]
	ds_read_b128 v[58:61], v52 offset:1712
	s_waitcnt vmcnt(41) lgkmcnt(2)
	v_mul_f64 v[28:29], v[54:55], v[170:171]
	s_waitcnt vmcnt(40)
	v_fmac_f64_e32 v[28:29], v[56:57], v[174:175]
	v_add_f64 v[14:15], v[14:15], v[28:29]
	v_mul_f64 v[28:29], v[230:231], v[66:67]
	s_waitcnt vmcnt(38) lgkmcnt(0)
	v_mul_f64 v[70:71], v[58:59], v[178:179]
	v_fma_f64 v[28:29], v[228:229], v[68:69], -v[28:29]
	ds_read_b128 v[66:69], v52 offset:1744
	s_waitcnt vmcnt(36)
	v_fmac_f64_e32 v[70:71], v[60:61], v[26:27]
	v_add_f64 v[14:15], v[14:15], v[70:71]
	v_mul_f64 v[70:71], v[236:237], v[72:73]
	v_fma_f64 v[0:1], v[234:235], v[74:75], -v[70:71]
	ds_read_b128 v[70:73], v52 offset:1760
	s_waitcnt vmcnt(34)
	v_mul_f64 v[76:77], v[62:63], v[22:23]
	s_waitcnt vmcnt(32)
	v_fmac_f64_e32 v[76:77], v[64:65], v[184:185]
	s_waitcnt vmcnt(29) lgkmcnt(1)
	v_mul_f64 v[32:33], v[66:67], v[188:189]
	v_add_f64 v[14:15], v[14:15], v[76:77]
	ds_read_b128 v[74:77], v52 offset:1776
	s_waitcnt vmcnt(27)
	v_fmac_f64_e32 v[32:33], v[68:69], v[190:191]
	v_add_f64 v[14:15], v[14:15], v[32:33]
	s_waitcnt vmcnt(25) lgkmcnt(1)
	v_mul_f64 v[32:33], v[70:71], v[176:177]
	s_waitcnt vmcnt(24)
	v_fmac_f64_e32 v[32:33], v[72:73], v[150:151]
	v_add_f64 v[14:15], v[14:15], v[32:33]
	v_mul_f64 v[32:33], v[240:241], v[78:79]
	v_fma_f64 v[32:33], v[238:239], v[80:81], -v[32:33]
	ds_read_b128 v[78:81], v52 offset:1792
	s_waitcnt vmcnt(22) lgkmcnt(1)
	v_mul_f64 v[86:87], v[74:75], v[192:193]
	s_waitcnt vmcnt(20)
	v_fmac_f64_e32 v[86:87], v[76:77], v[194:195]
	v_add_f64 v[86:87], v[14:15], v[86:87]
	v_mul_f64 v[14:15], v[244:245], v[82:83]
	v_fma_f64 v[14:15], v[242:243], v[84:85], -v[14:15]
	ds_read_b128 v[82:85], v52 offset:1808
	s_waitcnt vmcnt(17) lgkmcnt(1)
	v_mul_f64 v[88:89], v[78:79], v[198:199]
	s_waitcnt vmcnt(16)
	v_fmac_f64_e32 v[88:89], v[80:81], v[200:201]
	v_add_f64 v[94:95], v[86:87], v[88:89]
	ds_read_b128 v[86:89], v52 offset:1824
	v_fma_f64 v[238:239], v[246:247], v[92:93], -v[90:91]
	ds_read_b128 v[90:93], v52 offset:1840
	s_waitcnt vmcnt(13) lgkmcnt(2)
	v_mul_f64 v[96:97], v[82:83], v[202:203]
	s_waitcnt vmcnt(11)
	v_fmac_f64_e32 v[96:97], v[84:85], v[208:209]
	v_add_f64 v[94:95], v[94:95], v[96:97]
	s_waitcnt vmcnt(10) lgkmcnt(1)
	v_mul_f64 v[96:97], v[86:87], v[196:197]
	s_waitcnt vmcnt(8)
	v_fmac_f64_e32 v[96:97], v[88:89], v[206:207]
	v_add_f64 v[94:95], v[94:95], v[96:97]
	s_waitcnt vmcnt(6) lgkmcnt(0)
	v_mul_f64 v[96:97], v[90:91], v[204:205]
	s_waitcnt vmcnt(4)
	v_fmac_f64_e32 v[96:97], v[92:93], v[210:211]
	v_add_f64 v[98:99], v[94:95], v[96:97]
	ds_read_b128 v[94:97], v52 offset:1856
	buffer_load_dword v217, off, s[0:3], 0 offset:924
	buffer_load_dword v216, off, s[0:3], 0 offset:920
	;; [unrolled: 1-line block ×4, first 2 shown]
	v_add_f64 v[2:3], v[4:5], v[2:3]
	v_add_f64 v[2:3], v[2:3], v[28:29]
	;; [unrolled: 1-line block ×3, first 2 shown]
	s_waitcnt vmcnt(5) lgkmcnt(0)
	v_mul_f64 v[100:101], v[94:95], v[212:213]
	s_waitcnt vmcnt(4)
	v_fmac_f64_e32 v[100:101], v[96:97], v[214:215]
	v_add_f64 v[102:103], v[98:99], v[100:101]
	ds_read_b128 v[98:101], v52 offset:1872
	buffer_load_dword v220, off, s[0:3], 0 offset:936
	buffer_load_dword v221, off, s[0:3], 0 offset:940
	;; [unrolled: 1-line block ×4, first 2 shown]
	v_accvgpr_read_b32 v4, a184
	v_accvgpr_read_b32 v2, a222
	;; [unrolled: 1-line block ×5, first 2 shown]
	v_add_f64 v[254:255], v[0:1], v[32:33]
	v_mul_f64 v[2:3], v[6:7], v[2:3]
	v_accvgpr_read_b32 v6, a188
	v_add_f64 v[0:1], v[254:255], v[14:15]
	v_accvgpr_read_b32 v5, a185
	v_accvgpr_read_b32 v7, a189
	v_add_f64 v[0:1], v[0:1], v[238:239]
	v_fma_f64 v[2:3], v[4:5], v[6:7], -v[2:3]
	v_add_f64 v[0:1], v[0:1], v[2:3]
	v_accvgpr_read_b32 v2, a190
	v_accvgpr_read_b32 v3, a191
	v_accvgpr_read_b32 v4, a192
	v_mul_f64 v[2:3], v[154:155], v[2:3]
	v_accvgpr_read_b32 v5, a193
	v_fma_f64 v[2:3], v[152:153], v[4:5], -v[2:3]
	v_add_f64 v[0:1], v[0:1], v[2:3]
	v_accvgpr_read_b32 v2, a194
	v_accvgpr_read_b32 v3, a195
	v_accvgpr_read_b32 v4, a196
	v_mul_f64 v[2:3], v[136:137], v[2:3]
	v_accvgpr_read_b32 v5, a197
	;; [unrolled: 7-line block ×8, first 2 shown]
	v_fma_f64 v[2:3], v[34:35], v[4:5], -v[2:3]
	s_waitcnt vmcnt(6) lgkmcnt(0)
	v_mul_f64 v[104:105], v[98:99], v[216:217]
	v_add_f64 v[0:1], v[0:1], v[2:3]
	s_waitcnt vmcnt(4)
	v_fmac_f64_e32 v[104:105], v[100:101], v[218:219]
	v_add_f64 v[110:111], v[102:103], v[104:105]
	ds_read_b128 v[102:105], v52 offset:1888
	buffer_load_dword v225, off, s[0:3], 0 offset:956
	buffer_load_dword v224, off, s[0:3], 0 offset:952
	;; [unrolled: 1-line block ×4, first 2 shown]
	ds_read_b128 v[234:237], v52 offset:1904
	buffer_load_dword v228, off, s[0:3], 0 offset:968
	buffer_load_dword v229, off, s[0:3], 0 offset:972
	;; [unrolled: 1-line block ×4, first 2 shown]
	v_mul_f64 v[2:3], v[40:41], v[156:157]
	s_waitcnt vmcnt(10) lgkmcnt(1)
	v_mul_f64 v[112:113], v[102:103], v[220:221]
	s_waitcnt vmcnt(8)
	v_fmac_f64_e32 v[112:113], v[104:105], v[222:223]
	v_add_f64 v[110:111], v[110:111], v[112:113]
	v_fma_f64 v[2:3], v[38:39], v[162:163], -v[2:3]
	v_add_f64 v[0:1], v[0:1], v[2:3]
	v_mul_f64 v[2:3], v[44:45], v[164:165]
	v_fma_f64 v[2:3], v[42:43], v[166:167], -v[2:3]
	v_add_f64 v[0:1], v[0:1], v[2:3]
	v_mul_f64 v[2:3], v[48:49], v[158:159]
	;; [unrolled: 3-line block ×16, first 2 shown]
	v_fma_f64 v[2:3], v[102:103], v[222:223], -v[2:3]
	v_add_f64 v[0:1], v[0:1], v[2:3]
	s_waitcnt vmcnt(6) lgkmcnt(0)
	v_mul_f64 v[112:113], v[234:235], v[224:225]
	v_mul_f64 v[2:3], v[236:237], v[224:225]
	s_waitcnt vmcnt(4)
	v_fmac_f64_e32 v[112:113], v[236:237], v[226:227]
	v_add_f64 v[114:115], v[110:111], v[112:113]
	ds_read_b128 v[110:113], v52 offset:1920
	buffer_load_dword v243, off, s[0:3], 0 offset:988
	buffer_load_dword v242, off, s[0:3], 0 offset:984
	;; [unrolled: 1-line block ×4, first 2 shown]
	v_fma_f64 v[2:3], v[234:235], v[226:227], -v[2:3]
	v_add_f64 v[0:1], v[0:1], v[2:3]
	s_waitcnt vmcnt(6) lgkmcnt(0)
	v_mul_f64 v[116:117], v[110:111], v[228:229]
	s_waitcnt vmcnt(4)
	v_fmac_f64_e32 v[116:117], v[112:113], v[230:231]
	v_add_f64 v[240:241], v[114:115], v[116:117]
	ds_read_b128 v[114:117], v52 offset:1936
	buffer_load_dword v248, off, s[0:3], 0 offset:112
	buffer_load_dword v249, off, s[0:3], 0 offset:116
	;; [unrolled: 1-line block ×4, first 2 shown]
	v_mul_f64 v[2:3], v[112:113], v[228:229]
	v_fma_f64 v[2:3], v[110:111], v[230:231], -v[2:3]
	v_add_f64 v[0:1], v[0:1], v[2:3]
	s_waitcnt vmcnt(6) lgkmcnt(0)
	v_mul_f64 v[2:3], v[116:117], v[242:243]
	v_mul_f64 v[232:233], v[114:115], v[242:243]
	s_waitcnt vmcnt(4)
	v_fma_f64 v[2:3], v[114:115], v[244:245], -v[2:3]
	v_fmac_f64_e32 v[232:233], v[116:117], v[244:245]
	v_add_f64 v[0:1], v[0:1], v[2:3]
	v_add_f64 v[240:241], v[240:241], v[232:233]
	s_waitcnt vmcnt(2)
	v_add_f64 v[0:1], v[248:249], -v[0:1]
	s_waitcnt vmcnt(0)
	v_add_f64 v[2:3], v[246:247], -v[240:241]
	buffer_store_dword v1, off, s[0:3], 0 offset:116
	buffer_store_dword v0, off, s[0:3], 0 offset:112
	buffer_store_dword v3, off, s[0:3], 0 offset:124
	buffer_store_dword v2, off, s[0:3], 0 offset:120
	v_accvgpr_read_b32 v0, a182
	v_cmp_lt_u32_e32 vcc, 5, v0
	s_and_saveexec_b64 s[4:5], vcc
	s_cbranch_execz .LBB60_381
; %bb.380:
	v_accvgpr_read_b32 v0, a177
	buffer_load_dword v2, v0, s[0:3], 0 offen
	buffer_load_dword v3, v0, s[0:3], 0 offen offset:4
	buffer_load_dword v4, v0, s[0:3], 0 offen offset:8
	;; [unrolled: 1-line block ×3, first 2 shown]
	v_mov_b32_e32 v0, 0
	v_accvgpr_read_b32 v1, a183
	buffer_store_dword v0, off, s[0:3], 0 offset:96
	buffer_store_dword v0, off, s[0:3], 0 offset:100
	;; [unrolled: 1-line block ×4, first 2 shown]
	s_waitcnt vmcnt(4)
	ds_write_b128 v1, v[2:5]
.LBB60_381:
	s_or_b64 exec, exec, s[4:5]
	s_waitcnt lgkmcnt(0)
	; wave barrier
	s_waitcnt lgkmcnt(0)
	buffer_load_dword v2, off, s[0:3], 0 offset:112
	buffer_load_dword v3, off, s[0:3], 0 offset:116
	;; [unrolled: 1-line block ×42, first 2 shown]
	v_mov_b32_e32 v32, 0
	buffer_load_dword v83, off, s[0:3], 0 offset:260
	buffer_load_dword v82, off, s[0:3], 0 offset:256
	;; [unrolled: 1-line block ×7, first 2 shown]
	ds_read_b128 v[10:13], v32 offset:1072
	ds_read_b128 v[22:25], v32 offset:1088
	;; [unrolled: 1-line block ×11, first 2 shown]
	s_waitcnt vmcnt(45) lgkmcnt(10)
	v_mul_f64 v[0:1], v[10:11], v[4:5]
	v_fmac_f64_e32 v[0:1], v[12:13], v[2:3]
	v_add_f64 v[0:1], v[0:1], 0
	v_mul_f64 v[4:5], v[12:13], v[4:5]
	s_waitcnt vmcnt(41) lgkmcnt(9)
	v_mul_f64 v[56:57], v[22:23], v[8:9]
	v_fmac_f64_e32 v[56:57], v[24:25], v[136:137]
	s_waitcnt vmcnt(39) lgkmcnt(8)
	v_mul_f64 v[58:59], v[98:99], v[14:15]
	v_add_f64 v[0:1], v[0:1], v[56:57]
	s_waitcnt vmcnt(37) lgkmcnt(6)
	v_mul_f64 v[62:63], v[106:107], v[26:27]
	v_mul_f64 v[14:15], v[100:101], v[14:15]
	s_waitcnt vmcnt(35)
	v_fmac_f64_e32 v[62:63], v[108:109], v[28:29]
	v_mul_f64 v[26:27], v[108:109], v[26:27]
	s_waitcnt vmcnt(33)
	v_mul_f64 v[60:61], v[102:103], v[18:19]
	v_mul_f64 v[18:19], v[104:105], v[18:19]
	s_waitcnt vmcnt(31) lgkmcnt(4)
	v_mul_f64 v[66:67], v[114:115], v[34:35]
	v_mul_f64 v[34:35], v[116:117], v[34:35]
	s_waitcnt vmcnt(29)
	v_fmac_f64_e32 v[66:67], v[116:117], v[36:37]
	s_waitcnt vmcnt(27)
	v_mul_f64 v[64:65], v[110:111], v[236:237]
	s_waitcnt vmcnt(25) lgkmcnt(2)
	v_mul_f64 v[70:71], v[166:167], v[38:39]
	s_waitcnt vmcnt(22)
	v_mul_f64 v[68:69], v[162:163], v[44:45]
	s_waitcnt vmcnt(20) lgkmcnt(1)
	v_mul_f64 v[138:139], v[172:173], v[42:43]
	s_waitcnt vmcnt(18)
	v_fmac_f64_e32 v[58:59], v[100:101], v[16:17]
	v_add_f64 v[0:1], v[0:1], v[58:59]
	s_waitcnt vmcnt(16)
	v_fmac_f64_e32 v[60:61], v[104:105], v[20:21]
	v_add_f64 v[0:1], v[0:1], v[60:61]
	;; [unrolled: 3-line block ×3, first 2 shown]
	v_add_f64 v[0:1], v[0:1], v[64:65]
	s_waitcnt vmcnt(12)
	v_fmac_f64_e32 v[68:69], v[164:165], v[46:47]
	v_add_f64 v[0:1], v[0:1], v[66:67]
	s_waitcnt vmcnt(11)
	v_fmac_f64_e32 v[70:71], v[168:169], v[40:41]
	v_add_f64 v[0:1], v[0:1], v[68:69]
	v_add_f64 v[0:1], v[0:1], v[70:71]
	buffer_load_dword v72, off, s[0:3], 0 offset:296
	buffer_load_dword v151, off, s[0:3], 0 offset:292
	;; [unrolled: 1-line block ×53, first 2 shown]
	s_waitcnt vmcnt(58)
	v_fmac_f64_e32 v[138:139], v[174:175], v[82:83]
	v_add_f64 v[0:1], v[0:1], v[138:139]
	s_waitcnt lgkmcnt(0)
	v_mul_f64 v[138:139], v[176:177], v[48:49]
	v_fmac_f64_e32 v[138:139], v[178:179], v[50:51]
	v_add_f64 v[0:1], v[0:1], v[138:139]
	v_fma_f64 v[100:101], v[106:107], v[28:29], -v[26:27]
	s_waitcnt vmcnt(0)
	v_pk_mov_b32 v[122:123], v[90:91], v[90:91] op_sel:[0,1]
	buffer_load_dword v91, off, s[0:3], 0 offset:532
	buffer_load_dword v90, off, s[0:3], 0 offset:528
	v_accvgpr_write_b32 a189, v123
	v_accvgpr_write_b32 a188, v122
	s_waitcnt vmcnt(0)
	v_pk_mov_b32 v[124:125], v[90:91], v[90:91] op_sel:[0,1]
	buffer_load_dword v91, off, s[0:3], 0 offset:524
	buffer_load_dword v90, off, s[0:3], 0 offset:520
	;; [unrolled: 1-line block ×6, first 2 shown]
	v_accvgpr_write_b32 a191, v125
	v_accvgpr_write_b32 a190, v124
	s_waitcnt vmcnt(0)
	v_pk_mov_b32 v[126:127], v[118:119], v[118:119] op_sel:[0,1]
	buffer_load_dword v119, off, s[0:3], 0 offset:564
	buffer_load_dword v118, off, s[0:3], 0 offset:560
	v_accvgpr_write_b32 a205, v127
	v_accvgpr_write_b32 a204, v126
	s_waitcnt vmcnt(0)
	v_pk_mov_b32 v[128:129], v[118:119], v[118:119] op_sel:[0,1]
	buffer_load_dword v119, off, s[0:3], 0 offset:556
	buffer_load_dword v118, off, s[0:3], 0 offset:552
	;; [unrolled: 6-line block ×7, first 2 shown]
	ds_read_b128 v[180:183], v32 offset:1248
	ds_read_b128 v[184:187], v32 offset:1264
	;; [unrolled: 1-line block ×7, first 2 shown]
	s_waitcnt lgkmcnt(6)
	v_mul_f64 v[138:139], v[180:181], v[72:73]
	v_fmac_f64_e32 v[138:139], v[182:183], v[150:151]
	v_add_f64 v[0:1], v[0:1], v[138:139]
	s_waitcnt lgkmcnt(5)
	v_mul_f64 v[138:139], v[184:185], v[54:55]
	v_fmac_f64_e32 v[138:139], v[186:187], v[52:53]
	v_add_f64 v[0:1], v[0:1], v[138:139]
	;; [unrolled: 4-line block ×4, first 2 shown]
	s_waitcnt lgkmcnt(2)
	v_mul_f64 v[138:139], v[196:197], v[252:253]
	v_fmac_f64_e32 v[138:139], v[198:199], v[254:255]
	s_waitcnt lgkmcnt(1)
	v_mul_f64 v[142:143], v[206:207], v[250:251]
	v_add_f64 v[0:1], v[0:1], v[138:139]
	v_fmac_f64_e32 v[142:143], v[208:209], v[96:97]
	s_waitcnt lgkmcnt(0)
	v_mul_f64 v[144:145], v[212:213], v[84:85]
	v_add_f64 v[0:1], v[0:1], v[142:143]
	v_fmac_f64_e32 v[144:145], v[214:215], v[94:95]
	v_add_f64 v[0:1], v[0:1], v[144:145]
	v_fma_f64 v[138:139], v[10:11], v[2:3], -v[4:5]
	v_accvgpr_write_b32 a213, v155
	v_accvgpr_write_b32 a212, v154
	s_waitcnt vmcnt(0)
	v_pk_mov_b32 v[156:157], v[118:119], v[118:119] op_sel:[0,1]
	buffer_load_dword v119, off, s[0:3], 0 offset:620
	buffer_load_dword v118, off, s[0:3], 0 offset:616
	v_accvgpr_write_b32 a215, v157
	v_accvgpr_write_b32 a214, v156
	s_waitcnt vmcnt(0)
	v_pk_mov_b32 v[158:159], v[118:119], v[118:119] op_sel:[0,1]
	buffer_load_dword v119, off, s[0:3], 0 offset:612
	buffer_load_dword v118, off, s[0:3], 0 offset:608
	ds_read_b128 v[216:219], v32 offset:1360
	v_accvgpr_write_b32 a217, v159
	v_accvgpr_write_b32 a216, v158
	s_waitcnt lgkmcnt(0)
	v_mul_f64 v[146:147], v[216:217], v[56:57]
	v_fmac_f64_e32 v[146:147], v[218:219], v[58:59]
	v_add_f64 v[0:1], v[0:1], v[146:147]
	s_waitcnt vmcnt(0)
	v_pk_mov_b32 v[160:161], v[118:119], v[118:119] op_sel:[0,1]
	buffer_load_dword v118, off, s[0:3], 0 offset:632
	buffer_load_dword v119, off, s[0:3], 0 offset:636
	v_accvgpr_write_b32 a219, v161
	v_accvgpr_write_b32 a218, v160
	s_waitcnt vmcnt(0)
	v_pk_mov_b32 v[170:171], v[118:119], v[118:119] op_sel:[0,1]
	buffer_load_dword v118, off, s[0:3], 0 offset:624
	buffer_load_dword v119, off, s[0:3], 0 offset:628
	ds_read_b128 v[220:223], v32 offset:1376
	ds_read_b128 v[224:227], v32 offset:1392
	;; [unrolled: 1-line block ×4, first 2 shown]
	buffer_load_dword v7, off, s[0:3], 0 offset:652
	buffer_load_dword v6, off, s[0:3], 0 offset:648
	;; [unrolled: 1-line block ×4, first 2 shown]
	s_waitcnt lgkmcnt(3)
	v_mul_f64 v[146:147], v[220:221], v[60:61]
	v_fmac_f64_e32 v[146:147], v[222:223], v[70:71]
	v_add_f64 v[0:1], v[0:1], v[146:147]
	s_waitcnt lgkmcnt(2)
	v_mul_f64 v[146:147], v[224:225], v[62:63]
	ds_read_b128 v[238:241], v32 offset:1440
	ds_read_b128 v[242:245], v32 offset:1456
	v_fmac_f64_e32 v[146:147], v[226:227], v[64:65]
	s_waitcnt lgkmcnt(3)
	v_mul_f64 v[152:153], v[228:229], v[66:67]
	v_add_f64 v[0:1], v[0:1], v[146:147]
	v_fmac_f64_e32 v[152:153], v[230:231], v[68:69]
	v_add_f64 v[0:1], v[0:1], v[152:153]
	s_waitcnt lgkmcnt(2)
	v_mul_f64 v[152:153], v[232:233], v[74:75]
	ds_read_b128 v[246:249], v32 offset:1472
	ds_read_b128 v[10:13], v32 offset:1488
	v_fmac_f64_e32 v[152:153], v[234:235], v[76:77]
	v_add_f64 v[0:1], v[0:1], v[152:153]
	s_waitcnt lgkmcnt(3)
	v_mul_f64 v[152:153], v[238:239], v[78:79]
	v_fmac_f64_e32 v[152:153], v[240:241], v[80:81]
	v_add_f64 v[0:1], v[0:1], v[152:153]
	s_waitcnt lgkmcnt(2)
	v_mul_f64 v[152:153], v[242:243], v[86:87]
	v_fmac_f64_e32 v[152:153], v[244:245], v[88:89]
	s_waitcnt lgkmcnt(1)
	v_mul_f64 v[4:5], v[246:247], v[90:91]
	v_add_f64 v[0:1], v[0:1], v[152:153]
	v_fmac_f64_e32 v[4:5], v[248:249], v[92:93]
	v_add_f64 v[0:1], v[0:1], v[4:5]
	v_mul_f64 v[4:5], v[24:25], v[8:9]
	v_fma_f64 v[136:137], v[22:23], v[136:137], -v[4:5]
	ds_read_b128 v[22:25], v32 offset:1504
	s_waitcnt lgkmcnt(1)
	v_pk_mov_b32 v[2:3], v[10:11], v[10:11] op_sel:[0,1]
	v_pk_mov_b32 v[4:5], v[12:13], v[12:13] op_sel:[0,1]
	v_mul_f64 v[10:11], v[2:3], v[122:123]
	v_fmac_f64_e32 v[10:11], v[4:5], v[124:125]
	v_add_f64 v[0:1], v[0:1], v[10:11]
	ds_read_b128 v[8:11], v32 offset:1520
	v_accvgpr_write_b32 a187, v5
	v_accvgpr_write_b32 a186, v4
	;; [unrolled: 1-line block ×4, first 2 shown]
	s_waitcnt lgkmcnt(1)
	v_pk_mov_b32 v[2:3], v[22:23], v[22:23] op_sel:[0,1]
	ds_read_b128 v[144:147], v32 offset:1536
	ds_read_b128 v[140:143], v32 offset:1552
	v_pk_mov_b32 v[4:5], v[24:25], v[24:25] op_sel:[0,1]
	v_mul_f64 v[22:23], v[2:3], v[132:133]
	v_fmac_f64_e32 v[22:23], v[4:5], v[134:135]
	v_add_f64 v[0:1], v[0:1], v[22:23]
	s_waitcnt lgkmcnt(2)
	v_mul_f64 v[22:23], v[8:9], v[126:127]
	ds_read_b128 v[132:135], v32 offset:1568
	v_fmac_f64_e32 v[22:23], v[10:11], v[128:129]
	v_add_f64 v[0:1], v[0:1], v[22:23]
	s_waitcnt lgkmcnt(2)
	v_mul_f64 v[22:23], v[144:145], v[154:155]
	v_fmac_f64_e32 v[22:23], v[146:147], v[156:157]
	v_add_f64 v[0:1], v[0:1], v[22:23]
	s_waitcnt lgkmcnt(1)
	v_mul_f64 v[22:23], v[140:141], v[130:131]
	ds_read_b128 v[128:131], v32 offset:1584
	ds_read_b128 v[124:127], v32 offset:1600
	buffer_load_dword v123, off, s[0:3], 0 offset:668
	buffer_load_dword v122, off, s[0:3], 0 offset:664
	v_fma_f64 v[152:153], v[98:99], v[16:17], -v[14:15]
	v_fma_f64 v[98:99], v[102:103], v[20:21], -v[18:19]
	s_waitcnt lgkmcnt(2)
	v_mul_f64 v[102:103], v[132:133], v[158:159]
	buffer_load_dword v159, off, s[0:3], 0 offset:660
	buffer_load_dword v158, off, s[0:3], 0 offset:656
	v_fmac_f64_e32 v[102:103], v[134:135], v[160:161]
	buffer_load_dword v154, off, s[0:3], 0 offset:696
	buffer_load_dword v156, off, s[0:3], 0 offset:688
	buffer_load_dword v161, off, s[0:3], 0 offset:684
	buffer_load_dword v160, off, s[0:3], 0 offset:680
	v_accvgpr_write_b32 a203, v11
	v_accvgpr_write_b32 a202, v10
	;; [unrolled: 1-line block ×4, first 2 shown]
	v_mul_f64 v[10:11], v[164:165], v[44:45]
	buffer_load_dword v165, off, s[0:3], 0 offset:676
	buffer_load_dword v164, off, s[0:3], 0 offset:672
	;; [unrolled: 1-line block ×4, first 2 shown]
	v_fmac_f64_e32 v[22:23], v[142:143], v[148:149]
	v_add_f64 v[0:1], v[0:1], v[22:23]
	v_add_f64 v[102:103], v[0:1], v[102:103]
	v_mul_f64 v[0:1], v[112:113], v[236:237]
	v_fma_f64 v[24:25], v[114:115], v[36:37], -v[34:35]
	v_mul_f64 v[34:35], v[168:169], v[38:39]
	v_fma_f64 v[26:27], v[110:111], v[30:31], -v[0:1]
	s_waitcnt lgkmcnt(1)
	v_mul_f64 v[8:9], v[128:129], v[170:171]
	v_pk_mov_b32 v[30:31], v[170:171], v[170:171] op_sel:[0,1]
	v_fma_f64 v[18:19], v[162:163], v[46:47], -v[10:11]
	v_fma_f64 v[14:15], v[166:167], v[40:41], -v[34:35]
	buffer_load_dword v162, off, s[0:3], 0 offset:728
	buffer_load_dword v167, off, s[0:3], 0 offset:716
	;; [unrolled: 1-line block ×8, first 2 shown]
	v_mul_f64 v[16:17], v[174:175], v[42:43]
	v_mul_f64 v[34:35], v[178:179], v[48:49]
	v_fma_f64 v[16:17], v[172:173], v[82:83], -v[16:17]
	v_fma_f64 v[172:173], v[176:177], v[50:51], -v[34:35]
	v_mul_f64 v[34:35], v[182:183], v[72:73]
	v_fma_f64 v[12:13], v[180:181], v[150:151], -v[34:35]
	buffer_load_dword v151, off, s[0:3], 0 offset:764
	buffer_load_dword v177, off, s[0:3], 0 offset:748
	;; [unrolled: 1-line block ×8, first 2 shown]
	v_mul_f64 v[34:35], v[186:187], v[54:55]
	v_fma_f64 v[10:11], v[184:185], v[52:53], -v[34:35]
	buffer_load_dword v174, off, s[0:3], 0 offset:792
	buffer_load_dword v185, off, s[0:3], 0 offset:780
	;; [unrolled: 1-line block ×8, first 2 shown]
	v_mul_f64 v[22:23], v[190:191], v[204:205]
	ds_read_b128 v[38:41], v32 offset:1616
	ds_read_b128 v[34:37], v32 offset:1632
	v_fma_f64 v[22:23], v[188:189], v[210:211], -v[22:23]
	buffer_load_dword v189, off, s[0:3], 0 offset:812
	buffer_load_dword v188, off, s[0:3], 0 offset:808
	;; [unrolled: 1-line block ×4, first 2 shown]
	v_mul_f64 v[42:43], v[194:195], v[200:201]
	v_fma_f64 v[200:201], v[192:193], v[202:203], -v[42:43]
	buffer_load_dword v192, off, s[0:3], 0 offset:824
	buffer_load_dword v194, off, s[0:3], 0 offset:816
	;; [unrolled: 1-line block ×4, first 2 shown]
	v_mul_f64 v[42:43], v[198:199], v[252:253]
	v_fma_f64 v[252:253], v[196:197], v[254:255], -v[42:43]
	buffer_load_dword v199, off, s[0:3], 0 offset:844
	buffer_load_dword v198, off, s[0:3], 0 offset:840
	;; [unrolled: 1-line block ×8, first 2 shown]
	v_mul_f64 v[42:43], v[208:209], v[250:251]
	v_fma_f64 v[250:251], v[206:207], v[96:97], -v[42:43]
	buffer_load_dword v196, off, s[0:3], 0 offset:888
	buffer_load_dword v209, off, s[0:3], 0 offset:876
	;; [unrolled: 1-line block ×8, first 2 shown]
	s_waitcnt vmcnt(62)
	v_fmac_f64_e32 v[8:9], v[130:131], v[118:119]
	s_waitcnt lgkmcnt(2)
	v_mul_f64 v[44:45], v[124:125], v[6:7]
	v_add_f64 v[8:9], v[102:103], v[8:9]
	s_waitcnt vmcnt(60)
	v_fmac_f64_e32 v[44:45], v[126:127], v[120:121]
	v_mul_f64 v[42:43], v[214:215], v[84:85]
	v_add_f64 v[8:9], v[8:9], v[44:45]
	v_fma_f64 v[212:213], v[212:213], v[94:95], -v[42:43]
	ds_read_b128 v[42:45], v32 offset:1648
	v_accvgpr_write_b32 a223, v7
	v_mul_f64 v[50:51], v[218:219], v[56:57]
	v_accvgpr_write_b32 a222, v6
	v_fma_f64 v[6:7], v[216:217], v[58:59], -v[50:51]
	ds_read_b128 v[50:53], v32 offset:1680
	ds_read_b128 v[54:57], v32 offset:1696
	v_accvgpr_write_b32 a195, v5
	v_mul_f64 v[62:63], v[226:227], v[62:63]
	v_accvgpr_write_b32 a194, v4
	v_accvgpr_write_b32 a193, v3
	;; [unrolled: 1-line block ×3, first 2 shown]
	v_fma_f64 v[4:5], v[224:225], v[64:65], -v[62:63]
	ds_read_b128 v[62:65], v32 offset:1728
	v_mul_f64 v[66:67], v[230:231], v[66:67]
	v_fma_f64 v[230:231], v[228:229], v[68:69], -v[66:67]
	ds_read_b128 v[66:69], v32 offset:1744
	v_mul_f64 v[78:79], v[240:241], v[78:79]
	;; [unrolled: 3-line block ×3, first 2 shown]
	v_fma_f64 v[0:1], v[242:243], v[88:89], -v[86:87]
	s_waitcnt vmcnt(58) lgkmcnt(7)
	v_mul_f64 v[46:47], v[38:39], v[122:123]
	ds_read_b128 v[86:89], v32 offset:1824
	v_accvgpr_write_b32 a221, v121
	v_accvgpr_write_b32 a220, v120
	s_waitcnt vmcnt(56)
	v_fmac_f64_e32 v[46:47], v[40:41], v[158:159]
	v_add_f64 v[8:9], v[8:9], v[46:47]
	s_waitcnt vmcnt(52) lgkmcnt(7)
	v_mul_f64 v[46:47], v[34:35], v[160:161]
	v_add_f64 v[120:121], v[138:139], 0
	v_pk_mov_b32 v[236:237], v[118:119], v[118:119] op_sel:[0,1]
	v_add_f64 v[118:119], v[120:121], v[136:137]
	s_waitcnt vmcnt(50)
	v_fmac_f64_e32 v[46:47], v[36:37], v[164:165]
	v_add_f64 v[8:9], v[8:9], v[46:47]
	s_waitcnt vmcnt(49) lgkmcnt(6)
	v_mul_f64 v[46:47], v[42:43], v[154:155]
	s_waitcnt vmcnt(48)
	v_fmac_f64_e32 v[46:47], v[44:45], v[156:157]
	v_add_f64 v[8:9], v[8:9], v[46:47]
	ds_read_b128 v[46:49], v32 offset:1664
	v_add_f64 v[118:119], v[118:119], v[152:153]
	v_add_f64 v[98:99], v[118:119], v[98:99]
	;; [unrolled: 1-line block ×7, first 2 shown]
	s_waitcnt vmcnt(45) lgkmcnt(0)
	v_mul_f64 v[20:21], v[46:47], v[166:167]
	v_add_f64 v[14:15], v[14:15], v[16:17]
	s_waitcnt vmcnt(43)
	v_fmac_f64_e32 v[20:21], v[48:49], v[170:171]
	s_waitcnt vmcnt(41)
	v_mul_f64 v[58:59], v[50:51], v[162:163]
	v_add_f64 v[8:9], v[8:9], v[20:21]
	s_waitcnt vmcnt(40)
	v_fmac_f64_e32 v[58:59], v[52:53], v[168:169]
	v_mul_f64 v[20:21], v[222:223], v[60:61]
	v_add_f64 v[8:9], v[8:9], v[58:59]
	ds_read_b128 v[58:61], v32 offset:1712
	s_waitcnt vmcnt(37)
	v_mul_f64 v[28:29], v[54:55], v[176:177]
	s_waitcnt vmcnt(35)
	v_fmac_f64_e32 v[28:29], v[56:57], v[178:179]
	v_add_f64 v[8:9], v[8:9], v[28:29]
	v_fma_f64 v[20:21], v[220:221], v[70:71], -v[20:21]
	s_waitcnt vmcnt(34) lgkmcnt(0)
	v_mul_f64 v[28:29], v[58:59], v[150:151]
	s_waitcnt vmcnt(32)
	v_fmac_f64_e32 v[28:29], v[60:61], v[180:181]
	v_add_f64 v[8:9], v[8:9], v[28:29]
	s_waitcnt vmcnt(29)
	v_mul_f64 v[28:29], v[62:63], v[184:185]
	s_waitcnt vmcnt(27)
	v_fmac_f64_e32 v[28:29], v[64:65], v[186:187]
	v_add_f64 v[8:9], v[8:9], v[28:29]
	ds_read_b128 v[70:73], v32 offset:1760
	s_waitcnt vmcnt(25)
	v_mul_f64 v[28:29], v[66:67], v[174:175]
	s_waitcnt vmcnt(24)
	v_fmac_f64_e32 v[28:29], v[68:69], v[182:183]
	v_add_f64 v[8:9], v[8:9], v[28:29]
	v_mul_f64 v[28:29], v[234:235], v[74:75]
	v_fma_f64 v[28:29], v[232:233], v[76:77], -v[28:29]
	ds_read_b128 v[74:77], v32 offset:1776
	s_waitcnt vmcnt(22) lgkmcnt(1)
	v_mul_f64 v[82:83], v[70:71], v[188:189]
	s_waitcnt vmcnt(20)
	v_fmac_f64_e32 v[82:83], v[72:73], v[190:191]
	v_add_f64 v[8:9], v[8:9], v[82:83]
	s_waitcnt vmcnt(14)
	v_mul_f64 v[94:95], v[78:79], v[198:199]
	s_waitcnt lgkmcnt(0)
	v_mul_f64 v[82:83], v[74:75], v[192:193]
	v_fmac_f64_e32 v[82:83], v[76:77], v[194:195]
	v_add_f64 v[8:9], v[8:9], v[82:83]
	ds_read_b128 v[82:85], v32 offset:1808
	s_waitcnt vmcnt(12)
	v_fmac_f64_e32 v[94:95], v[80:81], v[202:203]
	v_add_f64 v[94:95], v[8:9], v[94:95]
	v_mul_f64 v[8:9], v[248:249], v[90:91]
	v_fma_f64 v[8:9], v[246:247], v[92:93], -v[8:9]
	ds_read_b128 v[90:93], v32 offset:1840
	s_waitcnt vmcnt(10) lgkmcnt(1)
	v_mul_f64 v[96:97], v[82:83], v[254:255]
	s_waitcnt vmcnt(8)
	v_fmac_f64_e32 v[96:97], v[84:85], v[204:205]
	v_add_f64 v[94:95], v[94:95], v[96:97]
	s_waitcnt vmcnt(5)
	v_mul_f64 v[96:97], v[86:87], v[208:209]
	s_waitcnt vmcnt(3)
	v_fmac_f64_e32 v[96:97], v[88:89], v[210:211]
	v_add_f64 v[94:95], v[94:95], v[96:97]
	s_waitcnt vmcnt(1) lgkmcnt(0)
	v_mul_f64 v[96:97], v[90:91], v[196:197]
	buffer_load_dword v239, off, s[0:3], 0 offset:908
	buffer_load_dword v238, off, s[0:3], 0 offset:904
	;; [unrolled: 1-line block ×4, first 2 shown]
	s_waitcnt vmcnt(4)
	v_fmac_f64_e32 v[96:97], v[92:93], v[206:207]
	v_add_f64 v[102:103], v[94:95], v[96:97]
	ds_read_b128 v[94:97], v32 offset:1856
	buffer_load_dword v216, off, s[0:3], 0 offset:920
	buffer_load_dword v217, off, s[0:3], 0 offset:924
	;; [unrolled: 1-line block ×4, first 2 shown]
	ds_read_b128 v[232:235], v32 offset:1872
	buffer_load_dword v221, off, s[0:3], 0 offset:940
	buffer_load_dword v220, off, s[0:3], 0 offset:936
	;; [unrolled: 1-line block ×4, first 2 shown]
	v_add_f64 v[14:15], v[14:15], v[172:173]
	v_add_f64 v[12:13], v[14:15], v[12:13]
	;; [unrolled: 1-line block ×15, first 2 shown]
	v_accvgpr_read_b32 v4, a184
	v_accvgpr_read_b32 v2, a188
	v_accvgpr_read_b32 v6, a186
	v_accvgpr_read_b32 v7, a187
	v_accvgpr_read_b32 v3, a189
	v_mul_f64 v[2:3], v[6:7], v[2:3]
	v_accvgpr_read_b32 v6, a190
	v_accvgpr_read_b32 v5, a185
	;; [unrolled: 1-line block ×3, first 2 shown]
	v_add_f64 v[0:1], v[230:231], v[8:9]
	v_fma_f64 v[2:3], v[4:5], v[6:7], -v[2:3]
	v_add_f64 v[0:1], v[0:1], v[2:3]
	v_accvgpr_read_b32 v4, a192
	v_accvgpr_read_b32 v2, a196
	;; [unrolled: 1-line block ×5, first 2 shown]
	v_mul_f64 v[2:3], v[6:7], v[2:3]
	v_accvgpr_read_b32 v6, a198
	v_accvgpr_read_b32 v5, a193
	;; [unrolled: 1-line block ×3, first 2 shown]
	v_fma_f64 v[2:3], v[4:5], v[6:7], -v[2:3]
	v_add_f64 v[0:1], v[0:1], v[2:3]
	v_accvgpr_read_b32 v4, a200
	v_accvgpr_read_b32 v2, a204
	;; [unrolled: 1-line block ×5, first 2 shown]
	v_mul_f64 v[2:3], v[6:7], v[2:3]
	v_accvgpr_read_b32 v6, a206
	v_accvgpr_read_b32 v5, a201
	;; [unrolled: 1-line block ×3, first 2 shown]
	v_fma_f64 v[2:3], v[4:5], v[6:7], -v[2:3]
	v_add_f64 v[0:1], v[0:1], v[2:3]
	v_accvgpr_read_b32 v2, a212
	v_accvgpr_read_b32 v3, a213
	v_accvgpr_read_b32 v4, a214
	v_mul_f64 v[2:3], v[146:147], v[2:3]
	v_accvgpr_read_b32 v5, a215
	v_fma_f64 v[2:3], v[144:145], v[4:5], -v[2:3]
	v_add_f64 v[0:1], v[0:1], v[2:3]
	v_accvgpr_read_b32 v2, a208
	v_accvgpr_read_b32 v3, a209
	v_accvgpr_read_b32 v4, a210
	v_mul_f64 v[2:3], v[142:143], v[2:3]
	v_accvgpr_read_b32 v5, a211
	;; [unrolled: 7-line block ×3, first 2 shown]
	v_fma_f64 v[2:3], v[132:133], v[4:5], -v[2:3]
	v_add_f64 v[0:1], v[0:1], v[2:3]
	v_mul_f64 v[2:3], v[130:131], v[30:31]
	s_waitcnt vmcnt(10) lgkmcnt(1)
	v_mul_f64 v[104:105], v[94:95], v[238:239]
	v_fma_f64 v[2:3], v[128:129], v[236:237], -v[2:3]
	s_waitcnt vmcnt(8)
	v_fmac_f64_e32 v[104:105], v[96:97], v[214:215]
	v_add_f64 v[102:103], v[102:103], v[104:105]
	s_waitcnt vmcnt(6) lgkmcnt(0)
	v_mul_f64 v[104:105], v[232:233], v[216:217]
	v_add_f64 v[0:1], v[0:1], v[2:3]
	s_waitcnt vmcnt(4)
	v_fmac_f64_e32 v[104:105], v[234:235], v[218:219]
	v_add_f64 v[106:107], v[102:103], v[104:105]
	ds_read_b128 v[102:105], v32 offset:1888
	buffer_load_dword v224, off, s[0:3], 0 offset:952
	buffer_load_dword v225, off, s[0:3], 0 offset:956
	buffer_load_dword v226, off, s[0:3], 0 offset:944
	buffer_load_dword v227, off, s[0:3], 0 offset:948
	v_accvgpr_read_b32 v2, a222
	v_accvgpr_read_b32 v3, a223
	;; [unrolled: 1-line block ×3, first 2 shown]
	s_waitcnt vmcnt(6) lgkmcnt(0)
	v_mul_f64 v[108:109], v[102:103], v[220:221]
	s_waitcnt vmcnt(4)
	v_fmac_f64_e32 v[108:109], v[104:105], v[222:223]
	v_add_f64 v[110:111], v[106:107], v[108:109]
	ds_read_b128 v[106:109], v32 offset:1904
	buffer_load_dword v229, off, s[0:3], 0 offset:972
	buffer_load_dword v228, off, s[0:3], 0 offset:968
	;; [unrolled: 1-line block ×4, first 2 shown]
	v_mul_f64 v[2:3], v[126:127], v[2:3]
	v_accvgpr_read_b32 v5, a221
	v_fma_f64 v[2:3], v[124:125], v[4:5], -v[2:3]
	v_add_f64 v[0:1], v[0:1], v[2:3]
	v_mul_f64 v[2:3], v[40:41], v[122:123]
	v_fma_f64 v[2:3], v[38:39], v[158:159], -v[2:3]
	v_add_f64 v[0:1], v[0:1], v[2:3]
	v_mul_f64 v[2:3], v[36:37], v[160:161]
	;; [unrolled: 3-line block ×18, first 2 shown]
	v_fma_f64 v[2:3], v[102:103], v[222:223], -v[2:3]
	v_add_f64 v[0:1], v[0:1], v[2:3]
	s_waitcnt vmcnt(6) lgkmcnt(0)
	v_mul_f64 v[112:113], v[106:107], v[224:225]
	v_mul_f64 v[2:3], v[108:109], v[224:225]
	s_waitcnt vmcnt(4)
	v_fmac_f64_e32 v[112:113], v[108:109], v[226:227]
	v_add_f64 v[114:115], v[110:111], v[112:113]
	ds_read_b128 v[110:113], v32 offset:1920
	buffer_load_dword v244, off, s[0:3], 0 offset:984
	buffer_load_dword v245, off, s[0:3], 0 offset:988
	;; [unrolled: 1-line block ×4, first 2 shown]
	v_fma_f64 v[2:3], v[106:107], v[226:227], -v[2:3]
	v_add_f64 v[0:1], v[0:1], v[2:3]
	s_waitcnt vmcnt(6) lgkmcnt(0)
	v_mul_f64 v[116:117], v[110:111], v[228:229]
	s_waitcnt vmcnt(4)
	v_fmac_f64_e32 v[116:117], v[112:113], v[240:241]
	v_add_f64 v[148:149], v[114:115], v[116:117]
	ds_read_b128 v[114:117], v32 offset:1936
	buffer_load_dword v250, off, s[0:3], 0 offset:96
	buffer_load_dword v251, off, s[0:3], 0 offset:100
	;; [unrolled: 1-line block ×4, first 2 shown]
	v_mul_f64 v[2:3], v[112:113], v[228:229]
	v_fma_f64 v[2:3], v[110:111], v[240:241], -v[2:3]
	v_add_f64 v[0:1], v[0:1], v[2:3]
	s_waitcnt vmcnt(6) lgkmcnt(0)
	v_mul_f64 v[2:3], v[116:117], v[244:245]
	v_mul_f64 v[242:243], v[114:115], v[244:245]
	s_waitcnt vmcnt(4)
	v_fma_f64 v[2:3], v[114:115], v[246:247], -v[2:3]
	v_fmac_f64_e32 v[242:243], v[116:117], v[246:247]
	v_add_f64 v[0:1], v[0:1], v[2:3]
	v_add_f64 v[242:243], v[148:149], v[242:243]
	s_waitcnt vmcnt(2)
	v_add_f64 v[0:1], v[250:251], -v[0:1]
	s_waitcnt vmcnt(0)
	v_add_f64 v[2:3], v[248:249], -v[242:243]
	buffer_store_dword v1, off, s[0:3], 0 offset:100
	buffer_store_dword v0, off, s[0:3], 0 offset:96
	;; [unrolled: 1-line block ×4, first 2 shown]
	v_accvgpr_read_b32 v0, a182
	v_cmp_lt_u32_e32 vcc, 4, v0
	s_and_saveexec_b64 s[4:5], vcc
	s_cbranch_execz .LBB60_383
; %bb.382:
	v_accvgpr_read_b32 v0, a178
	buffer_load_dword v2, v0, s[0:3], 0 offen
	buffer_load_dword v3, v0, s[0:3], 0 offen offset:4
	buffer_load_dword v4, v0, s[0:3], 0 offen offset:8
	buffer_load_dword v5, v0, s[0:3], 0 offen offset:12
	v_accvgpr_read_b32 v0, a183
	buffer_store_dword v32, off, s[0:3], 0 offset:80
	buffer_store_dword v32, off, s[0:3], 0 offset:84
	buffer_store_dword v32, off, s[0:3], 0 offset:88
	buffer_store_dword v32, off, s[0:3], 0 offset:92
	s_waitcnt vmcnt(4)
	ds_write_b128 v0, v[2:5]
.LBB60_383:
	s_or_b64 exec, exec, s[4:5]
	s_waitcnt lgkmcnt(0)
	; wave barrier
	s_waitcnt lgkmcnt(0)
	buffer_load_dword v4, off, s[0:3], 0 offset:96
	buffer_load_dword v5, off, s[0:3], 0 offset:100
	;; [unrolled: 1-line block ×42, first 2 shown]
	ds_read_b128 v[102:105], v32 offset:1056
	ds_read_b128 v[106:109], v32 offset:1072
	;; [unrolled: 1-line block ×10, first 2 shown]
	buffer_load_dword v1, off, s[0:3], 0 offset:244
	buffer_load_dword v0, off, s[0:3], 0 offset:240
	ds_read_b128 v[38:41], v32 offset:1216
	buffer_load_dword v87, off, s[0:3], 0 offset:300
	buffer_load_dword v86, off, s[0:3], 0 offset:296
	;; [unrolled: 1-line block ×6, first 2 shown]
	s_waitcnt vmcnt(46) lgkmcnt(10)
	v_mul_f64 v[56:57], v[102:103], v[10:11]
	v_fmac_f64_e32 v[56:57], v[104:105], v[4:5]
	v_add_f64 v[56:57], v[56:57], 0
	v_mul_f64 v[10:11], v[104:105], v[10:11]
	s_waitcnt vmcnt(42) lgkmcnt(9)
	v_mul_f64 v[58:59], v[106:107], v[8:9]
	v_fmac_f64_e32 v[58:59], v[108:109], v[2:3]
	s_waitcnt vmcnt(40) lgkmcnt(8)
	v_mul_f64 v[62:63], v[110:111], v[6:7]
	v_add_f64 v[56:57], v[56:57], v[58:59]
	s_waitcnt vmcnt(38) lgkmcnt(6)
	v_mul_f64 v[66:67], v[150:151], v[232:233]
	v_mul_f64 v[8:9], v[108:109], v[8:9]
	s_waitcnt vmcnt(36)
	v_fmac_f64_e32 v[66:67], v[152:153], v[148:149]
	v_fma_f64 v[234:235], v[106:107], v[2:3], -v[8:9]
	s_waitcnt vmcnt(34)
	v_mul_f64 v[64:65], v[114:115], v[14:15]
	v_mul_f64 v[6:7], v[112:113], v[6:7]
	s_waitcnt vmcnt(32) lgkmcnt(4)
	v_mul_f64 v[70:71], v[160:161], v[26:27]
	v_mul_f64 v[26:27], v[162:163], v[26:27]
	s_waitcnt vmcnt(30)
	v_fmac_f64_e32 v[70:71], v[162:163], v[128:129]
	v_fma_f64 v[162:163], v[160:161], v[128:129], -v[26:27]
	s_waitcnt vmcnt(28)
	v_mul_f64 v[68:69], v[156:157], v[18:19]
	v_mul_f64 v[18:19], v[158:159], v[18:19]
	s_waitcnt vmcnt(26) lgkmcnt(2)
	v_mul_f64 v[74:75], v[42:43], v[46:47]
	s_waitcnt vmcnt(23)
	v_mul_f64 v[72:73], v[164:165], v[28:29]
	s_waitcnt vmcnt(21) lgkmcnt(1)
	v_mul_f64 v[134:135], v[34:35], v[50:51]
	s_waitcnt vmcnt(19)
	v_fmac_f64_e32 v[62:63], v[112:113], v[24:25]
	v_add_f64 v[56:57], v[56:57], v[62:63]
	s_waitcnt vmcnt(17)
	v_fmac_f64_e32 v[64:65], v[116:117], v[22:23]
	v_add_f64 v[56:57], v[56:57], v[64:65]
	;; [unrolled: 3-line block ×3, first 2 shown]
	v_add_f64 v[56:57], v[56:57], v[68:69]
	s_waitcnt vmcnt(13)
	v_fmac_f64_e32 v[72:73], v[166:167], v[12:13]
	v_add_f64 v[56:57], v[56:57], v[70:71]
	s_waitcnt vmcnt(12)
	v_fmac_f64_e32 v[74:75], v[44:45], v[48:49]
	v_add_f64 v[56:57], v[56:57], v[72:73]
	v_add_f64 v[136:137], v[56:57], v[74:75]
	buffer_load_dword v177, off, s[0:3], 0 offset:276
	buffer_load_dword v176, off, s[0:3], 0 offset:272
	;; [unrolled: 1-line block ×60, first 2 shown]
	s_waitcnt vmcnt(62)
	v_fmac_f64_e32 v[134:135], v[36:37], v[0:1]
	v_add_f64 v[134:135], v[136:137], v[134:135]
	s_waitcnt lgkmcnt(0)
	v_mul_f64 v[136:137], v[38:39], v[52:53]
	v_fmac_f64_e32 v[136:137], v[40:41], v[54:55]
	v_add_f64 v[134:135], v[134:135], v[136:137]
	v_fma_f64 v[254:255], v[110:111], v[24:25], -v[6:7]
	v_mul_f64 v[36:37], v[36:37], v[50:51]
	v_fma_f64 v[26:27], v[34:35], v[0:1], -v[36:37]
	v_fma_f64 v[156:157], v[156:157], v[20:21], -v[18:19]
	v_mul_f64 v[44:45], v[44:45], v[46:47]
	s_waitcnt vmcnt(0)
	v_pk_mov_b32 v[120:121], v[118:119], v[118:119] op_sel:[0,1]
	buffer_load_dword v119, off, s[0:3], 0 offset:548
	buffer_load_dword v118, off, s[0:3], 0 offset:544
	v_accvgpr_write_b32 a201, v121
	v_accvgpr_write_b32 a200, v120
	s_waitcnt vmcnt(0)
	v_pk_mov_b32 v[122:123], v[118:119], v[118:119] op_sel:[0,1]
	buffer_load_dword v119, off, s[0:3], 0 offset:540
	buffer_load_dword v118, off, s[0:3], 0 offset:536
	v_accvgpr_write_b32 a203, v123
	v_accvgpr_write_b32 a202, v122
	;; [unrolled: 6-line block ×6, first 2 shown]
	s_waitcnt vmcnt(0)
	v_pk_mov_b32 v[144:145], v[118:119], v[118:119] op_sel:[0,1]
	buffer_load_dword v119, off, s[0:3], 0 offset:564
	buffer_load_dword v118, off, s[0:3], 0 offset:560
	ds_read_b128 v[172:175], v32 offset:1232
	ds_read_b128 v[180:183], v32 offset:1248
	ds_read_b128 v[184:187], v32 offset:1264
	ds_read_b128 v[188:191], v32 offset:1280
	ds_read_b128 v[192:195], v32 offset:1296
	ds_read_b128 v[196:199], v32 offset:1312
	ds_read_b128 v[202:205], v32 offset:1328
	ds_read_b128 v[212:215], v32 offset:1344
	ds_read_b128 v[216:219], v32 offset:1360
	s_waitcnt lgkmcnt(8)
	v_mul_f64 v[136:137], v[172:173], v[98:99]
	v_fmac_f64_e32 v[136:137], v[174:175], v[176:177]
	v_add_f64 v[134:135], v[134:135], v[136:137]
	s_waitcnt lgkmcnt(7)
	v_mul_f64 v[136:137], v[180:181], v[86:87]
	v_fmac_f64_e32 v[136:137], v[182:183], v[60:61]
	v_add_f64 v[134:135], v[134:135], v[136:137]
	;; [unrolled: 4-line block ×9, first 2 shown]
	v_fma_f64 v[136:137], v[102:103], v[4:5], -v[10:11]
	v_mul_f64 v[10:11], v[116:117], v[14:15]
	v_mul_f64 v[14:15], v[152:153], v[232:233]
	v_fma_f64 v[150:151], v[150:151], v[148:149], -v[14:15]
	v_accvgpr_write_b32 a205, v145
	v_accvgpr_write_b32 a204, v144
	v_fma_f64 v[116:117], v[42:43], v[48:49], -v[44:45]
	v_mul_f64 v[42:43], v[214:215], v[74:75]
	v_mul_f64 v[46:47], v[218:219], v[88:89]
	s_waitcnt vmcnt(0)
	v_pk_mov_b32 v[146:147], v[118:119], v[118:119] op_sel:[0,1]
	buffer_load_dword v119, off, s[0:3], 0 offset:604
	buffer_load_dword v118, off, s[0:3], 0 offset:600
	v_accvgpr_write_b32 a207, v147
	v_accvgpr_write_b32 a206, v146
	s_waitcnt vmcnt(0)
	v_pk_mov_b32 v[170:171], v[118:119], v[118:119] op_sel:[0,1]
	buffer_load_dword v119, off, s[0:3], 0 offset:596
	buffer_load_dword v118, off, s[0:3], 0 offset:592
	ds_read_b128 v[220:223], v32 offset:1376
	buffer_load_dword v16, off, s[0:3], 0 offset:616
	buffer_load_dword v126, off, s[0:3], 0 offset:608
	;; [unrolled: 1-line block ×4, first 2 shown]
	ds_read_b128 v[224:227], v32 offset:1392
	v_accvgpr_write_b32 a213, v171
	v_accvgpr_write_b32 a212, v170
	s_waitcnt lgkmcnt(1)
	v_mul_f64 v[168:169], v[220:221], v[56:57]
	v_fmac_f64_e32 v[168:169], v[222:223], v[58:59]
	v_add_f64 v[154:155], v[154:155], v[168:169]
	s_waitcnt lgkmcnt(0)
	v_mul_f64 v[168:169], v[224:225], v[62:63]
	v_fmac_f64_e32 v[168:169], v[226:227], v[64:65]
	v_add_f64 v[154:155], v[154:155], v[168:169]
	s_waitcnt vmcnt(4)
	v_pk_mov_b32 v[178:179], v[118:119], v[118:119] op_sel:[0,1]
	buffer_load_dword v237, off, s[0:3], 0 offset:652
	buffer_load_dword v31, off, s[0:3], 0 offset:636
	;; [unrolled: 1-line block ×8, first 2 shown]
	ds_read_b128 v[228:231], v32 offset:1408
	ds_read_b128 v[238:241], v32 offset:1424
	;; [unrolled: 1-line block ×6, first 2 shown]
	s_waitcnt lgkmcnt(5)
	v_mul_f64 v[168:169], v[228:229], v[66:67]
	v_fmac_f64_e32 v[168:169], v[230:231], v[68:69]
	v_add_f64 v[154:155], v[154:155], v[168:169]
	s_waitcnt lgkmcnt(4)
	v_mul_f64 v[168:169], v[238:239], v[70:71]
	v_fmac_f64_e32 v[168:169], v[240:241], v[72:73]
	s_waitcnt lgkmcnt(3)
	v_mul_f64 v[4:5], v[242:243], v[78:79]
	v_add_f64 v[154:155], v[154:155], v[168:169]
	v_fmac_f64_e32 v[4:5], v[244:245], v[80:81]
	v_add_f64 v[2:3], v[154:155], v[4:5]
	s_waitcnt lgkmcnt(2)
	v_mul_f64 v[4:5], v[102:103], v[82:83]
	v_fmac_f64_e32 v[4:5], v[104:105], v[84:85]
	v_add_f64 v[2:3], v[2:3], v[4:5]
	s_waitcnt lgkmcnt(1)
	v_mul_f64 v[4:5], v[106:107], v[90:91]
	v_fmac_f64_e32 v[4:5], v[108:109], v[92:93]
	v_add_f64 v[154:155], v[2:3], v[4:5]
	ds_read_b128 v[2:5], v32 offset:1488
	ds_read_b128 v[110:113], v32 offset:1520
	s_waitcnt lgkmcnt(2)
	v_accvgpr_write_b32 a195, v9
	v_accvgpr_write_b32 a194, v8
	;; [unrolled: 1-line block ×3, first 2 shown]
	s_waitcnt lgkmcnt(1)
	v_mul_f64 v[24:25], v[2:3], v[132:133]
	v_fmac_f64_e32 v[24:25], v[4:5], v[142:143]
	v_accvgpr_write_b32 a187, v5
	v_fma_f64 v[132:133], v[114:115], v[22:23], -v[10:11]
	v_mul_f64 v[22:23], v[6:7], v[120:121]
	v_accvgpr_write_b32 a186, v4
	v_accvgpr_write_b32 a185, v3
	;; [unrolled: 1-line block ×3, first 2 shown]
	v_add_f64 v[4:5], v[154:155], v[24:25]
	v_fmac_f64_e32 v[22:23], v[8:9], v[122:123]
	ds_read_b128 v[152:155], v32 offset:1536
	buffer_load_dword v3, off, s[0:3], 0 offset:668
	buffer_load_dword v2, off, s[0:3], 0 offset:664
	;; [unrolled: 1-line block ×4, first 2 shown]
	v_add_f64 v[4:5], v[4:5], v[22:23]
	s_waitcnt lgkmcnt(1)
	v_mul_f64 v[22:23], v[110:111], v[144:145]
	v_fmac_f64_e32 v[22:23], v[112:113], v[146:147]
	ds_read_b128 v[146:149], v32 offset:1552
	ds_read_b128 v[138:141], v32 offset:1568
	v_add_f64 v[4:5], v[4:5], v[22:23]
	s_waitcnt lgkmcnt(2)
	v_mul_f64 v[22:23], v[152:153], v[124:125]
	v_fmac_f64_e32 v[22:23], v[154:155], v[130:131]
	buffer_load_dword v124, off, s[0:3], 0 offset:680
	v_accvgpr_write_b32 a199, v113
	v_add_f64 v[4:5], v[4:5], v[22:23]
	s_waitcnt lgkmcnt(1)
	v_mul_f64 v[22:23], v[146:147], v[170:171]
	ds_read_b128 v[142:145], v32 offset:1584
	ds_read_b128 v[120:123], v32 offset:1600
	buffer_load_dword v160, off, s[0:3], 0 offset:672
	buffer_load_dword v125, off, s[0:3], 0 offset:684
	;; [unrolled: 1-line block ×3, first 2 shown]
	v_accvgpr_write_b32 a198, v112
	v_accvgpr_write_b32 a197, v111
	;; [unrolled: 1-line block ×3, first 2 shown]
	v_fmac_f64_e32 v[22:23], v[148:149], v[178:179]
	s_waitcnt vmcnt(17) lgkmcnt(2)
	v_mul_f64 v[110:111], v[138:139], v[16:17]
	v_add_f64 v[4:5], v[4:5], v[22:23]
	s_waitcnt vmcnt(16)
	v_fmac_f64_e32 v[110:111], v[140:141], v[126:127]
	v_add_f64 v[110:111], v[4:5], v[110:111]
	v_mul_f64 v[4:5], v[166:167], v[28:29]
	buffer_load_dword v158, off, s[0:3], 0 offset:712
	v_fma_f64 v[114:115], v[164:165], v[12:13], -v[4:5]
	buffer_load_dword v165, off, s[0:3], 0 offset:700
	buffer_load_dword v164, off, s[0:3], 0 offset:696
	;; [unrolled: 1-line block ×7, first 2 shown]
	v_accvgpr_write_b32 a192, v6
	v_mul_f64 v[8:9], v[40:41], v[52:53]
	v_fma_f64 v[24:25], v[38:39], v[54:55], -v[8:9]
	v_mul_f64 v[38:39], v[174:175], v[98:99]
	ds_read_b128 v[34:37], v32 offset:1616
	buffer_load_dword v169, off, s[0:3], 0 offset:732
	buffer_load_dword v168, off, s[0:3], 0 offset:728
	;; [unrolled: 1-line block ×4, first 2 shown]
	v_fma_f64 v[22:23], v[172:173], v[176:177], -v[38:39]
	buffer_load_dword v173, off, s[0:3], 0 offset:748
	buffer_load_dword v172, off, s[0:3], 0 offset:744
	v_accvgpr_write_b32 a215, v179
	v_accvgpr_write_b32 a214, v178
	buffer_load_dword v177, off, s[0:3], 0 offset:740
	buffer_load_dword v176, off, s[0:3], 0 offset:736
	buffer_load_dword v175, off, s[0:3], 0 offset:764
	buffer_load_dword v174, off, s[0:3], 0 offset:760
	buffer_load_dword v179, off, s[0:3], 0 offset:756
	buffer_load_dword v178, off, s[0:3], 0 offset:752
	v_mul_f64 v[12:13], v[182:183], v[86:87]
	v_accvgpr_write_b32 a217, v17
	v_fma_f64 v[18:19], v[180:181], v[60:61], -v[12:13]
	buffer_load_dword v180, off, s[0:3], 0 offset:776
	v_mul_f64 v[38:39], v[186:187], v[208:209]
	v_accvgpr_write_b32 a216, v16
	v_fma_f64 v[16:17], v[184:185], v[210:211], -v[38:39]
	buffer_load_dword v184, off, s[0:3], 0 offset:768
	buffer_load_dword v181, off, s[0:3], 0 offset:780
	;; [unrolled: 1-line block ×3, first 2 shown]
	v_mul_f64 v[38:39], v[190:191], v[200:201]
	v_fma_f64 v[14:15], v[188:189], v[206:207], -v[38:39]
	buffer_load_dword v182, off, s[0:3], 0 offset:808
	buffer_load_dword v189, off, s[0:3], 0 offset:796
	;; [unrolled: 1-line block ×8, first 2 shown]
	v_mul_f64 v[40:41], v[194:195], v[246:247]
	v_fma_f64 v[248:249], v[192:193], v[248:249], -v[40:41]
	buffer_load_dword v193, off, s[0:3], 0 offset:828
	buffer_load_dword v192, off, s[0:3], 0 offset:824
	;; [unrolled: 1-line block ×4, first 2 shown]
	v_mul_f64 v[40:41], v[198:199], v[96:97]
	buffer_load_dword v199, off, s[0:3], 0 offset:844
	buffer_load_dword v198, off, s[0:3], 0 offset:840
	;; [unrolled: 1-line block ×4, first 2 shown]
	v_fma_f64 v[12:13], v[196:197], v[100:101], -v[40:41]
	v_mul_f64 v[40:41], v[204:205], v[250:251]
	v_fma_f64 v[250:251], v[202:203], v[252:253], -v[40:41]
	buffer_load_dword v196, off, s[0:3], 0 offset:872
	buffer_load_dword v205, off, s[0:3], 0 offset:860
	;; [unrolled: 1-line block ×12, first 2 shown]
	s_waitcnt vmcnt(62) lgkmcnt(2)
	v_mul_f64 v[112:113], v[142:143], v[30:31]
	v_fmac_f64_e32 v[112:113], v[144:145], v[134:135]
	v_add_f64 v[110:111], v[110:111], v[112:113]
	s_waitcnt lgkmcnt(1)
	v_mul_f64 v[112:113], v[120:121], v[236:237]
	s_waitcnt vmcnt(60)
	v_fmac_f64_e32 v[112:113], v[122:123], v[118:119]
	v_add_f64 v[110:111], v[110:111], v[112:113]
	v_fma_f64 v[10:11], v[212:213], v[76:77], -v[42:43]
	ds_read_b128 v[42:45], v32 offset:1648
	v_fma_f64 v[252:253], v[216:217], v[94:95], -v[46:47]
	ds_read_b128 v[46:49], v32 offset:1664
	v_mul_f64 v[54:55], v[222:223], v[56:57]
	v_fma_f64 v[8:9], v[220:221], v[58:59], -v[54:55]
	ds_read_b128 v[54:57], v32 offset:1696
	v_mul_f64 v[58:59], v[226:227], v[62:63]
	;; [unrolled: 3-line block ×3, first 2 shown]
	v_fma_f64 v[4:5], v[228:229], v[68:69], -v[66:67]
	ds_read_b128 v[66:69], v32 offset:1744
	s_waitcnt vmcnt(58) lgkmcnt(5)
	v_mul_f64 v[38:39], v[34:35], v[2:3]
	v_mul_f64 v[70:71], v[240:241], v[70:71]
	s_waitcnt vmcnt(56)
	v_fmac_f64_e32 v[38:39], v[36:37], v[232:233]
	v_add_f64 v[50:51], v[110:111], v[38:39]
	ds_read_b128 v[38:41], v32 offset:1632
	v_pk_mov_b32 v[130:131], v[2:3], v[2:3] op_sel:[0,1]
	v_fma_f64 v[2:3], v[238:239], v[72:73], -v[70:71]
	ds_read_b128 v[70:73], v32 offset:1760
	v_mul_f64 v[78:79], v[244:245], v[78:79]
	v_fma_f64 v[0:1], v[242:243], v[80:81], -v[78:79]
	ds_read_b128 v[78:81], v32 offset:1792
	v_mul_f64 v[82:83], v[104:105], v[82:83]
	v_fma_f64 v[82:83], v[102:103], v[84:85], -v[82:83]
	v_accvgpr_write_b32 a221, v83
	v_accvgpr_write_b32 a220, v82
	ds_read_b128 v[82:85], v32 offset:1808
	s_waitcnt vmcnt(53) lgkmcnt(3)
	v_mul_f64 v[20:21], v[38:39], v[124:125]
	s_waitcnt vmcnt(52)
	v_fmac_f64_e32 v[20:21], v[40:41], v[160:161]
	v_add_f64 v[20:21], v[50:51], v[20:21]
	v_accvgpr_write_b32 a219, v127
	v_accvgpr_write_b32 a218, v126
	v_pk_mov_b32 v[126:127], v[236:237], v[236:237] op_sel:[0,1]
	v_pk_mov_b32 v[128:129], v[118:119], v[118:119] op_sel:[0,1]
	s_waitcnt vmcnt(49)
	v_mul_f64 v[50:51], v[42:43], v[164:165]
	s_waitcnt vmcnt(47)
	v_fmac_f64_e32 v[50:51], v[44:45], v[166:167]
	v_add_f64 v[20:21], v[20:21], v[50:51]
	s_waitcnt vmcnt(45)
	v_mul_f64 v[50:51], v[46:47], v[158:159]
	s_waitcnt vmcnt(44)
	v_fmac_f64_e32 v[50:51], v[48:49], v[28:29]
	v_add_f64 v[20:21], v[20:21], v[50:51]
	ds_read_b128 v[50:53], v32 offset:1680
	s_waitcnt vmcnt(42) lgkmcnt(0)
	v_mul_f64 v[74:75], v[50:51], v[168:169]
	s_waitcnt vmcnt(40)
	v_fmac_f64_e32 v[74:75], v[52:53], v[170:171]
	s_waitcnt vmcnt(38)
	v_mul_f64 v[62:63], v[54:55], v[172:173]
	v_add_f64 v[20:21], v[20:21], v[74:75]
	s_waitcnt vmcnt(36)
	v_fmac_f64_e32 v[62:63], v[56:57], v[176:177]
	v_add_f64 v[20:21], v[20:21], v[62:63]
	s_waitcnt vmcnt(34)
	v_mul_f64 v[62:63], v[58:59], v[174:175]
	s_waitcnt vmcnt(32)
	v_fmac_f64_e32 v[62:63], v[60:61], v[178:179]
	v_add_f64 v[20:21], v[20:21], v[62:63]
	ds_read_b128 v[62:65], v32 offset:1728
	s_waitcnt vmcnt(29) lgkmcnt(0)
	v_mul_f64 v[74:75], v[62:63], v[180:181]
	s_waitcnt vmcnt(28)
	v_fmac_f64_e32 v[74:75], v[64:65], v[184:185]
	v_add_f64 v[20:21], v[20:21], v[74:75]
	s_waitcnt vmcnt(25)
	v_mul_f64 v[74:75], v[66:67], v[188:189]
	s_waitcnt vmcnt(23)
	v_fmac_f64_e32 v[74:75], v[68:69], v[190:191]
	v_add_f64 v[20:21], v[20:21], v[74:75]
	s_waitcnt vmcnt(21)
	v_mul_f64 v[74:75], v[70:71], v[182:183]
	s_waitcnt vmcnt(20)
	v_fmac_f64_e32 v[74:75], v[72:73], v[186:187]
	v_add_f64 v[20:21], v[20:21], v[74:75]
	ds_read_b128 v[74:77], v32 offset:1776
	s_waitcnt vmcnt(9)
	v_mul_f64 v[96:97], v[82:83], v[204:205]
	s_waitcnt vmcnt(7)
	v_fmac_f64_e32 v[96:97], v[84:85], v[208:209]
	s_waitcnt lgkmcnt(0)
	v_mul_f64 v[86:87], v[74:75], v[192:193]
	v_fmac_f64_e32 v[86:87], v[76:77], v[194:195]
	v_add_f64 v[20:21], v[20:21], v[86:87]
	v_mul_f64 v[86:87], v[78:79], v[198:199]
	v_fmac_f64_e32 v[86:87], v[80:81], v[200:201]
	v_add_f64 v[94:95], v[20:21], v[86:87]
	ds_read_b128 v[86:89], v32 offset:1824
	v_mul_f64 v[20:21], v[108:109], v[90:91]
	v_fma_f64 v[20:21], v[106:107], v[92:93], -v[20:21]
	ds_read_b128 v[90:93], v32 offset:1840
	buffer_load_dword v212, off, s[0:3], 0 offset:904
	buffer_load_dword v213, off, s[0:3], 0 offset:908
	;; [unrolled: 1-line block ×4, first 2 shown]
	v_add_f64 v[94:95], v[94:95], v[96:97]
	s_waitcnt vmcnt(9) lgkmcnt(1)
	v_mul_f64 v[96:97], v[86:87], v[196:197]
	s_waitcnt vmcnt(8)
	v_fmac_f64_e32 v[96:97], v[88:89], v[202:203]
	v_add_f64 v[94:95], v[94:95], v[96:97]
	s_waitcnt vmcnt(6) lgkmcnt(0)
	v_mul_f64 v[96:97], v[90:91], v[206:207]
	s_waitcnt vmcnt(4)
	v_fmac_f64_e32 v[96:97], v[92:93], v[210:211]
	v_add_f64 v[98:99], v[94:95], v[96:97]
	ds_read_b128 v[94:97], v32 offset:1856
	buffer_load_dword v217, off, s[0:3], 0 offset:924
	buffer_load_dword v216, off, s[0:3], 0 offset:920
	buffer_load_dword v219, off, s[0:3], 0 offset:916
	buffer_load_dword v218, off, s[0:3], 0 offset:912
	s_waitcnt vmcnt(6) lgkmcnt(0)
	v_mul_f64 v[100:101], v[94:95], v[212:213]
	s_waitcnt vmcnt(4)
	v_fmac_f64_e32 v[100:101], v[96:97], v[214:215]
	v_add_f64 v[102:103], v[98:99], v[100:101]
	ds_read_b128 v[98:101], v32 offset:1872
	buffer_load_dword v220, off, s[0:3], 0 offset:936
	buffer_load_dword v221, off, s[0:3], 0 offset:940
	buffer_load_dword v222, off, s[0:3], 0 offset:928
	buffer_load_dword v223, off, s[0:3], 0 offset:932
	;; [unrolled: 10-line block ×5, first 2 shown]
	s_waitcnt vmcnt(6) lgkmcnt(0)
	v_mul_f64 v[242:243], v[110:111], v[228:229]
	s_waitcnt vmcnt(4)
	v_fmac_f64_e32 v[242:243], v[112:113], v[240:241]
	v_add_f64 v[242:243], v[238:239], v[242:243]
	ds_read_b128 v[236:239], v32 offset:1936
	s_waitcnt vmcnt(2) lgkmcnt(0)
	v_mul_f64 v[230:231], v[236:237], v[244:245]
	s_waitcnt vmcnt(0)
	v_fmac_f64_e32 v[230:231], v[238:239], v[246:247]
	v_add_f64 v[242:243], v[242:243], v[230:231]
	v_add_f64 v[230:231], v[136:137], 0
	;; [unrolled: 1-line block ×21, first 2 shown]
	buffer_load_dword v250, off, s[0:3], 0 offset:80
	buffer_load_dword v251, off, s[0:3], 0 offset:84
	;; [unrolled: 1-line block ×4, first 2 shown]
	v_add_f64 v[8:9], v[10:11], v[8:9]
	v_add_f64 v[6:7], v[8:9], v[6:7]
	;; [unrolled: 1-line block ×5, first 2 shown]
	v_accvgpr_read_b32 v4, a184
	v_accvgpr_read_b32 v2, a188
	;; [unrolled: 1-line block ×7, first 2 shown]
	v_mul_f64 v[2:3], v[6:7], v[2:3]
	v_accvgpr_read_b32 v6, a190
	v_add_f64 v[0:1], v[254:255], v[0:1]
	v_accvgpr_read_b32 v5, a185
	v_accvgpr_read_b32 v7, a191
	v_add_f64 v[0:1], v[0:1], v[20:21]
	v_fma_f64 v[2:3], v[4:5], v[6:7], -v[2:3]
	v_add_f64 v[0:1], v[0:1], v[2:3]
	v_accvgpr_read_b32 v4, a192
	v_accvgpr_read_b32 v2, a200
	;; [unrolled: 1-line block ×5, first 2 shown]
	v_mul_f64 v[2:3], v[6:7], v[2:3]
	v_accvgpr_read_b32 v6, a202
	v_accvgpr_read_b32 v5, a193
	v_accvgpr_read_b32 v7, a203
	v_fma_f64 v[2:3], v[4:5], v[6:7], -v[2:3]
	v_add_f64 v[0:1], v[0:1], v[2:3]
	v_accvgpr_read_b32 v4, a196
	v_accvgpr_read_b32 v2, a204
	;; [unrolled: 1-line block ×5, first 2 shown]
	v_mul_f64 v[2:3], v[6:7], v[2:3]
	v_accvgpr_read_b32 v6, a206
	v_accvgpr_read_b32 v5, a197
	;; [unrolled: 1-line block ×3, first 2 shown]
	v_fma_f64 v[2:3], v[4:5], v[6:7], -v[2:3]
	v_add_f64 v[0:1], v[0:1], v[2:3]
	v_accvgpr_read_b32 v2, a208
	v_accvgpr_read_b32 v3, a209
	v_accvgpr_read_b32 v4, a210
	v_mul_f64 v[2:3], v[154:155], v[2:3]
	v_accvgpr_read_b32 v5, a211
	v_fma_f64 v[2:3], v[152:153], v[4:5], -v[2:3]
	v_add_f64 v[0:1], v[0:1], v[2:3]
	v_accvgpr_read_b32 v2, a212
	v_accvgpr_read_b32 v3, a213
	v_accvgpr_read_b32 v4, a214
	v_mul_f64 v[2:3], v[148:149], v[2:3]
	v_accvgpr_read_b32 v5, a215
	;; [unrolled: 7-line block ×3, first 2 shown]
	v_fma_f64 v[2:3], v[138:139], v[4:5], -v[2:3]
	v_add_f64 v[0:1], v[0:1], v[2:3]
	v_mul_f64 v[2:3], v[144:145], v[30:31]
	v_fma_f64 v[2:3], v[142:143], v[134:135], -v[2:3]
	v_add_f64 v[0:1], v[0:1], v[2:3]
	v_mul_f64 v[2:3], v[122:123], v[126:127]
	;; [unrolled: 3-line block ×23, first 2 shown]
	v_fma_f64 v[2:3], v[236:237], v[246:247], -v[2:3]
	v_add_f64 v[0:1], v[0:1], v[2:3]
	s_waitcnt vmcnt(2)
	v_add_f64 v[0:1], v[250:251], -v[0:1]
	s_waitcnt vmcnt(0)
	v_add_f64 v[2:3], v[248:249], -v[242:243]
	buffer_store_dword v1, off, s[0:3], 0 offset:84
	buffer_store_dword v0, off, s[0:3], 0 offset:80
	;; [unrolled: 1-line block ×4, first 2 shown]
	v_accvgpr_read_b32 v0, a182
	v_cmp_lt_u32_e32 vcc, 3, v0
	s_and_saveexec_b64 s[4:5], vcc
	s_cbranch_execz .LBB60_385
; %bb.384:
	v_accvgpr_read_b32 v0, a179
	buffer_load_dword v2, v0, s[0:3], 0 offen
	buffer_load_dword v3, v0, s[0:3], 0 offen offset:4
	buffer_load_dword v4, v0, s[0:3], 0 offen offset:8
	;; [unrolled: 1-line block ×3, first 2 shown]
	v_mov_b32_e32 v0, 0
	v_accvgpr_read_b32 v1, a183
	buffer_store_dword v0, off, s[0:3], 0 offset:64
	buffer_store_dword v0, off, s[0:3], 0 offset:68
	;; [unrolled: 1-line block ×4, first 2 shown]
	s_waitcnt vmcnt(4)
	ds_write_b128 v1, v[2:5]
.LBB60_385:
	s_or_b64 exec, exec, s[4:5]
	s_waitcnt lgkmcnt(0)
	; wave barrier
	s_waitcnt lgkmcnt(0)
	buffer_load_dword v6, off, s[0:3], 0 offset:80
	buffer_load_dword v7, off, s[0:3], 0 offset:84
	;; [unrolled: 1-line block ×42, first 2 shown]
	v_mov_b32_e32 v228, 0
	buffer_load_dword v91, off, s[0:3], 0 offset:228
	buffer_load_dword v90, off, s[0:3], 0 offset:224
	;; [unrolled: 1-line block ×7, first 2 shown]
	ds_read_b128 v[104:107], v228 offset:1040
	ds_read_b128 v[108:111], v228 offset:1056
	ds_read_b128 v[112:115], v228 offset:1072
	ds_read_b128 v[140:143], v228 offset:1088
	ds_read_b128 v[144:147], v228 offset:1104
	ds_read_b128 v[148:151], v228 offset:1120
	ds_read_b128 v[152:155], v228 offset:1136
	ds_read_b128 v[156:159], v228 offset:1152
	ds_read_b128 v[160:163], v228 offset:1168
	ds_read_b128 v[164:167], v228 offset:1184
	ds_read_b128 v[34:37], v228 offset:1200
	s_waitcnt vmcnt(45) lgkmcnt(10)
	v_mul_f64 v[0:1], v[104:105], v[10:11]
	v_fmac_f64_e32 v[0:1], v[106:107], v[6:7]
	v_add_f64 v[0:1], v[0:1], 0
	v_mul_f64 v[10:11], v[106:107], v[10:11]
	s_waitcnt vmcnt(41) lgkmcnt(9)
	v_mul_f64 v[52:53], v[108:109], v[8:9]
	v_fmac_f64_e32 v[52:53], v[110:111], v[4:5]
	s_waitcnt vmcnt(39) lgkmcnt(8)
	v_mul_f64 v[54:55], v[112:113], v[2:3]
	v_add_f64 v[0:1], v[0:1], v[52:53]
	s_waitcnt vmcnt(37) lgkmcnt(6)
	v_mul_f64 v[58:59], v[144:145], v[242:243]
	v_fma_f64 v[246:247], v[104:105], v[6:7], -v[10:11]
	s_waitcnt vmcnt(35)
	v_fmac_f64_e32 v[58:59], v[146:147], v[14:15]
	v_mul_f64 v[8:9], v[110:111], v[8:9]
	s_waitcnt vmcnt(33)
	v_mul_f64 v[56:57], v[140:141], v[138:139]
	v_fma_f64 v[224:225], v[108:109], v[4:5], -v[8:9]
	s_waitcnt vmcnt(31) lgkmcnt(4)
	v_mul_f64 v[62:63], v[152:153], v[22:23]
	v_mul_f64 v[2:3], v[114:115], v[2:3]
	s_waitcnt vmcnt(29)
	v_fmac_f64_e32 v[62:63], v[154:155], v[24:25]
	v_mul_f64 v[22:23], v[154:155], v[22:23]
	s_waitcnt vmcnt(27)
	v_mul_f64 v[60:61], v[148:149], v[18:19]
	s_waitcnt vmcnt(25) lgkmcnt(2)
	v_mul_f64 v[66:67], v[160:161], v[30:31]
	s_waitcnt vmcnt(22)
	v_mul_f64 v[64:65], v[156:157], v[26:27]
	s_waitcnt vmcnt(20) lgkmcnt(1)
	v_mul_f64 v[116:117], v[164:165], v[38:39]
	v_mul_f64 v[38:39], v[166:167], v[38:39]
	s_waitcnt vmcnt(18)
	v_fmac_f64_e32 v[54:55], v[114:115], v[44:45]
	v_add_f64 v[0:1], v[0:1], v[54:55]
	s_waitcnt vmcnt(16)
	v_fmac_f64_e32 v[56:57], v[142:143], v[40:41]
	v_add_f64 v[0:1], v[0:1], v[56:57]
	;; [unrolled: 3-line block ×3, first 2 shown]
	v_add_f64 v[0:1], v[0:1], v[60:61]
	s_waitcnt vmcnt(12)
	v_fmac_f64_e32 v[64:65], v[158:159], v[28:29]
	v_add_f64 v[0:1], v[0:1], v[62:63]
	s_waitcnt vmcnt(11)
	v_fmac_f64_e32 v[66:67], v[162:163], v[32:33]
	v_add_f64 v[0:1], v[0:1], v[64:65]
	v_add_f64 v[0:1], v[0:1], v[66:67]
	buffer_load_dword v68, off, s[0:3], 0 offset:264
	buffer_load_dword v221, off, s[0:3], 0 offset:260
	buffer_load_dword v220, off, s[0:3], 0 offset:256
	buffer_load_dword v227, off, s[0:3], 0 offset:316
	buffer_load_dword v226, off, s[0:3], 0 offset:312
	buffer_load_dword v103, off, s[0:3], 0 offset:308
	buffer_load_dword v102, off, s[0:3], 0 offset:304
	buffer_load_dword v235, off, s[0:3], 0 offset:300
	buffer_load_dword v234, off, s[0:3], 0 offset:296
	buffer_load_dword v237, off, s[0:3], 0 offset:292
	buffer_load_dword v236, off, s[0:3], 0 offset:288
	buffer_load_dword v251, off, s[0:3], 0 offset:348
	buffer_load_dword v250, off, s[0:3], 0 offset:344
	buffer_load_dword v101, off, s[0:3], 0 offset:340
	buffer_load_dword v100, off, s[0:3], 0 offset:336
	buffer_load_dword v253, off, s[0:3], 0 offset:332
	buffer_load_dword v252, off, s[0:3], 0 offset:328
	buffer_load_dword v255, off, s[0:3], 0 offset:324
	buffer_load_dword v254, off, s[0:3], 0 offset:320
	buffer_load_dword v81, off, s[0:3], 0 offset:380
	buffer_load_dword v80, off, s[0:3], 0 offset:376
	buffer_load_dword v95, off, s[0:3], 0 offset:372
	buffer_load_dword v94, off, s[0:3], 0 offset:368
	buffer_load_dword v97, off, s[0:3], 0 offset:364
	buffer_load_dword v96, off, s[0:3], 0 offset:360
	buffer_load_dword v99, off, s[0:3], 0 offset:356
	buffer_load_dword v98, off, s[0:3], 0 offset:352
	buffer_load_dword v53, off, s[0:3], 0 offset:412
	buffer_load_dword v52, off, s[0:3], 0 offset:408
	buffer_load_dword v55, off, s[0:3], 0 offset:404
	buffer_load_dword v54, off, s[0:3], 0 offset:400
	buffer_load_dword v79, off, s[0:3], 0 offset:396
	buffer_load_dword v78, off, s[0:3], 0 offset:392
	buffer_load_dword v93, off, s[0:3], 0 offset:388
	buffer_load_dword v92, off, s[0:3], 0 offset:384
	buffer_load_dword v59, off, s[0:3], 0 offset:444
	buffer_load_dword v58, off, s[0:3], 0 offset:440
	buffer_load_dword v61, off, s[0:3], 0 offset:436
	buffer_load_dword v60, off, s[0:3], 0 offset:432
	buffer_load_dword v57, off, s[0:3], 0 offset:428
	buffer_load_dword v56, off, s[0:3], 0 offset:424
	buffer_load_dword v67, off, s[0:3], 0 offset:420
	buffer_load_dword v66, off, s[0:3], 0 offset:416
	buffer_load_dword v71, off, s[0:3], 0 offset:476
	buffer_load_dword v70, off, s[0:3], 0 offset:472
	buffer_load_dword v73, off, s[0:3], 0 offset:468
	buffer_load_dword v72, off, s[0:3], 0 offset:464
	buffer_load_dword v63, off, s[0:3], 0 offset:460
	buffer_load_dword v62, off, s[0:3], 0 offset:456
	buffer_load_dword v65, off, s[0:3], 0 offset:452
	buffer_load_dword v64, off, s[0:3], 0 offset:448
	buffer_load_dword v83, off, s[0:3], 0 offset:508
	buffer_load_dword v82, off, s[0:3], 0 offset:504
	buffer_load_dword v85, off, s[0:3], 0 offset:500
	buffer_load_dword v84, off, s[0:3], 0 offset:496
	buffer_load_dword v75, off, s[0:3], 0 offset:492
	buffer_load_dword v74, off, s[0:3], 0 offset:488
	buffer_load_dword v77, off, s[0:3], 0 offset:484
	buffer_load_dword v76, off, s[0:3], 0 offset:480
	buffer_load_dword v87, off, s[0:3], 0 offset:540
	buffer_load_dword v86, off, s[0:3], 0 offset:536
	s_waitcnt vmcnt(62)
	v_fmac_f64_e32 v[116:117], v[166:167], v[90:91]
	v_add_f64 v[0:1], v[0:1], v[116:117]
	s_waitcnt lgkmcnt(0)
	v_mul_f64 v[116:117], v[34:35], v[42:43]
	v_fmac_f64_e32 v[116:117], v[36:37], v[46:47]
	v_add_f64 v[0:1], v[0:1], v[116:117]
	v_fma_f64 v[222:223], v[112:113], v[44:45], -v[2:3]
	v_mul_f64 v[2:3], v[142:143], v[138:139]
	v_fma_f64 v[138:139], v[140:141], v[40:41], -v[2:3]
	v_fma_f64 v[142:143], v[152:153], v[24:25], -v[22:23]
	v_mul_f64 v[36:37], v[36:37], v[42:43]
	v_fma_f64 v[38:39], v[164:165], v[90:91], -v[38:39]
	v_fma_f64 v[90:91], v[34:35], v[46:47], -v[36:37]
	s_waitcnt vmcnt(0)
	v_pk_mov_b32 v[118:119], v[86:87], v[86:87] op_sel:[0,1]
	buffer_load_dword v87, off, s[0:3], 0 offset:532
	buffer_load_dword v86, off, s[0:3], 0 offset:528
	v_accvgpr_write_b32 a189, v119
	v_accvgpr_write_b32 a188, v118
	s_waitcnt vmcnt(0)
	v_pk_mov_b32 v[122:123], v[86:87], v[86:87] op_sel:[0,1]
	buffer_load_dword v87, off, s[0:3], 0 offset:524
	buffer_load_dword v86, off, s[0:3], 0 offset:520
	;; [unrolled: 1-line block ×6, first 2 shown]
	v_accvgpr_write_b32 a191, v123
	v_accvgpr_write_b32 a190, v122
	s_waitcnt vmcnt(0)
	v_pk_mov_b32 v[124:125], v[120:121], v[120:121] op_sel:[0,1]
	buffer_load_dword v121, off, s[0:3], 0 offset:564
	buffer_load_dword v120, off, s[0:3], 0 offset:560
	s_waitcnt vmcnt(0)
	v_pk_mov_b32 v[126:127], v[120:121], v[120:121] op_sel:[0,1]
	buffer_load_dword v121, off, s[0:3], 0 offset:556
	buffer_load_dword v120, off, s[0:3], 0 offset:552
	v_accvgpr_write_b32 a209, v127
	v_accvgpr_write_b32 a208, v126
	s_waitcnt vmcnt(0)
	v_pk_mov_b32 v[128:129], v[120:121], v[120:121] op_sel:[0,1]
	buffer_load_dword v121, off, s[0:3], 0 offset:548
	buffer_load_dword v120, off, s[0:3], 0 offset:544
	ds_read_b128 v[168:171], v228 offset:1216
	ds_read_b128 v[172:175], v228 offset:1232
	;; [unrolled: 1-line block ×10, first 2 shown]
	s_waitcnt lgkmcnt(9)
	v_mul_f64 v[116:117], v[168:169], v[68:69]
	v_fmac_f64_e32 v[116:117], v[170:171], v[220:221]
	v_add_f64 v[0:1], v[0:1], v[116:117]
	s_waitcnt lgkmcnt(8)
	v_mul_f64 v[116:117], v[172:173], v[48:49]
	v_fmac_f64_e32 v[116:117], v[174:175], v[50:51]
	v_add_f64 v[0:1], v[0:1], v[116:117]
	;; [unrolled: 4-line block ×10, first 2 shown]
	v_accvgpr_write_b32 a197, v129
	v_accvgpr_write_b32 a196, v128
	v_mul_f64 v[34:35], v[170:171], v[68:69]
	v_fma_f64 v[220:221], v[168:169], v[220:221], -v[34:35]
	v_mul_f64 v[42:43], v[174:175], v[48:49]
	s_waitcnt vmcnt(0)
	v_pk_mov_b32 v[130:131], v[120:121], v[120:121] op_sel:[0,1]
	buffer_load_dword v121, off, s[0:3], 0 offset:588
	buffer_load_dword v120, off, s[0:3], 0 offset:584
	v_accvgpr_write_b32 a199, v131
	v_accvgpr_write_b32 a198, v130
	s_waitcnt vmcnt(0)
	v_pk_mov_b32 v[136:137], v[120:121], v[120:121] op_sel:[0,1]
	buffer_load_dword v121, off, s[0:3], 0 offset:580
	buffer_load_dword v120, off, s[0:3], 0 offset:576
	ds_read_b128 v[208:211], v228 offset:1376
	v_accvgpr_write_b32 a211, v137
	v_accvgpr_write_b32 a210, v136
	s_waitcnt lgkmcnt(0)
	v_mul_f64 v[116:117], v[208:209], v[56:57]
	v_fmac_f64_e32 v[116:117], v[210:211], v[66:67]
	v_add_f64 v[0:1], v[0:1], v[116:117]
	s_waitcnt vmcnt(0)
	v_pk_mov_b32 v[240:241], v[120:121], v[120:121] op_sel:[0,1]
	buffer_load_dword v120, off, s[0:3], 0 offset:600
	buffer_load_dword v132, off, s[0:3], 0 offset:592
	;; [unrolled: 1-line block ×4, first 2 shown]
	ds_read_b128 v[212:215], v228 offset:1392
	buffer_load_dword v135, off, s[0:3], 0 offset:636
	buffer_load_dword v249, off, s[0:3], 0 offset:620
	;; [unrolled: 1-line block ×12, first 2 shown]
	ds_read_b128 v[216:219], v228 offset:1408
	ds_read_b128 v[104:107], v228 offset:1424
	;; [unrolled: 1-line block ×4, first 2 shown]
	s_waitcnt lgkmcnt(4)
	v_mul_f64 v[116:117], v[212:213], v[58:59]
	v_fmac_f64_e32 v[116:117], v[214:215], v[60:61]
	s_waitcnt lgkmcnt(3)
	v_mul_f64 v[6:7], v[216:217], v[62:63]
	ds_read_b128 v[112:115], v228 offset:1472
	ds_read_b128 v[8:11], v228 offset:1488
	v_add_f64 v[0:1], v[0:1], v[116:117]
	v_fmac_f64_e32 v[6:7], v[218:219], v[64:65]
	s_waitcnt lgkmcnt(4)
	v_mul_f64 v[4:5], v[104:105], v[70:71]
	v_add_f64 v[0:1], v[0:1], v[6:7]
	v_fmac_f64_e32 v[4:5], v[106:107], v[72:73]
	v_add_f64 v[0:1], v[0:1], v[4:5]
	s_waitcnt lgkmcnt(3)
	v_mul_f64 v[4:5], v[108:109], v[74:75]
	v_fmac_f64_e32 v[4:5], v[110:111], v[76:77]
	s_waitcnt lgkmcnt(2)
	v_mul_f64 v[6:7], v[230:231], v[82:83]
	v_add_f64 v[0:1], v[0:1], v[4:5]
	v_fmac_f64_e32 v[6:7], v[232:233], v[84:85]
	s_waitcnt lgkmcnt(1)
	v_mul_f64 v[4:5], v[112:113], v[86:87]
	v_add_f64 v[0:1], v[0:1], v[6:7]
	v_fmac_f64_e32 v[4:5], v[114:115], v[88:89]
	s_waitcnt lgkmcnt(0)
	v_accvgpr_write_b32 a187, v11
	v_add_f64 v[0:1], v[0:1], v[4:5]
	v_mul_f64 v[4:5], v[8:9], v[118:119]
	v_accvgpr_write_b32 a186, v10
	v_accvgpr_write_b32 a185, v9
	;; [unrolled: 1-line block ×3, first 2 shown]
	ds_read_b128 v[6:9], v228 offset:1504
	v_fmac_f64_e32 v[4:5], v[10:11], v[122:123]
	v_add_f64 v[0:1], v[0:1], v[4:5]
	v_mul_f64 v[4:5], v[146:147], v[242:243]
	v_fma_f64 v[118:119], v[144:145], v[14:15], -v[4:5]
	ds_read_b128 v[2:5], v228 offset:1520
	s_waitcnt lgkmcnt(1)
	v_mul_f64 v[40:41], v[6:7], v[128:129]
	v_accvgpr_write_b32 a195, v9
	v_fmac_f64_e32 v[40:41], v[8:9], v[130:131]
	v_accvgpr_write_b32 a194, v8
	v_accvgpr_write_b32 a193, v7
	;; [unrolled: 1-line block ×3, first 2 shown]
	ds_read_b128 v[6:9], v228 offset:1536
	v_mul_f64 v[14:15], v[150:151], v[18:19]
	s_waitcnt lgkmcnt(1)
	v_mul_f64 v[18:19], v[2:3], v[124:125]
	v_add_f64 v[0:1], v[0:1], v[40:41]
	v_fmac_f64_e32 v[18:19], v[4:5], v[126:127]
	v_add_f64 v[0:1], v[0:1], v[18:19]
	s_waitcnt lgkmcnt(0)
	v_mul_f64 v[18:19], v[6:7], v[136:137]
	v_accvgpr_write_b32 a212, v240
	v_fmac_f64_e32 v[18:19], v[8:9], v[240:241]
	v_accvgpr_write_b32 a213, v241
	ds_read_b128 v[240:243], v228 offset:1552
	buffer_load_dword v140, off, s[0:3], 0 offset:664
	buffer_load_dword v141, off, s[0:3], 0 offset:668
	ds_read_b128 v[126:129], v228 offset:1568
	buffer_load_dword v130, off, s[0:3], 0 offset:656
	buffer_load_dword v131, off, s[0:3], 0 offset:660
	v_accvgpr_write_b32 a207, v9
	v_add_f64 v[0:1], v[0:1], v[18:19]
	v_accvgpr_write_b32 a206, v8
	v_accvgpr_write_b32 a205, v7
	;; [unrolled: 1-line block ×3, first 2 shown]
	v_mul_f64 v[8:9], v[162:163], v[30:31]
	v_fma_f64 v[150:151], v[148:149], v[244:245], -v[14:15]
	v_pk_mov_b32 v[244:245], v[124:125], v[124:125] op_sel:[0,1]
	ds_read_b128 v[122:125], v228 offset:1584
	v_mul_f64 v[18:19], v[198:199], v[80:81]
	v_fma_f64 v[196:197], v[196:197], v[94:95], -v[18:19]
	v_accvgpr_write_b32 a203, v5
	v_accvgpr_write_b32 a202, v4
	;; [unrolled: 1-line block ×4, first 2 shown]
	s_waitcnt vmcnt(13) lgkmcnt(1)
	v_mul_f64 v[44:45], v[126:127], v[248:249]
	s_waitcnt vmcnt(11)
	v_fmac_f64_e32 v[44:45], v[128:129], v[20:21]
	v_accvgpr_write_b32 a219, v21
	v_accvgpr_write_b32 a218, v20
	v_mul_f64 v[20:21], v[202:203], v[78:79]
	v_mul_f64 v[22:23], v[240:241], v[120:121]
	v_fmac_f64_e32 v[22:23], v[242:243], v[132:133]
	v_add_f64 v[40:41], v[0:1], v[22:23]
	v_mul_f64 v[0:1], v[158:159], v[26:27]
	v_fma_f64 v[116:117], v[156:157], v[28:29], -v[0:1]
	v_fma_f64 v[28:29], v[160:161], v[32:33], -v[8:9]
	ds_read_b128 v[30:33], v228 offset:1600
	buffer_load_dword v145, off, s[0:3], 0 offset:684
	buffer_load_dword v144, off, s[0:3], 0 offset:680
	;; [unrolled: 1-line block ×16, first 2 shown]
	ds_read_b128 v[34:37], v228 offset:1616
	buffer_load_dword v158, off, s[0:3], 0 offset:760
	buffer_load_dword v165, off, s[0:3], 0 offset:748
	buffer_load_dword v164, off, s[0:3], 0 offset:744
	buffer_load_dword v167, off, s[0:3], 0 offset:740
	buffer_load_dword v166, off, s[0:3], 0 offset:736
	buffer_load_dword v168, off, s[0:3], 0 offset:752
	buffer_load_dword v159, off, s[0:3], 0 offset:764
	buffer_load_dword v169, off, s[0:3], 0 offset:756
	v_fma_f64 v[26:27], v[172:173], v[50:51], -v[42:43]
	buffer_load_dword v171, off, s[0:3], 0 offset:780
	buffer_load_dword v170, off, s[0:3], 0 offset:776
	;; [unrolled: 1-line block ×4, first 2 shown]
	v_add_f64 v[40:41], v[40:41], v[44:45]
	s_waitcnt vmcnt(38) lgkmcnt(2)
	v_mul_f64 v[44:45], v[122:123], v[134:135]
	v_accvgpr_write_b32 a215, v121
	s_waitcnt vmcnt(36)
	v_fmac_f64_e32 v[44:45], v[124:125], v[16:17]
	v_accvgpr_write_b32 a214, v120
	v_add_f64 v[40:41], v[40:41], v[44:45]
	s_waitcnt vmcnt(34) lgkmcnt(1)
	v_mul_f64 v[44:45], v[30:31], v[12:13]
	v_pk_mov_b32 v[120:121], v[12:13], v[12:13] op_sel:[0,1]
	v_mul_f64 v[12:13], v[178:179], v[234:235]
	v_fma_f64 v[24:25], v[176:177], v[236:237], -v[12:13]
	buffer_load_dword v176, off, s[0:3], 0 offset:792
	buffer_load_dword v178, off, s[0:3], 0 offset:784
	;; [unrolled: 1-line block ×4, first 2 shown]
	v_mul_f64 v[42:43], v[182:183], v[226:227]
	v_fma_f64 v[226:227], v[180:181], v[102:103], -v[42:43]
	v_mul_f64 v[42:43], v[186:187], v[252:253]
	v_fma_f64 v[22:23], v[184:185], v[254:255], -v[42:43]
	buffer_load_dword v175, off, s[0:3], 0 offset:828
	buffer_load_dword v181, off, s[0:3], 0 offset:812
	buffer_load_dword v180, off, s[0:3], 0 offset:808
	buffer_load_dword v185, off, s[0:3], 0 offset:804
	buffer_load_dword v184, off, s[0:3], 0 offset:800
	buffer_load_dword v174, off, s[0:3], 0 offset:824
	buffer_load_dword v183, off, s[0:3], 0 offset:820
	buffer_load_dword v182, off, s[0:3], 0 offset:816
	ds_read_b128 v[234:237], v228 offset:1632
	v_accvgpr_write_b32 a217, v133
	s_waitcnt vmcnt(44)
	v_fmac_f64_e32 v[44:45], v[32:33], v[238:239]
	v_accvgpr_write_b32 a216, v132
	v_pk_mov_b32 v[132:133], v[16:17], v[16:17] op_sel:[0,1]
	v_add_f64 v[40:41], v[40:41], v[44:45]
	v_mul_f64 v[16:17], v[190:191], v[250:251]
	v_mul_f64 v[44:45], v[194:195], v[96:97]
	v_fma_f64 v[16:17], v[188:189], v[100:101], -v[16:17]
	v_fma_f64 v[14:15], v[192:193], v[98:99], -v[44:45]
	buffer_load_dword v187, off, s[0:3], 0 offset:844
	buffer_load_dword v186, off, s[0:3], 0 offset:840
	;; [unrolled: 1-line block ×16, first 2 shown]
	v_fma_f64 v[12:13], v[200:201], v[92:93], -v[20:21]
	ds_read_b128 v[46:49], v228 offset:1664
	ds_read_b128 v[78:81], v228 offset:1792
	s_waitcnt vmcnt(58) lgkmcnt(3)
	v_mul_f64 v[42:43], v[34:35], v[140:141]
	s_waitcnt vmcnt(56)
	v_fmac_f64_e32 v[42:43], v[36:37], v[130:131]
	v_add_f64 v[18:19], v[40:41], v[42:43]
	ds_read_b128 v[42:45], v228 offset:1648
	v_mul_f64 v[40:41], v[210:211], v[56:57]
	v_fma_f64 v[8:9], v[208:209], v[66:67], -v[40:41]
	v_mul_f64 v[40:41], v[218:219], v[62:63]
	v_fma_f64 v[4:5], v[216:217], v[64:65], -v[40:41]
	ds_read_b128 v[66:69], v228 offset:1744
	v_mul_f64 v[40:41], v[110:111], v[74:75]
	v_fma_f64 v[2:3], v[108:109], v[76:77], -v[40:41]
	ds_read_b128 v[74:77], v228 offset:1776
	v_mul_f64 v[40:41], v[114:115], v[86:87]
	v_fma_f64 v[40:41], v[112:113], v[88:89], -v[40:41]
	v_accvgpr_write_b32 a221, v41
	v_accvgpr_write_b32 a220, v40
	ds_read_b128 v[62:65], v228 offset:1728
	ds_read_b128 v[86:89], v228 offset:1824
	s_waitcnt vmcnt(54) lgkmcnt(7)
	v_mul_f64 v[20:21], v[234:235], v[144:145]
	s_waitcnt vmcnt(52)
	v_fmac_f64_e32 v[20:21], v[236:237], v[146:147]
	v_add_f64 v[18:19], v[18:19], v[20:21]
	v_mul_f64 v[20:21], v[206:207], v[52:53]
	ds_read_b128 v[50:53], v228 offset:1680
	v_fma_f64 v[10:11], v[204:205], v[54:55], -v[20:21]
	ds_read_b128 v[54:57], v228 offset:1696
	s_waitcnt vmcnt(49) lgkmcnt(6)
	v_mul_f64 v[20:21], v[42:43], v[148:149]
	s_waitcnt vmcnt(48)
	v_fmac_f64_e32 v[20:21], v[44:45], v[152:153]
	v_add_f64 v[18:19], v[18:19], v[20:21]
	s_waitcnt vmcnt(45)
	v_mul_f64 v[20:21], v[46:47], v[156:157]
	s_waitcnt vmcnt(43)
	v_fmac_f64_e32 v[20:21], v[48:49], v[162:163]
	v_add_f64 v[18:19], v[18:19], v[20:21]
	s_waitcnt vmcnt(42) lgkmcnt(1)
	v_mul_f64 v[20:21], v[50:51], v[154:155]
	s_waitcnt vmcnt(40)
	v_fmac_f64_e32 v[20:21], v[52:53], v[160:161]
	v_add_f64 v[18:19], v[18:19], v[20:21]
	v_mul_f64 v[20:21], v[214:215], v[58:59]
	v_fma_f64 v[6:7], v[212:213], v[60:61], -v[20:21]
	ds_read_b128 v[58:61], v228 offset:1712
	s_waitcnt vmcnt(37) lgkmcnt(1)
	v_mul_f64 v[20:21], v[54:55], v[164:165]
	s_waitcnt vmcnt(35)
	v_fmac_f64_e32 v[20:21], v[56:57], v[166:167]
	v_add_f64 v[18:19], v[18:19], v[20:21]
	s_waitcnt vmcnt(33) lgkmcnt(0)
	v_mul_f64 v[20:21], v[58:59], v[158:159]
	s_waitcnt vmcnt(32)
	v_fmac_f64_e32 v[20:21], v[60:61], v[168:169]
	v_add_f64 v[18:19], v[18:19], v[20:21]
	s_waitcnt vmcnt(30)
	v_mul_f64 v[20:21], v[62:63], v[170:171]
	s_waitcnt vmcnt(28)
	v_fmac_f64_e32 v[20:21], v[64:65], v[172:173]
	v_add_f64 v[18:19], v[18:19], v[20:21]
	v_mul_f64 v[20:21], v[106:107], v[70:71]
	v_fma_f64 v[136:137], v[104:105], v[72:73], -v[20:21]
	ds_read_b128 v[70:73], v228 offset:1760
	s_waitcnt vmcnt(25)
	v_mul_f64 v[20:21], v[66:67], v[176:177]
	s_waitcnt vmcnt(24)
	v_fmac_f64_e32 v[20:21], v[68:69], v[178:179]
	v_add_f64 v[18:19], v[18:19], v[20:21]
	s_waitcnt vmcnt(21) lgkmcnt(0)
	v_mul_f64 v[20:21], v[70:71], v[180:181]
	s_waitcnt vmcnt(19)
	v_fmac_f64_e32 v[20:21], v[72:73], v[184:185]
	v_add_f64 v[18:19], v[18:19], v[20:21]
	s_waitcnt vmcnt(18)
	v_mul_f64 v[20:21], v[74:75], v[174:175]
	s_waitcnt vmcnt(16)
	v_fmac_f64_e32 v[20:21], v[76:77], v[182:183]
	v_add_f64 v[18:19], v[18:19], v[20:21]
	v_mul_f64 v[20:21], v[232:233], v[82:83]
	v_fma_f64 v[0:1], v[230:231], v[84:85], -v[20:21]
	ds_read_b128 v[82:85], v228 offset:1808
	ds_read_b128 v[230:233], v228 offset:1840
	buffer_load_dword v115, off, s[0:3], 0 offset:908
	buffer_load_dword v114, off, s[0:3], 0 offset:904
	buffer_load_dword v199, off, s[0:3], 0 offset:900
	buffer_load_dword v198, off, s[0:3], 0 offset:896
	ds_read_b128 v[94:97], v228 offset:1856
	buffer_load_dword v200, off, s[0:3], 0 offset:920
	buffer_load_dword v201, off, s[0:3], 0 offset:924
	buffer_load_dword v202, off, s[0:3], 0 offset:912
	buffer_load_dword v203, off, s[0:3], 0 offset:916
	;; [unrolled: 5-line block ×6, first 2 shown]
	s_waitcnt vmcnt(38)
	v_mul_f64 v[20:21], v[78:79], v[186:187]
	s_waitcnt vmcnt(36)
	v_fmac_f64_e32 v[20:21], v[80:81], v[188:189]
	v_add_f64 v[18:19], v[18:19], v[20:21]
	s_waitcnt vmcnt(33) lgkmcnt(6)
	v_mul_f64 v[20:21], v[82:83], v[190:191]
	s_waitcnt vmcnt(32)
	v_fmac_f64_e32 v[20:21], v[84:85], v[250:251]
	v_add_f64 v[18:19], v[18:19], v[20:21]
	s_waitcnt vmcnt(30)
	v_mul_f64 v[20:21], v[86:87], v[252:253]
	s_waitcnt vmcnt(28)
	v_fmac_f64_e32 v[20:21], v[88:89], v[254:255]
	v_add_f64 v[18:19], v[18:19], v[20:21]
	s_waitcnt vmcnt(25) lgkmcnt(5)
	v_mul_f64 v[20:21], v[230:231], v[192:193]
	s_waitcnt vmcnt(24)
	v_fmac_f64_e32 v[20:21], v[232:233], v[194:195]
	v_add_f64 v[18:19], v[18:19], v[20:21]
	s_waitcnt vmcnt(22) lgkmcnt(4)
	v_mul_f64 v[20:21], v[94:95], v[114:115]
	s_waitcnt vmcnt(20)
	v_fmac_f64_e32 v[20:21], v[96:97], v[198:199]
	v_add_f64 v[18:19], v[18:19], v[20:21]
	s_waitcnt vmcnt(18) lgkmcnt(3)
	v_mul_f64 v[20:21], v[98:99], v[200:201]
	s_waitcnt vmcnt(16)
	v_fmac_f64_e32 v[20:21], v[100:101], v[202:203]
	v_add_f64 v[18:19], v[18:19], v[20:21]
	s_waitcnt vmcnt(14) lgkmcnt(2)
	v_mul_f64 v[20:21], v[102:103], v[204:205]
	s_waitcnt vmcnt(12)
	v_fmac_f64_e32 v[20:21], v[104:105], v[206:207]
	v_add_f64 v[18:19], v[18:19], v[20:21]
	s_waitcnt vmcnt(10) lgkmcnt(1)
	v_mul_f64 v[20:21], v[106:107], v[208:209]
	s_waitcnt vmcnt(8)
	v_fmac_f64_e32 v[20:21], v[108:109], v[210:211]
	v_add_f64 v[18:19], v[18:19], v[20:21]
	s_waitcnt vmcnt(6) lgkmcnt(0)
	v_mul_f64 v[20:21], v[110:111], v[212:213]
	s_waitcnt vmcnt(4)
	v_fmac_f64_e32 v[20:21], v[112:113], v[214:215]
	v_add_f64 v[216:217], v[18:19], v[20:21]
	ds_read_b128 v[18:21], v228 offset:1936
	s_waitcnt vmcnt(2) lgkmcnt(0)
	v_mul_f64 v[92:93], v[18:19], v[218:219]
	s_waitcnt vmcnt(0)
	v_fmac_f64_e32 v[92:93], v[20:21], v[40:41]
	v_add_f64 v[216:217], v[216:217], v[92:93]
	v_add_f64 v[92:93], v[246:247], 0
	;; [unrolled: 1-line block ×22, first 2 shown]
	buffer_load_dword v224, off, s[0:3], 0 offset:64
	buffer_load_dword v225, off, s[0:3], 0 offset:68
	v_add_f64 v[8:9], v[10:11], v[8:9]
	buffer_load_dword v222, off, s[0:3], 0 offset:72
	buffer_load_dword v223, off, s[0:3], 0 offset:76
	v_add_f64 v[6:7], v[8:9], v[6:7]
	v_add_f64 v[4:5], v[6:7], v[4:5]
	;; [unrolled: 1-line block ×5, first 2 shown]
	v_accvgpr_read_b32 v2, a220
	v_accvgpr_read_b32 v3, a221
	v_add_f64 v[0:1], v[0:1], v[2:3]
	v_accvgpr_read_b32 v4, a184
	v_accvgpr_read_b32 v2, a188
	;; [unrolled: 1-line block ×5, first 2 shown]
	v_mul_f64 v[2:3], v[6:7], v[2:3]
	v_accvgpr_read_b32 v6, a190
	v_accvgpr_read_b32 v5, a185
	;; [unrolled: 1-line block ×3, first 2 shown]
	v_fma_f64 v[2:3], v[4:5], v[6:7], -v[2:3]
	v_add_f64 v[0:1], v[0:1], v[2:3]
	v_accvgpr_read_b32 v4, a192
	v_accvgpr_read_b32 v2, a196
	;; [unrolled: 1-line block ×5, first 2 shown]
	v_mul_f64 v[2:3], v[6:7], v[2:3]
	v_accvgpr_read_b32 v6, a198
	v_accvgpr_read_b32 v5, a193
	;; [unrolled: 1-line block ×3, first 2 shown]
	v_fma_f64 v[2:3], v[4:5], v[6:7], -v[2:3]
	v_accvgpr_read_b32 v4, a200
	v_accvgpr_read_b32 v6, a202
	;; [unrolled: 1-line block ×3, first 2 shown]
	v_add_f64 v[0:1], v[0:1], v[2:3]
	v_mul_f64 v[2:3], v[6:7], v[244:245]
	v_accvgpr_read_b32 v6, a208
	v_accvgpr_read_b32 v5, a201
	;; [unrolled: 1-line block ×3, first 2 shown]
	v_fma_f64 v[2:3], v[4:5], v[6:7], -v[2:3]
	v_add_f64 v[0:1], v[0:1], v[2:3]
	v_accvgpr_read_b32 v4, a204
	v_accvgpr_read_b32 v2, a210
	;; [unrolled: 1-line block ×5, first 2 shown]
	v_mul_f64 v[2:3], v[6:7], v[2:3]
	v_accvgpr_read_b32 v6, a212
	v_accvgpr_read_b32 v5, a205
	;; [unrolled: 1-line block ×3, first 2 shown]
	v_fma_f64 v[2:3], v[4:5], v[6:7], -v[2:3]
	v_add_f64 v[0:1], v[0:1], v[2:3]
	v_accvgpr_read_b32 v2, a214
	v_accvgpr_read_b32 v3, a215
	v_accvgpr_read_b32 v4, a216
	v_mul_f64 v[2:3], v[242:243], v[2:3]
	v_accvgpr_read_b32 v5, a217
	v_fma_f64 v[2:3], v[240:241], v[4:5], -v[2:3]
	v_accvgpr_read_b32 v4, a218
	v_add_f64 v[0:1], v[0:1], v[2:3]
	v_mul_f64 v[2:3], v[128:129], v[248:249]
	v_accvgpr_read_b32 v5, a219
	v_fma_f64 v[2:3], v[126:127], v[4:5], -v[2:3]
	v_add_f64 v[0:1], v[0:1], v[2:3]
	v_mul_f64 v[2:3], v[124:125], v[134:135]
	v_fma_f64 v[2:3], v[122:123], v[132:133], -v[2:3]
	v_add_f64 v[0:1], v[0:1], v[2:3]
	v_mul_f64 v[2:3], v[32:33], v[120:121]
	;; [unrolled: 3-line block ×23, first 2 shown]
	v_fma_f64 v[2:3], v[18:19], v[40:41], -v[2:3]
	v_add_f64 v[0:1], v[0:1], v[2:3]
	s_waitcnt vmcnt(2)
	v_add_f64 v[0:1], v[224:225], -v[0:1]
	s_waitcnt vmcnt(0)
	v_add_f64 v[2:3], v[222:223], -v[216:217]
	buffer_store_dword v1, off, s[0:3], 0 offset:68
	buffer_store_dword v0, off, s[0:3], 0 offset:64
	;; [unrolled: 1-line block ×4, first 2 shown]
	v_accvgpr_read_b32 v0, a182
	v_cmp_lt_u32_e32 vcc, 2, v0
	s_and_saveexec_b64 s[4:5], vcc
	s_cbranch_execz .LBB60_387
; %bb.386:
	v_accvgpr_read_b32 v0, a180
	buffer_load_dword v2, v0, s[0:3], 0 offen
	buffer_load_dword v3, v0, s[0:3], 0 offen offset:4
	buffer_load_dword v4, v0, s[0:3], 0 offen offset:8
	;; [unrolled: 1-line block ×3, first 2 shown]
	v_accvgpr_read_b32 v0, a183
	buffer_store_dword v228, off, s[0:3], 0 offset:48
	buffer_store_dword v228, off, s[0:3], 0 offset:52
	;; [unrolled: 1-line block ×4, first 2 shown]
	s_waitcnt vmcnt(4)
	ds_write_b128 v0, v[2:5]
.LBB60_387:
	s_or_b64 exec, exec, s[4:5]
	s_waitcnt lgkmcnt(0)
	; wave barrier
	s_waitcnt lgkmcnt(0)
	buffer_load_dword v6, off, s[0:3], 0 offset:64
	buffer_load_dword v7, off, s[0:3], 0 offset:68
	;; [unrolled: 1-line block ×42, first 2 shown]
	ds_read_b128 v[104:107], v228 offset:1024
	ds_read_b128 v[108:111], v228 offset:1040
	ds_read_b128 v[112:115], v228 offset:1056
	ds_read_b128 v[144:147], v228 offset:1072
	ds_read_b128 v[148:151], v228 offset:1088
	ds_read_b128 v[152:155], v228 offset:1104
	ds_read_b128 v[156:159], v228 offset:1120
	ds_read_b128 v[160:163], v228 offset:1136
	ds_read_b128 v[164:167], v228 offset:1152
	ds_read_b128 v[30:33], v228 offset:1168
	buffer_load_dword v99, off, s[0:3], 0 offset:212
	buffer_load_dword v98, off, s[0:3], 0 offset:208
	ds_read_b128 v[38:41], v228 offset:1184
	buffer_load_dword v85, off, s[0:3], 0 offset:268
	buffer_load_dword v84, off, s[0:3], 0 offset:264
	;; [unrolled: 1-line block ×6, first 2 shown]
	s_waitcnt vmcnt(46) lgkmcnt(10)
	v_mul_f64 v[0:1], v[104:105], v[10:11]
	v_fmac_f64_e32 v[0:1], v[106:107], v[6:7]
	v_add_f64 v[0:1], v[0:1], 0
	v_mul_f64 v[10:11], v[106:107], v[10:11]
	s_waitcnt vmcnt(42) lgkmcnt(9)
	v_mul_f64 v[52:53], v[108:109], v[8:9]
	v_fmac_f64_e32 v[52:53], v[110:111], v[4:5]
	s_waitcnt vmcnt(40) lgkmcnt(8)
	v_mul_f64 v[54:55], v[112:113], v[224:225]
	v_add_f64 v[0:1], v[0:1], v[52:53]
	s_waitcnt vmcnt(38) lgkmcnt(6)
	v_mul_f64 v[58:59], v[148:149], v[12:13]
	v_mul_f64 v[8:9], v[110:111], v[8:9]
	s_waitcnt vmcnt(36)
	v_fmac_f64_e32 v[58:59], v[150:151], v[14:15]
	v_fma_f64 v[230:231], v[108:109], v[4:5], -v[8:9]
	s_waitcnt vmcnt(34)
	v_mul_f64 v[56:57], v[144:145], v[226:227]
	s_waitcnt vmcnt(32) lgkmcnt(4)
	v_mul_f64 v[62:63], v[156:157], v[18:19]
	s_waitcnt vmcnt(30)
	v_fmac_f64_e32 v[62:63], v[158:159], v[20:21]
	s_waitcnt vmcnt(28)
	v_mul_f64 v[60:61], v[152:153], v[22:23]
	s_waitcnt vmcnt(26) lgkmcnt(2)
	v_mul_f64 v[66:67], v[164:165], v[26:27]
	s_waitcnt vmcnt(23)
	v_mul_f64 v[64:65], v[160:161], v[24:25]
	s_waitcnt vmcnt(21) lgkmcnt(1)
	v_mul_f64 v[116:117], v[30:31], v[34:35]
	s_waitcnt vmcnt(19)
	v_fmac_f64_e32 v[54:55], v[114:115], v[46:47]
	v_add_f64 v[0:1], v[0:1], v[54:55]
	s_waitcnt vmcnt(17)
	v_fmac_f64_e32 v[56:57], v[146:147], v[234:235]
	v_add_f64 v[0:1], v[0:1], v[56:57]
	;; [unrolled: 3-line block ×3, first 2 shown]
	v_add_f64 v[0:1], v[0:1], v[60:61]
	s_waitcnt vmcnt(13)
	v_fmac_f64_e32 v[64:65], v[162:163], v[36:37]
	v_add_f64 v[0:1], v[0:1], v[62:63]
	s_waitcnt vmcnt(12)
	v_fmac_f64_e32 v[66:67], v[166:167], v[28:29]
	v_add_f64 v[0:1], v[0:1], v[64:65]
	v_add_f64 v[118:119], v[0:1], v[66:67]
	buffer_load_dword v243, off, s[0:3], 0 offset:244
	buffer_load_dword v242, off, s[0:3], 0 offset:240
	;; [unrolled: 1-line block ×68, first 2 shown]
	s_waitcnt vmcnt(62)
	v_fmac_f64_e32 v[116:117], v[32:33], v[98:99]
	v_add_f64 v[116:117], v[118:119], v[116:117]
	s_waitcnt lgkmcnt(0)
	v_mul_f64 v[118:119], v[38:39], v[48:49]
	v_fmac_f64_e32 v[118:119], v[40:41], v[50:51]
	v_add_f64 v[116:117], v[116:117], v[118:119]
	v_mul_f64 v[32:33], v[32:33], v[34:35]
	v_mul_f64 v[40:41], v[40:41], v[48:49]
	s_waitcnt vmcnt(0)
	v_pk_mov_b32 v[124:125], v[122:123], v[122:123] op_sel:[0,1]
	buffer_load_dword v123, off, s[0:3], 0 offset:548
	buffer_load_dword v122, off, s[0:3], 0 offset:544
	;; [unrolled: 1-line block ×4, first 2 shown]
	v_accvgpr_write_b32 a197, v125
	v_accvgpr_write_b32 a196, v124
	s_waitcnt vmcnt(2)
	v_accvgpr_write_b32 a199, v123
	v_accvgpr_write_b32 a198, v122
	s_waitcnt vmcnt(0)
	v_pk_mov_b32 v[130:131], v[128:129], v[128:129] op_sel:[0,1]
	buffer_load_dword v129, off, s[0:3], 0 offset:532
	buffer_load_dword v128, off, s[0:3], 0 offset:528
	ds_read_b128 v[168:171], v228 offset:1200
	ds_read_b128 v[172:175], v228 offset:1216
	ds_read_b128 v[176:179], v228 offset:1232
	ds_read_b128 v[180:183], v228 offset:1248
	ds_read_b128 v[184:187], v228 offset:1264
	ds_read_b128 v[188:191], v228 offset:1280
	s_waitcnt lgkmcnt(5)
	v_mul_f64 v[118:119], v[168:169], v[96:97]
	v_fmac_f64_e32 v[118:119], v[170:171], v[242:243]
	v_add_f64 v[116:117], v[116:117], v[118:119]
	s_waitcnt lgkmcnt(4)
	v_mul_f64 v[118:119], v[172:173], v[84:85]
	v_fmac_f64_e32 v[118:119], v[174:175], v[90:91]
	v_add_f64 v[116:117], v[116:117], v[118:119]
	;; [unrolled: 4-line block ×3, first 2 shown]
	s_waitcnt lgkmcnt(2)
	v_mul_f64 v[118:119], v[180:181], v[244:245]
	v_fmac_f64_e32 v[118:119], v[182:183], v[246:247]
	ds_read_b128 v[192:195], v228 offset:1296
	ds_read_b128 v[196:199], v228 offset:1312
	v_add_f64 v[116:117], v[116:117], v[118:119]
	s_waitcnt lgkmcnt(3)
	v_mul_f64 v[118:119], v[184:185], v[126:127]
	v_fmac_f64_e32 v[118:119], v[186:187], v[236:237]
	v_add_f64 v[116:117], v[116:117], v[118:119]
	s_waitcnt lgkmcnt(2)
	v_mul_f64 v[118:119], v[188:189], v[252:253]
	v_fmac_f64_e32 v[118:119], v[190:191], v[254:255]
	ds_read_b128 v[200:203], v228 offset:1328
	ds_read_b128 v[204:207], v228 offset:1344
	v_add_f64 v[116:117], v[116:117], v[118:119]
	s_waitcnt lgkmcnt(3)
	v_mul_f64 v[118:119], v[192:193], v[0:1]
	v_fmac_f64_e32 v[118:119], v[194:195], v[2:3]
	v_add_f64 v[116:117], v[116:117], v[118:119]
	s_waitcnt lgkmcnt(2)
	v_mul_f64 v[118:119], v[196:197], v[92:93]
	v_fmac_f64_e32 v[118:119], v[198:199], v[94:95]
	v_add_f64 v[116:117], v[116:117], v[118:119]
	s_waitcnt lgkmcnt(1)
	v_mul_f64 v[118:119], v[200:201], v[100:101]
	v_fmac_f64_e32 v[118:119], v[202:203], v[102:103]
	v_add_f64 v[116:117], v[116:117], v[118:119]
	ds_read_b128 v[208:211], v228 offset:1360
	buffer_load_dword v118, off, s[0:3], 0 offset:584
	buffer_load_dword v133, off, s[0:3], 0 offset:572
	;; [unrolled: 1-line block ×3, first 2 shown]
	v_accvgpr_write_b32 a189, v131
	v_accvgpr_write_b32 a188, v130
	v_mul_f64 v[0:1], v[194:195], v[0:1]
	s_waitcnt vmcnt(3)
	v_accvgpr_write_b32 a191, v129
	v_accvgpr_write_b32 a190, v128
	s_waitcnt vmcnt(0)
	v_pk_mov_b32 v[134:135], v[132:133], v[132:133] op_sel:[0,1]
	buffer_load_dword v133, off, s[0:3], 0 offset:564
	buffer_load_dword v132, off, s[0:3], 0 offset:560
	v_accvgpr_write_b32 a209, v135
	v_accvgpr_write_b32 a208, v134
	s_waitcnt vmcnt(0)
	v_pk_mov_b32 v[138:139], v[132:133], v[132:133] op_sel:[0,1]
	buffer_load_dword v132, off, s[0:3], 0 offset:576
	buffer_load_dword v119, off, s[0:3], 0 offset:588
	;; [unrolled: 1-line block ×3, first 2 shown]
	ds_read_b128 v[212:215], v228 offset:1376
	buffer_load_dword v141, off, s[0:3], 0 offset:620
	buffer_load_dword v121, off, s[0:3], 0 offset:604
	;; [unrolled: 1-line block ×6, first 2 shown]
	v_accvgpr_write_b32 a215, v139
	v_accvgpr_write_b32 a214, v138
	s_waitcnt vmcnt(3)
	v_accvgpr_write_b32 a217, v121
	v_pk_mov_b32 v[136:137], v[118:119], v[118:119] op_sel:[0,1]
	s_waitcnt lgkmcnt(2)
	v_mul_f64 v[118:119], v[204:205], v[60:61]
	s_waitcnt vmcnt(0)
	v_pk_mov_b32 v[238:239], v[140:141], v[140:141] op_sel:[0,1]
	buffer_load_dword v45, off, s[0:3], 0 offset:612
	buffer_load_dword v44, off, s[0:3], 0 offset:608
	buffer_load_dword v17, off, s[0:3], 0 offset:636
	buffer_load_dword v16, off, s[0:3], 0 offset:632
	buffer_load_dword v141, off, s[0:3], 0 offset:628
	buffer_load_dword v140, off, s[0:3], 0 offset:624
	v_fmac_f64_e32 v[118:119], v[206:207], v[70:71]
	v_add_f64 v[116:117], v[116:117], v[118:119]
	s_waitcnt lgkmcnt(1)
	v_mul_f64 v[118:119], v[208:209], v[72:73]
	v_fmac_f64_e32 v[118:119], v[210:211], v[82:83]
	v_add_f64 v[116:117], v[116:117], v[118:119]
	s_waitcnt lgkmcnt(0)
	v_mul_f64 v[118:119], v[212:213], v[52:53]
	ds_read_b128 v[216:219], v228 offset:1392
	v_fmac_f64_e32 v[118:119], v[214:215], v[54:55]
	v_add_f64 v[116:117], v[116:117], v[118:119]
	v_fma_f64 v[118:119], v[104:105], v[6:7], -v[10:11]
	ds_read_b128 v[104:107], v228 offset:1408
	ds_read_b128 v[108:111], v228 offset:1424
	;; [unrolled: 1-line block ×3, first 2 shown]
	s_waitcnt lgkmcnt(3)
	v_mul_f64 v[6:7], v[216:217], v[56:57]
	v_fmac_f64_e32 v[6:7], v[218:219], v[58:59]
	v_add_f64 v[4:5], v[116:117], v[6:7]
	s_waitcnt lgkmcnt(2)
	v_mul_f64 v[6:7], v[104:105], v[62:63]
	v_fmac_f64_e32 v[6:7], v[106:107], v[64:65]
	v_add_f64 v[4:5], v[4:5], v[6:7]
	s_waitcnt lgkmcnt(1)
	v_mul_f64 v[6:7], v[108:109], v[66:67]
	v_fmac_f64_e32 v[6:7], v[110:111], v[68:69]
	v_add_f64 v[4:5], v[4:5], v[6:7]
	v_mul_f64 v[6:7], v[114:115], v[224:225]
	v_fma_f64 v[232:233], v[112:113], v[46:47], -v[6:7]
	ds_read_b128 v[112:115], v228 offset:1456
	s_waitcnt lgkmcnt(1)
	v_mul_f64 v[6:7], v[220:221], v[74:75]
	v_fmac_f64_e32 v[6:7], v[222:223], v[76:77]
	v_add_f64 v[4:5], v[4:5], v[6:7]
	v_mul_f64 v[6:7], v[146:147], v[226:227]
	ds_read_b128 v[224:227], v228 offset:1472
	v_fma_f64 v[234:235], v[144:145], v[234:235], -v[6:7]
	s_waitcnt lgkmcnt(1)
	v_mul_f64 v[6:7], v[112:113], v[78:79]
	ds_read_b128 v[8:11], v228 offset:1488
	v_fmac_f64_e32 v[6:7], v[114:115], v[80:81]
	v_add_f64 v[4:5], v[4:5], v[6:7]
	v_mul_f64 v[6:7], v[150:151], v[12:13]
	v_fma_f64 v[150:151], v[148:149], v[14:15], -v[6:7]
	s_waitcnt lgkmcnt(1)
	v_mul_f64 v[6:7], v[224:225], v[86:87]
	v_fmac_f64_e32 v[6:7], v[226:227], v[88:89]
	v_add_f64 v[4:5], v[4:5], v[6:7]
	s_waitcnt lgkmcnt(0)
	v_mul_f64 v[6:7], v[8:9], v[130:131]
	v_fmac_f64_e32 v[6:7], v[10:11], v[128:129]
	v_accvgpr_write_b32 a187, v11
	buffer_load_dword v240, off, s[0:3], 0 offset:648
	buffer_load_dword v241, off, s[0:3], 0 offset:652
	v_accvgpr_write_b32 a186, v10
	v_accvgpr_write_b32 a185, v9
	;; [unrolled: 1-line block ×3, first 2 shown]
	v_add_f64 v[4:5], v[4:5], v[6:7]
	ds_read_b128 v[6:9], v228 offset:1504
	ds_read_b128 v[128:131], v228 offset:1520
	v_mul_f64 v[10:11], v[154:155], v[22:23]
	v_fma_f64 v[46:47], v[152:153], v[42:43], -v[10:11]
	v_accvgpr_write_b32 a211, v137
	s_waitcnt lgkmcnt(1)
	v_pk_mov_b32 v[12:13], v[8:9], v[8:9] op_sel:[0,1]
	v_pk_mov_b32 v[10:11], v[6:7], v[6:7] op_sel:[0,1]
	v_mul_f64 v[8:9], v[10:11], v[124:125]
	v_accvgpr_write_b32 a195, v13
	v_fmac_f64_e32 v[8:9], v[12:13], v[122:123]
	v_accvgpr_write_b32 a194, v12
	v_accvgpr_write_b32 a193, v11
	;; [unrolled: 1-line block ×3, first 2 shown]
	ds_read_b128 v[10:13], v228 offset:1536
	v_add_f64 v[4:5], v[4:5], v[8:9]
	s_waitcnt lgkmcnt(1)
	v_mul_f64 v[8:9], v[128:129], v[134:135]
	v_fmac_f64_e32 v[8:9], v[130:131], v[138:139]
	v_add_f64 v[4:5], v[4:5], v[8:9]
	s_waitcnt lgkmcnt(0)
	v_mul_f64 v[8:9], v[10:11], v[136:137]
	v_accvgpr_write_b32 a210, v136
	ds_read_b128 v[136:139], v228 offset:1552
	v_accvgpr_write_b32 a213, v133
	v_fmac_f64_e32 v[8:9], v[12:13], v[132:133]
	v_accvgpr_write_b32 a212, v132
	buffer_load_dword v144, off, s[0:3], 0 offset:640
	buffer_load_dword v145, off, s[0:3], 0 offset:644
	ds_read_b128 v[132:135], v228 offset:1568
	v_accvgpr_write_b32 a203, v131
	v_accvgpr_write_b32 a202, v130
	;; [unrolled: 1-line block ×4, first 2 shown]
	ds_read_b128 v[128:131], v228 offset:1584
	v_add_f64 v[8:9], v[4:5], v[8:9]
	v_mul_f64 v[4:5], v[162:163], v[24:25]
	v_fma_f64 v[22:23], v[160:161], v[36:37], -v[4:5]
	s_waitcnt lgkmcnt(2)
	v_mul_f64 v[36:37], v[136:137], v[120:121]
	v_fmac_f64_e32 v[36:37], v[138:139], v[142:143]
	v_add_f64 v[8:9], v[8:9], v[36:37]
	s_waitcnt lgkmcnt(1)
	v_mul_f64 v[36:37], v[132:133], v[238:239]
	s_waitcnt vmcnt(8)
	v_fmac_f64_e32 v[36:37], v[134:135], v[44:45]
	v_add_f64 v[8:9], v[8:9], v[36:37]
	s_waitcnt vmcnt(6) lgkmcnt(0)
	v_mul_f64 v[36:37], v[128:129], v[16:17]
	v_mul_f64 v[14:15], v[158:159], v[18:19]
	s_waitcnt vmcnt(4)
	v_fmac_f64_e32 v[36:37], v[130:131], v[140:141]
	v_fma_f64 v[146:147], v[156:157], v[20:21], -v[14:15]
	v_add_f64 v[8:9], v[8:9], v[36:37]
	v_fma_f64 v[42:43], v[30:31], v[98:99], -v[32:33]
	ds_read_b128 v[34:37], v228 offset:1600
	ds_read_b128 v[122:125], v228 offset:1616
	buffer_load_dword v148, off, s[0:3], 0 offset:680
	buffer_load_dword v31, off, s[0:3], 0 offset:668
	;; [unrolled: 1-line block ×10, first 2 shown]
	v_accvgpr_write_b32 a207, v13
	v_accvgpr_write_b32 a223, v45
	v_accvgpr_write_b32 a206, v12
	v_accvgpr_write_b32 a205, v11
	v_accvgpr_write_b32 a204, v10
	v_mul_f64 v[12:13], v[166:167], v[26:27]
	v_accvgpr_write_b32 a222, v44
	v_fma_f64 v[44:45], v[38:39], v[50:51], -v[40:41]
	v_mul_f64 v[38:39], v[170:171], v[96:97]
	v_fma_f64 v[20:21], v[164:165], v[28:29], -v[12:13]
	v_fma_f64 v[242:243], v[168:169], v[242:243], -v[38:39]
	buffer_load_dword v167, off, s[0:3], 0 offset:700
	buffer_load_dword v166, off, s[0:3], 0 offset:696
	;; [unrolled: 1-line block ×7, first 2 shown]
	v_mul_f64 v[38:39], v[174:175], v[84:85]
	v_fma_f64 v[174:175], v[172:173], v[90:91], -v[38:39]
	buffer_load_dword v162, off, s[0:3], 0 offset:736
	buffer_load_dword v171, off, s[0:3], 0 offset:732
	;; [unrolled: 1-line block ×7, first 2 shown]
	v_mul_f64 v[38:39], v[178:179], v[248:249]
	v_mul_f64 v[40:41], v[186:187], v[126:127]
	v_accvgpr_write_b32 a216, v120
	v_fma_f64 v[250:251], v[176:177], v[250:251], -v[38:39]
	v_fma_f64 v[120:121], v[184:185], v[236:237], -v[40:41]
	buffer_load_dword v237, off, s[0:3], 0 offset:764
	buffer_load_dword v236, off, s[0:3], 0 offset:760
	;; [unrolled: 1-line block ×4, first 2 shown]
	v_accvgpr_write_b32 a221, v17
	v_mul_f64 v[38:39], v[182:183], v[244:245]
	v_accvgpr_write_b32 a220, v16
	v_fma_f64 v[16:17], v[180:181], v[246:247], -v[38:39]
	buffer_load_dword v180, off, s[0:3], 0 offset:776
	buffer_load_dword v182, off, s[0:3], 0 offset:768
	;; [unrolled: 1-line block ×4, first 2 shown]
	v_mul_f64 v[40:41], v[190:191], v[252:253]
	v_fma_f64 v[252:253], v[188:189], v[254:255], -v[40:41]
	v_fma_f64 v[12:13], v[192:193], v[2:3], -v[0:1]
	buffer_load_dword v179, off, s[0:3], 0 offset:812
	buffer_load_dword v185, off, s[0:3], 0 offset:796
	;; [unrolled: 1-line block ×12, first 2 shown]
	v_mul_f64 v[2:3], v[198:199], v[92:93]
	v_fma_f64 v[10:11], v[196:197], v[94:95], -v[2:3]
	buffer_load_dword v196, off, s[0:3], 0 offset:840
	buffer_load_dword v126, off, s[0:3], 0 offset:832
	;; [unrolled: 1-line block ×12, first 2 shown]
	s_waitcnt vmcnt(58) lgkmcnt(1)
	v_mul_f64 v[38:39], v[34:35], v[240:241]
	v_mul_f64 v[14:15], v[202:203], v[100:101]
	v_fma_f64 v[6:7], v[200:201], v[102:103], -v[14:15]
	buffer_load_dword v201, off, s[0:3], 0 offset:892
	buffer_load_dword v200, off, s[0:3], 0 offset:888
	;; [unrolled: 1-line block ×4, first 2 shown]
	ds_read_b128 v[26:29], v228 offset:1648
	ds_read_b128 v[152:155], v228 offset:1664
	v_mul_f64 v[14:15], v[206:207], v[60:61]
	v_mul_f64 v[66:67], v[110:111], v[66:67]
	v_fma_f64 v[14:15], v[204:205], v[70:71], -v[14:15]
	v_fma_f64 v[0:1], v[108:109], v[68:69], -v[66:67]
	v_mul_f64 v[86:87], v[226:227], v[86:87]
	v_fma_f64 v[254:255], v[224:225], v[88:89], -v[86:87]
	ds_read_b128 v[86:89], v228 offset:1824
	ds_read_b128 v[66:69], v228 offset:1744
	v_accvgpr_write_b32 a218, v238
	v_accvgpr_write_b32 a219, v239
	s_waitcnt vmcnt(60)
	v_fmac_f64_e32 v[38:39], v[36:37], v[144:145]
	v_add_f64 v[8:9], v[8:9], v[38:39]
	ds_read_b128 v[38:41], v228 offset:1632
	s_waitcnt vmcnt(57) lgkmcnt(5)
	v_mul_f64 v[18:19], v[122:123], v[30:31]
	s_waitcnt vmcnt(53) lgkmcnt(0)
	v_mul_f64 v[24:25], v[38:39], v[148:149]
	v_fmac_f64_e32 v[18:19], v[124:125], v[156:157]
	v_add_f64 v[8:9], v[8:9], v[18:19]
	s_waitcnt vmcnt(52)
	v_fmac_f64_e32 v[24:25], v[40:41], v[158:159]
	v_add_f64 v[8:9], v[8:9], v[24:25]
	v_mul_f64 v[24:25], v[214:215], v[52:53]
	v_fma_f64 v[24:25], v[212:213], v[54:55], -v[24:25]
	ds_read_b128 v[50:53], v228 offset:1680
	v_mul_f64 v[18:19], v[210:211], v[72:73]
	s_waitcnt vmcnt(48)
	v_mul_f64 v[54:55], v[26:27], v[166:167]
	v_mul_f64 v[60:61], v[152:153], v[48:49]
	s_waitcnt vmcnt(46)
	v_fmac_f64_e32 v[54:55], v[28:29], v[168:169]
	v_add_f64 v[8:9], v[8:9], v[54:55]
	v_mul_f64 v[54:55], v[218:219], v[56:57]
	v_fma_f64 v[2:3], v[216:217], v[58:59], -v[54:55]
	ds_read_b128 v[54:57], v228 offset:1696
	v_fma_f64 v[4:5], v[208:209], v[82:83], -v[18:19]
	s_waitcnt vmcnt(44)
	v_fmac_f64_e32 v[60:61], v[154:155], v[164:165]
	s_waitcnt vmcnt(40) lgkmcnt(1)
	v_mul_f64 v[18:19], v[50:51], v[170:171]
	v_add_f64 v[8:9], v[8:9], v[60:61]
	ds_read_b128 v[58:61], v228 offset:1712
	s_waitcnt vmcnt(38)
	v_fmac_f64_e32 v[18:19], v[52:53], v[172:173]
	v_add_f64 v[8:9], v[8:9], v[18:19]
	s_waitcnt vmcnt(37) lgkmcnt(1)
	v_mul_f64 v[18:19], v[54:55], v[160:161]
	s_waitcnt vmcnt(36)
	v_fmac_f64_e32 v[18:19], v[56:57], v[162:163]
	v_add_f64 v[8:9], v[8:9], v[18:19]
	v_mul_f64 v[18:19], v[106:107], v[62:63]
	v_fma_f64 v[18:19], v[104:105], v[64:65], -v[18:19]
	ds_read_b128 v[62:65], v228 offset:1728
	s_waitcnt vmcnt(34) lgkmcnt(1)
	v_mul_f64 v[70:71], v[58:59], v[236:237]
	s_waitcnt vmcnt(32)
	v_fmac_f64_e32 v[70:71], v[60:61], v[176:177]
	v_add_f64 v[8:9], v[8:9], v[70:71]
	ds_read_b128 v[70:73], v228 offset:1760
	s_waitcnt vmcnt(29) lgkmcnt(1)
	v_mul_f64 v[32:33], v[62:63], v[180:181]
	s_waitcnt vmcnt(28)
	v_fmac_f64_e32 v[32:33], v[64:65], v[182:183]
	s_waitcnt vmcnt(25)
	v_mul_f64 v[82:83], v[66:67], v[184:185]
	v_add_f64 v[8:9], v[8:9], v[32:33]
	v_mul_f64 v[32:33], v[222:223], v[74:75]
	s_waitcnt vmcnt(23)
	v_fmac_f64_e32 v[82:83], v[68:69], v[190:191]
	v_fma_f64 v[32:33], v[220:221], v[76:77], -v[32:33]
	ds_read_b128 v[74:77], v228 offset:1776
	v_add_f64 v[8:9], v[8:9], v[82:83]
	s_waitcnt vmcnt(22) lgkmcnt(1)
	v_mul_f64 v[82:83], v[70:71], v[178:179]
	s_waitcnt vmcnt(20)
	v_fmac_f64_e32 v[82:83], v[72:73], v[188:189]
	v_add_f64 v[90:91], v[8:9], v[82:83]
	ds_read_b128 v[82:85], v228 offset:1792
	v_mul_f64 v[8:9], v[114:115], v[78:79]
	v_fma_f64 v[8:9], v[112:113], v[80:81], -v[8:9]
	ds_read_b128 v[78:81], v228 offset:1808
	s_waitcnt vmcnt(18) lgkmcnt(2)
	v_mul_f64 v[92:93], v[74:75], v[186:187]
	s_waitcnt vmcnt(16)
	v_fmac_f64_e32 v[92:93], v[76:77], v[192:193]
	v_add_f64 v[90:91], v[90:91], v[92:93]
	s_waitcnt vmcnt(13) lgkmcnt(1)
	v_mul_f64 v[92:93], v[82:83], v[196:197]
	s_waitcnt vmcnt(12)
	v_fmac_f64_e32 v[92:93], v[84:85], v[126:127]
	v_add_f64 v[90:91], v[90:91], v[92:93]
	;; [unrolled: 5-line block ×3, first 2 shown]
	s_waitcnt vmcnt(5)
	v_mul_f64 v[92:93], v[86:87], v[194:195]
	s_waitcnt vmcnt(4)
	v_fmac_f64_e32 v[92:93], v[88:89], v[244:245]
	v_add_f64 v[94:95], v[90:91], v[92:93]
	ds_read_b128 v[90:93], v228 offset:1840
	buffer_load_dword v204, off, s[0:3], 0 offset:904
	buffer_load_dword v205, off, s[0:3], 0 offset:908
	buffer_load_dword v206, off, s[0:3], 0 offset:896
	buffer_load_dword v207, off, s[0:3], 0 offset:900
	s_waitcnt vmcnt(6) lgkmcnt(0)
	v_mul_f64 v[96:97], v[90:91], v[200:201]
	s_waitcnt vmcnt(4)
	v_fmac_f64_e32 v[96:97], v[92:93], v[202:203]
	v_add_f64 v[98:99], v[94:95], v[96:97]
	ds_read_b128 v[94:97], v228 offset:1856
	buffer_load_dword v209, off, s[0:3], 0 offset:924
	buffer_load_dword v208, off, s[0:3], 0 offset:920
	buffer_load_dword v211, off, s[0:3], 0 offset:916
	buffer_load_dword v210, off, s[0:3], 0 offset:912
	s_waitcnt vmcnt(6) lgkmcnt(0)
	v_mul_f64 v[100:101], v[94:95], v[204:205]
	s_waitcnt vmcnt(4)
	v_fmac_f64_e32 v[100:101], v[96:97], v[206:207]
	v_add_f64 v[102:103], v[98:99], v[100:101]
	ds_read_b128 v[98:101], v228 offset:1872
	buffer_load_dword v212, off, s[0:3], 0 offset:936
	buffer_load_dword v213, off, s[0:3], 0 offset:940
	buffer_load_dword v214, off, s[0:3], 0 offset:928
	buffer_load_dword v215, off, s[0:3], 0 offset:932
	s_waitcnt vmcnt(6) lgkmcnt(0)
	v_mul_f64 v[104:105], v[98:99], v[208:209]
	s_waitcnt vmcnt(4)
	v_fmac_f64_e32 v[104:105], v[100:101], v[210:211]
	v_add_f64 v[106:107], v[102:103], v[104:105]
	ds_read_b128 v[102:105], v228 offset:1888
	buffer_load_dword v217, off, s[0:3], 0 offset:956
	buffer_load_dword v216, off, s[0:3], 0 offset:952
	buffer_load_dword v219, off, s[0:3], 0 offset:948
	buffer_load_dword v218, off, s[0:3], 0 offset:944
	s_waitcnt vmcnt(6) lgkmcnt(0)
	v_mul_f64 v[108:109], v[102:103], v[212:213]
	s_waitcnt vmcnt(4)
	v_fmac_f64_e32 v[108:109], v[104:105], v[214:215]
	v_add_f64 v[110:111], v[106:107], v[108:109]
	ds_read_b128 v[106:109], v228 offset:1904
	buffer_load_dword v220, off, s[0:3], 0 offset:968
	buffer_load_dword v221, off, s[0:3], 0 offset:972
	buffer_load_dword v222, off, s[0:3], 0 offset:960
	buffer_load_dword v223, off, s[0:3], 0 offset:964
	s_waitcnt vmcnt(6) lgkmcnt(0)
	v_mul_f64 v[112:113], v[106:107], v[216:217]
	s_waitcnt vmcnt(4)
	v_fmac_f64_e32 v[112:113], v[108:109], v[218:219]
	v_add_f64 v[114:115], v[110:111], v[112:113]
	ds_read_b128 v[110:113], v228 offset:1920
	buffer_load_dword v227, off, s[0:3], 0 offset:988
	buffer_load_dword v226, off, s[0:3], 0 offset:984
	buffer_load_dword v249, off, s[0:3], 0 offset:980
	buffer_load_dword v248, off, s[0:3], 0 offset:976
	s_waitcnt vmcnt(6) lgkmcnt(0)
	v_mul_f64 v[116:117], v[110:111], v[220:221]
	s_waitcnt vmcnt(4)
	v_fmac_f64_e32 v[116:117], v[112:113], v[222:223]
	v_add_f64 v[224:225], v[114:115], v[116:117]
	ds_read_b128 v[114:117], v228 offset:1936
	v_add_f64 v[228:229], v[118:119], 0
	v_add_f64 v[228:229], v[228:229], v[230:231]
	;; [unrolled: 1-line block ×24, first 2 shown]
	buffer_load_dword v228, off, s[0:3], 0 offset:48
	buffer_load_dword v229, off, s[0:3], 0 offset:52
	;; [unrolled: 1-line block ×4, first 2 shown]
	v_add_f64 v[2:3], v[2:3], v[18:19]
	v_add_f64 v[0:1], v[2:3], v[0:1]
	v_accvgpr_read_b32 v4, a184
	v_accvgpr_read_b32 v2, a188
	;; [unrolled: 1-line block ×5, first 2 shown]
	v_add_f64 v[230:231], v[0:1], v[32:33]
	v_mul_f64 v[2:3], v[6:7], v[2:3]
	v_accvgpr_read_b32 v6, a190
	v_add_f64 v[0:1], v[230:231], v[8:9]
	v_accvgpr_read_b32 v5, a185
	v_accvgpr_read_b32 v7, a191
	v_add_f64 v[0:1], v[0:1], v[254:255]
	v_fma_f64 v[2:3], v[4:5], v[6:7], -v[2:3]
	v_add_f64 v[0:1], v[0:1], v[2:3]
	v_accvgpr_read_b32 v4, a192
	v_accvgpr_read_b32 v2, a196
	v_accvgpr_read_b32 v6, a194
	v_accvgpr_read_b32 v7, a195
	v_accvgpr_read_b32 v3, a197
	v_mul_f64 v[2:3], v[6:7], v[2:3]
	v_accvgpr_read_b32 v6, a198
	v_accvgpr_read_b32 v5, a193
	v_accvgpr_read_b32 v7, a199
	v_fma_f64 v[2:3], v[4:5], v[6:7], -v[2:3]
	v_add_f64 v[0:1], v[0:1], v[2:3]
	v_accvgpr_read_b32 v4, a200
	v_accvgpr_read_b32 v2, a208
	v_accvgpr_read_b32 v6, a202
	v_accvgpr_read_b32 v7, a203
	v_accvgpr_read_b32 v3, a209
	v_mul_f64 v[2:3], v[6:7], v[2:3]
	v_accvgpr_read_b32 v6, a214
	v_accvgpr_read_b32 v5, a201
	v_accvgpr_read_b32 v7, a215
	;; [unrolled: 11-line block ×3, first 2 shown]
	v_fma_f64 v[2:3], v[4:5], v[6:7], -v[2:3]
	v_add_f64 v[0:1], v[0:1], v[2:3]
	v_accvgpr_read_b32 v2, a216
	v_accvgpr_read_b32 v3, a217
	v_mul_f64 v[2:3], v[138:139], v[2:3]
	v_fma_f64 v[2:3], v[136:137], v[142:143], -v[2:3]
	v_add_f64 v[0:1], v[0:1], v[2:3]
	v_accvgpr_read_b32 v2, a218
	v_accvgpr_read_b32 v3, a219
	;; [unrolled: 1-line block ×3, first 2 shown]
	v_mul_f64 v[2:3], v[134:135], v[2:3]
	v_accvgpr_read_b32 v5, a223
	v_fma_f64 v[2:3], v[132:133], v[4:5], -v[2:3]
	v_add_f64 v[0:1], v[0:1], v[2:3]
	v_accvgpr_read_b32 v2, a220
	v_accvgpr_read_b32 v3, a221
	v_mul_f64 v[2:3], v[130:131], v[2:3]
	v_fma_f64 v[2:3], v[128:129], v[140:141], -v[2:3]
	v_add_f64 v[0:1], v[0:1], v[2:3]
	v_mul_f64 v[2:3], v[36:37], v[240:241]
	v_fma_f64 v[2:3], v[34:35], v[144:145], -v[2:3]
	v_add_f64 v[0:1], v[0:1], v[2:3]
	;; [unrolled: 3-line block ×22, first 2 shown]
	s_waitcnt vmcnt(6) lgkmcnt(0)
	v_mul_f64 v[2:3], v[116:117], v[226:227]
	v_mul_f64 v[238:239], v[114:115], v[226:227]
	s_waitcnt vmcnt(4)
	v_fma_f64 v[2:3], v[114:115], v[248:249], -v[2:3]
	v_fmac_f64_e32 v[238:239], v[116:117], v[248:249]
	v_add_f64 v[0:1], v[0:1], v[2:3]
	v_add_f64 v[224:225], v[224:225], v[238:239]
	s_waitcnt vmcnt(2)
	v_add_f64 v[0:1], v[228:229], -v[0:1]
	s_waitcnt vmcnt(0)
	v_add_f64 v[2:3], v[252:253], -v[224:225]
	buffer_store_dword v1, off, s[0:3], 0 offset:52
	buffer_store_dword v0, off, s[0:3], 0 offset:48
	;; [unrolled: 1-line block ×4, first 2 shown]
	v_accvgpr_read_b32 v0, a182
	v_cmp_lt_u32_e32 vcc, 1, v0
	s_and_saveexec_b64 s[4:5], vcc
	s_cbranch_execz .LBB60_389
; %bb.388:
	v_accvgpr_read_b32 v0, a181
	buffer_load_dword v2, v0, s[0:3], 0 offen
	buffer_load_dword v3, v0, s[0:3], 0 offen offset:4
	buffer_load_dword v4, v0, s[0:3], 0 offen offset:8
	;; [unrolled: 1-line block ×3, first 2 shown]
	v_mov_b32_e32 v0, 0
	v_accvgpr_read_b32 v1, a183
	buffer_store_dword v0, off, s[0:3], 0 offset:32
	buffer_store_dword v0, off, s[0:3], 0 offset:36
	buffer_store_dword v0, off, s[0:3], 0 offset:40
	buffer_store_dword v0, off, s[0:3], 0 offset:44
	s_waitcnt vmcnt(4)
	ds_write_b128 v1, v[2:5]
.LBB60_389:
	s_or_b64 exec, exec, s[4:5]
	s_waitcnt lgkmcnt(0)
	; wave barrier
	s_waitcnt lgkmcnt(0)
	buffer_load_dword v4, off, s[0:3], 0 offset:48
	buffer_load_dword v5, off, s[0:3], 0 offset:52
	;; [unrolled: 1-line block ×54, first 2 shown]
	v_mov_b32_e32 v80, 0
	ds_read_b128 v[126:129], v80 offset:1008
	ds_read_b128 v[130:133], v80 offset:1024
	;; [unrolled: 1-line block ×9, first 2 shown]
	s_waitcnt vmcnt(50) lgkmcnt(8)
	v_mul_f64 v[0:1], v[126:127], v[230:231]
	v_fmac_f64_e32 v[0:1], v[128:129], v[4:5]
	v_add_f64 v[0:1], v[0:1], 0
	s_waitcnt vmcnt(46) lgkmcnt(7)
	v_mul_f64 v[46:47], v[130:131], v[6:7]
	v_fmac_f64_e32 v[46:47], v[132:133], v[2:3]
	s_waitcnt vmcnt(44) lgkmcnt(6)
	v_mul_f64 v[50:51], v[134:135], v[86:87]
	v_add_f64 v[0:1], v[0:1], v[46:47]
	s_waitcnt vmcnt(42) lgkmcnt(4)
	v_mul_f64 v[58:59], v[142:143], v[228:229]
	s_waitcnt vmcnt(40)
	v_fmac_f64_e32 v[58:59], v[144:145], v[12:13]
	s_waitcnt vmcnt(38)
	v_mul_f64 v[56:57], v[138:139], v[16:17]
	s_waitcnt vmcnt(36) lgkmcnt(2)
	v_mul_f64 v[62:63], v[150:151], v[226:227]
	s_waitcnt vmcnt(34)
	v_fmac_f64_e32 v[62:63], v[152:153], v[124:125]
	s_waitcnt vmcnt(32)
	v_mul_f64 v[60:61], v[146:147], v[14:15]
	v_mul_f64 v[14:15], v[148:149], v[14:15]
	s_waitcnt vmcnt(30) lgkmcnt(1)
	v_mul_f64 v[84:85], v[154:155], v[18:19]
	v_mul_f64 v[18:19], v[156:157], v[18:19]
	s_waitcnt vmcnt(28)
	v_fmac_f64_e32 v[50:51], v[136:137], v[34:35]
	v_add_f64 v[0:1], v[0:1], v[50:51]
	s_waitcnt vmcnt(26)
	v_fmac_f64_e32 v[56:57], v[140:141], v[32:33]
	v_add_f64 v[0:1], v[0:1], v[56:57]
	;; [unrolled: 3-line block ×3, first 2 shown]
	v_add_f64 v[0:1], v[0:1], v[60:61]
	v_add_f64 v[0:1], v[0:1], v[62:63]
	buffer_load_dword v111, off, s[0:3], 0 offset:276
	buffer_load_dword v110, off, s[0:3], 0 offset:272
	buffer_load_dword v9, off, s[0:3], 0 offset:268
	buffer_load_dword v8, off, s[0:3], 0 offset:264
	buffer_load_dword v31, off, s[0:3], 0 offset:260
	buffer_load_dword v30, off, s[0:3], 0 offset:256
	buffer_load_dword v95, off, s[0:3], 0 offset:316
	buffer_load_dword v94, off, s[0:3], 0 offset:312
	buffer_load_dword v99, off, s[0:3], 0 offset:308
	buffer_load_dword v98, off, s[0:3], 0 offset:304
	buffer_load_dword v11, off, s[0:3], 0 offset:300
	buffer_load_dword v10, off, s[0:3], 0 offset:296
	buffer_load_dword v115, off, s[0:3], 0 offset:292
	buffer_load_dword v114, off, s[0:3], 0 offset:288
	buffer_load_dword v93, off, s[0:3], 0 offset:348
	buffer_load_dword v92, off, s[0:3], 0 offset:344
	buffer_load_dword v97, off, s[0:3], 0 offset:340
	buffer_load_dword v96, off, s[0:3], 0 offset:336
	buffer_load_dword v109, off, s[0:3], 0 offset:332
	buffer_load_dword v108, off, s[0:3], 0 offset:328
	buffer_load_dword v113, off, s[0:3], 0 offset:324
	buffer_load_dword v112, off, s[0:3], 0 offset:320
	buffer_load_dword v91, off, s[0:3], 0 offset:380
	buffer_load_dword v90, off, s[0:3], 0 offset:376
	buffer_load_dword v223, off, s[0:3], 0 offset:372
	buffer_load_dword v222, off, s[0:3], 0 offset:368
	buffer_load_dword v103, off, s[0:3], 0 offset:364
	buffer_load_dword v102, off, s[0:3], 0 offset:360
	buffer_load_dword v107, off, s[0:3], 0 offset:356
	buffer_load_dword v106, off, s[0:3], 0 offset:352
	buffer_load_dword v47, off, s[0:3], 0 offset:412
	buffer_load_dword v46, off, s[0:3], 0 offset:408
	buffer_load_dword v51, off, s[0:3], 0 offset:404
	buffer_load_dword v50, off, s[0:3], 0 offset:400
	buffer_load_dword v69, off, s[0:3], 0 offset:396
	buffer_load_dword v68, off, s[0:3], 0 offset:392
	buffer_load_dword v83, off, s[0:3], 0 offset:388
	buffer_load_dword v82, off, s[0:3], 0 offset:384
	buffer_load_dword v59, off, s[0:3], 0 offset:444
	buffer_load_dword v58, off, s[0:3], 0 offset:440
	buffer_load_dword v61, off, s[0:3], 0 offset:436
	buffer_load_dword v60, off, s[0:3], 0 offset:432
	buffer_load_dword v57, off, s[0:3], 0 offset:428
	buffer_load_dword v56, off, s[0:3], 0 offset:424
	buffer_load_dword v67, off, s[0:3], 0 offset:420
	buffer_load_dword v66, off, s[0:3], 0 offset:416
	buffer_load_dword v25, off, s[0:3], 0 offset:476
	buffer_load_dword v24, off, s[0:3], 0 offset:472
	buffer_load_dword v21, off, s[0:3], 0 offset:468
	buffer_load_dword v20, off, s[0:3], 0 offset:464
	buffer_load_dword v63, off, s[0:3], 0 offset:460
	buffer_load_dword v62, off, s[0:3], 0 offset:456
	buffer_load_dword v65, off, s[0:3], 0 offset:452
	buffer_load_dword v64, off, s[0:3], 0 offset:448
	buffer_load_dword v119, off, s[0:3], 0 offset:508
	buffer_load_dword v118, off, s[0:3], 0 offset:504
	buffer_load_dword v37, off, s[0:3], 0 offset:500
	buffer_load_dword v36, off, s[0:3], 0 offset:496
	buffer_load_dword v75, off, s[0:3], 0 offset:492
	buffer_load_dword v74, off, s[0:3], 0 offset:488
	buffer_load_dword v77, off, s[0:3], 0 offset:484
	buffer_load_dword v76, off, s[0:3], 0 offset:480
	ds_read_b128 v[162:165], v80 offset:1152
	ds_read_b128 v[166:169], v80 offset:1168
	s_waitcnt vmcnt(62)
	v_fmac_f64_e32 v[84:85], v[156:157], v[26:27]
	v_add_f64 v[0:1], v[0:1], v[84:85]
	s_waitcnt lgkmcnt(2)
	v_mul_f64 v[84:85], v[158:159], v[224:225]
	v_fmac_f64_e32 v[84:85], v[160:161], v[22:23]
	ds_read_b128 v[170:173], v80 offset:1184
	ds_read_b128 v[174:177], v80 offset:1200
	v_add_f64 v[0:1], v[0:1], v[84:85]
	s_waitcnt lgkmcnt(3)
	v_mul_f64 v[84:85], v[162:163], v[42:43]
	v_fmac_f64_e32 v[84:85], v[164:165], v[44:45]
	v_add_f64 v[0:1], v[0:1], v[84:85]
	s_waitcnt lgkmcnt(2)
	v_mul_f64 v[84:85], v[166:167], v[38:39]
	v_fmac_f64_e32 v[84:85], v[168:169], v[40:41]
	ds_read_b128 v[178:181], v80 offset:1216
	ds_read_b128 v[182:185], v80 offset:1232
	v_add_f64 v[0:1], v[0:1], v[84:85]
	s_waitcnt lgkmcnt(3)
	v_mul_f64 v[84:85], v[170:171], v[28:29]
	v_fmac_f64_e32 v[84:85], v[172:173], v[88:89]
	v_add_f64 v[0:1], v[0:1], v[84:85]
	s_waitcnt lgkmcnt(2)
	v_mul_f64 v[84:85], v[174:175], v[52:53]
	v_fmac_f64_e32 v[84:85], v[176:177], v[54:55]
	ds_read_b128 v[186:189], v80 offset:1248
	ds_read_b128 v[190:193], v80 offset:1264
	v_add_f64 v[0:1], v[0:1], v[84:85]
	s_waitcnt vmcnt(58) lgkmcnt(3)
	v_mul_f64 v[84:85], v[178:179], v[8:9]
	s_waitcnt vmcnt(56)
	v_fmac_f64_e32 v[84:85], v[180:181], v[30:31]
	v_add_f64 v[0:1], v[0:1], v[84:85]
	s_waitcnt lgkmcnt(2)
	v_mul_f64 v[84:85], v[182:183], v[48:49]
	v_fmac_f64_e32 v[84:85], v[184:185], v[110:111]
	ds_read_b128 v[194:197], v80 offset:1280
	ds_read_b128 v[198:201], v80 offset:1296
	v_add_f64 v[0:1], v[0:1], v[84:85]
	s_waitcnt vmcnt(50) lgkmcnt(3)
	v_mul_f64 v[84:85], v[186:187], v[10:11]
	s_waitcnt vmcnt(48)
	;; [unrolled: 11-line block ×3, first 2 shown]
	v_fmac_f64_e32 v[84:85], v[196:197], v[112:113]
	v_add_f64 v[0:1], v[0:1], v[84:85]
	s_waitcnt lgkmcnt(2)
	v_mul_f64 v[84:85], v[198:199], v[92:93]
	v_fmac_f64_e32 v[84:85], v[200:201], v[96:97]
	v_add_f64 v[0:1], v[0:1], v[84:85]
	s_waitcnt vmcnt(34) lgkmcnt(1)
	v_mul_f64 v[84:85], v[202:203], v[102:103]
	s_waitcnt vmcnt(32)
	v_fmac_f64_e32 v[84:85], v[204:205], v[106:107]
	v_add_f64 v[0:1], v[0:1], v[84:85]
	s_waitcnt lgkmcnt(0)
	v_mul_f64 v[84:85], v[206:207], v[90:91]
	v_fmac_f64_e32 v[84:85], v[208:209], v[222:223]
	buffer_load_dword v79, off, s[0:3], 0 offset:540
	buffer_load_dword v101, off, s[0:3], 0 offset:524
	;; [unrolled: 1-line block ×8, first 2 shown]
	ds_read_b128 v[210:213], v80 offset:1344
	v_add_f64 v[0:1], v[0:1], v[84:85]
	buffer_load_dword v85, off, s[0:3], 0 offset:556
	buffer_load_dword v84, off, s[0:3], 0 offset:552
	v_fma_f64 v[120:121], v[146:147], v[120:121], -v[14:15]
	v_mul_f64 v[8:9], v[180:181], v[8:9]
	s_waitcnt vmcnt(4)
	v_accvgpr_write_b32 a189, v79
	v_accvgpr_write_b32 a188, v78
	s_waitcnt vmcnt(2)
	v_pk_mov_b32 v[242:243], v[70:71], v[70:71] op_sel:[0,1]
	v_accvgpr_write_b32 a190, v242
	v_accvgpr_write_b32 a191, v243
	s_waitcnt vmcnt(0)
	v_pk_mov_b32 v[232:233], v[84:85], v[84:85] op_sel:[0,1]
	buffer_load_dword v85, off, s[0:3], 0 offset:548
	buffer_load_dword v84, off, s[0:3], 0 offset:544
	ds_read_b128 v[214:217], v80 offset:1360
	v_accvgpr_write_b32 a196, v232
	v_accvgpr_write_b32 a197, v233
	s_waitcnt vmcnt(0)
	v_pk_mov_b32 v[236:237], v[84:85], v[84:85] op_sel:[0,1]
	buffer_load_dword v85, off, s[0:3], 0 offset:572
	buffer_load_dword v84, off, s[0:3], 0 offset:568
	v_accvgpr_write_b32 a198, v236
	v_accvgpr_write_b32 a199, v237
	s_waitcnt vmcnt(0)
	v_pk_mov_b32 v[244:245], v[84:85], v[84:85] op_sel:[0,1]
	buffer_load_dword v85, off, s[0:3], 0 offset:564
	buffer_load_dword v84, off, s[0:3], 0 offset:560
	;; [unrolled: 6-line block ×4, first 2 shown]
	ds_read_b128 v[218:221], v80 offset:1376
	buffer_load_dword v122, off, s[0:3], 0 offset:600
	buffer_load_dword v116, off, s[0:3], 0 offset:592
	;; [unrolled: 1-line block ×4, first 2 shown]
	ds_read_b128 v[70:73], v80 offset:1392
	ds_read_b128 v[252:255], v80 offset:1408
	v_accvgpr_write_b32 a210, v246
	v_accvgpr_write_b32 a211, v247
	s_waitcnt vmcnt(4)
	v_pk_mov_b32 v[250:251], v[84:85], v[84:85] op_sel:[0,1]
	s_waitcnt lgkmcnt(4)
	v_mul_f64 v[84:85], v[210:211], v[68:69]
	v_fmac_f64_e32 v[84:85], v[212:213], v[82:83]
	v_add_f64 v[0:1], v[0:1], v[84:85]
	s_waitcnt lgkmcnt(3)
	v_mul_f64 v[84:85], v[214:215], v[46:47]
	v_fmac_f64_e32 v[84:85], v[216:217], v[50:51]
	v_add_f64 v[0:1], v[0:1], v[84:85]
	;; [unrolled: 4-line block ×3, first 2 shown]
	v_mul_f64 v[84:85], v[128:129], v[230:231]
	v_fma_f64 v[4:5], v[126:127], v[4:5], -v[84:85]
	v_accvgpr_write_b32 a229, v5
	v_accvgpr_write_b32 a228, v4
	s_waitcnt lgkmcnt(1)
	v_mul_f64 v[4:5], v[70:71], v[58:59]
	v_fmac_f64_e32 v[4:5], v[72:73], v[60:61]
	v_add_f64 v[4:5], v[0:1], v[4:5]
	v_mul_f64 v[0:1], v[132:133], v[6:7]
	v_fma_f64 v[238:239], v[130:131], v[2:3], -v[0:1]
	v_mul_f64 v[0:1], v[136:137], v[86:87]
	v_fma_f64 v[130:131], v[134:135], v[34:35], -v[0:1]
	buffer_load_dword v1, off, s[0:3], 0 offset:636
	buffer_load_dword v241, off, s[0:3], 0 offset:620
	;; [unrolled: 1-line block ×8, first 2 shown]
	ds_read_b128 v[84:87], v80 offset:1424
	s_waitcnt lgkmcnt(1)
	v_mul_f64 v[6:7], v[252:253], v[62:63]
	v_fmac_f64_e32 v[6:7], v[254:255], v[64:65]
	v_add_f64 v[4:5], v[4:5], v[6:7]
	ds_read_b128 v[126:129], v80 offset:1456
	v_accvgpr_write_b32 a214, v250
	v_accvgpr_write_b32 a215, v251
	v_fma_f64 v[134:135], v[154:155], v[26:27], -v[18:19]
	s_waitcnt vmcnt(9)
	v_accvgpr_write_b32 a217, v123
	v_accvgpr_write_b32 a216, v122
	v_mul_f64 v[46:47], v[216:217], v[46:47]
	v_mul_f64 v[58:59], v[72:73], v[58:59]
	;; [unrolled: 1-line block ×3, first 2 shown]
	s_waitcnt vmcnt(8)
	v_accvgpr_write_b32 a219, v117
	v_accvgpr_write_b32 a218, v116
	s_waitcnt vmcnt(3)
	v_pk_mov_b32 v[136:137], v[2:3], v[2:3] op_sel:[0,1]
	s_waitcnt vmcnt(2)
	v_pk_mov_b32 v[132:133], v[0:1], v[0:1] op_sel:[0,1]
	v_mul_f64 v[0:1], v[140:141], v[16:17]
	v_fma_f64 v[230:231], v[138:139], v[32:33], -v[0:1]
	ds_read_b128 v[0:3], v80 offset:1440
	s_waitcnt lgkmcnt(2)
	v_mul_f64 v[6:7], v[84:85], v[24:25]
	v_fmac_f64_e32 v[6:7], v[86:87], v[20:21]
	v_add_f64 v[4:5], v[4:5], v[6:7]
	ds_read_b128 v[32:35], v80 offset:1488
	ds_read_b128 v[138:141], v80 offset:1520
	s_waitcnt lgkmcnt(2)
	v_mul_f64 v[6:7], v[0:1], v[74:75]
	v_fmac_f64_e32 v[6:7], v[2:3], v[76:77]
	v_add_f64 v[16:17], v[4:5], v[6:7]
	v_mul_f64 v[4:5], v[144:145], v[228:229]
	v_fma_f64 v[228:229], v[142:143], v[12:13], -v[4:5]
	ds_read_b128 v[4:7], v80 offset:1472
	v_mul_f64 v[12:13], v[126:127], v[118:119]
	v_fmac_f64_e32 v[12:13], v[128:129], v[36:37]
	v_add_f64 v[12:13], v[16:17], v[12:13]
	s_waitcnt lgkmcnt(2)
	v_accvgpr_write_b32 a187, v35
	s_waitcnt lgkmcnt(0)
	v_mul_f64 v[14:15], v[4:5], v[100:101]
	v_fmac_f64_e32 v[14:15], v[6:7], v[104:105]
	v_add_f64 v[12:13], v[12:13], v[14:15]
	v_mul_f64 v[14:15], v[32:33], v[78:79]
	v_fmac_f64_e32 v[14:15], v[34:35], v[242:243]
	v_accvgpr_write_b32 a186, v34
	v_accvgpr_write_b32 a185, v33
	;; [unrolled: 1-line block ×3, first 2 shown]
	ds_read_b128 v[32:35], v80 offset:1504
	v_add_f64 v[12:13], v[12:13], v[14:15]
	v_mul_f64 v[14:15], v[152:153], v[226:227]
	v_fma_f64 v[78:79], v[150:151], v[124:125], -v[14:15]
	v_accvgpr_write_b32 a203, v141
	s_waitcnt lgkmcnt(0)
	v_mul_f64 v[16:17], v[32:33], v[232:233]
	v_accvgpr_write_b32 a195, v35
	v_fmac_f64_e32 v[16:17], v[34:35], v[236:237]
	v_accvgpr_write_b32 a194, v34
	v_accvgpr_write_b32 a193, v33
	;; [unrolled: 1-line block ×3, first 2 shown]
	ds_read_b128 v[32:35], v80 offset:1536
	v_add_f64 v[12:13], v[12:13], v[16:17]
	v_mul_f64 v[16:17], v[138:139], v[244:245]
	v_fmac_f64_e32 v[16:17], v[140:141], v[248:249]
	v_add_f64 v[12:13], v[12:13], v[16:17]
	s_waitcnt lgkmcnt(0)
	v_mul_f64 v[16:17], v[32:33], v[246:247]
	v_fmac_f64_e32 v[16:17], v[34:35], v[250:251]
	v_add_f64 v[12:13], v[12:13], v[16:17]
	v_mul_f64 v[16:17], v[160:161], v[224:225]
	ds_read_b128 v[248:251], v80 offset:1552
	v_fma_f64 v[124:125], v[158:159], v[22:23], -v[16:17]
	ds_read_b128 v[14:17], v80 offset:1568
	buffer_load_dword v227, off, s[0:3], 0 offset:668
	buffer_load_dword v226, off, s[0:3], 0 offset:664
	v_accvgpr_write_b32 a207, v35
	s_waitcnt lgkmcnt(1)
	v_mul_f64 v[26:27], v[248:249], v[122:123]
	v_fmac_f64_e32 v[26:27], v[250:251], v[116:117]
	v_accvgpr_write_b32 a206, v34
	v_accvgpr_write_b32 a205, v33
	;; [unrolled: 1-line block ×3, first 2 shown]
	v_add_f64 v[32:33], v[12:13], v[26:27]
	v_accvgpr_write_b32 a202, v140
	v_accvgpr_write_b32 a201, v139
	;; [unrolled: 1-line block ×3, first 2 shown]
	s_waitcnt lgkmcnt(0)
	v_mul_f64 v[34:35], v[14:15], v[240:241]
	v_mul_f64 v[26:27], v[164:165], v[42:43]
	v_fmac_f64_e32 v[34:35], v[16:17], v[136:137]
	v_accvgpr_write_b32 a225, v133
	v_fma_f64 v[18:19], v[162:163], v[44:45], -v[26:27]
	v_add_f64 v[32:33], v[32:33], v[34:35]
	v_accvgpr_write_b32 a224, v132
	v_mul_f64 v[26:27], v[168:169], v[38:39]
	v_fma_f64 v[152:153], v[166:167], v[40:41], -v[26:27]
	v_mul_f64 v[26:27], v[172:173], v[28:29]
	v_fma_f64 v[160:161], v[170:171], v[88:89], -v[26:27]
	v_accvgpr_write_b32 a223, v17
	v_accvgpr_write_b32 a222, v16
	;; [unrolled: 1-line block ×4, first 2 shown]
	v_fma_f64 v[16:17], v[178:179], v[30:31], -v[8:9]
	v_accvgpr_write_b32 a227, v137
	v_accvgpr_write_b32 a226, v136
	v_mul_f64 v[38:39], v[212:213], v[68:69]
	v_fma_f64 v[14:15], v[210:211], v[82:83], -v[38:39]
	v_fma_f64 v[8:9], v[252:253], v[64:65], -v[62:63]
	v_mul_f64 v[2:3], v[2:3], v[74:75]
	v_fma_f64 v[0:1], v[0:1], v[76:77], -v[2:3]
	v_mul_f64 v[6:7], v[6:7], v[100:101]
	s_waitcnt vmcnt(0)
	v_pk_mov_b32 v[12:13], v[226:227], v[226:227] op_sel:[0,1]
	buffer_load_dword v227, off, s[0:3], 0 offset:660
	buffer_load_dword v226, off, s[0:3], 0 offset:656
	;; [unrolled: 1-line block ×11, first 2 shown]
	ds_read_b128 v[140:143], v80 offset:1584
	buffer_load_dword v148, off, s[0:3], 0 offset:688
	buffer_load_dword v247, off, s[0:3], 0 offset:700
	;; [unrolled: 1-line block ×11, first 2 shown]
	ds_read_b128 v[242:245], v80 offset:1600
	s_waitcnt lgkmcnt(1)
	v_mul_f64 v[34:35], v[140:141], v[132:133]
	buffer_load_dword v133, off, s[0:3], 0 offset:748
	buffer_load_dword v132, off, s[0:3], 0 offset:744
	;; [unrolled: 1-line block ×12, first 2 shown]
	v_fmac_f64_e32 v[34:35], v[142:143], v[234:235]
	v_add_f64 v[42:43], v[32:33], v[34:35]
	v_mul_f64 v[34:35], v[184:185], v[48:49]
	v_mul_f64 v[32:33], v[176:177], v[52:53]
	v_fma_f64 v[110:111], v[182:183], v[110:111], -v[34:35]
	v_mul_f64 v[34:35], v[188:189], v[10:11]
	v_fma_f64 v[88:89], v[174:175], v[54:55], -v[32:33]
	v_fma_f64 v[174:175], v[186:187], v[114:115], -v[34:35]
	v_mul_f64 v[34:35], v[192:193], v[94:95]
	v_fma_f64 v[192:193], v[190:191], v[98:99], -v[34:35]
	buffer_load_dword v172, off, s[0:3], 0 offset:792
	v_mul_f64 v[34:35], v[196:197], v[108:109]
	v_fma_f64 v[194:195], v[194:195], v[112:113], -v[34:35]
	buffer_load_dword v112, off, s[0:3], 0 offset:784
	buffer_load_dword v173, off, s[0:3], 0 offset:796
	;; [unrolled: 1-line block ×11, first 2 shown]
	v_mul_f64 v[34:35], v[200:201], v[92:93]
	v_fma_f64 v[92:93], v[198:199], v[96:97], -v[34:35]
	v_mul_f64 v[34:35], v[204:205], v[102:103]
	v_fma_f64 v[180:181], v[202:203], v[106:107], -v[34:35]
	;; [unrolled: 2-line block ×3, first 2 shown]
	buffer_load_dword v91, off, s[0:3], 0 offset:860
	buffer_load_dword v187, off, s[0:3], 0 offset:844
	;; [unrolled: 1-line block ×12, first 2 shown]
	ds_read_b128 v[136:139], v80 offset:1616
	ds_read_b128 v[38:41], v80 offset:1632
	v_pk_mov_b32 v[34:35], v[12:13], v[12:13] op_sel:[0,1]
	v_fma_f64 v[10:11], v[70:71], v[60:61], -v[58:59]
	v_mul_f64 v[70:71], v[86:87], v[24:25]
	ds_read_b128 v[58:61], v80 offset:1712
	v_fma_f64 v[232:233], v[84:85], v[20:21], -v[70:71]
	ds_read_b128 v[74:77], v80 offset:1776
	ds_read_b128 v[30:33], v80 offset:1792
	buffer_load_dword v86, off, s[0:3], 0 offset:888
	v_accvgpr_read_b32 v20, a228
	v_accvgpr_read_b32 v21, a229
	ds_read_b128 v[62:65], v80 offset:1728
	ds_read_b128 v[70:73], v80 offset:1760
	s_waitcnt vmcnt(55) lgkmcnt(7)
	v_mul_f64 v[44:45], v[242:243], v[122:123]
	s_waitcnt vmcnt(53)
	v_fmac_f64_e32 v[44:45], v[244:245], v[144:145]
	v_add_f64 v[42:43], v[42:43], v[44:45]
	s_waitcnt lgkmcnt(6)
	v_mul_f64 v[44:45], v[136:137], v[12:13]
	v_fmac_f64_e32 v[44:45], v[138:139], v[226:227]
	v_add_f64 v[42:43], v[42:43], v[44:45]
	s_waitcnt vmcnt(50) lgkmcnt(5)
	v_mul_f64 v[44:45], v[38:39], v[236:237]
	s_waitcnt vmcnt(48)
	v_fmac_f64_e32 v[44:45], v[40:41], v[146:147]
	v_add_f64 v[54:55], v[42:43], v[44:45]
	ds_read_b128 v[42:45], v80 offset:1648
	v_fma_f64 v[12:13], v[214:215], v[50:51], -v[46:47]
	ds_read_b128 v[46:49], v80 offset:1664
	v_mul_f64 v[50:51], v[220:221], v[56:57]
	v_fma_f64 v[216:217], v[218:219], v[66:67], -v[50:51]
	ds_read_b128 v[50:53], v80 offset:1680
	s_waitcnt vmcnt(46) lgkmcnt(2)
	v_mul_f64 v[22:23], v[42:43], v[246:247]
	s_waitcnt vmcnt(45)
	v_fmac_f64_e32 v[22:23], v[44:45], v[148:149]
	v_add_f64 v[22:23], v[54:55], v[22:23]
	s_waitcnt vmcnt(42) lgkmcnt(1)
	v_mul_f64 v[54:55], v[46:47], v[154:155]
	s_waitcnt vmcnt(40)
	v_fmac_f64_e32 v[54:55], v[48:49], v[158:159]
	v_add_f64 v[22:23], v[22:23], v[54:55]
	;; [unrolled: 5-line block ×3, first 2 shown]
	ds_read_b128 v[54:57], v80 offset:1696
	s_waitcnt vmcnt(19)
	v_mul_f64 v[2:3], v[70:71], v[176:177]
	s_waitcnt vmcnt(17)
	v_fmac_f64_e32 v[2:3], v[72:73], v[178:179]
	s_waitcnt vmcnt(15)
	v_mul_f64 v[26:27], v[74:75], v[182:183]
	s_waitcnt vmcnt(13)
	v_fmac_f64_e32 v[26:27], v[76:77], v[184:185]
	s_waitcnt lgkmcnt(0)
	v_mul_f64 v[66:67], v[54:55], v[132:133]
	v_fmac_f64_e32 v[66:67], v[56:57], v[162:163]
	v_add_f64 v[22:23], v[22:23], v[66:67]
	v_mul_f64 v[66:67], v[58:59], v[164:165]
	v_fmac_f64_e32 v[66:67], v[60:61], v[168:169]
	v_add_f64 v[22:23], v[22:23], v[66:67]
	;; [unrolled: 3-line block ×3, first 2 shown]
	ds_read_b128 v[66:69], v80 offset:1744
	s_waitcnt lgkmcnt(0)
	v_mul_f64 v[82:83], v[66:67], v[172:173]
	v_fmac_f64_e32 v[82:83], v[68:69], v[112:113]
	v_add_f64 v[22:23], v[22:23], v[82:83]
	v_add_f64 v[2:3], v[22:23], v[2:3]
	v_mul_f64 v[22:23], v[128:129], v[118:119]
	v_fma_f64 v[22:23], v[126:127], v[36:37], -v[22:23]
	v_add_f64 v[2:3], v[2:3], v[26:27]
	ds_read_b128 v[82:85], v80 offset:1808
	ds_read_b128 v[26:29], v80 offset:1824
	buffer_load_dword v126, off, s[0:3], 0 offset:880
	buffer_load_dword v87, off, s[0:3], 0 offset:892
	buffer_load_dword v127, off, s[0:3], 0 offset:884
	ds_read_b128 v[252:255], v80 offset:1840
	buffer_load_dword v129, off, s[0:3], 0 offset:908
	buffer_load_dword v128, off, s[0:3], 0 offset:904
	buffer_load_dword v199, off, s[0:3], 0 offset:900
	buffer_load_dword v198, off, s[0:3], 0 offset:896
	ds_read_b128 v[94:97], v80 offset:1856
	buffer_load_dword v200, off, s[0:3], 0 offset:920
	;; [unrolled: 5-line block ×3, first 2 shown]
	buffer_load_dword v204, off, s[0:3], 0 offset:936
	buffer_load_dword v207, off, s[0:3], 0 offset:932
	;; [unrolled: 1-line block ×3, first 2 shown]
	v_fma_f64 v[36:37], v[4:5], v[104:105], -v[6:7]
	ds_read_b128 v[102:105], v80 offset:1888
	buffer_load_dword v208, off, s[0:3], 0 offset:952
	buffer_load_dword v209, off, s[0:3], 0 offset:956
	;; [unrolled: 1-line block ×4, first 2 shown]
	s_waitcnt vmcnt(29)
	v_mul_f64 v[4:5], v[30:31], v[186:187]
	s_waitcnt vmcnt(27)
	v_fmac_f64_e32 v[4:5], v[32:33], v[222:223]
	v_add_f64 v[2:3], v[2:3], v[4:5]
	s_waitcnt vmcnt(26) lgkmcnt(5)
	v_mul_f64 v[4:5], v[82:83], v[90:91]
	s_waitcnt vmcnt(24)
	v_fmac_f64_e32 v[4:5], v[84:85], v[150:151]
	v_add_f64 v[2:3], v[2:3], v[4:5]
	s_waitcnt vmcnt(22) lgkmcnt(4)
	v_mul_f64 v[4:5], v[26:27], v[188:189]
	s_waitcnt vmcnt(20)
	v_fmac_f64_e32 v[4:5], v[28:29], v[190:191]
	v_add_f64 v[2:3], v[2:3], v[4:5]
	ds_read_b128 v[106:109], v80 offset:1904
	buffer_load_dword v213, off, s[0:3], 0 offset:972
	buffer_load_dword v212, off, s[0:3], 0 offset:968
	;; [unrolled: 1-line block ×4, first 2 shown]
	s_waitcnt vmcnt(21) lgkmcnt(4)
	v_mul_f64 v[4:5], v[252:253], v[86:87]
	s_waitcnt vmcnt(20)
	v_fmac_f64_e32 v[4:5], v[254:255], v[126:127]
	v_add_f64 v[2:3], v[2:3], v[4:5]
	s_waitcnt vmcnt(18) lgkmcnt(3)
	v_mul_f64 v[4:5], v[94:95], v[128:129]
	s_waitcnt vmcnt(16)
	v_fmac_f64_e32 v[4:5], v[96:97], v[198:199]
	v_add_f64 v[2:3], v[2:3], v[4:5]
	;; [unrolled: 5-line block ×5, first 2 shown]
	ds_read_b128 v[4:7], v80 offset:1920
	buffer_load_dword v218, off, s[0:3], 0 offset:984
	buffer_load_dword v219, off, s[0:3], 0 offset:988
	;; [unrolled: 1-line block ×4, first 2 shown]
	s_waitcnt vmcnt(6) lgkmcnt(0)
	v_mul_f64 v[114:115], v[4:5], v[212:213]
	s_waitcnt vmcnt(4)
	v_fmac_f64_e32 v[114:115], v[6:7], v[214:215]
	v_add_f64 v[2:3], v[2:3], v[114:115]
	ds_read_b128 v[114:117], v80 offset:1936
	v_mul_f64 v[6:7], v[6:7], v[212:213]
	v_fma_f64 v[4:5], v[4:5], v[214:215], -v[6:7]
	s_waitcnt vmcnt(2) lgkmcnt(0)
	v_mul_f64 v[118:119], v[114:115], v[218:219]
	s_waitcnt vmcnt(0)
	v_fmac_f64_e32 v[118:119], v[116:117], v[220:221]
	v_add_f64 v[2:3], v[2:3], v[118:119]
	v_add_f64 v[118:119], v[20:21], 0
	;; [unrolled: 1-line block ×26, first 2 shown]
	buffer_load_dword v12, off, s[0:3], 0 offset:32
	buffer_load_dword v13, off, s[0:3], 0 offset:36
	v_add_f64 v[8:9], v[10:11], v[8:9]
	buffer_load_dword v10, off, s[0:3], 0 offset:40
	buffer_load_dword v11, off, s[0:3], 0 offset:44
	v_add_f64 v[8:9], v[8:9], v[232:233]
	v_add_f64 v[0:1], v[8:9], v[0:1]
	v_accvgpr_read_b32 v14, a184
	v_accvgpr_read_b32 v8, a188
	;; [unrolled: 1-line block ×5, first 2 shown]
	v_mul_f64 v[8:9], v[16:17], v[8:9]
	v_accvgpr_read_b32 v16, a190
	v_add_f64 v[228:229], v[0:1], v[22:23]
	v_accvgpr_read_b32 v15, a185
	v_accvgpr_read_b32 v17, a191
	v_add_f64 v[0:1], v[228:229], v[36:37]
	v_fma_f64 v[8:9], v[14:15], v[16:17], -v[8:9]
	v_add_f64 v[0:1], v[0:1], v[8:9]
	v_accvgpr_read_b32 v14, a192
	v_accvgpr_read_b32 v8, a196
	v_accvgpr_read_b32 v16, a194
	v_accvgpr_read_b32 v17, a195
	v_accvgpr_read_b32 v9, a197
	v_mul_f64 v[8:9], v[16:17], v[8:9]
	v_accvgpr_read_b32 v16, a198
	v_accvgpr_read_b32 v15, a193
	v_accvgpr_read_b32 v17, a199
	v_fma_f64 v[8:9], v[14:15], v[16:17], -v[8:9]
	v_add_f64 v[0:1], v[0:1], v[8:9]
	v_accvgpr_read_b32 v14, a200
	v_accvgpr_read_b32 v8, a208
	v_accvgpr_read_b32 v16, a202
	v_accvgpr_read_b32 v17, a203
	v_accvgpr_read_b32 v9, a209
	v_mul_f64 v[8:9], v[16:17], v[8:9]
	v_accvgpr_read_b32 v16, a212
	v_accvgpr_read_b32 v15, a201
	v_accvgpr_read_b32 v17, a213
	;; [unrolled: 11-line block ×3, first 2 shown]
	v_fma_f64 v[8:9], v[14:15], v[16:17], -v[8:9]
	v_add_f64 v[0:1], v[0:1], v[8:9]
	v_accvgpr_read_b32 v8, a216
	v_accvgpr_read_b32 v9, a217
	;; [unrolled: 1-line block ×3, first 2 shown]
	v_mul_f64 v[8:9], v[250:251], v[8:9]
	v_accvgpr_read_b32 v15, a219
	v_fma_f64 v[8:9], v[248:249], v[14:15], -v[8:9]
	v_accvgpr_read_b32 v14, a220
	v_accvgpr_read_b32 v16, a222
	v_accvgpr_read_b32 v17, a223
	v_add_f64 v[0:1], v[0:1], v[8:9]
	v_mul_f64 v[8:9], v[16:17], v[240:241]
	v_accvgpr_read_b32 v16, a226
	v_accvgpr_read_b32 v15, a221
	;; [unrolled: 1-line block ×3, first 2 shown]
	v_fma_f64 v[8:9], v[14:15], v[16:17], -v[8:9]
	v_add_f64 v[0:1], v[0:1], v[8:9]
	v_accvgpr_read_b32 v8, a224
	v_accvgpr_read_b32 v9, a225
	v_mul_f64 v[8:9], v[142:143], v[8:9]
	v_fma_f64 v[8:9], v[140:141], v[234:235], -v[8:9]
	v_add_f64 v[0:1], v[0:1], v[8:9]
	v_mul_f64 v[8:9], v[244:245], v[122:123]
	v_fma_f64 v[8:9], v[242:243], v[144:145], -v[8:9]
	v_add_f64 v[0:1], v[0:1], v[8:9]
	;; [unrolled: 3-line block ×21, first 2 shown]
	v_add_f64 v[0:1], v[0:1], v[4:5]
	v_mul_f64 v[4:5], v[116:117], v[218:219]
	v_fma_f64 v[4:5], v[114:115], v[220:221], -v[4:5]
	v_add_f64 v[0:1], v[0:1], v[4:5]
	s_waitcnt vmcnt(2)
	v_add_f64 v[0:1], v[12:13], -v[0:1]
	s_waitcnt vmcnt(0)
	v_add_f64 v[2:3], v[10:11], -v[2:3]
	buffer_store_dword v1, off, s[0:3], 0 offset:36
	buffer_store_dword v0, off, s[0:3], 0 offset:32
	;; [unrolled: 1-line block ×4, first 2 shown]
	v_accvgpr_read_b32 v0, a182
	v_cmp_ne_u32_e32 vcc, 0, v0
	s_and_saveexec_b64 s[4:5], vcc
	s_cbranch_execz .LBB60_391
; %bb.390:
	buffer_load_dword v0, off, s[0:3], 0 offset:16
	buffer_load_dword v1, off, s[0:3], 0 offset:20
	;; [unrolled: 1-line block ×4, first 2 shown]
	v_accvgpr_read_b32 v4, a183
	buffer_store_dword v80, off, s[0:3], 0 offset:16
	buffer_store_dword v80, off, s[0:3], 0 offset:20
	;; [unrolled: 1-line block ×4, first 2 shown]
	s_waitcnt vmcnt(4)
	ds_write_b128 v4, v[0:3]
.LBB60_391:
	s_or_b64 exec, exec, s[4:5]
	s_waitcnt lgkmcnt(0)
	; wave barrier
	s_waitcnt lgkmcnt(0)
	buffer_load_dword v4, off, s[0:3], 0 offset:32
	buffer_load_dword v5, off, s[0:3], 0 offset:36
	buffer_load_dword v56, off, s[0:3], 0 offset:40
	buffer_load_dword v57, off, s[0:3], 0 offset:44
	buffer_load_dword v0, off, s[0:3], 0 offset:48
	buffer_load_dword v1, off, s[0:3], 0 offset:52
	buffer_load_dword v2, off, s[0:3], 0 offset:56
	buffer_load_dword v3, off, s[0:3], 0 offset:60
	buffer_load_dword v226, off, s[0:3], 0 offset:72
	buffer_load_dword v227, off, s[0:3], 0 offset:76
	buffer_load_dword v7, off, s[0:3], 0 offset:108
	buffer_load_dword v6, off, s[0:3], 0 offset:104
	s_and_b64 vcc, exec, s[22:23]
	s_waitcnt vmcnt(0)
	v_pk_mov_b32 v[16:17], v[6:7], v[6:7] op_sel:[0,1]
	buffer_load_dword v133, off, s[0:3], 0 offset:100
	buffer_load_dword v132, off, s[0:3], 0 offset:96
	;; [unrolled: 1-line block ×24, first 2 shown]
	ds_read_b128 v[32:35], v80 offset:992
	ds_read_b128 v[28:31], v80 offset:1008
	;; [unrolled: 1-line block ×9, first 2 shown]
	buffer_load_dword v77, off, s[0:3], 0 offset:204
	buffer_load_dword v76, off, s[0:3], 0 offset:200
	;; [unrolled: 1-line block ×19, first 2 shown]
	v_accvgpr_write_b32 a183, v17
	s_waitcnt lgkmcnt(4)
	v_mul_f64 v[38:39], v[250:251], v[16:17]
	v_accvgpr_write_b32 a182, v16
	buffer_load_dword v114, off, s[0:3], 0 offset:256
	buffer_load_dword v17, off, s[0:3], 0 offset:252
	;; [unrolled: 1-line block ×61, first 2 shown]
	v_mul_f64 v[10:11], v[32:33], v[56:57]
	v_mul_f64 v[12:13], v[28:29], v[2:3]
	v_fmac_f64_e32 v[10:11], v[34:35], v[4:5]
	v_mul_f64 v[14:15], v[228:229], v[226:227]
	v_fmac_f64_e32 v[12:13], v[30:31], v[0:1]
	v_add_f64 v[10:11], v[10:11], 0
	v_add_f64 v[10:11], v[10:11], v[12:13]
	ds_read_b128 v[128:131], v80 offset:1136
	ds_read_b128 v[136:139], v80 offset:1152
	;; [unrolled: 1-line block ×13, first 2 shown]
	buffer_load_dword v191, off, s[0:3], 0 offset:524
	buffer_load_dword v195, off, s[0:3], 0 offset:508
	;; [unrolled: 1-line block ×8, first 2 shown]
	v_mul_f64 v[2:3], v[30:31], v[2:3]
	v_fma_f64 v[0:1], v[28:29], v[0:1], -v[2:3]
	v_accvgpr_write_b32 a231, v1
	v_accvgpr_write_b32 a230, v0
	s_waitcnt vmcnt(62)
	v_fmac_f64_e32 v[38:39], v[252:253], v[132:133]
	v_mul_f64 v[36:37], v[20:21], v[124:125]
	s_waitcnt lgkmcnt(14)
	v_mul_f64 v[46:47], v[40:41], v[24:25]
	v_fmac_f64_e32 v[46:47], v[42:43], v[134:135]
	v_mul_f64 v[44:45], v[116:117], v[240:241]
	v_mul_f64 v[48:49], v[66:67], v[244:245]
	v_fmac_f64_e32 v[14:15], v[230:231], v[8:9]
	v_add_f64 v[10:11], v[10:11], v[14:15]
	v_fmac_f64_e32 v[36:37], v[22:23], v[6:7]
	v_add_f64 v[10:11], v[10:11], v[36:37]
	;; [unrolled: 2-line block ×3, first 2 shown]
	v_add_f64 v[10:11], v[10:11], v[44:45]
	v_fmac_f64_e32 v[48:49], v[68:69], v[60:61]
	v_add_f64 v[10:11], v[10:11], v[46:47]
	v_add_f64 v[10:11], v[10:11], v[48:49]
	s_waitcnt lgkmcnt(13)
	v_mul_f64 v[12:13], v[52:53], v[222:223]
	v_fmac_f64_e32 v[12:13], v[54:55], v[70:71]
	v_add_f64 v[10:11], v[10:11], v[12:13]
	s_waitcnt lgkmcnt(12)
	v_mul_f64 v[12:13], v[128:129], v[92:93]
	v_fmac_f64_e32 v[12:13], v[130:131], v[94:95]
	;; [unrolled: 4-line block ×7, first 2 shown]
	v_add_f64 v[10:11], v[10:11], v[12:13]
	s_waitcnt vmcnt(58) lgkmcnt(6)
	v_mul_f64 v[12:13], v[186:187], v[148:149]
	s_waitcnt vmcnt(56)
	v_fmac_f64_e32 v[12:13], v[188:189], v[18:19]
	v_add_f64 v[10:11], v[10:11], v[12:13]
	s_waitcnt lgkmcnt(5)
	v_mul_f64 v[12:13], v[198:199], v[154:155]
	v_fmac_f64_e32 v[12:13], v[200:201], v[160:161]
	v_add_f64 v[10:11], v[10:11], v[12:13]
	s_waitcnt vmcnt(50) lgkmcnt(4)
	v_mul_f64 v[12:13], v[202:203], v[162:163]
	s_waitcnt vmcnt(48)
	v_fmac_f64_e32 v[12:13], v[204:205], v[164:165]
	v_add_f64 v[10:11], v[10:11], v[12:13]
	s_waitcnt lgkmcnt(3)
	v_mul_f64 v[12:13], v[206:207], v[166:167]
	v_fmac_f64_e32 v[12:13], v[208:209], v[168:169]
	;; [unrolled: 9-line block ×3, first 2 shown]
	v_add_f64 v[10:11], v[10:11], v[12:13]
	ds_read_b128 v[36:39], v80 offset:1344
	buffer_load_dword v13, off, s[0:3], 0 offset:540
	buffer_load_dword v12, off, s[0:3], 0 offset:536
	v_mul_f64 v[14:15], v[34:35], v[56:57]
	v_fma_f64 v[4:5], v[32:33], v[4:5], -v[14:15]
	v_accvgpr_write_b32 a229, v5
	v_accvgpr_write_b32 a228, v4
	v_mul_f64 v[16:17], v[176:177], v[16:17]
	v_fma_f64 v[238:239], v[174:175], v[238:239], -v[16:17]
	v_mul_f64 v[16:17], v[184:185], v[112:113]
	s_waitcnt vmcnt(0)
	v_pk_mov_b32 v[242:243], v[12:13], v[12:13] op_sel:[0,1]
	buffer_load_dword v13, off, s[0:3], 0 offset:532
	buffer_load_dword v12, off, s[0:3], 0 offset:528
	ds_read_b128 v[44:47], v80 offset:1360
	v_accvgpr_write_b32 a186, v242
	v_accvgpr_write_b32 a187, v243
	s_waitcnt vmcnt(0)
	v_pk_mov_b32 v[246:247], v[12:13], v[12:13] op_sel:[0,1]
	s_waitcnt lgkmcnt(2)
	v_mul_f64 v[12:13], v[218:219], v[180:181]
	v_fmac_f64_e32 v[12:13], v[220:221], v[178:179]
	v_add_f64 v[10:11], v[10:11], v[12:13]
	buffer_load_dword v13, off, s[0:3], 0 offset:556
	buffer_load_dword v12, off, s[0:3], 0 offset:552
	;; [unrolled: 1-line block ×12, first 2 shown]
	ds_read_b128 v[100:103], v80 offset:1376
	ds_read_b128 v[56:59], v80 offset:1392
	;; [unrolled: 1-line block ×3, first 2 shown]
	buffer_load_dword v1, off, s[0:3], 0 offset:604
	buffer_load_dword v0, off, s[0:3], 0 offset:600
	;; [unrolled: 1-line block ×4, first 2 shown]
	v_accvgpr_write_b32 a188, v246
	v_accvgpr_write_b32 a189, v247
	s_waitcnt vmcnt(9)
	v_accvgpr_write_b32 a207, v123
	v_accvgpr_write_b32 a206, v122
	s_waitcnt vmcnt(7)
	v_accvgpr_write_b32 a212, v248
	v_pk_mov_b32 v[254:255], v[12:13], v[12:13] op_sel:[0,1]
	s_waitcnt lgkmcnt(4)
	v_mul_f64 v[12:13], v[36:37], v[50:51]
	v_fmac_f64_e32 v[12:13], v[38:39], v[104:105]
	v_add_f64 v[10:11], v[10:11], v[12:13]
	s_waitcnt lgkmcnt(3)
	v_mul_f64 v[12:13], v[44:45], v[26:27]
	v_fmac_f64_e32 v[12:13], v[46:47], v[106:107]
	v_add_f64 v[4:5], v[10:11], v[12:13]
	ds_read_b128 v[12:15], v80 offset:1424
	s_waitcnt lgkmcnt(3)
	v_mul_f64 v[10:11], v[100:101], v[88:89]
	v_fmac_f64_e32 v[10:11], v[102:103], v[90:91]
	s_waitcnt vmcnt(2)
	v_pk_mov_b32 v[32:33], v[0:1], v[0:1] op_sel:[0,1]
	v_mul_f64 v[0:1], v[230:231], v[226:227]
	v_add_f64 v[4:5], v[4:5], v[10:11]
	s_waitcnt lgkmcnt(2)
	v_mul_f64 v[10:11], v[56:57], v[96:97]
	v_fma_f64 v[228:229], v[228:229], v[8:9], -v[0:1]
	v_mul_f64 v[0:1], v[22:23], v[124:125]
	v_fmac_f64_e32 v[10:11], v[58:59], v[98:99]
	v_fma_f64 v[230:231], v[20:21], v[6:7], -v[0:1]
	s_waitcnt lgkmcnt(1)
	v_mul_f64 v[0:1], v[62:63], v[78:79]
	v_add_f64 v[4:5], v[4:5], v[10:11]
	v_fmac_f64_e32 v[0:1], v[64:65], v[84:85]
	s_waitcnt lgkmcnt(0)
	v_mul_f64 v[2:3], v[12:13], v[82:83]
	v_add_f64 v[0:1], v[4:5], v[0:1]
	v_fmac_f64_e32 v[2:3], v[14:15], v[86:87]
	v_accvgpr_read_b32 v4, a182
	buffer_load_dword v227, off, s[0:3], 0 offset:620
	buffer_load_dword v226, off, s[0:3], 0 offset:616
	;; [unrolled: 1-line block ×6, first 2 shown]
	v_add_f64 v[20:21], v[0:1], v[2:3]
	ds_read_b128 v[0:3], v80 offset:1440
	v_accvgpr_read_b32 v5, a183
	v_mul_f64 v[4:5], v[252:253], v[4:5]
	v_fma_f64 v[132:133], v[250:251], v[132:133], -v[4:5]
	ds_read_b128 v[4:7], v80 offset:1456
	v_mul_f64 v[8:9], v[118:119], v[240:241]
	v_fma_f64 v[240:241], v[116:117], v[236:237], -v[8:9]
	ds_read_b128 v[8:11], v80 offset:1472
	ds_read_b128 v[28:31], v80 offset:1488
	s_waitcnt lgkmcnt(3)
	v_mul_f64 v[22:23], v[0:1], v[72:73]
	v_fmac_f64_e32 v[22:23], v[2:3], v[74:75]
	v_add_f64 v[20:21], v[20:21], v[22:23]
	s_waitcnt lgkmcnt(2)
	v_mul_f64 v[22:23], v[4:5], v[194:195]
	v_fmac_f64_e32 v[22:23], v[6:7], v[196:197]
	v_add_f64 v[20:21], v[20:21], v[22:23]
	;; [unrolled: 4-line block ×3, first 2 shown]
	v_mul_f64 v[22:23], v[42:43], v[24:25]
	v_fma_f64 v[236:237], v[40:41], v[134:135], -v[22:23]
	ds_read_b128 v[40:43], v80 offset:1504
	v_mul_f64 v[24:25], v[68:69], v[244:245]
	s_waitcnt lgkmcnt(1)
	v_accvgpr_write_b32 a185, v31
	v_fma_f64 v[34:35], v[66:67], v[60:61], -v[24:25]
	buffer_load_dword v25, off, s[0:3], 0 offset:628
	buffer_load_dword v24, off, s[0:3], 0 offset:624
	ds_read_b128 v[66:69], v80 offset:1520
	v_mul_f64 v[22:23], v[28:29], v[242:243]
	v_accvgpr_write_b32 a184, v30
	v_accvgpr_write_b32 a183, v29
	;; [unrolled: 1-line block ×3, first 2 shown]
	v_mul_f64 v[28:29], v[54:55], v[222:223]
	v_fmac_f64_e32 v[22:23], v[30:31], v[246:247]
	v_fma_f64 v[222:223], v[52:53], v[70:71], -v[28:29]
	ds_read_b128 v[28:31], v80 offset:1536
	v_add_f64 v[20:21], v[20:21], v[22:23]
	s_waitcnt lgkmcnt(2)
	v_mul_f64 v[22:23], v[40:41], v[254:255]
	v_fmac_f64_e32 v[22:23], v[42:43], v[120:121]
	v_add_f64 v[20:21], v[20:21], v[22:23]
	s_waitcnt lgkmcnt(1)
	v_mul_f64 v[22:23], v[66:67], v[122:123]
	v_fmac_f64_e32 v[22:23], v[68:69], v[248:249]
	;; [unrolled: 4-line block ×3, first 2 shown]
	v_accvgpr_write_b32 a205, v31
	v_accvgpr_write_b32 a204, v30
	v_accvgpr_write_b32 a203, v29
	v_accvgpr_write_b32 a202, v28
	v_accvgpr_write_b32 a211, v49
	v_add_f64 v[28:29], v[20:21], v[22:23]
	v_mul_f64 v[20:21], v[130:131], v[92:93]
	v_accvgpr_write_b32 a210, v48
	ds_read_b128 v[250:253], v80 offset:1552
	v_fma_f64 v[48:49], v[128:129], v[94:95], -v[20:21]
	buffer_load_dword v21, off, s[0:3], 0 offset:652
	buffer_load_dword v20, off, s[0:3], 0 offset:648
	v_accvgpr_write_b32 a194, v254
	v_mul_f64 v[22:23], v[138:139], v[76:77]
	v_accvgpr_write_b32 a195, v255
	v_mul_f64 v[30:31], v[152:153], v[144:145]
	v_fma_f64 v[150:151], v[150:151], v[146:147], -v[30:31]
	s_waitcnt lgkmcnt(0)
	v_mul_f64 v[30:31], v[250:251], v[32:33]
	s_waitcnt vmcnt(10)
	v_fmac_f64_e32 v[30:31], v[252:253], v[224:225]
	v_add_f64 v[28:29], v[28:29], v[30:31]
	v_mul_f64 v[30:31], v[158:159], v[140:141]
	v_fma_f64 v[140:141], v[156:157], v[142:143], -v[30:31]
	v_accvgpr_write_b32 a215, v33
	v_accvgpr_write_b32 a214, v32
	v_mul_f64 v[32:33], v[188:189], v[148:149]
	v_accvgpr_write_b32 a201, v69
	v_accvgpr_write_b32 a200, v68
	;; [unrolled: 1-line block ×5, first 2 shown]
	v_mul_f64 v[52:53], v[208:209], v[166:167]
	v_accvgpr_write_b32 a196, v120
	v_accvgpr_write_b32 a193, v43
	s_waitcnt vmcnt(8)
	v_accvgpr_write_b32 a218, v226
	v_accvgpr_write_b32 a219, v227
	;; [unrolled: 1-line block ×5, first 2 shown]
	v_mul_f64 v[46:47], v[46:47], v[26:27]
	v_mul_f64 v[38:39], v[38:39], v[50:51]
	v_mul_f64 v[58:59], v[58:59], v[96:97]
	s_waitcnt vmcnt(4)
	v_accvgpr_write_b32 a223, v125
	v_accvgpr_write_b32 a222, v124
	v_mul_f64 v[2:3], v[2:3], v[72:73]
	v_mul_f64 v[14:15], v[14:15], v[82:83]
	v_fma_f64 v[82:83], v[0:1], v[74:75], -v[2:3]
	v_fma_f64 v[12:13], v[12:13], v[86:87], -v[14:15]
	v_accvgpr_write_b32 a220, v232
	v_accvgpr_write_b32 a221, v233
	;; [unrolled: 1-line block ×3, first 2 shown]
	v_mul_f64 v[50:51], v[102:103], v[88:89]
	v_accvgpr_write_b32 a208, v126
	v_fma_f64 v[126:127], v[100:101], v[90:91], -v[50:51]
	v_accvgpr_read_b32 v26, a228
	v_accvgpr_write_b32 a216, v224
	v_accvgpr_read_b32 v27, a229
	v_accvgpr_write_b32 a217, v225
	v_add_f64 v[224:225], v[26:27], 0
	v_accvgpr_read_b32 v26, a230
	v_accvgpr_read_b32 v27, a231
	v_add_f64 v[224:225], v[224:225], v[26:27]
	v_add_f64 v[224:225], v[224:225], v[228:229]
	s_waitcnt vmcnt(2)
	v_pk_mov_b32 v[60:61], v[24:25], v[24:25] op_sel:[0,1]
	v_fma_f64 v[24:25], v[136:137], v[234:235], -v[22:23]
	v_fma_f64 v[234:235], v[206:207], v[168:169], -v[52:53]
	v_mul_f64 v[52:53], v[212:213], v[170:171]
	v_fma_f64 v[92:93], v[210:211], v[172:173], -v[52:53]
	v_accvgpr_write_b32 a225, v61
	v_accvgpr_write_b32 a224, v60
	v_add_f64 v[224:225], v[224:225], v[230:231]
	v_add_f64 v[224:225], v[224:225], v[132:133]
	;; [unrolled: 1-line block ×11, first 2 shown]
	v_accvgpr_write_b32 a213, v249
	s_waitcnt vmcnt(0)
	v_pk_mov_b32 v[54:55], v[20:21], v[20:21] op_sel:[0,1]
	buffer_load_dword v255, off, s[0:3], 0 offset:644
	buffer_load_dword v254, off, s[0:3], 0 offset:640
	buffer_load_dword v20, off, s[0:3], 0 offset:680
	buffer_load_dword v22, off, s[0:3], 0 offset:672
	buffer_load_dword v243, off, s[0:3], 0 offset:668
	buffer_load_dword v242, off, s[0:3], 0 offset:664
	buffer_load_dword v139, off, s[0:3], 0 offset:660
	buffer_load_dword v138, off, s[0:3], 0 offset:656
	buffer_load_dword v21, off, s[0:3], 0 offset:684
	buffer_load_dword v23, off, s[0:3], 0 offset:676
	ds_read_b128 v[134:137], v80 offset:1568
	ds_read_b128 v[244:247], v80 offset:1584
	;; [unrolled: 1-line block ×3, first 2 shown]
	v_accvgpr_write_b32 a227, v55
	v_accvgpr_write_b32 a226, v54
	s_waitcnt lgkmcnt(2)
	v_mul_f64 v[30:31], v[134:135], v[226:227]
	buffer_load_dword v227, off, s[0:3], 0 offset:700
	buffer_load_dword v226, off, s[0:3], 0 offset:696
	;; [unrolled: 1-line block ×16, first 2 shown]
	v_fmac_f64_e32 v[30:31], v[136:137], v[232:233]
	s_waitcnt lgkmcnt(1)
	v_mul_f64 v[42:43], v[244:245], v[124:125]
	v_add_f64 v[40:41], v[28:29], v[30:31]
	v_fmac_f64_e32 v[42:43], v[246:247], v[60:61]
	v_add_f64 v[40:41], v[40:41], v[42:43]
	v_mul_f64 v[42:43], v[216:217], v[108:109]
	v_fma_f64 v[94:95], v[214:215], v[110:111], -v[42:43]
	v_mul_f64 v[42:43], v[220:221], v[180:181]
	v_fma_f64 v[214:215], v[218:219], v[178:179], -v[42:43]
	s_waitcnt lgkmcnt(0)
	v_mul_f64 v[42:43], v[128:129], v[54:55]
	v_fma_f64 v[220:221], v[36:37], v[104:105], -v[38:39]
	s_waitcnt vmcnt(24)
	v_fmac_f64_e32 v[42:43], v[130:131], v[254:255]
	v_add_f64 v[40:41], v[40:41], v[42:43]
	s_waitcnt vmcnt(17)
	v_pk_mov_b32 v[66:67], v[20:21], v[20:21] op_sel:[0,1]
	v_fma_f64 v[20:21], v[186:187], v[18:19], -v[32:33]
	v_mul_f64 v[32:33], v[200:201], v[154:155]
	v_fma_f64 v[68:69], v[198:199], v[160:161], -v[32:33]
	buffer_load_dword v154, off, s[0:3], 0 offset:776
	v_mul_f64 v[32:33], v[204:205], v[162:163]
	v_fma_f64 v[70:71], v[202:203], v[164:165], -v[32:33]
	buffer_load_dword v163, off, s[0:3], 0 offset:764
	buffer_load_dword v162, off, s[0:3], 0 offset:760
	;; [unrolled: 1-line block ×7, first 2 shown]
	ds_read_b128 v[120:123], v80 offset:1616
	buffer_load_dword v167, off, s[0:3], 0 offset:796
	buffer_load_dword v166, off, s[0:3], 0 offset:792
	;; [unrolled: 1-line block ×12, first 2 shown]
	s_waitcnt vmcnt(36)
	v_pk_mov_b32 v[76:77], v[22:23], v[22:23] op_sel:[0,1]
	v_fma_f64 v[22:23], v[182:183], v[114:115], -v[16:17]
	buffer_load_dword v181, off, s[0:3], 0 offset:844
	buffer_load_dword v180, off, s[0:3], 0 offset:840
	;; [unrolled: 1-line block ×12, first 2 shown]
	ds_read_b128 v[116:119], v80 offset:1632
	s_waitcnt lgkmcnt(1)
	v_mul_f64 v[42:43], v[120:121], v[242:243]
	v_fmac_f64_e32 v[42:43], v[122:123], v[138:139]
	v_add_f64 v[40:41], v[40:41], v[42:43]
	v_fma_f64 v[18:19], v[44:45], v[106:107], -v[46:47]
	ds_read_b128 v[44:47], v80 offset:1664
	s_waitcnt lgkmcnt(1)
	v_mul_f64 v[42:43], v[116:117], v[66:67]
	v_fmac_f64_e32 v[42:43], v[118:119], v[76:77]
	v_add_f64 v[52:53], v[40:41], v[42:43]
	ds_read_b128 v[40:43], v80 offset:1648
	ds_read_b128 v[36:39], v80 offset:1680
	v_fma_f64 v[16:17], v[56:57], v[98:99], -v[58:59]
	ds_read_b128 v[56:59], v80 offset:1712
	v_pk_mov_b32 v[124:125], v[66:67], v[66:67] op_sel:[0,1]
	s_waitcnt vmcnt(46) lgkmcnt(2)
	v_mul_f64 v[54:55], v[40:41], v[226:227]
	s_waitcnt vmcnt(44)
	v_fmac_f64_e32 v[54:55], v[42:43], v[146:147]
	v_add_f64 v[52:53], v[52:53], v[54:55]
	s_waitcnt vmcnt(42)
	v_mul_f64 v[54:55], v[44:45], v[144:145]
	s_waitcnt vmcnt(40)
	v_fmac_f64_e32 v[54:55], v[46:47], v[152:153]
	v_add_f64 v[60:61], v[52:53], v[54:55]
	ds_read_b128 v[52:55], v80 offset:1696
	s_waitcnt vmcnt(35) lgkmcnt(2)
	v_mul_f64 v[32:33], v[36:37], v[156:157]
	s_waitcnt vmcnt(33)
	v_fmac_f64_e32 v[32:33], v[38:39], v[158:159]
	v_add_f64 v[32:33], v[60:61], v[32:33]
	v_mul_f64 v[60:61], v[64:65], v[78:79]
	v_fma_f64 v[198:199], v[62:63], v[84:85], -v[60:61]
	ds_read_b128 v[60:63], v80 offset:1728
	ds_read_b128 v[28:31], v80 offset:1760
	s_waitcnt lgkmcnt(2)
	v_mul_f64 v[66:67], v[52:53], v[142:143]
	s_waitcnt vmcnt(32)
	v_fmac_f64_e32 v[66:67], v[54:55], v[148:149]
	v_add_f64 v[32:33], v[32:33], v[66:67]
	ds_read_b128 v[72:75], v80 offset:1776
	v_pk_mov_b32 v[232:233], v[76:77], v[76:77] op_sel:[0,1]
	ds_read_b128 v[76:79], v80 offset:1792
	ds_read_b128 v[84:87], v80 offset:1824
	v_add_f64 v[22:23], v[24:25], v[22:23]
	v_add_f64 v[20:21], v[22:23], v[20:21]
	;; [unrolled: 1-line block ×15, first 2 shown]
	v_accvgpr_read_b32 v18, a182
	v_accvgpr_read_b32 v20, a184
	;; [unrolled: 1-line block ×4, first 2 shown]
	s_waitcnt vmcnt(29)
	v_mul_f64 v[64:65], v[56:57], v[162:163]
	s_waitcnt vmcnt(27)
	v_fmac_f64_e32 v[64:65], v[58:59], v[164:165]
	v_add_f64 v[32:33], v[32:33], v[64:65]
	s_waitcnt vmcnt(25) lgkmcnt(4)
	v_mul_f64 v[64:65], v[60:61], v[154:155]
	s_waitcnt vmcnt(24)
	v_fmac_f64_e32 v[64:65], v[62:63], v[160:161]
	v_add_f64 v[32:33], v[32:33], v[64:65]
	ds_read_b128 v[64:67], v80 offset:1744
	s_waitcnt vmcnt(18) lgkmcnt(4)
	v_mul_f64 v[2:3], v[28:29], v[170:171]
	s_waitcnt vmcnt(16)
	v_fmac_f64_e32 v[2:3], v[30:31], v[174:175]
	s_waitcnt lgkmcnt(0)
	v_mul_f64 v[14:15], v[64:65], v[166:167]
	v_fmac_f64_e32 v[14:15], v[66:67], v[168:169]
	v_add_f64 v[0:1], v[32:33], v[14:15]
	v_add_f64 v[0:1], v[0:1], v[2:3]
	s_waitcnt vmcnt(14)
	v_mul_f64 v[2:3], v[72:73], v[172:173]
	s_waitcnt vmcnt(12)
	v_fmac_f64_e32 v[2:3], v[74:75], v[176:177]
	v_add_f64 v[32:33], v[0:1], v[2:3]
	v_mul_f64 v[0:1], v[6:7], v[194:195]
	v_fma_f64 v[14:15], v[4:5], v[196:197], -v[0:1]
	v_mul_f64 v[0:1], v[10:11], v[190:191]
	ds_read_b128 v[2:5], v80 offset:1808
	v_fma_f64 v[0:1], v[8:9], v[192:193], -v[0:1]
	buffer_load_dword v191, off, s[0:3], 0 offset:892
	buffer_load_dword v190, off, s[0:3], 0 offset:888
	;; [unrolled: 1-line block ×4, first 2 shown]
	ds_read_b128 v[88:91], v80 offset:1840
	buffer_load_dword v194, off, s[0:3], 0 offset:904
	buffer_load_dword v195, off, s[0:3], 0 offset:908
	;; [unrolled: 1-line block ×4, first 2 shown]
	s_waitcnt vmcnt(18)
	v_mul_f64 v[6:7], v[76:77], v[180:181]
	s_waitcnt vmcnt(16)
	v_fmac_f64_e32 v[6:7], v[78:79], v[182:183]
	s_waitcnt vmcnt(13) lgkmcnt(1)
	v_mul_f64 v[8:9], v[2:3], v[186:187]
	v_add_f64 v[6:7], v[32:33], v[6:7]
	s_waitcnt vmcnt(11)
	v_fmac_f64_e32 v[8:9], v[4:5], v[188:189]
	v_add_f64 v[6:7], v[6:7], v[8:9]
	s_waitcnt vmcnt(9)
	v_mul_f64 v[8:9], v[84:85], v[178:179]
	s_waitcnt vmcnt(8)
	v_fmac_f64_e32 v[8:9], v[86:87], v[184:185]
	v_add_f64 v[6:7], v[6:7], v[8:9]
	v_add_f64 v[12:13], v[228:229], v[14:15]
	;; [unrolled: 1-line block ×3, first 2 shown]
	v_accvgpr_read_b32 v12, a186
	v_accvgpr_read_b32 v13, a187
	v_accvgpr_read_b32 v14, a188
	v_mul_f64 v[12:13], v[20:21], v[12:13]
	v_accvgpr_read_b32 v15, a189
	v_fma_f64 v[12:13], v[18:19], v[14:15], -v[12:13]
	v_add_f64 v[0:1], v[0:1], v[12:13]
	v_accvgpr_read_b32 v18, a190
	v_accvgpr_read_b32 v12, a194
	v_accvgpr_read_b32 v20, a192
	v_accvgpr_read_b32 v21, a193
	v_accvgpr_read_b32 v13, a195
	v_accvgpr_read_b32 v14, a196
	v_accvgpr_read_b32 v19, a191
	v_mul_f64 v[12:13], v[20:21], v[12:13]
	v_accvgpr_read_b32 v15, a197
	v_fma_f64 v[12:13], v[18:19], v[14:15], -v[12:13]
	v_add_f64 v[0:1], v[0:1], v[12:13]
	v_accvgpr_read_b32 v18, a198
	v_accvgpr_read_b32 v12, a206
	v_accvgpr_read_b32 v20, a200
	v_accvgpr_read_b32 v21, a201
	;; [unrolled: 11-line block ×3, first 2 shown]
	v_accvgpr_read_b32 v13, a209
	v_accvgpr_read_b32 v14, a210
	v_accvgpr_read_b32 v19, a203
	v_mul_f64 v[12:13], v[20:21], v[12:13]
	v_accvgpr_read_b32 v15, a211
	v_fma_f64 v[12:13], v[18:19], v[14:15], -v[12:13]
	v_add_f64 v[0:1], v[0:1], v[12:13]
	v_accvgpr_read_b32 v12, a214
	v_accvgpr_read_b32 v13, a215
	v_accvgpr_read_b32 v14, a216
	v_mul_f64 v[12:13], v[252:253], v[12:13]
	v_accvgpr_read_b32 v15, a217
	v_fma_f64 v[12:13], v[250:251], v[14:15], -v[12:13]
	v_add_f64 v[0:1], v[0:1], v[12:13]
	;; [unrolled: 7-line block ×4, first 2 shown]
	v_accvgpr_read_b32 v12, a226
	v_accvgpr_read_b32 v13, a227
	v_mul_f64 v[12:13], v[130:131], v[12:13]
	s_waitcnt vmcnt(6) lgkmcnt(0)
	v_mul_f64 v[8:9], v[88:89], v[190:191]
	v_fma_f64 v[12:13], v[128:129], v[254:255], -v[12:13]
	s_waitcnt vmcnt(4)
	v_fmac_f64_e32 v[8:9], v[90:91], v[192:193]
	v_add_f64 v[10:11], v[6:7], v[8:9]
	ds_read_b128 v[6:9], v80 offset:1856
	v_add_f64 v[0:1], v[0:1], v[12:13]
	v_mul_f64 v[12:13], v[122:123], v[242:243]
	v_fma_f64 v[12:13], v[120:121], v[138:139], -v[12:13]
	v_add_f64 v[0:1], v[0:1], v[12:13]
	s_waitcnt vmcnt(2) lgkmcnt(0)
	v_mul_f64 v[32:33], v[6:7], v[194:195]
	s_waitcnt vmcnt(0)
	v_fmac_f64_e32 v[32:33], v[8:9], v[196:197]
	v_add_f64 v[10:11], v[10:11], v[32:33]
	buffer_load_dword v33, off, s[0:3], 0 offset:924
	buffer_load_dword v32, off, s[0:3], 0 offset:920
	;; [unrolled: 1-line block ×4, first 2 shown]
	ds_read_b128 v[96:99], v80 offset:1872
	buffer_load_dword v202, off, s[0:3], 0 offset:936
	buffer_load_dword v203, off, s[0:3], 0 offset:940
	;; [unrolled: 1-line block ×4, first 2 shown]
	v_mul_f64 v[12:13], v[118:119], v[124:125]
	v_fma_f64 v[12:13], v[116:117], v[232:233], -v[12:13]
	v_add_f64 v[0:1], v[0:1], v[12:13]
	v_mul_f64 v[12:13], v[42:43], v[226:227]
	v_fma_f64 v[12:13], v[40:41], v[146:147], -v[12:13]
	v_add_f64 v[0:1], v[0:1], v[12:13]
	;; [unrolled: 3-line block ×10, first 2 shown]
	v_mul_f64 v[12:13], v[78:79], v[180:181]
	v_fma_f64 v[12:13], v[76:77], v[182:183], -v[12:13]
	v_mul_f64 v[4:5], v[4:5], v[186:187]
	v_add_f64 v[0:1], v[0:1], v[12:13]
	v_fma_f64 v[2:3], v[2:3], v[188:189], -v[4:5]
	v_add_f64 v[0:1], v[0:1], v[2:3]
	v_mul_f64 v[2:3], v[86:87], v[178:179]
	v_fma_f64 v[2:3], v[84:85], v[184:185], -v[2:3]
	v_add_f64 v[0:1], v[0:1], v[2:3]
	v_mul_f64 v[2:3], v[90:91], v[190:191]
	;; [unrolled: 3-line block ×3, first 2 shown]
	v_fma_f64 v[2:3], v[6:7], v[196:197], -v[2:3]
	v_add_f64 v[0:1], v[0:1], v[2:3]
	s_waitcnt vmcnt(6) lgkmcnt(0)
	v_mul_f64 v[100:101], v[96:97], v[32:33]
	v_mul_f64 v[2:3], v[98:99], v[32:33]
	s_waitcnt vmcnt(4)
	v_fmac_f64_e32 v[100:101], v[98:99], v[200:201]
	v_add_f64 v[10:11], v[10:11], v[100:101]
	ds_read_b128 v[100:103], v80 offset:1888
	buffer_load_dword v207, off, s[0:3], 0 offset:956
	buffer_load_dword v206, off, s[0:3], 0 offset:952
	;; [unrolled: 1-line block ×4, first 2 shown]
	v_fma_f64 v[2:3], v[96:97], v[200:201], -v[2:3]
	v_add_f64 v[0:1], v[0:1], v[2:3]
	s_waitcnt vmcnt(6) lgkmcnt(0)
	v_mul_f64 v[104:105], v[100:101], v[202:203]
	s_waitcnt vmcnt(4)
	v_fmac_f64_e32 v[104:105], v[102:103], v[204:205]
	v_add_f64 v[10:11], v[10:11], v[104:105]
	ds_read_b128 v[104:107], v80 offset:1904
	buffer_load_dword v210, off, s[0:3], 0 offset:968
	buffer_load_dword v211, off, s[0:3], 0 offset:972
	;; [unrolled: 1-line block ×4, first 2 shown]
	v_mul_f64 v[2:3], v[102:103], v[202:203]
	v_fma_f64 v[2:3], v[100:101], v[204:205], -v[2:3]
	v_add_f64 v[0:1], v[0:1], v[2:3]
	s_waitcnt vmcnt(6) lgkmcnt(0)
	v_mul_f64 v[108:109], v[104:105], v[206:207]
	v_mul_f64 v[2:3], v[106:107], v[206:207]
	s_waitcnt vmcnt(4)
	v_fmac_f64_e32 v[108:109], v[106:107], v[208:209]
	v_add_f64 v[10:11], v[10:11], v[108:109]
	ds_read_b128 v[108:111], v80 offset:1920
	buffer_load_dword v217, off, s[0:3], 0 offset:988
	buffer_load_dword v216, off, s[0:3], 0 offset:984
	;; [unrolled: 1-line block ×4, first 2 shown]
	v_fma_f64 v[2:3], v[104:105], v[208:209], -v[2:3]
	v_add_f64 v[0:1], v[0:1], v[2:3]
	s_waitcnt vmcnt(6) lgkmcnt(0)
	v_mul_f64 v[112:113], v[108:109], v[210:211]
	s_waitcnt vmcnt(4)
	v_fmac_f64_e32 v[112:113], v[110:111], v[212:213]
	v_add_f64 v[10:11], v[10:11], v[112:113]
	ds_read_b128 v[112:115], v80 offset:1936
	buffer_load_dword v16, off, s[0:3], 0 offset:16
	buffer_load_dword v17, off, s[0:3], 0 offset:20
	;; [unrolled: 1-line block ×4, first 2 shown]
	v_mul_f64 v[2:3], v[110:111], v[210:211]
	v_fma_f64 v[2:3], v[108:109], v[212:213], -v[2:3]
	v_add_f64 v[0:1], v[0:1], v[2:3]
	s_waitcnt vmcnt(6) lgkmcnt(0)
	v_mul_f64 v[2:3], v[114:115], v[216:217]
	v_mul_f64 v[248:249], v[112:113], v[216:217]
	s_waitcnt vmcnt(4)
	v_fma_f64 v[2:3], v[112:113], v[218:219], -v[2:3]
	v_fmac_f64_e32 v[248:249], v[114:115], v[218:219]
	v_add_f64 v[0:1], v[0:1], v[2:3]
	v_add_f64 v[10:11], v[10:11], v[248:249]
	s_waitcnt vmcnt(2)
	v_add_f64 v[0:1], v[16:17], -v[0:1]
	s_waitcnt vmcnt(0)
	v_add_f64 v[2:3], v[224:225], -v[10:11]
	buffer_store_dword v1, off, s[0:3], 0 offset:20
	buffer_store_dword v0, off, s[0:3], 0 offset:16
	;; [unrolled: 1-line block ×4, first 2 shown]
	s_cbranch_vccz .LBB60_513
; %bb.392:
	v_pk_mov_b32 v[0:1], s[20:21], s[20:21] op_sel:[0,1]
	flat_load_dword v0, v[0:1] offset:236
	s_waitcnt vmcnt(0) lgkmcnt(0)
	v_add_u32_e32 v0, -1, v0
	v_cmp_ne_u32_e32 vcc, 59, v0
	s_and_saveexec_b64 s[4:5], vcc
	s_cbranch_execz .LBB60_394
; %bb.393:
	v_mov_b32_e32 v1, 16
	v_accvgpr_read_b32 v9, a123
	v_lshl_add_u32 v0, v0, 4, v1
	buffer_load_dword v1, v9, s[0:3], 0 offen offset:4
	buffer_load_dword v2, v9, s[0:3], 0 offen offset:8
	buffer_load_dword v3, v9, s[0:3], 0 offen offset:12
	buffer_load_dword v4, v0, s[0:3], 0 offen
	buffer_load_dword v5, v0, s[0:3], 0 offen offset:4
	buffer_load_dword v6, v0, s[0:3], 0 offen offset:8
	buffer_load_dword v7, v0, s[0:3], 0 offen offset:12
	buffer_load_dword v8, v9, s[0:3], 0 offen
	s_waitcnt vmcnt(4)
	buffer_store_dword v4, v9, s[0:3], 0 offen
	s_waitcnt vmcnt(4)
	buffer_store_dword v5, v9, s[0:3], 0 offen offset:4
	s_waitcnt vmcnt(4)
	buffer_store_dword v6, v9, s[0:3], 0 offen offset:8
	s_waitcnt vmcnt(4)
	buffer_store_dword v7, v9, s[0:3], 0 offen offset:12
	buffer_store_dword v3, v0, s[0:3], 0 offen offset:12
	buffer_store_dword v2, v0, s[0:3], 0 offen offset:8
	buffer_store_dword v1, v0, s[0:3], 0 offen offset:4
	s_waitcnt vmcnt(7)
	buffer_store_dword v8, v0, s[0:3], 0 offen
.LBB60_394:
	s_or_b64 exec, exec, s[4:5]
	v_pk_mov_b32 v[0:1], s[20:21], s[20:21] op_sel:[0,1]
	flat_load_dword v0, v[0:1] offset:232
	s_waitcnt vmcnt(0) lgkmcnt(0)
	v_add_u32_e32 v0, -1, v0
	v_cmp_ne_u32_e32 vcc, 58, v0
	s_and_saveexec_b64 s[4:5], vcc
	s_cbranch_execz .LBB60_396
; %bb.395:
	v_mov_b32_e32 v1, 16
	v_accvgpr_read_b32 v9, a124
	v_lshl_add_u32 v0, v0, 4, v1
	buffer_load_dword v1, v9, s[0:3], 0 offen offset:4
	buffer_load_dword v2, v9, s[0:3], 0 offen offset:8
	buffer_load_dword v3, v9, s[0:3], 0 offen offset:12
	buffer_load_dword v4, v0, s[0:3], 0 offen
	buffer_load_dword v5, v0, s[0:3], 0 offen offset:4
	buffer_load_dword v6, v0, s[0:3], 0 offen offset:8
	buffer_load_dword v7, v0, s[0:3], 0 offen offset:12
	buffer_load_dword v8, v9, s[0:3], 0 offen
	s_waitcnt vmcnt(4)
	buffer_store_dword v4, v9, s[0:3], 0 offen
	s_waitcnt vmcnt(4)
	buffer_store_dword v5, v9, s[0:3], 0 offen offset:4
	s_waitcnt vmcnt(4)
	buffer_store_dword v6, v9, s[0:3], 0 offen offset:8
	s_waitcnt vmcnt(4)
	buffer_store_dword v7, v9, s[0:3], 0 offen offset:12
	buffer_store_dword v3, v0, s[0:3], 0 offen offset:12
	buffer_store_dword v2, v0, s[0:3], 0 offen offset:8
	buffer_store_dword v1, v0, s[0:3], 0 offen offset:4
	s_waitcnt vmcnt(7)
	buffer_store_dword v8, v0, s[0:3], 0 offen
.LBB60_396:
	s_or_b64 exec, exec, s[4:5]
	;; [unrolled: 34-line block ×59, first 2 shown]
	v_pk_mov_b32 v[0:1], s[20:21], s[20:21] op_sel:[0,1]
	flat_load_dword v0, v[0:1]
	s_waitcnt vmcnt(0) lgkmcnt(0)
	v_add_u32_e32 v0, -1, v0
	v_cmp_ne_u32_e32 vcc, 0, v0
	s_and_saveexec_b64 s[4:5], vcc
	s_cbranch_execz .LBB60_512
; %bb.511:
	v_mov_b32_e32 v1, 16
	v_lshl_add_u32 v0, v0, 4, v1
	buffer_load_dword v1, v0, s[0:3], 0 offen
	buffer_load_dword v2, v0, s[0:3], 0 offen offset:4
	buffer_load_dword v3, v0, s[0:3], 0 offen offset:8
	;; [unrolled: 1-line block ×3, first 2 shown]
	buffer_load_dword v5, off, s[0:3], 0 offset:28
	buffer_load_dword v6, off, s[0:3], 0 offset:24
	buffer_load_dword v7, off, s[0:3], 0 offset:20
	buffer_load_dword v8, off, s[0:3], 0 offset:16
	s_waitcnt vmcnt(7)
	buffer_store_dword v1, off, s[0:3], 0 offset:16
	s_waitcnt vmcnt(7)
	buffer_store_dword v2, off, s[0:3], 0 offset:20
	;; [unrolled: 2-line block ×4, first 2 shown]
	s_waitcnt vmcnt(7)
	buffer_store_dword v5, v0, s[0:3], 0 offen offset:12
	s_waitcnt vmcnt(7)
	buffer_store_dword v6, v0, s[0:3], 0 offen offset:8
	s_waitcnt vmcnt(7)
	buffer_store_dword v7, v0, s[0:3], 0 offen offset:4
	s_waitcnt vmcnt(7)
	buffer_store_dword v8, v0, s[0:3], 0 offen
.LBB60_512:
	s_or_b64 exec, exec, s[4:5]
.LBB60_513:
	buffer_load_dword v0, off, s[0:3], 0 offset:16
	buffer_load_dword v1, off, s[0:3], 0 offset:20
	;; [unrolled: 1-line block ×4, first 2 shown]
	v_accvgpr_read_b32 v4, a32
	v_accvgpr_read_b32 v5, a33
	s_waitcnt vmcnt(0)
	global_store_dwordx4 v[4:5], v[0:3], off
	s_nop 0
	v_accvgpr_read_b32 v3, a181
	buffer_load_dword v0, v3, s[0:3], 0 offen
	buffer_load_dword v1, v3, s[0:3], 0 offen offset:4
	buffer_load_dword v2, v3, s[0:3], 0 offen offset:8
	s_nop 0
	buffer_load_dword v3, v3, s[0:3], 0 offen offset:12
	v_accvgpr_read_b32 v4, a28
	v_accvgpr_read_b32 v5, a29
	s_waitcnt vmcnt(0)
	global_store_dwordx4 v[4:5], v[0:3], off
	s_nop 0
	v_accvgpr_read_b32 v3, a180
	buffer_load_dword v0, v3, s[0:3], 0 offen
	buffer_load_dword v1, v3, s[0:3], 0 offen offset:4
	buffer_load_dword v2, v3, s[0:3], 0 offen offset:8
	s_nop 0
	buffer_load_dword v3, v3, s[0:3], 0 offen offset:12
	;; [unrolled: 11-line block ×19, first 2 shown]
	v_accvgpr_read_b32 v4, a38
	v_accvgpr_read_b32 v5, a39
	s_waitcnt vmcnt(0)
	global_store_dwordx4 v[4:5], v[0:3], off
	v_accvgpr_read_b32 v4, a162
	buffer_load_dword v0, v4, s[0:3], 0 offen
	buffer_load_dword v1, v4, s[0:3], 0 offen offset:4
	buffer_load_dword v2, v4, s[0:3], 0 offen offset:8
	buffer_load_dword v3, v4, s[0:3], 0 offen offset:12
	v_accvgpr_read_b32 v4, a40
	v_accvgpr_read_b32 v5, a41
	s_waitcnt vmcnt(0)
	global_store_dwordx4 v[4:5], v[0:3], off
	v_accvgpr_read_b32 v4, a161
	buffer_load_dword v0, v4, s[0:3], 0 offen
	buffer_load_dword v1, v4, s[0:3], 0 offen offset:4
	buffer_load_dword v2, v4, s[0:3], 0 offen offset:8
	buffer_load_dword v3, v4, s[0:3], 0 offen offset:12
	;; [unrolled: 9-line block ×41, first 2 shown]
	v_accvgpr_read_b32 v4, a82
	v_accvgpr_read_b32 v5, a83
	s_waitcnt vmcnt(0)
	global_store_dwordx4 v[4:5], v[0:3], off
	s_endpgm
	.section	.rodata,"a",@progbits
	.p2align	6, 0x0
	.amdhsa_kernel _ZN9rocsolver6v33100L18getri_kernel_smallILi61E19rocblas_complex_numIdEPS3_EEvT1_iilPiilS6_bb
		.amdhsa_group_segment_fixed_size 1960
		.amdhsa_private_segment_fixed_size 1008
		.amdhsa_kernarg_size 60
		.amdhsa_user_sgpr_count 8
		.amdhsa_user_sgpr_private_segment_buffer 1
		.amdhsa_user_sgpr_dispatch_ptr 0
		.amdhsa_user_sgpr_queue_ptr 0
		.amdhsa_user_sgpr_kernarg_segment_ptr 1
		.amdhsa_user_sgpr_dispatch_id 0
		.amdhsa_user_sgpr_flat_scratch_init 1
		.amdhsa_user_sgpr_kernarg_preload_length 0
		.amdhsa_user_sgpr_kernarg_preload_offset 0
		.amdhsa_user_sgpr_private_segment_size 0
		.amdhsa_uses_dynamic_stack 0
		.amdhsa_system_sgpr_private_segment_wavefront_offset 1
		.amdhsa_system_sgpr_workgroup_id_x 1
		.amdhsa_system_sgpr_workgroup_id_y 0
		.amdhsa_system_sgpr_workgroup_id_z 0
		.amdhsa_system_sgpr_workgroup_info 0
		.amdhsa_system_vgpr_workitem_id 0
		.amdhsa_next_free_vgpr 489
		.amdhsa_next_free_sgpr 30
		.amdhsa_accum_offset 256
		.amdhsa_reserve_vcc 1
		.amdhsa_reserve_flat_scratch 1
		.amdhsa_float_round_mode_32 0
		.amdhsa_float_round_mode_16_64 0
		.amdhsa_float_denorm_mode_32 3
		.amdhsa_float_denorm_mode_16_64 3
		.amdhsa_dx10_clamp 1
		.amdhsa_ieee_mode 1
		.amdhsa_fp16_overflow 0
		.amdhsa_tg_split 0
		.amdhsa_exception_fp_ieee_invalid_op 0
		.amdhsa_exception_fp_denorm_src 0
		.amdhsa_exception_fp_ieee_div_zero 0
		.amdhsa_exception_fp_ieee_overflow 0
		.amdhsa_exception_fp_ieee_underflow 0
		.amdhsa_exception_fp_ieee_inexact 0
		.amdhsa_exception_int_div_zero 0
	.end_amdhsa_kernel
	.section	.text._ZN9rocsolver6v33100L18getri_kernel_smallILi61E19rocblas_complex_numIdEPS3_EEvT1_iilPiilS6_bb,"axG",@progbits,_ZN9rocsolver6v33100L18getri_kernel_smallILi61E19rocblas_complex_numIdEPS3_EEvT1_iilPiilS6_bb,comdat
.Lfunc_end60:
	.size	_ZN9rocsolver6v33100L18getri_kernel_smallILi61E19rocblas_complex_numIdEPS3_EEvT1_iilPiilS6_bb, .Lfunc_end60-_ZN9rocsolver6v33100L18getri_kernel_smallILi61E19rocblas_complex_numIdEPS3_EEvT1_iilPiilS6_bb
                                        ; -- End function
	.section	.AMDGPU.csdata,"",@progbits
; Kernel info:
; codeLenInByte = 231596
; NumSgprs: 36
; NumVgprs: 256
; NumAgprs: 233
; TotalNumVgprs: 489
; ScratchSize: 1008
; MemoryBound: 0
; FloatMode: 240
; IeeeMode: 1
; LDSByteSize: 1960 bytes/workgroup (compile time only)
; SGPRBlocks: 4
; VGPRBlocks: 61
; NumSGPRsForWavesPerEU: 36
; NumVGPRsForWavesPerEU: 489
; AccumOffset: 256
; Occupancy: 1
; WaveLimiterHint : 1
; COMPUTE_PGM_RSRC2:SCRATCH_EN: 1
; COMPUTE_PGM_RSRC2:USER_SGPR: 8
; COMPUTE_PGM_RSRC2:TRAP_HANDLER: 0
; COMPUTE_PGM_RSRC2:TGID_X_EN: 1
; COMPUTE_PGM_RSRC2:TGID_Y_EN: 0
; COMPUTE_PGM_RSRC2:TGID_Z_EN: 0
; COMPUTE_PGM_RSRC2:TIDIG_COMP_CNT: 0
; COMPUTE_PGM_RSRC3_GFX90A:ACCUM_OFFSET: 63
; COMPUTE_PGM_RSRC3_GFX90A:TG_SPLIT: 0
	.section	.text._ZN9rocsolver6v33100L18getri_kernel_smallILi62E19rocblas_complex_numIdEPS3_EEvT1_iilPiilS6_bb,"axG",@progbits,_ZN9rocsolver6v33100L18getri_kernel_smallILi62E19rocblas_complex_numIdEPS3_EEvT1_iilPiilS6_bb,comdat
	.globl	_ZN9rocsolver6v33100L18getri_kernel_smallILi62E19rocblas_complex_numIdEPS3_EEvT1_iilPiilS6_bb ; -- Begin function _ZN9rocsolver6v33100L18getri_kernel_smallILi62E19rocblas_complex_numIdEPS3_EEvT1_iilPiilS6_bb
	.p2align	8
	.type	_ZN9rocsolver6v33100L18getri_kernel_smallILi62E19rocblas_complex_numIdEPS3_EEvT1_iilPiilS6_bb,@function
_ZN9rocsolver6v33100L18getri_kernel_smallILi62E19rocblas_complex_numIdEPS3_EEvT1_iilPiilS6_bb: ; @_ZN9rocsolver6v33100L18getri_kernel_smallILi62E19rocblas_complex_numIdEPS3_EEvT1_iilPiilS6_bb
; %bb.0:
	s_add_u32 flat_scratch_lo, s6, s9
	s_addc_u32 flat_scratch_hi, s7, 0
	s_add_u32 s0, s0, s9
	v_mov_b32_e32 v226, v0
	s_addc_u32 s1, s1, 0
	v_cmp_gt_u32_e32 vcc, 62, v226
	s_and_saveexec_b64 s[6:7], vcc
	s_cbranch_execz .LBB61_274
; %bb.1:
	s_load_dword s10, s[4:5], 0x38
	s_load_dwordx4 s[16:19], s[4:5], 0x10
	s_load_dwordx4 s[12:15], s[4:5], 0x28
                                        ; implicit-def: $sgpr20_sgpr21
	s_waitcnt lgkmcnt(0)
	s_bitcmp1_b32 s10, 8
	s_cselect_b64 s[22:23], -1, 0
	s_ashr_i32 s9, s8, 31
	s_bfe_u32 s6, s10, 0x10008
	s_cmp_eq_u32 s6, 0
	s_cbranch_scc1 .LBB61_3
; %bb.2:
	s_load_dword s6, s[4:5], 0x20
	s_mul_i32 s7, s8, s13
	s_mul_hi_u32 s11, s8, s12
	s_mul_i32 s13, s9, s12
	s_add_i32 s11, s11, s7
	s_add_i32 s13, s11, s13
	s_mul_i32 s12, s8, s12
	s_waitcnt lgkmcnt(0)
	s_ashr_i32 s7, s6, 31
	s_lshl_b64 s[12:13], s[12:13], 2
	s_add_u32 s11, s18, s12
	s_addc_u32 s12, s19, s13
	s_lshl_b64 s[6:7], s[6:7], 2
	s_add_u32 s20, s11, s6
	s_addc_u32 s21, s12, s7
.LBB61_3:
	s_load_dwordx4 s[4:7], s[4:5], 0x0
	s_mul_i32 s11, s8, s17
	s_mul_hi_u32 s12, s8, s16
	s_add_i32 s11, s12, s11
	v_lshlrev_b32_e32 v1, 4, v226
	s_waitcnt lgkmcnt(0)
	s_ashr_i32 s13, s6, 31
	s_mov_b32 s12, s6
	s_mul_i32 s6, s9, s16
	s_add_i32 s17, s11, s6
	s_mul_i32 s16, s8, s16
	s_lshl_b64 s[16:17], s[16:17], 4
	s_add_u32 s6, s4, s16
	s_addc_u32 s11, s5, s17
	s_lshl_b64 s[4:5], s[12:13], 4
	s_add_u32 s4, s6, s4
	s_addc_u32 s5, s11, s5
	s_add_i32 s6, s7, s7
	v_add_u32_e32 v2, s6, v226
	v_add_u32_e32 v6, s7, v2
	;; [unrolled: 1-line block ×58, first 2 shown]
	v_ashrrev_i32_e32 v3, 31, v2
	v_add_u32_e32 v14, s7, v16
	v_lshlrev_b64 v[94:95], 4, v[2:3]
	v_add_u32_e32 v2, s7, v14
	v_ashrrev_i32_e32 v3, 31, v2
	v_lshlrev_b64 v[2:3], 4, v[2:3]
	v_mov_b32_e32 v0, s5
	v_add_co_u32_e32 v2, vcc, s4, v2
	v_addc_co_u32_e32 v3, vcc, v0, v3, vcc
	v_mov_b32_e32 v7, s5
	v_add_co_u32_e32 v98, vcc, s4, v94
	v_addc_co_u32_e32 v99, vcc, v7, v95, vcc
	v_add_co_u32_e32 v96, vcc, s4, v1
	s_ashr_i32 s13, s7, 31
	s_mov_b32 s12, s7
	v_addc_co_u32_e32 v97, vcc, 0, v0, vcc
	s_lshl_b64 s[6:7], s[12:13], 4
	global_load_dwordx4 v[10:13], v1, s[4:5]
	v_mov_b32_e32 v0, s7
	v_add_co_u32_e32 v94, vcc, s6, v96
	v_addc_co_u32_e32 v95, vcc, v97, v0, vcc
	v_accvgpr_write_b32 a123, v97
	v_accvgpr_write_b32 a121, v95
	;; [unrolled: 1-line block ×4, first 2 shown]
	global_load_dwordx4 v[94:97], v[94:95], off
	v_accvgpr_write_b32 a107, v99
	v_ashrrev_i32_e32 v7, 31, v6
	v_accvgpr_write_b32 a106, v98
	global_load_dwordx4 v[98:101], v[98:99], off
	v_lshlrev_b64 v[6:7], 4, v[6:7]
	v_mov_b32_e32 v0, s5
	v_add_co_u32_e32 v102, vcc, s4, v6
	v_addc_co_u32_e32 v103, vcc, v0, v7, vcc
	v_accvgpr_write_b32 a117, v103
	v_ashrrev_i32_e32 v9, 31, v8
	v_accvgpr_write_b32 a116, v102
	global_load_dwordx4 v[102:105], v[102:103], off
	v_lshlrev_b64 v[6:7], 4, v[8:9]
	v_add_co_u32_e32 v6, vcc, s4, v6
	v_addc_co_u32_e32 v7, vcc, v0, v7, vcc
	v_accvgpr_write_b32 a109, v7
	global_load_dwordx4 v[106:109], v[6:7], off
	v_ashrrev_i32_e32 v111, 31, v110
	v_accvgpr_write_b32 a108, v6
	v_lshlrev_b64 v[6:7], 4, v[110:111]
	v_add_co_u32_e32 v8, vcc, s4, v6
	v_addc_co_u32_e32 v9, vcc, v0, v7, vcc
	v_ashrrev_i32_e32 v113, 31, v112
	v_lshlrev_b64 v[6:7], 4, v[112:113]
	global_load_dwordx4 v[110:113], v[8:9], off
	v_add_co_u32_e32 v6, vcc, s4, v6
	v_addc_co_u32_e32 v7, vcc, v0, v7, vcc
	global_load_dwordx4 v[114:117], v[6:7], off
	v_accvgpr_write_b32 a99, v7
	v_ashrrev_i32_e32 v119, 31, v118
	v_accvgpr_write_b32 a111, v9
	v_accvgpr_write_b32 a98, v6
	v_lshlrev_b64 v[6:7], 4, v[118:119]
	v_accvgpr_write_b32 a110, v8
	v_add_co_u32_e32 v8, vcc, s4, v6
	v_addc_co_u32_e32 v9, vcc, v0, v7, vcc
	v_ashrrev_i32_e32 v121, 31, v120
	v_lshlrev_b64 v[6:7], 4, v[120:121]
	global_load_dwordx4 v[118:121], v[8:9], off
	v_add_co_u32_e32 v6, vcc, s4, v6
	v_addc_co_u32_e32 v7, vcc, v0, v7, vcc
	global_load_dwordx4 v[122:125], v[6:7], off
	v_accvgpr_write_b32 a93, v7
	v_ashrrev_i32_e32 v127, 31, v126
	v_accvgpr_write_b32 a101, v9
	v_accvgpr_write_b32 a92, v6
	v_lshlrev_b64 v[6:7], 4, v[126:127]
	v_accvgpr_write_b32 a100, v8
	v_add_co_u32_e32 v8, vcc, s4, v6
	v_addc_co_u32_e32 v9, vcc, v0, v7, vcc
	v_ashrrev_i32_e32 v129, 31, v128
	v_lshlrev_b64 v[6:7], 4, v[128:129]
	global_load_dwordx4 v[126:129], v[8:9], off
	v_add_co_u32_e32 v6, vcc, s4, v6
	v_addc_co_u32_e32 v7, vcc, v0, v7, vcc
	global_load_dwordx4 v[130:133], v[6:7], off
	v_accvgpr_write_b32 a81, v7
	v_ashrrev_i32_e32 v135, 31, v134
	v_accvgpr_write_b32 a95, v9
	v_accvgpr_write_b32 a80, v6
	v_lshlrev_b64 v[6:7], 4, v[134:135]
	v_accvgpr_write_b32 a94, v8
	v_add_co_u32_e32 v8, vcc, s4, v6
	v_addc_co_u32_e32 v9, vcc, v0, v7, vcc
	v_ashrrev_i32_e32 v137, 31, v136
	v_lshlrev_b64 v[6:7], 4, v[136:137]
	global_load_dwordx4 v[134:137], v[8:9], off
	v_add_co_u32_e32 v6, vcc, s4, v6
	v_addc_co_u32_e32 v7, vcc, v0, v7, vcc
	global_load_dwordx4 v[138:141], v[6:7], off
	v_accvgpr_write_b32 a69, v7
	v_ashrrev_i32_e32 v143, 31, v142
	v_accvgpr_write_b32 a83, v9
	v_accvgpr_write_b32 a68, v6
	v_lshlrev_b64 v[6:7], 4, v[142:143]
	v_accvgpr_write_b32 a82, v8
	v_add_co_u32_e32 v8, vcc, s4, v6
	v_addc_co_u32_e32 v9, vcc, v0, v7, vcc
	v_ashrrev_i32_e32 v145, 31, v144
	v_lshlrev_b64 v[6:7], 4, v[144:145]
	global_load_dwordx4 v[142:145], v[8:9], off
	v_add_co_u32_e32 v6, vcc, s4, v6
	v_addc_co_u32_e32 v7, vcc, v0, v7, vcc
	global_load_dwordx4 v[146:149], v[6:7], off
	v_accvgpr_write_b32 a57, v7
	v_ashrrev_i32_e32 v151, 31, v150
	v_accvgpr_write_b32 a71, v9
	v_accvgpr_write_b32 a56, v6
	v_lshlrev_b64 v[6:7], 4, v[150:151]
	v_accvgpr_write_b32 a70, v8
	v_add_co_u32_e32 v8, vcc, s4, v6
	v_addc_co_u32_e32 v9, vcc, v0, v7, vcc
	v_ashrrev_i32_e32 v153, 31, v152
	v_lshlrev_b64 v[6:7], 4, v[152:153]
	global_load_dwordx4 v[150:153], v[8:9], off
	v_add_co_u32_e32 v6, vcc, s4, v6
	v_addc_co_u32_e32 v7, vcc, v0, v7, vcc
	global_load_dwordx4 v[154:157], v[6:7], off
	v_accvgpr_write_b32 a49, v7
	v_ashrrev_i32_e32 v159, 31, v158
	v_accvgpr_write_b32 a63, v9
	v_accvgpr_write_b32 a48, v6
	v_lshlrev_b64 v[6:7], 4, v[158:159]
	v_accvgpr_write_b32 a62, v8
	v_add_co_u32_e32 v8, vcc, s4, v6
	v_addc_co_u32_e32 v9, vcc, v0, v7, vcc
	v_ashrrev_i32_e32 v161, 31, v160
	v_lshlrev_b64 v[6:7], 4, v[160:161]
	global_load_dwordx4 v[158:161], v[8:9], off
	v_add_co_u32_e32 v6, vcc, s4, v6
	v_addc_co_u32_e32 v7, vcc, v0, v7, vcc
	global_load_dwordx4 v[162:165], v[6:7], off
	v_accvgpr_write_b32 a41, v7
	v_ashrrev_i32_e32 v167, 31, v166
	v_accvgpr_write_b32 a51, v9
	v_accvgpr_write_b32 a40, v6
	v_lshlrev_b64 v[6:7], 4, v[166:167]
	v_accvgpr_write_b32 a50, v8
	v_add_co_u32_e32 v8, vcc, s4, v6
	v_addc_co_u32_e32 v9, vcc, v0, v7, vcc
	v_ashrrev_i32_e32 v169, 31, v168
	v_lshlrev_b64 v[6:7], 4, v[168:169]
	global_load_dwordx4 v[166:169], v[8:9], off
	v_add_co_u32_e32 v6, vcc, s4, v6
	v_addc_co_u32_e32 v7, vcc, v0, v7, vcc
	v_accvgpr_write_b32 a43, v9
	v_accvgpr_write_b32 a31, v7
	;; [unrolled: 1-line block ×5, first 2 shown]
	global_load_dwordx4 v[6:9], v[6:7], off
	v_ashrrev_i32_e32 v93, 31, v92
	v_accvgpr_write_b32 a1, v3
	global_load_dwordx4 v[2:5], v[2:3], off
	v_ashrrev_i32_e32 v91, 31, v90
	s_waitcnt vmcnt(21)
	buffer_store_dword v13, off, s[0:3], 0 offset:28
	buffer_store_dword v12, off, s[0:3], 0 offset:24
	buffer_store_dword v11, off, s[0:3], 0 offset:20
	buffer_store_dword v10, off, s[0:3], 0 offset:16
	s_waitcnt vmcnt(24)
	buffer_store_dword v97, off, s[0:3], 0 offset:44
	buffer_store_dword v96, off, s[0:3], 0 offset:40
	buffer_store_dword v95, off, s[0:3], 0 offset:36
	buffer_store_dword v94, off, s[0:3], 0 offset:32
	;; [unrolled: 5-line block ×15, first 2 shown]
	buffer_store_dword v153, off, s[0:3], 0 offset:268
	buffer_store_dword v152, off, s[0:3], 0 offset:264
	buffer_store_dword v151, off, s[0:3], 0 offset:260
	buffer_store_dword v150, off, s[0:3], 0 offset:256
	s_waitcnt vmcnt(62)
	buffer_store_dword v157, off, s[0:3], 0 offset:284
	buffer_store_dword v156, off, s[0:3], 0 offset:280
	;; [unrolled: 1-line block ×17, first 2 shown]
	v_lshlrev_b64 v[10:11], 4, v[92:93]
	v_add_co_u32_e32 v12, vcc, s4, v10
	v_addc_co_u32_e32 v13, vcc, v0, v11, vcc
	v_lshlrev_b64 v[10:11], 4, v[90:91]
	global_load_dwordx4 v[90:93], v[12:13], off
	v_add_co_u32_e32 v10, vcc, s4, v10
	v_addc_co_u32_e32 v11, vcc, v0, v11, vcc
	global_load_dwordx4 v[94:97], v[10:11], off
	v_accvgpr_write_b32 a113, v11
	v_ashrrev_i32_e32 v89, 31, v88
	v_accvgpr_write_b32 a119, v13
	v_accvgpr_write_b32 a112, v10
	v_lshlrev_b64 v[10:11], 4, v[88:89]
	v_accvgpr_write_b32 a118, v12
	v_add_co_u32_e32 v12, vcc, s4, v10
	v_addc_co_u32_e32 v13, vcc, v0, v11, vcc
	v_ashrrev_i32_e32 v87, 31, v86
	v_lshlrev_b64 v[10:11], 4, v[86:87]
	global_load_dwordx4 v[86:89], v[12:13], off
	v_add_co_u32_e32 v10, vcc, s4, v10
	v_addc_co_u32_e32 v11, vcc, v0, v11, vcc
	global_load_dwordx4 v[98:101], v[10:11], off
	v_accvgpr_write_b32 a103, v11
	v_ashrrev_i32_e32 v85, 31, v84
	v_accvgpr_write_b32 a115, v13
	v_accvgpr_write_b32 a102, v10
	v_lshlrev_b64 v[10:11], 4, v[84:85]
	v_accvgpr_write_b32 a114, v12
	v_add_co_u32_e32 v12, vcc, s4, v10
	v_addc_co_u32_e32 v13, vcc, v0, v11, vcc
	v_ashrrev_i32_e32 v83, 31, v82
	;; [unrolled: 14-line block ×9, first 2 shown]
	v_lshlrev_b64 v[10:11], 4, v[54:55]
	global_load_dwordx4 v[54:57], v[12:13], off
	v_add_co_u32_e32 v10, vcc, s4, v10
	v_addc_co_u32_e32 v11, vcc, v0, v11, vcc
	v_accvgpr_write_b32 a21, v13
	v_accvgpr_write_b32 a13, v11
	;; [unrolled: 1-line block ×4, first 2 shown]
	global_load_dwordx4 v[10:13], v[10:11], off
	v_ashrrev_i32_e32 v53, 31, v52
	buffer_store_dword v8, off, s[0:3], 0 offset:344
	buffer_store_dword v7, off, s[0:3], 0 offset:340
	buffer_store_dword v6, off, s[0:3], 0 offset:336
	s_waitcnt vmcnt(22)
	buffer_store_dword v93, off, s[0:3], 0 offset:364
	buffer_store_dword v92, off, s[0:3], 0 offset:360
	buffer_store_dword v91, off, s[0:3], 0 offset:356
	buffer_store_dword v90, off, s[0:3], 0 offset:352
	s_waitcnt vmcnt(25)
	buffer_store_dword v97, off, s[0:3], 0 offset:380
	;; [unrolled: 5-line block ×15, first 2 shown]
	buffer_store_dword v64, off, s[0:3], 0 offset:584
	buffer_store_dword v63, off, s[0:3], 0 offset:580
	;; [unrolled: 1-line block ×11, first 2 shown]
	s_waitcnt vmcnt(62)
	buffer_store_dword v129, off, s[0:3], 0 offset:636
	buffer_store_dword v128, off, s[0:3], 0 offset:632
	;; [unrolled: 1-line block ×9, first 2 shown]
	v_lshlrev_b64 v[6:7], 4, v[52:53]
	v_add_co_u32_e32 v8, vcc, s4, v6
	v_ashrrev_i32_e32 v51, 31, v50
	v_addc_co_u32_e32 v9, vcc, v0, v7, vcc
	v_lshlrev_b64 v[6:7], 4, v[50:51]
	v_add_co_u32_e32 v50, vcc, s4, v6
	v_accvgpr_write_b32 a97, v9
	v_addc_co_u32_e32 v51, vcc, v0, v7, vcc
	v_accvgpr_write_b32 a96, v8
	global_load_dwordx4 v[6:9], v[8:9], off
	v_accvgpr_write_b32 a85, v51
	v_ashrrev_i32_e32 v49, 31, v48
	v_accvgpr_write_b32 a84, v50
	global_load_dwordx4 v[50:53], v[50:51], off
	v_lshlrev_b64 v[48:49], 4, v[48:49]
	v_add_co_u32_e32 v48, vcc, s4, v48
	v_ashrrev_i32_e32 v47, 31, v46
	v_addc_co_u32_e32 v49, vcc, v0, v49, vcc
	v_lshlrev_b64 v[46:47], 4, v[46:47]
	v_add_co_u32_e32 v54, vcc, s4, v46
	v_accvgpr_write_b32 a87, v49
	v_addc_co_u32_e32 v55, vcc, v0, v47, vcc
	v_accvgpr_write_b32 a86, v48
	global_load_dwordx4 v[46:49], v[48:49], off
	v_accvgpr_write_b32 a73, v55
	v_ashrrev_i32_e32 v45, 31, v44
	v_accvgpr_write_b32 a72, v54
	global_load_dwordx4 v[54:57], v[54:55], off
	;; [unrolled: 14-line block ×8, first 2 shown]
	v_lshlrev_b64 v[20:21], 4, v[20:21]
	v_add_co_u32_e32 v20, vcc, s4, v20
	v_ashrrev_i32_e32 v19, 31, v18
	v_addc_co_u32_e32 v21, vcc, v0, v21, vcc
	v_lshlrev_b64 v[18:19], 4, v[18:19]
	v_add_co_u32_e32 v82, vcc, s4, v18
	v_accvgpr_write_b32 a10, v20
	v_addc_co_u32_e32 v83, vcc, v0, v19, vcc
	v_accvgpr_write_b32 a11, v21
	global_load_dwordx4 v[18:21], v[20:21], off
	v_accvgpr_write_b32 a4, v82
	v_accvgpr_write_b32 a5, v83
	global_load_dwordx4 v[82:85], v[82:83], off
	v_ashrrev_i32_e32 v17, 31, v16
	v_lshlrev_b64 v[16:17], 4, v[16:17]
	v_add_co_u32_e32 v16, vcc, s4, v16
	v_addc_co_u32_e32 v17, vcc, v0, v17, vcc
	v_ashrrev_i32_e32 v15, 31, v14
	v_accvgpr_write_b32 a6, v16
	v_lshlrev_b64 v[86:87], 4, v[14:15]
	v_accvgpr_write_b32 a7, v17
	global_load_dwordx4 v[14:17], v[16:17], off
	v_add_co_u32_e32 v86, vcc, s4, v86
	v_addc_co_u32_e32 v87, vcc, v0, v87, vcc
	v_accvgpr_write_b32 a2, v86
	v_accvgpr_write_b32 a3, v87
	global_load_dwordx4 v[86:89], v[86:87], off
	v_mov_b32_e32 v0, 16
	buffer_store_dword v12, off, s[0:3], 0 offset:664
	buffer_store_dword v11, off, s[0:3], 0 offset:660
	buffer_store_dword v10, off, s[0:3], 0 offset:656
	s_waitcnt vmcnt(22)
	buffer_store_dword v9, off, s[0:3], 0 offset:684
	buffer_store_dword v8, off, s[0:3], 0 offset:680
	buffer_store_dword v7, off, s[0:3], 0 offset:676
	buffer_store_dword v6, off, s[0:3], 0 offset:672
	s_waitcnt vmcnt(25)
	buffer_store_dword v53, off, s[0:3], 0 offset:700
	;; [unrolled: 5-line block ×15, first 2 shown]
	buffer_store_dword v24, off, s[0:3], 0 offset:904
	buffer_store_dword v23, off, s[0:3], 0 offset:900
	;; [unrolled: 1-line block ×11, first 2 shown]
	s_waitcnt vmcnt(62)
	buffer_store_dword v85, off, s[0:3], 0 offset:956
	buffer_store_dword v84, off, s[0:3], 0 offset:952
	;; [unrolled: 1-line block ×16, first 2 shown]
	v_add_u32_e32 v2, 16, v0
	v_accvgpr_write_b32 a184, v2
	v_add_u32_e32 v2, 32, v0
	v_accvgpr_write_b32 a183, v2
	v_add_u32_e32 v2, 48, v0
	v_accvgpr_write_b32 a182, v2
	v_add_u32_e32 v2, 64, v0
	v_accvgpr_write_b32 a181, v2
	v_add_u32_e32 v2, 0x50, v0
	v_accvgpr_write_b32 a180, v2
	v_add_u32_e32 v2, 0x60, v0
	v_accvgpr_write_b32 a179, v2
	v_add_u32_e32 v2, 0x70, v0
	v_accvgpr_write_b32 a178, v2
	v_add_u32_e32 v2, 0x80, v0
	v_accvgpr_write_b32 a177, v2
	v_add_u32_e32 v2, 0x90, v0
	v_accvgpr_write_b32 a176, v2
	v_add_u32_e32 v2, 0xa0, v0
	v_accvgpr_write_b32 a175, v2
	v_add_u32_e32 v2, 0xb0, v0
	v_accvgpr_write_b32 a174, v2
	v_add_u32_e32 v2, 0xc0, v0
	v_accvgpr_write_b32 a173, v2
	v_add_u32_e32 v2, 0xd0, v0
	v_accvgpr_write_b32 a172, v2
	v_add_u32_e32 v2, 0xe0, v0
	v_accvgpr_write_b32 a171, v2
	v_add_u32_e32 v2, 0xf0, v0
	v_accvgpr_write_b32 a170, v2
	v_add_u32_e32 v2, 0x100, v0
	v_accvgpr_write_b32 a169, v2
	v_add_u32_e32 v2, 0x110, v0
	v_accvgpr_write_b32 a168, v2
	v_add_u32_e32 v2, 0x120, v0
	v_accvgpr_write_b32 a167, v2
	v_add_u32_e32 v2, 0x130, v0
	v_accvgpr_write_b32 a166, v2
	v_add_u32_e32 v2, 0x140, v0
	v_accvgpr_write_b32 a165, v2
	v_add_u32_e32 v2, 0x150, v0
	v_accvgpr_write_b32 a164, v2
	v_add_u32_e32 v2, 0x160, v0
	v_accvgpr_write_b32 a163, v2
	v_add_u32_e32 v2, 0x170, v0
	v_accvgpr_write_b32 a162, v2
	v_add_u32_e32 v2, 0x180, v0
	v_accvgpr_write_b32 a161, v2
	v_add_u32_e32 v2, 0x190, v0
	v_accvgpr_write_b32 a160, v2
	v_add_u32_e32 v2, 0x1a0, v0
	v_accvgpr_write_b32 a159, v2
	v_add_u32_e32 v2, 0x1b0, v0
	v_accvgpr_write_b32 a158, v2
	v_add_u32_e32 v2, 0x1c0, v0
	v_accvgpr_write_b32 a157, v2
	v_add_u32_e32 v2, 0x1d0, v0
	v_accvgpr_write_b32 a156, v2
	v_add_u32_e32 v2, 0x1e0, v0
	v_accvgpr_write_b32 a155, v2
	v_add_u32_e32 v2, 0x1f0, v0
	v_accvgpr_write_b32 a154, v2
	v_add_u32_e32 v2, 0x200, v0
	v_accvgpr_write_b32 a153, v2
	v_add_u32_e32 v2, 0x210, v0
	v_accvgpr_write_b32 a152, v2
	v_add_u32_e32 v2, 0x220, v0
	v_accvgpr_write_b32 a151, v2
	v_add_u32_e32 v2, 0x230, v0
	v_accvgpr_write_b32 a150, v2
	v_add_u32_e32 v2, 0x240, v0
	v_accvgpr_write_b32 a149, v2
	v_add_u32_e32 v2, 0x250, v0
	v_accvgpr_write_b32 a148, v2
	v_add_u32_e32 v2, 0x260, v0
	v_accvgpr_write_b32 a147, v2
	v_add_u32_e32 v2, 0x270, v0
	v_accvgpr_write_b32 a146, v2
	v_add_u32_e32 v2, 0x280, v0
	v_accvgpr_write_b32 a145, v2
	v_add_u32_e32 v2, 0x290, v0
	v_accvgpr_write_b32 a144, v2
	v_add_u32_e32 v2, 0x2a0, v0
	v_accvgpr_write_b32 a143, v2
	v_add_u32_e32 v2, 0x2b0, v0
	v_accvgpr_write_b32 a142, v2
	v_add_u32_e32 v2, 0x2c0, v0
	v_accvgpr_write_b32 a141, v2
	v_add_u32_e32 v2, 0x2d0, v0
	v_accvgpr_write_b32 a140, v2
	v_add_u32_e32 v2, 0x2e0, v0
	v_accvgpr_write_b32 a139, v2
	v_add_u32_e32 v2, 0x2f0, v0
	v_accvgpr_write_b32 a138, v2
	v_add_u32_e32 v2, 0x300, v0
	v_accvgpr_write_b32 a137, v2
	v_add_u32_e32 v2, 0x310, v0
	v_accvgpr_write_b32 a136, v2
	v_add_u32_e32 v2, 0x320, v0
	v_accvgpr_write_b32 a135, v2
	v_add_u32_e32 v2, 0x330, v0
	v_accvgpr_write_b32 a134, v2
	v_add_u32_e32 v2, 0x340, v0
	v_accvgpr_write_b32 a133, v2
	v_add_u32_e32 v2, 0x350, v0
	v_accvgpr_write_b32 a132, v2
	v_add_u32_e32 v2, 0x360, v0
	v_accvgpr_write_b32 a131, v2
	v_add_u32_e32 v2, 0x370, v0
	v_accvgpr_write_b32 a130, v2
	v_add_u32_e32 v2, 0x380, v0
	v_accvgpr_write_b32 a129, v2
	v_add_u32_e32 v2, 0x390, v0
	v_accvgpr_write_b32 a128, v2
	v_add_u32_e32 v2, 0x3a0, v0
	v_accvgpr_write_b32 a127, v2
	v_add_u32_e32 v2, 0x3b0, v0
	v_accvgpr_write_b32 a126, v2
	v_add_u32_e32 v2, 0x3c0, v0
	v_add_u32_e32 v0, 0x3d0, v0
	s_bitcmp0_b32 s10, 0
	v_accvgpr_write_b32 a125, v2
	v_accvgpr_write_b32 a124, v0
	s_mov_b64 s[6:7], -1
	s_cbranch_scc1 .LBB61_272
; %bb.4:
	v_cmp_eq_u32_e64 s[4:5], 0, v226
	s_and_saveexec_b64 s[6:7], s[4:5]
	s_cbranch_execz .LBB61_6
; %bb.5:
	v_mov_b32_e32 v0, 0
	ds_write_b32 v0, v0 offset:1984
.LBB61_6:
	s_or_b64 exec, exec, s[6:7]
	v_mov_b32_e32 v0, 16
	v_lshl_add_u32 v12, v226, 4, v0
	s_waitcnt lgkmcnt(0)
	; wave barrier
	s_waitcnt lgkmcnt(0)
	buffer_load_dword v2, v12, s[0:3], 0 offen
	buffer_load_dword v3, v12, s[0:3], 0 offen offset:4
	buffer_load_dword v4, v12, s[0:3], 0 offen offset:8
	;; [unrolled: 1-line block ×3, first 2 shown]
	s_waitcnt vmcnt(2)
	v_cmp_eq_f64_e32 vcc, 0, v[2:3]
	s_waitcnt vmcnt(0)
	v_cmp_eq_f64_e64 s[6:7], 0, v[4:5]
	s_and_b64 s[6:7], vcc, s[6:7]
	s_and_saveexec_b64 s[10:11], s[6:7]
	s_cbranch_execz .LBB61_10
; %bb.7:
	v_mov_b32_e32 v2, 0
	ds_read_b32 v0, v2 offset:1984
	v_add_u32_e32 v3, 1, v226
	s_waitcnt lgkmcnt(0)
	v_readfirstlane_b32 s6, v0
	s_cmp_eq_u32 s6, 0
	s_cselect_b64 s[12:13], -1, 0
	v_cmp_gt_i32_e32 vcc, s6, v3
	s_or_b64 s[12:13], s[12:13], vcc
	s_and_b64 exec, exec, s[12:13]
	s_cbranch_execz .LBB61_10
; %bb.8:
	s_mov_b64 s[12:13], 0
	v_mov_b32_e32 v4, s6
.LBB61_9:                               ; =>This Inner Loop Header: Depth=1
	ds_cmpst_rtn_b32 v4, v2, v4, v3 offset:1984
	s_waitcnt lgkmcnt(0)
	v_cmp_ne_u32_e32 vcc, 0, v4
	v_cmp_le_i32_e64 s[6:7], v4, v3
	s_and_b64 s[6:7], vcc, s[6:7]
	s_and_b64 s[6:7], exec, s[6:7]
	s_or_b64 s[12:13], s[6:7], s[12:13]
	s_andn2_b64 exec, exec, s[12:13]
	s_cbranch_execnz .LBB61_9
.LBB61_10:
	s_or_b64 exec, exec, s[10:11]
	v_mov_b32_e32 v3, 0
	s_waitcnt lgkmcnt(0)
	; wave barrier
	ds_read_b32 v2, v3 offset:1984
	s_and_saveexec_b64 s[6:7], s[4:5]
	s_cbranch_execz .LBB61_12
; %bb.11:
	s_lshl_b64 s[10:11], s[8:9], 2
	s_add_u32 s10, s14, s10
	s_addc_u32 s11, s15, s11
	s_waitcnt lgkmcnt(0)
	global_store_dword v3, v2, s[10:11]
.LBB61_12:
	s_or_b64 exec, exec, s[6:7]
	s_waitcnt lgkmcnt(0)
	v_cmp_ne_u32_e32 vcc, 0, v2
	s_mov_b64 s[6:7], 0
	s_cbranch_vccnz .LBB61_272
; %bb.13:
	buffer_load_dword v7, v12, s[0:3], 0 offen offset:4
	buffer_load_dword v6, v12, s[0:3], 0 offen
	buffer_load_dword v9, v12, s[0:3], 0 offen offset:12
	buffer_load_dword v8, v12, s[0:3], 0 offen offset:8
                                        ; implicit-def: $vgpr10_vgpr11
	s_waitcnt vmcnt(3)
	v_xor_b32_e32 v0, 0x80000000, v7
	s_waitcnt vmcnt(2)
	v_cmp_gt_f64_e32 vcc, 0, v[6:7]
	s_waitcnt vmcnt(1)
	v_xor_b32_e32 v4, 0x80000000, v9
	v_cndmask_b32_e32 v3, v7, v0, vcc
	s_waitcnt vmcnt(0)
	v_cmp_gt_f64_e32 vcc, 0, v[8:9]
	v_mov_b32_e32 v2, v6
	v_cndmask_b32_e32 v5, v9, v4, vcc
	v_mov_b32_e32 v4, v8
	v_cmp_ngt_f64_e32 vcc, v[2:3], v[4:5]
                                        ; implicit-def: $vgpr4_vgpr5
	s_and_saveexec_b64 s[6:7], vcc
	s_xor_b64 s[6:7], exec, s[6:7]
	s_cbranch_execz .LBB61_15
; %bb.14:
	v_div_scale_f64 v[2:3], s[10:11], v[8:9], v[8:9], v[6:7]
	v_rcp_f64_e32 v[4:5], v[2:3]
	v_div_scale_f64 v[10:11], vcc, v[6:7], v[8:9], v[6:7]
	v_fma_f64 v[14:15], -v[2:3], v[4:5], 1.0
	v_fmac_f64_e32 v[4:5], v[4:5], v[14:15]
	v_fma_f64 v[14:15], -v[2:3], v[4:5], 1.0
	v_fmac_f64_e32 v[4:5], v[4:5], v[14:15]
	v_mul_f64 v[14:15], v[10:11], v[4:5]
	v_fma_f64 v[2:3], -v[2:3], v[14:15], v[10:11]
	v_div_fmas_f64 v[2:3], v[2:3], v[4:5], v[14:15]
	v_div_fixup_f64 v[2:3], v[2:3], v[8:9], v[6:7]
	v_fmac_f64_e32 v[8:9], v[6:7], v[2:3]
	v_div_scale_f64 v[4:5], s[10:11], v[8:9], v[8:9], 1.0
	v_rcp_f64_e32 v[6:7], v[4:5]
	v_fma_f64 v[10:11], -v[4:5], v[6:7], 1.0
	v_fmac_f64_e32 v[6:7], v[6:7], v[10:11]
	v_fma_f64 v[10:11], -v[4:5], v[6:7], 1.0
	v_fmac_f64_e32 v[6:7], v[6:7], v[10:11]
	v_div_scale_f64 v[10:11], vcc, 1.0, v[8:9], 1.0
	v_mul_f64 v[14:15], v[10:11], v[6:7]
	v_fma_f64 v[4:5], -v[4:5], v[14:15], v[10:11]
	s_nop 1
	v_div_fmas_f64 v[4:5], v[4:5], v[6:7], v[14:15]
	v_div_fixup_f64 v[4:5], v[4:5], v[8:9], 1.0
	v_mul_f64 v[10:11], v[2:3], v[4:5]
	v_xor_b32_e32 v5, 0x80000000, v5
	v_xor_b32_e32 v3, 0x80000000, v11
	v_mov_b32_e32 v2, v10
                                        ; implicit-def: $vgpr6_vgpr7
                                        ; implicit-def: $vgpr8_vgpr9
.LBB61_15:
	s_andn2_saveexec_b64 s[6:7], s[6:7]
	s_cbranch_execz .LBB61_17
; %bb.16:
	v_div_scale_f64 v[2:3], s[10:11], v[6:7], v[6:7], v[8:9]
	v_rcp_f64_e32 v[4:5], v[2:3]
	v_div_scale_f64 v[10:11], vcc, v[8:9], v[6:7], v[8:9]
	v_fma_f64 v[14:15], -v[2:3], v[4:5], 1.0
	v_fmac_f64_e32 v[4:5], v[4:5], v[14:15]
	v_fma_f64 v[14:15], -v[2:3], v[4:5], 1.0
	v_fmac_f64_e32 v[4:5], v[4:5], v[14:15]
	v_mul_f64 v[14:15], v[10:11], v[4:5]
	v_fma_f64 v[2:3], -v[2:3], v[14:15], v[10:11]
	v_div_fmas_f64 v[2:3], v[2:3], v[4:5], v[14:15]
	v_div_fixup_f64 v[4:5], v[2:3], v[6:7], v[8:9]
	v_fmac_f64_e32 v[6:7], v[8:9], v[4:5]
	v_div_scale_f64 v[2:3], s[10:11], v[6:7], v[6:7], 1.0
	v_rcp_f64_e32 v[8:9], v[2:3]
	v_fma_f64 v[10:11], -v[2:3], v[8:9], 1.0
	v_fmac_f64_e32 v[8:9], v[8:9], v[10:11]
	v_fma_f64 v[10:11], -v[2:3], v[8:9], 1.0
	v_fmac_f64_e32 v[8:9], v[8:9], v[10:11]
	v_div_scale_f64 v[10:11], vcc, 1.0, v[6:7], 1.0
	v_mul_f64 v[14:15], v[10:11], v[8:9]
	v_fma_f64 v[2:3], -v[2:3], v[14:15], v[10:11]
	s_nop 1
	v_div_fmas_f64 v[2:3], v[2:3], v[8:9], v[14:15]
	v_div_fixup_f64 v[10:11], v[2:3], v[6:7], 1.0
	v_xor_b32_e32 v3, 0x80000000, v11
	v_mov_b32_e32 v2, v10
	v_mul_f64 v[4:5], v[4:5], -v[10:11]
.LBB61_17:
	s_or_b64 exec, exec, s[6:7]
	buffer_store_dword v11, v12, s[0:3], 0 offen offset:4
	buffer_store_dword v10, v12, s[0:3], 0 offen
	buffer_store_dword v5, v12, s[0:3], 0 offen offset:12
	buffer_store_dword v4, v12, s[0:3], 0 offen offset:8
	v_accvgpr_read_b32 v0, a184
	buffer_load_dword v11, v0, s[0:3], 0 offen offset:12
	buffer_load_dword v10, v0, s[0:3], 0 offen offset:8
	;; [unrolled: 1-line block ×3, first 2 shown]
	buffer_load_dword v8, v0, s[0:3], 0 offen
	v_xor_b32_e32 v5, 0x80000000, v5
	v_add_u32_e32 v6, 0x3e0, v1
	ds_write_b128 v1, v[2:5]
	s_waitcnt vmcnt(0)
	ds_write_b128 v1, v[8:11] offset:992
	s_waitcnt lgkmcnt(0)
	; wave barrier
	s_waitcnt lgkmcnt(0)
	s_and_saveexec_b64 s[6:7], s[4:5]
	s_cbranch_execz .LBB61_19
; %bb.18:
	buffer_load_dword v14, v12, s[0:3], 0 offen offset:8
	buffer_load_dword v15, v12, s[0:3], 0 offen offset:12
	buffer_load_dword v16, v12, s[0:3], 0 offen
	buffer_load_dword v17, v12, s[0:3], 0 offen offset:4
	ds_read_b128 v[2:5], v6
	v_mov_b32_e32 v0, 0
	ds_read_b128 v[8:11], v0 offset:16
	s_waitcnt vmcnt(2) lgkmcnt(1)
	v_mul_f64 v[18:19], v[4:5], v[14:15]
	v_mul_f64 v[14:15], v[2:3], v[14:15]
	s_waitcnt vmcnt(0)
	v_fmac_f64_e32 v[14:15], v[4:5], v[16:17]
	v_fma_f64 v[2:3], v[2:3], v[16:17], -v[18:19]
	v_add_f64 v[4:5], v[14:15], 0
	v_add_f64 v[2:3], v[2:3], 0
	s_waitcnt lgkmcnt(0)
	v_mul_f64 v[14:15], v[4:5], v[10:11]
	v_mul_f64 v[10:11], v[2:3], v[10:11]
	v_fma_f64 v[2:3], v[2:3], v[8:9], -v[14:15]
	v_fmac_f64_e32 v[10:11], v[4:5], v[8:9]
	buffer_store_dword v2, off, s[0:3], 0 offset:32
	buffer_store_dword v3, off, s[0:3], 0 offset:36
	;; [unrolled: 1-line block ×4, first 2 shown]
.LBB61_19:
	s_or_b64 exec, exec, s[6:7]
	v_accvgpr_read_b32 v0, a183
	s_waitcnt lgkmcnt(0)
	; wave barrier
	buffer_load_dword v2, v0, s[0:3], 0 offen
	buffer_load_dword v3, v0, s[0:3], 0 offen offset:4
	buffer_load_dword v4, v0, s[0:3], 0 offen offset:8
	;; [unrolled: 1-line block ×3, first 2 shown]
	v_cmp_gt_u32_e32 vcc, 2, v226
	s_waitcnt vmcnt(0)
	ds_write_b128 v6, v[2:5]
	s_waitcnt lgkmcnt(0)
	; wave barrier
	s_waitcnt lgkmcnt(0)
	s_and_saveexec_b64 s[6:7], vcc
	s_cbranch_execz .LBB61_23
; %bb.20:
	buffer_load_dword v8, v12, s[0:3], 0 offen offset:8
	buffer_load_dword v9, v12, s[0:3], 0 offen offset:12
	buffer_load_dword v10, v12, s[0:3], 0 offen
	buffer_load_dword v11, v12, s[0:3], 0 offen offset:4
	ds_read_b128 v[2:5], v6
	s_waitcnt vmcnt(2) lgkmcnt(0)
	v_mul_f64 v[14:15], v[4:5], v[8:9]
	v_mul_f64 v[8:9], v[2:3], v[8:9]
	s_waitcnt vmcnt(0)
	v_fma_f64 v[2:3], v[2:3], v[10:11], -v[14:15]
	v_fmac_f64_e32 v[8:9], v[4:5], v[10:11]
	v_add_f64 v[4:5], v[2:3], 0
	v_add_f64 v[2:3], v[8:9], 0
	s_and_saveexec_b64 s[10:11], s[4:5]
	s_cbranch_execz .LBB61_22
; %bb.21:
	buffer_load_dword v14, off, s[0:3], 0 offset:40
	buffer_load_dword v15, off, s[0:3], 0 offset:44
	;; [unrolled: 1-line block ×4, first 2 shown]
	v_mov_b32_e32 v0, 0
	ds_read_b128 v[8:11], v0 offset:1008
	s_waitcnt vmcnt(2) lgkmcnt(0)
	v_mul_f64 v[18:19], v[8:9], v[14:15]
	v_mul_f64 v[14:15], v[10:11], v[14:15]
	s_waitcnt vmcnt(0)
	v_fmac_f64_e32 v[18:19], v[10:11], v[16:17]
	v_fma_f64 v[8:9], v[8:9], v[16:17], -v[14:15]
	v_add_f64 v[2:3], v[2:3], v[18:19]
	v_add_f64 v[4:5], v[4:5], v[8:9]
.LBB61_22:
	s_or_b64 exec, exec, s[10:11]
	v_mov_b32_e32 v0, 0
	ds_read_b128 v[8:11], v0 offset:32
	s_waitcnt lgkmcnt(0)
	v_mul_f64 v[14:15], v[2:3], v[10:11]
	v_mul_f64 v[10:11], v[4:5], v[10:11]
	v_fma_f64 v[4:5], v[4:5], v[8:9], -v[14:15]
	v_fmac_f64_e32 v[10:11], v[2:3], v[8:9]
	buffer_store_dword v5, off, s[0:3], 0 offset:52
	buffer_store_dword v4, off, s[0:3], 0 offset:48
	;; [unrolled: 1-line block ×4, first 2 shown]
.LBB61_23:
	s_or_b64 exec, exec, s[6:7]
	v_accvgpr_read_b32 v0, a182
	s_waitcnt lgkmcnt(0)
	; wave barrier
	buffer_load_dword v2, v0, s[0:3], 0 offen
	buffer_load_dword v3, v0, s[0:3], 0 offen offset:4
	buffer_load_dword v4, v0, s[0:3], 0 offen offset:8
	;; [unrolled: 1-line block ×3, first 2 shown]
	v_cmp_gt_u32_e64 s[6:7], 3, v226
	v_add_u32_e32 v7, -1, v226
	s_waitcnt vmcnt(0)
	ds_write_b128 v6, v[2:5]
	s_waitcnt lgkmcnt(0)
	; wave barrier
	s_waitcnt lgkmcnt(0)
	s_and_saveexec_b64 s[10:11], s[6:7]
	s_cbranch_execz .LBB61_27
; %bb.24:
	v_pk_mov_b32 v[2:3], 0, 0
	v_add_u32_e32 v8, -1, v226
	v_add_u32_e32 v9, 0x3e0, v1
	v_add_u32_e32 v10, 16, v1
	s_mov_b64 s[12:13], 0
	v_pk_mov_b32 v[4:5], v[2:3], v[2:3] op_sel:[0,1]
.LBB61_25:                              ; =>This Inner Loop Header: Depth=1
	buffer_load_dword v18, v10, s[0:3], 0 offen offset:8
	buffer_load_dword v19, v10, s[0:3], 0 offen offset:12
	buffer_load_dword v20, v10, s[0:3], 0 offen
	buffer_load_dword v21, v10, s[0:3], 0 offen offset:4
	ds_read_b128 v[14:17], v9
	v_add_u32_e32 v8, 1, v8
	v_cmp_lt_u32_e64 s[6:7], 1, v8
	v_add_u32_e32 v9, 16, v9
	v_add_u32_e32 v10, 16, v10
	s_or_b64 s[12:13], s[6:7], s[12:13]
	s_waitcnt vmcnt(2) lgkmcnt(0)
	v_mul_f64 v[22:23], v[16:17], v[18:19]
	v_mul_f64 v[18:19], v[14:15], v[18:19]
	s_waitcnt vmcnt(0)
	v_fma_f64 v[14:15], v[14:15], v[20:21], -v[22:23]
	v_fmac_f64_e32 v[18:19], v[16:17], v[20:21]
	v_add_f64 v[4:5], v[4:5], v[14:15]
	v_add_f64 v[2:3], v[2:3], v[18:19]
	s_andn2_b64 exec, exec, s[12:13]
	s_cbranch_execnz .LBB61_25
; %bb.26:
	s_or_b64 exec, exec, s[12:13]
	v_mov_b32_e32 v0, 0
	ds_read_b128 v[8:11], v0 offset:48
	s_waitcnt lgkmcnt(0)
	v_mul_f64 v[14:15], v[2:3], v[10:11]
	v_mul_f64 v[10:11], v[4:5], v[10:11]
	v_fma_f64 v[4:5], v[4:5], v[8:9], -v[14:15]
	v_fmac_f64_e32 v[10:11], v[2:3], v[8:9]
	buffer_store_dword v5, off, s[0:3], 0 offset:68
	buffer_store_dword v4, off, s[0:3], 0 offset:64
	buffer_store_dword v11, off, s[0:3], 0 offset:76
	buffer_store_dword v10, off, s[0:3], 0 offset:72
.LBB61_27:
	s_or_b64 exec, exec, s[10:11]
	v_accvgpr_read_b32 v0, a181
	s_waitcnt lgkmcnt(0)
	; wave barrier
	buffer_load_dword v2, v0, s[0:3], 0 offen
	buffer_load_dword v3, v0, s[0:3], 0 offen offset:4
	buffer_load_dword v4, v0, s[0:3], 0 offen offset:8
	buffer_load_dword v5, v0, s[0:3], 0 offen offset:12
	v_cmp_gt_u32_e64 s[6:7], 4, v226
	s_waitcnt vmcnt(0)
	ds_write_b128 v6, v[2:5]
	s_waitcnt lgkmcnt(0)
	; wave barrier
	s_waitcnt lgkmcnt(0)
	s_and_saveexec_b64 s[12:13], s[6:7]
	s_cbranch_execz .LBB61_31
; %bb.28:
	v_pk_mov_b32 v[2:3], 0, 0
	v_add_u32_e32 v8, -1, v226
	v_add_u32_e32 v9, 0x3e0, v1
	v_add_u32_e32 v10, 16, v1
	s_mov_b64 s[16:17], 0
	v_pk_mov_b32 v[4:5], v[2:3], v[2:3] op_sel:[0,1]
.LBB61_29:                              ; =>This Inner Loop Header: Depth=1
	buffer_load_dword v18, v10, s[0:3], 0 offen offset:8
	buffer_load_dword v19, v10, s[0:3], 0 offen offset:12
	buffer_load_dword v20, v10, s[0:3], 0 offen
	buffer_load_dword v21, v10, s[0:3], 0 offen offset:4
	ds_read_b128 v[14:17], v9
	v_add_u32_e32 v8, 1, v8
	v_cmp_lt_u32_e64 s[10:11], 2, v8
	v_add_u32_e32 v9, 16, v9
	v_add_u32_e32 v10, 16, v10
	s_or_b64 s[16:17], s[10:11], s[16:17]
	s_waitcnt vmcnt(2) lgkmcnt(0)
	v_mul_f64 v[22:23], v[16:17], v[18:19]
	v_mul_f64 v[18:19], v[14:15], v[18:19]
	s_waitcnt vmcnt(0)
	v_fma_f64 v[14:15], v[14:15], v[20:21], -v[22:23]
	v_fmac_f64_e32 v[18:19], v[16:17], v[20:21]
	v_add_f64 v[4:5], v[4:5], v[14:15]
	v_add_f64 v[2:3], v[2:3], v[18:19]
	s_andn2_b64 exec, exec, s[16:17]
	s_cbranch_execnz .LBB61_29
; %bb.30:
	s_or_b64 exec, exec, s[16:17]
	v_mov_b32_e32 v0, 0
	ds_read_b128 v[8:11], v0 offset:64
	s_waitcnt lgkmcnt(0)
	v_mul_f64 v[14:15], v[2:3], v[10:11]
	v_mul_f64 v[10:11], v[4:5], v[10:11]
	v_fma_f64 v[4:5], v[4:5], v[8:9], -v[14:15]
	v_fmac_f64_e32 v[10:11], v[2:3], v[8:9]
	buffer_store_dword v5, off, s[0:3], 0 offset:84
	buffer_store_dword v4, off, s[0:3], 0 offset:80
	buffer_store_dword v11, off, s[0:3], 0 offset:92
	buffer_store_dword v10, off, s[0:3], 0 offset:88
.LBB61_31:
	s_or_b64 exec, exec, s[12:13]
	v_accvgpr_read_b32 v0, a180
	s_waitcnt lgkmcnt(0)
	; wave barrier
	buffer_load_dword v2, v0, s[0:3], 0 offen
	buffer_load_dword v3, v0, s[0:3], 0 offen offset:4
	buffer_load_dword v4, v0, s[0:3], 0 offen offset:8
	buffer_load_dword v5, v0, s[0:3], 0 offen offset:12
	v_cmp_gt_u32_e64 s[10:11], 5, v226
	;; [unrolled: 58-line block ×5, first 2 shown]
	s_waitcnt vmcnt(0)
	ds_write_b128 v6, v[2:5]
	s_waitcnt lgkmcnt(0)
	; wave barrier
	s_waitcnt lgkmcnt(0)
	s_and_saveexec_b64 s[16:17], s[12:13]
	s_cbranch_execz .LBB61_59
; %bb.44:
	buffer_load_dword v8, v12, s[0:3], 0 offen offset:8
	buffer_load_dword v9, v12, s[0:3], 0 offen offset:12
	buffer_load_dword v10, v12, s[0:3], 0 offen
	buffer_load_dword v11, v12, s[0:3], 0 offen offset:4
	ds_read_b128 v[2:5], v6
	v_cmp_ne_u32_e64 s[12:13], 7, v226
	s_waitcnt vmcnt(2) lgkmcnt(0)
	v_mul_f64 v[14:15], v[4:5], v[8:9]
	v_mul_f64 v[8:9], v[2:3], v[8:9]
	s_waitcnt vmcnt(0)
	v_fma_f64 v[2:3], v[2:3], v[10:11], -v[14:15]
	v_fmac_f64_e32 v[8:9], v[4:5], v[10:11]
	v_add_f64 v[4:5], v[2:3], 0
	v_add_f64 v[2:3], v[8:9], 0
	s_and_saveexec_b64 s[18:19], s[12:13]
	s_cbranch_execz .LBB61_58
; %bb.45:
	buffer_load_dword v14, v12, s[0:3], 0 offen offset:24
	buffer_load_dword v15, v12, s[0:3], 0 offen offset:28
	;; [unrolled: 1-line block ×4, first 2 shown]
	ds_read_b128 v[8:11], v6 offset:16
	s_waitcnt vmcnt(2) lgkmcnt(0)
	v_mul_f64 v[18:19], v[10:11], v[14:15]
	v_mul_f64 v[14:15], v[8:9], v[14:15]
	s_waitcnt vmcnt(0)
	v_fma_f64 v[8:9], v[8:9], v[16:17], -v[18:19]
	v_fmac_f64_e32 v[14:15], v[10:11], v[16:17]
	v_add_f64 v[4:5], v[4:5], v[8:9]
	v_add_f64 v[2:3], v[2:3], v[14:15]
	s_and_saveexec_b64 s[12:13], s[10:11]
	s_cbranch_execz .LBB61_57
; %bb.46:
	buffer_load_dword v14, v12, s[0:3], 0 offen offset:40
	buffer_load_dword v15, v12, s[0:3], 0 offen offset:44
	;; [unrolled: 1-line block ×4, first 2 shown]
	ds_read_b128 v[8:11], v6 offset:32
	v_cmp_ne_u32_e64 s[10:11], 5, v226
	s_waitcnt vmcnt(2) lgkmcnt(0)
	v_mul_f64 v[18:19], v[10:11], v[14:15]
	v_mul_f64 v[14:15], v[8:9], v[14:15]
	s_waitcnt vmcnt(0)
	v_fma_f64 v[8:9], v[8:9], v[16:17], -v[18:19]
	v_fmac_f64_e32 v[14:15], v[10:11], v[16:17]
	v_add_f64 v[4:5], v[4:5], v[8:9]
	v_add_f64 v[2:3], v[2:3], v[14:15]
	s_and_saveexec_b64 s[24:25], s[10:11]
	s_cbranch_execz .LBB61_56
; %bb.47:
	buffer_load_dword v14, v12, s[0:3], 0 offen offset:56
	buffer_load_dword v15, v12, s[0:3], 0 offen offset:60
	buffer_load_dword v16, v12, s[0:3], 0 offen offset:48
	buffer_load_dword v17, v12, s[0:3], 0 offen offset:52
	ds_read_b128 v[8:11], v6 offset:48
	s_waitcnt vmcnt(2) lgkmcnt(0)
	v_mul_f64 v[18:19], v[10:11], v[14:15]
	v_mul_f64 v[14:15], v[8:9], v[14:15]
	s_waitcnt vmcnt(0)
	v_fma_f64 v[8:9], v[8:9], v[16:17], -v[18:19]
	v_fmac_f64_e32 v[14:15], v[10:11], v[16:17]
	v_add_f64 v[4:5], v[4:5], v[8:9]
	v_add_f64 v[2:3], v[2:3], v[14:15]
	s_and_saveexec_b64 s[10:11], s[6:7]
	s_cbranch_execz .LBB61_55
; %bb.48:
	buffer_load_dword v14, v12, s[0:3], 0 offen offset:72
	buffer_load_dword v15, v12, s[0:3], 0 offen offset:76
	;; [unrolled: 1-line block ×4, first 2 shown]
	ds_read_b128 v[8:11], v6 offset:64
	v_cmp_ne_u32_e64 s[6:7], 3, v226
	s_waitcnt vmcnt(2) lgkmcnt(0)
	v_mul_f64 v[18:19], v[10:11], v[14:15]
	v_mul_f64 v[14:15], v[8:9], v[14:15]
	s_waitcnt vmcnt(0)
	v_fma_f64 v[8:9], v[8:9], v[16:17], -v[18:19]
	v_fmac_f64_e32 v[14:15], v[10:11], v[16:17]
	v_add_f64 v[4:5], v[4:5], v[8:9]
	v_add_f64 v[2:3], v[2:3], v[14:15]
	s_and_saveexec_b64 s[26:27], s[6:7]
	s_cbranch_execz .LBB61_54
; %bb.49:
	buffer_load_dword v14, v12, s[0:3], 0 offen offset:88
	buffer_load_dword v15, v12, s[0:3], 0 offen offset:92
	;; [unrolled: 1-line block ×4, first 2 shown]
	ds_read_b128 v[8:11], v6 offset:80
	s_waitcnt vmcnt(2) lgkmcnt(0)
	v_mul_f64 v[18:19], v[10:11], v[14:15]
	v_mul_f64 v[14:15], v[8:9], v[14:15]
	s_waitcnt vmcnt(0)
	v_fma_f64 v[8:9], v[8:9], v[16:17], -v[18:19]
	v_fmac_f64_e32 v[14:15], v[10:11], v[16:17]
	v_add_f64 v[4:5], v[4:5], v[8:9]
	v_add_f64 v[2:3], v[2:3], v[14:15]
	s_and_saveexec_b64 s[6:7], vcc
	s_cbranch_execz .LBB61_53
; %bb.50:
	buffer_load_dword v14, v12, s[0:3], 0 offen offset:104
	buffer_load_dword v15, v12, s[0:3], 0 offen offset:108
	buffer_load_dword v16, v12, s[0:3], 0 offen offset:96
	buffer_load_dword v17, v12, s[0:3], 0 offen offset:100
	ds_read_b128 v[8:11], v6 offset:96
	s_waitcnt vmcnt(2) lgkmcnt(0)
	v_mul_f64 v[18:19], v[10:11], v[14:15]
	v_mul_f64 v[14:15], v[8:9], v[14:15]
	s_waitcnt vmcnt(0)
	v_fma_f64 v[8:9], v[8:9], v[16:17], -v[18:19]
	v_fmac_f64_e32 v[14:15], v[10:11], v[16:17]
	v_add_f64 v[4:5], v[4:5], v[8:9]
	v_add_f64 v[2:3], v[2:3], v[14:15]
	s_and_saveexec_b64 s[28:29], s[4:5]
	s_cbranch_execz .LBB61_52
; %bb.51:
	buffer_load_dword v14, v12, s[0:3], 0 offen offset:120
	buffer_load_dword v15, v12, s[0:3], 0 offen offset:124
	;; [unrolled: 1-line block ×4, first 2 shown]
	ds_read_b128 v[8:11], v6 offset:112
	s_waitcnt vmcnt(2) lgkmcnt(0)
	v_mul_f64 v[12:13], v[10:11], v[14:15]
	v_mul_f64 v[14:15], v[8:9], v[14:15]
	s_waitcnt vmcnt(0)
	v_fma_f64 v[8:9], v[8:9], v[16:17], -v[12:13]
	v_fmac_f64_e32 v[14:15], v[10:11], v[16:17]
	v_add_f64 v[4:5], v[4:5], v[8:9]
	v_add_f64 v[2:3], v[2:3], v[14:15]
.LBB61_52:
	s_or_b64 exec, exec, s[28:29]
.LBB61_53:
	s_or_b64 exec, exec, s[6:7]
.LBB61_54:
	s_or_b64 exec, exec, s[26:27]
.LBB61_55:
	s_or_b64 exec, exec, s[10:11]
.LBB61_56:
	s_or_b64 exec, exec, s[24:25]
.LBB61_57:
	s_or_b64 exec, exec, s[12:13]
.LBB61_58:
	s_or_b64 exec, exec, s[18:19]
	v_mov_b32_e32 v0, 0
	ds_read_b128 v[8:11], v0 offset:128
	s_waitcnt lgkmcnt(0)
	v_mul_f64 v[12:13], v[2:3], v[10:11]
	v_mul_f64 v[10:11], v[4:5], v[10:11]
	v_fma_f64 v[4:5], v[4:5], v[8:9], -v[12:13]
	v_fmac_f64_e32 v[10:11], v[2:3], v[8:9]
	buffer_store_dword v5, off, s[0:3], 0 offset:148
	buffer_store_dword v4, off, s[0:3], 0 offset:144
	buffer_store_dword v11, off, s[0:3], 0 offset:156
	buffer_store_dword v10, off, s[0:3], 0 offset:152
.LBB61_59:
	s_or_b64 exec, exec, s[16:17]
	v_accvgpr_read_b32 v0, a176
	s_waitcnt lgkmcnt(0)
	; wave barrier
	buffer_load_dword v2, v0, s[0:3], 0 offen
	buffer_load_dword v3, v0, s[0:3], 0 offen offset:4
	buffer_load_dword v4, v0, s[0:3], 0 offen offset:8
	buffer_load_dword v5, v0, s[0:3], 0 offen offset:12
	v_cmp_gt_u32_e32 vcc, 9, v226
	s_waitcnt vmcnt(0)
	ds_write_b128 v6, v[2:5]
	s_waitcnt lgkmcnt(0)
	; wave barrier
	s_waitcnt lgkmcnt(0)
	s_and_saveexec_b64 s[4:5], vcc
	s_cbranch_execz .LBB61_63
; %bb.60:
	v_pk_mov_b32 v[2:3], 0, 0
	v_add_u32_e32 v8, -1, v226
	v_add_u32_e32 v9, 0x3e0, v1
	v_add_u32_e32 v10, 16, v1
	s_mov_b64 s[6:7], 0
	v_pk_mov_b32 v[4:5], v[2:3], v[2:3] op_sel:[0,1]
.LBB61_61:                              ; =>This Inner Loop Header: Depth=1
	buffer_load_dword v16, v10, s[0:3], 0 offen offset:8
	buffer_load_dword v17, v10, s[0:3], 0 offen offset:12
	buffer_load_dword v18, v10, s[0:3], 0 offen
	buffer_load_dword v19, v10, s[0:3], 0 offen offset:4
	ds_read_b128 v[12:15], v9
	v_add_u32_e32 v8, 1, v8
	v_cmp_lt_u32_e32 vcc, 7, v8
	v_add_u32_e32 v9, 16, v9
	v_add_u32_e32 v10, 16, v10
	s_or_b64 s[6:7], vcc, s[6:7]
	s_waitcnt vmcnt(2) lgkmcnt(0)
	v_mul_f64 v[20:21], v[14:15], v[16:17]
	v_mul_f64 v[16:17], v[12:13], v[16:17]
	s_waitcnt vmcnt(0)
	v_fma_f64 v[12:13], v[12:13], v[18:19], -v[20:21]
	v_fmac_f64_e32 v[16:17], v[14:15], v[18:19]
	v_add_f64 v[4:5], v[4:5], v[12:13]
	v_add_f64 v[2:3], v[2:3], v[16:17]
	s_andn2_b64 exec, exec, s[6:7]
	s_cbranch_execnz .LBB61_61
; %bb.62:
	s_or_b64 exec, exec, s[6:7]
	v_mov_b32_e32 v0, 0
	ds_read_b128 v[8:11], v0 offset:144
	s_waitcnt lgkmcnt(0)
	v_mul_f64 v[12:13], v[2:3], v[10:11]
	v_mul_f64 v[10:11], v[4:5], v[10:11]
	v_fma_f64 v[4:5], v[4:5], v[8:9], -v[12:13]
	v_fmac_f64_e32 v[10:11], v[2:3], v[8:9]
	buffer_store_dword v5, off, s[0:3], 0 offset:164
	buffer_store_dword v4, off, s[0:3], 0 offset:160
	buffer_store_dword v11, off, s[0:3], 0 offset:172
	buffer_store_dword v10, off, s[0:3], 0 offset:168
.LBB61_63:
	s_or_b64 exec, exec, s[4:5]
	v_accvgpr_read_b32 v0, a175
	s_waitcnt lgkmcnt(0)
	; wave barrier
	buffer_load_dword v2, v0, s[0:3], 0 offen
	buffer_load_dword v3, v0, s[0:3], 0 offen offset:4
	buffer_load_dword v4, v0, s[0:3], 0 offen offset:8
	buffer_load_dword v5, v0, s[0:3], 0 offen offset:12
	v_cmp_gt_u32_e32 vcc, 10, v226
	s_waitcnt vmcnt(0)
	ds_write_b128 v6, v[2:5]
	s_waitcnt lgkmcnt(0)
	; wave barrier
	s_waitcnt lgkmcnt(0)
	s_and_saveexec_b64 s[4:5], vcc
	s_cbranch_execz .LBB61_67
; %bb.64:
	v_pk_mov_b32 v[2:3], 0, 0
	v_add_u32_e32 v8, -1, v226
	v_add_u32_e32 v9, 0x3e0, v1
	v_add_u32_e32 v10, 16, v1
	s_mov_b64 s[6:7], 0
	v_pk_mov_b32 v[4:5], v[2:3], v[2:3] op_sel:[0,1]
.LBB61_65:                              ; =>This Inner Loop Header: Depth=1
	buffer_load_dword v16, v10, s[0:3], 0 offen offset:8
	buffer_load_dword v17, v10, s[0:3], 0 offen offset:12
	buffer_load_dword v18, v10, s[0:3], 0 offen
	buffer_load_dword v19, v10, s[0:3], 0 offen offset:4
	ds_read_b128 v[12:15], v9
	v_add_u32_e32 v8, 1, v8
	v_cmp_lt_u32_e32 vcc, 8, v8
	v_add_u32_e32 v9, 16, v9
	v_add_u32_e32 v10, 16, v10
	s_or_b64 s[6:7], vcc, s[6:7]
	s_waitcnt vmcnt(2) lgkmcnt(0)
	v_mul_f64 v[20:21], v[14:15], v[16:17]
	v_mul_f64 v[16:17], v[12:13], v[16:17]
	s_waitcnt vmcnt(0)
	v_fma_f64 v[12:13], v[12:13], v[18:19], -v[20:21]
	v_fmac_f64_e32 v[16:17], v[14:15], v[18:19]
	v_add_f64 v[4:5], v[4:5], v[12:13]
	v_add_f64 v[2:3], v[2:3], v[16:17]
	s_andn2_b64 exec, exec, s[6:7]
	s_cbranch_execnz .LBB61_65
; %bb.66:
	s_or_b64 exec, exec, s[6:7]
	v_mov_b32_e32 v0, 0
	ds_read_b128 v[8:11], v0 offset:160
	s_waitcnt lgkmcnt(0)
	v_mul_f64 v[12:13], v[2:3], v[10:11]
	v_mul_f64 v[10:11], v[4:5], v[10:11]
	v_fma_f64 v[4:5], v[4:5], v[8:9], -v[12:13]
	v_fmac_f64_e32 v[10:11], v[2:3], v[8:9]
	buffer_store_dword v5, off, s[0:3], 0 offset:180
	buffer_store_dword v4, off, s[0:3], 0 offset:176
	buffer_store_dword v11, off, s[0:3], 0 offset:188
	buffer_store_dword v10, off, s[0:3], 0 offset:184
.LBB61_67:
	;; [unrolled: 58-line block ×10, first 2 shown]
	s_or_b64 exec, exec, s[4:5]
	v_accvgpr_read_b32 v0, a166
	s_waitcnt lgkmcnt(0)
	; wave barrier
	buffer_load_dword v2, v0, s[0:3], 0 offen
	buffer_load_dword v3, v0, s[0:3], 0 offen offset:4
	buffer_load_dword v4, v0, s[0:3], 0 offen offset:8
	buffer_load_dword v5, v0, s[0:3], 0 offen offset:12
	v_cmp_gt_u32_e32 vcc, 19, v226
	s_waitcnt vmcnt(0)
	ds_write_b128 v6, v[2:5]
	s_waitcnt lgkmcnt(0)
	; wave barrier
	s_waitcnt lgkmcnt(0)
	s_and_saveexec_b64 s[4:5], vcc
	s_cbranch_execz .LBB61_103
; %bb.100:
	v_pk_mov_b32 v[2:3], 0, 0
	v_add_u32_e32 v8, -1, v226
	v_add_u32_e32 v9, 0x3e0, v1
	v_add_u32_e32 v10, 16, v1
	s_mov_b64 s[6:7], 0
	v_pk_mov_b32 v[4:5], v[2:3], v[2:3] op_sel:[0,1]
.LBB61_101:                             ; =>This Inner Loop Header: Depth=1
	buffer_load_dword v16, v10, s[0:3], 0 offen offset:8
	buffer_load_dword v17, v10, s[0:3], 0 offen offset:12
	buffer_load_dword v18, v10, s[0:3], 0 offen
	buffer_load_dword v19, v10, s[0:3], 0 offen offset:4
	ds_read_b128 v[12:15], v9
	v_add_u32_e32 v8, 1, v8
	v_cmp_lt_u32_e32 vcc, 17, v8
	v_add_u32_e32 v9, 16, v9
	v_add_u32_e32 v10, 16, v10
	s_or_b64 s[6:7], vcc, s[6:7]
	s_waitcnt vmcnt(2) lgkmcnt(0)
	v_mul_f64 v[20:21], v[14:15], v[16:17]
	v_mul_f64 v[16:17], v[12:13], v[16:17]
	s_waitcnt vmcnt(0)
	v_fma_f64 v[12:13], v[12:13], v[18:19], -v[20:21]
	v_fmac_f64_e32 v[16:17], v[14:15], v[18:19]
	v_add_f64 v[4:5], v[4:5], v[12:13]
	v_add_f64 v[2:3], v[2:3], v[16:17]
	s_andn2_b64 exec, exec, s[6:7]
	s_cbranch_execnz .LBB61_101
; %bb.102:
	s_or_b64 exec, exec, s[6:7]
	v_mov_b32_e32 v0, 0
	ds_read_b128 v[8:11], v0 offset:304
	s_waitcnt lgkmcnt(0)
	v_mul_f64 v[12:13], v[2:3], v[10:11]
	v_mul_f64 v[10:11], v[4:5], v[10:11]
	v_fma_f64 v[4:5], v[4:5], v[8:9], -v[12:13]
	v_fmac_f64_e32 v[10:11], v[2:3], v[8:9]
	buffer_store_dword v5, off, s[0:3], 0 offset:324
	buffer_store_dword v4, off, s[0:3], 0 offset:320
	buffer_store_dword v11, off, s[0:3], 0 offset:332
	buffer_store_dword v10, off, s[0:3], 0 offset:328
.LBB61_103:
	s_or_b64 exec, exec, s[4:5]
	v_accvgpr_read_b32 v0, a165
	s_waitcnt lgkmcnt(0)
	; wave barrier
	buffer_load_dword v2, v0, s[0:3], 0 offen
	buffer_load_dword v3, v0, s[0:3], 0 offen offset:4
	buffer_load_dword v4, v0, s[0:3], 0 offen offset:8
	buffer_load_dword v5, v0, s[0:3], 0 offen offset:12
	v_cmp_gt_u32_e32 vcc, 20, v226
	s_waitcnt vmcnt(0)
	ds_write_b128 v6, v[2:5]
	s_waitcnt lgkmcnt(0)
	; wave barrier
	s_waitcnt lgkmcnt(0)
	s_and_saveexec_b64 s[4:5], vcc
	s_cbranch_execz .LBB61_107
; %bb.104:
	v_pk_mov_b32 v[2:3], 0, 0
	v_add_u32_e32 v8, -1, v226
	v_add_u32_e32 v9, 0x3e0, v1
	v_add_u32_e32 v10, 16, v1
	s_mov_b64 s[6:7], 0
	v_pk_mov_b32 v[4:5], v[2:3], v[2:3] op_sel:[0,1]
.LBB61_105:                             ; =>This Inner Loop Header: Depth=1
	buffer_load_dword v16, v10, s[0:3], 0 offen offset:8
	buffer_load_dword v17, v10, s[0:3], 0 offen offset:12
	buffer_load_dword v18, v10, s[0:3], 0 offen
	buffer_load_dword v19, v10, s[0:3], 0 offen offset:4
	ds_read_b128 v[12:15], v9
	v_add_u32_e32 v8, 1, v8
	v_cmp_lt_u32_e32 vcc, 18, v8
	v_add_u32_e32 v9, 16, v9
	v_add_u32_e32 v10, 16, v10
	s_or_b64 s[6:7], vcc, s[6:7]
	s_waitcnt vmcnt(2) lgkmcnt(0)
	v_mul_f64 v[20:21], v[14:15], v[16:17]
	v_mul_f64 v[16:17], v[12:13], v[16:17]
	s_waitcnt vmcnt(0)
	v_fma_f64 v[12:13], v[12:13], v[18:19], -v[20:21]
	v_fmac_f64_e32 v[16:17], v[14:15], v[18:19]
	v_add_f64 v[4:5], v[4:5], v[12:13]
	v_add_f64 v[2:3], v[2:3], v[16:17]
	s_andn2_b64 exec, exec, s[6:7]
	s_cbranch_execnz .LBB61_105
; %bb.106:
	s_or_b64 exec, exec, s[6:7]
	v_mov_b32_e32 v0, 0
	ds_read_b128 v[8:11], v0 offset:320
	s_waitcnt lgkmcnt(0)
	v_mul_f64 v[12:13], v[2:3], v[10:11]
	v_mul_f64 v[10:11], v[4:5], v[10:11]
	v_fma_f64 v[4:5], v[4:5], v[8:9], -v[12:13]
	v_fmac_f64_e32 v[10:11], v[2:3], v[8:9]
	buffer_store_dword v5, off, s[0:3], 0 offset:340
	buffer_store_dword v4, off, s[0:3], 0 offset:336
	buffer_store_dword v11, off, s[0:3], 0 offset:348
	buffer_store_dword v10, off, s[0:3], 0 offset:344
.LBB61_107:
	;; [unrolled: 58-line block ×42, first 2 shown]
	s_or_b64 exec, exec, s[4:5]
	v_accvgpr_read_b32 v0, a124
	s_waitcnt lgkmcnt(0)
	; wave barrier
	buffer_load_dword v2, v0, s[0:3], 0 offen
	buffer_load_dword v3, v0, s[0:3], 0 offen offset:4
	buffer_load_dword v4, v0, s[0:3], 0 offen offset:8
	;; [unrolled: 1-line block ×3, first 2 shown]
	v_cmp_ne_u32_e32 vcc, 61, v226
	s_waitcnt vmcnt(0)
	ds_write_b128 v6, v[2:5]
	s_waitcnt lgkmcnt(0)
	; wave barrier
	s_waitcnt lgkmcnt(0)
	s_and_saveexec_b64 s[4:5], vcc
	s_cbranch_execz .LBB61_271
; %bb.268:
	v_pk_mov_b32 v[2:3], 0, 0
	v_add_u32_e32 v6, 0x3e0, v1
	v_add_u32_e32 v1, 16, v1
	s_mov_b64 s[6:7], 0
	v_pk_mov_b32 v[4:5], v[2:3], v[2:3] op_sel:[0,1]
.LBB61_269:                             ; =>This Inner Loop Header: Depth=1
	buffer_load_dword v12, v1, s[0:3], 0 offen offset:8
	buffer_load_dword v13, v1, s[0:3], 0 offen offset:12
	buffer_load_dword v14, v1, s[0:3], 0 offen
	buffer_load_dword v15, v1, s[0:3], 0 offen offset:4
	ds_read_b128 v[8:11], v6
	v_add_u32_e32 v7, 1, v7
	v_cmp_lt_u32_e32 vcc, 59, v7
	v_add_u32_e32 v6, 16, v6
	v_add_u32_e32 v1, 16, v1
	s_or_b64 s[6:7], vcc, s[6:7]
	s_waitcnt vmcnt(2) lgkmcnt(0)
	v_mul_f64 v[16:17], v[10:11], v[12:13]
	v_mul_f64 v[12:13], v[8:9], v[12:13]
	s_waitcnt vmcnt(0)
	v_fma_f64 v[8:9], v[8:9], v[14:15], -v[16:17]
	v_fmac_f64_e32 v[12:13], v[10:11], v[14:15]
	v_add_f64 v[4:5], v[4:5], v[8:9]
	v_add_f64 v[2:3], v[2:3], v[12:13]
	s_andn2_b64 exec, exec, s[6:7]
	s_cbranch_execnz .LBB61_269
; %bb.270:
	s_or_b64 exec, exec, s[6:7]
	v_mov_b32_e32 v0, 0
	ds_read_b128 v[6:9], v0 offset:976
	s_waitcnt lgkmcnt(0)
	v_mul_f64 v[0:1], v[2:3], v[8:9]
	v_mul_f64 v[8:9], v[4:5], v[8:9]
	v_fma_f64 v[0:1], v[4:5], v[6:7], -v[0:1]
	v_fmac_f64_e32 v[8:9], v[2:3], v[6:7]
	buffer_store_dword v1, off, s[0:3], 0 offset:996
	buffer_store_dword v0, off, s[0:3], 0 offset:992
	buffer_store_dword v9, off, s[0:3], 0 offset:1004
	buffer_store_dword v8, off, s[0:3], 0 offset:1000
.LBB61_271:
	s_or_b64 exec, exec, s[4:5]
	s_mov_b64 s[6:7], -1
	s_waitcnt lgkmcnt(0)
	; wave barrier
.LBB61_272:
	s_and_b64 vcc, exec, s[6:7]
	s_cbranch_vccz .LBB61_274
; %bb.273:
	s_lshl_b64 s[4:5], s[8:9], 2
	s_add_u32 s4, s14, s4
	s_addc_u32 s5, s15, s5
	v_mov_b32_e32 v0, 0
	global_load_dword v0, v0, s[4:5]
	s_waitcnt vmcnt(0)
	v_cmp_ne_u32_e32 vcc, 0, v0
	s_cbranch_vccz .LBB61_275
.LBB61_274:
	s_endpgm
.LBB61_275:
	v_mov_b32_e32 v0, 0x3e0
	v_lshl_add_u32 v0, v226, 4, v0
	v_accvgpr_write_b32 a186, v0
	v_cmp_eq_u32_e32 vcc, 61, v226
	s_and_saveexec_b64 s[4:5], vcc
	s_cbranch_execz .LBB61_277
; %bb.276:
	v_accvgpr_read_b32 v0, a125
	buffer_load_dword v2, v0, s[0:3], 0 offen
	buffer_load_dword v3, v0, s[0:3], 0 offen offset:4
	buffer_load_dword v4, v0, s[0:3], 0 offen offset:8
	;; [unrolled: 1-line block ×3, first 2 shown]
	v_mov_b32_e32 v0, 0
	v_accvgpr_read_b32 v1, a186
	buffer_store_dword v0, off, s[0:3], 0 offset:976
	buffer_store_dword v0, off, s[0:3], 0 offset:980
	;; [unrolled: 1-line block ×4, first 2 shown]
	s_waitcnt vmcnt(4)
	ds_write_b128 v1, v[2:5]
.LBB61_277:
	s_or_b64 exec, exec, s[4:5]
	s_waitcnt lgkmcnt(0)
	; wave barrier
	s_waitcnt lgkmcnt(0)
	buffer_load_dword v0, off, s[0:3], 0 offset:1000
	buffer_load_dword v1, off, s[0:3], 0 offset:1004
	;; [unrolled: 1-line block ×8, first 2 shown]
	v_mov_b32_e32 v2, 0
	ds_read_b128 v[4:7], v2 offset:1968
	v_cmp_lt_u32_e32 vcc, 59, v226
	s_waitcnt vmcnt(6) lgkmcnt(0)
	v_mul_f64 v[14:15], v[4:5], v[0:1]
	v_mul_f64 v[0:1], v[6:7], v[0:1]
	s_waitcnt vmcnt(4)
	v_fma_f64 v[0:1], v[4:5], v[8:9], -v[0:1]
	v_fmac_f64_e32 v[14:15], v[6:7], v[8:9]
	v_add_f64 v[0:1], v[0:1], 0
	v_add_f64 v[4:5], v[14:15], 0
	s_waitcnt vmcnt(2)
	v_add_f64 v[0:1], v[10:11], -v[0:1]
	s_waitcnt vmcnt(0)
	v_add_f64 v[4:5], v[12:13], -v[4:5]
	buffer_store_dword v0, off, s[0:3], 0 offset:976
	buffer_store_dword v1, off, s[0:3], 0 offset:980
	;; [unrolled: 1-line block ×4, first 2 shown]
	s_and_saveexec_b64 s[4:5], vcc
	s_cbranch_execz .LBB61_279
; %bb.278:
	v_accvgpr_read_b32 v0, a126
	buffer_load_dword v4, v0, s[0:3], 0 offen
	buffer_load_dword v5, v0, s[0:3], 0 offen offset:4
	buffer_load_dword v6, v0, s[0:3], 0 offen offset:8
	;; [unrolled: 1-line block ×3, first 2 shown]
	v_accvgpr_read_b32 v0, a186
	buffer_store_dword v2, off, s[0:3], 0 offset:960
	buffer_store_dword v2, off, s[0:3], 0 offset:964
	;; [unrolled: 1-line block ×4, first 2 shown]
	s_waitcnt vmcnt(4)
	ds_write_b128 v0, v[4:7]
.LBB61_279:
	s_or_b64 exec, exec, s[4:5]
	s_waitcnt lgkmcnt(0)
	; wave barrier
	s_waitcnt lgkmcnt(0)
	buffer_load_dword v0, off, s[0:3], 0 offset:984
	buffer_load_dword v1, off, s[0:3], 0 offset:988
	;; [unrolled: 1-line block ×12, first 2 shown]
	ds_read_b128 v[4:7], v2 offset:1952
	ds_read_b128 v[8:11], v2 offset:1968
	v_cmp_lt_u32_e32 vcc, 58, v226
	s_waitcnt vmcnt(10) lgkmcnt(1)
	v_mul_f64 v[2:3], v[4:5], v[0:1]
	v_mul_f64 v[0:1], v[6:7], v[0:1]
	s_waitcnt vmcnt(8) lgkmcnt(0)
	v_mul_f64 v[22:23], v[8:9], v[12:13]
	v_mul_f64 v[12:13], v[10:11], v[12:13]
	s_waitcnt vmcnt(6)
	v_fma_f64 v[0:1], v[4:5], v[14:15], -v[0:1]
	v_fmac_f64_e32 v[2:3], v[6:7], v[14:15]
	s_waitcnt vmcnt(4)
	v_fma_f64 v[4:5], v[8:9], v[16:17], -v[12:13]
	v_add_f64 v[0:1], v[0:1], 0
	v_fmac_f64_e32 v[22:23], v[10:11], v[16:17]
	v_add_f64 v[2:3], v[2:3], 0
	v_add_f64 v[0:1], v[0:1], v[4:5]
	;; [unrolled: 1-line block ×3, first 2 shown]
	s_waitcnt vmcnt(2)
	v_add_f64 v[0:1], v[18:19], -v[0:1]
	s_waitcnt vmcnt(0)
	v_add_f64 v[2:3], v[20:21], -v[2:3]
	buffer_store_dword v0, off, s[0:3], 0 offset:960
	buffer_store_dword v1, off, s[0:3], 0 offset:964
	buffer_store_dword v2, off, s[0:3], 0 offset:968
	buffer_store_dword v3, off, s[0:3], 0 offset:972
	s_and_saveexec_b64 s[4:5], vcc
	s_cbranch_execz .LBB61_281
; %bb.280:
	v_accvgpr_read_b32 v0, a127
	buffer_load_dword v2, v0, s[0:3], 0 offen
	buffer_load_dword v3, v0, s[0:3], 0 offen offset:4
	buffer_load_dword v4, v0, s[0:3], 0 offen offset:8
	;; [unrolled: 1-line block ×3, first 2 shown]
	v_mov_b32_e32 v0, 0
	v_accvgpr_read_b32 v1, a186
	buffer_store_dword v0, off, s[0:3], 0 offset:944
	buffer_store_dword v0, off, s[0:3], 0 offset:948
	;; [unrolled: 1-line block ×4, first 2 shown]
	s_waitcnt vmcnt(4)
	ds_write_b128 v1, v[2:5]
.LBB61_281:
	s_or_b64 exec, exec, s[4:5]
	s_waitcnt lgkmcnt(0)
	; wave barrier
	s_waitcnt lgkmcnt(0)
	buffer_load_dword v0, off, s[0:3], 0 offset:968
	buffer_load_dword v1, off, s[0:3], 0 offset:972
	buffer_load_dword v16, off, s[0:3], 0 offset:984
	buffer_load_dword v17, off, s[0:3], 0 offset:988
	buffer_load_dword v18, off, s[0:3], 0 offset:1000
	buffer_load_dword v19, off, s[0:3], 0 offset:1004
	buffer_load_dword v20, off, s[0:3], 0 offset:960
	buffer_load_dword v21, off, s[0:3], 0 offset:964
	buffer_load_dword v22, off, s[0:3], 0 offset:976
	buffer_load_dword v23, off, s[0:3], 0 offset:980
	buffer_load_dword v24, off, s[0:3], 0 offset:992
	buffer_load_dword v25, off, s[0:3], 0 offset:996
	buffer_load_dword v26, off, s[0:3], 0 offset:944
	buffer_load_dword v27, off, s[0:3], 0 offset:948
	buffer_load_dword v28, off, s[0:3], 0 offset:952
	buffer_load_dword v29, off, s[0:3], 0 offset:956
	v_mov_b32_e32 v2, 0
	ds_read_b128 v[4:7], v2 offset:1936
	ds_read_b128 v[8:11], v2 offset:1952
	;; [unrolled: 1-line block ×3, first 2 shown]
	v_cmp_lt_u32_e32 vcc, 57, v226
	s_waitcnt vmcnt(14) lgkmcnt(2)
	v_mul_f64 v[30:31], v[4:5], v[0:1]
	v_mul_f64 v[0:1], v[6:7], v[0:1]
	s_waitcnt vmcnt(12) lgkmcnt(1)
	v_mul_f64 v[32:33], v[8:9], v[16:17]
	v_mul_f64 v[16:17], v[10:11], v[16:17]
	;; [unrolled: 3-line block ×3, first 2 shown]
	s_waitcnt vmcnt(8)
	v_fma_f64 v[0:1], v[4:5], v[20:21], -v[0:1]
	v_fmac_f64_e32 v[30:31], v[6:7], v[20:21]
	s_waitcnt vmcnt(6)
	v_fma_f64 v[4:5], v[8:9], v[22:23], -v[16:17]
	v_add_f64 v[0:1], v[0:1], 0
	v_fmac_f64_e32 v[32:33], v[10:11], v[22:23]
	s_waitcnt vmcnt(4)
	v_fma_f64 v[6:7], v[12:13], v[24:25], -v[18:19]
	v_add_f64 v[8:9], v[30:31], 0
	v_add_f64 v[0:1], v[0:1], v[4:5]
	v_fmac_f64_e32 v[34:35], v[14:15], v[24:25]
	v_add_f64 v[8:9], v[8:9], v[32:33]
	v_add_f64 v[0:1], v[0:1], v[6:7]
	;; [unrolled: 1-line block ×3, first 2 shown]
	s_waitcnt vmcnt(2)
	v_add_f64 v[0:1], v[26:27], -v[0:1]
	s_waitcnt vmcnt(0)
	v_add_f64 v[4:5], v[28:29], -v[4:5]
	buffer_store_dword v0, off, s[0:3], 0 offset:944
	buffer_store_dword v1, off, s[0:3], 0 offset:948
	;; [unrolled: 1-line block ×4, first 2 shown]
	s_and_saveexec_b64 s[4:5], vcc
	s_cbranch_execz .LBB61_283
; %bb.282:
	v_accvgpr_read_b32 v0, a128
	buffer_load_dword v4, v0, s[0:3], 0 offen
	buffer_load_dword v5, v0, s[0:3], 0 offen offset:4
	buffer_load_dword v6, v0, s[0:3], 0 offen offset:8
	buffer_load_dword v7, v0, s[0:3], 0 offen offset:12
	v_accvgpr_read_b32 v0, a186
	buffer_store_dword v2, off, s[0:3], 0 offset:928
	buffer_store_dword v2, off, s[0:3], 0 offset:932
	;; [unrolled: 1-line block ×4, first 2 shown]
	s_waitcnt vmcnt(4)
	ds_write_b128 v0, v[4:7]
.LBB61_283:
	s_or_b64 exec, exec, s[4:5]
	s_waitcnt lgkmcnt(0)
	; wave barrier
	s_waitcnt lgkmcnt(0)
	buffer_load_dword v0, off, s[0:3], 0 offset:952
	buffer_load_dword v1, off, s[0:3], 0 offset:956
	;; [unrolled: 1-line block ×20, first 2 shown]
	ds_read_b128 v[4:7], v2 offset:1920
	ds_read_b128 v[8:11], v2 offset:1936
	;; [unrolled: 1-line block ×4, first 2 shown]
	v_cmp_lt_u32_e32 vcc, 56, v226
	s_waitcnt vmcnt(18) lgkmcnt(3)
	v_mul_f64 v[2:3], v[4:5], v[0:1]
	v_mul_f64 v[0:1], v[6:7], v[0:1]
	s_waitcnt vmcnt(16) lgkmcnt(2)
	v_mul_f64 v[38:39], v[8:9], v[20:21]
	v_mul_f64 v[20:21], v[10:11], v[20:21]
	;; [unrolled: 3-line block ×4, first 2 shown]
	s_waitcnt vmcnt(10)
	v_fma_f64 v[0:1], v[4:5], v[26:27], -v[0:1]
	v_fmac_f64_e32 v[2:3], v[6:7], v[26:27]
	s_waitcnt vmcnt(8)
	v_fma_f64 v[4:5], v[8:9], v[28:29], -v[20:21]
	v_add_f64 v[0:1], v[0:1], 0
	v_fmac_f64_e32 v[38:39], v[10:11], v[28:29]
	s_waitcnt vmcnt(6)
	v_fma_f64 v[6:7], v[12:13], v[30:31], -v[22:23]
	v_add_f64 v[2:3], v[2:3], 0
	v_add_f64 v[0:1], v[0:1], v[4:5]
	v_fmac_f64_e32 v[40:41], v[14:15], v[30:31]
	s_waitcnt vmcnt(4)
	v_fma_f64 v[8:9], v[16:17], v[32:33], -v[24:25]
	v_add_f64 v[2:3], v[2:3], v[38:39]
	v_add_f64 v[0:1], v[0:1], v[6:7]
	v_fmac_f64_e32 v[42:43], v[18:19], v[32:33]
	v_add_f64 v[2:3], v[2:3], v[40:41]
	v_add_f64 v[0:1], v[0:1], v[8:9]
	;; [unrolled: 1-line block ×3, first 2 shown]
	s_waitcnt vmcnt(2)
	v_add_f64 v[0:1], v[34:35], -v[0:1]
	s_waitcnt vmcnt(0)
	v_add_f64 v[2:3], v[36:37], -v[2:3]
	buffer_store_dword v0, off, s[0:3], 0 offset:928
	buffer_store_dword v1, off, s[0:3], 0 offset:932
	;; [unrolled: 1-line block ×4, first 2 shown]
	s_and_saveexec_b64 s[4:5], vcc
	s_cbranch_execz .LBB61_285
; %bb.284:
	v_accvgpr_read_b32 v0, a129
	buffer_load_dword v2, v0, s[0:3], 0 offen
	buffer_load_dword v3, v0, s[0:3], 0 offen offset:4
	buffer_load_dword v4, v0, s[0:3], 0 offen offset:8
	;; [unrolled: 1-line block ×3, first 2 shown]
	v_mov_b32_e32 v0, 0
	v_accvgpr_read_b32 v1, a186
	buffer_store_dword v0, off, s[0:3], 0 offset:912
	buffer_store_dword v0, off, s[0:3], 0 offset:916
	;; [unrolled: 1-line block ×4, first 2 shown]
	s_waitcnt vmcnt(4)
	ds_write_b128 v1, v[2:5]
.LBB61_285:
	s_or_b64 exec, exec, s[4:5]
	s_waitcnt lgkmcnt(0)
	; wave barrier
	s_waitcnt lgkmcnt(0)
	buffer_load_dword v0, off, s[0:3], 0 offset:936
	buffer_load_dword v1, off, s[0:3], 0 offset:940
	buffer_load_dword v24, off, s[0:3], 0 offset:952
	buffer_load_dword v25, off, s[0:3], 0 offset:956
	buffer_load_dword v26, off, s[0:3], 0 offset:968
	buffer_load_dword v27, off, s[0:3], 0 offset:972
	buffer_load_dword v28, off, s[0:3], 0 offset:1000
	buffer_load_dword v30, off, s[0:3], 0 offset:992
	buffer_load_dword v33, off, s[0:3], 0 offset:988
	buffer_load_dword v32, off, s[0:3], 0 offset:984
	buffer_load_dword v29, off, s[0:3], 0 offset:1004
	buffer_load_dword v34, off, s[0:3], 0 offset:928
	buffer_load_dword v35, off, s[0:3], 0 offset:932
	buffer_load_dword v36, off, s[0:3], 0 offset:944
	buffer_load_dword v37, off, s[0:3], 0 offset:948
	buffer_load_dword v38, off, s[0:3], 0 offset:960
	buffer_load_dword v39, off, s[0:3], 0 offset:964
	buffer_load_dword v41, off, s[0:3], 0 offset:980
	buffer_load_dword v40, off, s[0:3], 0 offset:976
	buffer_load_dword v31, off, s[0:3], 0 offset:996
	buffer_load_dword v42, off, s[0:3], 0 offset:912
	buffer_load_dword v43, off, s[0:3], 0 offset:916
	buffer_load_dword v44, off, s[0:3], 0 offset:920
	buffer_load_dword v45, off, s[0:3], 0 offset:924
	v_mov_b32_e32 v2, 0
	ds_read_b128 v[4:7], v2 offset:1904
	ds_read_b128 v[8:11], v2 offset:1920
	;; [unrolled: 1-line block ×5, first 2 shown]
	v_cmp_lt_u32_e32 vcc, 55, v226
	s_waitcnt vmcnt(22) lgkmcnt(4)
	v_mul_f64 v[46:47], v[4:5], v[0:1]
	v_mul_f64 v[0:1], v[6:7], v[0:1]
	s_waitcnt vmcnt(20) lgkmcnt(3)
	v_mul_f64 v[48:49], v[8:9], v[24:25]
	v_mul_f64 v[24:25], v[10:11], v[24:25]
	;; [unrolled: 3-line block ×4, first 2 shown]
	s_waitcnt vmcnt(13) lgkmcnt(0)
	v_mul_f64 v[54:55], v[20:21], v[28:29]
	s_waitcnt vmcnt(11)
	v_fma_f64 v[0:1], v[4:5], v[34:35], -v[0:1]
	v_fmac_f64_e32 v[46:47], v[6:7], v[34:35]
	s_waitcnt vmcnt(9)
	v_fma_f64 v[4:5], v[8:9], v[36:37], -v[24:25]
	v_add_f64 v[0:1], v[0:1], 0
	v_fmac_f64_e32 v[48:49], v[10:11], v[36:37]
	s_waitcnt vmcnt(7)
	v_fma_f64 v[6:7], v[12:13], v[38:39], -v[26:27]
	v_add_f64 v[12:13], v[46:47], 0
	v_add_f64 v[0:1], v[0:1], v[4:5]
	v_mul_f64 v[28:29], v[22:23], v[28:29]
	v_fmac_f64_e32 v[50:51], v[14:15], v[38:39]
	s_waitcnt vmcnt(5)
	v_fma_f64 v[8:9], v[16:17], v[40:41], -v[32:33]
	v_add_f64 v[12:13], v[12:13], v[48:49]
	v_add_f64 v[0:1], v[0:1], v[6:7]
	v_fmac_f64_e32 v[52:53], v[18:19], v[40:41]
	s_waitcnt vmcnt(4)
	v_fma_f64 v[10:11], v[20:21], v[30:31], -v[28:29]
	v_add_f64 v[4:5], v[12:13], v[50:51]
	v_add_f64 v[0:1], v[0:1], v[8:9]
	v_fmac_f64_e32 v[54:55], v[22:23], v[30:31]
	v_add_f64 v[4:5], v[4:5], v[52:53]
	v_add_f64 v[0:1], v[0:1], v[10:11]
	;; [unrolled: 1-line block ×3, first 2 shown]
	s_waitcnt vmcnt(2)
	v_add_f64 v[0:1], v[42:43], -v[0:1]
	s_waitcnt vmcnt(0)
	v_add_f64 v[4:5], v[44:45], -v[4:5]
	buffer_store_dword v1, off, s[0:3], 0 offset:916
	buffer_store_dword v0, off, s[0:3], 0 offset:912
	;; [unrolled: 1-line block ×4, first 2 shown]
	s_and_saveexec_b64 s[4:5], vcc
	s_cbranch_execz .LBB61_287
; %bb.286:
	v_accvgpr_read_b32 v0, a130
	buffer_load_dword v4, v0, s[0:3], 0 offen
	buffer_load_dword v5, v0, s[0:3], 0 offen offset:4
	buffer_load_dword v6, v0, s[0:3], 0 offen offset:8
	;; [unrolled: 1-line block ×3, first 2 shown]
	v_accvgpr_read_b32 v0, a186
	buffer_store_dword v2, off, s[0:3], 0 offset:896
	buffer_store_dword v2, off, s[0:3], 0 offset:900
	;; [unrolled: 1-line block ×4, first 2 shown]
	s_waitcnt vmcnt(4)
	ds_write_b128 v0, v[4:7]
.LBB61_287:
	s_or_b64 exec, exec, s[4:5]
	s_waitcnt lgkmcnt(0)
	; wave barrier
	s_waitcnt lgkmcnt(0)
	buffer_load_dword v0, off, s[0:3], 0 offset:920
	buffer_load_dword v1, off, s[0:3], 0 offset:924
	;; [unrolled: 1-line block ×28, first 2 shown]
	ds_read_b128 v[4:7], v2 offset:1888
	ds_read_b128 v[8:11], v2 offset:1904
	;; [unrolled: 1-line block ×6, first 2 shown]
	v_cmp_lt_u32_e32 vcc, 54, v226
	s_waitcnt vmcnt(26) lgkmcnt(5)
	v_mul_f64 v[2:3], v[4:5], v[0:1]
	v_mul_f64 v[0:1], v[6:7], v[0:1]
	s_waitcnt vmcnt(24) lgkmcnt(4)
	v_mul_f64 v[54:55], v[8:9], v[28:29]
	v_mul_f64 v[28:29], v[10:11], v[28:29]
	s_waitcnt vmcnt(22) lgkmcnt(3)
	v_mul_f64 v[56:57], v[12:13], v[30:31]
	v_mul_f64 v[30:31], v[14:15], v[30:31]
	s_waitcnt vmcnt(20) lgkmcnt(1)
	v_mul_f64 v[60:61], v[20:21], v[32:33]
	v_mul_f64 v[32:33], v[22:23], v[32:33]
	s_waitcnt vmcnt(17)
	v_mul_f64 v[58:59], v[16:17], v[36:37]
	v_mul_f64 v[36:37], v[18:19], v[36:37]
	s_waitcnt vmcnt(15) lgkmcnt(0)
	v_mul_f64 v[62:63], v[24:25], v[38:39]
	v_mul_f64 v[38:39], v[26:27], v[38:39]
	s_waitcnt vmcnt(14)
	v_fmac_f64_e32 v[60:61], v[22:23], v[34:35]
	s_waitcnt vmcnt(12)
	v_fma_f64 v[0:1], v[4:5], v[40:41], -v[0:1]
	v_fmac_f64_e32 v[2:3], v[6:7], v[40:41]
	s_waitcnt vmcnt(10)
	v_fma_f64 v[4:5], v[8:9], v[42:43], -v[28:29]
	v_add_f64 v[0:1], v[0:1], 0
	v_fmac_f64_e32 v[54:55], v[10:11], v[42:43]
	s_waitcnt vmcnt(8)
	v_fma_f64 v[6:7], v[12:13], v[44:45], -v[30:31]
	v_add_f64 v[2:3], v[2:3], 0
	v_add_f64 v[0:1], v[0:1], v[4:5]
	v_fmac_f64_e32 v[56:57], v[14:15], v[44:45]
	s_waitcnt vmcnt(6)
	v_fma_f64 v[8:9], v[16:17], v[46:47], -v[36:37]
	v_add_f64 v[2:3], v[2:3], v[54:55]
	v_add_f64 v[0:1], v[0:1], v[6:7]
	v_fmac_f64_e32 v[58:59], v[18:19], v[46:47]
	v_fma_f64 v[10:11], v[20:21], v[34:35], -v[32:33]
	v_add_f64 v[2:3], v[2:3], v[56:57]
	v_add_f64 v[0:1], v[0:1], v[8:9]
	s_waitcnt vmcnt(4)
	v_fma_f64 v[12:13], v[24:25], v[48:49], -v[38:39]
	v_add_f64 v[2:3], v[2:3], v[58:59]
	v_add_f64 v[0:1], v[0:1], v[10:11]
	v_fmac_f64_e32 v[62:63], v[26:27], v[48:49]
	v_add_f64 v[2:3], v[2:3], v[60:61]
	v_add_f64 v[0:1], v[0:1], v[12:13]
	;; [unrolled: 1-line block ×3, first 2 shown]
	s_waitcnt vmcnt(2)
	v_add_f64 v[0:1], v[50:51], -v[0:1]
	s_waitcnt vmcnt(0)
	v_add_f64 v[2:3], v[52:53], -v[2:3]
	buffer_store_dword v1, off, s[0:3], 0 offset:900
	buffer_store_dword v0, off, s[0:3], 0 offset:896
	;; [unrolled: 1-line block ×4, first 2 shown]
	s_and_saveexec_b64 s[4:5], vcc
	s_cbranch_execz .LBB61_289
; %bb.288:
	v_accvgpr_read_b32 v0, a131
	buffer_load_dword v2, v0, s[0:3], 0 offen
	buffer_load_dword v3, v0, s[0:3], 0 offen offset:4
	buffer_load_dword v4, v0, s[0:3], 0 offen offset:8
	;; [unrolled: 1-line block ×3, first 2 shown]
	v_mov_b32_e32 v0, 0
	v_accvgpr_read_b32 v1, a186
	buffer_store_dword v0, off, s[0:3], 0 offset:880
	buffer_store_dword v0, off, s[0:3], 0 offset:884
	;; [unrolled: 1-line block ×4, first 2 shown]
	s_waitcnt vmcnt(4)
	ds_write_b128 v1, v[2:5]
.LBB61_289:
	s_or_b64 exec, exec, s[4:5]
	v_mov_b32_e32 v58, 0
	s_waitcnt lgkmcnt(0)
	; wave barrier
	s_waitcnt lgkmcnt(0)
	ds_read_b128 v[14:17], v58 offset:1872
	ds_read_b128 v[10:13], v58 offset:1888
	;; [unrolled: 1-line block ×4, first 2 shown]
	buffer_load_dword v28, off, s[0:3], 0 offset:880
	buffer_load_dword v29, off, s[0:3], 0 offset:884
	;; [unrolled: 1-line block ×20, first 2 shown]
	v_cmp_lt_u32_e32 vcc, 53, v226
	s_waitcnt vmcnt(12) lgkmcnt(3)
	v_mul_f64 v[0:1], v[14:15], v[36:37]
	v_fmac_f64_e32 v[0:1], v[16:17], v[30:31]
	v_add_f64 v[0:1], v[0:1], 0
	v_mul_f64 v[16:17], v[16:17], v[36:37]
	s_waitcnt vmcnt(8) lgkmcnt(2)
	v_mul_f64 v[18:19], v[10:11], v[38:39]
	v_fmac_f64_e32 v[18:19], v[12:13], v[32:33]
	v_add_f64 v[0:1], v[0:1], v[18:19]
	v_fma_f64 v[14:15], v[14:15], v[30:31], -v[16:17]
	s_waitcnt vmcnt(4) lgkmcnt(1)
	v_mul_f64 v[18:19], v[6:7], v[42:43]
	v_fmac_f64_e32 v[18:19], v[8:9], v[34:35]
	v_add_f64 v[0:1], v[0:1], v[18:19]
	s_waitcnt vmcnt(0) lgkmcnt(0)
	v_mul_f64 v[18:19], v[2:3], v[46:47]
	v_fmac_f64_e32 v[18:19], v[4:5], v[44:45]
	v_add_f64 v[0:1], v[0:1], v[18:19]
	ds_read_b128 v[18:21], v58 offset:1936
	buffer_load_dword v41, off, s[0:3], 0 offset:964
	buffer_load_dword v40, off, s[0:3], 0 offset:960
	;; [unrolled: 1-line block ×4, first 2 shown]
	ds_read_b128 v[50:53], v58 offset:1952
	buffer_load_dword v57, off, s[0:3], 0 offset:980
	buffer_load_dword v56, off, s[0:3], 0 offset:976
	;; [unrolled: 1-line block ×4, first 2 shown]
	v_mul_f64 v[12:13], v[12:13], v[38:39]
	v_add_f64 v[14:15], v[14:15], 0
	v_fma_f64 v[10:11], v[10:11], v[32:33], -v[12:13]
	v_mul_f64 v[8:9], v[8:9], v[42:43]
	v_add_f64 v[10:11], v[14:15], v[10:11]
	v_fma_f64 v[6:7], v[6:7], v[34:35], -v[8:9]
	;; [unrolled: 3-line block ×3, first 2 shown]
	v_add_f64 v[2:3], v[6:7], v[2:3]
	s_waitcnt vmcnt(4) lgkmcnt(1)
	v_mul_f64 v[22:23], v[18:19], v[54:55]
	v_fmac_f64_e32 v[22:23], v[20:21], v[40:41]
	v_add_f64 v[0:1], v[0:1], v[22:23]
	s_waitcnt vmcnt(0) lgkmcnt(0)
	v_mul_f64 v[22:23], v[50:51], v[60:61]
	v_fmac_f64_e32 v[22:23], v[52:53], v[56:57]
	v_add_f64 v[0:1], v[0:1], v[22:23]
	ds_read_b128 v[22:25], v58 offset:1968
	buffer_load_dword v49, off, s[0:3], 0 offset:996
	buffer_load_dword v48, off, s[0:3], 0 offset:992
	;; [unrolled: 1-line block ×4, first 2 shown]
	v_mul_f64 v[4:5], v[20:21], v[54:55]
	v_fma_f64 v[4:5], v[18:19], v[40:41], -v[4:5]
	v_add_f64 v[2:3], v[2:3], v[4:5]
	v_mul_f64 v[4:5], v[52:53], v[60:61]
	v_fma_f64 v[4:5], v[50:51], v[56:57], -v[4:5]
	v_add_f64 v[2:3], v[2:3], v[4:5]
	s_waitcnt vmcnt(0) lgkmcnt(0)
	v_mul_f64 v[4:5], v[24:25], v[62:63]
	v_mul_f64 v[64:65], v[22:23], v[62:63]
	v_fma_f64 v[4:5], v[22:23], v[48:49], -v[4:5]
	v_fmac_f64_e32 v[64:65], v[24:25], v[48:49]
	v_add_f64 v[2:3], v[2:3], v[4:5]
	v_add_f64 v[0:1], v[0:1], v[64:65]
	v_add_f64 v[2:3], v[28:29], -v[2:3]
	v_add_f64 v[0:1], v[26:27], -v[0:1]
	buffer_store_dword v3, off, s[0:3], 0 offset:884
	buffer_store_dword v2, off, s[0:3], 0 offset:880
	;; [unrolled: 1-line block ×4, first 2 shown]
	s_and_saveexec_b64 s[4:5], vcc
	s_cbranch_execz .LBB61_291
; %bb.290:
	v_accvgpr_read_b32 v0, a132
	buffer_load_dword v2, v0, s[0:3], 0 offen
	buffer_load_dword v3, v0, s[0:3], 0 offen offset:4
	buffer_load_dword v4, v0, s[0:3], 0 offen offset:8
	;; [unrolled: 1-line block ×3, first 2 shown]
	v_accvgpr_read_b32 v0, a186
	buffer_store_dword v58, off, s[0:3], 0 offset:864
	buffer_store_dword v58, off, s[0:3], 0 offset:868
	;; [unrolled: 1-line block ×4, first 2 shown]
	s_waitcnt vmcnt(4)
	ds_write_b128 v0, v[2:5]
.LBB61_291:
	s_or_b64 exec, exec, s[4:5]
	s_waitcnt lgkmcnt(0)
	; wave barrier
	s_waitcnt lgkmcnt(0)
	ds_read_b128 v[14:17], v58 offset:1856
	ds_read_b128 v[10:13], v58 offset:1872
	;; [unrolled: 1-line block ×4, first 2 shown]
	buffer_load_dword v36, off, s[0:3], 0 offset:864
	buffer_load_dword v37, off, s[0:3], 0 offset:868
	;; [unrolled: 1-line block ×20, first 2 shown]
	v_cmp_lt_u32_e32 vcc, 52, v226
	s_waitcnt vmcnt(12) lgkmcnt(3)
	v_mul_f64 v[0:1], v[14:15], v[44:45]
	v_fmac_f64_e32 v[0:1], v[16:17], v[38:39]
	v_add_f64 v[0:1], v[0:1], 0
	v_mul_f64 v[16:17], v[16:17], v[44:45]
	s_waitcnt vmcnt(8) lgkmcnt(2)
	v_mul_f64 v[18:19], v[10:11], v[46:47]
	v_fmac_f64_e32 v[18:19], v[12:13], v[40:41]
	v_add_f64 v[0:1], v[0:1], v[18:19]
	v_fma_f64 v[14:15], v[14:15], v[38:39], -v[16:17]
	s_waitcnt vmcnt(4) lgkmcnt(1)
	v_mul_f64 v[18:19], v[6:7], v[50:51]
	v_fmac_f64_e32 v[18:19], v[8:9], v[42:43]
	v_add_f64 v[0:1], v[0:1], v[18:19]
	s_waitcnt vmcnt(0) lgkmcnt(0)
	v_mul_f64 v[18:19], v[2:3], v[54:55]
	v_fmac_f64_e32 v[18:19], v[4:5], v[52:53]
	v_add_f64 v[0:1], v[0:1], v[18:19]
	ds_read_b128 v[18:21], v58 offset:1920
	buffer_load_dword v49, off, s[0:3], 0 offset:948
	buffer_load_dword v48, off, s[0:3], 0 offset:944
	;; [unrolled: 1-line block ×4, first 2 shown]
	ds_read_b128 v[30:33], v58 offset:1936
	buffer_load_dword v61, off, s[0:3], 0 offset:964
	buffer_load_dword v60, off, s[0:3], 0 offset:960
	buffer_load_dword v63, off, s[0:3], 0 offset:972
	buffer_load_dword v62, off, s[0:3], 0 offset:968
	v_mul_f64 v[12:13], v[12:13], v[46:47]
	v_add_f64 v[14:15], v[14:15], 0
	v_fma_f64 v[10:11], v[10:11], v[40:41], -v[12:13]
	v_mul_f64 v[8:9], v[8:9], v[50:51]
	v_add_f64 v[10:11], v[14:15], v[10:11]
	v_fma_f64 v[6:7], v[6:7], v[42:43], -v[8:9]
	;; [unrolled: 3-line block ×3, first 2 shown]
	v_add_f64 v[2:3], v[6:7], v[2:3]
	s_waitcnt vmcnt(4) lgkmcnt(1)
	v_mul_f64 v[22:23], v[18:19], v[64:65]
	v_fmac_f64_e32 v[22:23], v[20:21], v[48:49]
	v_add_f64 v[0:1], v[0:1], v[22:23]
	s_waitcnt vmcnt(0) lgkmcnt(0)
	v_mul_f64 v[22:23], v[30:31], v[62:63]
	v_fmac_f64_e32 v[22:23], v[32:33], v[60:61]
	v_add_f64 v[0:1], v[0:1], v[22:23]
	ds_read_b128 v[22:25], v58 offset:1952
	buffer_load_dword v57, off, s[0:3], 0 offset:980
	buffer_load_dword v56, off, s[0:3], 0 offset:976
	;; [unrolled: 1-line block ×4, first 2 shown]
	v_mul_f64 v[4:5], v[20:21], v[64:65]
	v_fma_f64 v[4:5], v[18:19], v[48:49], -v[4:5]
	v_add_f64 v[2:3], v[2:3], v[4:5]
	v_mul_f64 v[4:5], v[32:33], v[62:63]
	v_fma_f64 v[4:5], v[30:31], v[60:61], -v[4:5]
	v_add_f64 v[2:3], v[2:3], v[4:5]
	s_waitcnt vmcnt(0) lgkmcnt(0)
	v_mul_f64 v[26:27], v[22:23], v[66:67]
	v_fmac_f64_e32 v[26:27], v[24:25], v[56:57]
	v_add_f64 v[0:1], v[0:1], v[26:27]
	ds_read_b128 v[26:29], v58 offset:1968
	buffer_load_dword v59, off, s[0:3], 0 offset:996
	buffer_load_dword v58, off, s[0:3], 0 offset:992
	;; [unrolled: 1-line block ×4, first 2 shown]
	v_mul_f64 v[4:5], v[24:25], v[66:67]
	v_fma_f64 v[4:5], v[22:23], v[56:57], -v[4:5]
	v_add_f64 v[2:3], v[2:3], v[4:5]
	s_waitcnt vmcnt(0) lgkmcnt(0)
	v_mul_f64 v[4:5], v[28:29], v[68:69]
	v_mul_f64 v[70:71], v[26:27], v[68:69]
	v_fma_f64 v[4:5], v[26:27], v[58:59], -v[4:5]
	v_fmac_f64_e32 v[70:71], v[28:29], v[58:59]
	v_add_f64 v[2:3], v[2:3], v[4:5]
	v_add_f64 v[0:1], v[0:1], v[70:71]
	v_add_f64 v[2:3], v[36:37], -v[2:3]
	v_add_f64 v[0:1], v[34:35], -v[0:1]
	buffer_store_dword v3, off, s[0:3], 0 offset:868
	buffer_store_dword v2, off, s[0:3], 0 offset:864
	;; [unrolled: 1-line block ×4, first 2 shown]
	s_and_saveexec_b64 s[4:5], vcc
	s_cbranch_execz .LBB61_293
; %bb.292:
	v_accvgpr_read_b32 v0, a133
	buffer_load_dword v2, v0, s[0:3], 0 offen
	buffer_load_dword v3, v0, s[0:3], 0 offen offset:4
	buffer_load_dword v4, v0, s[0:3], 0 offen offset:8
	buffer_load_dword v5, v0, s[0:3], 0 offen offset:12
	v_mov_b32_e32 v0, 0
	v_accvgpr_read_b32 v1, a186
	buffer_store_dword v0, off, s[0:3], 0 offset:848
	buffer_store_dword v0, off, s[0:3], 0 offset:852
	;; [unrolled: 1-line block ×4, first 2 shown]
	s_waitcnt vmcnt(4)
	ds_write_b128 v1, v[2:5]
.LBB61_293:
	s_or_b64 exec, exec, s[4:5]
	v_mov_b32_e32 v82, 0
	s_waitcnt lgkmcnt(0)
	; wave barrier
	s_waitcnt lgkmcnt(0)
	ds_read_b128 v[18:21], v82 offset:1840
	ds_read_b128 v[14:17], v82 offset:1856
	;; [unrolled: 1-line block ×4, first 2 shown]
	buffer_load_dword v40, off, s[0:3], 0 offset:848
	buffer_load_dword v41, off, s[0:3], 0 offset:852
	;; [unrolled: 1-line block ×20, first 2 shown]
	v_cmp_lt_u32_e32 vcc, 51, v226
	s_waitcnt vmcnt(12) lgkmcnt(3)
	v_mul_f64 v[0:1], v[18:19], v[56:57]
	v_fmac_f64_e32 v[0:1], v[20:21], v[44:45]
	v_add_f64 v[0:1], v[0:1], 0
	v_mul_f64 v[20:21], v[20:21], v[56:57]
	s_waitcnt vmcnt(8) lgkmcnt(2)
	v_mul_f64 v[6:7], v[14:15], v[54:55]
	v_fmac_f64_e32 v[6:7], v[16:17], v[50:51]
	v_add_f64 v[0:1], v[0:1], v[6:7]
	v_fma_f64 v[18:19], v[18:19], v[44:45], -v[20:21]
	s_waitcnt vmcnt(4) lgkmcnt(1)
	v_mul_f64 v[6:7], v[10:11], v[52:53]
	v_fmac_f64_e32 v[6:7], v[12:13], v[48:49]
	v_add_f64 v[0:1], v[0:1], v[6:7]
	s_waitcnt vmcnt(0) lgkmcnt(0)
	v_mul_f64 v[6:7], v[2:3], v[58:59]
	v_fmac_f64_e32 v[6:7], v[4:5], v[46:47]
	v_add_f64 v[0:1], v[0:1], v[6:7]
	ds_read_b128 v[6:9], v82 offset:1904
	buffer_load_dword v43, off, s[0:3], 0 offset:932
	buffer_load_dword v42, off, s[0:3], 0 offset:928
	buffer_load_dword v61, off, s[0:3], 0 offset:940
	buffer_load_dword v60, off, s[0:3], 0 offset:936
	v_mul_f64 v[16:17], v[16:17], v[54:55]
	v_add_f64 v[18:19], v[18:19], 0
	v_fma_f64 v[14:15], v[14:15], v[50:51], -v[16:17]
	v_mul_f64 v[12:13], v[12:13], v[52:53]
	v_add_f64 v[14:15], v[18:19], v[14:15]
	v_fma_f64 v[10:11], v[10:11], v[48:49], -v[12:13]
	;; [unrolled: 3-line block ×3, first 2 shown]
	v_add_f64 v[2:3], v[10:11], v[2:3]
	s_waitcnt vmcnt(0) lgkmcnt(0)
	v_mul_f64 v[22:23], v[6:7], v[60:61]
	v_fmac_f64_e32 v[22:23], v[8:9], v[42:43]
	v_add_f64 v[0:1], v[0:1], v[22:23]
	ds_read_b128 v[22:25], v82 offset:1920
	buffer_load_dword v63, off, s[0:3], 0 offset:948
	buffer_load_dword v62, off, s[0:3], 0 offset:944
	buffer_load_dword v65, off, s[0:3], 0 offset:956
	buffer_load_dword v64, off, s[0:3], 0 offset:952
	v_mul_f64 v[4:5], v[8:9], v[60:61]
	v_fma_f64 v[4:5], v[6:7], v[42:43], -v[4:5]
	v_add_f64 v[2:3], v[2:3], v[4:5]
	s_waitcnt vmcnt(0) lgkmcnt(0)
	v_mul_f64 v[26:27], v[22:23], v[64:65]
	v_fmac_f64_e32 v[26:27], v[24:25], v[62:63]
	v_add_f64 v[0:1], v[0:1], v[26:27]
	ds_read_b128 v[26:29], v82 offset:1936
	buffer_load_dword v67, off, s[0:3], 0 offset:964
	buffer_load_dword v66, off, s[0:3], 0 offset:960
	buffer_load_dword v69, off, s[0:3], 0 offset:972
	buffer_load_dword v68, off, s[0:3], 0 offset:968
	v_mul_f64 v[4:5], v[24:25], v[64:65]
	v_fma_f64 v[4:5], v[22:23], v[62:63], -v[4:5]
	;; [unrolled: 12-line block ×4, first 2 shown]
	v_add_f64 v[2:3], v[2:3], v[4:5]
	s_waitcnt vmcnt(0) lgkmcnt(0)
	v_mul_f64 v[4:5], v[36:37], v[76:77]
	v_mul_f64 v[78:79], v[34:35], v[76:77]
	v_fma_f64 v[4:5], v[34:35], v[74:75], -v[4:5]
	v_fmac_f64_e32 v[78:79], v[36:37], v[74:75]
	v_add_f64 v[2:3], v[2:3], v[4:5]
	v_add_f64 v[0:1], v[0:1], v[78:79]
	v_add_f64 v[2:3], v[40:41], -v[2:3]
	v_add_f64 v[0:1], v[38:39], -v[0:1]
	buffer_store_dword v3, off, s[0:3], 0 offset:852
	buffer_store_dword v2, off, s[0:3], 0 offset:848
	;; [unrolled: 1-line block ×4, first 2 shown]
	s_and_saveexec_b64 s[4:5], vcc
	s_cbranch_execz .LBB61_295
; %bb.294:
	v_accvgpr_read_b32 v0, a134
	buffer_load_dword v2, v0, s[0:3], 0 offen
	buffer_load_dword v3, v0, s[0:3], 0 offen offset:4
	buffer_load_dword v4, v0, s[0:3], 0 offen offset:8
	buffer_load_dword v5, v0, s[0:3], 0 offen offset:12
	v_accvgpr_read_b32 v0, a186
	buffer_store_dword v82, off, s[0:3], 0 offset:832
	buffer_store_dword v82, off, s[0:3], 0 offset:836
	;; [unrolled: 1-line block ×4, first 2 shown]
	s_waitcnt vmcnt(4)
	ds_write_b128 v0, v[2:5]
.LBB61_295:
	s_or_b64 exec, exec, s[4:5]
	s_waitcnt lgkmcnt(0)
	; wave barrier
	s_waitcnt lgkmcnt(0)
	ds_read_b128 v[18:21], v82 offset:1824
	ds_read_b128 v[10:13], v82 offset:1840
	;; [unrolled: 1-line block ×4, first 2 shown]
	buffer_load_dword v44, off, s[0:3], 0 offset:832
	buffer_load_dword v45, off, s[0:3], 0 offset:836
	;; [unrolled: 1-line block ×20, first 2 shown]
	v_cmp_lt_u32_e32 vcc, 50, v226
	s_waitcnt vmcnt(12) lgkmcnt(3)
	v_mul_f64 v[0:1], v[18:19], v[62:63]
	v_fmac_f64_e32 v[0:1], v[20:21], v[58:59]
	v_add_f64 v[0:1], v[0:1], 0
	v_mul_f64 v[20:21], v[20:21], v[62:63]
	s_waitcnt vmcnt(8) lgkmcnt(2)
	v_mul_f64 v[14:15], v[10:11], v[60:61]
	v_fmac_f64_e32 v[14:15], v[12:13], v[56:57]
	v_add_f64 v[0:1], v[0:1], v[14:15]
	v_fma_f64 v[18:19], v[18:19], v[58:59], -v[20:21]
	s_waitcnt vmcnt(4) lgkmcnt(1)
	v_mul_f64 v[14:15], v[6:7], v[48:49]
	v_fmac_f64_e32 v[14:15], v[8:9], v[46:47]
	v_add_f64 v[0:1], v[0:1], v[14:15]
	s_waitcnt vmcnt(0) lgkmcnt(0)
	v_mul_f64 v[14:15], v[2:3], v[52:53]
	v_fmac_f64_e32 v[14:15], v[4:5], v[50:51]
	v_add_f64 v[0:1], v[0:1], v[14:15]
	ds_read_b128 v[14:17], v82 offset:1888
	buffer_load_dword v55, off, s[0:3], 0 offset:916
	buffer_load_dword v54, off, s[0:3], 0 offset:912
	;; [unrolled: 1-line block ×4, first 2 shown]
	v_mul_f64 v[12:13], v[12:13], v[60:61]
	v_add_f64 v[18:19], v[18:19], 0
	v_fma_f64 v[10:11], v[10:11], v[56:57], -v[12:13]
	v_mul_f64 v[8:9], v[8:9], v[48:49]
	v_add_f64 v[10:11], v[18:19], v[10:11]
	v_fma_f64 v[6:7], v[6:7], v[46:47], -v[8:9]
	;; [unrolled: 3-line block ×3, first 2 shown]
	v_add_f64 v[2:3], v[6:7], v[2:3]
	s_waitcnt vmcnt(0) lgkmcnt(0)
	v_mul_f64 v[22:23], v[14:15], v[64:65]
	v_fmac_f64_e32 v[22:23], v[16:17], v[54:55]
	v_add_f64 v[0:1], v[0:1], v[22:23]
	ds_read_b128 v[22:25], v82 offset:1904
	buffer_load_dword v67, off, s[0:3], 0 offset:932
	buffer_load_dword v66, off, s[0:3], 0 offset:928
	buffer_load_dword v69, off, s[0:3], 0 offset:940
	buffer_load_dword v68, off, s[0:3], 0 offset:936
	v_mul_f64 v[4:5], v[16:17], v[64:65]
	v_fma_f64 v[4:5], v[14:15], v[54:55], -v[4:5]
	v_add_f64 v[2:3], v[2:3], v[4:5]
	s_waitcnt vmcnt(0) lgkmcnt(0)
	v_mul_f64 v[26:27], v[22:23], v[68:69]
	v_fmac_f64_e32 v[26:27], v[24:25], v[66:67]
	v_add_f64 v[0:1], v[0:1], v[26:27]
	ds_read_b128 v[26:29], v82 offset:1920
	buffer_load_dword v71, off, s[0:3], 0 offset:948
	buffer_load_dword v70, off, s[0:3], 0 offset:944
	buffer_load_dword v73, off, s[0:3], 0 offset:956
	buffer_load_dword v72, off, s[0:3], 0 offset:952
	v_mul_f64 v[4:5], v[24:25], v[68:69]
	v_fma_f64 v[4:5], v[22:23], v[66:67], -v[4:5]
	;; [unrolled: 12-line block ×5, first 2 shown]
	v_add_f64 v[2:3], v[2:3], v[4:5]
	s_waitcnt vmcnt(0) lgkmcnt(0)
	v_mul_f64 v[4:5], v[40:41], v[84:85]
	v_mul_f64 v[86:87], v[38:39], v[84:85]
	v_fma_f64 v[4:5], v[38:39], v[82:83], -v[4:5]
	v_fmac_f64_e32 v[86:87], v[40:41], v[82:83]
	v_add_f64 v[2:3], v[2:3], v[4:5]
	v_add_f64 v[0:1], v[0:1], v[86:87]
	v_add_f64 v[2:3], v[44:45], -v[2:3]
	v_add_f64 v[0:1], v[42:43], -v[0:1]
	buffer_store_dword v3, off, s[0:3], 0 offset:836
	buffer_store_dword v2, off, s[0:3], 0 offset:832
	;; [unrolled: 1-line block ×4, first 2 shown]
	s_and_saveexec_b64 s[4:5], vcc
	s_cbranch_execz .LBB61_297
; %bb.296:
	v_accvgpr_read_b32 v0, a135
	buffer_load_dword v2, v0, s[0:3], 0 offen
	buffer_load_dword v3, v0, s[0:3], 0 offen offset:4
	buffer_load_dword v4, v0, s[0:3], 0 offen offset:8
	;; [unrolled: 1-line block ×3, first 2 shown]
	v_mov_b32_e32 v0, 0
	v_accvgpr_read_b32 v1, a186
	buffer_store_dword v0, off, s[0:3], 0 offset:816
	buffer_store_dword v0, off, s[0:3], 0 offset:820
	;; [unrolled: 1-line block ×4, first 2 shown]
	s_waitcnt vmcnt(4)
	ds_write_b128 v1, v[2:5]
.LBB61_297:
	s_or_b64 exec, exec, s[4:5]
	v_mov_b32_e32 v96, 0
	s_waitcnt lgkmcnt(0)
	; wave barrier
	s_waitcnt lgkmcnt(0)
	ds_read_b128 v[14:17], v96 offset:1808
	ds_read_b128 v[10:13], v96 offset:1824
	;; [unrolled: 1-line block ×4, first 2 shown]
	buffer_load_dword v48, off, s[0:3], 0 offset:816
	buffer_load_dword v49, off, s[0:3], 0 offset:820
	;; [unrolled: 1-line block ×20, first 2 shown]
	v_cmp_lt_u32_e32 vcc, 49, v226
	s_waitcnt vmcnt(12) lgkmcnt(3)
	v_mul_f64 v[0:1], v[14:15], v[56:57]
	v_fmac_f64_e32 v[0:1], v[16:17], v[50:51]
	v_add_f64 v[0:1], v[0:1], 0
	v_mul_f64 v[16:17], v[16:17], v[56:57]
	s_waitcnt vmcnt(8) lgkmcnt(2)
	v_mul_f64 v[18:19], v[10:11], v[58:59]
	v_fmac_f64_e32 v[18:19], v[12:13], v[52:53]
	v_add_f64 v[0:1], v[0:1], v[18:19]
	v_fma_f64 v[14:15], v[14:15], v[50:51], -v[16:17]
	s_waitcnt vmcnt(4) lgkmcnt(1)
	v_mul_f64 v[18:19], v[6:7], v[60:61]
	v_fmac_f64_e32 v[18:19], v[8:9], v[54:55]
	v_add_f64 v[0:1], v[0:1], v[18:19]
	s_waitcnt vmcnt(0) lgkmcnt(0)
	v_mul_f64 v[18:19], v[2:3], v[64:65]
	v_fmac_f64_e32 v[18:19], v[4:5], v[62:63]
	v_add_f64 v[0:1], v[0:1], v[18:19]
	ds_read_b128 v[18:21], v96 offset:1872
	buffer_load_dword v67, off, s[0:3], 0 offset:900
	buffer_load_dword v66, off, s[0:3], 0 offset:896
	buffer_load_dword v69, off, s[0:3], 0 offset:908
	buffer_load_dword v68, off, s[0:3], 0 offset:904
	v_mul_f64 v[12:13], v[12:13], v[58:59]
	v_add_f64 v[14:15], v[14:15], 0
	v_fma_f64 v[10:11], v[10:11], v[52:53], -v[12:13]
	v_mul_f64 v[8:9], v[8:9], v[60:61]
	v_add_f64 v[10:11], v[14:15], v[10:11]
	v_fma_f64 v[6:7], v[6:7], v[54:55], -v[8:9]
	;; [unrolled: 3-line block ×3, first 2 shown]
	v_add_f64 v[2:3], v[6:7], v[2:3]
	s_waitcnt vmcnt(0) lgkmcnt(0)
	v_mul_f64 v[22:23], v[18:19], v[68:69]
	v_fmac_f64_e32 v[22:23], v[20:21], v[66:67]
	v_add_f64 v[0:1], v[0:1], v[22:23]
	ds_read_b128 v[22:25], v96 offset:1888
	buffer_load_dword v71, off, s[0:3], 0 offset:916
	buffer_load_dword v70, off, s[0:3], 0 offset:912
	buffer_load_dword v73, off, s[0:3], 0 offset:924
	buffer_load_dword v72, off, s[0:3], 0 offset:920
	v_mul_f64 v[4:5], v[20:21], v[68:69]
	v_fma_f64 v[4:5], v[18:19], v[66:67], -v[4:5]
	v_add_f64 v[2:3], v[2:3], v[4:5]
	s_waitcnt vmcnt(0) lgkmcnt(0)
	v_mul_f64 v[26:27], v[22:23], v[72:73]
	v_fmac_f64_e32 v[26:27], v[24:25], v[70:71]
	v_add_f64 v[0:1], v[0:1], v[26:27]
	ds_read_b128 v[26:29], v96 offset:1904
	buffer_load_dword v75, off, s[0:3], 0 offset:932
	buffer_load_dword v74, off, s[0:3], 0 offset:928
	buffer_load_dword v77, off, s[0:3], 0 offset:940
	buffer_load_dword v76, off, s[0:3], 0 offset:936
	v_mul_f64 v[4:5], v[24:25], v[72:73]
	v_fma_f64 v[4:5], v[22:23], v[70:71], -v[4:5]
	;; [unrolled: 12-line block ×6, first 2 shown]
	v_add_f64 v[2:3], v[2:3], v[4:5]
	s_waitcnt vmcnt(0) lgkmcnt(0)
	v_mul_f64 v[4:5], v[44:45], v[92:93]
	v_mul_f64 v[0:1], v[42:43], v[92:93]
	v_fma_f64 v[4:5], v[42:43], v[90:91], -v[4:5]
	v_fmac_f64_e32 v[0:1], v[44:45], v[90:91]
	v_add_f64 v[2:3], v[2:3], v[4:5]
	v_add_f64 v[0:1], v[94:95], v[0:1]
	v_add_f64 v[2:3], v[48:49], -v[2:3]
	v_add_f64 v[0:1], v[46:47], -v[0:1]
	buffer_store_dword v3, off, s[0:3], 0 offset:820
	buffer_store_dword v2, off, s[0:3], 0 offset:816
	buffer_store_dword v1, off, s[0:3], 0 offset:828
	buffer_store_dword v0, off, s[0:3], 0 offset:824
	s_and_saveexec_b64 s[4:5], vcc
	s_cbranch_execz .LBB61_299
; %bb.298:
	v_accvgpr_read_b32 v0, a136
	buffer_load_dword v2, v0, s[0:3], 0 offen
	buffer_load_dword v3, v0, s[0:3], 0 offen offset:4
	buffer_load_dword v4, v0, s[0:3], 0 offen offset:8
	;; [unrolled: 1-line block ×3, first 2 shown]
	v_accvgpr_read_b32 v0, a186
	buffer_store_dword v96, off, s[0:3], 0 offset:800
	buffer_store_dword v96, off, s[0:3], 0 offset:804
	;; [unrolled: 1-line block ×4, first 2 shown]
	s_waitcnt vmcnt(4)
	ds_write_b128 v0, v[2:5]
.LBB61_299:
	s_or_b64 exec, exec, s[4:5]
	s_waitcnt lgkmcnt(0)
	; wave barrier
	s_waitcnt lgkmcnt(0)
	ds_read_b128 v[14:17], v96 offset:1792
	ds_read_b128 v[10:13], v96 offset:1808
	;; [unrolled: 1-line block ×4, first 2 shown]
	buffer_load_dword v48, off, s[0:3], 0 offset:800
	buffer_load_dword v49, off, s[0:3], 0 offset:804
	;; [unrolled: 1-line block ×20, first 2 shown]
	v_cmp_lt_u32_e32 vcc, 48, v226
	s_waitcnt vmcnt(12) lgkmcnt(3)
	v_mul_f64 v[0:1], v[14:15], v[56:57]
	v_fmac_f64_e32 v[0:1], v[16:17], v[50:51]
	v_add_f64 v[0:1], v[0:1], 0
	v_mul_f64 v[16:17], v[16:17], v[56:57]
	s_waitcnt vmcnt(8) lgkmcnt(2)
	v_mul_f64 v[18:19], v[10:11], v[58:59]
	v_fmac_f64_e32 v[18:19], v[12:13], v[52:53]
	v_add_f64 v[0:1], v[0:1], v[18:19]
	v_fma_f64 v[14:15], v[14:15], v[50:51], -v[16:17]
	s_waitcnt vmcnt(4) lgkmcnt(1)
	v_mul_f64 v[18:19], v[6:7], v[60:61]
	v_fmac_f64_e32 v[18:19], v[8:9], v[54:55]
	v_add_f64 v[0:1], v[0:1], v[18:19]
	s_waitcnt vmcnt(0) lgkmcnt(0)
	v_mul_f64 v[18:19], v[2:3], v[64:65]
	v_fmac_f64_e32 v[18:19], v[4:5], v[62:63]
	v_add_f64 v[0:1], v[0:1], v[18:19]
	ds_read_b128 v[18:21], v96 offset:1856
	buffer_load_dword v67, off, s[0:3], 0 offset:884
	buffer_load_dword v66, off, s[0:3], 0 offset:880
	;; [unrolled: 1-line block ×4, first 2 shown]
	v_mul_f64 v[12:13], v[12:13], v[58:59]
	v_add_f64 v[14:15], v[14:15], 0
	v_fma_f64 v[10:11], v[10:11], v[52:53], -v[12:13]
	v_mul_f64 v[8:9], v[8:9], v[60:61]
	v_add_f64 v[10:11], v[14:15], v[10:11]
	v_fma_f64 v[6:7], v[6:7], v[54:55], -v[8:9]
	;; [unrolled: 3-line block ×3, first 2 shown]
	v_add_f64 v[2:3], v[6:7], v[2:3]
	s_waitcnt vmcnt(0) lgkmcnt(0)
	v_mul_f64 v[22:23], v[18:19], v[68:69]
	v_fmac_f64_e32 v[22:23], v[20:21], v[66:67]
	v_add_f64 v[0:1], v[0:1], v[22:23]
	ds_read_b128 v[22:25], v96 offset:1872
	buffer_load_dword v71, off, s[0:3], 0 offset:900
	buffer_load_dword v70, off, s[0:3], 0 offset:896
	buffer_load_dword v73, off, s[0:3], 0 offset:908
	buffer_load_dword v72, off, s[0:3], 0 offset:904
	v_mul_f64 v[4:5], v[20:21], v[68:69]
	v_fma_f64 v[4:5], v[18:19], v[66:67], -v[4:5]
	v_add_f64 v[2:3], v[2:3], v[4:5]
	s_waitcnt vmcnt(0) lgkmcnt(0)
	v_mul_f64 v[26:27], v[22:23], v[72:73]
	v_fmac_f64_e32 v[26:27], v[24:25], v[70:71]
	v_add_f64 v[0:1], v[0:1], v[26:27]
	ds_read_b128 v[26:29], v96 offset:1888
	buffer_load_dword v75, off, s[0:3], 0 offset:916
	buffer_load_dword v74, off, s[0:3], 0 offset:912
	buffer_load_dword v77, off, s[0:3], 0 offset:924
	buffer_load_dword v76, off, s[0:3], 0 offset:920
	v_mul_f64 v[4:5], v[24:25], v[72:73]
	v_fma_f64 v[4:5], v[22:23], v[70:71], -v[4:5]
	;; [unrolled: 12-line block ×7, first 2 shown]
	v_add_f64 v[2:3], v[2:3], v[4:5]
	s_waitcnt vmcnt(0) lgkmcnt(0)
	v_mul_f64 v[4:5], v[96:97], v[100:101]
	v_mul_f64 v[102:103], v[94:95], v[100:101]
	v_fma_f64 v[4:5], v[94:95], v[98:99], -v[4:5]
	v_fmac_f64_e32 v[102:103], v[96:97], v[98:99]
	v_add_f64 v[2:3], v[2:3], v[4:5]
	v_add_f64 v[0:1], v[0:1], v[102:103]
	v_add_f64 v[2:3], v[48:49], -v[2:3]
	v_add_f64 v[0:1], v[46:47], -v[0:1]
	buffer_store_dword v3, off, s[0:3], 0 offset:804
	buffer_store_dword v2, off, s[0:3], 0 offset:800
	;; [unrolled: 1-line block ×4, first 2 shown]
	s_and_saveexec_b64 s[4:5], vcc
	s_cbranch_execz .LBB61_301
; %bb.300:
	v_accvgpr_read_b32 v0, a137
	buffer_load_dword v2, v0, s[0:3], 0 offen
	buffer_load_dword v3, v0, s[0:3], 0 offen offset:4
	buffer_load_dword v4, v0, s[0:3], 0 offen offset:8
	;; [unrolled: 1-line block ×3, first 2 shown]
	v_mov_b32_e32 v0, 0
	v_accvgpr_read_b32 v1, a186
	buffer_store_dword v0, off, s[0:3], 0 offset:784
	buffer_store_dword v0, off, s[0:3], 0 offset:788
	;; [unrolled: 1-line block ×4, first 2 shown]
	s_waitcnt vmcnt(4)
	ds_write_b128 v1, v[2:5]
.LBB61_301:
	s_or_b64 exec, exec, s[4:5]
	s_waitcnt lgkmcnt(0)
	; wave barrier
	s_waitcnt lgkmcnt(0)
	buffer_load_dword v2, off, s[0:3], 0 offset:800
	buffer_load_dword v3, off, s[0:3], 0 offset:804
	;; [unrolled: 1-line block ×56, first 2 shown]
	v_mov_b32_e32 v30, 0
	ds_read_b128 v[32:35], v30 offset:1776
	ds_read_b128 v[36:39], v30 offset:1792
	;; [unrolled: 1-line block ×9, first 2 shown]
	v_cmp_lt_u32_e32 vcc, 47, v226
	s_waitcnt vmcnt(52) lgkmcnt(8)
	v_mul_f64 v[64:65], v[32:33], v[6:7]
	v_fmac_f64_e32 v[64:65], v[34:35], v[2:3]
	v_add_f64 v[64:65], v[64:65], 0
	v_mul_f64 v[6:7], v[34:35], v[6:7]
	s_waitcnt vmcnt(48) lgkmcnt(7)
	v_mul_f64 v[66:67], v[36:37], v[8:9]
	v_fmac_f64_e32 v[66:67], v[38:39], v[4:5]
	s_waitcnt vmcnt(46) lgkmcnt(6)
	v_mul_f64 v[68:69], v[40:41], v[10:11]
	v_add_f64 v[64:65], v[64:65], v[66:67]
	s_waitcnt vmcnt(44) lgkmcnt(5)
	v_mul_f64 v[70:71], v[44:45], v[12:13]
	v_fma_f64 v[2:3], v[32:33], v[2:3], -v[6:7]
	v_mul_f64 v[6:7], v[38:39], v[8:9]
	v_add_f64 v[2:3], v[2:3], 0
	v_fma_f64 v[4:5], v[36:37], v[4:5], -v[6:7]
	s_waitcnt vmcnt(39) lgkmcnt(3)
	v_mul_f64 v[74:75], v[52:53], v[18:19]
	v_add_f64 v[2:3], v[2:3], v[4:5]
	s_waitcnt vmcnt(37)
	v_mul_f64 v[72:73], v[48:49], v[20:21]
	v_mul_f64 v[4:5], v[42:43], v[10:11]
	s_waitcnt vmcnt(35)
	v_fmac_f64_e32 v[72:73], v[50:51], v[22:23]
	s_waitcnt lgkmcnt(2)
	v_mul_f64 v[76:77], v[56:57], v[14:15]
	s_waitcnt vmcnt(33)
	v_fmac_f64_e32 v[68:69], v[42:43], v[28:29]
	v_add_f64 v[64:65], v[64:65], v[68:69]
	s_waitcnt vmcnt(31)
	v_fmac_f64_e32 v[70:71], v[46:47], v[26:27]
	v_add_f64 v[64:65], v[64:65], v[70:71]
	;; [unrolled: 3-line block ×3, first 2 shown]
	v_fma_f64 v[4:5], v[40:41], v[28:29], -v[4:5]
	s_waitcnt vmcnt(28)
	v_fmac_f64_e32 v[76:77], v[58:59], v[16:17]
	v_add_f64 v[64:65], v[64:65], v[74:75]
	v_add_f64 v[2:3], v[2:3], v[4:5]
	v_mul_f64 v[4:5], v[46:47], v[12:13]
	v_add_f64 v[68:69], v[64:65], v[76:77]
	ds_read_b128 v[64:67], v30 offset:1904
	s_waitcnt vmcnt(24) lgkmcnt(2)
	v_mul_f64 v[70:71], v[60:61], v[86:87]
	v_fma_f64 v[4:5], v[44:45], v[26:27], -v[4:5]
	s_waitcnt vmcnt(22)
	v_fmac_f64_e32 v[70:71], v[62:63], v[88:89]
	v_add_f64 v[2:3], v[2:3], v[4:5]
	v_mul_f64 v[4:5], v[50:51], v[20:21]
	v_add_f64 v[72:73], v[68:69], v[70:71]
	ds_read_b128 v[68:71], v30 offset:1920
	v_fma_f64 v[4:5], v[48:49], v[22:23], -v[4:5]
	v_add_f64 v[2:3], v[2:3], v[4:5]
	v_mul_f64 v[4:5], v[54:55], v[18:19]
	v_fma_f64 v[4:5], v[52:53], v[24:25], -v[4:5]
	s_waitcnt vmcnt(21) lgkmcnt(1)
	v_mul_f64 v[74:75], v[64:65], v[0:1]
	v_add_f64 v[2:3], v[2:3], v[4:5]
	v_mul_f64 v[4:5], v[58:59], v[14:15]
	s_waitcnt vmcnt(20)
	v_fmac_f64_e32 v[74:75], v[66:67], v[84:85]
	v_fma_f64 v[4:5], v[56:57], v[16:17], -v[4:5]
	v_add_f64 v[76:77], v[72:73], v[74:75]
	ds_read_b128 v[72:75], v30 offset:1936
	s_waitcnt vmcnt(16) lgkmcnt(1)
	v_mul_f64 v[78:79], v[68:69], v[94:95]
	v_add_f64 v[2:3], v[2:3], v[4:5]
	v_mul_f64 v[4:5], v[62:63], v[86:87]
	s_waitcnt vmcnt(14)
	v_fmac_f64_e32 v[78:79], v[70:71], v[96:97]
	v_fma_f64 v[4:5], v[60:61], v[88:89], -v[4:5]
	v_mul_f64 v[0:1], v[66:67], v[0:1]
	v_add_f64 v[110:111], v[76:77], v[78:79]
	ds_read_b128 v[76:79], v30 offset:1952
	v_add_f64 v[2:3], v[2:3], v[4:5]
	v_fma_f64 v[0:1], v[64:65], v[84:85], -v[0:1]
	v_add_f64 v[0:1], v[2:3], v[0:1]
	v_mul_f64 v[2:3], v[70:71], v[94:95]
	v_fma_f64 v[2:3], v[68:69], v[96:97], -v[2:3]
	v_add_f64 v[0:1], v[0:1], v[2:3]
	s_waitcnt vmcnt(13) lgkmcnt(1)
	v_mul_f64 v[2:3], v[74:75], v[90:91]
	v_mul_f64 v[112:113], v[72:73], v[90:91]
	s_waitcnt vmcnt(12)
	v_fma_f64 v[2:3], v[72:73], v[92:93], -v[2:3]
	v_fmac_f64_e32 v[112:113], v[74:75], v[92:93]
	v_add_f64 v[0:1], v[0:1], v[2:3]
	s_waitcnt vmcnt(8) lgkmcnt(0)
	v_mul_f64 v[2:3], v[78:79], v[102:103]
	v_add_f64 v[110:111], v[110:111], v[112:113]
	v_mul_f64 v[112:113], v[76:77], v[102:103]
	s_waitcnt vmcnt(6)
	v_fma_f64 v[2:3], v[76:77], v[104:105], -v[2:3]
	v_fmac_f64_e32 v[112:113], v[78:79], v[104:105]
	v_add_f64 v[0:1], v[0:1], v[2:3]
	s_waitcnt vmcnt(5)
	v_mul_f64 v[2:3], v[82:83], v[98:99]
	v_add_f64 v[110:111], v[110:111], v[112:113]
	v_mul_f64 v[112:113], v[80:81], v[98:99]
	s_waitcnt vmcnt(4)
	v_fma_f64 v[2:3], v[80:81], v[100:101], -v[2:3]
	v_fmac_f64_e32 v[112:113], v[82:83], v[100:101]
	v_add_f64 v[0:1], v[0:1], v[2:3]
	v_add_f64 v[110:111], v[110:111], v[112:113]
	s_waitcnt vmcnt(2)
	v_add_f64 v[0:1], v[106:107], -v[0:1]
	s_waitcnt vmcnt(0)
	v_add_f64 v[2:3], v[108:109], -v[110:111]
	buffer_store_dword v1, off, s[0:3], 0 offset:788
	buffer_store_dword v0, off, s[0:3], 0 offset:784
	;; [unrolled: 1-line block ×4, first 2 shown]
	s_and_saveexec_b64 s[4:5], vcc
	s_cbranch_execz .LBB61_303
; %bb.302:
	v_accvgpr_read_b32 v0, a138
	buffer_load_dword v2, v0, s[0:3], 0 offen
	buffer_load_dword v3, v0, s[0:3], 0 offen offset:4
	buffer_load_dword v4, v0, s[0:3], 0 offen offset:8
	;; [unrolled: 1-line block ×3, first 2 shown]
	v_accvgpr_read_b32 v0, a186
	buffer_store_dword v30, off, s[0:3], 0 offset:768
	buffer_store_dword v30, off, s[0:3], 0 offset:772
	;; [unrolled: 1-line block ×4, first 2 shown]
	s_waitcnt vmcnt(4)
	ds_write_b128 v0, v[2:5]
.LBB61_303:
	s_or_b64 exec, exec, s[4:5]
	s_waitcnt lgkmcnt(0)
	; wave barrier
	s_waitcnt lgkmcnt(0)
	buffer_load_dword v2, off, s[0:3], 0 offset:784
	buffer_load_dword v3, off, s[0:3], 0 offset:788
	buffer_load_dword v6, off, s[0:3], 0 offset:792
	buffer_load_dword v7, off, s[0:3], 0 offset:796
	buffer_load_dword v4, off, s[0:3], 0 offset:800
	buffer_load_dword v5, off, s[0:3], 0 offset:804
	buffer_load_dword v8, off, s[0:3], 0 offset:808
	buffer_load_dword v9, off, s[0:3], 0 offset:812
	buffer_load_dword v10, off, s[0:3], 0 offset:824
	buffer_load_dword v11, off, s[0:3], 0 offset:828
	buffer_load_dword v13, off, s[0:3], 0 offset:860
	buffer_load_dword v12, off, s[0:3], 0 offset:856
	buffer_load_dword v15, off, s[0:3], 0 offset:852
	buffer_load_dword v14, off, s[0:3], 0 offset:848
	buffer_load_dword v17, off, s[0:3], 0 offset:844
	buffer_load_dword v16, off, s[0:3], 0 offset:840
	buffer_load_dword v19, off, s[0:3], 0 offset:892
	buffer_load_dword v21, off, s[0:3], 0 offset:884
	buffer_load_dword v23, off, s[0:3], 0 offset:876
	buffer_load_dword v22, off, s[0:3], 0 offset:872
	buffer_load_dword v28, off, s[0:3], 0 offset:816
	buffer_load_dword v29, off, s[0:3], 0 offset:820
	buffer_load_dword v27, off, s[0:3], 0 offset:836
	buffer_load_dword v26, off, s[0:3], 0 offset:832
	buffer_load_dword v25, off, s[0:3], 0 offset:868
	buffer_load_dword v24, off, s[0:3], 0 offset:864
	buffer_load_dword v18, off, s[0:3], 0 offset:888
	buffer_load_dword v20, off, s[0:3], 0 offset:880
	buffer_load_dword v1, off, s[0:3], 0 offset:924
	buffer_load_dword v89, off, s[0:3], 0 offset:916
	buffer_load_dword v91, off, s[0:3], 0 offset:908
	buffer_load_dword v90, off, s[0:3], 0 offset:904
	buffer_load_dword v93, off, s[0:3], 0 offset:900
	buffer_load_dword v92, off, s[0:3], 0 offset:896
	buffer_load_dword v0, off, s[0:3], 0 offset:920
	buffer_load_dword v88, off, s[0:3], 0 offset:912
	buffer_load_dword v95, off, s[0:3], 0 offset:956
	buffer_load_dword v97, off, s[0:3], 0 offset:948
	buffer_load_dword v99, off, s[0:3], 0 offset:940
	buffer_load_dword v98, off, s[0:3], 0 offset:936
	buffer_load_dword v101, off, s[0:3], 0 offset:932
	buffer_load_dword v100, off, s[0:3], 0 offset:928
	buffer_load_dword v94, off, s[0:3], 0 offset:952
	buffer_load_dword v96, off, s[0:3], 0 offset:944
	buffer_load_dword v103, off, s[0:3], 0 offset:988
	buffer_load_dword v105, off, s[0:3], 0 offset:980
	buffer_load_dword v107, off, s[0:3], 0 offset:972
	buffer_load_dword v106, off, s[0:3], 0 offset:968
	buffer_load_dword v109, off, s[0:3], 0 offset:964
	buffer_load_dword v108, off, s[0:3], 0 offset:960
	buffer_load_dword v102, off, s[0:3], 0 offset:984
	buffer_load_dword v104, off, s[0:3], 0 offset:976
	buffer_load_dword v111, off, s[0:3], 0 offset:1004
	buffer_load_dword v110, off, s[0:3], 0 offset:1000
	buffer_load_dword v113, off, s[0:3], 0 offset:996
	buffer_load_dword v112, off, s[0:3], 0 offset:992
	buffer_load_dword v114, off, s[0:3], 0 offset:768
	buffer_load_dword v115, off, s[0:3], 0 offset:772
	buffer_load_dword v116, off, s[0:3], 0 offset:776
	buffer_load_dword v117, off, s[0:3], 0 offset:780
	ds_read_b128 v[32:35], v30 offset:1760
	ds_read_b128 v[36:39], v30 offset:1776
	;; [unrolled: 1-line block ×8, first 2 shown]
	v_cmp_lt_u32_e32 vcc, 46, v226
	ds_read_b128 v[84:87], v30 offset:1968
	s_waitcnt vmcnt(56) lgkmcnt(8)
	v_mul_f64 v[64:65], v[32:33], v[6:7]
	v_fmac_f64_e32 v[64:65], v[34:35], v[2:3]
	v_add_f64 v[64:65], v[64:65], 0
	v_mul_f64 v[6:7], v[34:35], v[6:7]
	s_waitcnt vmcnt(52) lgkmcnt(7)
	v_mul_f64 v[66:67], v[36:37], v[8:9]
	v_fmac_f64_e32 v[66:67], v[38:39], v[4:5]
	s_waitcnt vmcnt(50) lgkmcnt(6)
	v_mul_f64 v[68:69], v[40:41], v[10:11]
	v_add_f64 v[64:65], v[64:65], v[66:67]
	s_waitcnt vmcnt(48) lgkmcnt(4)
	v_mul_f64 v[72:73], v[48:49], v[12:13]
	v_fma_f64 v[2:3], v[32:33], v[2:3], -v[6:7]
	s_waitcnt vmcnt(46)
	v_fmac_f64_e32 v[72:73], v[50:51], v[14:15]
	v_mul_f64 v[6:7], v[38:39], v[8:9]
	s_waitcnt vmcnt(44)
	v_mul_f64 v[70:71], v[44:45], v[16:17]
	v_add_f64 v[2:3], v[2:3], 0
	v_fma_f64 v[4:5], v[36:37], v[4:5], -v[6:7]
	v_add_f64 v[2:3], v[2:3], v[4:5]
	s_waitcnt vmcnt(40) lgkmcnt(3)
	v_mul_f64 v[74:75], v[52:53], v[22:23]
	v_mul_f64 v[4:5], v[42:43], v[10:11]
	s_waitcnt vmcnt(38)
	v_fmac_f64_e32 v[68:69], v[42:43], v[28:29]
	v_add_f64 v[64:65], v[64:65], v[68:69]
	s_waitcnt vmcnt(36)
	v_fmac_f64_e32 v[70:71], v[46:47], v[26:27]
	v_add_f64 v[64:65], v[64:65], v[70:71]
	;; [unrolled: 3-line block ×3, first 2 shown]
	s_waitcnt vmcnt(33) lgkmcnt(2)
	v_mul_f64 v[66:67], v[56:57], v[18:19]
	v_add_f64 v[64:65], v[64:65], v[74:75]
	s_waitcnt vmcnt(32)
	v_fmac_f64_e32 v[66:67], v[58:59], v[20:21]
	v_add_f64 v[68:69], v[64:65], v[66:67]
	ds_read_b128 v[64:67], v30 offset:1888
	v_fma_f64 v[4:5], v[40:41], v[28:29], -v[4:5]
	v_add_f64 v[2:3], v[2:3], v[4:5]
	v_mul_f64 v[4:5], v[46:47], v[16:17]
	s_waitcnt vmcnt(28) lgkmcnt(2)
	v_mul_f64 v[70:71], v[60:61], v[90:91]
	v_fma_f64 v[4:5], v[44:45], v[26:27], -v[4:5]
	s_waitcnt vmcnt(26)
	v_fmac_f64_e32 v[70:71], v[62:63], v[92:93]
	v_add_f64 v[2:3], v[2:3], v[4:5]
	v_mul_f64 v[4:5], v[50:51], v[12:13]
	v_add_f64 v[72:73], v[68:69], v[70:71]
	ds_read_b128 v[68:71], v30 offset:1904
	s_waitcnt vmcnt(25) lgkmcnt(1)
	v_mul_f64 v[74:75], v[64:65], v[0:1]
	v_fma_f64 v[4:5], v[48:49], v[14:15], -v[4:5]
	s_waitcnt vmcnt(24)
	v_fmac_f64_e32 v[74:75], v[66:67], v[88:89]
	v_add_f64 v[2:3], v[2:3], v[4:5]
	v_mul_f64 v[4:5], v[54:55], v[22:23]
	v_add_f64 v[76:77], v[72:73], v[74:75]
	ds_read_b128 v[72:75], v30 offset:1920
	v_fma_f64 v[4:5], v[52:53], v[24:25], -v[4:5]
	v_add_f64 v[2:3], v[2:3], v[4:5]
	v_mul_f64 v[4:5], v[58:59], v[18:19]
	v_fma_f64 v[4:5], v[56:57], v[20:21], -v[4:5]
	s_waitcnt vmcnt(20) lgkmcnt(1)
	v_mul_f64 v[78:79], v[68:69], v[98:99]
	v_add_f64 v[2:3], v[2:3], v[4:5]
	v_mul_f64 v[4:5], v[62:63], v[90:91]
	s_waitcnt vmcnt(18)
	v_fmac_f64_e32 v[78:79], v[70:71], v[100:101]
	v_fma_f64 v[4:5], v[60:61], v[92:93], -v[4:5]
	v_mul_f64 v[0:1], v[66:67], v[0:1]
	v_add_f64 v[80:81], v[76:77], v[78:79]
	ds_read_b128 v[76:79], v30 offset:1936
	s_waitcnt vmcnt(17) lgkmcnt(1)
	v_mul_f64 v[82:83], v[72:73], v[94:95]
	v_add_f64 v[2:3], v[2:3], v[4:5]
	v_fma_f64 v[0:1], v[64:65], v[88:89], -v[0:1]
	s_waitcnt vmcnt(16)
	v_fmac_f64_e32 v[82:83], v[74:75], v[96:97]
	v_add_f64 v[0:1], v[2:3], v[0:1]
	v_mul_f64 v[2:3], v[70:71], v[98:99]
	v_add_f64 v[118:119], v[80:81], v[82:83]
	ds_read_b128 v[80:83], v30 offset:1952
	v_fma_f64 v[2:3], v[68:69], v[100:101], -v[2:3]
	v_add_f64 v[0:1], v[0:1], v[2:3]
	v_mul_f64 v[2:3], v[74:75], v[94:95]
	v_fma_f64 v[2:3], v[72:73], v[96:97], -v[2:3]
	v_add_f64 v[0:1], v[0:1], v[2:3]
	s_waitcnt vmcnt(12) lgkmcnt(1)
	v_mul_f64 v[2:3], v[78:79], v[106:107]
	v_mul_f64 v[120:121], v[76:77], v[106:107]
	s_waitcnt vmcnt(10)
	v_fma_f64 v[2:3], v[76:77], v[108:109], -v[2:3]
	v_fmac_f64_e32 v[120:121], v[78:79], v[108:109]
	v_add_f64 v[0:1], v[0:1], v[2:3]
	s_waitcnt vmcnt(9) lgkmcnt(0)
	v_mul_f64 v[2:3], v[82:83], v[102:103]
	v_add_f64 v[30:31], v[118:119], v[120:121]
	v_mul_f64 v[118:119], v[80:81], v[102:103]
	s_waitcnt vmcnt(8)
	v_fma_f64 v[2:3], v[80:81], v[104:105], -v[2:3]
	v_fmac_f64_e32 v[118:119], v[82:83], v[104:105]
	v_add_f64 v[0:1], v[0:1], v[2:3]
	s_waitcnt vmcnt(6)
	v_mul_f64 v[2:3], v[86:87], v[110:111]
	v_add_f64 v[30:31], v[30:31], v[118:119]
	v_mul_f64 v[118:119], v[84:85], v[110:111]
	s_waitcnt vmcnt(4)
	v_fma_f64 v[2:3], v[84:85], v[112:113], -v[2:3]
	v_fmac_f64_e32 v[118:119], v[86:87], v[112:113]
	v_add_f64 v[0:1], v[0:1], v[2:3]
	v_add_f64 v[30:31], v[30:31], v[118:119]
	s_waitcnt vmcnt(2)
	v_add_f64 v[0:1], v[114:115], -v[0:1]
	s_waitcnt vmcnt(0)
	v_add_f64 v[2:3], v[116:117], -v[30:31]
	buffer_store_dword v1, off, s[0:3], 0 offset:772
	buffer_store_dword v0, off, s[0:3], 0 offset:768
	;; [unrolled: 1-line block ×4, first 2 shown]
	s_and_saveexec_b64 s[4:5], vcc
	s_cbranch_execz .LBB61_305
; %bb.304:
	v_accvgpr_read_b32 v0, a139
	buffer_load_dword v2, v0, s[0:3], 0 offen
	buffer_load_dword v3, v0, s[0:3], 0 offen offset:4
	buffer_load_dword v4, v0, s[0:3], 0 offen offset:8
	;; [unrolled: 1-line block ×3, first 2 shown]
	v_mov_b32_e32 v0, 0
	v_accvgpr_read_b32 v1, a186
	buffer_store_dword v0, off, s[0:3], 0 offset:752
	buffer_store_dword v0, off, s[0:3], 0 offset:756
	buffer_store_dword v0, off, s[0:3], 0 offset:760
	buffer_store_dword v0, off, s[0:3], 0 offset:764
	s_waitcnt vmcnt(4)
	ds_write_b128 v1, v[2:5]
.LBB61_305:
	s_or_b64 exec, exec, s[4:5]
	s_waitcnt lgkmcnt(0)
	; wave barrier
	s_waitcnt lgkmcnt(0)
	buffer_load_dword v2, off, s[0:3], 0 offset:768
	buffer_load_dword v3, off, s[0:3], 0 offset:772
	;; [unrolled: 1-line block ×64, first 2 shown]
	v_mov_b32_e32 v46, 0
	ds_read_b128 v[38:41], v46 offset:1744
	ds_read_b128 v[42:45], v46 offset:1760
	;; [unrolled: 1-line block ×7, first 2 shown]
	v_cmp_lt_u32_e32 vcc, 45, v226
	s_waitcnt vmcnt(60) lgkmcnt(6)
	v_mul_f64 v[64:65], v[38:39], v[4:5]
	v_fmac_f64_e32 v[64:65], v[40:41], v[2:3]
	s_waitcnt vmcnt(58) lgkmcnt(5)
	v_mul_f64 v[66:67], v[42:43], v[6:7]
	v_add_f64 v[64:65], v[64:65], 0
	s_waitcnt vmcnt(56) lgkmcnt(4)
	v_mul_f64 v[68:69], v[48:49], v[8:9]
	v_mul_f64 v[4:5], v[40:41], v[4:5]
	s_waitcnt vmcnt(54) lgkmcnt(2)
	v_mul_f64 v[72:73], v[56:57], v[10:11]
	v_fma_f64 v[2:3], v[38:39], v[2:3], -v[4:5]
	v_mul_f64 v[4:5], v[44:45], v[6:7]
	s_waitcnt vmcnt(51)
	v_mul_f64 v[70:71], v[52:53], v[14:15]
	v_add_f64 v[2:3], v[2:3], 0
	s_waitcnt vmcnt(49)
	v_fmac_f64_e32 v[66:67], v[44:45], v[20:21]
	v_add_f64 v[64:65], v[64:65], v[66:67]
	s_waitcnt vmcnt(47)
	v_fmac_f64_e32 v[68:69], v[50:51], v[18:19]
	v_add_f64 v[64:65], v[64:65], v[68:69]
	s_waitcnt vmcnt(45)
	v_fmac_f64_e32 v[70:71], v[54:55], v[16:17]
	v_add_f64 v[64:65], v[64:65], v[70:71]
	s_waitcnt vmcnt(44)
	v_fmac_f64_e32 v[72:73], v[58:59], v[12:13]
	v_add_f64 v[68:69], v[64:65], v[72:73]
	ds_read_b128 v[64:67], v46 offset:1840
	s_waitcnt vmcnt(40) lgkmcnt(2)
	v_mul_f64 v[70:71], v[60:61], v[26:27]
	v_fma_f64 v[4:5], v[42:43], v[20:21], -v[4:5]
	s_waitcnt vmcnt(38)
	v_fmac_f64_e32 v[70:71], v[62:63], v[28:29]
	v_add_f64 v[72:73], v[68:69], v[70:71]
	ds_read_b128 v[68:71], v46 offset:1856
	s_waitcnt vmcnt(37) lgkmcnt(1)
	v_mul_f64 v[74:75], v[64:65], v[22:23]
	s_waitcnt vmcnt(36)
	v_fmac_f64_e32 v[74:75], v[66:67], v[24:25]
	v_add_f64 v[76:77], v[72:73], v[74:75]
	ds_read_b128 v[72:75], v46 offset:1872
	s_waitcnt vmcnt(32) lgkmcnt(1)
	v_mul_f64 v[78:79], v[68:69], v[34:35]
	v_add_f64 v[2:3], v[2:3], v[4:5]
	v_mul_f64 v[4:5], v[50:51], v[8:9]
	s_waitcnt vmcnt(30)
	v_fmac_f64_e32 v[78:79], v[70:71], v[36:37]
	v_fma_f64 v[4:5], v[48:49], v[18:19], -v[4:5]
	v_add_f64 v[80:81], v[76:77], v[78:79]
	ds_read_b128 v[76:79], v46 offset:1888
	v_add_f64 v[2:3], v[2:3], v[4:5]
	v_mul_f64 v[4:5], v[54:55], v[14:15]
	v_fma_f64 v[4:5], v[52:53], v[16:17], -v[4:5]
	v_add_f64 v[2:3], v[2:3], v[4:5]
	v_mul_f64 v[4:5], v[58:59], v[10:11]
	s_waitcnt vmcnt(29) lgkmcnt(1)
	v_mul_f64 v[82:83], v[72:73], v[30:31]
	v_fma_f64 v[4:5], v[56:57], v[12:13], -v[4:5]
	s_waitcnt vmcnt(28)
	v_fmac_f64_e32 v[82:83], v[74:75], v[32:33]
	v_add_f64 v[2:3], v[2:3], v[4:5]
	v_mul_f64 v[4:5], v[62:63], v[26:27]
	v_add_f64 v[84:85], v[80:81], v[82:83]
	ds_read_b128 v[80:83], v46 offset:1904
	s_waitcnt vmcnt(24) lgkmcnt(1)
	v_mul_f64 v[86:87], v[76:77], v[102:103]
	v_fma_f64 v[4:5], v[60:61], v[28:29], -v[4:5]
	s_waitcnt vmcnt(22)
	v_fmac_f64_e32 v[86:87], v[78:79], v[104:105]
	v_add_f64 v[2:3], v[2:3], v[4:5]
	v_mul_f64 v[4:5], v[66:67], v[22:23]
	v_add_f64 v[88:89], v[84:85], v[86:87]
	ds_read_b128 v[84:87], v46 offset:1920
	v_fma_f64 v[4:5], v[64:65], v[24:25], -v[4:5]
	v_add_f64 v[2:3], v[2:3], v[4:5]
	v_mul_f64 v[4:5], v[70:71], v[34:35]
	v_fma_f64 v[4:5], v[68:69], v[36:37], -v[4:5]
	s_waitcnt vmcnt(21) lgkmcnt(1)
	v_mul_f64 v[90:91], v[80:81], v[0:1]
	v_add_f64 v[2:3], v[2:3], v[4:5]
	v_mul_f64 v[4:5], v[74:75], v[30:31]
	s_waitcnt vmcnt(20)
	v_fmac_f64_e32 v[90:91], v[82:83], v[100:101]
	v_fma_f64 v[4:5], v[72:73], v[32:33], -v[4:5]
	v_add_f64 v[92:93], v[88:89], v[90:91]
	ds_read_b128 v[88:91], v46 offset:1936
	s_waitcnt vmcnt(16) lgkmcnt(1)
	v_mul_f64 v[94:95], v[84:85], v[110:111]
	v_add_f64 v[2:3], v[2:3], v[4:5]
	v_mul_f64 v[4:5], v[78:79], v[102:103]
	s_waitcnt vmcnt(14)
	v_fmac_f64_e32 v[94:95], v[86:87], v[112:113]
	v_fma_f64 v[4:5], v[76:77], v[104:105], -v[4:5]
	v_mul_f64 v[0:1], v[82:83], v[0:1]
	v_add_f64 v[126:127], v[92:93], v[94:95]
	ds_read_b128 v[92:95], v46 offset:1952
	v_add_f64 v[2:3], v[2:3], v[4:5]
	v_fma_f64 v[0:1], v[80:81], v[100:101], -v[0:1]
	v_add_f64 v[0:1], v[2:3], v[0:1]
	v_mul_f64 v[2:3], v[86:87], v[110:111]
	v_fma_f64 v[2:3], v[84:85], v[112:113], -v[2:3]
	v_add_f64 v[0:1], v[0:1], v[2:3]
	s_waitcnt vmcnt(13) lgkmcnt(1)
	v_mul_f64 v[2:3], v[90:91], v[106:107]
	v_mul_f64 v[128:129], v[88:89], v[106:107]
	s_waitcnt vmcnt(12)
	v_fma_f64 v[2:3], v[88:89], v[108:109], -v[2:3]
	v_fmac_f64_e32 v[128:129], v[90:91], v[108:109]
	v_add_f64 v[0:1], v[0:1], v[2:3]
	s_waitcnt vmcnt(8) lgkmcnt(0)
	v_mul_f64 v[2:3], v[94:95], v[118:119]
	v_add_f64 v[126:127], v[126:127], v[128:129]
	v_mul_f64 v[128:129], v[92:93], v[118:119]
	s_waitcnt vmcnt(6)
	v_fma_f64 v[2:3], v[92:93], v[120:121], -v[2:3]
	v_fmac_f64_e32 v[128:129], v[94:95], v[120:121]
	v_add_f64 v[0:1], v[0:1], v[2:3]
	s_waitcnt vmcnt(5)
	v_mul_f64 v[2:3], v[98:99], v[114:115]
	v_add_f64 v[126:127], v[126:127], v[128:129]
	v_mul_f64 v[128:129], v[96:97], v[114:115]
	s_waitcnt vmcnt(4)
	v_fma_f64 v[2:3], v[96:97], v[116:117], -v[2:3]
	v_fmac_f64_e32 v[128:129], v[98:99], v[116:117]
	v_add_f64 v[0:1], v[0:1], v[2:3]
	v_add_f64 v[126:127], v[126:127], v[128:129]
	s_waitcnt vmcnt(2)
	v_add_f64 v[0:1], v[122:123], -v[0:1]
	s_waitcnt vmcnt(0)
	v_add_f64 v[2:3], v[124:125], -v[126:127]
	buffer_store_dword v1, off, s[0:3], 0 offset:756
	buffer_store_dword v0, off, s[0:3], 0 offset:752
	;; [unrolled: 1-line block ×4, first 2 shown]
	s_and_saveexec_b64 s[4:5], vcc
	s_cbranch_execz .LBB61_307
; %bb.306:
	v_accvgpr_read_b32 v0, a140
	buffer_load_dword v2, v0, s[0:3], 0 offen
	buffer_load_dword v3, v0, s[0:3], 0 offen offset:4
	buffer_load_dword v4, v0, s[0:3], 0 offen offset:8
	;; [unrolled: 1-line block ×3, first 2 shown]
	v_accvgpr_read_b32 v0, a186
	buffer_store_dword v46, off, s[0:3], 0 offset:736
	buffer_store_dword v46, off, s[0:3], 0 offset:740
	;; [unrolled: 1-line block ×4, first 2 shown]
	s_waitcnt vmcnt(4)
	ds_write_b128 v0, v[2:5]
.LBB61_307:
	s_or_b64 exec, exec, s[4:5]
	s_waitcnt lgkmcnt(0)
	; wave barrier
	s_waitcnt lgkmcnt(0)
	buffer_load_dword v2, off, s[0:3], 0 offset:752
	buffer_load_dword v3, off, s[0:3], 0 offset:756
	;; [unrolled: 1-line block ×64, first 2 shown]
	ds_read_b128 v[48:51], v46 offset:1728
	ds_read_b128 v[52:55], v46 offset:1744
	ds_read_b128 v[56:59], v46 offset:1760
	ds_read_b128 v[60:63], v46 offset:1776
	buffer_load_dword v130, off, s[0:3], 0 offset:736
	buffer_load_dword v131, off, s[0:3], 0 offset:740
	buffer_load_dword v132, off, s[0:3], 0 offset:744
	buffer_load_dword v133, off, s[0:3], 0 offset:748
	v_cmp_lt_u32_e32 vcc, 44, v226
	ds_read_b128 v[108:111], v46 offset:1968
	s_waitcnt vmcnt(62) lgkmcnt(4)
	v_mul_f64 v[64:65], v[48:49], v[4:5]
	v_fmac_f64_e32 v[64:65], v[50:51], v[2:3]
	v_add_f64 v[64:65], v[64:65], 0
	s_waitcnt lgkmcnt(2)
	v_mul_f64 v[68:69], v[56:57], v[6:7]
	v_mul_f64 v[4:5], v[50:51], v[4:5]
	v_fma_f64 v[2:3], v[48:49], v[2:3], -v[4:5]
	s_waitcnt vmcnt(58) lgkmcnt(1)
	v_mul_f64 v[70:71], v[60:61], v[12:13]
	v_add_f64 v[2:3], v[2:3], 0
	s_waitcnt vmcnt(56)
	v_mul_f64 v[66:67], v[52:53], v[18:19]
	v_mul_f64 v[4:5], v[54:55], v[18:19]
	s_waitcnt vmcnt(53)
	v_fmac_f64_e32 v[68:69], v[58:59], v[16:17]
	s_waitcnt vmcnt(52)
	v_fmac_f64_e32 v[66:67], v[54:55], v[20:21]
	v_add_f64 v[72:73], v[64:65], v[66:67]
	ds_read_b128 v[64:67], v46 offset:1792
	v_add_f64 v[68:69], v[72:73], v[68:69]
	s_waitcnt vmcnt(50)
	v_fmac_f64_e32 v[70:71], v[62:63], v[14:15]
	v_add_f64 v[72:73], v[68:69], v[70:71]
	ds_read_b128 v[68:71], v46 offset:1808
	s_waitcnt vmcnt(49) lgkmcnt(1)
	v_mul_f64 v[74:75], v[64:65], v[8:9]
	s_waitcnt vmcnt(48)
	v_fmac_f64_e32 v[74:75], v[66:67], v[10:11]
	v_add_f64 v[76:77], v[72:73], v[74:75]
	ds_read_b128 v[72:75], v46 offset:1824
	s_waitcnt vmcnt(44) lgkmcnt(1)
	v_mul_f64 v[78:79], v[68:69], v[26:27]
	;; [unrolled: 6-line block ×3, first 2 shown]
	s_waitcnt vmcnt(40)
	v_fmac_f64_e32 v[82:83], v[74:75], v[24:25]
	v_add_f64 v[84:85], v[80:81], v[82:83]
	ds_read_b128 v[80:83], v46 offset:1856
	v_fma_f64 v[4:5], v[52:53], v[20:21], -v[4:5]
	s_waitcnt vmcnt(36) lgkmcnt(1)
	v_mul_f64 v[86:87], v[76:77], v[34:35]
	v_add_f64 v[2:3], v[2:3], v[4:5]
	v_mul_f64 v[4:5], v[58:59], v[6:7]
	s_waitcnt vmcnt(34)
	v_fmac_f64_e32 v[86:87], v[78:79], v[36:37]
	v_fma_f64 v[4:5], v[56:57], v[16:17], -v[4:5]
	v_add_f64 v[88:89], v[84:85], v[86:87]
	ds_read_b128 v[84:87], v46 offset:1872
	s_waitcnt vmcnt(33) lgkmcnt(1)
	v_mul_f64 v[90:91], v[80:81], v[30:31]
	v_add_f64 v[2:3], v[2:3], v[4:5]
	v_mul_f64 v[4:5], v[62:63], v[12:13]
	s_waitcnt vmcnt(32)
	v_fmac_f64_e32 v[90:91], v[82:83], v[32:33]
	v_fma_f64 v[4:5], v[60:61], v[14:15], -v[4:5]
	v_add_f64 v[92:93], v[88:89], v[90:91]
	ds_read_b128 v[88:91], v46 offset:1888
	v_add_f64 v[2:3], v[2:3], v[4:5]
	v_mul_f64 v[4:5], v[66:67], v[8:9]
	v_fma_f64 v[4:5], v[64:65], v[10:11], -v[4:5]
	v_add_f64 v[2:3], v[2:3], v[4:5]
	v_mul_f64 v[4:5], v[70:71], v[26:27]
	s_waitcnt vmcnt(28) lgkmcnt(1)
	v_mul_f64 v[94:95], v[84:85], v[42:43]
	v_fma_f64 v[4:5], v[68:69], v[28:29], -v[4:5]
	s_waitcnt vmcnt(26)
	v_fmac_f64_e32 v[94:95], v[86:87], v[44:45]
	v_add_f64 v[2:3], v[2:3], v[4:5]
	v_mul_f64 v[4:5], v[74:75], v[22:23]
	v_add_f64 v[96:97], v[92:93], v[94:95]
	ds_read_b128 v[92:95], v46 offset:1904
	s_waitcnt vmcnt(25) lgkmcnt(1)
	v_mul_f64 v[98:99], v[88:89], v[38:39]
	v_fma_f64 v[4:5], v[72:73], v[24:25], -v[4:5]
	s_waitcnt vmcnt(24)
	v_fmac_f64_e32 v[98:99], v[90:91], v[40:41]
	v_add_f64 v[2:3], v[2:3], v[4:5]
	v_mul_f64 v[4:5], v[78:79], v[34:35]
	v_add_f64 v[100:101], v[96:97], v[98:99]
	ds_read_b128 v[96:99], v46 offset:1920
	v_fma_f64 v[4:5], v[76:77], v[36:37], -v[4:5]
	v_add_f64 v[2:3], v[2:3], v[4:5]
	v_mul_f64 v[4:5], v[82:83], v[30:31]
	v_fma_f64 v[4:5], v[80:81], v[32:33], -v[4:5]
	s_waitcnt vmcnt(20) lgkmcnt(1)
	v_mul_f64 v[102:103], v[92:93], v[114:115]
	v_add_f64 v[2:3], v[2:3], v[4:5]
	v_mul_f64 v[4:5], v[86:87], v[42:43]
	s_waitcnt vmcnt(18)
	v_fmac_f64_e32 v[102:103], v[94:95], v[116:117]
	v_fma_f64 v[4:5], v[84:85], v[44:45], -v[4:5]
	v_add_f64 v[104:105], v[100:101], v[102:103]
	ds_read_b128 v[100:103], v46 offset:1936
	s_waitcnt vmcnt(17) lgkmcnt(1)
	v_mul_f64 v[106:107], v[96:97], v[0:1]
	v_add_f64 v[2:3], v[2:3], v[4:5]
	v_mul_f64 v[4:5], v[90:91], v[38:39]
	s_waitcnt vmcnt(16)
	v_fmac_f64_e32 v[106:107], v[98:99], v[112:113]
	v_fma_f64 v[4:5], v[88:89], v[40:41], -v[4:5]
	v_add_f64 v[134:135], v[104:105], v[106:107]
	ds_read_b128 v[104:107], v46 offset:1952
	v_add_f64 v[2:3], v[2:3], v[4:5]
	v_mul_f64 v[4:5], v[94:95], v[114:115]
	v_fma_f64 v[4:5], v[92:93], v[116:117], -v[4:5]
	v_mul_f64 v[0:1], v[98:99], v[0:1]
	v_add_f64 v[2:3], v[2:3], v[4:5]
	v_fma_f64 v[0:1], v[96:97], v[112:113], -v[0:1]
	v_add_f64 v[0:1], v[2:3], v[0:1]
	s_waitcnt vmcnt(12) lgkmcnt(1)
	v_mul_f64 v[2:3], v[102:103], v[122:123]
	v_mul_f64 v[136:137], v[100:101], v[122:123]
	s_waitcnt vmcnt(10)
	v_fma_f64 v[2:3], v[100:101], v[124:125], -v[2:3]
	v_fmac_f64_e32 v[136:137], v[102:103], v[124:125]
	v_add_f64 v[0:1], v[0:1], v[2:3]
	s_waitcnt vmcnt(9) lgkmcnt(0)
	v_mul_f64 v[2:3], v[106:107], v[118:119]
	v_add_f64 v[46:47], v[134:135], v[136:137]
	v_mul_f64 v[134:135], v[104:105], v[118:119]
	s_waitcnt vmcnt(8)
	v_fma_f64 v[2:3], v[104:105], v[120:121], -v[2:3]
	v_fmac_f64_e32 v[134:135], v[106:107], v[120:121]
	v_add_f64 v[0:1], v[0:1], v[2:3]
	s_waitcnt vmcnt(6)
	v_mul_f64 v[2:3], v[110:111], v[126:127]
	v_add_f64 v[46:47], v[46:47], v[134:135]
	v_mul_f64 v[134:135], v[108:109], v[126:127]
	s_waitcnt vmcnt(4)
	v_fma_f64 v[2:3], v[108:109], v[128:129], -v[2:3]
	v_fmac_f64_e32 v[134:135], v[110:111], v[128:129]
	v_add_f64 v[0:1], v[0:1], v[2:3]
	v_add_f64 v[46:47], v[46:47], v[134:135]
	s_waitcnt vmcnt(2)
	v_add_f64 v[0:1], v[130:131], -v[0:1]
	s_waitcnt vmcnt(0)
	v_add_f64 v[2:3], v[132:133], -v[46:47]
	buffer_store_dword v1, off, s[0:3], 0 offset:740
	buffer_store_dword v0, off, s[0:3], 0 offset:736
	;; [unrolled: 1-line block ×4, first 2 shown]
	s_and_saveexec_b64 s[4:5], vcc
	s_cbranch_execz .LBB61_309
; %bb.308:
	v_accvgpr_read_b32 v0, a141
	buffer_load_dword v2, v0, s[0:3], 0 offen
	buffer_load_dword v3, v0, s[0:3], 0 offen offset:4
	buffer_load_dword v4, v0, s[0:3], 0 offen offset:8
	;; [unrolled: 1-line block ×3, first 2 shown]
	v_mov_b32_e32 v0, 0
	v_accvgpr_read_b32 v1, a186
	buffer_store_dword v0, off, s[0:3], 0 offset:720
	buffer_store_dword v0, off, s[0:3], 0 offset:724
	;; [unrolled: 1-line block ×4, first 2 shown]
	s_waitcnt vmcnt(4)
	ds_write_b128 v1, v[2:5]
.LBB61_309:
	s_or_b64 exec, exec, s[4:5]
	s_waitcnt lgkmcnt(0)
	; wave barrier
	s_waitcnt lgkmcnt(0)
	buffer_load_dword v2, off, s[0:3], 0 offset:736
	buffer_load_dword v3, off, s[0:3], 0 offset:740
	;; [unrolled: 1-line block ×68, first 2 shown]
	v_mov_b32_e32 v52, 0
	buffer_load_dword v138, off, s[0:3], 0 offset:720
	buffer_load_dword v139, off, s[0:3], 0 offset:724
	;; [unrolled: 1-line block ×3, first 2 shown]
	ds_read_b128 v[46:49], v52 offset:1712
	ds_read_b128 v[54:57], v52 offset:1728
	buffer_load_dword v141, off, s[0:3], 0 offset:732
	ds_read_b128 v[58:61], v52 offset:1744
	ds_read_b128 v[62:65], v52 offset:1760
	;; [unrolled: 1-line block ×3, first 2 shown]
	v_cmp_lt_u32_e32 vcc, 43, v226
	s_waitcnt vmcnt(62) lgkmcnt(4)
	v_mul_f64 v[66:67], v[46:47], v[6:7]
	v_fmac_f64_e32 v[66:67], v[48:49], v[2:3]
	v_add_f64 v[66:67], v[66:67], 0
	v_mul_f64 v[6:7], v[48:49], v[6:7]
	s_waitcnt lgkmcnt(3)
	v_mul_f64 v[68:69], v[54:55], v[10:11]
	v_fmac_f64_e32 v[68:69], v[56:57], v[4:5]
	v_add_f64 v[66:67], v[66:67], v[68:69]
	v_fma_f64 v[2:3], v[46:47], v[2:3], -v[6:7]
	s_waitcnt vmcnt(60) lgkmcnt(2)
	v_mul_f64 v[68:69], v[58:59], v[12:13]
	v_fmac_f64_e32 v[68:69], v[60:61], v[8:9]
	v_add_f64 v[70:71], v[66:67], v[68:69]
	ds_read_b128 v[66:69], v52 offset:1776
	s_waitcnt vmcnt(56) lgkmcnt(2)
	v_mul_f64 v[72:73], v[62:63], v[18:19]
	v_mul_f64 v[6:7], v[56:57], v[10:11]
	s_waitcnt vmcnt(54)
	v_fmac_f64_e32 v[72:73], v[64:65], v[20:21]
	v_add_f64 v[74:75], v[70:71], v[72:73]
	ds_read_b128 v[70:73], v52 offset:1792
	s_waitcnt vmcnt(53) lgkmcnt(1)
	v_mul_f64 v[76:77], v[66:67], v[14:15]
	s_waitcnt vmcnt(52)
	v_fmac_f64_e32 v[76:77], v[68:69], v[16:17]
	v_add_f64 v[78:79], v[74:75], v[76:77]
	ds_read_b128 v[74:77], v52 offset:1808
	s_waitcnt vmcnt(48) lgkmcnt(1)
	;; [unrolled: 6-line block ×4, first 2 shown]
	v_mul_f64 v[88:89], v[78:79], v[34:35]
	s_waitcnt vmcnt(38)
	v_fmac_f64_e32 v[88:89], v[80:81], v[36:37]
	v_add_f64 v[90:91], v[86:87], v[88:89]
	ds_read_b128 v[86:89], v52 offset:1856
	v_add_f64 v[2:3], v[2:3], 0
	v_fma_f64 v[4:5], v[54:55], v[4:5], -v[6:7]
	v_add_f64 v[2:3], v[2:3], v[4:5]
	v_mul_f64 v[4:5], v[60:61], v[12:13]
	v_fma_f64 v[4:5], v[58:59], v[8:9], -v[4:5]
	s_waitcnt vmcnt(37) lgkmcnt(1)
	v_mul_f64 v[92:93], v[82:83], v[30:31]
	v_add_f64 v[2:3], v[2:3], v[4:5]
	v_mul_f64 v[4:5], v[64:65], v[18:19]
	s_waitcnt vmcnt(36)
	v_fmac_f64_e32 v[92:93], v[84:85], v[32:33]
	v_fma_f64 v[4:5], v[62:63], v[20:21], -v[4:5]
	v_add_f64 v[94:95], v[90:91], v[92:93]
	ds_read_b128 v[90:93], v52 offset:1872
	s_waitcnt vmcnt(32) lgkmcnt(1)
	v_mul_f64 v[96:97], v[86:87], v[42:43]
	v_add_f64 v[2:3], v[2:3], v[4:5]
	v_mul_f64 v[4:5], v[68:69], v[14:15]
	s_waitcnt vmcnt(30)
	v_fmac_f64_e32 v[96:97], v[88:89], v[44:45]
	v_fma_f64 v[4:5], v[66:67], v[16:17], -v[4:5]
	v_add_f64 v[98:99], v[94:95], v[96:97]
	ds_read_b128 v[94:97], v52 offset:1888
	v_add_f64 v[2:3], v[2:3], v[4:5]
	v_mul_f64 v[4:5], v[72:73], v[26:27]
	v_fma_f64 v[4:5], v[70:71], v[28:29], -v[4:5]
	v_add_f64 v[2:3], v[2:3], v[4:5]
	v_mul_f64 v[4:5], v[76:77], v[22:23]
	s_waitcnt vmcnt(29) lgkmcnt(1)
	v_mul_f64 v[100:101], v[90:91], v[38:39]
	v_fma_f64 v[4:5], v[74:75], v[24:25], -v[4:5]
	s_waitcnt vmcnt(28)
	v_fmac_f64_e32 v[100:101], v[92:93], v[40:41]
	v_add_f64 v[2:3], v[2:3], v[4:5]
	v_mul_f64 v[4:5], v[80:81], v[34:35]
	v_add_f64 v[102:103], v[98:99], v[100:101]
	ds_read_b128 v[98:101], v52 offset:1904
	s_waitcnt vmcnt(24) lgkmcnt(1)
	v_mul_f64 v[104:105], v[94:95], v[118:119]
	v_fma_f64 v[4:5], v[78:79], v[36:37], -v[4:5]
	s_waitcnt vmcnt(22)
	v_fmac_f64_e32 v[104:105], v[96:97], v[120:121]
	v_add_f64 v[2:3], v[2:3], v[4:5]
	v_mul_f64 v[4:5], v[84:85], v[30:31]
	v_add_f64 v[106:107], v[102:103], v[104:105]
	ds_read_b128 v[102:105], v52 offset:1920
	v_fma_f64 v[4:5], v[82:83], v[32:33], -v[4:5]
	v_add_f64 v[2:3], v[2:3], v[4:5]
	v_mul_f64 v[4:5], v[88:89], v[42:43]
	v_fma_f64 v[4:5], v[86:87], v[44:45], -v[4:5]
	s_waitcnt vmcnt(21) lgkmcnt(1)
	v_mul_f64 v[108:109], v[98:99], v[0:1]
	v_add_f64 v[2:3], v[2:3], v[4:5]
	v_mul_f64 v[4:5], v[92:93], v[38:39]
	s_waitcnt vmcnt(20)
	v_fmac_f64_e32 v[108:109], v[100:101], v[50:51]
	v_fma_f64 v[4:5], v[90:91], v[40:41], -v[4:5]
	v_add_f64 v[110:111], v[106:107], v[108:109]
	ds_read_b128 v[106:109], v52 offset:1936
	s_waitcnt vmcnt(16) lgkmcnt(1)
	v_mul_f64 v[112:113], v[102:103], v[126:127]
	v_add_f64 v[2:3], v[2:3], v[4:5]
	v_mul_f64 v[4:5], v[96:97], v[118:119]
	s_waitcnt vmcnt(14)
	v_fmac_f64_e32 v[112:113], v[104:105], v[128:129]
	v_fma_f64 v[4:5], v[94:95], v[120:121], -v[4:5]
	v_mul_f64 v[0:1], v[100:101], v[0:1]
	v_add_f64 v[142:143], v[110:111], v[112:113]
	ds_read_b128 v[110:113], v52 offset:1952
	v_add_f64 v[2:3], v[2:3], v[4:5]
	v_fma_f64 v[0:1], v[98:99], v[50:51], -v[0:1]
	v_add_f64 v[0:1], v[2:3], v[0:1]
	v_mul_f64 v[2:3], v[104:105], v[126:127]
	v_fma_f64 v[2:3], v[102:103], v[128:129], -v[2:3]
	v_add_f64 v[0:1], v[0:1], v[2:3]
	s_waitcnt vmcnt(13) lgkmcnt(1)
	v_mul_f64 v[2:3], v[108:109], v[122:123]
	v_mul_f64 v[144:145], v[106:107], v[122:123]
	s_waitcnt vmcnt(12)
	v_fma_f64 v[2:3], v[106:107], v[124:125], -v[2:3]
	v_fmac_f64_e32 v[144:145], v[108:109], v[124:125]
	v_add_f64 v[0:1], v[0:1], v[2:3]
	s_waitcnt vmcnt(8) lgkmcnt(0)
	v_mul_f64 v[2:3], v[112:113], v[134:135]
	v_add_f64 v[142:143], v[142:143], v[144:145]
	v_mul_f64 v[144:145], v[110:111], v[134:135]
	s_waitcnt vmcnt(6)
	v_fma_f64 v[2:3], v[110:111], v[136:137], -v[2:3]
	v_fmac_f64_e32 v[144:145], v[112:113], v[136:137]
	v_add_f64 v[0:1], v[0:1], v[2:3]
	s_waitcnt vmcnt(5)
	v_mul_f64 v[2:3], v[116:117], v[130:131]
	v_add_f64 v[142:143], v[142:143], v[144:145]
	v_mul_f64 v[144:145], v[114:115], v[130:131]
	s_waitcnt vmcnt(4)
	v_fma_f64 v[2:3], v[114:115], v[132:133], -v[2:3]
	v_fmac_f64_e32 v[144:145], v[116:117], v[132:133]
	v_add_f64 v[0:1], v[0:1], v[2:3]
	v_add_f64 v[142:143], v[142:143], v[144:145]
	s_waitcnt vmcnt(2)
	v_add_f64 v[0:1], v[138:139], -v[0:1]
	s_waitcnt vmcnt(0)
	v_add_f64 v[2:3], v[140:141], -v[142:143]
	buffer_store_dword v1, off, s[0:3], 0 offset:724
	buffer_store_dword v0, off, s[0:3], 0 offset:720
	buffer_store_dword v3, off, s[0:3], 0 offset:732
	buffer_store_dword v2, off, s[0:3], 0 offset:728
	s_and_saveexec_b64 s[4:5], vcc
	s_cbranch_execz .LBB61_311
; %bb.310:
	v_accvgpr_read_b32 v0, a142
	buffer_load_dword v2, v0, s[0:3], 0 offen
	buffer_load_dword v3, v0, s[0:3], 0 offen offset:4
	buffer_load_dword v4, v0, s[0:3], 0 offen offset:8
	;; [unrolled: 1-line block ×3, first 2 shown]
	v_accvgpr_read_b32 v0, a186
	buffer_store_dword v52, off, s[0:3], 0 offset:704
	buffer_store_dword v52, off, s[0:3], 0 offset:708
	;; [unrolled: 1-line block ×4, first 2 shown]
	s_waitcnt vmcnt(4)
	ds_write_b128 v0, v[2:5]
.LBB61_311:
	s_or_b64 exec, exec, s[4:5]
	s_waitcnt lgkmcnt(0)
	; wave barrier
	s_waitcnt lgkmcnt(0)
	buffer_load_dword v2, off, s[0:3], 0 offset:720
	buffer_load_dword v3, off, s[0:3], 0 offset:724
	;; [unrolled: 1-line block ×72, first 2 shown]
	ds_read_b128 v[54:57], v52 offset:1696
	buffer_load_dword v146, off, s[0:3], 0 offset:704
	buffer_load_dword v147, off, s[0:3], 0 offset:708
	;; [unrolled: 1-line block ×4, first 2 shown]
	ds_read_b128 v[58:61], v52 offset:1712
	ds_read_b128 v[62:65], v52 offset:1728
	;; [unrolled: 1-line block ×3, first 2 shown]
	v_cmp_lt_u32_e32 vcc, 42, v226
	ds_read_b128 v[122:125], v52 offset:1968
	s_waitcnt vmcnt(62) lgkmcnt(4)
	v_mul_f64 v[70:71], v[54:55], v[8:9]
	v_fmac_f64_e32 v[70:71], v[56:57], v[2:3]
	v_add_f64 v[70:71], v[70:71], 0
	v_mul_f64 v[8:9], v[56:57], v[8:9]
	s_waitcnt lgkmcnt(3)
	v_mul_f64 v[72:73], v[58:59], v[10:11]
	v_fmac_f64_e32 v[72:73], v[60:61], v[4:5]
	v_add_f64 v[70:71], v[70:71], v[72:73]
	v_fma_f64 v[2:3], v[54:55], v[2:3], -v[8:9]
	s_waitcnt lgkmcnt(2)
	v_mul_f64 v[72:73], v[62:63], v[12:13]
	v_fmac_f64_e32 v[72:73], v[64:65], v[6:7]
	v_add_f64 v[74:75], v[70:71], v[72:73]
	ds_read_b128 v[70:73], v52 offset:1760
	s_waitcnt vmcnt(60) lgkmcnt(2)
	v_mul_f64 v[76:77], v[66:67], v[18:19]
	v_mul_f64 v[8:9], v[60:61], v[10:11]
	s_waitcnt vmcnt(58)
	v_fmac_f64_e32 v[76:77], v[68:69], v[20:21]
	v_add_f64 v[78:79], v[74:75], v[76:77]
	ds_read_b128 v[74:77], v52 offset:1776
	s_waitcnt vmcnt(57) lgkmcnt(1)
	v_mul_f64 v[80:81], v[70:71], v[14:15]
	s_waitcnt vmcnt(56)
	v_fmac_f64_e32 v[80:81], v[72:73], v[16:17]
	v_add_f64 v[82:83], v[78:79], v[80:81]
	ds_read_b128 v[78:81], v52 offset:1792
	s_waitcnt vmcnt(52) lgkmcnt(1)
	v_mul_f64 v[84:85], v[74:75], v[26:27]
	s_waitcnt vmcnt(50)
	v_fmac_f64_e32 v[84:85], v[76:77], v[28:29]
	v_add_f64 v[86:87], v[82:83], v[84:85]
	ds_read_b128 v[82:85], v52 offset:1808
	s_waitcnt vmcnt(49) lgkmcnt(1)
	v_mul_f64 v[88:89], v[78:79], v[22:23]
	s_waitcnt vmcnt(48)
	v_fmac_f64_e32 v[88:89], v[80:81], v[24:25]
	v_add_f64 v[90:91], v[86:87], v[88:89]
	ds_read_b128 v[86:89], v52 offset:1824
	s_waitcnt vmcnt(44) lgkmcnt(1)
	v_mul_f64 v[92:93], v[82:83], v[34:35]
	s_waitcnt vmcnt(42)
	v_fmac_f64_e32 v[92:93], v[84:85], v[36:37]
	v_add_f64 v[2:3], v[2:3], 0
	v_fma_f64 v[4:5], v[58:59], v[4:5], -v[8:9]
	v_add_f64 v[94:95], v[90:91], v[92:93]
	ds_read_b128 v[90:93], v52 offset:1840
	s_waitcnt vmcnt(41) lgkmcnt(1)
	v_mul_f64 v[96:97], v[86:87], v[30:31]
	v_add_f64 v[2:3], v[2:3], v[4:5]
	v_mul_f64 v[4:5], v[64:65], v[12:13]
	s_waitcnt vmcnt(40)
	v_fmac_f64_e32 v[96:97], v[88:89], v[32:33]
	v_fma_f64 v[4:5], v[62:63], v[6:7], -v[4:5]
	v_add_f64 v[98:99], v[94:95], v[96:97]
	ds_read_b128 v[94:97], v52 offset:1856
	v_add_f64 v[2:3], v[2:3], v[4:5]
	v_mul_f64 v[4:5], v[68:69], v[18:19]
	v_fma_f64 v[4:5], v[66:67], v[20:21], -v[4:5]
	v_add_f64 v[2:3], v[2:3], v[4:5]
	v_mul_f64 v[4:5], v[72:73], v[14:15]
	s_waitcnt vmcnt(36) lgkmcnt(1)
	v_mul_f64 v[100:101], v[90:91], v[42:43]
	v_fma_f64 v[4:5], v[70:71], v[16:17], -v[4:5]
	s_waitcnt vmcnt(34)
	v_fmac_f64_e32 v[100:101], v[92:93], v[44:45]
	v_add_f64 v[2:3], v[2:3], v[4:5]
	v_mul_f64 v[4:5], v[76:77], v[26:27]
	v_add_f64 v[102:103], v[98:99], v[100:101]
	ds_read_b128 v[98:101], v52 offset:1872
	s_waitcnt vmcnt(33) lgkmcnt(1)
	v_mul_f64 v[104:105], v[94:95], v[38:39]
	v_fma_f64 v[4:5], v[74:75], v[28:29], -v[4:5]
	s_waitcnt vmcnt(32)
	v_fmac_f64_e32 v[104:105], v[96:97], v[40:41]
	v_add_f64 v[2:3], v[2:3], v[4:5]
	v_mul_f64 v[4:5], v[80:81], v[22:23]
	v_add_f64 v[106:107], v[102:103], v[104:105]
	ds_read_b128 v[102:105], v52 offset:1888
	v_fma_f64 v[4:5], v[78:79], v[24:25], -v[4:5]
	v_add_f64 v[2:3], v[2:3], v[4:5]
	v_mul_f64 v[4:5], v[84:85], v[34:35]
	v_fma_f64 v[4:5], v[82:83], v[36:37], -v[4:5]
	s_waitcnt vmcnt(28) lgkmcnt(1)
	v_mul_f64 v[108:109], v[98:99], v[50:51]
	v_add_f64 v[2:3], v[2:3], v[4:5]
	v_mul_f64 v[4:5], v[88:89], v[30:31]
	s_waitcnt vmcnt(26)
	v_fmac_f64_e32 v[108:109], v[100:101], v[0:1]
	v_fma_f64 v[4:5], v[86:87], v[32:33], -v[4:5]
	v_add_f64 v[110:111], v[106:107], v[108:109]
	ds_read_b128 v[106:109], v52 offset:1904
	s_waitcnt vmcnt(25) lgkmcnt(1)
	v_mul_f64 v[112:113], v[102:103], v[46:47]
	v_add_f64 v[2:3], v[2:3], v[4:5]
	v_mul_f64 v[4:5], v[92:93], v[42:43]
	s_waitcnt vmcnt(24)
	v_fmac_f64_e32 v[112:113], v[104:105], v[48:49]
	v_fma_f64 v[4:5], v[90:91], v[44:45], -v[4:5]
	v_add_f64 v[114:115], v[110:111], v[112:113]
	ds_read_b128 v[110:113], v52 offset:1920
	v_add_f64 v[2:3], v[2:3], v[4:5]
	v_mul_f64 v[4:5], v[96:97], v[38:39]
	v_fma_f64 v[4:5], v[94:95], v[40:41], -v[4:5]
	v_add_f64 v[2:3], v[2:3], v[4:5]
	v_mul_f64 v[4:5], v[100:101], v[50:51]
	s_waitcnt vmcnt(20) lgkmcnt(1)
	v_mul_f64 v[116:117], v[106:107], v[130:131]
	v_fma_f64 v[0:1], v[98:99], v[0:1], -v[4:5]
	s_waitcnt vmcnt(18)
	v_fmac_f64_e32 v[116:117], v[108:109], v[132:133]
	v_add_f64 v[0:1], v[2:3], v[0:1]
	v_mul_f64 v[2:3], v[104:105], v[46:47]
	v_add_f64 v[118:119], v[114:115], v[116:117]
	ds_read_b128 v[114:117], v52 offset:1936
	s_waitcnt vmcnt(17) lgkmcnt(1)
	v_mul_f64 v[120:121], v[110:111], v[126:127]
	v_fma_f64 v[2:3], v[102:103], v[48:49], -v[2:3]
	s_waitcnt vmcnt(16)
	v_fmac_f64_e32 v[120:121], v[112:113], v[128:129]
	v_add_f64 v[0:1], v[0:1], v[2:3]
	v_mul_f64 v[2:3], v[108:109], v[130:131]
	v_add_f64 v[150:151], v[118:119], v[120:121]
	ds_read_b128 v[118:121], v52 offset:1952
	v_fma_f64 v[2:3], v[106:107], v[132:133], -v[2:3]
	v_add_f64 v[0:1], v[0:1], v[2:3]
	v_mul_f64 v[2:3], v[112:113], v[126:127]
	v_fma_f64 v[2:3], v[110:111], v[128:129], -v[2:3]
	v_add_f64 v[0:1], v[0:1], v[2:3]
	s_waitcnt vmcnt(12) lgkmcnt(1)
	v_mul_f64 v[2:3], v[116:117], v[138:139]
	v_mul_f64 v[152:153], v[114:115], v[138:139]
	s_waitcnt vmcnt(10)
	v_fma_f64 v[2:3], v[114:115], v[140:141], -v[2:3]
	v_fmac_f64_e32 v[152:153], v[116:117], v[140:141]
	v_add_f64 v[0:1], v[0:1], v[2:3]
	s_waitcnt vmcnt(9) lgkmcnt(0)
	v_mul_f64 v[2:3], v[120:121], v[134:135]
	v_add_f64 v[52:53], v[150:151], v[152:153]
	v_mul_f64 v[150:151], v[118:119], v[134:135]
	s_waitcnt vmcnt(8)
	v_fma_f64 v[2:3], v[118:119], v[136:137], -v[2:3]
	v_fmac_f64_e32 v[150:151], v[120:121], v[136:137]
	v_add_f64 v[0:1], v[0:1], v[2:3]
	s_waitcnt vmcnt(6)
	v_mul_f64 v[2:3], v[124:125], v[142:143]
	v_add_f64 v[52:53], v[52:53], v[150:151]
	v_mul_f64 v[150:151], v[122:123], v[142:143]
	s_waitcnt vmcnt(4)
	v_fma_f64 v[2:3], v[122:123], v[144:145], -v[2:3]
	v_fmac_f64_e32 v[150:151], v[124:125], v[144:145]
	v_add_f64 v[0:1], v[0:1], v[2:3]
	v_add_f64 v[52:53], v[52:53], v[150:151]
	s_waitcnt vmcnt(2)
	v_add_f64 v[0:1], v[146:147], -v[0:1]
	s_waitcnt vmcnt(0)
	v_add_f64 v[2:3], v[148:149], -v[52:53]
	buffer_store_dword v1, off, s[0:3], 0 offset:708
	buffer_store_dword v0, off, s[0:3], 0 offset:704
	;; [unrolled: 1-line block ×4, first 2 shown]
	s_and_saveexec_b64 s[4:5], vcc
	s_cbranch_execz .LBB61_313
; %bb.312:
	v_accvgpr_read_b32 v0, a143
	buffer_load_dword v2, v0, s[0:3], 0 offen
	buffer_load_dword v3, v0, s[0:3], 0 offen offset:4
	buffer_load_dword v4, v0, s[0:3], 0 offen offset:8
	;; [unrolled: 1-line block ×3, first 2 shown]
	v_mov_b32_e32 v0, 0
	v_accvgpr_read_b32 v1, a186
	buffer_store_dword v0, off, s[0:3], 0 offset:688
	buffer_store_dword v0, off, s[0:3], 0 offset:692
	;; [unrolled: 1-line block ×4, first 2 shown]
	s_waitcnt vmcnt(4)
	ds_write_b128 v1, v[2:5]
.LBB61_313:
	s_or_b64 exec, exec, s[4:5]
	s_waitcnt lgkmcnt(0)
	; wave barrier
	s_waitcnt lgkmcnt(0)
	buffer_load_dword v2, off, s[0:3], 0 offset:704
	buffer_load_dword v3, off, s[0:3], 0 offset:708
	;; [unrolled: 1-line block ×76, first 2 shown]
	v_mov_b32_e32 v54, 0
	ds_read_b128 v[56:59], v54 offset:1680
	buffer_load_dword v154, off, s[0:3], 0 offset:688
	buffer_load_dword v155, off, s[0:3], 0 offset:692
	;; [unrolled: 1-line block ×4, first 2 shown]
	ds_read_b128 v[60:63], v54 offset:1696
	ds_read_b128 v[64:67], v54 offset:1712
	;; [unrolled: 1-line block ×4, first 2 shown]
	v_cmp_lt_u32_e32 vcc, 41, v226
	s_waitcnt vmcnt(62) lgkmcnt(4)
	v_mul_f64 v[72:73], v[56:57], v[8:9]
	v_fmac_f64_e32 v[72:73], v[58:59], v[2:3]
	v_add_f64 v[72:73], v[72:73], 0
	v_mul_f64 v[8:9], v[58:59], v[8:9]
	s_waitcnt lgkmcnt(3)
	v_mul_f64 v[74:75], v[60:61], v[10:11]
	v_fmac_f64_e32 v[74:75], v[62:63], v[4:5]
	v_add_f64 v[72:73], v[72:73], v[74:75]
	v_fma_f64 v[2:3], v[56:57], v[2:3], -v[8:9]
	s_waitcnt lgkmcnt(2)
	v_mul_f64 v[74:75], v[64:65], v[12:13]
	v_fmac_f64_e32 v[74:75], v[66:67], v[6:7]
	v_add_f64 v[76:77], v[72:73], v[74:75]
	ds_read_b128 v[72:75], v54 offset:1744
	s_waitcnt lgkmcnt(2)
	v_mul_f64 v[78:79], v[68:69], v[18:19]
	v_mul_f64 v[8:9], v[62:63], v[10:11]
	v_fmac_f64_e32 v[78:79], v[70:71], v[20:21]
	v_add_f64 v[80:81], v[76:77], v[78:79]
	ds_read_b128 v[76:79], v54 offset:1760
	s_waitcnt vmcnt(61) lgkmcnt(1)
	v_mul_f64 v[82:83], v[72:73], v[14:15]
	s_waitcnt vmcnt(60)
	v_fmac_f64_e32 v[82:83], v[74:75], v[16:17]
	v_add_f64 v[84:85], v[80:81], v[82:83]
	ds_read_b128 v[80:83], v54 offset:1776
	s_waitcnt vmcnt(56) lgkmcnt(1)
	v_mul_f64 v[86:87], v[76:77], v[26:27]
	s_waitcnt vmcnt(54)
	;; [unrolled: 6-line block ×4, first 2 shown]
	v_fmac_f64_e32 v[94:95], v[86:87], v[36:37]
	v_add_f64 v[96:97], v[92:93], v[94:95]
	ds_read_b128 v[92:95], v54 offset:1824
	s_waitcnt vmcnt(45) lgkmcnt(1)
	v_mul_f64 v[98:99], v[88:89], v[30:31]
	v_add_f64 v[2:3], v[2:3], 0
	v_fma_f64 v[4:5], v[60:61], v[4:5], -v[8:9]
	s_waitcnt vmcnt(44)
	v_fmac_f64_e32 v[98:99], v[90:91], v[32:33]
	v_add_f64 v[2:3], v[2:3], v[4:5]
	v_mul_f64 v[4:5], v[66:67], v[12:13]
	v_add_f64 v[100:101], v[96:97], v[98:99]
	ds_read_b128 v[96:99], v54 offset:1840
	s_waitcnt vmcnt(40) lgkmcnt(1)
	v_mul_f64 v[102:103], v[92:93], v[42:43]
	v_fma_f64 v[4:5], v[64:65], v[6:7], -v[4:5]
	s_waitcnt vmcnt(38)
	v_fmac_f64_e32 v[102:103], v[94:95], v[44:45]
	v_add_f64 v[2:3], v[2:3], v[4:5]
	v_mul_f64 v[4:5], v[70:71], v[18:19]
	v_add_f64 v[104:105], v[100:101], v[102:103]
	ds_read_b128 v[100:103], v54 offset:1856
	v_fma_f64 v[4:5], v[68:69], v[20:21], -v[4:5]
	v_add_f64 v[2:3], v[2:3], v[4:5]
	v_mul_f64 v[4:5], v[74:75], v[14:15]
	v_fma_f64 v[4:5], v[72:73], v[16:17], -v[4:5]
	s_waitcnt vmcnt(37) lgkmcnt(1)
	v_mul_f64 v[106:107], v[96:97], v[38:39]
	v_add_f64 v[2:3], v[2:3], v[4:5]
	v_mul_f64 v[4:5], v[78:79], v[26:27]
	s_waitcnt vmcnt(36)
	v_fmac_f64_e32 v[106:107], v[98:99], v[40:41]
	v_fma_f64 v[4:5], v[76:77], v[28:29], -v[4:5]
	v_add_f64 v[108:109], v[104:105], v[106:107]
	ds_read_b128 v[104:107], v54 offset:1872
	s_waitcnt vmcnt(32) lgkmcnt(1)
	v_mul_f64 v[110:111], v[100:101], v[50:51]
	v_add_f64 v[2:3], v[2:3], v[4:5]
	v_mul_f64 v[4:5], v[82:83], v[22:23]
	s_waitcnt vmcnt(30)
	v_fmac_f64_e32 v[110:111], v[102:103], v[52:53]
	v_fma_f64 v[4:5], v[80:81], v[24:25], -v[4:5]
	v_add_f64 v[112:113], v[108:109], v[110:111]
	ds_read_b128 v[108:111], v54 offset:1888
	v_add_f64 v[2:3], v[2:3], v[4:5]
	v_mul_f64 v[4:5], v[86:87], v[34:35]
	v_fma_f64 v[4:5], v[84:85], v[36:37], -v[4:5]
	v_add_f64 v[2:3], v[2:3], v[4:5]
	v_mul_f64 v[4:5], v[90:91], v[30:31]
	s_waitcnt vmcnt(29) lgkmcnt(1)
	v_mul_f64 v[114:115], v[104:105], v[46:47]
	v_fma_f64 v[4:5], v[88:89], v[32:33], -v[4:5]
	s_waitcnt vmcnt(28)
	v_fmac_f64_e32 v[114:115], v[106:107], v[48:49]
	v_add_f64 v[2:3], v[2:3], v[4:5]
	v_mul_f64 v[4:5], v[94:95], v[42:43]
	v_add_f64 v[116:117], v[112:113], v[114:115]
	ds_read_b128 v[112:115], v54 offset:1904
	s_waitcnt vmcnt(24) lgkmcnt(1)
	v_mul_f64 v[118:119], v[108:109], v[134:135]
	v_fma_f64 v[4:5], v[92:93], v[44:45], -v[4:5]
	s_waitcnt vmcnt(22)
	v_fmac_f64_e32 v[118:119], v[110:111], v[136:137]
	v_add_f64 v[2:3], v[2:3], v[4:5]
	v_mul_f64 v[4:5], v[98:99], v[38:39]
	v_add_f64 v[120:121], v[116:117], v[118:119]
	ds_read_b128 v[116:119], v54 offset:1920
	v_fma_f64 v[4:5], v[96:97], v[40:41], -v[4:5]
	v_add_f64 v[2:3], v[2:3], v[4:5]
	v_mul_f64 v[4:5], v[102:103], v[50:51]
	v_fma_f64 v[4:5], v[100:101], v[52:53], -v[4:5]
	s_waitcnt vmcnt(21) lgkmcnt(1)
	v_mul_f64 v[122:123], v[112:113], v[0:1]
	v_add_f64 v[2:3], v[2:3], v[4:5]
	v_mul_f64 v[4:5], v[106:107], v[46:47]
	s_waitcnt vmcnt(20)
	v_fmac_f64_e32 v[122:123], v[114:115], v[132:133]
	v_fma_f64 v[4:5], v[104:105], v[48:49], -v[4:5]
	v_add_f64 v[124:125], v[120:121], v[122:123]
	ds_read_b128 v[120:123], v54 offset:1936
	s_waitcnt vmcnt(16) lgkmcnt(1)
	v_mul_f64 v[126:127], v[116:117], v[142:143]
	v_add_f64 v[2:3], v[2:3], v[4:5]
	v_mul_f64 v[4:5], v[110:111], v[134:135]
	s_waitcnt vmcnt(14)
	v_fmac_f64_e32 v[126:127], v[118:119], v[144:145]
	v_fma_f64 v[4:5], v[108:109], v[136:137], -v[4:5]
	v_mul_f64 v[0:1], v[114:115], v[0:1]
	v_add_f64 v[158:159], v[124:125], v[126:127]
	ds_read_b128 v[124:127], v54 offset:1952
	v_add_f64 v[2:3], v[2:3], v[4:5]
	v_fma_f64 v[0:1], v[112:113], v[132:133], -v[0:1]
	v_add_f64 v[0:1], v[2:3], v[0:1]
	v_mul_f64 v[2:3], v[118:119], v[142:143]
	v_fma_f64 v[2:3], v[116:117], v[144:145], -v[2:3]
	v_add_f64 v[0:1], v[0:1], v[2:3]
	s_waitcnt vmcnt(13) lgkmcnt(1)
	v_mul_f64 v[2:3], v[122:123], v[138:139]
	v_mul_f64 v[160:161], v[120:121], v[138:139]
	s_waitcnt vmcnt(12)
	v_fma_f64 v[2:3], v[120:121], v[140:141], -v[2:3]
	v_fmac_f64_e32 v[160:161], v[122:123], v[140:141]
	v_add_f64 v[0:1], v[0:1], v[2:3]
	s_waitcnt vmcnt(8) lgkmcnt(0)
	v_mul_f64 v[2:3], v[126:127], v[150:151]
	v_add_f64 v[158:159], v[158:159], v[160:161]
	v_mul_f64 v[160:161], v[124:125], v[150:151]
	s_waitcnt vmcnt(6)
	v_fma_f64 v[2:3], v[124:125], v[152:153], -v[2:3]
	v_fmac_f64_e32 v[160:161], v[126:127], v[152:153]
	v_add_f64 v[0:1], v[0:1], v[2:3]
	s_waitcnt vmcnt(5)
	v_mul_f64 v[2:3], v[130:131], v[146:147]
	v_add_f64 v[158:159], v[158:159], v[160:161]
	v_mul_f64 v[160:161], v[128:129], v[146:147]
	s_waitcnt vmcnt(4)
	v_fma_f64 v[2:3], v[128:129], v[148:149], -v[2:3]
	v_fmac_f64_e32 v[160:161], v[130:131], v[148:149]
	v_add_f64 v[0:1], v[0:1], v[2:3]
	v_add_f64 v[158:159], v[158:159], v[160:161]
	s_waitcnt vmcnt(2)
	v_add_f64 v[0:1], v[154:155], -v[0:1]
	s_waitcnt vmcnt(0)
	v_add_f64 v[2:3], v[156:157], -v[158:159]
	buffer_store_dword v1, off, s[0:3], 0 offset:692
	buffer_store_dword v0, off, s[0:3], 0 offset:688
	;; [unrolled: 1-line block ×4, first 2 shown]
	s_and_saveexec_b64 s[4:5], vcc
	s_cbranch_execz .LBB61_315
; %bb.314:
	v_accvgpr_read_b32 v0, a144
	buffer_load_dword v2, v0, s[0:3], 0 offen
	buffer_load_dword v3, v0, s[0:3], 0 offen offset:4
	buffer_load_dword v4, v0, s[0:3], 0 offen offset:8
	;; [unrolled: 1-line block ×3, first 2 shown]
	v_accvgpr_read_b32 v0, a186
	buffer_store_dword v54, off, s[0:3], 0 offset:672
	buffer_store_dword v54, off, s[0:3], 0 offset:676
	;; [unrolled: 1-line block ×4, first 2 shown]
	s_waitcnt vmcnt(4)
	ds_write_b128 v0, v[2:5]
.LBB61_315:
	s_or_b64 exec, exec, s[4:5]
	s_waitcnt lgkmcnt(0)
	; wave barrier
	s_waitcnt lgkmcnt(0)
	buffer_load_dword v2, off, s[0:3], 0 offset:688
	buffer_load_dword v3, off, s[0:3], 0 offset:692
	;; [unrolled: 1-line block ×76, first 2 shown]
	ds_read_b128 v[56:59], v54 offset:1664
	buffer_load_dword v159, off, s[0:3], 0 offset:1004
	buffer_load_dword v158, off, s[0:3], 0 offset:1000
	;; [unrolled: 1-line block ×8, first 2 shown]
	ds_read_b128 v[60:63], v54 offset:1680
	ds_read_b128 v[64:67], v54 offset:1696
	ds_read_b128 v[68:71], v54 offset:1712
	v_cmp_lt_u32_e32 vcc, 40, v226
	ds_read_b128 v[132:135], v54 offset:1968
	s_waitcnt vmcnt(62) lgkmcnt(4)
	v_mul_f64 v[72:73], v[56:57], v[8:9]
	v_fmac_f64_e32 v[72:73], v[58:59], v[2:3]
	v_add_f64 v[72:73], v[72:73], 0
	v_mul_f64 v[8:9], v[58:59], v[8:9]
	s_waitcnt lgkmcnt(3)
	v_mul_f64 v[74:75], v[60:61], v[10:11]
	v_fmac_f64_e32 v[74:75], v[62:63], v[4:5]
	v_add_f64 v[72:73], v[72:73], v[74:75]
	v_fma_f64 v[2:3], v[56:57], v[2:3], -v[8:9]
	s_waitcnt lgkmcnt(2)
	v_mul_f64 v[74:75], v[64:65], v[12:13]
	v_fmac_f64_e32 v[74:75], v[66:67], v[6:7]
	v_add_f64 v[76:77], v[72:73], v[74:75]
	ds_read_b128 v[72:75], v54 offset:1728
	v_mul_f64 v[8:9], v[62:63], v[10:11]
	v_add_f64 v[2:3], v[2:3], 0
	s_waitcnt lgkmcnt(2)
	v_mul_f64 v[78:79], v[68:69], v[18:19]
	v_fma_f64 v[4:5], v[60:61], v[4:5], -v[8:9]
	v_fmac_f64_e32 v[78:79], v[70:71], v[20:21]
	v_add_f64 v[80:81], v[76:77], v[78:79]
	ds_read_b128 v[76:79], v54 offset:1744
	s_waitcnt lgkmcnt(1)
	v_mul_f64 v[82:83], v[72:73], v[14:15]
	v_fmac_f64_e32 v[82:83], v[74:75], v[16:17]
	v_add_f64 v[84:85], v[80:81], v[82:83]
	ds_read_b128 v[80:83], v54 offset:1760
	s_waitcnt vmcnt(58) lgkmcnt(1)
	v_mul_f64 v[86:87], v[76:77], v[26:27]
	s_waitcnt vmcnt(56)
	v_fmac_f64_e32 v[86:87], v[78:79], v[28:29]
	v_add_f64 v[88:89], v[84:85], v[86:87]
	ds_read_b128 v[84:87], v54 offset:1776
	s_waitcnt lgkmcnt(1)
	v_mul_f64 v[90:91], v[80:81], v[22:23]
	v_fmac_f64_e32 v[90:91], v[82:83], v[24:25]
	v_add_f64 v[92:93], v[88:89], v[90:91]
	ds_read_b128 v[88:91], v54 offset:1792
	s_waitcnt vmcnt(50) lgkmcnt(1)
	v_mul_f64 v[94:95], v[84:85], v[34:35]
	s_waitcnt vmcnt(48)
	v_fmac_f64_e32 v[94:95], v[86:87], v[36:37]
	v_add_f64 v[96:97], v[92:93], v[94:95]
	ds_read_b128 v[92:95], v54 offset:1808
	s_waitcnt lgkmcnt(1)
	v_mul_f64 v[98:99], v[88:89], v[30:31]
	v_fmac_f64_e32 v[98:99], v[90:91], v[32:33]
	v_add_f64 v[100:101], v[96:97], v[98:99]
	ds_read_b128 v[96:99], v54 offset:1824
	v_add_f64 v[2:3], v[2:3], v[4:5]
	v_mul_f64 v[4:5], v[66:67], v[12:13]
	s_waitcnt vmcnt(42) lgkmcnt(1)
	v_mul_f64 v[102:103], v[92:93], v[42:43]
	v_fma_f64 v[4:5], v[64:65], v[6:7], -v[4:5]
	s_waitcnt vmcnt(40)
	v_fmac_f64_e32 v[102:103], v[94:95], v[44:45]
	v_add_f64 v[2:3], v[2:3], v[4:5]
	v_mul_f64 v[4:5], v[70:71], v[18:19]
	v_add_f64 v[104:105], v[100:101], v[102:103]
	ds_read_b128 v[100:103], v54 offset:1840
	s_waitcnt lgkmcnt(1)
	v_mul_f64 v[106:107], v[96:97], v[38:39]
	v_fma_f64 v[4:5], v[68:69], v[20:21], -v[4:5]
	v_fmac_f64_e32 v[106:107], v[98:99], v[40:41]
	v_add_f64 v[2:3], v[2:3], v[4:5]
	v_mul_f64 v[4:5], v[74:75], v[14:15]
	v_add_f64 v[108:109], v[104:105], v[106:107]
	ds_read_b128 v[104:107], v54 offset:1856
	v_fma_f64 v[4:5], v[72:73], v[16:17], -v[4:5]
	v_add_f64 v[2:3], v[2:3], v[4:5]
	v_mul_f64 v[4:5], v[78:79], v[26:27]
	v_fma_f64 v[4:5], v[76:77], v[28:29], -v[4:5]
	s_waitcnt vmcnt(34) lgkmcnt(1)
	v_mul_f64 v[110:111], v[100:101], v[50:51]
	v_add_f64 v[2:3], v[2:3], v[4:5]
	v_mul_f64 v[4:5], v[82:83], v[22:23]
	s_waitcnt vmcnt(32)
	v_fmac_f64_e32 v[110:111], v[102:103], v[52:53]
	v_fma_f64 v[4:5], v[80:81], v[24:25], -v[4:5]
	v_add_f64 v[112:113], v[108:109], v[110:111]
	ds_read_b128 v[108:111], v54 offset:1872
	s_waitcnt lgkmcnt(1)
	v_mul_f64 v[114:115], v[104:105], v[46:47]
	v_add_f64 v[2:3], v[2:3], v[4:5]
	v_mul_f64 v[4:5], v[86:87], v[34:35]
	v_fmac_f64_e32 v[114:115], v[106:107], v[48:49]
	v_fma_f64 v[4:5], v[84:85], v[36:37], -v[4:5]
	v_add_f64 v[116:117], v[112:113], v[114:115]
	ds_read_b128 v[112:115], v54 offset:1888
	v_add_f64 v[2:3], v[2:3], v[4:5]
	v_mul_f64 v[4:5], v[90:91], v[30:31]
	v_fma_f64 v[4:5], v[88:89], v[32:33], -v[4:5]
	v_add_f64 v[2:3], v[2:3], v[4:5]
	v_mul_f64 v[4:5], v[94:95], v[42:43]
	s_waitcnt vmcnt(26) lgkmcnt(1)
	v_mul_f64 v[118:119], v[108:109], v[138:139]
	v_fma_f64 v[4:5], v[92:93], v[44:45], -v[4:5]
	s_waitcnt vmcnt(24)
	v_fmac_f64_e32 v[118:119], v[110:111], v[140:141]
	v_add_f64 v[2:3], v[2:3], v[4:5]
	v_mul_f64 v[4:5], v[98:99], v[38:39]
	v_add_f64 v[120:121], v[116:117], v[118:119]
	ds_read_b128 v[116:119], v54 offset:1904
	s_waitcnt lgkmcnt(1)
	v_mul_f64 v[122:123], v[112:113], v[0:1]
	v_fma_f64 v[4:5], v[96:97], v[40:41], -v[4:5]
	v_fmac_f64_e32 v[122:123], v[114:115], v[136:137]
	v_add_f64 v[2:3], v[2:3], v[4:5]
	v_mul_f64 v[4:5], v[102:103], v[50:51]
	v_add_f64 v[124:125], v[120:121], v[122:123]
	ds_read_b128 v[120:123], v54 offset:1920
	v_fma_f64 v[4:5], v[100:101], v[52:53], -v[4:5]
	v_add_f64 v[2:3], v[2:3], v[4:5]
	v_mul_f64 v[4:5], v[106:107], v[46:47]
	v_fma_f64 v[4:5], v[104:105], v[48:49], -v[4:5]
	s_waitcnt vmcnt(18) lgkmcnt(1)
	v_mul_f64 v[126:127], v[116:117], v[146:147]
	v_add_f64 v[2:3], v[2:3], v[4:5]
	v_mul_f64 v[4:5], v[110:111], v[138:139]
	s_waitcnt vmcnt(16)
	v_fmac_f64_e32 v[126:127], v[118:119], v[148:149]
	v_fma_f64 v[4:5], v[108:109], v[140:141], -v[4:5]
	v_mul_f64 v[0:1], v[114:115], v[0:1]
	v_add_f64 v[128:129], v[124:125], v[126:127]
	ds_read_b128 v[124:127], v54 offset:1936
	s_waitcnt lgkmcnt(1)
	v_mul_f64 v[130:131], v[120:121], v[142:143]
	v_add_f64 v[2:3], v[2:3], v[4:5]
	v_fma_f64 v[0:1], v[112:113], v[136:137], -v[0:1]
	v_fmac_f64_e32 v[130:131], v[122:123], v[144:145]
	v_add_f64 v[0:1], v[2:3], v[0:1]
	v_mul_f64 v[2:3], v[118:119], v[146:147]
	v_add_f64 v[166:167], v[128:129], v[130:131]
	ds_read_b128 v[128:131], v54 offset:1952
	v_fma_f64 v[2:3], v[116:117], v[148:149], -v[2:3]
	v_add_f64 v[0:1], v[0:1], v[2:3]
	v_mul_f64 v[2:3], v[122:123], v[142:143]
	v_fma_f64 v[2:3], v[120:121], v[144:145], -v[2:3]
	v_add_f64 v[0:1], v[0:1], v[2:3]
	s_waitcnt vmcnt(10) lgkmcnt(1)
	v_mul_f64 v[2:3], v[126:127], v[154:155]
	v_mul_f64 v[168:169], v[124:125], v[154:155]
	s_waitcnt vmcnt(8)
	v_fma_f64 v[2:3], v[124:125], v[156:157], -v[2:3]
	v_fmac_f64_e32 v[168:169], v[126:127], v[156:157]
	v_add_f64 v[0:1], v[0:1], v[2:3]
	s_waitcnt lgkmcnt(0)
	v_mul_f64 v[2:3], v[130:131], v[150:151]
	v_add_f64 v[54:55], v[166:167], v[168:169]
	v_mul_f64 v[166:167], v[128:129], v[150:151]
	v_fma_f64 v[2:3], v[128:129], v[152:153], -v[2:3]
	v_fmac_f64_e32 v[166:167], v[130:131], v[152:153]
	v_add_f64 v[0:1], v[0:1], v[2:3]
	s_waitcnt vmcnt(6)
	v_mul_f64 v[2:3], v[134:135], v[158:159]
	v_add_f64 v[54:55], v[54:55], v[166:167]
	v_mul_f64 v[166:167], v[132:133], v[158:159]
	s_waitcnt vmcnt(4)
	v_fma_f64 v[2:3], v[132:133], v[160:161], -v[2:3]
	v_fmac_f64_e32 v[166:167], v[134:135], v[160:161]
	v_add_f64 v[0:1], v[0:1], v[2:3]
	v_add_f64 v[54:55], v[54:55], v[166:167]
	s_waitcnt vmcnt(2)
	v_add_f64 v[0:1], v[162:163], -v[0:1]
	s_waitcnt vmcnt(0)
	v_add_f64 v[2:3], v[164:165], -v[54:55]
	buffer_store_dword v1, off, s[0:3], 0 offset:676
	buffer_store_dword v0, off, s[0:3], 0 offset:672
	;; [unrolled: 1-line block ×4, first 2 shown]
	s_and_saveexec_b64 s[4:5], vcc
	s_cbranch_execz .LBB61_317
; %bb.316:
	v_accvgpr_read_b32 v0, a145
	buffer_load_dword v2, v0, s[0:3], 0 offen
	buffer_load_dword v3, v0, s[0:3], 0 offen offset:4
	buffer_load_dword v4, v0, s[0:3], 0 offen offset:8
	;; [unrolled: 1-line block ×3, first 2 shown]
	v_mov_b32_e32 v0, 0
	v_accvgpr_read_b32 v1, a186
	buffer_store_dword v0, off, s[0:3], 0 offset:656
	buffer_store_dword v0, off, s[0:3], 0 offset:660
	;; [unrolled: 1-line block ×4, first 2 shown]
	s_waitcnt vmcnt(4)
	ds_write_b128 v1, v[2:5]
.LBB61_317:
	s_or_b64 exec, exec, s[4:5]
	s_waitcnt lgkmcnt(0)
	; wave barrier
	s_waitcnt lgkmcnt(0)
	buffer_load_dword v4, off, s[0:3], 0 offset:656
	buffer_load_dword v5, off, s[0:3], 0 offset:660
	;; [unrolled: 1-line block ×84, first 2 shown]
	v_mov_b32_e32 v86, 0
	ds_read_b128 v[66:69], v86 offset:1648
	buffer_load_dword v171, off, s[0:3], 0 offset:1004
	buffer_load_dword v170, off, s[0:3], 0 offset:1000
	;; [unrolled: 1-line block ×4, first 2 shown]
	ds_read_b128 v[70:73], v86 offset:1664
	ds_read_b128 v[74:77], v86 offset:1680
	ds_read_b128 v[78:81], v86 offset:1696
	ds_read_b128 v[148:151], v86 offset:1968
	v_cmp_lt_u32_e32 vcc, 39, v226
	s_waitcnt vmcnt(62) lgkmcnt(4)
	v_mul_f64 v[82:83], v[66:67], v[12:13]
	v_fmac_f64_e32 v[82:83], v[68:69], v[6:7]
	s_waitcnt lgkmcnt(3)
	v_mul_f64 v[84:85], v[70:71], v[14:15]
	v_add_f64 v[82:83], v[82:83], 0
	v_fmac_f64_e32 v[84:85], v[72:73], v[8:9]
	v_add_f64 v[82:83], v[82:83], v[84:85]
	s_waitcnt lgkmcnt(2)
	v_mul_f64 v[84:85], v[74:75], v[16:17]
	v_fmac_f64_e32 v[84:85], v[76:77], v[10:11]
	v_add_f64 v[88:89], v[82:83], v[84:85]
	ds_read_b128 v[82:85], v86 offset:1712
	v_mul_f64 v[12:13], v[68:69], v[12:13]
	s_waitcnt lgkmcnt(2)
	v_mul_f64 v[90:91], v[78:79], v[22:23]
	v_fma_f64 v[6:7], v[66:67], v[6:7], -v[12:13]
	v_fmac_f64_e32 v[90:91], v[80:81], v[24:25]
	v_add_f64 v[92:93], v[88:89], v[90:91]
	ds_read_b128 v[88:91], v86 offset:1728
	s_waitcnt lgkmcnt(1)
	v_mul_f64 v[94:95], v[82:83], v[18:19]
	v_fmac_f64_e32 v[94:95], v[84:85], v[20:21]
	v_add_f64 v[96:97], v[92:93], v[94:95]
	ds_read_b128 v[92:95], v86 offset:1744
	s_waitcnt vmcnt(58) lgkmcnt(1)
	v_mul_f64 v[98:99], v[88:89], v[30:31]
	s_waitcnt vmcnt(56)
	v_fmac_f64_e32 v[98:99], v[90:91], v[32:33]
	v_add_f64 v[100:101], v[96:97], v[98:99]
	ds_read_b128 v[96:99], v86 offset:1760
	s_waitcnt lgkmcnt(1)
	v_mul_f64 v[102:103], v[92:93], v[26:27]
	v_fmac_f64_e32 v[102:103], v[94:95], v[28:29]
	v_add_f64 v[104:105], v[100:101], v[102:103]
	ds_read_b128 v[100:103], v86 offset:1776
	s_waitcnt vmcnt(50) lgkmcnt(1)
	v_mul_f64 v[106:107], v[96:97], v[38:39]
	s_waitcnt vmcnt(48)
	v_fmac_f64_e32 v[106:107], v[98:99], v[40:41]
	v_add_f64 v[108:109], v[104:105], v[106:107]
	ds_read_b128 v[104:107], v86 offset:1792
	s_waitcnt lgkmcnt(1)
	v_mul_f64 v[110:111], v[100:101], v[34:35]
	v_fmac_f64_e32 v[110:111], v[102:103], v[36:37]
	v_add_f64 v[112:113], v[108:109], v[110:111]
	ds_read_b128 v[108:111], v86 offset:1808
	s_waitcnt vmcnt(42) lgkmcnt(1)
	v_mul_f64 v[114:115], v[104:105], v[46:47]
	v_mul_f64 v[12:13], v[72:73], v[14:15]
	s_waitcnt vmcnt(40)
	v_fmac_f64_e32 v[114:115], v[106:107], v[48:49]
	v_add_f64 v[6:7], v[6:7], 0
	v_fma_f64 v[8:9], v[70:71], v[8:9], -v[12:13]
	v_add_f64 v[116:117], v[112:113], v[114:115]
	ds_read_b128 v[112:115], v86 offset:1824
	v_add_f64 v[6:7], v[6:7], v[8:9]
	v_mul_f64 v[8:9], v[76:77], v[16:17]
	v_fma_f64 v[8:9], v[74:75], v[10:11], -v[8:9]
	v_add_f64 v[6:7], v[6:7], v[8:9]
	v_mul_f64 v[8:9], v[80:81], v[22:23]
	s_waitcnt lgkmcnt(1)
	v_mul_f64 v[118:119], v[108:109], v[42:43]
	v_fma_f64 v[8:9], v[78:79], v[24:25], -v[8:9]
	v_fmac_f64_e32 v[118:119], v[110:111], v[44:45]
	v_add_f64 v[6:7], v[6:7], v[8:9]
	v_mul_f64 v[8:9], v[84:85], v[18:19]
	v_add_f64 v[120:121], v[116:117], v[118:119]
	ds_read_b128 v[116:119], v86 offset:1840
	s_waitcnt vmcnt(34) lgkmcnt(1)
	v_mul_f64 v[122:123], v[112:113], v[54:55]
	v_fma_f64 v[8:9], v[82:83], v[20:21], -v[8:9]
	s_waitcnt vmcnt(32)
	v_fmac_f64_e32 v[122:123], v[114:115], v[56:57]
	v_add_f64 v[6:7], v[6:7], v[8:9]
	v_mul_f64 v[8:9], v[90:91], v[30:31]
	v_add_f64 v[124:125], v[120:121], v[122:123]
	ds_read_b128 v[120:123], v86 offset:1856
	v_fma_f64 v[8:9], v[88:89], v[32:33], -v[8:9]
	v_add_f64 v[6:7], v[6:7], v[8:9]
	v_mul_f64 v[8:9], v[94:95], v[26:27]
	v_fma_f64 v[8:9], v[92:93], v[28:29], -v[8:9]
	s_waitcnt lgkmcnt(1)
	v_mul_f64 v[126:127], v[116:117], v[50:51]
	v_add_f64 v[6:7], v[6:7], v[8:9]
	v_mul_f64 v[8:9], v[98:99], v[38:39]
	v_fmac_f64_e32 v[126:127], v[118:119], v[52:53]
	v_fma_f64 v[8:9], v[96:97], v[40:41], -v[8:9]
	v_add_f64 v[128:129], v[124:125], v[126:127]
	ds_read_b128 v[124:127], v86 offset:1872
	s_waitcnt vmcnt(26) lgkmcnt(1)
	v_mul_f64 v[130:131], v[120:121], v[62:63]
	v_add_f64 v[6:7], v[6:7], v[8:9]
	v_mul_f64 v[8:9], v[102:103], v[34:35]
	s_waitcnt vmcnt(24)
	v_fmac_f64_e32 v[130:131], v[122:123], v[64:65]
	v_fma_f64 v[8:9], v[100:101], v[36:37], -v[8:9]
	v_add_f64 v[132:133], v[128:129], v[130:131]
	ds_read_b128 v[128:131], v86 offset:1888
	v_add_f64 v[6:7], v[6:7], v[8:9]
	v_mul_f64 v[8:9], v[106:107], v[46:47]
	v_fma_f64 v[8:9], v[104:105], v[48:49], -v[8:9]
	v_add_f64 v[6:7], v[6:7], v[8:9]
	v_mul_f64 v[8:9], v[110:111], v[42:43]
	s_waitcnt lgkmcnt(1)
	v_mul_f64 v[134:135], v[124:125], v[58:59]
	v_fma_f64 v[8:9], v[108:109], v[44:45], -v[8:9]
	v_fmac_f64_e32 v[134:135], v[126:127], v[60:61]
	v_add_f64 v[6:7], v[6:7], v[8:9]
	v_mul_f64 v[8:9], v[114:115], v[54:55]
	v_add_f64 v[136:137], v[132:133], v[134:135]
	ds_read_b128 v[132:135], v86 offset:1904
	s_waitcnt vmcnt(18) lgkmcnt(1)
	v_mul_f64 v[138:139], v[128:129], v[154:155]
	v_fma_f64 v[8:9], v[112:113], v[56:57], -v[8:9]
	s_waitcnt vmcnt(16)
	v_fmac_f64_e32 v[138:139], v[130:131], v[156:157]
	v_add_f64 v[6:7], v[6:7], v[8:9]
	v_mul_f64 v[8:9], v[118:119], v[50:51]
	v_add_f64 v[140:141], v[136:137], v[138:139]
	ds_read_b128 v[136:139], v86 offset:1920
	v_fma_f64 v[8:9], v[116:117], v[52:53], -v[8:9]
	v_add_f64 v[6:7], v[6:7], v[8:9]
	v_mul_f64 v[8:9], v[122:123], v[62:63]
	v_fma_f64 v[8:9], v[120:121], v[64:65], -v[8:9]
	s_waitcnt lgkmcnt(1)
	v_mul_f64 v[142:143], v[132:133], v[0:1]
	v_add_f64 v[6:7], v[6:7], v[8:9]
	v_mul_f64 v[8:9], v[126:127], v[58:59]
	v_fmac_f64_e32 v[142:143], v[134:135], v[152:153]
	v_fma_f64 v[8:9], v[124:125], v[60:61], -v[8:9]
	v_add_f64 v[144:145], v[140:141], v[142:143]
	ds_read_b128 v[140:143], v86 offset:1936
	s_waitcnt vmcnt(10) lgkmcnt(1)
	v_mul_f64 v[146:147], v[136:137], v[162:163]
	v_add_f64 v[6:7], v[6:7], v[8:9]
	v_mul_f64 v[8:9], v[130:131], v[154:155]
	s_waitcnt vmcnt(8)
	v_fmac_f64_e32 v[146:147], v[138:139], v[164:165]
	v_fma_f64 v[8:9], v[128:129], v[156:157], -v[8:9]
	v_mul_f64 v[0:1], v[134:135], v[0:1]
	v_add_f64 v[174:175], v[144:145], v[146:147]
	ds_read_b128 v[144:147], v86 offset:1952
	v_add_f64 v[6:7], v[6:7], v[8:9]
	v_fma_f64 v[0:1], v[132:133], v[152:153], -v[0:1]
	v_add_f64 v[0:1], v[6:7], v[0:1]
	v_mul_f64 v[6:7], v[138:139], v[162:163]
	v_fma_f64 v[6:7], v[136:137], v[164:165], -v[6:7]
	v_add_f64 v[0:1], v[0:1], v[6:7]
	s_waitcnt lgkmcnt(1)
	v_mul_f64 v[6:7], v[142:143], v[158:159]
	v_mul_f64 v[176:177], v[140:141], v[158:159]
	v_fma_f64 v[6:7], v[140:141], v[160:161], -v[6:7]
	v_fmac_f64_e32 v[176:177], v[142:143], v[160:161]
	v_add_f64 v[0:1], v[0:1], v[6:7]
	s_waitcnt vmcnt(6) lgkmcnt(0)
	v_mul_f64 v[6:7], v[146:147], v[166:167]
	v_add_f64 v[174:175], v[174:175], v[176:177]
	v_mul_f64 v[176:177], v[144:145], v[166:167]
	s_waitcnt vmcnt(4)
	v_fma_f64 v[6:7], v[144:145], v[168:169], -v[6:7]
	v_fmac_f64_e32 v[176:177], v[146:147], v[168:169]
	v_add_f64 v[0:1], v[0:1], v[6:7]
	s_waitcnt vmcnt(2)
	v_mul_f64 v[6:7], v[150:151], v[170:171]
	v_add_f64 v[174:175], v[174:175], v[176:177]
	v_mul_f64 v[176:177], v[148:149], v[170:171]
	s_waitcnt vmcnt(0)
	v_fma_f64 v[6:7], v[148:149], v[172:173], -v[6:7]
	v_fmac_f64_e32 v[176:177], v[150:151], v[172:173]
	v_add_f64 v[0:1], v[0:1], v[6:7]
	v_add_f64 v[174:175], v[174:175], v[176:177]
	v_add_f64 v[0:1], v[4:5], -v[0:1]
	v_add_f64 v[2:3], v[2:3], -v[174:175]
	buffer_store_dword v1, off, s[0:3], 0 offset:660
	buffer_store_dword v0, off, s[0:3], 0 offset:656
	;; [unrolled: 1-line block ×4, first 2 shown]
	s_and_saveexec_b64 s[4:5], vcc
	s_cbranch_execz .LBB61_319
; %bb.318:
	v_accvgpr_read_b32 v0, a146
	buffer_load_dword v2, v0, s[0:3], 0 offen
	buffer_load_dword v3, v0, s[0:3], 0 offen offset:4
	buffer_load_dword v4, v0, s[0:3], 0 offen offset:8
	;; [unrolled: 1-line block ×3, first 2 shown]
	v_accvgpr_read_b32 v0, a186
	buffer_store_dword v86, off, s[0:3], 0 offset:640
	buffer_store_dword v86, off, s[0:3], 0 offset:644
	;; [unrolled: 1-line block ×4, first 2 shown]
	s_waitcnt vmcnt(4)
	ds_write_b128 v0, v[2:5]
.LBB61_319:
	s_or_b64 exec, exec, s[4:5]
	s_waitcnt lgkmcnt(0)
	; wave barrier
	s_waitcnt lgkmcnt(0)
	ds_read_b128 v[14:17], v86 offset:1632
	ds_read_b128 v[10:13], v86 offset:1648
	;; [unrolled: 1-line block ×4, first 2 shown]
	buffer_load_dword v20, off, s[0:3], 0 offset:640
	buffer_load_dword v21, off, s[0:3], 0 offset:644
	;; [unrolled: 1-line block ×92, first 2 shown]
	s_waitcnt vmcnt(62) lgkmcnt(3)
	v_mul_f64 v[88:89], v[14:15], v[28:29]
	v_fmac_f64_e32 v[88:89], v[16:17], v[22:23]
	s_waitcnt lgkmcnt(2)
	v_mul_f64 v[90:91], v[10:11], v[30:31]
	v_add_f64 v[88:89], v[88:89], 0
	v_fmac_f64_e32 v[90:91], v[12:13], v[24:25]
	v_add_f64 v[88:89], v[88:89], v[90:91]
	s_waitcnt lgkmcnt(1)
	v_mul_f64 v[90:91], v[6:7], v[32:33]
	v_fmac_f64_e32 v[90:91], v[8:9], v[26:27]
	v_add_f64 v[92:93], v[88:89], v[90:91]
	ds_read_b128 v[88:91], v86 offset:1696
	v_mul_f64 v[16:17], v[16:17], v[28:29]
	v_fma_f64 v[14:15], v[14:15], v[22:23], -v[16:17]
	s_waitcnt lgkmcnt(1)
	v_mul_f64 v[94:95], v[2:3], v[38:39]
	v_mul_f64 v[12:13], v[12:13], v[30:31]
	v_fmac_f64_e32 v[94:95], v[4:5], v[40:41]
	v_add_f64 v[96:97], v[92:93], v[94:95]
	ds_read_b128 v[92:95], v86 offset:1712
	s_waitcnt lgkmcnt(1)
	v_mul_f64 v[98:99], v[88:89], v[34:35]
	v_fmac_f64_e32 v[98:99], v[90:91], v[36:37]
	v_add_f64 v[100:101], v[96:97], v[98:99]
	ds_read_b128 v[96:99], v86 offset:1728
	s_waitcnt lgkmcnt(1)
	v_mul_f64 v[102:103], v[92:93], v[46:47]
	s_waitcnt vmcnt(60)
	v_fmac_f64_e32 v[102:103], v[94:95], v[48:49]
	v_add_f64 v[104:105], v[100:101], v[102:103]
	ds_read_b128 v[100:103], v86 offset:1744
	s_waitcnt lgkmcnt(1)
	v_mul_f64 v[106:107], v[96:97], v[42:43]
	v_fmac_f64_e32 v[106:107], v[98:99], v[44:45]
	v_add_f64 v[108:109], v[104:105], v[106:107]
	ds_read_b128 v[104:107], v86 offset:1760
	s_waitcnt vmcnt(54) lgkmcnt(1)
	v_mul_f64 v[110:111], v[100:101], v[54:55]
	s_waitcnt vmcnt(52)
	v_fmac_f64_e32 v[110:111], v[102:103], v[56:57]
	v_add_f64 v[112:113], v[108:109], v[110:111]
	ds_read_b128 v[108:111], v86 offset:1776
	s_waitcnt lgkmcnt(1)
	v_mul_f64 v[114:115], v[104:105], v[50:51]
	v_fmac_f64_e32 v[114:115], v[106:107], v[52:53]
	v_add_f64 v[116:117], v[112:113], v[114:115]
	ds_read_b128 v[112:115], v86 offset:1792
	s_waitcnt vmcnt(46) lgkmcnt(1)
	v_mul_f64 v[118:119], v[108:109], v[62:63]
	s_waitcnt vmcnt(44)
	v_fmac_f64_e32 v[118:119], v[110:111], v[64:65]
	v_add_f64 v[120:121], v[116:117], v[118:119]
	ds_read_b128 v[116:119], v86 offset:1808
	s_waitcnt lgkmcnt(1)
	v_mul_f64 v[122:123], v[112:113], v[58:59]
	v_fmac_f64_e32 v[122:123], v[114:115], v[60:61]
	v_add_f64 v[124:125], v[120:121], v[122:123]
	ds_read_b128 v[120:123], v86 offset:1824
	v_add_f64 v[14:15], v[14:15], 0
	v_fma_f64 v[10:11], v[10:11], v[24:25], -v[12:13]
	v_mul_f64 v[8:9], v[8:9], v[32:33]
	v_add_f64 v[10:11], v[14:15], v[10:11]
	v_fma_f64 v[6:7], v[6:7], v[26:27], -v[8:9]
	v_mul_f64 v[4:5], v[4:5], v[38:39]
	;; [unrolled: 3-line block ×3, first 2 shown]
	s_waitcnt vmcnt(38) lgkmcnt(1)
	v_mul_f64 v[126:127], v[116:117], v[70:71]
	v_add_f64 v[2:3], v[6:7], v[2:3]
	v_fma_f64 v[4:5], v[88:89], v[36:37], -v[4:5]
	s_waitcnt vmcnt(36)
	v_fmac_f64_e32 v[126:127], v[118:119], v[72:73]
	v_add_f64 v[2:3], v[2:3], v[4:5]
	v_mul_f64 v[4:5], v[94:95], v[46:47]
	v_add_f64 v[128:129], v[124:125], v[126:127]
	ds_read_b128 v[124:127], v86 offset:1840
	s_waitcnt lgkmcnt(1)
	v_mul_f64 v[130:131], v[120:121], v[66:67]
	v_fma_f64 v[4:5], v[92:93], v[48:49], -v[4:5]
	v_fmac_f64_e32 v[130:131], v[122:123], v[68:69]
	v_add_f64 v[2:3], v[2:3], v[4:5]
	v_mul_f64 v[4:5], v[98:99], v[42:43]
	v_add_f64 v[132:133], v[128:129], v[130:131]
	ds_read_b128 v[128:131], v86 offset:1856
	v_fma_f64 v[4:5], v[96:97], v[44:45], -v[4:5]
	v_add_f64 v[2:3], v[2:3], v[4:5]
	v_mul_f64 v[4:5], v[102:103], v[54:55]
	v_fma_f64 v[4:5], v[100:101], v[56:57], -v[4:5]
	s_waitcnt vmcnt(30) lgkmcnt(1)
	v_mul_f64 v[134:135], v[124:125], v[78:79]
	v_add_f64 v[2:3], v[2:3], v[4:5]
	v_mul_f64 v[4:5], v[106:107], v[50:51]
	s_waitcnt vmcnt(28)
	v_fmac_f64_e32 v[134:135], v[126:127], v[80:81]
	v_fma_f64 v[4:5], v[104:105], v[52:53], -v[4:5]
	v_add_f64 v[136:137], v[132:133], v[134:135]
	ds_read_b128 v[132:135], v86 offset:1872
	s_waitcnt lgkmcnt(1)
	v_mul_f64 v[138:139], v[128:129], v[74:75]
	v_add_f64 v[2:3], v[2:3], v[4:5]
	v_mul_f64 v[4:5], v[110:111], v[62:63]
	v_fmac_f64_e32 v[138:139], v[130:131], v[76:77]
	v_fma_f64 v[4:5], v[108:109], v[64:65], -v[4:5]
	v_add_f64 v[140:141], v[136:137], v[138:139]
	ds_read_b128 v[136:139], v86 offset:1888
	v_add_f64 v[2:3], v[2:3], v[4:5]
	v_mul_f64 v[4:5], v[114:115], v[58:59]
	v_fma_f64 v[4:5], v[112:113], v[60:61], -v[4:5]
	v_add_f64 v[2:3], v[2:3], v[4:5]
	v_mul_f64 v[4:5], v[118:119], v[70:71]
	s_waitcnt vmcnt(22) lgkmcnt(1)
	v_mul_f64 v[142:143], v[132:133], v[0:1]
	v_fma_f64 v[4:5], v[116:117], v[72:73], -v[4:5]
	s_waitcnt vmcnt(20)
	v_fmac_f64_e32 v[142:143], v[134:135], v[160:161]
	v_add_f64 v[2:3], v[2:3], v[4:5]
	v_mul_f64 v[4:5], v[122:123], v[66:67]
	v_add_f64 v[144:145], v[140:141], v[142:143]
	ds_read_b128 v[140:143], v86 offset:1904
	s_waitcnt lgkmcnt(1)
	v_mul_f64 v[146:147], v[136:137], v[82:83]
	v_fma_f64 v[4:5], v[120:121], v[68:69], -v[4:5]
	v_fmac_f64_e32 v[146:147], v[138:139], v[84:85]
	v_add_f64 v[2:3], v[2:3], v[4:5]
	v_mul_f64 v[4:5], v[126:127], v[78:79]
	v_add_f64 v[148:149], v[144:145], v[146:147]
	ds_read_b128 v[144:147], v86 offset:1920
	v_fma_f64 v[4:5], v[124:125], v[80:81], -v[4:5]
	v_add_f64 v[2:3], v[2:3], v[4:5]
	v_mul_f64 v[4:5], v[130:131], v[74:75]
	v_fma_f64 v[4:5], v[128:129], v[76:77], -v[4:5]
	v_mul_f64 v[0:1], v[134:135], v[0:1]
	s_waitcnt vmcnt(14) lgkmcnt(1)
	v_mul_f64 v[150:151], v[140:141], v[166:167]
	v_add_f64 v[2:3], v[2:3], v[4:5]
	v_fma_f64 v[0:1], v[132:133], v[160:161], -v[0:1]
	s_waitcnt vmcnt(12)
	v_fmac_f64_e32 v[150:151], v[142:143], v[168:169]
	v_add_f64 v[0:1], v[2:3], v[0:1]
	v_mul_f64 v[2:3], v[138:139], v[82:83]
	v_add_f64 v[152:153], v[148:149], v[150:151]
	ds_read_b128 v[148:151], v86 offset:1936
	s_waitcnt lgkmcnt(1)
	v_mul_f64 v[154:155], v[144:145], v[162:163]
	v_fma_f64 v[2:3], v[136:137], v[84:85], -v[2:3]
	v_fmac_f64_e32 v[154:155], v[146:147], v[164:165]
	v_add_f64 v[0:1], v[0:1], v[2:3]
	v_mul_f64 v[2:3], v[142:143], v[166:167]
	v_add_f64 v[182:183], v[152:153], v[154:155]
	ds_read_b128 v[152:155], v86 offset:1952
	ds_read_b128 v[156:159], v86 offset:1968
	v_fma_f64 v[2:3], v[140:141], v[168:169], -v[2:3]
	v_add_f64 v[0:1], v[0:1], v[2:3]
	v_mul_f64 v[2:3], v[146:147], v[162:163]
	v_fma_f64 v[2:3], v[144:145], v[164:165], -v[2:3]
	v_add_f64 v[0:1], v[0:1], v[2:3]
	s_waitcnt vmcnt(6) lgkmcnt(2)
	v_mul_f64 v[2:3], v[150:151], v[174:175]
	v_mul_f64 v[184:185], v[148:149], v[174:175]
	s_waitcnt vmcnt(4)
	v_fma_f64 v[2:3], v[148:149], v[176:177], -v[2:3]
	v_fmac_f64_e32 v[184:185], v[150:151], v[176:177]
	v_add_f64 v[0:1], v[0:1], v[2:3]
	s_waitcnt lgkmcnt(1)
	v_mul_f64 v[2:3], v[154:155], v[170:171]
	v_add_f64 v[86:87], v[182:183], v[184:185]
	v_mul_f64 v[182:183], v[152:153], v[170:171]
	v_fma_f64 v[2:3], v[152:153], v[172:173], -v[2:3]
	v_fmac_f64_e32 v[182:183], v[154:155], v[172:173]
	v_add_f64 v[0:1], v[0:1], v[2:3]
	s_waitcnt vmcnt(2) lgkmcnt(0)
	v_mul_f64 v[2:3], v[158:159], v[178:179]
	v_add_f64 v[86:87], v[86:87], v[182:183]
	v_mul_f64 v[182:183], v[156:157], v[178:179]
	s_waitcnt vmcnt(0)
	v_fma_f64 v[2:3], v[156:157], v[180:181], -v[2:3]
	v_fmac_f64_e32 v[182:183], v[158:159], v[180:181]
	v_add_f64 v[0:1], v[0:1], v[2:3]
	v_add_f64 v[86:87], v[86:87], v[182:183]
	v_add_f64 v[0:1], v[20:21], -v[0:1]
	v_cmp_lt_u32_e32 vcc, 38, v226
	v_add_f64 v[2:3], v[18:19], -v[86:87]
	buffer_store_dword v1, off, s[0:3], 0 offset:644
	buffer_store_dword v0, off, s[0:3], 0 offset:640
	;; [unrolled: 1-line block ×4, first 2 shown]
	s_and_saveexec_b64 s[4:5], vcc
	s_cbranch_execz .LBB61_321
; %bb.320:
	v_accvgpr_read_b32 v0, a147
	buffer_load_dword v2, v0, s[0:3], 0 offen
	buffer_load_dword v3, v0, s[0:3], 0 offen offset:4
	buffer_load_dword v4, v0, s[0:3], 0 offen offset:8
	;; [unrolled: 1-line block ×3, first 2 shown]
	v_mov_b32_e32 v0, 0
	v_accvgpr_read_b32 v1, a186
	buffer_store_dword v0, off, s[0:3], 0 offset:624
	buffer_store_dword v0, off, s[0:3], 0 offset:628
	;; [unrolled: 1-line block ×4, first 2 shown]
	s_waitcnt vmcnt(4)
	ds_write_b128 v1, v[2:5]
.LBB61_321:
	s_or_b64 exec, exec, s[4:5]
	s_waitcnt lgkmcnt(0)
	; wave barrier
	s_waitcnt lgkmcnt(0)
	buffer_load_dword v9, off, s[0:3], 0 offset:652
	buffer_load_dword v6, off, s[0:3], 0 offset:664
	buffer_load_dword v7, off, s[0:3], 0 offset:668
	buffer_load_dword v8, off, s[0:3], 0 offset:648
	buffer_load_dword v10, off, s[0:3], 0 offset:640
	buffer_load_dword v11, off, s[0:3], 0 offset:644
	buffer_load_dword v4, off, s[0:3], 0 offset:624
	buffer_load_dword v5, off, s[0:3], 0 offset:628
	buffer_load_dword v2, off, s[0:3], 0 offset:632
	buffer_load_dword v3, off, s[0:3], 0 offset:636
	buffer_load_dword v14, off, s[0:3], 0 offset:656
	buffer_load_dword v12, off, s[0:3], 0 offset:672
	buffer_load_dword v13, off, s[0:3], 0 offset:676
	buffer_load_dword v16, off, s[0:3], 0 offset:680
	buffer_load_dword v17, off, s[0:3], 0 offset:684
	buffer_load_dword v15, off, s[0:3], 0 offset:660
	buffer_load_dword v19, off, s[0:3], 0 offset:716
	buffer_load_dword v18, off, s[0:3], 0 offset:712
	buffer_load_dword v21, off, s[0:3], 0 offset:708
	buffer_load_dword v20, off, s[0:3], 0 offset:704
	buffer_load_dword v23, off, s[0:3], 0 offset:700
	buffer_load_dword v22, off, s[0:3], 0 offset:696
	buffer_load_dword v25, off, s[0:3], 0 offset:692
	buffer_load_dword v24, off, s[0:3], 0 offset:688
	buffer_load_dword v27, off, s[0:3], 0 offset:748
	buffer_load_dword v26, off, s[0:3], 0 offset:744
	buffer_load_dword v29, off, s[0:3], 0 offset:740
	buffer_load_dword v28, off, s[0:3], 0 offset:736
	buffer_load_dword v31, off, s[0:3], 0 offset:732
	buffer_load_dword v30, off, s[0:3], 0 offset:728
	buffer_load_dword v33, off, s[0:3], 0 offset:724
	buffer_load_dword v32, off, s[0:3], 0 offset:720
	buffer_load_dword v35, off, s[0:3], 0 offset:780
	buffer_load_dword v34, off, s[0:3], 0 offset:776
	buffer_load_dword v37, off, s[0:3], 0 offset:772
	buffer_load_dword v36, off, s[0:3], 0 offset:768
	buffer_load_dword v39, off, s[0:3], 0 offset:764
	buffer_load_dword v38, off, s[0:3], 0 offset:760
	buffer_load_dword v41, off, s[0:3], 0 offset:756
	buffer_load_dword v40, off, s[0:3], 0 offset:752
	buffer_load_dword v43, off, s[0:3], 0 offset:812
	buffer_load_dword v42, off, s[0:3], 0 offset:808
	buffer_load_dword v45, off, s[0:3], 0 offset:804
	buffer_load_dword v44, off, s[0:3], 0 offset:800
	buffer_load_dword v47, off, s[0:3], 0 offset:796
	buffer_load_dword v46, off, s[0:3], 0 offset:792
	buffer_load_dword v49, off, s[0:3], 0 offset:788
	buffer_load_dword v48, off, s[0:3], 0 offset:784
	buffer_load_dword v51, off, s[0:3], 0 offset:844
	buffer_load_dword v50, off, s[0:3], 0 offset:840
	buffer_load_dword v53, off, s[0:3], 0 offset:836
	buffer_load_dword v52, off, s[0:3], 0 offset:832
	buffer_load_dword v55, off, s[0:3], 0 offset:828
	buffer_load_dword v54, off, s[0:3], 0 offset:824
	buffer_load_dword v57, off, s[0:3], 0 offset:820
	buffer_load_dword v56, off, s[0:3], 0 offset:816
	buffer_load_dword v59, off, s[0:3], 0 offset:876
	buffer_load_dword v58, off, s[0:3], 0 offset:872
	buffer_load_dword v61, off, s[0:3], 0 offset:868
	buffer_load_dword v60, off, s[0:3], 0 offset:864
	buffer_load_dword v63, off, s[0:3], 0 offset:860
	buffer_load_dword v62, off, s[0:3], 0 offset:856
	buffer_load_dword v65, off, s[0:3], 0 offset:852
	buffer_load_dword v64, off, s[0:3], 0 offset:848
	v_mov_b32_e32 v98, 0
	ds_read_b128 v[74:77], v98 offset:1616
	ds_read_b128 v[78:81], v98 offset:1632
	buffer_load_dword v67, off, s[0:3], 0 offset:908
	buffer_load_dword v66, off, s[0:3], 0 offset:904
	;; [unrolled: 1-line block ×8, first 2 shown]
	ds_read_b128 v[82:85], v98 offset:1648
	ds_read_b128 v[86:89], v98 offset:1664
	buffer_load_dword v169, off, s[0:3], 0 offset:940
	buffer_load_dword v168, off, s[0:3], 0 offset:936
	;; [unrolled: 1-line block ×24, first 2 shown]
	ds_read_b128 v[164:167], v98 offset:1968
	v_cmp_lt_u32_e32 vcc, 37, v226
	s_waitcnt vmcnt(62) lgkmcnt(1)
	v_mul_f64 v[94:95], v[86:87], v[22:23]
	v_fmac_f64_e32 v[94:95], v[88:89], v[24:25]
	v_mul_f64 v[90:91], v[78:79], v[6:7]
	v_mul_f64 v[0:1], v[74:75], v[8:9]
	;; [unrolled: 1-line block ×3, first 2 shown]
	v_fmac_f64_e32 v[0:1], v[76:77], v[10:11]
	v_add_f64 v[0:1], v[0:1], 0
	v_fma_f64 v[8:9], v[74:75], v[10:11], -v[8:9]
	v_mul_f64 v[6:7], v[80:81], v[6:7]
	v_add_f64 v[8:9], v[8:9], 0
	v_fmac_f64_e32 v[90:91], v[80:81], v[14:15]
	v_add_f64 v[0:1], v[0:1], v[90:91]
	v_mul_f64 v[90:91], v[82:83], v[16:17]
	v_fmac_f64_e32 v[90:91], v[84:85], v[12:13]
	v_add_f64 v[0:1], v[0:1], v[90:91]
	ds_read_b128 v[90:93], v98 offset:1680
	v_add_f64 v[0:1], v[0:1], v[94:95]
	ds_read_b128 v[94:97], v98 offset:1696
	v_fma_f64 v[6:7], v[78:79], v[14:15], -v[6:7]
	v_add_f64 v[6:7], v[8:9], v[6:7]
	s_waitcnt lgkmcnt(1)
	v_mul_f64 v[100:101], v[90:91], v[18:19]
	v_fmac_f64_e32 v[100:101], v[92:93], v[20:21]
	v_add_f64 v[0:1], v[0:1], v[100:101]
	ds_read_b128 v[100:103], v98 offset:1712
	s_waitcnt lgkmcnt(1)
	v_mul_f64 v[104:105], v[94:95], v[30:31]
	v_fmac_f64_e32 v[104:105], v[96:97], v[32:33]
	v_add_f64 v[0:1], v[0:1], v[104:105]
	ds_read_b128 v[104:107], v98 offset:1728
	;; [unrolled: 5-line block ×3, first 2 shown]
	s_waitcnt vmcnt(58) lgkmcnt(1)
	v_mul_f64 v[112:113], v[104:105], v[38:39]
	s_waitcnt vmcnt(56)
	v_fmac_f64_e32 v[112:113], v[106:107], v[40:41]
	v_add_f64 v[0:1], v[0:1], v[112:113]
	ds_read_b128 v[112:115], v98 offset:1760
	s_waitcnt lgkmcnt(1)
	v_mul_f64 v[116:117], v[108:109], v[34:35]
	v_fmac_f64_e32 v[116:117], v[110:111], v[36:37]
	v_add_f64 v[0:1], v[0:1], v[116:117]
	ds_read_b128 v[116:119], v98 offset:1776
	s_waitcnt vmcnt(50) lgkmcnt(1)
	v_mul_f64 v[120:121], v[112:113], v[46:47]
	s_waitcnt vmcnt(48)
	v_fmac_f64_e32 v[120:121], v[114:115], v[48:49]
	v_add_f64 v[0:1], v[0:1], v[120:121]
	ds_read_b128 v[120:123], v98 offset:1792
	v_mul_f64 v[8:9], v[84:85], v[16:17]
	s_waitcnt lgkmcnt(1)
	v_mul_f64 v[124:125], v[116:117], v[42:43]
	v_fma_f64 v[8:9], v[82:83], v[12:13], -v[8:9]
	v_fmac_f64_e32 v[124:125], v[118:119], v[44:45]
	v_add_f64 v[6:7], v[6:7], v[8:9]
	v_mul_f64 v[8:9], v[88:89], v[22:23]
	v_add_f64 v[0:1], v[0:1], v[124:125]
	ds_read_b128 v[124:127], v98 offset:1808
	s_waitcnt vmcnt(42) lgkmcnt(1)
	v_mul_f64 v[128:129], v[120:121], v[54:55]
	v_fma_f64 v[8:9], v[86:87], v[24:25], -v[8:9]
	s_waitcnt vmcnt(40)
	v_fmac_f64_e32 v[128:129], v[122:123], v[56:57]
	v_add_f64 v[6:7], v[6:7], v[8:9]
	v_mul_f64 v[8:9], v[92:93], v[18:19]
	v_add_f64 v[0:1], v[0:1], v[128:129]
	ds_read_b128 v[128:131], v98 offset:1824
	v_fma_f64 v[8:9], v[90:91], v[20:21], -v[8:9]
	v_add_f64 v[6:7], v[6:7], v[8:9]
	v_mul_f64 v[8:9], v[96:97], v[30:31]
	v_fma_f64 v[8:9], v[94:95], v[32:33], -v[8:9]
	s_waitcnt lgkmcnt(1)
	v_mul_f64 v[132:133], v[124:125], v[50:51]
	v_add_f64 v[6:7], v[6:7], v[8:9]
	v_mul_f64 v[8:9], v[102:103], v[26:27]
	v_fmac_f64_e32 v[132:133], v[126:127], v[52:53]
	v_fma_f64 v[8:9], v[100:101], v[28:29], -v[8:9]
	v_add_f64 v[0:1], v[0:1], v[132:133]
	ds_read_b128 v[132:135], v98 offset:1840
	s_waitcnt vmcnt(34) lgkmcnt(1)
	v_mul_f64 v[136:137], v[128:129], v[62:63]
	v_add_f64 v[6:7], v[6:7], v[8:9]
	v_mul_f64 v[8:9], v[106:107], v[38:39]
	s_waitcnt vmcnt(32)
	v_fmac_f64_e32 v[136:137], v[130:131], v[64:65]
	v_fma_f64 v[8:9], v[104:105], v[40:41], -v[8:9]
	v_add_f64 v[0:1], v[0:1], v[136:137]
	ds_read_b128 v[136:139], v98 offset:1856
	v_add_f64 v[6:7], v[6:7], v[8:9]
	v_mul_f64 v[8:9], v[110:111], v[34:35]
	v_fma_f64 v[8:9], v[108:109], v[36:37], -v[8:9]
	v_add_f64 v[6:7], v[6:7], v[8:9]
	v_mul_f64 v[8:9], v[114:115], v[46:47]
	s_waitcnt lgkmcnt(1)
	v_mul_f64 v[140:141], v[132:133], v[58:59]
	v_fma_f64 v[8:9], v[112:113], v[48:49], -v[8:9]
	v_fmac_f64_e32 v[140:141], v[134:135], v[60:61]
	v_add_f64 v[6:7], v[6:7], v[8:9]
	v_mul_f64 v[8:9], v[118:119], v[42:43]
	v_add_f64 v[0:1], v[0:1], v[140:141]
	ds_read_b128 v[140:143], v98 offset:1872
	s_waitcnt vmcnt(26) lgkmcnt(1)
	v_mul_f64 v[144:145], v[136:137], v[70:71]
	v_fma_f64 v[8:9], v[116:117], v[44:45], -v[8:9]
	s_waitcnt vmcnt(24)
	v_fmac_f64_e32 v[144:145], v[138:139], v[72:73]
	v_add_f64 v[6:7], v[6:7], v[8:9]
	v_mul_f64 v[8:9], v[122:123], v[54:55]
	v_add_f64 v[0:1], v[0:1], v[144:145]
	ds_read_b128 v[144:147], v98 offset:1888
	v_fma_f64 v[8:9], v[120:121], v[56:57], -v[8:9]
	v_add_f64 v[6:7], v[6:7], v[8:9]
	v_mul_f64 v[8:9], v[126:127], v[50:51]
	v_fma_f64 v[8:9], v[124:125], v[52:53], -v[8:9]
	s_waitcnt lgkmcnt(1)
	v_mul_f64 v[148:149], v[140:141], v[66:67]
	v_add_f64 v[6:7], v[6:7], v[8:9]
	v_mul_f64 v[8:9], v[130:131], v[62:63]
	v_fmac_f64_e32 v[148:149], v[142:143], v[68:69]
	v_fma_f64 v[8:9], v[128:129], v[64:65], -v[8:9]
	v_add_f64 v[0:1], v[0:1], v[148:149]
	ds_read_b128 v[148:151], v98 offset:1904
	s_waitcnt vmcnt(18) lgkmcnt(1)
	v_mul_f64 v[152:153], v[144:145], v[172:173]
	v_add_f64 v[6:7], v[6:7], v[8:9]
	v_mul_f64 v[8:9], v[134:135], v[58:59]
	s_waitcnt vmcnt(16)
	v_fmac_f64_e32 v[152:153], v[146:147], v[174:175]
	v_fma_f64 v[8:9], v[132:133], v[60:61], -v[8:9]
	v_add_f64 v[0:1], v[0:1], v[152:153]
	ds_read_b128 v[152:155], v98 offset:1920
	v_add_f64 v[6:7], v[6:7], v[8:9]
	v_mul_f64 v[8:9], v[138:139], v[70:71]
	v_fma_f64 v[8:9], v[136:137], v[72:73], -v[8:9]
	v_add_f64 v[6:7], v[6:7], v[8:9]
	v_mul_f64 v[8:9], v[142:143], v[66:67]
	s_waitcnt lgkmcnt(1)
	v_mul_f64 v[156:157], v[148:149], v[168:169]
	v_fma_f64 v[8:9], v[140:141], v[68:69], -v[8:9]
	v_fmac_f64_e32 v[156:157], v[150:151], v[170:171]
	v_add_f64 v[6:7], v[6:7], v[8:9]
	v_mul_f64 v[8:9], v[146:147], v[172:173]
	v_add_f64 v[0:1], v[0:1], v[156:157]
	ds_read_b128 v[156:159], v98 offset:1936
	s_waitcnt vmcnt(10) lgkmcnt(1)
	v_mul_f64 v[160:161], v[152:153], v[180:181]
	v_fma_f64 v[8:9], v[144:145], v[174:175], -v[8:9]
	s_waitcnt vmcnt(8)
	v_fmac_f64_e32 v[160:161], v[154:155], v[182:183]
	v_add_f64 v[6:7], v[6:7], v[8:9]
	v_mul_f64 v[8:9], v[150:151], v[168:169]
	v_add_f64 v[0:1], v[0:1], v[160:161]
	ds_read_b128 v[160:163], v98 offset:1952
	v_fma_f64 v[8:9], v[148:149], v[170:171], -v[8:9]
	v_add_f64 v[6:7], v[6:7], v[8:9]
	v_mul_f64 v[8:9], v[154:155], v[180:181]
	v_fma_f64 v[8:9], v[152:153], v[182:183], -v[8:9]
	v_add_f64 v[6:7], v[6:7], v[8:9]
	s_waitcnt lgkmcnt(1)
	v_mul_f64 v[8:9], v[158:159], v[176:177]
	v_mul_f64 v[192:193], v[156:157], v[176:177]
	v_fma_f64 v[8:9], v[156:157], v[178:179], -v[8:9]
	v_fmac_f64_e32 v[192:193], v[158:159], v[178:179]
	v_add_f64 v[6:7], v[6:7], v[8:9]
	s_waitcnt vmcnt(2) lgkmcnt(0)
	v_mul_f64 v[8:9], v[162:163], v[188:189]
	v_add_f64 v[0:1], v[0:1], v[192:193]
	v_mul_f64 v[192:193], v[160:161], v[188:189]
	s_waitcnt vmcnt(0)
	v_fma_f64 v[8:9], v[160:161], v[190:191], -v[8:9]
	v_fmac_f64_e32 v[192:193], v[162:163], v[190:191]
	v_add_f64 v[6:7], v[6:7], v[8:9]
	v_mul_f64 v[8:9], v[166:167], v[184:185]
	v_add_f64 v[0:1], v[0:1], v[192:193]
	v_mul_f64 v[192:193], v[164:165], v[184:185]
	v_fma_f64 v[8:9], v[164:165], v[186:187], -v[8:9]
	v_fmac_f64_e32 v[192:193], v[166:167], v[186:187]
	v_add_f64 v[6:7], v[6:7], v[8:9]
	v_add_f64 v[0:1], v[0:1], v[192:193]
	v_add_f64 v[4:5], v[4:5], -v[6:7]
	v_add_f64 v[0:1], v[2:3], -v[0:1]
	buffer_store_dword v5, off, s[0:3], 0 offset:628
	buffer_store_dword v4, off, s[0:3], 0 offset:624
	;; [unrolled: 1-line block ×4, first 2 shown]
	s_and_saveexec_b64 s[4:5], vcc
	s_cbranch_execz .LBB61_323
; %bb.322:
	v_accvgpr_read_b32 v0, a148
	buffer_load_dword v2, v0, s[0:3], 0 offen
	buffer_load_dword v3, v0, s[0:3], 0 offen offset:4
	buffer_load_dword v4, v0, s[0:3], 0 offen offset:8
	;; [unrolled: 1-line block ×3, first 2 shown]
	v_accvgpr_read_b32 v0, a186
	buffer_store_dword v98, off, s[0:3], 0 offset:608
	buffer_store_dword v98, off, s[0:3], 0 offset:612
	;; [unrolled: 1-line block ×4, first 2 shown]
	s_waitcnt vmcnt(4)
	ds_write_b128 v0, v[2:5]
.LBB61_323:
	s_or_b64 exec, exec, s[4:5]
	s_waitcnt lgkmcnt(0)
	; wave barrier
	s_waitcnt lgkmcnt(0)
	buffer_load_dword v22, off, s[0:3], 0 offset:624
	buffer_load_dword v23, off, s[0:3], 0 offset:628
	;; [unrolled: 1-line block ×16, first 2 shown]
	ds_read_b128 v[2:5], v98 offset:1600
	ds_read_b128 v[6:9], v98 offset:1616
	;; [unrolled: 1-line block ×4, first 2 shown]
	buffer_load_dword v35, off, s[0:3], 0 offset:700
	buffer_load_dword v34, off, s[0:3], 0 offset:696
	;; [unrolled: 1-line block ×48, first 2 shown]
	v_cmp_lt_u32_e32 vcc, 36, v226
	s_waitcnt vmcnt(42) lgkmcnt(0)
	v_mul_f64 v[104:105], v[14:15], v[38:39]
	s_waitcnt vmcnt(40)
	v_fmac_f64_e32 v[104:105], v[16:17], v[40:41]
	v_mul_f64 v[0:1], v[2:3], v[24:25]
	v_fmac_f64_e32 v[0:1], v[4:5], v[22:23]
	v_add_f64 v[0:1], v[0:1], 0
	v_mul_f64 v[4:5], v[4:5], v[24:25]
	v_mul_f64 v[82:83], v[6:7], v[32:33]
	v_fma_f64 v[2:3], v[2:3], v[22:23], -v[4:5]
	v_mul_f64 v[100:101], v[10:11], v[26:27]
	v_fmac_f64_e32 v[100:101], v[12:13], v[30:31]
	v_fmac_f64_e32 v[82:83], v[8:9], v[28:29]
	v_add_f64 v[0:1], v[0:1], v[82:83]
	buffer_load_dword v83, off, s[0:3], 0 offset:892
	buffer_load_dword v82, off, s[0:3], 0 offset:888
	;; [unrolled: 1-line block ×32, first 2 shown]
	v_add_f64 v[0:1], v[0:1], v[100:101]
	ds_read_b128 v[100:103], v98 offset:1664
	buffer_load_dword v197, off, s[0:3], 0 offset:1004
	buffer_load_dword v196, off, s[0:3], 0 offset:1000
	;; [unrolled: 1-line block ×4, first 2 shown]
	v_add_f64 v[0:1], v[0:1], v[104:105]
	ds_read_b128 v[104:107], v98 offset:1680
	v_mul_f64 v[4:5], v[8:9], v[32:33]
	s_waitcnt lgkmcnt(1)
	v_mul_f64 v[108:109], v[100:101], v[34:35]
	v_fmac_f64_e32 v[108:109], v[102:103], v[36:37]
	v_add_f64 v[0:1], v[0:1], v[108:109]
	ds_read_b128 v[108:111], v98 offset:1696
	s_waitcnt vmcnt(62) lgkmcnt(1)
	v_mul_f64 v[112:113], v[104:105], v[46:47]
	v_fmac_f64_e32 v[112:113], v[106:107], v[48:49]
	v_add_f64 v[0:1], v[0:1], v[112:113]
	ds_read_b128 v[112:115], v98 offset:1712
	s_waitcnt lgkmcnt(1)
	v_mul_f64 v[116:117], v[108:109], v[42:43]
	v_fmac_f64_e32 v[116:117], v[110:111], v[44:45]
	v_add_f64 v[0:1], v[0:1], v[116:117]
	ds_read_b128 v[116:119], v98 offset:1728
	s_waitcnt lgkmcnt(1)
	v_mul_f64 v[120:121], v[112:113], v[54:55]
	s_waitcnt vmcnt(60)
	v_fmac_f64_e32 v[120:121], v[114:115], v[56:57]
	v_add_f64 v[0:1], v[0:1], v[120:121]
	ds_read_b128 v[120:123], v98 offset:1744
	s_waitcnt lgkmcnt(1)
	v_mul_f64 v[124:125], v[116:117], v[50:51]
	v_fmac_f64_e32 v[124:125], v[118:119], v[52:53]
	v_add_f64 v[0:1], v[0:1], v[124:125]
	ds_read_b128 v[124:127], v98 offset:1760
	s_waitcnt vmcnt(54) lgkmcnt(1)
	v_mul_f64 v[128:129], v[120:121], v[62:63]
	s_waitcnt vmcnt(52)
	v_fmac_f64_e32 v[128:129], v[122:123], v[64:65]
	v_add_f64 v[0:1], v[0:1], v[128:129]
	ds_read_b128 v[128:131], v98 offset:1776
	s_waitcnt lgkmcnt(1)
	v_mul_f64 v[132:133], v[124:125], v[58:59]
	v_fmac_f64_e32 v[132:133], v[126:127], v[60:61]
	v_add_f64 v[2:3], v[2:3], 0
	v_fma_f64 v[4:5], v[6:7], v[28:29], -v[4:5]
	v_add_f64 v[0:1], v[0:1], v[132:133]
	ds_read_b128 v[132:135], v98 offset:1792
	v_add_f64 v[2:3], v[2:3], v[4:5]
	v_mul_f64 v[4:5], v[12:13], v[26:27]
	v_fma_f64 v[4:5], v[10:11], v[30:31], -v[4:5]
	v_add_f64 v[2:3], v[2:3], v[4:5]
	v_mul_f64 v[4:5], v[16:17], v[38:39]
	s_waitcnt vmcnt(46) lgkmcnt(1)
	v_mul_f64 v[136:137], v[128:129], v[70:71]
	v_fma_f64 v[4:5], v[14:15], v[40:41], -v[4:5]
	s_waitcnt vmcnt(44)
	v_fmac_f64_e32 v[136:137], v[130:131], v[72:73]
	v_add_f64 v[2:3], v[2:3], v[4:5]
	v_mul_f64 v[4:5], v[102:103], v[34:35]
	v_add_f64 v[0:1], v[0:1], v[136:137]
	ds_read_b128 v[136:139], v98 offset:1808
	s_waitcnt lgkmcnt(1)
	v_mul_f64 v[140:141], v[132:133], v[66:67]
	v_fma_f64 v[4:5], v[100:101], v[36:37], -v[4:5]
	v_fmac_f64_e32 v[140:141], v[134:135], v[68:69]
	v_add_f64 v[2:3], v[2:3], v[4:5]
	v_mul_f64 v[4:5], v[106:107], v[46:47]
	v_add_f64 v[0:1], v[0:1], v[140:141]
	ds_read_b128 v[140:143], v98 offset:1824
	v_fma_f64 v[4:5], v[104:105], v[48:49], -v[4:5]
	v_add_f64 v[2:3], v[2:3], v[4:5]
	v_mul_f64 v[4:5], v[110:111], v[42:43]
	v_fma_f64 v[4:5], v[108:109], v[44:45], -v[4:5]
	s_waitcnt vmcnt(38) lgkmcnt(1)
	v_mul_f64 v[144:145], v[136:137], v[78:79]
	v_add_f64 v[2:3], v[2:3], v[4:5]
	v_mul_f64 v[4:5], v[114:115], v[54:55]
	s_waitcnt vmcnt(36)
	v_fmac_f64_e32 v[144:145], v[138:139], v[80:81]
	v_fma_f64 v[4:5], v[112:113], v[56:57], -v[4:5]
	v_add_f64 v[0:1], v[0:1], v[144:145]
	ds_read_b128 v[144:147], v98 offset:1840
	s_waitcnt lgkmcnt(1)
	v_mul_f64 v[148:149], v[140:141], v[74:75]
	v_add_f64 v[2:3], v[2:3], v[4:5]
	v_mul_f64 v[4:5], v[118:119], v[50:51]
	v_fmac_f64_e32 v[148:149], v[142:143], v[76:77]
	v_fma_f64 v[4:5], v[116:117], v[52:53], -v[4:5]
	v_add_f64 v[0:1], v[0:1], v[148:149]
	ds_read_b128 v[148:151], v98 offset:1856
	v_add_f64 v[2:3], v[2:3], v[4:5]
	v_mul_f64 v[4:5], v[122:123], v[62:63]
	v_fma_f64 v[4:5], v[120:121], v[64:65], -v[4:5]
	v_add_f64 v[2:3], v[2:3], v[4:5]
	v_mul_f64 v[4:5], v[126:127], v[58:59]
	s_waitcnt vmcnt(30) lgkmcnt(1)
	v_mul_f64 v[152:153], v[144:145], v[86:87]
	v_fma_f64 v[4:5], v[124:125], v[60:61], -v[4:5]
	s_waitcnt vmcnt(28)
	v_fmac_f64_e32 v[152:153], v[146:147], v[88:89]
	v_add_f64 v[2:3], v[2:3], v[4:5]
	v_mul_f64 v[4:5], v[130:131], v[70:71]
	v_add_f64 v[0:1], v[0:1], v[152:153]
	ds_read_b128 v[152:155], v98 offset:1872
	s_waitcnt lgkmcnt(1)
	v_mul_f64 v[156:157], v[148:149], v[82:83]
	v_fma_f64 v[4:5], v[128:129], v[72:73], -v[4:5]
	v_fmac_f64_e32 v[156:157], v[150:151], v[84:85]
	v_add_f64 v[2:3], v[2:3], v[4:5]
	v_mul_f64 v[4:5], v[134:135], v[66:67]
	v_add_f64 v[0:1], v[0:1], v[156:157]
	ds_read_b128 v[156:159], v98 offset:1888
	v_fma_f64 v[4:5], v[132:133], v[68:69], -v[4:5]
	v_add_f64 v[2:3], v[2:3], v[4:5]
	v_mul_f64 v[4:5], v[138:139], v[78:79]
	v_fma_f64 v[4:5], v[136:137], v[80:81], -v[4:5]
	s_waitcnt vmcnt(22) lgkmcnt(1)
	v_mul_f64 v[160:161], v[152:153], v[94:95]
	v_add_f64 v[2:3], v[2:3], v[4:5]
	v_mul_f64 v[4:5], v[142:143], v[74:75]
	s_waitcnt vmcnt(20)
	v_fmac_f64_e32 v[160:161], v[154:155], v[96:97]
	v_fma_f64 v[4:5], v[140:141], v[76:77], -v[4:5]
	v_add_f64 v[0:1], v[0:1], v[160:161]
	ds_read_b128 v[160:163], v98 offset:1904
	s_waitcnt lgkmcnt(1)
	v_mul_f64 v[164:165], v[156:157], v[90:91]
	v_add_f64 v[2:3], v[2:3], v[4:5]
	v_mul_f64 v[4:5], v[146:147], v[86:87]
	v_fmac_f64_e32 v[164:165], v[158:159], v[92:93]
	v_fma_f64 v[4:5], v[144:145], v[88:89], -v[4:5]
	v_add_f64 v[0:1], v[0:1], v[164:165]
	ds_read_b128 v[164:167], v98 offset:1920
	v_add_f64 v[2:3], v[2:3], v[4:5]
	v_mul_f64 v[4:5], v[150:151], v[82:83]
	v_fma_f64 v[4:5], v[148:149], v[84:85], -v[4:5]
	v_add_f64 v[2:3], v[2:3], v[4:5]
	v_mul_f64 v[4:5], v[154:155], v[94:95]
	s_waitcnt vmcnt(14) lgkmcnt(1)
	v_mul_f64 v[168:169], v[160:161], v[184:185]
	v_fma_f64 v[4:5], v[152:153], v[96:97], -v[4:5]
	s_waitcnt vmcnt(12)
	v_fmac_f64_e32 v[168:169], v[162:163], v[186:187]
	v_add_f64 v[2:3], v[2:3], v[4:5]
	v_mul_f64 v[4:5], v[158:159], v[90:91]
	v_add_f64 v[0:1], v[0:1], v[168:169]
	ds_read_b128 v[168:171], v98 offset:1936
	s_waitcnt lgkmcnt(1)
	v_mul_f64 v[172:173], v[164:165], v[180:181]
	v_fma_f64 v[4:5], v[156:157], v[92:93], -v[4:5]
	v_fmac_f64_e32 v[172:173], v[166:167], v[182:183]
	v_add_f64 v[2:3], v[2:3], v[4:5]
	v_mul_f64 v[4:5], v[162:163], v[184:185]
	v_add_f64 v[0:1], v[0:1], v[172:173]
	ds_read_b128 v[172:175], v98 offset:1952
	v_fma_f64 v[4:5], v[160:161], v[186:187], -v[4:5]
	v_add_f64 v[2:3], v[2:3], v[4:5]
	v_mul_f64 v[4:5], v[166:167], v[180:181]
	ds_read_b128 v[176:179], v98 offset:1968
	v_fma_f64 v[4:5], v[164:165], v[182:183], -v[4:5]
	v_add_f64 v[2:3], v[2:3], v[4:5]
	s_waitcnt vmcnt(6) lgkmcnt(2)
	v_mul_f64 v[4:5], v[170:171], v[192:193]
	s_waitcnt vmcnt(4)
	v_fma_f64 v[4:5], v[168:169], v[194:195], -v[4:5]
	v_mul_f64 v[200:201], v[168:169], v[192:193]
	v_add_f64 v[2:3], v[2:3], v[4:5]
	s_waitcnt lgkmcnt(1)
	v_mul_f64 v[4:5], v[174:175], v[188:189]
	v_fmac_f64_e32 v[200:201], v[170:171], v[194:195]
	v_mul_f64 v[98:99], v[172:173], v[188:189]
	v_fma_f64 v[4:5], v[172:173], v[190:191], -v[4:5]
	v_add_f64 v[0:1], v[0:1], v[200:201]
	v_fmac_f64_e32 v[98:99], v[174:175], v[190:191]
	v_add_f64 v[2:3], v[2:3], v[4:5]
	s_waitcnt vmcnt(2) lgkmcnt(0)
	v_mul_f64 v[4:5], v[178:179], v[196:197]
	v_add_f64 v[0:1], v[0:1], v[98:99]
	v_mul_f64 v[98:99], v[176:177], v[196:197]
	s_waitcnt vmcnt(0)
	v_fma_f64 v[4:5], v[176:177], v[198:199], -v[4:5]
	v_fmac_f64_e32 v[98:99], v[178:179], v[198:199]
	v_add_f64 v[2:3], v[2:3], v[4:5]
	v_add_f64 v[0:1], v[0:1], v[98:99]
	v_add_f64 v[2:3], v[20:21], -v[2:3]
	v_add_f64 v[0:1], v[18:19], -v[0:1]
	buffer_store_dword v3, off, s[0:3], 0 offset:612
	buffer_store_dword v2, off, s[0:3], 0 offset:608
	;; [unrolled: 1-line block ×4, first 2 shown]
	s_and_saveexec_b64 s[4:5], vcc
	s_cbranch_execz .LBB61_325
; %bb.324:
	v_accvgpr_read_b32 v0, a149
	buffer_load_dword v2, v0, s[0:3], 0 offen
	buffer_load_dword v3, v0, s[0:3], 0 offen offset:4
	buffer_load_dword v4, v0, s[0:3], 0 offen offset:8
	;; [unrolled: 1-line block ×3, first 2 shown]
	v_mov_b32_e32 v0, 0
	v_accvgpr_read_b32 v1, a186
	buffer_store_dword v0, off, s[0:3], 0 offset:592
	buffer_store_dword v0, off, s[0:3], 0 offset:596
	;; [unrolled: 1-line block ×4, first 2 shown]
	s_waitcnt vmcnt(4)
	ds_write_b128 v1, v[2:5]
.LBB61_325:
	s_or_b64 exec, exec, s[4:5]
	s_waitcnt lgkmcnt(0)
	; wave barrier
	s_waitcnt lgkmcnt(0)
	buffer_load_dword v22, off, s[0:3], 0 offset:608
	buffer_load_dword v23, off, s[0:3], 0 offset:612
	;; [unrolled: 1-line block ×64, first 2 shown]
	v_mov_b32_e32 v114, 0
	ds_read_b128 v[18:21], v114 offset:1584
	ds_read_b128 v[14:17], v114 offset:1600
	;; [unrolled: 1-line block ×5, first 2 shown]
	v_cmp_lt_u32_e32 vcc, 35, v226
	s_waitcnt vmcnt(60) lgkmcnt(4)
	v_mul_f64 v[0:1], v[18:19], v[26:27]
	v_fmac_f64_e32 v[0:1], v[20:21], v[22:23]
	v_add_f64 v[0:1], v[0:1], 0
	v_mul_f64 v[20:21], v[20:21], v[26:27]
	s_waitcnt vmcnt(56) lgkmcnt(3)
	v_mul_f64 v[86:87], v[14:15], v[28:29]
	v_fmac_f64_e32 v[86:87], v[16:17], v[24:25]
	s_waitcnt vmcnt(54) lgkmcnt(2)
	v_mul_f64 v[88:89], v[10:11], v[30:31]
	v_add_f64 v[0:1], v[0:1], v[86:87]
	v_fma_f64 v[18:19], v[18:19], v[22:23], -v[20:21]
	v_mul_f64 v[16:17], v[16:17], v[28:29]
	s_waitcnt vmcnt(50) lgkmcnt(1)
	v_mul_f64 v[102:103], v[6:7], v[40:41]
	v_add_f64 v[18:19], v[18:19], 0
	s_waitcnt vmcnt(48)
	v_fmac_f64_e32 v[88:89], v[12:13], v[44:45]
	v_add_f64 v[0:1], v[0:1], v[88:89]
	buffer_load_dword v87, off, s[0:3], 0 offset:876
	buffer_load_dword v86, off, s[0:3], 0 offset:872
	;; [unrolled: 1-line block ×40, first 2 shown]
	s_waitcnt vmcnt(62)
	v_fmac_f64_e32 v[102:103], v[8:9], v[42:43]
	v_add_f64 v[0:1], v[0:1], v[102:103]
	ds_read_b128 v[102:105], v114 offset:1664
	s_waitcnt lgkmcnt(1)
	v_mul_f64 v[106:107], v[2:3], v[36:37]
	v_fmac_f64_e32 v[106:107], v[4:5], v[38:39]
	v_add_f64 v[0:1], v[0:1], v[106:107]
	ds_read_b128 v[106:109], v114 offset:1680
	s_waitcnt lgkmcnt(1)
	v_mul_f64 v[110:111], v[102:103], v[50:51]
	;; [unrolled: 5-line block ×5, first 2 shown]
	v_fmac_f64_e32 v[124:125], v[118:119], v[56:57]
	v_add_f64 v[0:1], v[0:1], v[124:125]
	ds_read_b128 v[124:127], v114 offset:1744
	s_waitcnt vmcnt(58) lgkmcnt(1)
	v_mul_f64 v[128:129], v[120:121], v[66:67]
	s_waitcnt vmcnt(56)
	v_fmac_f64_e32 v[128:129], v[122:123], v[68:69]
	v_add_f64 v[0:1], v[0:1], v[128:129]
	ds_read_b128 v[128:131], v114 offset:1760
	s_waitcnt lgkmcnt(1)
	v_mul_f64 v[132:133], v[124:125], v[62:63]
	v_fmac_f64_e32 v[132:133], v[126:127], v[64:65]
	v_add_f64 v[0:1], v[0:1], v[132:133]
	ds_read_b128 v[132:135], v114 offset:1776
	s_waitcnt vmcnt(50) lgkmcnt(1)
	v_mul_f64 v[136:137], v[128:129], v[74:75]
	s_waitcnt vmcnt(48)
	v_fmac_f64_e32 v[136:137], v[130:131], v[76:77]
	v_add_f64 v[0:1], v[0:1], v[136:137]
	ds_read_b128 v[136:139], v114 offset:1792
	v_fma_f64 v[14:15], v[14:15], v[24:25], -v[16:17]
	v_mul_f64 v[12:13], v[12:13], v[30:31]
	v_add_f64 v[14:15], v[18:19], v[14:15]
	v_fma_f64 v[10:11], v[10:11], v[44:45], -v[12:13]
	v_mul_f64 v[8:9], v[8:9], v[40:41]
	s_waitcnt lgkmcnt(1)
	v_mul_f64 v[140:141], v[132:133], v[70:71]
	v_add_f64 v[10:11], v[14:15], v[10:11]
	v_fma_f64 v[6:7], v[6:7], v[42:43], -v[8:9]
	v_mul_f64 v[4:5], v[4:5], v[36:37]
	v_fmac_f64_e32 v[140:141], v[134:135], v[72:73]
	v_add_f64 v[6:7], v[10:11], v[6:7]
	v_fma_f64 v[2:3], v[2:3], v[38:39], -v[4:5]
	v_mul_f64 v[4:5], v[104:105], v[50:51]
	v_add_f64 v[0:1], v[0:1], v[140:141]
	ds_read_b128 v[140:143], v114 offset:1808
	s_waitcnt vmcnt(42) lgkmcnt(1)
	v_mul_f64 v[144:145], v[136:137], v[82:83]
	v_add_f64 v[2:3], v[6:7], v[2:3]
	v_fma_f64 v[4:5], v[102:103], v[52:53], -v[4:5]
	s_waitcnt vmcnt(40)
	v_fmac_f64_e32 v[144:145], v[138:139], v[84:85]
	v_add_f64 v[2:3], v[2:3], v[4:5]
	v_mul_f64 v[4:5], v[108:109], v[46:47]
	v_add_f64 v[0:1], v[0:1], v[144:145]
	ds_read_b128 v[144:147], v114 offset:1824
	v_fma_f64 v[4:5], v[106:107], v[48:49], -v[4:5]
	v_add_f64 v[2:3], v[2:3], v[4:5]
	v_mul_f64 v[4:5], v[112:113], v[58:59]
	v_fma_f64 v[4:5], v[110:111], v[60:61], -v[4:5]
	s_waitcnt lgkmcnt(1)
	v_mul_f64 v[148:149], v[140:141], v[78:79]
	v_add_f64 v[2:3], v[2:3], v[4:5]
	v_mul_f64 v[4:5], v[118:119], v[54:55]
	v_fmac_f64_e32 v[148:149], v[142:143], v[80:81]
	v_fma_f64 v[4:5], v[116:117], v[56:57], -v[4:5]
	v_add_f64 v[0:1], v[0:1], v[148:149]
	ds_read_b128 v[148:151], v114 offset:1840
	s_waitcnt vmcnt(34) lgkmcnt(1)
	v_mul_f64 v[152:153], v[144:145], v[90:91]
	v_add_f64 v[2:3], v[2:3], v[4:5]
	v_mul_f64 v[4:5], v[122:123], v[66:67]
	s_waitcnt vmcnt(32)
	v_fmac_f64_e32 v[152:153], v[146:147], v[92:93]
	v_fma_f64 v[4:5], v[120:121], v[68:69], -v[4:5]
	v_add_f64 v[0:1], v[0:1], v[152:153]
	ds_read_b128 v[152:155], v114 offset:1856
	v_add_f64 v[2:3], v[2:3], v[4:5]
	v_mul_f64 v[4:5], v[126:127], v[62:63]
	v_fma_f64 v[4:5], v[124:125], v[64:65], -v[4:5]
	v_add_f64 v[2:3], v[2:3], v[4:5]
	v_mul_f64 v[4:5], v[130:131], v[74:75]
	s_waitcnt lgkmcnt(1)
	v_mul_f64 v[156:157], v[148:149], v[86:87]
	v_fma_f64 v[4:5], v[128:129], v[76:77], -v[4:5]
	v_fmac_f64_e32 v[156:157], v[150:151], v[88:89]
	v_add_f64 v[2:3], v[2:3], v[4:5]
	v_mul_f64 v[4:5], v[134:135], v[70:71]
	v_add_f64 v[0:1], v[0:1], v[156:157]
	ds_read_b128 v[156:159], v114 offset:1872
	s_waitcnt vmcnt(26) lgkmcnt(1)
	v_mul_f64 v[160:161], v[152:153], v[98:99]
	v_fma_f64 v[4:5], v[132:133], v[72:73], -v[4:5]
	s_waitcnt vmcnt(24)
	v_fmac_f64_e32 v[160:161], v[154:155], v[100:101]
	v_add_f64 v[2:3], v[2:3], v[4:5]
	v_mul_f64 v[4:5], v[138:139], v[82:83]
	v_add_f64 v[0:1], v[0:1], v[160:161]
	ds_read_b128 v[160:163], v114 offset:1888
	v_fma_f64 v[4:5], v[136:137], v[84:85], -v[4:5]
	v_add_f64 v[2:3], v[2:3], v[4:5]
	v_mul_f64 v[4:5], v[142:143], v[78:79]
	v_fma_f64 v[4:5], v[140:141], v[80:81], -v[4:5]
	s_waitcnt lgkmcnt(1)
	v_mul_f64 v[164:165], v[156:157], v[94:95]
	v_add_f64 v[2:3], v[2:3], v[4:5]
	v_mul_f64 v[4:5], v[146:147], v[90:91]
	v_fmac_f64_e32 v[164:165], v[158:159], v[96:97]
	v_fma_f64 v[4:5], v[144:145], v[92:93], -v[4:5]
	v_add_f64 v[0:1], v[0:1], v[164:165]
	ds_read_b128 v[164:167], v114 offset:1904
	s_waitcnt vmcnt(18) lgkmcnt(1)
	v_mul_f64 v[168:169], v[160:161], v[188:189]
	v_add_f64 v[2:3], v[2:3], v[4:5]
	v_mul_f64 v[4:5], v[150:151], v[86:87]
	s_waitcnt vmcnt(16)
	v_fmac_f64_e32 v[168:169], v[162:163], v[190:191]
	v_fma_f64 v[4:5], v[148:149], v[88:89], -v[4:5]
	v_add_f64 v[0:1], v[0:1], v[168:169]
	ds_read_b128 v[168:171], v114 offset:1920
	v_add_f64 v[2:3], v[2:3], v[4:5]
	v_mul_f64 v[4:5], v[154:155], v[98:99]
	v_fma_f64 v[4:5], v[152:153], v[100:101], -v[4:5]
	v_add_f64 v[2:3], v[2:3], v[4:5]
	v_mul_f64 v[4:5], v[158:159], v[94:95]
	s_waitcnt lgkmcnt(1)
	v_mul_f64 v[172:173], v[164:165], v[184:185]
	v_fma_f64 v[4:5], v[156:157], v[96:97], -v[4:5]
	v_fmac_f64_e32 v[172:173], v[166:167], v[186:187]
	v_add_f64 v[2:3], v[2:3], v[4:5]
	v_mul_f64 v[4:5], v[162:163], v[188:189]
	v_add_f64 v[0:1], v[0:1], v[172:173]
	ds_read_b128 v[172:175], v114 offset:1936
	s_waitcnt vmcnt(10) lgkmcnt(1)
	v_mul_f64 v[176:177], v[168:169], v[196:197]
	v_fma_f64 v[4:5], v[160:161], v[190:191], -v[4:5]
	s_waitcnt vmcnt(8)
	v_fmac_f64_e32 v[176:177], v[170:171], v[198:199]
	v_add_f64 v[2:3], v[2:3], v[4:5]
	v_mul_f64 v[4:5], v[166:167], v[184:185]
	v_add_f64 v[0:1], v[0:1], v[176:177]
	ds_read_b128 v[176:179], v114 offset:1952
	ds_read_b128 v[180:183], v114 offset:1968
	v_fma_f64 v[4:5], v[164:165], v[186:187], -v[4:5]
	v_add_f64 v[2:3], v[2:3], v[4:5]
	v_mul_f64 v[4:5], v[170:171], v[196:197]
	v_fma_f64 v[4:5], v[168:169], v[198:199], -v[4:5]
	v_add_f64 v[2:3], v[2:3], v[4:5]
	s_waitcnt lgkmcnt(2)
	v_mul_f64 v[4:5], v[174:175], v[192:193]
	v_mul_f64 v[208:209], v[172:173], v[192:193]
	v_fma_f64 v[4:5], v[172:173], v[194:195], -v[4:5]
	v_fmac_f64_e32 v[208:209], v[174:175], v[194:195]
	v_add_f64 v[2:3], v[2:3], v[4:5]
	s_waitcnt vmcnt(2) lgkmcnt(1)
	v_mul_f64 v[4:5], v[178:179], v[204:205]
	v_add_f64 v[0:1], v[0:1], v[208:209]
	v_mul_f64 v[208:209], v[176:177], v[204:205]
	s_waitcnt vmcnt(0)
	v_fma_f64 v[4:5], v[176:177], v[206:207], -v[4:5]
	v_fmac_f64_e32 v[208:209], v[178:179], v[206:207]
	v_add_f64 v[2:3], v[2:3], v[4:5]
	s_waitcnt lgkmcnt(0)
	v_mul_f64 v[4:5], v[182:183], v[200:201]
	v_add_f64 v[0:1], v[0:1], v[208:209]
	v_mul_f64 v[208:209], v[180:181], v[200:201]
	v_fma_f64 v[4:5], v[180:181], v[202:203], -v[4:5]
	v_fmac_f64_e32 v[208:209], v[182:183], v[202:203]
	v_add_f64 v[2:3], v[2:3], v[4:5]
	v_add_f64 v[0:1], v[0:1], v[208:209]
	v_add_f64 v[2:3], v[34:35], -v[2:3]
	v_add_f64 v[0:1], v[32:33], -v[0:1]
	buffer_store_dword v3, off, s[0:3], 0 offset:596
	buffer_store_dword v2, off, s[0:3], 0 offset:592
	;; [unrolled: 1-line block ×4, first 2 shown]
	s_and_saveexec_b64 s[4:5], vcc
	s_cbranch_execz .LBB61_327
; %bb.326:
	v_accvgpr_read_b32 v0, a150
	buffer_load_dword v2, v0, s[0:3], 0 offen
	buffer_load_dword v3, v0, s[0:3], 0 offen offset:4
	buffer_load_dword v4, v0, s[0:3], 0 offen offset:8
	;; [unrolled: 1-line block ×3, first 2 shown]
	v_accvgpr_read_b32 v0, a186
	buffer_store_dword v114, off, s[0:3], 0 offset:576
	buffer_store_dword v114, off, s[0:3], 0 offset:580
	;; [unrolled: 1-line block ×4, first 2 shown]
	s_waitcnt vmcnt(4)
	ds_write_b128 v0, v[2:5]
.LBB61_327:
	s_or_b64 exec, exec, s[4:5]
	s_waitcnt lgkmcnt(0)
	; wave barrier
	s_waitcnt lgkmcnt(0)
	buffer_load_dword v26, off, s[0:3], 0 offset:592
	buffer_load_dword v27, off, s[0:3], 0 offset:596
	;; [unrolled: 1-line block ×24, first 2 shown]
	ds_read_b128 v[22:25], v114 offset:1568
	ds_read_b128 v[18:21], v114 offset:1584
	;; [unrolled: 1-line block ×6, first 2 shown]
	buffer_load_dword v51, off, s[0:3], 0 offset:700
	buffer_load_dword v50, off, s[0:3], 0 offset:696
	;; [unrolled: 1-line block ×40, first 2 shown]
	v_cmp_lt_u32_e32 vcc, 34, v226
	s_waitcnt vmcnt(34) lgkmcnt(0)
	v_mul_f64 v[120:121], v[14:15], v[54:55]
	s_waitcnt vmcnt(32)
	v_fmac_f64_e32 v[120:121], v[16:17], v[56:57]
	v_mul_f64 v[0:1], v[22:23], v[28:29]
	v_fmac_f64_e32 v[0:1], v[24:25], v[26:27]
	v_mul_f64 v[90:91], v[18:19], v[30:31]
	v_add_f64 v[0:1], v[0:1], 0
	v_mul_f64 v[92:93], v[10:11], v[32:33]
	v_mul_f64 v[24:25], v[24:25], v[28:29]
	;; [unrolled: 1-line block ×3, first 2 shown]
	v_fma_f64 v[22:23], v[22:23], v[26:27], -v[24:25]
	v_add_f64 v[22:23], v[22:23], 0
	v_mul_f64 v[94:95], v[6:7], v[42:43]
	v_fmac_f64_e32 v[90:91], v[20:21], v[48:49]
	v_add_f64 v[0:1], v[0:1], v[90:91]
	v_fmac_f64_e32 v[92:93], v[12:13], v[46:47]
	v_add_f64 v[0:1], v[0:1], v[92:93]
	;; [unrolled: 2-line block ×3, first 2 shown]
	buffer_load_dword v91, off, s[0:3], 0 offset:860
	buffer_load_dword v90, off, s[0:3], 0 offset:856
	;; [unrolled: 1-line block ×40, first 2 shown]
	v_fmac_f64_e32 v[116:117], v[4:5], v[40:41]
	v_add_f64 v[0:1], v[0:1], v[116:117]
	ds_read_b128 v[116:119], v114 offset:1664
	buffer_load_dword v213, off, s[0:3], 0 offset:1004
	buffer_load_dword v212, off, s[0:3], 0 offset:1000
	buffer_load_dword v215, off, s[0:3], 0 offset:996
	buffer_load_dword v214, off, s[0:3], 0 offset:992
	v_add_f64 v[0:1], v[0:1], v[120:121]
	ds_read_b128 v[120:123], v114 offset:1680
	v_mul_f64 v[20:21], v[20:21], v[30:31]
	s_waitcnt lgkmcnt(1)
	v_mul_f64 v[124:125], v[116:117], v[50:51]
	v_fmac_f64_e32 v[124:125], v[118:119], v[52:53]
	v_add_f64 v[0:1], v[0:1], v[124:125]
	ds_read_b128 v[124:127], v114 offset:1696
	s_waitcnt vmcnt(62) lgkmcnt(1)
	v_mul_f64 v[128:129], v[120:121], v[62:63]
	v_fmac_f64_e32 v[128:129], v[122:123], v[64:65]
	v_add_f64 v[0:1], v[0:1], v[128:129]
	ds_read_b128 v[128:131], v114 offset:1712
	s_waitcnt lgkmcnt(1)
	v_mul_f64 v[132:133], v[124:125], v[58:59]
	v_fmac_f64_e32 v[132:133], v[126:127], v[60:61]
	v_add_f64 v[0:1], v[0:1], v[132:133]
	ds_read_b128 v[132:135], v114 offset:1728
	s_waitcnt lgkmcnt(1)
	v_mul_f64 v[136:137], v[128:129], v[70:71]
	s_waitcnt vmcnt(60)
	v_fmac_f64_e32 v[136:137], v[130:131], v[72:73]
	v_add_f64 v[0:1], v[0:1], v[136:137]
	ds_read_b128 v[136:139], v114 offset:1744
	s_waitcnt lgkmcnt(1)
	v_mul_f64 v[140:141], v[132:133], v[66:67]
	v_fmac_f64_e32 v[140:141], v[134:135], v[68:69]
	v_add_f64 v[0:1], v[0:1], v[140:141]
	ds_read_b128 v[140:143], v114 offset:1760
	s_waitcnt vmcnt(54) lgkmcnt(1)
	v_mul_f64 v[144:145], v[136:137], v[78:79]
	s_waitcnt vmcnt(52)
	v_fmac_f64_e32 v[144:145], v[138:139], v[80:81]
	v_add_f64 v[0:1], v[0:1], v[144:145]
	ds_read_b128 v[144:147], v114 offset:1776
	s_waitcnt lgkmcnt(1)
	v_mul_f64 v[148:149], v[140:141], v[74:75]
	v_fmac_f64_e32 v[148:149], v[142:143], v[76:77]
	v_fma_f64 v[18:19], v[18:19], v[48:49], -v[20:21]
	v_mul_f64 v[12:13], v[12:13], v[32:33]
	v_add_f64 v[0:1], v[0:1], v[148:149]
	ds_read_b128 v[148:151], v114 offset:1792
	v_add_f64 v[18:19], v[22:23], v[18:19]
	v_fma_f64 v[10:11], v[10:11], v[46:47], -v[12:13]
	v_mul_f64 v[8:9], v[8:9], v[42:43]
	v_add_f64 v[10:11], v[18:19], v[10:11]
	v_fma_f64 v[6:7], v[6:7], v[44:45], -v[8:9]
	v_mul_f64 v[4:5], v[4:5], v[38:39]
	;; [unrolled: 3-line block ×3, first 2 shown]
	s_waitcnt vmcnt(46) lgkmcnt(1)
	v_mul_f64 v[152:153], v[144:145], v[86:87]
	v_add_f64 v[2:3], v[6:7], v[2:3]
	v_fma_f64 v[4:5], v[14:15], v[56:57], -v[4:5]
	s_waitcnt vmcnt(44)
	v_fmac_f64_e32 v[152:153], v[146:147], v[88:89]
	v_add_f64 v[2:3], v[2:3], v[4:5]
	v_mul_f64 v[4:5], v[118:119], v[50:51]
	v_add_f64 v[0:1], v[0:1], v[152:153]
	ds_read_b128 v[152:155], v114 offset:1808
	s_waitcnt lgkmcnt(1)
	v_mul_f64 v[156:157], v[148:149], v[82:83]
	v_fma_f64 v[4:5], v[116:117], v[52:53], -v[4:5]
	v_fmac_f64_e32 v[156:157], v[150:151], v[84:85]
	v_add_f64 v[2:3], v[2:3], v[4:5]
	v_mul_f64 v[4:5], v[122:123], v[62:63]
	v_add_f64 v[0:1], v[0:1], v[156:157]
	ds_read_b128 v[156:159], v114 offset:1824
	v_fma_f64 v[4:5], v[120:121], v[64:65], -v[4:5]
	v_add_f64 v[2:3], v[2:3], v[4:5]
	v_mul_f64 v[4:5], v[126:127], v[58:59]
	v_fma_f64 v[4:5], v[124:125], v[60:61], -v[4:5]
	s_waitcnt vmcnt(38) lgkmcnt(1)
	v_mul_f64 v[160:161], v[152:153], v[94:95]
	v_add_f64 v[2:3], v[2:3], v[4:5]
	v_mul_f64 v[4:5], v[130:131], v[70:71]
	s_waitcnt vmcnt(36)
	v_fmac_f64_e32 v[160:161], v[154:155], v[96:97]
	v_fma_f64 v[4:5], v[128:129], v[72:73], -v[4:5]
	v_add_f64 v[0:1], v[0:1], v[160:161]
	ds_read_b128 v[160:163], v114 offset:1840
	s_waitcnt lgkmcnt(1)
	v_mul_f64 v[164:165], v[156:157], v[90:91]
	v_add_f64 v[2:3], v[2:3], v[4:5]
	v_mul_f64 v[4:5], v[134:135], v[66:67]
	v_fmac_f64_e32 v[164:165], v[158:159], v[92:93]
	v_fma_f64 v[4:5], v[132:133], v[68:69], -v[4:5]
	v_add_f64 v[0:1], v[0:1], v[164:165]
	ds_read_b128 v[164:167], v114 offset:1856
	v_add_f64 v[2:3], v[2:3], v[4:5]
	v_mul_f64 v[4:5], v[138:139], v[78:79]
	v_fma_f64 v[4:5], v[136:137], v[80:81], -v[4:5]
	v_add_f64 v[2:3], v[2:3], v[4:5]
	v_mul_f64 v[4:5], v[142:143], v[74:75]
	s_waitcnt vmcnt(30) lgkmcnt(1)
	v_mul_f64 v[168:169], v[160:161], v[102:103]
	v_fma_f64 v[4:5], v[140:141], v[76:77], -v[4:5]
	s_waitcnt vmcnt(28)
	v_fmac_f64_e32 v[168:169], v[162:163], v[104:105]
	v_add_f64 v[2:3], v[2:3], v[4:5]
	v_mul_f64 v[4:5], v[146:147], v[86:87]
	v_add_f64 v[0:1], v[0:1], v[168:169]
	ds_read_b128 v[168:171], v114 offset:1872
	s_waitcnt lgkmcnt(1)
	v_mul_f64 v[172:173], v[164:165], v[98:99]
	v_fma_f64 v[4:5], v[144:145], v[88:89], -v[4:5]
	v_fmac_f64_e32 v[172:173], v[166:167], v[100:101]
	v_add_f64 v[2:3], v[2:3], v[4:5]
	v_mul_f64 v[4:5], v[150:151], v[82:83]
	v_add_f64 v[0:1], v[0:1], v[172:173]
	ds_read_b128 v[172:175], v114 offset:1888
	v_fma_f64 v[4:5], v[148:149], v[84:85], -v[4:5]
	v_add_f64 v[2:3], v[2:3], v[4:5]
	v_mul_f64 v[4:5], v[154:155], v[94:95]
	v_fma_f64 v[4:5], v[152:153], v[96:97], -v[4:5]
	s_waitcnt vmcnt(22) lgkmcnt(1)
	v_mul_f64 v[176:177], v[168:169], v[110:111]
	v_add_f64 v[2:3], v[2:3], v[4:5]
	v_mul_f64 v[4:5], v[158:159], v[90:91]
	s_waitcnt vmcnt(20)
	v_fmac_f64_e32 v[176:177], v[170:171], v[112:113]
	v_fma_f64 v[4:5], v[156:157], v[92:93], -v[4:5]
	v_add_f64 v[0:1], v[0:1], v[176:177]
	ds_read_b128 v[176:179], v114 offset:1904
	s_waitcnt lgkmcnt(1)
	v_mul_f64 v[180:181], v[172:173], v[106:107]
	v_add_f64 v[2:3], v[2:3], v[4:5]
	v_mul_f64 v[4:5], v[162:163], v[102:103]
	v_fmac_f64_e32 v[180:181], v[174:175], v[108:109]
	v_fma_f64 v[4:5], v[160:161], v[104:105], -v[4:5]
	v_add_f64 v[0:1], v[0:1], v[180:181]
	ds_read_b128 v[180:183], v114 offset:1920
	v_add_f64 v[2:3], v[2:3], v[4:5]
	v_mul_f64 v[4:5], v[166:167], v[98:99]
	v_fma_f64 v[4:5], v[164:165], v[100:101], -v[4:5]
	v_add_f64 v[2:3], v[2:3], v[4:5]
	v_mul_f64 v[4:5], v[170:171], v[110:111]
	s_waitcnt vmcnt(14) lgkmcnt(1)
	v_mul_f64 v[184:185], v[176:177], v[200:201]
	v_fma_f64 v[4:5], v[168:169], v[112:113], -v[4:5]
	s_waitcnt vmcnt(12)
	v_fmac_f64_e32 v[184:185], v[178:179], v[202:203]
	v_add_f64 v[2:3], v[2:3], v[4:5]
	v_mul_f64 v[4:5], v[174:175], v[106:107]
	v_add_f64 v[0:1], v[0:1], v[184:185]
	ds_read_b128 v[184:187], v114 offset:1936
	s_waitcnt lgkmcnt(1)
	v_mul_f64 v[188:189], v[180:181], v[196:197]
	v_fma_f64 v[4:5], v[172:173], v[108:109], -v[4:5]
	v_fmac_f64_e32 v[188:189], v[182:183], v[198:199]
	v_add_f64 v[2:3], v[2:3], v[4:5]
	v_mul_f64 v[4:5], v[178:179], v[200:201]
	v_add_f64 v[0:1], v[0:1], v[188:189]
	ds_read_b128 v[188:191], v114 offset:1952
	v_fma_f64 v[4:5], v[176:177], v[202:203], -v[4:5]
	v_add_f64 v[2:3], v[2:3], v[4:5]
	v_mul_f64 v[4:5], v[182:183], v[196:197]
	ds_read_b128 v[192:195], v114 offset:1968
	v_fma_f64 v[4:5], v[180:181], v[198:199], -v[4:5]
	v_add_f64 v[2:3], v[2:3], v[4:5]
	s_waitcnt vmcnt(6) lgkmcnt(2)
	v_mul_f64 v[4:5], v[186:187], v[208:209]
	s_waitcnt vmcnt(4)
	v_fma_f64 v[4:5], v[184:185], v[210:211], -v[4:5]
	v_mul_f64 v[216:217], v[184:185], v[208:209]
	v_add_f64 v[2:3], v[2:3], v[4:5]
	s_waitcnt lgkmcnt(1)
	v_mul_f64 v[4:5], v[190:191], v[204:205]
	v_fmac_f64_e32 v[216:217], v[186:187], v[210:211]
	v_mul_f64 v[114:115], v[188:189], v[204:205]
	v_fma_f64 v[4:5], v[188:189], v[206:207], -v[4:5]
	v_add_f64 v[0:1], v[0:1], v[216:217]
	v_fmac_f64_e32 v[114:115], v[190:191], v[206:207]
	v_add_f64 v[2:3], v[2:3], v[4:5]
	s_waitcnt vmcnt(2) lgkmcnt(0)
	v_mul_f64 v[4:5], v[194:195], v[212:213]
	v_add_f64 v[0:1], v[0:1], v[114:115]
	v_mul_f64 v[114:115], v[192:193], v[212:213]
	s_waitcnt vmcnt(0)
	v_fma_f64 v[4:5], v[192:193], v[214:215], -v[4:5]
	v_fmac_f64_e32 v[114:115], v[194:195], v[214:215]
	v_add_f64 v[2:3], v[2:3], v[4:5]
	v_add_f64 v[0:1], v[0:1], v[114:115]
	v_add_f64 v[2:3], v[36:37], -v[2:3]
	v_add_f64 v[0:1], v[34:35], -v[0:1]
	buffer_store_dword v3, off, s[0:3], 0 offset:580
	buffer_store_dword v2, off, s[0:3], 0 offset:576
	;; [unrolled: 1-line block ×4, first 2 shown]
	s_and_saveexec_b64 s[4:5], vcc
	s_cbranch_execz .LBB61_329
; %bb.328:
	v_accvgpr_read_b32 v0, a151
	buffer_load_dword v2, v0, s[0:3], 0 offen
	buffer_load_dword v3, v0, s[0:3], 0 offen offset:4
	buffer_load_dword v4, v0, s[0:3], 0 offen offset:8
	;; [unrolled: 1-line block ×3, first 2 shown]
	v_mov_b32_e32 v0, 0
	v_accvgpr_read_b32 v1, a186
	buffer_store_dword v0, off, s[0:3], 0 offset:560
	buffer_store_dword v0, off, s[0:3], 0 offset:564
	;; [unrolled: 1-line block ×4, first 2 shown]
	s_waitcnt vmcnt(4)
	ds_write_b128 v1, v[2:5]
.LBB61_329:
	s_or_b64 exec, exec, s[4:5]
	s_waitcnt lgkmcnt(0)
	; wave barrier
	s_waitcnt lgkmcnt(0)
	buffer_load_dword v30, off, s[0:3], 0 offset:576
	buffer_load_dword v31, off, s[0:3], 0 offset:580
	;; [unrolled: 1-line block ×56, first 2 shown]
	v_mov_b32_e32 v134, 0
	ds_read_b128 v[26:29], v134 offset:1552
	ds_read_b128 v[22:25], v134 offset:1568
	;; [unrolled: 1-line block ×7, first 2 shown]
	v_accvgpr_write_b32 a185, v226
	v_cmp_lt_u32_e32 vcc, 33, v226
	s_waitcnt vmcnt(52) lgkmcnt(6)
	v_mul_f64 v[0:1], v[26:27], v[34:35]
	v_fmac_f64_e32 v[0:1], v[28:29], v[30:31]
	v_add_f64 v[0:1], v[0:1], 0
	v_mul_f64 v[28:29], v[28:29], v[34:35]
	s_waitcnt vmcnt(48) lgkmcnt(5)
	v_mul_f64 v[86:87], v[22:23], v[36:37]
	v_fmac_f64_e32 v[86:87], v[24:25], v[32:33]
	s_waitcnt vmcnt(46) lgkmcnt(4)
	v_mul_f64 v[88:89], v[18:19], v[38:39]
	v_add_f64 v[0:1], v[0:1], v[86:87]
	s_waitcnt vmcnt(44) lgkmcnt(2)
	v_mul_f64 v[92:93], v[10:11], v[40:41]
	v_fma_f64 v[26:27], v[26:27], v[30:31], -v[28:29]
	s_waitcnt vmcnt(42)
	v_fmac_f64_e32 v[92:93], v[12:13], v[42:43]
	v_mul_f64 v[24:25], v[24:25], v[36:37]
	s_waitcnt vmcnt(40)
	v_mul_f64 v[90:91], v[14:15], v[48:49]
	v_add_f64 v[26:27], v[26:27], 0
	v_fma_f64 v[22:23], v[22:23], v[32:33], -v[24:25]
	v_add_f64 v[22:23], v[26:27], v[22:23]
	s_waitcnt vmcnt(36) lgkmcnt(1)
	v_mul_f64 v[110:111], v[6:7], v[54:55]
	v_mul_f64 v[12:13], v[12:13], v[40:41]
	s_waitcnt vmcnt(34)
	v_fmac_f64_e32 v[88:89], v[20:21], v[60:61]
	v_add_f64 v[0:1], v[0:1], v[88:89]
	s_waitcnt vmcnt(32)
	v_fmac_f64_e32 v[90:91], v[16:17], v[58:59]
	v_add_f64 v[0:1], v[0:1], v[90:91]
	v_add_f64 v[116:117], v[0:1], v[92:93]
	buffer_load_dword v87, off, s[0:3], 0 offset:812
	buffer_load_dword v86, off, s[0:3], 0 offset:808
	;; [unrolled: 1-line block ×56, first 2 shown]
	ds_read_b128 v[124:127], v134 offset:1664
	ds_read_b128 v[128:131], v134 offset:1680
	v_mul_f64 v[20:21], v[20:21], v[38:39]
	v_fma_f64 v[18:19], v[18:19], v[60:61], -v[20:21]
	v_mul_f64 v[16:17], v[16:17], v[48:49]
	s_waitcnt vmcnt(62)
	v_fmac_f64_e32 v[110:111], v[8:9], v[56:57]
	v_add_f64 v[18:19], v[22:23], v[18:19]
	v_fma_f64 v[14:15], v[14:15], v[58:59], -v[16:17]
	v_add_f64 v[110:111], v[116:117], v[110:111]
	s_waitcnt lgkmcnt(2)
	v_mul_f64 v[116:117], v[2:3], v[50:51]
	v_add_f64 v[14:15], v[18:19], v[14:15]
	v_fma_f64 v[10:11], v[10:11], v[42:43], -v[12:13]
	v_mul_f64 v[8:9], v[8:9], v[54:55]
	v_fmac_f64_e32 v[116:117], v[4:5], v[52:53]
	ds_read_b128 v[136:139], v134 offset:1696
	ds_read_b128 v[140:143], v134 offset:1712
	v_add_f64 v[10:11], v[14:15], v[10:11]
	v_fma_f64 v[6:7], v[6:7], v[56:57], -v[8:9]
	v_mul_f64 v[4:5], v[4:5], v[50:51]
	v_add_f64 v[110:111], v[110:111], v[116:117]
	s_waitcnt lgkmcnt(3)
	v_mul_f64 v[116:117], v[124:125], v[66:67]
	v_add_f64 v[6:7], v[10:11], v[6:7]
	v_fma_f64 v[2:3], v[2:3], v[52:53], -v[4:5]
	v_mul_f64 v[4:5], v[126:127], v[66:67]
	v_fmac_f64_e32 v[116:117], v[126:127], v[68:69]
	v_add_f64 v[2:3], v[6:7], v[2:3]
	v_fma_f64 v[4:5], v[124:125], v[68:69], -v[4:5]
	v_add_f64 v[110:111], v[110:111], v[116:117]
	s_waitcnt lgkmcnt(2)
	v_mul_f64 v[116:117], v[128:129], v[62:63]
	v_add_f64 v[2:3], v[2:3], v[4:5]
	v_mul_f64 v[4:5], v[130:131], v[62:63]
	v_fmac_f64_e32 v[116:117], v[130:131], v[64:65]
	ds_read_b128 v[144:147], v134 offset:1728
	ds_read_b128 v[148:151], v134 offset:1744
	v_fma_f64 v[4:5], v[128:129], v[64:65], -v[4:5]
	v_add_f64 v[110:111], v[110:111], v[116:117]
	s_waitcnt lgkmcnt(3)
	v_mul_f64 v[116:117], v[136:137], v[74:75]
	v_add_f64 v[2:3], v[2:3], v[4:5]
	v_mul_f64 v[4:5], v[138:139], v[74:75]
	v_fmac_f64_e32 v[116:117], v[138:139], v[76:77]
	v_fma_f64 v[4:5], v[136:137], v[76:77], -v[4:5]
	v_add_f64 v[110:111], v[110:111], v[116:117]
	s_waitcnt lgkmcnt(2)
	v_mul_f64 v[116:117], v[140:141], v[70:71]
	v_add_f64 v[2:3], v[2:3], v[4:5]
	v_mul_f64 v[4:5], v[142:143], v[70:71]
	v_fmac_f64_e32 v[116:117], v[142:143], v[72:73]
	ds_read_b128 v[152:155], v134 offset:1760
	ds_read_b128 v[156:159], v134 offset:1776
	v_fma_f64 v[4:5], v[140:141], v[72:73], -v[4:5]
	v_add_f64 v[110:111], v[110:111], v[116:117]
	s_waitcnt vmcnt(58) lgkmcnt(3)
	v_mul_f64 v[116:117], v[144:145], v[82:83]
	v_add_f64 v[2:3], v[2:3], v[4:5]
	v_mul_f64 v[4:5], v[146:147], v[82:83]
	s_waitcnt vmcnt(56)
	v_fmac_f64_e32 v[116:117], v[146:147], v[84:85]
	v_fma_f64 v[4:5], v[144:145], v[84:85], -v[4:5]
	v_add_f64 v[110:111], v[110:111], v[116:117]
	s_waitcnt lgkmcnt(2)
	v_mul_f64 v[116:117], v[148:149], v[78:79]
	v_add_f64 v[2:3], v[2:3], v[4:5]
	v_mul_f64 v[4:5], v[150:151], v[78:79]
	v_fmac_f64_e32 v[116:117], v[150:151], v[80:81]
	ds_read_b128 v[160:163], v134 offset:1792
	ds_read_b128 v[164:167], v134 offset:1808
	v_fma_f64 v[4:5], v[148:149], v[80:81], -v[4:5]
	v_add_f64 v[110:111], v[110:111], v[116:117]
	s_waitcnt vmcnt(50) lgkmcnt(3)
	v_mul_f64 v[116:117], v[152:153], v[90:91]
	v_add_f64 v[2:3], v[2:3], v[4:5]
	v_mul_f64 v[4:5], v[154:155], v[90:91]
	s_waitcnt vmcnt(48)
	;; [unrolled: 17-line block ×7, first 2 shown]
	v_fma_f64 v[2:3], v[192:193], v[216:217], -v[2:3]
	v_fmac_f64_e32 v[116:117], v[194:195], v[216:217]
	v_add_f64 v[0:1], v[0:1], v[2:3]
	s_waitcnt lgkmcnt(2)
	v_mul_f64 v[2:3], v[198:199], v[210:211]
	v_add_f64 v[110:111], v[110:111], v[116:117]
	v_mul_f64 v[116:117], v[196:197], v[210:211]
	v_fma_f64 v[2:3], v[196:197], v[212:213], -v[2:3]
	v_fmac_f64_e32 v[116:117], v[198:199], v[212:213]
	v_add_f64 v[0:1], v[0:1], v[2:3]
	s_waitcnt vmcnt(2) lgkmcnt(1)
	v_mul_f64 v[2:3], v[202:203], v[222:223]
	v_add_f64 v[110:111], v[110:111], v[116:117]
	v_mul_f64 v[116:117], v[200:201], v[222:223]
	s_waitcnt vmcnt(0)
	v_fma_f64 v[2:3], v[200:201], v[224:225], -v[2:3]
	v_fmac_f64_e32 v[116:117], v[202:203], v[224:225]
	v_add_f64 v[0:1], v[0:1], v[2:3]
	s_waitcnt lgkmcnt(0)
	v_mul_f64 v[2:3], v[206:207], v[218:219]
	v_add_f64 v[110:111], v[110:111], v[116:117]
	v_mul_f64 v[116:117], v[204:205], v[218:219]
	v_fma_f64 v[2:3], v[204:205], v[220:221], -v[2:3]
	v_fmac_f64_e32 v[116:117], v[206:207], v[220:221]
	v_add_f64 v[0:1], v[0:1], v[2:3]
	v_add_f64 v[110:111], v[110:111], v[116:117]
	v_add_f64 v[0:1], v[46:47], -v[0:1]
	v_add_f64 v[2:3], v[44:45], -v[110:111]
	buffer_store_dword v1, off, s[0:3], 0 offset:564
	buffer_store_dword v0, off, s[0:3], 0 offset:560
	;; [unrolled: 1-line block ×4, first 2 shown]
	s_and_saveexec_b64 s[4:5], vcc
	s_cbranch_execz .LBB61_331
; %bb.330:
	v_accvgpr_read_b32 v0, a152
	buffer_load_dword v2, v0, s[0:3], 0 offen
	buffer_load_dword v3, v0, s[0:3], 0 offen offset:4
	buffer_load_dword v4, v0, s[0:3], 0 offen offset:8
	;; [unrolled: 1-line block ×3, first 2 shown]
	v_accvgpr_read_b32 v0, a186
	buffer_store_dword v134, off, s[0:3], 0 offset:544
	buffer_store_dword v134, off, s[0:3], 0 offset:548
	;; [unrolled: 1-line block ×4, first 2 shown]
	s_waitcnt vmcnt(4)
	ds_write_b128 v0, v[2:5]
.LBB61_331:
	s_or_b64 exec, exec, s[4:5]
	s_waitcnt lgkmcnt(0)
	; wave barrier
	s_waitcnt lgkmcnt(0)
	buffer_load_dword v34, off, s[0:3], 0 offset:560
	buffer_load_dword v35, off, s[0:3], 0 offset:564
	;; [unrolled: 1-line block ×32, first 2 shown]
	ds_read_b128 v[30:33], v134 offset:1536
	ds_read_b128 v[26:29], v134 offset:1552
	;; [unrolled: 1-line block ×8, first 2 shown]
	buffer_load_dword v67, off, s[0:3], 0 offset:700
	buffer_load_dword v66, off, s[0:3], 0 offset:696
	;; [unrolled: 1-line block ×24, first 2 shown]
	s_waitcnt vmcnt(52) lgkmcnt(7)
	v_mul_f64 v[0:1], v[30:31], v[38:39]
	v_fmac_f64_e32 v[0:1], v[32:33], v[34:35]
	v_add_f64 v[0:1], v[0:1], 0
	v_mul_f64 v[32:33], v[32:33], v[38:39]
	s_waitcnt vmcnt(48) lgkmcnt(6)
	v_mul_f64 v[90:91], v[26:27], v[40:41]
	v_fmac_f64_e32 v[90:91], v[28:29], v[36:37]
	s_waitcnt vmcnt(46) lgkmcnt(5)
	v_mul_f64 v[92:93], v[22:23], v[42:43]
	v_add_f64 v[0:1], v[0:1], v[90:91]
	s_waitcnt vmcnt(44) lgkmcnt(4)
	v_mul_f64 v[94:95], v[18:19], v[48:49]
	v_fma_f64 v[30:31], v[30:31], v[34:35], -v[32:33]
	s_waitcnt vmcnt(42) lgkmcnt(1)
	v_mul_f64 v[122:123], v[2:3], v[50:51]
	v_mul_f64 v[28:29], v[28:29], v[40:41]
	s_waitcnt vmcnt(18) lgkmcnt(0)
	v_mul_f64 v[138:139], v[14:15], v[70:71]
	v_mul_f64 v[98:99], v[6:7], v[54:55]
	s_waitcnt vmcnt(16)
	v_fmac_f64_e32 v[138:139], v[16:17], v[72:73]
	v_mul_f64 v[96:97], v[10:11], v[56:57]
	v_add_f64 v[30:31], v[30:31], 0
	v_fmac_f64_e32 v[96:97], v[12:13], v[58:59]
	v_fma_f64 v[26:27], v[26:27], v[36:37], -v[28:29]
	v_fmac_f64_e32 v[92:93], v[24:25], v[64:65]
	v_add_f64 v[0:1], v[0:1], v[92:93]
	v_fmac_f64_e32 v[94:95], v[20:21], v[62:63]
	v_add_f64 v[0:1], v[0:1], v[94:95]
	;; [unrolled: 2-line block ×3, first 2 shown]
	v_add_f64 v[124:125], v[0:1], v[98:99]
	buffer_load_dword v91, off, s[0:3], 0 offset:796
	buffer_load_dword v90, off, s[0:3], 0 offset:792
	;; [unrolled: 1-line block ×56, first 2 shown]
	v_fmac_f64_e32 v[122:123], v[4:5], v[52:53]
	v_add_f64 v[136:137], v[124:125], v[122:123]
	ds_read_b128 v[122:125], v134 offset:1664
	buffer_load_dword v227, off, s[0:3], 0 offset:1004
	buffer_load_dword v226, off, s[0:3], 0 offset:1000
	;; [unrolled: 1-line block ×4, first 2 shown]
	v_add_f64 v[140:141], v[136:137], v[138:139]
	ds_read_b128 v[136:139], v134 offset:1680
	v_mul_f64 v[24:25], v[24:25], v[42:43]
	s_waitcnt lgkmcnt(1)
	v_mul_f64 v[142:143], v[122:123], v[66:67]
	v_fmac_f64_e32 v[142:143], v[124:125], v[68:69]
	v_add_f64 v[144:145], v[140:141], v[142:143]
	ds_read_b128 v[140:143], v134 offset:1696
	s_waitcnt vmcnt(62) lgkmcnt(1)
	v_mul_f64 v[146:147], v[136:137], v[78:79]
	v_fmac_f64_e32 v[146:147], v[138:139], v[80:81]
	v_add_f64 v[148:149], v[144:145], v[146:147]
	ds_read_b128 v[144:147], v134 offset:1712
	s_waitcnt lgkmcnt(1)
	v_mul_f64 v[150:151], v[140:141], v[74:75]
	v_fmac_f64_e32 v[150:151], v[142:143], v[76:77]
	v_add_f64 v[152:153], v[148:149], v[150:151]
	ds_read_b128 v[148:151], v134 offset:1728
	s_waitcnt lgkmcnt(1)
	v_mul_f64 v[154:155], v[144:145], v[86:87]
	s_waitcnt vmcnt(60)
	v_fmac_f64_e32 v[154:155], v[146:147], v[88:89]
	v_add_f64 v[156:157], v[152:153], v[154:155]
	ds_read_b128 v[152:155], v134 offset:1744
	s_waitcnt lgkmcnt(1)
	v_mul_f64 v[158:159], v[148:149], v[82:83]
	v_fmac_f64_e32 v[158:159], v[150:151], v[84:85]
	v_add_f64 v[160:161], v[156:157], v[158:159]
	ds_read_b128 v[156:159], v134 offset:1760
	v_add_f64 v[26:27], v[30:31], v[26:27]
	v_fma_f64 v[22:23], v[22:23], v[64:65], -v[24:25]
	s_waitcnt vmcnt(54) lgkmcnt(1)
	v_mul_f64 v[162:163], v[152:153], v[94:95]
	v_mul_f64 v[20:21], v[20:21], v[48:49]
	s_waitcnt vmcnt(52)
	v_fmac_f64_e32 v[162:163], v[154:155], v[96:97]
	v_add_f64 v[164:165], v[160:161], v[162:163]
	ds_read_b128 v[160:163], v134 offset:1776
	s_waitcnt lgkmcnt(1)
	v_mul_f64 v[166:167], v[156:157], v[90:91]
	v_fmac_f64_e32 v[166:167], v[158:159], v[92:93]
	v_add_f64 v[168:169], v[164:165], v[166:167]
	ds_read_b128 v[164:167], v134 offset:1792
	v_add_f64 v[22:23], v[26:27], v[22:23]
	v_fma_f64 v[18:19], v[18:19], v[62:63], -v[20:21]
	v_mul_f64 v[12:13], v[12:13], v[56:57]
	v_add_f64 v[18:19], v[22:23], v[18:19]
	v_fma_f64 v[10:11], v[10:11], v[58:59], -v[12:13]
	v_mul_f64 v[8:9], v[8:9], v[54:55]
	;; [unrolled: 3-line block ×3, first 2 shown]
	s_waitcnt vmcnt(46) lgkmcnt(1)
	v_mul_f64 v[170:171], v[160:161], v[102:103]
	v_add_f64 v[6:7], v[10:11], v[6:7]
	v_fma_f64 v[2:3], v[2:3], v[52:53], -v[4:5]
	v_mul_f64 v[4:5], v[16:17], v[70:71]
	s_waitcnt vmcnt(44)
	v_fmac_f64_e32 v[170:171], v[162:163], v[104:105]
	v_add_f64 v[2:3], v[6:7], v[2:3]
	v_fma_f64 v[4:5], v[14:15], v[72:73], -v[4:5]
	v_add_f64 v[172:173], v[168:169], v[170:171]
	ds_read_b128 v[168:171], v134 offset:1808
	s_waitcnt lgkmcnt(1)
	v_mul_f64 v[174:175], v[164:165], v[98:99]
	v_add_f64 v[2:3], v[2:3], v[4:5]
	v_mul_f64 v[4:5], v[124:125], v[66:67]
	v_fmac_f64_e32 v[174:175], v[166:167], v[100:101]
	v_fma_f64 v[4:5], v[122:123], v[68:69], -v[4:5]
	v_add_f64 v[176:177], v[172:173], v[174:175]
	ds_read_b128 v[172:175], v134 offset:1824
	v_add_f64 v[2:3], v[2:3], v[4:5]
	v_mul_f64 v[4:5], v[138:139], v[78:79]
	v_fma_f64 v[4:5], v[136:137], v[80:81], -v[4:5]
	v_add_f64 v[2:3], v[2:3], v[4:5]
	v_mul_f64 v[4:5], v[142:143], v[74:75]
	s_waitcnt vmcnt(38) lgkmcnt(1)
	v_mul_f64 v[178:179], v[168:169], v[110:111]
	v_fma_f64 v[4:5], v[140:141], v[76:77], -v[4:5]
	s_waitcnt vmcnt(36)
	v_fmac_f64_e32 v[178:179], v[170:171], v[112:113]
	v_add_f64 v[2:3], v[2:3], v[4:5]
	v_mul_f64 v[4:5], v[146:147], v[86:87]
	v_add_f64 v[180:181], v[176:177], v[178:179]
	ds_read_b128 v[176:179], v134 offset:1840
	s_waitcnt lgkmcnt(1)
	v_mul_f64 v[182:183], v[172:173], v[106:107]
	v_fma_f64 v[4:5], v[144:145], v[88:89], -v[4:5]
	v_fmac_f64_e32 v[182:183], v[174:175], v[108:109]
	v_add_f64 v[2:3], v[2:3], v[4:5]
	v_mul_f64 v[4:5], v[150:151], v[82:83]
	v_add_f64 v[184:185], v[180:181], v[182:183]
	ds_read_b128 v[180:183], v134 offset:1856
	v_fma_f64 v[4:5], v[148:149], v[84:85], -v[4:5]
	v_add_f64 v[2:3], v[2:3], v[4:5]
	v_mul_f64 v[4:5], v[154:155], v[94:95]
	v_fma_f64 v[4:5], v[152:153], v[96:97], -v[4:5]
	s_waitcnt vmcnt(30) lgkmcnt(1)
	v_mul_f64 v[186:187], v[176:177], v[118:119]
	v_add_f64 v[2:3], v[2:3], v[4:5]
	v_mul_f64 v[4:5], v[158:159], v[90:91]
	s_waitcnt vmcnt(28)
	v_fmac_f64_e32 v[186:187], v[178:179], v[120:121]
	v_fma_f64 v[4:5], v[156:157], v[92:93], -v[4:5]
	v_add_f64 v[188:189], v[184:185], v[186:187]
	ds_read_b128 v[184:187], v134 offset:1872
	s_waitcnt lgkmcnt(1)
	v_mul_f64 v[190:191], v[180:181], v[114:115]
	v_add_f64 v[2:3], v[2:3], v[4:5]
	v_mul_f64 v[4:5], v[162:163], v[102:103]
	v_fmac_f64_e32 v[190:191], v[182:183], v[116:117]
	v_fma_f64 v[4:5], v[160:161], v[104:105], -v[4:5]
	v_add_f64 v[192:193], v[188:189], v[190:191]
	ds_read_b128 v[188:191], v134 offset:1888
	v_add_f64 v[2:3], v[2:3], v[4:5]
	v_mul_f64 v[4:5], v[166:167], v[98:99]
	v_fma_f64 v[4:5], v[164:165], v[100:101], -v[4:5]
	v_add_f64 v[2:3], v[2:3], v[4:5]
	v_mul_f64 v[4:5], v[170:171], v[110:111]
	s_waitcnt vmcnt(22) lgkmcnt(1)
	v_mul_f64 v[194:195], v[184:185], v[130:131]
	v_fma_f64 v[4:5], v[168:169], v[112:113], -v[4:5]
	s_waitcnt vmcnt(20)
	v_fmac_f64_e32 v[194:195], v[186:187], v[132:133]
	v_add_f64 v[2:3], v[2:3], v[4:5]
	v_mul_f64 v[4:5], v[174:175], v[106:107]
	v_add_f64 v[196:197], v[192:193], v[194:195]
	ds_read_b128 v[192:195], v134 offset:1904
	s_waitcnt lgkmcnt(1)
	v_mul_f64 v[198:199], v[188:189], v[126:127]
	v_fma_f64 v[4:5], v[172:173], v[108:109], -v[4:5]
	v_fmac_f64_e32 v[198:199], v[190:191], v[128:129]
	v_add_f64 v[2:3], v[2:3], v[4:5]
	v_mul_f64 v[4:5], v[178:179], v[118:119]
	v_add_f64 v[200:201], v[196:197], v[198:199]
	ds_read_b128 v[196:199], v134 offset:1920
	v_fma_f64 v[4:5], v[176:177], v[120:121], -v[4:5]
	v_add_f64 v[2:3], v[2:3], v[4:5]
	v_mul_f64 v[4:5], v[182:183], v[114:115]
	v_fma_f64 v[4:5], v[180:181], v[116:117], -v[4:5]
	s_waitcnt vmcnt(14) lgkmcnt(1)
	v_mul_f64 v[202:203], v[192:193], v[214:215]
	v_add_f64 v[2:3], v[2:3], v[4:5]
	v_mul_f64 v[4:5], v[186:187], v[130:131]
	s_waitcnt vmcnt(12)
	v_fmac_f64_e32 v[202:203], v[194:195], v[216:217]
	v_fma_f64 v[4:5], v[184:185], v[132:133], -v[4:5]
	v_add_f64 v[204:205], v[200:201], v[202:203]
	ds_read_b128 v[200:203], v134 offset:1936
	s_waitcnt lgkmcnt(1)
	v_mul_f64 v[206:207], v[196:197], v[0:1]
	v_add_f64 v[2:3], v[2:3], v[4:5]
	v_mul_f64 v[4:5], v[190:191], v[126:127]
	v_fmac_f64_e32 v[206:207], v[198:199], v[212:213]
	v_fma_f64 v[4:5], v[188:189], v[128:129], -v[4:5]
	v_add_f64 v[230:231], v[204:205], v[206:207]
	ds_read_b128 v[204:207], v134 offset:1952
	v_add_f64 v[2:3], v[2:3], v[4:5]
	v_mul_f64 v[4:5], v[194:195], v[214:215]
	v_fma_f64 v[4:5], v[192:193], v[216:217], -v[4:5]
	v_mul_f64 v[0:1], v[198:199], v[0:1]
	ds_read_b128 v[208:211], v134 offset:1968
	v_add_f64 v[2:3], v[2:3], v[4:5]
	v_fma_f64 v[0:1], v[196:197], v[212:213], -v[0:1]
	v_add_f64 v[0:1], v[2:3], v[0:1]
	s_waitcnt vmcnt(6) lgkmcnt(2)
	v_mul_f64 v[2:3], v[202:203], v[222:223]
	v_mul_f64 v[232:233], v[200:201], v[222:223]
	s_waitcnt vmcnt(4)
	v_fma_f64 v[2:3], v[200:201], v[224:225], -v[2:3]
	v_fmac_f64_e32 v[232:233], v[202:203], v[224:225]
	v_add_f64 v[0:1], v[0:1], v[2:3]
	s_waitcnt lgkmcnt(1)
	v_mul_f64 v[2:3], v[206:207], v[218:219]
	v_add_f64 v[134:135], v[230:231], v[232:233]
	v_mul_f64 v[230:231], v[204:205], v[218:219]
	v_fma_f64 v[2:3], v[204:205], v[220:221], -v[2:3]
	v_fmac_f64_e32 v[230:231], v[206:207], v[220:221]
	v_add_f64 v[0:1], v[0:1], v[2:3]
	s_waitcnt vmcnt(2) lgkmcnt(0)
	v_mul_f64 v[2:3], v[210:211], v[226:227]
	v_add_f64 v[134:135], v[134:135], v[230:231]
	v_mul_f64 v[230:231], v[208:209], v[226:227]
	s_waitcnt vmcnt(0)
	v_fma_f64 v[2:3], v[208:209], v[228:229], -v[2:3]
	v_fmac_f64_e32 v[230:231], v[210:211], v[228:229]
	v_add_f64 v[0:1], v[0:1], v[2:3]
	v_add_f64 v[134:135], v[134:135], v[230:231]
	v_add_f64 v[0:1], v[46:47], -v[0:1]
	v_add_f64 v[2:3], v[44:45], -v[134:135]
	buffer_store_dword v1, off, s[0:3], 0 offset:548
	buffer_store_dword v0, off, s[0:3], 0 offset:544
	;; [unrolled: 1-line block ×4, first 2 shown]
	v_accvgpr_read_b32 v0, a185
	v_cmp_lt_u32_e32 vcc, 32, v0
	s_and_saveexec_b64 s[4:5], vcc
	s_cbranch_execz .LBB61_333
; %bb.332:
	v_accvgpr_read_b32 v0, a153
	buffer_load_dword v2, v0, s[0:3], 0 offen
	buffer_load_dword v3, v0, s[0:3], 0 offen offset:4
	buffer_load_dword v4, v0, s[0:3], 0 offen offset:8
	;; [unrolled: 1-line block ×3, first 2 shown]
	v_mov_b32_e32 v0, 0
	v_accvgpr_read_b32 v1, a186
	buffer_store_dword v0, off, s[0:3], 0 offset:528
	buffer_store_dword v0, off, s[0:3], 0 offset:532
	;; [unrolled: 1-line block ×4, first 2 shown]
	s_waitcnt vmcnt(4)
	ds_write_b128 v1, v[2:5]
.LBB61_333:
	s_or_b64 exec, exec, s[4:5]
	s_waitcnt lgkmcnt(0)
	; wave barrier
	s_waitcnt lgkmcnt(0)
	buffer_load_dword v38, off, s[0:3], 0 offset:544
	buffer_load_dword v39, off, s[0:3], 0 offset:548
	;; [unrolled: 1-line block ×48, first 2 shown]
	v_mov_b32_e32 v150, 0
	ds_read_b128 v[34:37], v150 offset:1520
	ds_read_b128 v[30:33], v150 offset:1536
	;; [unrolled: 1-line block ×9, first 2 shown]
	s_waitcnt vmcnt(44) lgkmcnt(8)
	v_mul_f64 v[0:1], v[34:35], v[42:43]
	v_fmac_f64_e32 v[0:1], v[36:37], v[38:39]
	v_add_f64 v[0:1], v[0:1], 0
	v_mul_f64 v[36:37], v[36:37], v[42:43]
	s_waitcnt vmcnt(40) lgkmcnt(7)
	v_mul_f64 v[86:87], v[30:31], v[44:45]
	v_fmac_f64_e32 v[86:87], v[32:33], v[40:41]
	s_waitcnt vmcnt(38) lgkmcnt(6)
	v_mul_f64 v[88:89], v[26:27], v[46:47]
	v_add_f64 v[0:1], v[0:1], v[86:87]
	s_waitcnt vmcnt(36) lgkmcnt(4)
	v_mul_f64 v[92:93], v[18:19], v[48:49]
	v_fma_f64 v[34:35], v[34:35], v[38:39], -v[36:37]
	s_waitcnt vmcnt(34)
	v_fmac_f64_e32 v[92:93], v[20:21], v[50:51]
	v_mul_f64 v[32:33], v[32:33], v[44:45]
	s_waitcnt vmcnt(32)
	v_mul_f64 v[90:91], v[22:23], v[52:53]
	v_add_f64 v[34:35], v[34:35], 0
	s_waitcnt vmcnt(30) lgkmcnt(2)
	v_mul_f64 v[96:97], v[10:11], v[54:55]
	v_fma_f64 v[30:31], v[30:31], v[40:41], -v[32:33]
	s_waitcnt vmcnt(28)
	v_fmac_f64_e32 v[96:97], v[12:13], v[56:57]
	v_add_f64 v[30:31], v[34:35], v[30:31]
	s_waitcnt vmcnt(26)
	v_mul_f64 v[94:95], v[14:15], v[58:59]
	v_mul_f64 v[20:21], v[20:21], v[48:49]
	v_fma_f64 v[18:19], v[18:19], v[50:51], -v[20:21]
	v_mul_f64 v[12:13], v[12:13], v[54:55]
	s_waitcnt vmcnt(22) lgkmcnt(1)
	v_mul_f64 v[110:111], v[6:7], v[68:69]
	v_fma_f64 v[10:11], v[10:11], v[56:57], -v[12:13]
	s_waitcnt vmcnt(20)
	v_fmac_f64_e32 v[88:89], v[28:29], v[76:77]
	v_add_f64 v[0:1], v[0:1], v[88:89]
	s_waitcnt vmcnt(18)
	v_fmac_f64_e32 v[90:91], v[24:25], v[74:75]
	v_add_f64 v[0:1], v[0:1], v[90:91]
	s_waitcnt vmcnt(16)
	v_fmac_f64_e32 v[94:95], v[16:17], v[72:73]
	v_add_f64 v[0:1], v[0:1], v[92:93]
	v_add_f64 v[0:1], v[0:1], v[94:95]
	v_add_f64 v[112:113], v[0:1], v[96:97]
	buffer_load_dword v87, off, s[0:3], 0 offset:748
	buffer_load_dword v86, off, s[0:3], 0 offset:744
	;; [unrolled: 1-line block ×72, first 2 shown]
	s_waitcnt vmcnt(62)
	v_fmac_f64_e32 v[110:111], v[8:9], v[70:71]
	v_add_f64 v[142:143], v[112:113], v[110:111]
	ds_read_b128 v[110:113], v150 offset:1664
	s_waitcnt lgkmcnt(1)
	v_mul_f64 v[144:145], v[2:3], v[64:65]
	v_fmac_f64_e32 v[144:145], v[4:5], v[66:67]
	v_add_f64 v[146:147], v[142:143], v[144:145]
	ds_read_b128 v[142:145], v150 offset:1680
	s_waitcnt lgkmcnt(1)
	v_mul_f64 v[148:149], v[110:111], v[82:83]
	;; [unrolled: 5-line block ×5, first 2 shown]
	v_fmac_f64_e32 v[162:163], v[154:155], v[88:89]
	v_add_f64 v[164:165], v[160:161], v[162:163]
	ds_read_b128 v[160:163], v150 offset:1744
	s_waitcnt vmcnt(58) lgkmcnt(1)
	v_mul_f64 v[166:167], v[156:157], v[98:99]
	s_waitcnt vmcnt(56)
	v_fmac_f64_e32 v[166:167], v[158:159], v[100:101]
	v_add_f64 v[168:169], v[164:165], v[166:167]
	ds_read_b128 v[164:167], v150 offset:1760
	s_waitcnt lgkmcnt(1)
	v_mul_f64 v[170:171], v[160:161], v[94:95]
	v_fmac_f64_e32 v[170:171], v[162:163], v[96:97]
	v_add_f64 v[172:173], v[168:169], v[170:171]
	ds_read_b128 v[168:171], v150 offset:1776
	s_waitcnt vmcnt(50) lgkmcnt(1)
	v_mul_f64 v[174:175], v[164:165], v[106:107]
	v_mul_f64 v[28:29], v[28:29], v[46:47]
	s_waitcnt vmcnt(48)
	v_fmac_f64_e32 v[174:175], v[166:167], v[108:109]
	v_fma_f64 v[26:27], v[26:27], v[76:77], -v[28:29]
	v_mul_f64 v[24:25], v[24:25], v[52:53]
	v_add_f64 v[176:177], v[172:173], v[174:175]
	ds_read_b128 v[172:175], v150 offset:1792
	v_add_f64 v[26:27], v[30:31], v[26:27]
	v_fma_f64 v[22:23], v[22:23], v[74:75], -v[24:25]
	v_add_f64 v[22:23], v[26:27], v[22:23]
	v_mul_f64 v[16:17], v[16:17], v[58:59]
	v_add_f64 v[18:19], v[22:23], v[18:19]
	v_fma_f64 v[14:15], v[14:15], v[72:73], -v[16:17]
	s_waitcnt lgkmcnt(1)
	v_mul_f64 v[178:179], v[168:169], v[102:103]
	v_add_f64 v[14:15], v[18:19], v[14:15]
	v_mul_f64 v[8:9], v[8:9], v[68:69]
	v_fmac_f64_e32 v[178:179], v[170:171], v[104:105]
	v_add_f64 v[10:11], v[14:15], v[10:11]
	v_fma_f64 v[6:7], v[6:7], v[70:71], -v[8:9]
	v_mul_f64 v[4:5], v[4:5], v[64:65]
	v_add_f64 v[180:181], v[176:177], v[178:179]
	ds_read_b128 v[176:179], v150 offset:1808
	s_waitcnt vmcnt(42) lgkmcnt(1)
	v_mul_f64 v[182:183], v[172:173], v[118:119]
	v_add_f64 v[6:7], v[10:11], v[6:7]
	v_fma_f64 v[2:3], v[2:3], v[66:67], -v[4:5]
	v_mul_f64 v[4:5], v[112:113], v[82:83]
	s_waitcnt vmcnt(40)
	v_fmac_f64_e32 v[182:183], v[174:175], v[120:121]
	v_add_f64 v[2:3], v[6:7], v[2:3]
	v_fma_f64 v[4:5], v[110:111], v[84:85], -v[4:5]
	v_add_f64 v[184:185], v[180:181], v[182:183]
	ds_read_b128 v[180:183], v150 offset:1824
	v_add_f64 v[2:3], v[2:3], v[4:5]
	v_mul_f64 v[4:5], v[144:145], v[78:79]
	v_fma_f64 v[4:5], v[142:143], v[80:81], -v[4:5]
	v_add_f64 v[2:3], v[2:3], v[4:5]
	v_mul_f64 v[4:5], v[148:149], v[90:91]
	s_waitcnt lgkmcnt(1)
	v_mul_f64 v[186:187], v[176:177], v[114:115]
	v_fma_f64 v[4:5], v[146:147], v[92:93], -v[4:5]
	v_fmac_f64_e32 v[186:187], v[178:179], v[116:117]
	v_add_f64 v[2:3], v[2:3], v[4:5]
	v_mul_f64 v[4:5], v[154:155], v[86:87]
	v_add_f64 v[188:189], v[184:185], v[186:187]
	ds_read_b128 v[184:187], v150 offset:1840
	s_waitcnt vmcnt(34) lgkmcnt(1)
	v_mul_f64 v[190:191], v[180:181], v[126:127]
	v_fma_f64 v[4:5], v[152:153], v[88:89], -v[4:5]
	s_waitcnt vmcnt(32)
	v_fmac_f64_e32 v[190:191], v[182:183], v[128:129]
	v_add_f64 v[2:3], v[2:3], v[4:5]
	v_mul_f64 v[4:5], v[158:159], v[98:99]
	v_add_f64 v[192:193], v[188:189], v[190:191]
	ds_read_b128 v[188:191], v150 offset:1856
	v_fma_f64 v[4:5], v[156:157], v[100:101], -v[4:5]
	v_add_f64 v[2:3], v[2:3], v[4:5]
	v_mul_f64 v[4:5], v[162:163], v[94:95]
	v_fma_f64 v[4:5], v[160:161], v[96:97], -v[4:5]
	s_waitcnt lgkmcnt(1)
	v_mul_f64 v[194:195], v[184:185], v[122:123]
	v_add_f64 v[2:3], v[2:3], v[4:5]
	v_mul_f64 v[4:5], v[166:167], v[106:107]
	v_fmac_f64_e32 v[194:195], v[186:187], v[124:125]
	v_fma_f64 v[4:5], v[164:165], v[108:109], -v[4:5]
	v_add_f64 v[196:197], v[192:193], v[194:195]
	ds_read_b128 v[192:195], v150 offset:1872
	s_waitcnt vmcnt(26) lgkmcnt(1)
	v_mul_f64 v[198:199], v[188:189], v[134:135]
	v_add_f64 v[2:3], v[2:3], v[4:5]
	v_mul_f64 v[4:5], v[170:171], v[102:103]
	s_waitcnt vmcnt(24)
	v_fmac_f64_e32 v[198:199], v[190:191], v[136:137]
	v_fma_f64 v[4:5], v[168:169], v[104:105], -v[4:5]
	v_add_f64 v[200:201], v[196:197], v[198:199]
	ds_read_b128 v[196:199], v150 offset:1888
	v_add_f64 v[2:3], v[2:3], v[4:5]
	v_mul_f64 v[4:5], v[174:175], v[118:119]
	v_fma_f64 v[4:5], v[172:173], v[120:121], -v[4:5]
	v_add_f64 v[2:3], v[2:3], v[4:5]
	v_mul_f64 v[4:5], v[178:179], v[114:115]
	s_waitcnt lgkmcnt(1)
	v_mul_f64 v[202:203], v[192:193], v[130:131]
	v_fma_f64 v[4:5], v[176:177], v[116:117], -v[4:5]
	v_fmac_f64_e32 v[202:203], v[194:195], v[132:133]
	v_add_f64 v[2:3], v[2:3], v[4:5]
	v_mul_f64 v[4:5], v[182:183], v[126:127]
	v_add_f64 v[204:205], v[200:201], v[202:203]
	ds_read_b128 v[200:203], v150 offset:1904
	s_waitcnt vmcnt(18) lgkmcnt(1)
	v_mul_f64 v[206:207], v[196:197], v[0:1]
	v_fma_f64 v[4:5], v[180:181], v[128:129], -v[4:5]
	s_waitcnt vmcnt(16)
	v_fmac_f64_e32 v[206:207], v[198:199], v[220:221]
	v_add_f64 v[2:3], v[2:3], v[4:5]
	v_mul_f64 v[4:5], v[186:187], v[122:123]
	v_add_f64 v[208:209], v[204:205], v[206:207]
	ds_read_b128 v[204:207], v150 offset:1920
	v_fma_f64 v[4:5], v[184:185], v[124:125], -v[4:5]
	v_add_f64 v[2:3], v[2:3], v[4:5]
	v_mul_f64 v[4:5], v[190:191], v[134:135]
	v_fma_f64 v[4:5], v[188:189], v[136:137], -v[4:5]
	s_waitcnt lgkmcnt(1)
	v_mul_f64 v[210:211], v[200:201], v[138:139]
	v_add_f64 v[2:3], v[2:3], v[4:5]
	v_mul_f64 v[4:5], v[194:195], v[130:131]
	v_fmac_f64_e32 v[210:211], v[202:203], v[140:141]
	v_fma_f64 v[4:5], v[192:193], v[132:133], -v[4:5]
	v_mul_f64 v[0:1], v[198:199], v[0:1]
	v_add_f64 v[212:213], v[208:209], v[210:211]
	ds_read_b128 v[208:211], v150 offset:1936
	s_waitcnt vmcnt(10) lgkmcnt(1)
	v_mul_f64 v[214:215], v[204:205], v[226:227]
	v_add_f64 v[2:3], v[2:3], v[4:5]
	v_fma_f64 v[0:1], v[196:197], v[220:221], -v[0:1]
	s_waitcnt vmcnt(8)
	v_fmac_f64_e32 v[214:215], v[206:207], v[228:229]
	v_add_f64 v[0:1], v[2:3], v[0:1]
	v_mul_f64 v[2:3], v[202:203], v[138:139]
	v_add_f64 v[238:239], v[212:213], v[214:215]
	ds_read_b128 v[212:215], v150 offset:1952
	ds_read_b128 v[216:219], v150 offset:1968
	v_fma_f64 v[2:3], v[200:201], v[140:141], -v[2:3]
	v_add_f64 v[0:1], v[0:1], v[2:3]
	v_mul_f64 v[2:3], v[206:207], v[226:227]
	v_fma_f64 v[2:3], v[204:205], v[228:229], -v[2:3]
	v_add_f64 v[0:1], v[0:1], v[2:3]
	s_waitcnt lgkmcnt(2)
	v_mul_f64 v[2:3], v[210:211], v[222:223]
	v_mul_f64 v[240:241], v[208:209], v[222:223]
	v_fma_f64 v[2:3], v[208:209], v[224:225], -v[2:3]
	v_fmac_f64_e32 v[240:241], v[210:211], v[224:225]
	v_add_f64 v[0:1], v[0:1], v[2:3]
	s_waitcnt vmcnt(2) lgkmcnt(1)
	v_mul_f64 v[2:3], v[214:215], v[234:235]
	v_add_f64 v[238:239], v[238:239], v[240:241]
	v_mul_f64 v[240:241], v[212:213], v[234:235]
	s_waitcnt vmcnt(0)
	v_fma_f64 v[2:3], v[212:213], v[236:237], -v[2:3]
	v_fmac_f64_e32 v[240:241], v[214:215], v[236:237]
	v_add_f64 v[0:1], v[0:1], v[2:3]
	s_waitcnt lgkmcnt(0)
	v_mul_f64 v[2:3], v[218:219], v[230:231]
	v_add_f64 v[238:239], v[238:239], v[240:241]
	v_mul_f64 v[240:241], v[216:217], v[230:231]
	v_fma_f64 v[2:3], v[216:217], v[232:233], -v[2:3]
	v_fmac_f64_e32 v[240:241], v[218:219], v[232:233]
	v_add_f64 v[0:1], v[0:1], v[2:3]
	v_add_f64 v[238:239], v[238:239], v[240:241]
	v_add_f64 v[0:1], v[62:63], -v[0:1]
	v_add_f64 v[2:3], v[60:61], -v[238:239]
	buffer_store_dword v1, off, s[0:3], 0 offset:532
	buffer_store_dword v0, off, s[0:3], 0 offset:528
	buffer_store_dword v3, off, s[0:3], 0 offset:540
	buffer_store_dword v2, off, s[0:3], 0 offset:536
	v_accvgpr_read_b32 v0, a185
	v_cmp_lt_u32_e32 vcc, 31, v0
	s_and_saveexec_b64 s[4:5], vcc
	s_cbranch_execz .LBB61_335
; %bb.334:
	v_accvgpr_read_b32 v0, a154
	buffer_load_dword v2, v0, s[0:3], 0 offen
	buffer_load_dword v3, v0, s[0:3], 0 offen offset:4
	buffer_load_dword v4, v0, s[0:3], 0 offen offset:8
	;; [unrolled: 1-line block ×3, first 2 shown]
	v_accvgpr_read_b32 v0, a186
	buffer_store_dword v150, off, s[0:3], 0 offset:512
	buffer_store_dword v150, off, s[0:3], 0 offset:516
	;; [unrolled: 1-line block ×4, first 2 shown]
	s_waitcnt vmcnt(4)
	ds_write_b128 v0, v[2:5]
.LBB61_335:
	s_or_b64 exec, exec, s[4:5]
	s_waitcnt lgkmcnt(0)
	; wave barrier
	s_waitcnt lgkmcnt(0)
	buffer_load_dword v48, off, s[0:3], 0 offset:528
	buffer_load_dword v49, off, s[0:3], 0 offset:532
	;; [unrolled: 1-line block ×40, first 2 shown]
	ds_read_b128 v[38:41], v150 offset:1504
	ds_read_b128 v[34:37], v150 offset:1520
	;; [unrolled: 1-line block ×10, first 2 shown]
	buffer_load_dword v83, off, s[0:3], 0 offset:700
	buffer_load_dword v82, off, s[0:3], 0 offset:696
	;; [unrolled: 1-line block ×8, first 2 shown]
	s_waitcnt vmcnt(44) lgkmcnt(9)
	v_mul_f64 v[0:1], v[38:39], v[50:51]
	v_fmac_f64_e32 v[0:1], v[40:41], v[48:49]
	v_add_f64 v[0:1], v[0:1], 0
	v_mul_f64 v[40:41], v[40:41], v[50:51]
	s_waitcnt vmcnt(40) lgkmcnt(8)
	v_mul_f64 v[90:91], v[34:35], v[44:45]
	v_fmac_f64_e32 v[90:91], v[36:37], v[42:43]
	s_waitcnt vmcnt(38) lgkmcnt(7)
	v_mul_f64 v[92:93], v[30:31], v[46:47]
	v_add_f64 v[0:1], v[0:1], v[90:91]
	s_waitcnt vmcnt(36) lgkmcnt(5)
	v_mul_f64 v[96:97], v[22:23], v[52:53]
	v_mul_f64 v[36:37], v[36:37], v[44:45]
	s_waitcnt vmcnt(34)
	v_fmac_f64_e32 v[96:97], v[24:25], v[54:55]
	v_fma_f64 v[34:35], v[34:35], v[42:43], -v[36:37]
	s_waitcnt vmcnt(32)
	v_mul_f64 v[94:95], v[26:27], v[56:57]
	v_mul_f64 v[24:25], v[24:25], v[52:53]
	s_waitcnt vmcnt(30) lgkmcnt(4)
	v_mul_f64 v[98:99], v[18:19], v[62:63]
	v_fma_f64 v[22:23], v[22:23], v[54:55], -v[24:25]
	s_waitcnt vmcnt(28) lgkmcnt(1)
	v_mul_f64 v[122:123], v[2:3], v[64:65]
	s_waitcnt vmcnt(25)
	v_mul_f64 v[102:103], v[6:7], v[68:69]
	s_waitcnt vmcnt(23)
	;; [unrolled: 2-line block ×3, first 2 shown]
	v_fmac_f64_e32 v[100:101], v[12:13], v[72:73]
	v_mul_f64 v[12:13], v[12:13], v[70:71]
	s_waitcnt vmcnt(19)
	v_fmac_f64_e32 v[92:93], v[32:33], v[80:81]
	v_add_f64 v[0:1], v[0:1], v[92:93]
	s_waitcnt vmcnt(17)
	v_fmac_f64_e32 v[94:95], v[28:29], v[78:79]
	v_add_f64 v[0:1], v[0:1], v[94:95]
	s_waitcnt vmcnt(15)
	v_fmac_f64_e32 v[98:99], v[20:21], v[76:77]
	v_add_f64 v[0:1], v[0:1], v[96:97]
	v_add_f64 v[0:1], v[0:1], v[98:99]
	s_waitcnt vmcnt(13)
	v_fmac_f64_e32 v[102:103], v[8:9], v[74:75]
	v_add_f64 v[0:1], v[0:1], v[100:101]
	v_add_f64 v[124:125], v[0:1], v[102:103]
	buffer_load_dword v91, off, s[0:3], 0 offset:732
	buffer_load_dword v90, off, s[0:3], 0 offset:728
	;; [unrolled: 1-line block ×72, first 2 shown]
	s_waitcnt vmcnt(62)
	v_fmac_f64_e32 v[122:123], v[4:5], v[66:67]
	v_add_f64 v[152:153], v[124:125], v[122:123]
	ds_read_b128 v[122:125], v150 offset:1664
	buffer_load_dword v235, off, s[0:3], 0 offset:1004
	buffer_load_dword v234, off, s[0:3], 0 offset:1000
	;; [unrolled: 1-line block ×4, first 2 shown]
	s_waitcnt lgkmcnt(1)
	v_mul_f64 v[154:155], v[14:15], v[86:87]
	v_fmac_f64_e32 v[154:155], v[16:17], v[88:89]
	v_add_f64 v[156:157], v[152:153], v[154:155]
	ds_read_b128 v[152:155], v150 offset:1680
	s_waitcnt lgkmcnt(1)
	v_mul_f64 v[158:159], v[122:123], v[82:83]
	v_fmac_f64_e32 v[158:159], v[124:125], v[84:85]
	v_add_f64 v[160:161], v[156:157], v[158:159]
	ds_read_b128 v[156:159], v150 offset:1696
	v_mul_f64 v[32:33], v[32:33], v[46:47]
	s_waitcnt lgkmcnt(1)
	v_mul_f64 v[162:163], v[152:153], v[94:95]
	v_fma_f64 v[30:31], v[30:31], v[80:81], -v[32:33]
	v_fmac_f64_e32 v[162:163], v[154:155], v[96:97]
	v_add_f64 v[164:165], v[160:161], v[162:163]
	ds_read_b128 v[160:163], v150 offset:1712
	s_waitcnt lgkmcnt(1)
	v_mul_f64 v[166:167], v[156:157], v[90:91]
	v_fmac_f64_e32 v[166:167], v[158:159], v[92:93]
	v_add_f64 v[168:169], v[164:165], v[166:167]
	ds_read_b128 v[164:167], v150 offset:1728
	s_waitcnt vmcnt(62) lgkmcnt(1)
	v_mul_f64 v[170:171], v[160:161], v[102:103]
	s_waitcnt vmcnt(60)
	v_fmac_f64_e32 v[170:171], v[162:163], v[104:105]
	v_add_f64 v[172:173], v[168:169], v[170:171]
	ds_read_b128 v[168:171], v150 offset:1744
	s_waitcnt lgkmcnt(1)
	v_mul_f64 v[174:175], v[164:165], v[98:99]
	v_fmac_f64_e32 v[174:175], v[166:167], v[100:101]
	v_add_f64 v[176:177], v[172:173], v[174:175]
	ds_read_b128 v[172:175], v150 offset:1760
	s_waitcnt vmcnt(54) lgkmcnt(1)
	v_mul_f64 v[178:179], v[168:169], v[110:111]
	s_waitcnt vmcnt(52)
	;; [unrolled: 11-line block ×7, first 2 shown]
	v_fmac_f64_e32 v[218:219], v[210:211], v[224:225]
	v_add_f64 v[238:239], v[216:217], v[218:219]
	ds_read_b128 v[216:219], v150 offset:1936
	s_waitcnt lgkmcnt(1)
	v_mul_f64 v[240:241], v[212:213], v[0:1]
	v_fmac_f64_e32 v[240:241], v[214:215], v[220:221]
	v_add_f64 v[238:239], v[238:239], v[240:241]
	v_fma_f64 v[240:241], v[38:39], v[48:49], -v[40:41]
	ds_read_b128 v[38:41], v150 offset:1952
	ds_read_b128 v[48:51], v150 offset:1968
	s_waitcnt vmcnt(6) lgkmcnt(2)
	v_mul_f64 v[242:243], v[216:217], v[230:231]
	s_waitcnt vmcnt(4)
	v_fmac_f64_e32 v[242:243], v[218:219], v[232:233]
	v_add_f64 v[150:151], v[238:239], v[242:243]
	s_waitcnt lgkmcnt(1)
	v_mul_f64 v[238:239], v[38:39], v[226:227]
	v_fmac_f64_e32 v[238:239], v[40:41], v[228:229]
	v_add_f64 v[150:151], v[150:151], v[238:239]
	s_waitcnt vmcnt(2) lgkmcnt(0)
	v_mul_f64 v[238:239], v[48:49], v[234:235]
	s_waitcnt vmcnt(0)
	v_fmac_f64_e32 v[238:239], v[50:51], v[236:237]
	v_add_f64 v[150:151], v[150:151], v[238:239]
	v_add_f64 v[238:239], v[240:241], 0
	;; [unrolled: 1-line block ×3, first 2 shown]
	v_mul_f64 v[28:29], v[28:29], v[56:57]
	v_add_f64 v[30:31], v[34:35], v[30:31]
	v_fma_f64 v[26:27], v[26:27], v[78:79], -v[28:29]
	v_add_f64 v[26:27], v[30:31], v[26:27]
	v_mul_f64 v[20:21], v[20:21], v[62:63]
	v_add_f64 v[22:23], v[26:27], v[22:23]
	v_fma_f64 v[18:19], v[18:19], v[76:77], -v[20:21]
	v_add_f64 v[18:19], v[22:23], v[18:19]
	v_fma_f64 v[10:11], v[10:11], v[72:73], -v[12:13]
	v_mul_f64 v[8:9], v[8:9], v[68:69]
	v_add_f64 v[10:11], v[18:19], v[10:11]
	v_fma_f64 v[6:7], v[6:7], v[74:75], -v[8:9]
	v_mul_f64 v[4:5], v[4:5], v[64:65]
	;; [unrolled: 3-line block ×3, first 2 shown]
	v_add_f64 v[2:3], v[6:7], v[2:3]
	v_fma_f64 v[4:5], v[14:15], v[88:89], -v[4:5]
	v_add_f64 v[2:3], v[2:3], v[4:5]
	v_mul_f64 v[4:5], v[124:125], v[82:83]
	v_fma_f64 v[4:5], v[122:123], v[84:85], -v[4:5]
	v_add_f64 v[2:3], v[2:3], v[4:5]
	v_mul_f64 v[4:5], v[154:155], v[94:95]
	v_fma_f64 v[4:5], v[152:153], v[96:97], -v[4:5]
	v_add_f64 v[2:3], v[2:3], v[4:5]
	v_mul_f64 v[4:5], v[158:159], v[90:91]
	v_fma_f64 v[4:5], v[156:157], v[92:93], -v[4:5]
	v_add_f64 v[2:3], v[2:3], v[4:5]
	v_mul_f64 v[4:5], v[162:163], v[102:103]
	v_fma_f64 v[4:5], v[160:161], v[104:105], -v[4:5]
	v_add_f64 v[2:3], v[2:3], v[4:5]
	v_mul_f64 v[4:5], v[166:167], v[98:99]
	v_fma_f64 v[4:5], v[164:165], v[100:101], -v[4:5]
	v_add_f64 v[2:3], v[2:3], v[4:5]
	v_mul_f64 v[4:5], v[170:171], v[110:111]
	v_fma_f64 v[4:5], v[168:169], v[112:113], -v[4:5]
	v_add_f64 v[2:3], v[2:3], v[4:5]
	v_mul_f64 v[4:5], v[174:175], v[106:107]
	v_fma_f64 v[4:5], v[172:173], v[108:109], -v[4:5]
	v_add_f64 v[2:3], v[2:3], v[4:5]
	v_mul_f64 v[4:5], v[178:179], v[118:119]
	v_fma_f64 v[4:5], v[176:177], v[120:121], -v[4:5]
	v_add_f64 v[2:3], v[2:3], v[4:5]
	v_mul_f64 v[4:5], v[182:183], v[114:115]
	v_fma_f64 v[4:5], v[180:181], v[116:117], -v[4:5]
	v_add_f64 v[2:3], v[2:3], v[4:5]
	v_mul_f64 v[4:5], v[186:187], v[130:131]
	v_fma_f64 v[4:5], v[184:185], v[132:133], -v[4:5]
	v_add_f64 v[2:3], v[2:3], v[4:5]
	v_mul_f64 v[4:5], v[190:191], v[126:127]
	v_fma_f64 v[4:5], v[188:189], v[128:129], -v[4:5]
	v_add_f64 v[2:3], v[2:3], v[4:5]
	v_mul_f64 v[4:5], v[194:195], v[138:139]
	v_fma_f64 v[4:5], v[192:193], v[140:141], -v[4:5]
	v_add_f64 v[2:3], v[2:3], v[4:5]
	v_mul_f64 v[4:5], v[198:199], v[134:135]
	v_fma_f64 v[4:5], v[196:197], v[136:137], -v[4:5]
	v_add_f64 v[2:3], v[2:3], v[4:5]
	v_mul_f64 v[4:5], v[202:203], v[146:147]
	v_fma_f64 v[4:5], v[200:201], v[148:149], -v[4:5]
	v_add_f64 v[2:3], v[2:3], v[4:5]
	v_mul_f64 v[4:5], v[206:207], v[142:143]
	v_fma_f64 v[4:5], v[204:205], v[144:145], -v[4:5]
	v_add_f64 v[2:3], v[2:3], v[4:5]
	v_mul_f64 v[4:5], v[210:211], v[222:223]
	v_fma_f64 v[4:5], v[208:209], v[224:225], -v[4:5]
	v_mul_f64 v[0:1], v[214:215], v[0:1]
	v_add_f64 v[2:3], v[2:3], v[4:5]
	v_fma_f64 v[0:1], v[212:213], v[220:221], -v[0:1]
	v_add_f64 v[0:1], v[2:3], v[0:1]
	v_mul_f64 v[2:3], v[218:219], v[230:231]
	v_fma_f64 v[2:3], v[216:217], v[232:233], -v[2:3]
	v_add_f64 v[0:1], v[0:1], v[2:3]
	v_mul_f64 v[2:3], v[40:41], v[226:227]
	;; [unrolled: 3-line block ×3, first 2 shown]
	v_fma_f64 v[2:3], v[48:49], v[236:237], -v[2:3]
	v_add_f64 v[0:1], v[0:1], v[2:3]
	v_accvgpr_read_b32 v233, a185
	v_add_f64 v[0:1], v[60:61], -v[0:1]
	v_cmp_lt_u32_e32 vcc, 30, v233
	v_add_f64 v[2:3], v[58:59], -v[150:151]
	buffer_store_dword v1, off, s[0:3], 0 offset:516
	buffer_store_dword v0, off, s[0:3], 0 offset:512
	;; [unrolled: 1-line block ×4, first 2 shown]
	s_and_saveexec_b64 s[4:5], vcc
	s_cbranch_execz .LBB61_337
; %bb.336:
	v_accvgpr_read_b32 v0, a155
	buffer_load_dword v2, v0, s[0:3], 0 offen
	buffer_load_dword v3, v0, s[0:3], 0 offen offset:4
	buffer_load_dword v4, v0, s[0:3], 0 offen offset:8
	;; [unrolled: 1-line block ×3, first 2 shown]
	v_mov_b32_e32 v0, 0
	v_accvgpr_read_b32 v1, a186
	buffer_store_dword v0, off, s[0:3], 0 offset:496
	buffer_store_dword v0, off, s[0:3], 0 offset:500
	;; [unrolled: 1-line block ×4, first 2 shown]
	s_waitcnt vmcnt(4)
	ds_write_b128 v1, v[2:5]
.LBB61_337:
	s_or_b64 exec, exec, s[4:5]
	s_waitcnt lgkmcnt(0)
	; wave barrier
	s_waitcnt lgkmcnt(0)
	buffer_load_dword v106, off, s[0:3], 0 offset:512
	buffer_load_dword v107, off, s[0:3], 0 offset:516
	;; [unrolled: 1-line block ×49, first 2 shown]
	v_mov_b32_e32 v232, 0
	ds_read_b128 v[110:113], v232 offset:1488
	ds_read_b128 v[234:237], v232 offset:1504
	;; [unrolled: 1-line block ×10, first 2 shown]
	buffer_load_dword v158, off, s[0:3], 0 offset:704
	buffer_load_dword v173, off, s[0:3], 0 offset:700
	;; [unrolled: 1-line block ×69, first 2 shown]
	v_cmp_lt_u32_e32 vcc, 29, v233
	s_waitcnt vmcnt(62) lgkmcnt(9)
	v_mul_f64 v[0:1], v[110:111], v[108:109]
	v_fmac_f64_e32 v[0:1], v[112:113], v[106:107]
	v_add_f64 v[0:1], v[0:1], 0
	v_mul_f64 v[108:109], v[112:113], v[108:109]
	s_waitcnt lgkmcnt(8)
	v_mul_f64 v[34:35], v[234:235], v[116:117]
	v_fmac_f64_e32 v[34:35], v[236:237], v[114:115]
	s_waitcnt lgkmcnt(7)
	v_mul_f64 v[36:37], v[30:31], v[118:119]
	v_add_f64 v[0:1], v[0:1], v[34:35]
	s_waitcnt lgkmcnt(5)
	v_mul_f64 v[40:41], v[22:23], v[120:121]
	v_mul_f64 v[116:117], v[236:237], v[116:117]
	v_fmac_f64_e32 v[40:41], v[24:25], v[122:123]
	v_fma_f64 v[248:249], v[110:111], v[106:107], -v[108:109]
	v_mul_f64 v[38:39], v[26:27], v[124:125]
	v_fma_f64 v[250:251], v[234:235], v[114:115], -v[116:117]
	s_waitcnt lgkmcnt(3)
	v_mul_f64 v[44:45], v[14:15], v[126:127]
	v_mul_f64 v[24:25], v[24:25], v[120:121]
	v_fmac_f64_e32 v[44:45], v[16:17], v[128:129]
	v_fma_f64 v[22:23], v[22:23], v[122:123], -v[24:25]
	v_mul_f64 v[42:43], v[18:19], v[130:131]
	v_mul_f64 v[16:17], v[16:17], v[126:127]
	s_waitcnt lgkmcnt(1)
	v_mul_f64 v[48:49], v[6:7], v[132:133]
	v_fma_f64 v[14:15], v[14:15], v[128:129], -v[16:17]
	v_fmac_f64_e32 v[48:49], v[8:9], v[134:135]
	v_mul_f64 v[8:9], v[8:9], v[132:133]
	v_mul_f64 v[46:47], v[10:11], v[140:141]
	v_fma_f64 v[6:7], v[6:7], v[134:135], -v[8:9]
	s_waitcnt lgkmcnt(0)
	v_mul_f64 v[50:51], v[2:3], v[136:137]
	v_fmac_f64_e32 v[36:37], v[32:33], v[152:153]
	v_add_f64 v[0:1], v[0:1], v[36:37]
	v_fmac_f64_e32 v[38:39], v[28:29], v[150:151]
	v_add_f64 v[0:1], v[0:1], v[38:39]
	v_add_f64 v[0:1], v[0:1], v[40:41]
	ds_read_b128 v[38:41], v232 offset:1648
	ds_read_b128 v[34:37], v232 offset:1664
	buffer_load_dword v221, off, s[0:3], 0 offset:1004
	buffer_load_dword v220, off, s[0:3], 0 offset:1000
	buffer_load_dword v225, off, s[0:3], 0 offset:996
	buffer_load_dword v224, off, s[0:3], 0 offset:992
	buffer_load_dword v243, off, s[0:3], 0 offset:988
	buffer_load_dword v242, off, s[0:3], 0 offset:984
	buffer_load_dword v245, off, s[0:3], 0 offset:980
	buffer_load_dword v244, off, s[0:3], 0 offset:976
	v_fmac_f64_e32 v[42:43], v[20:21], v[148:149]
	v_add_f64 v[0:1], v[0:1], v[42:43]
	v_fmac_f64_e32 v[46:47], v[12:13], v[146:147]
	v_add_f64 v[0:1], v[0:1], v[44:45]
	v_add_f64 v[0:1], v[0:1], v[46:47]
	v_fmac_f64_e32 v[50:51], v[4:5], v[144:145]
	v_add_f64 v[0:1], v[0:1], v[48:49]
	s_waitcnt lgkmcnt(1)
	v_mul_f64 v[42:43], v[38:39], v[142:143]
	v_add_f64 v[0:1], v[0:1], v[50:51]
	v_fmac_f64_e32 v[42:43], v[40:41], v[154:155]
	v_add_f64 v[0:1], v[0:1], v[42:43]
	ds_read_b128 v[42:45], v232 offset:1680
	s_waitcnt lgkmcnt(1)
	v_mul_f64 v[46:47], v[34:35], v[172:173]
	v_fmac_f64_e32 v[46:47], v[36:37], v[176:177]
	v_add_f64 v[0:1], v[0:1], v[46:47]
	ds_read_b128 v[46:49], v232 offset:1696
	s_waitcnt lgkmcnt(1)
	v_mul_f64 v[50:51], v[42:43], v[156:157]
	v_fmac_f64_e32 v[50:51], v[44:45], v[158:159]
	v_add_f64 v[0:1], v[0:1], v[50:51]
	ds_read_b128 v[50:53], v232 offset:1712
	s_waitcnt vmcnt(62) lgkmcnt(1)
	v_mul_f64 v[54:55], v[46:47], v[180:181]
	v_fmac_f64_e32 v[54:55], v[48:49], v[184:185]
	v_add_f64 v[0:1], v[0:1], v[54:55]
	ds_read_b128 v[54:57], v232 offset:1728
	s_waitcnt lgkmcnt(1)
	v_mul_f64 v[58:59], v[50:51], v[160:161]
	v_fmac_f64_e32 v[58:59], v[52:53], v[162:163]
	v_add_f64 v[0:1], v[0:1], v[58:59]
	ds_read_b128 v[58:61], v232 offset:1744
	s_waitcnt vmcnt(58) lgkmcnt(1)
	v_mul_f64 v[62:63], v[54:55], v[188:189]
	s_waitcnt vmcnt(56)
	v_fmac_f64_e32 v[62:63], v[56:57], v[192:193]
	v_add_f64 v[0:1], v[0:1], v[62:63]
	ds_read_b128 v[62:65], v232 offset:1760
	s_waitcnt lgkmcnt(1)
	v_mul_f64 v[66:67], v[58:59], v[164:165]
	v_fmac_f64_e32 v[66:67], v[60:61], v[166:167]
	v_add_f64 v[0:1], v[0:1], v[66:67]
	ds_read_b128 v[66:69], v232 offset:1776
	s_waitcnt vmcnt(50) lgkmcnt(1)
	v_mul_f64 v[70:71], v[62:63], v[196:197]
	s_waitcnt vmcnt(48)
	;; [unrolled: 11-line block ×5, first 2 shown]
	v_fmac_f64_e32 v[94:95], v[88:89], v[218:219]
	v_add_f64 v[0:1], v[0:1], v[94:95]
	ds_read_b128 v[94:97], v232 offset:1888
	s_waitcnt lgkmcnt(1)
	v_mul_f64 v[98:99], v[90:91], v[190:191]
	v_fmac_f64_e32 v[98:99], v[92:93], v[194:195]
	v_add_f64 v[0:1], v[0:1], v[98:99]
	ds_read_b128 v[98:101], v232 offset:1904
	ds_read_b128 v[102:105], v232 offset:1920
	;; [unrolled: 1-line block ×5, first 2 shown]
	buffer_load_dword v252, off, s[0:3], 0 offset:504
	buffer_load_dword v253, off, s[0:3], 0 offset:508
	s_waitcnt vmcnt(20) lgkmcnt(5)
	v_mul_f64 v[238:239], v[94:95], v[222:223]
	s_waitcnt vmcnt(18)
	v_fmac_f64_e32 v[238:239], v[96:97], v[226:227]
	v_add_f64 v[0:1], v[0:1], v[238:239]
	s_waitcnt lgkmcnt(4)
	v_mul_f64 v[238:239], v[98:99], v[198:199]
	v_fmac_f64_e32 v[238:239], v[100:101], v[202:203]
	v_add_f64 v[0:1], v[0:1], v[238:239]
	s_waitcnt vmcnt(12) lgkmcnt(3)
	v_mul_f64 v[238:239], v[102:103], v[228:229]
	s_waitcnt vmcnt(10)
	v_fmac_f64_e32 v[238:239], v[104:105], v[230:231]
	s_waitcnt lgkmcnt(2)
	v_mul_f64 v[234:235], v[110:111], v[206:207]
	v_add_f64 v[0:1], v[0:1], v[238:239]
	v_fmac_f64_e32 v[234:235], v[112:113], v[210:211]
	v_add_f64 v[0:1], v[0:1], v[234:235]
	s_waitcnt vmcnt(4) lgkmcnt(1)
	v_mul_f64 v[234:235], v[106:107], v[242:243]
	s_waitcnt vmcnt(2)
	v_fmac_f64_e32 v[234:235], v[108:109], v[244:245]
	v_add_f64 v[0:1], v[0:1], v[234:235]
	s_waitcnt lgkmcnt(0)
	v_mul_f64 v[234:235], v[114:115], v[220:221]
	v_fmac_f64_e32 v[234:235], v[116:117], v[224:225]
	v_add_f64 v[246:247], v[0:1], v[234:235]
	v_add_f64 v[0:1], v[248:249], 0
	v_mul_f64 v[32:33], v[32:33], v[118:119]
	v_add_f64 v[0:1], v[0:1], v[250:251]
	v_fma_f64 v[30:31], v[30:31], v[152:153], -v[32:33]
	v_mul_f64 v[28:29], v[28:29], v[124:125]
	v_add_f64 v[0:1], v[0:1], v[30:31]
	v_fma_f64 v[26:27], v[26:27], v[150:151], -v[28:29]
	v_add_f64 v[0:1], v[0:1], v[26:27]
	v_mul_f64 v[20:21], v[20:21], v[130:131]
	v_add_f64 v[0:1], v[0:1], v[22:23]
	v_fma_f64 v[18:19], v[18:19], v[148:149], -v[20:21]
	v_add_f64 v[0:1], v[0:1], v[18:19]
	;; [unrolled: 4-line block ×4, first 2 shown]
	v_mul_f64 v[2:3], v[40:41], v[142:143]
	v_fma_f64 v[2:3], v[38:39], v[154:155], -v[2:3]
	v_add_f64 v[0:1], v[0:1], v[2:3]
	v_mul_f64 v[2:3], v[36:37], v[172:173]
	v_fma_f64 v[2:3], v[34:35], v[176:177], -v[2:3]
	v_add_f64 v[0:1], v[0:1], v[2:3]
	;; [unrolled: 3-line block ×21, first 2 shown]
	v_add_f64 v[0:1], v[138:139], -v[0:1]
	s_waitcnt vmcnt(0)
	v_add_f64 v[2:3], v[252:253], -v[246:247]
	buffer_store_dword v1, off, s[0:3], 0 offset:500
	buffer_store_dword v0, off, s[0:3], 0 offset:496
	;; [unrolled: 1-line block ×4, first 2 shown]
	s_and_saveexec_b64 s[4:5], vcc
	s_cbranch_execz .LBB61_339
; %bb.338:
	v_accvgpr_read_b32 v0, a156
	buffer_load_dword v2, v0, s[0:3], 0 offen
	buffer_load_dword v3, v0, s[0:3], 0 offen offset:4
	buffer_load_dword v4, v0, s[0:3], 0 offen offset:8
	;; [unrolled: 1-line block ×3, first 2 shown]
	v_accvgpr_read_b32 v0, a186
	buffer_store_dword v232, off, s[0:3], 0 offset:480
	buffer_store_dword v232, off, s[0:3], 0 offset:484
	;; [unrolled: 1-line block ×4, first 2 shown]
	s_waitcnt vmcnt(4)
	ds_write_b128 v0, v[2:5]
.LBB61_339:
	s_or_b64 exec, exec, s[4:5]
	s_waitcnt lgkmcnt(0)
	; wave barrier
	s_waitcnt lgkmcnt(0)
	buffer_load_dword v112, off, s[0:3], 0 offset:496
	buffer_load_dword v113, off, s[0:3], 0 offset:500
	;; [unrolled: 1-line block ×36, first 2 shown]
	ds_read_b128 v[102:105], v232 offset:1472
	ds_read_b128 v[106:109], v232 offset:1488
	;; [unrolled: 1-line block ×9, first 2 shown]
	buffer_load_dword v143, off, s[0:3], 0 offset:668
	buffer_load_dword v142, off, s[0:3], 0 offset:664
	;; [unrolled: 1-line block ×78, first 2 shown]
	s_waitcnt vmcnt(62) lgkmcnt(8)
	v_mul_f64 v[0:1], v[102:103], v[246:247]
	v_fmac_f64_e32 v[0:1], v[104:105], v[112:113]
	v_add_f64 v[0:1], v[0:1], 0
	v_mul_f64 v[104:105], v[104:105], v[246:247]
	s_waitcnt lgkmcnt(7)
	v_mul_f64 v[26:27], v[106:107], v[248:249]
	v_fmac_f64_e32 v[26:27], v[108:109], v[110:111]
	s_waitcnt lgkmcnt(6)
	v_mul_f64 v[28:29], v[114:115], v[244:245]
	v_add_f64 v[0:1], v[0:1], v[26:27]
	s_waitcnt lgkmcnt(4)
	v_mul_f64 v[32:33], v[18:19], v[118:119]
	v_fma_f64 v[246:247], v[102:103], v[112:113], -v[104:105]
	v_fmac_f64_e32 v[32:33], v[20:21], v[120:121]
	v_mul_f64 v[108:109], v[108:109], v[248:249]
	v_mul_f64 v[30:31], v[22:23], v[122:123]
	v_fma_f64 v[248:249], v[106:107], v[110:111], -v[108:109]
	s_waitcnt lgkmcnt(2)
	v_mul_f64 v[36:37], v[10:11], v[124:125]
	v_mul_f64 v[20:21], v[20:21], v[118:119]
	v_fmac_f64_e32 v[36:37], v[12:13], v[126:127]
	v_fma_f64 v[18:19], v[18:19], v[120:121], -v[20:21]
	v_mul_f64 v[34:35], v[14:15], v[130:131]
	v_mul_f64 v[12:13], v[12:13], v[124:125]
	s_waitcnt lgkmcnt(1)
	v_mul_f64 v[38:39], v[6:7], v[128:129]
	v_fma_f64 v[10:11], v[10:11], v[126:127], -v[12:13]
	v_fmac_f64_e32 v[28:29], v[116:117], v[250:251]
	v_add_f64 v[0:1], v[0:1], v[28:29]
	v_fmac_f64_e32 v[30:31], v[24:25], v[138:139]
	v_add_f64 v[0:1], v[0:1], v[30:31]
	;; [unrolled: 2-line block ×3, first 2 shown]
	v_add_f64 v[0:1], v[0:1], v[34:35]
	v_fmac_f64_e32 v[38:39], v[8:9], v[134:135]
	v_add_f64 v[0:1], v[0:1], v[36:37]
	v_add_f64 v[0:1], v[0:1], v[38:39]
	s_waitcnt lgkmcnt(0)
	v_mul_f64 v[30:31], v[2:3], v[132:133]
	v_fmac_f64_e32 v[30:31], v[4:5], v[140:141]
	ds_read_b128 v[26:29], v232 offset:1616
	v_add_f64 v[0:1], v[0:1], v[30:31]
	ds_read_b128 v[30:33], v232 offset:1632
	buffer_load_dword v221, off, s[0:3], 0 offset:932
	buffer_load_dword v220, off, s[0:3], 0 offset:928
	v_mul_f64 v[116:117], v[116:117], v[244:245]
	s_waitcnt lgkmcnt(1)
	v_mul_f64 v[34:35], v[26:27], v[146:147]
	v_fmac_f64_e32 v[34:35], v[28:29], v[148:149]
	v_add_f64 v[0:1], v[0:1], v[34:35]
	ds_read_b128 v[34:37], v232 offset:1648
	s_waitcnt lgkmcnt(1)
	v_mul_f64 v[38:39], v[30:31], v[142:143]
	v_fmac_f64_e32 v[38:39], v[32:33], v[144:145]
	v_add_f64 v[0:1], v[0:1], v[38:39]
	ds_read_b128 v[38:41], v232 offset:1664
	;; [unrolled: 5-line block ×4, first 2 shown]
	buffer_load_dword v223, off, s[0:3], 0 offset:988
	buffer_load_dword v225, off, s[0:3], 0 offset:972
	;; [unrolled: 1-line block ×12, first 2 shown]
	s_waitcnt vmcnt(62) lgkmcnt(1)
	v_mul_f64 v[50:51], v[42:43], v[174:175]
	v_fmac_f64_e32 v[50:51], v[44:45], v[178:179]
	v_add_f64 v[0:1], v[0:1], v[50:51]
	ds_read_b128 v[50:53], v232 offset:1712
	s_waitcnt lgkmcnt(1)
	v_mul_f64 v[54:55], v[46:47], v[154:155]
	v_fmac_f64_e32 v[54:55], v[48:49], v[156:157]
	v_add_f64 v[0:1], v[0:1], v[54:55]
	ds_read_b128 v[54:57], v232 offset:1728
	s_waitcnt lgkmcnt(1)
	v_mul_f64 v[58:59], v[50:51], v[182:183]
	s_waitcnt vmcnt(60)
	v_fmac_f64_e32 v[58:59], v[52:53], v[186:187]
	v_add_f64 v[0:1], v[0:1], v[58:59]
	ds_read_b128 v[58:61], v232 offset:1744
	s_waitcnt lgkmcnt(1)
	v_mul_f64 v[62:63], v[54:55], v[162:163]
	v_fmac_f64_e32 v[62:63], v[56:57], v[164:165]
	v_add_f64 v[0:1], v[0:1], v[62:63]
	ds_read_b128 v[62:65], v232 offset:1760
	s_waitcnt vmcnt(54) lgkmcnt(1)
	v_mul_f64 v[66:67], v[58:59], v[190:191]
	s_waitcnt vmcnt(52)
	v_fmac_f64_e32 v[66:67], v[60:61], v[194:195]
	v_add_f64 v[0:1], v[0:1], v[66:67]
	ds_read_b128 v[66:69], v232 offset:1776
	s_waitcnt lgkmcnt(1)
	v_mul_f64 v[70:71], v[62:63], v[166:167]
	v_fmac_f64_e32 v[70:71], v[64:65], v[168:169]
	v_add_f64 v[0:1], v[0:1], v[70:71]
	ds_read_b128 v[70:73], v232 offset:1792
	s_waitcnt vmcnt(46) lgkmcnt(1)
	;; [unrolled: 11-line block ×4, first 2 shown]
	v_mul_f64 v[90:91], v[82:83], v[210:211]
	s_waitcnt vmcnt(28)
	v_fmac_f64_e32 v[90:91], v[84:85], v[212:213]
	v_add_f64 v[0:1], v[0:1], v[90:91]
	ds_read_b128 v[90:93], v232 offset:1872
	ds_read_b128 v[94:97], v232 offset:1888
	s_waitcnt lgkmcnt(2)
	v_mul_f64 v[98:99], v[86:87], v[184:185]
	v_fmac_f64_e32 v[98:99], v[88:89], v[188:189]
	v_add_f64 v[0:1], v[0:1], v[98:99]
	s_waitcnt vmcnt(22) lgkmcnt(1)
	v_mul_f64 v[98:99], v[90:91], v[214:215]
	s_waitcnt vmcnt(20)
	v_fmac_f64_e32 v[98:99], v[92:93], v[216:217]
	v_add_f64 v[0:1], v[0:1], v[98:99]
	s_waitcnt lgkmcnt(0)
	v_mul_f64 v[98:99], v[94:95], v[192:193]
	v_fmac_f64_e32 v[98:99], v[96:97], v[196:197]
	v_add_f64 v[0:1], v[0:1], v[98:99]
	ds_read_b128 v[98:101], v232 offset:1904
	ds_read_b128 v[102:105], v232 offset:1920
	;; [unrolled: 1-line block ×3, first 2 shown]
	v_fma_f64 v[250:251], v[114:115], v[250:251], -v[116:117]
	ds_read_b128 v[114:117], v232 offset:1968
	s_waitcnt vmcnt(14) lgkmcnt(3)
	v_mul_f64 v[112:113], v[98:99], v[218:219]
	s_waitcnt lgkmcnt(2)
	v_mul_f64 v[110:111], v[102:103], v[200:201]
	s_waitcnt vmcnt(12)
	v_fmac_f64_e32 v[112:113], v[100:101], v[220:221]
	v_add_f64 v[0:1], v[0:1], v[112:113]
	v_fmac_f64_e32 v[110:111], v[104:105], v[204:205]
	v_add_f64 v[0:1], v[0:1], v[110:111]
	ds_read_b128 v[110:113], v232 offset:1952
	buffer_load_dword v254, off, s[0:3], 0 offset:480
	buffer_load_dword v255, off, s[0:3], 0 offset:484
	;; [unrolled: 1-line block ×4, first 2 shown]
	v_mul_f64 v[24:25], v[24:25], v[122:123]
	v_fma_f64 v[22:23], v[22:23], v[138:139], -v[24:25]
	v_mul_f64 v[16:17], v[16:17], v[130:131]
	s_waitcnt vmcnt(13) lgkmcnt(2)
	v_mul_f64 v[234:235], v[106:107], v[224:225]
	v_fma_f64 v[14:15], v[14:15], v[136:137], -v[16:17]
	s_waitcnt vmcnt(11)
	v_fmac_f64_e32 v[234:235], v[108:109], v[230:231]
	s_waitcnt vmcnt(10) lgkmcnt(0)
	v_mul_f64 v[232:233], v[110:111], v[222:223]
	v_add_f64 v[0:1], v[0:1], v[234:235]
	s_waitcnt vmcnt(8)
	v_fmac_f64_e32 v[232:233], v[112:113], v[228:229]
	v_add_f64 v[0:1], v[0:1], v[232:233]
	s_waitcnt vmcnt(6)
	v_mul_f64 v[232:233], v[114:115], v[226:227]
	v_mul_f64 v[8:9], v[8:9], v[128:129]
	s_waitcnt vmcnt(4)
	v_fmac_f64_e32 v[232:233], v[116:117], v[242:243]
	v_add_f64 v[244:245], v[0:1], v[232:233]
	v_add_f64 v[0:1], v[246:247], 0
	;; [unrolled: 1-line block ×8, first 2 shown]
	v_fma_f64 v[6:7], v[6:7], v[134:135], -v[8:9]
	v_mul_f64 v[4:5], v[4:5], v[132:133]
	v_add_f64 v[0:1], v[0:1], v[6:7]
	v_fma_f64 v[2:3], v[2:3], v[140:141], -v[4:5]
	v_add_f64 v[0:1], v[0:1], v[2:3]
	v_mul_f64 v[2:3], v[28:29], v[146:147]
	v_fma_f64 v[2:3], v[26:27], v[148:149], -v[2:3]
	v_add_f64 v[0:1], v[0:1], v[2:3]
	v_mul_f64 v[2:3], v[32:33], v[142:143]
	;; [unrolled: 3-line block ×23, first 2 shown]
	v_fma_f64 v[2:3], v[114:115], v[242:243], -v[2:3]
	v_add_f64 v[0:1], v[0:1], v[2:3]
	v_accvgpr_read_b32 v233, a185
	s_waitcnt vmcnt(2)
	v_add_f64 v[0:1], v[254:255], -v[0:1]
	v_cmp_lt_u32_e32 vcc, 28, v233
	s_waitcnt vmcnt(0)
	v_add_f64 v[2:3], v[252:253], -v[244:245]
	buffer_store_dword v1, off, s[0:3], 0 offset:484
	buffer_store_dword v0, off, s[0:3], 0 offset:480
	;; [unrolled: 1-line block ×4, first 2 shown]
	s_and_saveexec_b64 s[4:5], vcc
	s_cbranch_execz .LBB61_341
; %bb.340:
	v_accvgpr_read_b32 v0, a157
	buffer_load_dword v2, v0, s[0:3], 0 offen
	buffer_load_dword v3, v0, s[0:3], 0 offen offset:4
	buffer_load_dword v4, v0, s[0:3], 0 offen offset:8
	;; [unrolled: 1-line block ×3, first 2 shown]
	v_mov_b32_e32 v0, 0
	v_accvgpr_read_b32 v1, a186
	buffer_store_dword v0, off, s[0:3], 0 offset:464
	buffer_store_dword v0, off, s[0:3], 0 offset:468
	;; [unrolled: 1-line block ×4, first 2 shown]
	s_waitcnt vmcnt(4)
	ds_write_b128 v1, v[2:5]
.LBB61_341:
	s_or_b64 exec, exec, s[4:5]
	s_waitcnt lgkmcnt(0)
	; wave barrier
	s_waitcnt lgkmcnt(0)
	buffer_load_dword v94, off, s[0:3], 0 offset:480
	buffer_load_dword v95, off, s[0:3], 0 offset:484
	buffer_load_dword v96, off, s[0:3], 0 offset:488
	buffer_load_dword v97, off, s[0:3], 0 offset:492
	buffer_load_dword v98, off, s[0:3], 0 offset:496
	buffer_load_dword v99, off, s[0:3], 0 offset:500
	buffer_load_dword v100, off, s[0:3], 0 offset:504
	buffer_load_dword v101, off, s[0:3], 0 offset:508
	buffer_load_dword v106, off, s[0:3], 0 offset:520
	buffer_load_dword v107, off, s[0:3], 0 offset:524
	buffer_load_dword v121, off, s[0:3], 0 offset:556
	buffer_load_dword v120, off, s[0:3], 0 offset:552
	buffer_load_dword v125, off, s[0:3], 0 offset:548
	buffer_load_dword v124, off, s[0:3], 0 offset:544
	buffer_load_dword v111, off, s[0:3], 0 offset:540
	buffer_load_dword v110, off, s[0:3], 0 offset:536
	buffer_load_dword v119, off, s[0:3], 0 offset:588
	buffer_load_dword v118, off, s[0:3], 0 offset:584
	buffer_load_dword v123, off, s[0:3], 0 offset:580
	buffer_load_dword v122, off, s[0:3], 0 offset:576
	buffer_load_dword v131, off, s[0:3], 0 offset:572
	buffer_load_dword v130, off, s[0:3], 0 offset:568
	buffer_load_dword v126, off, s[0:3], 0 offset:616
	buffer_load_dword v129, off, s[0:3], 0 offset:604
	buffer_load_dword v128, off, s[0:3], 0 offset:600
	buffer_load_dword v127, off, s[0:3], 0 offset:620
	buffer_load_dword v108, off, s[0:3], 0 offset:512
	buffer_load_dword v109, off, s[0:3], 0 offset:516
	buffer_load_dword v113, off, s[0:3], 0 offset:532
	buffer_load_dword v112, off, s[0:3], 0 offset:528
	buffer_load_dword v135, off, s[0:3], 0 offset:564
	buffer_load_dword v134, off, s[0:3], 0 offset:560
	buffer_load_dword v133, off, s[0:3], 0 offset:596
	buffer_load_dword v132, off, s[0:3], 0 offset:592
	buffer_load_dword v138, off, s[0:3], 0 offset:608
	buffer_load_dword v139, off, s[0:3], 0 offset:612
	buffer_load_dword v136, off, s[0:3], 0 offset:648
	buffer_load_dword v143, off, s[0:3], 0 offset:636
	buffer_load_dword v142, off, s[0:3], 0 offset:632
	buffer_load_dword v145, off, s[0:3], 0 offset:628
	buffer_load_dword v144, off, s[0:3], 0 offset:624
	buffer_load_dword v141, off, s[0:3], 0 offset:644
	buffer_load_dword v140, off, s[0:3], 0 offset:640
	buffer_load_dword v137, off, s[0:3], 0 offset:652
	buffer_load_dword v147, off, s[0:3], 0 offset:668
	buffer_load_dword v146, off, s[0:3], 0 offset:664
	buffer_load_dword v151, off, s[0:3], 0 offset:660
	buffer_load_dword v150, off, s[0:3], 0 offset:656
	buffer_load_dword v148, off, s[0:3], 0 offset:680
	buffer_load_dword v152, off, s[0:3], 0 offset:672
	buffer_load_dword v153, off, s[0:3], 0 offset:676
	buffer_load_dword v149, off, s[0:3], 0 offset:684
	v_mov_b32_e32 v232, 0
	ds_read_b128 v[102:105], v232 offset:1456
	ds_read_b128 v[114:117], v232 offset:1472
	;; [unrolled: 1-line block ×10, first 2 shown]
	v_cmp_lt_u32_e32 vcc, 27, v233
	s_waitcnt vmcnt(48) lgkmcnt(9)
	v_mul_f64 v[0:1], v[102:103], v[96:97]
	v_fmac_f64_e32 v[0:1], v[104:105], v[94:95]
	v_add_f64 v[0:1], v[0:1], 0
	v_mul_f64 v[96:97], v[104:105], v[96:97]
	s_waitcnt vmcnt(44) lgkmcnt(8)
	v_mul_f64 v[26:27], v[114:115], v[100:101]
	v_fmac_f64_e32 v[26:27], v[116:117], v[98:99]
	s_waitcnt vmcnt(42) lgkmcnt(7)
	v_mul_f64 v[28:29], v[234:235], v[106:107]
	v_add_f64 v[0:1], v[0:1], v[26:27]
	s_waitcnt vmcnt(40) lgkmcnt(5)
	v_mul_f64 v[32:33], v[22:23], v[120:121]
	v_fma_f64 v[250:251], v[102:103], v[94:95], -v[96:97]
	s_waitcnt vmcnt(38)
	v_fmac_f64_e32 v[32:33], v[24:25], v[124:125]
	v_mul_f64 v[100:101], v[116:117], v[100:101]
	s_waitcnt vmcnt(36)
	v_mul_f64 v[30:31], v[238:239], v[110:111]
	v_fma_f64 v[252:253], v[114:115], v[98:99], -v[100:101]
	s_waitcnt vmcnt(34) lgkmcnt(3)
	v_mul_f64 v[36:37], v[14:15], v[118:119]
	v_mul_f64 v[106:107], v[236:237], v[106:107]
	s_waitcnt vmcnt(32)
	v_fmac_f64_e32 v[36:37], v[16:17], v[122:123]
	v_mul_f64 v[110:111], v[240:241], v[110:111]
	s_waitcnt vmcnt(30)
	v_mul_f64 v[34:35], v[18:19], v[130:131]
	v_mul_f64 v[24:25], v[24:25], v[120:121]
	v_fma_f64 v[22:23], v[22:23], v[124:125], -v[24:25]
	s_waitcnt vmcnt(27) lgkmcnt(2)
	v_mul_f64 v[38:39], v[10:11], v[128:129]
	s_waitcnt vmcnt(26) lgkmcnt(1)
	v_mul_f64 v[40:41], v[6:7], v[126:127]
	v_mul_f64 v[16:17], v[16:17], v[118:119]
	s_waitcnt vmcnt(24)
	v_fmac_f64_e32 v[28:29], v[236:237], v[108:109]
	v_add_f64 v[0:1], v[0:1], v[28:29]
	s_waitcnt vmcnt(22)
	v_fmac_f64_e32 v[30:31], v[240:241], v[112:113]
	v_add_f64 v[0:1], v[0:1], v[30:31]
	v_add_f64 v[0:1], v[0:1], v[32:33]
	ds_read_b128 v[26:29], v232 offset:1616
	ds_read_b128 v[30:33], v232 offset:1632
	buffer_load_dword v155, off, s[0:3], 0 offset:716
	buffer_load_dword v154, off, s[0:3], 0 offset:712
	;; [unrolled: 1-line block ×56, first 2 shown]
	s_waitcnt vmcnt(62)
	v_fmac_f64_e32 v[34:35], v[20:21], v[134:135]
	v_add_f64 v[0:1], v[0:1], v[34:35]
	v_fmac_f64_e32 v[38:39], v[12:13], v[132:133]
	v_add_f64 v[0:1], v[0:1], v[36:37]
	v_add_f64 v[0:1], v[0:1], v[38:39]
	v_fmac_f64_e32 v[40:41], v[8:9], v[138:139]
	s_waitcnt lgkmcnt(2)
	v_mul_f64 v[34:35], v[2:3], v[142:143]
	v_add_f64 v[0:1], v[0:1], v[40:41]
	v_fmac_f64_e32 v[34:35], v[4:5], v[144:145]
	v_add_f64 v[0:1], v[0:1], v[34:35]
	s_waitcnt lgkmcnt(1)
	v_mul_f64 v[34:35], v[26:27], v[136:137]
	v_fmac_f64_e32 v[34:35], v[28:29], v[140:141]
	v_add_f64 v[0:1], v[0:1], v[34:35]
	s_waitcnt lgkmcnt(0)
	v_mul_f64 v[34:35], v[30:31], v[146:147]
	s_waitcnt vmcnt(60)
	v_fmac_f64_e32 v[34:35], v[32:33], v[150:151]
	v_add_f64 v[0:1], v[0:1], v[34:35]
	ds_read_b128 v[34:37], v232 offset:1648
	buffer_load_dword v199, off, s[0:3], 0 offset:940
	buffer_load_dword v198, off, s[0:3], 0 offset:936
	;; [unrolled: 1-line block ×16, first 2 shown]
	ds_read_b128 v[38:41], v232 offset:1664
	buffer_load_dword v221, off, s[0:3], 0 offset:1004
	buffer_load_dword v220, off, s[0:3], 0 offset:1000
	;; [unrolled: 1-line block ×8, first 2 shown]
	ds_read_b128 v[98:101], v232 offset:1904
	s_waitcnt vmcnt(62) lgkmcnt(2)
	v_mul_f64 v[42:43], v[34:35], v[148:149]
	v_fmac_f64_e32 v[42:43], v[36:37], v[152:153]
	v_add_f64 v[0:1], v[0:1], v[42:43]
	ds_read_b128 v[42:45], v232 offset:1680
	v_fma_f64 v[248:249], v[234:235], v[108:109], -v[106:107]
	ds_read_b128 v[106:109], v232 offset:1936
	v_fma_f64 v[246:247], v[238:239], v[112:113], -v[110:111]
	v_mul_f64 v[20:21], v[20:21], v[130:131]
	s_waitcnt lgkmcnt(3)
	v_mul_f64 v[46:47], v[38:39], v[170:171]
	v_fma_f64 v[18:19], v[18:19], v[134:135], -v[20:21]
	v_fmac_f64_e32 v[46:47], v[40:41], v[174:175]
	v_add_f64 v[0:1], v[0:1], v[46:47]
	ds_read_b128 v[46:49], v232 offset:1696
	s_waitcnt lgkmcnt(2)
	v_mul_f64 v[50:51], v[42:43], v[154:155]
	v_fmac_f64_e32 v[50:51], v[44:45], v[156:157]
	v_add_f64 v[0:1], v[0:1], v[50:51]
	ds_read_b128 v[50:53], v232 offset:1712
	s_waitcnt lgkmcnt(1)
	v_mul_f64 v[54:55], v[46:47], v[178:179]
	;; [unrolled: 5-line block ×3, first 2 shown]
	v_fmac_f64_e32 v[58:59], v[52:53], v[160:161]
	v_add_f64 v[0:1], v[0:1], v[58:59]
	ds_read_b128 v[58:61], v232 offset:1744
	s_waitcnt vmcnt(58) lgkmcnt(1)
	v_mul_f64 v[62:63], v[54:55], v[186:187]
	s_waitcnt vmcnt(56)
	v_fmac_f64_e32 v[62:63], v[56:57], v[190:191]
	v_add_f64 v[0:1], v[0:1], v[62:63]
	ds_read_b128 v[62:65], v232 offset:1760
	s_waitcnt lgkmcnt(1)
	v_mul_f64 v[66:67], v[58:59], v[162:163]
	v_fmac_f64_e32 v[66:67], v[60:61], v[164:165]
	v_add_f64 v[0:1], v[0:1], v[66:67]
	ds_read_b128 v[66:69], v232 offset:1776
	s_waitcnt vmcnt(50) lgkmcnt(1)
	v_mul_f64 v[70:71], v[62:63], v[194:195]
	s_waitcnt vmcnt(48)
	v_fmac_f64_e32 v[70:71], v[64:65], v[196:197]
	v_add_f64 v[0:1], v[0:1], v[70:71]
	ds_read_b128 v[70:73], v232 offset:1792
	s_waitcnt lgkmcnt(1)
	v_mul_f64 v[74:75], v[66:67], v[166:167]
	;; [unrolled: 11-line block ×3, first 2 shown]
	v_fmac_f64_e32 v[82:83], v[76:77], v[176:177]
	v_add_f64 v[0:1], v[0:1], v[82:83]
	ds_read_b128 v[82:85], v232 offset:1840
	ds_read_b128 v[86:89], v232 offset:1856
	s_waitcnt vmcnt(34) lgkmcnt(2)
	v_mul_f64 v[90:91], v[78:79], v[208:209]
	s_waitcnt vmcnt(32)
	v_fmac_f64_e32 v[90:91], v[80:81], v[214:215]
	v_add_f64 v[0:1], v[0:1], v[90:91]
	s_waitcnt lgkmcnt(1)
	v_mul_f64 v[90:91], v[82:83], v[180:181]
	v_fmac_f64_e32 v[90:91], v[84:85], v[184:185]
	v_add_f64 v[0:1], v[0:1], v[90:91]
	s_waitcnt vmcnt(27) lgkmcnt(0)
	v_mul_f64 v[90:91], v[86:87], v[212:213]
	s_waitcnt vmcnt(25)
	v_fmac_f64_e32 v[90:91], v[88:89], v[216:217]
	v_add_f64 v[0:1], v[0:1], v[90:91]
	ds_read_b128 v[90:93], v232 offset:1872
	ds_read_b128 v[94:97], v232 offset:1888
	v_fma_f64 v[14:15], v[14:15], v[122:123], -v[16:17]
	v_mul_f64 v[12:13], v[12:13], v[128:129]
	v_fma_f64 v[10:11], v[10:11], v[132:133], -v[12:13]
	s_waitcnt lgkmcnt(1)
	v_mul_f64 v[102:103], v[90:91], v[188:189]
	s_waitcnt vmcnt(24)
	v_fmac_f64_e32 v[102:103], v[92:93], v[192:193]
	v_add_f64 v[0:1], v[0:1], v[102:103]
	s_waitcnt vmcnt(18) lgkmcnt(0)
	v_mul_f64 v[102:103], v[94:95], v[218:219]
	s_waitcnt vmcnt(16)
	v_fmac_f64_e32 v[102:103], v[96:97], v[222:223]
	v_add_f64 v[0:1], v[0:1], v[102:103]
	v_mul_f64 v[102:103], v[98:99], v[198:199]
	v_fmac_f64_e32 v[102:103], v[100:101], v[202:203]
	v_add_f64 v[0:1], v[0:1], v[102:103]
	ds_read_b128 v[102:105], v232 offset:1920
	ds_read_b128 v[110:113], v232 offset:1952
	v_mul_f64 v[8:9], v[8:9], v[126:127]
	v_fma_f64 v[6:7], v[6:7], v[138:139], -v[8:9]
	v_mul_f64 v[4:5], v[4:5], v[142:143]
	s_waitcnt vmcnt(10) lgkmcnt(1)
	v_mul_f64 v[114:115], v[102:103], v[226:227]
	s_waitcnt vmcnt(8)
	v_fmac_f64_e32 v[114:115], v[104:105], v[228:229]
	v_add_f64 v[0:1], v[0:1], v[114:115]
	v_mul_f64 v[114:115], v[106:107], v[206:207]
	v_fmac_f64_e32 v[114:115], v[108:109], v[210:211]
	v_add_f64 v[0:1], v[0:1], v[114:115]
	s_waitcnt vmcnt(2) lgkmcnt(0)
	v_mul_f64 v[114:115], v[110:111], v[230:231]
	s_waitcnt vmcnt(0)
	v_fmac_f64_e32 v[114:115], v[112:113], v[242:243]
	v_add_f64 v[0:1], v[0:1], v[114:115]
	ds_read_b128 v[114:117], v232 offset:1968
	v_fma_f64 v[2:3], v[2:3], v[144:145], -v[4:5]
	s_waitcnt lgkmcnt(0)
	v_mul_f64 v[234:235], v[114:115], v[220:221]
	v_fmac_f64_e32 v[234:235], v[116:117], v[224:225]
	v_add_f64 v[244:245], v[0:1], v[234:235]
	v_add_f64 v[0:1], v[250:251], 0
	;; [unrolled: 1-line block ×3, first 2 shown]
	buffer_load_dword v252, off, s[0:3], 0 offset:464
	buffer_load_dword v253, off, s[0:3], 0 offset:468
	v_add_f64 v[0:1], v[250:251], v[248:249]
	buffer_load_dword v248, off, s[0:3], 0 offset:472
	buffer_load_dword v249, off, s[0:3], 0 offset:476
	v_add_f64 v[0:1], v[0:1], v[246:247]
	v_add_f64 v[0:1], v[0:1], v[22:23]
	;; [unrolled: 1-line block ×7, first 2 shown]
	v_mul_f64 v[2:3], v[28:29], v[136:137]
	v_fma_f64 v[2:3], v[26:27], v[140:141], -v[2:3]
	v_add_f64 v[0:1], v[0:1], v[2:3]
	v_mul_f64 v[2:3], v[32:33], v[146:147]
	v_fma_f64 v[2:3], v[30:31], v[150:151], -v[2:3]
	v_add_f64 v[0:1], v[0:1], v[2:3]
	;; [unrolled: 3-line block ×23, first 2 shown]
	s_waitcnt vmcnt(2)
	v_add_f64 v[0:1], v[252:253], -v[0:1]
	s_waitcnt vmcnt(0)
	v_add_f64 v[2:3], v[248:249], -v[244:245]
	buffer_store_dword v1, off, s[0:3], 0 offset:468
	buffer_store_dword v0, off, s[0:3], 0 offset:464
	;; [unrolled: 1-line block ×4, first 2 shown]
	s_and_saveexec_b64 s[4:5], vcc
	s_cbranch_execz .LBB61_343
; %bb.342:
	v_accvgpr_read_b32 v0, a158
	buffer_load_dword v2, v0, s[0:3], 0 offen
	buffer_load_dword v3, v0, s[0:3], 0 offen offset:4
	buffer_load_dword v4, v0, s[0:3], 0 offen offset:8
	;; [unrolled: 1-line block ×3, first 2 shown]
	v_accvgpr_read_b32 v0, a186
	buffer_store_dword v232, off, s[0:3], 0 offset:448
	buffer_store_dword v232, off, s[0:3], 0 offset:452
	;; [unrolled: 1-line block ×4, first 2 shown]
	s_waitcnt vmcnt(4)
	ds_write_b128 v0, v[2:5]
.LBB61_343:
	s_or_b64 exec, exec, s[4:5]
	s_waitcnt lgkmcnt(0)
	; wave barrier
	s_waitcnt lgkmcnt(0)
	buffer_load_dword v86, off, s[0:3], 0 offset:464
	buffer_load_dword v87, off, s[0:3], 0 offset:468
	;; [unrolled: 1-line block ×42, first 2 shown]
	ds_read_b128 v[94:97], v232 offset:1440
	ds_read_b128 v[106:109], v232 offset:1456
	;; [unrolled: 1-line block ×10, first 2 shown]
	buffer_load_dword v145, off, s[0:3], 0 offset:612
	buffer_load_dword v144, off, s[0:3], 0 offset:608
	ds_read_b128 v[6:9], v232 offset:1600
	buffer_load_dword v141, off, s[0:3], 0 offset:668
	buffer_load_dword v140, off, s[0:3], 0 offset:664
	;; [unrolled: 1-line block ×80, first 2 shown]
	s_waitcnt vmcnt(62) lgkmcnt(10)
	v_mul_f64 v[0:1], v[94:95], v[88:89]
	v_fmac_f64_e32 v[0:1], v[96:97], v[86:87]
	v_add_f64 v[0:1], v[0:1], 0
	v_mul_f64 v[88:89], v[96:97], v[88:89]
	s_waitcnt lgkmcnt(9)
	v_mul_f64 v[26:27], v[106:107], v[92:93]
	v_fmac_f64_e32 v[26:27], v[108:109], v[90:91]
	s_waitcnt lgkmcnt(8)
	v_mul_f64 v[28:29], v[114:115], v[98:99]
	v_add_f64 v[0:1], v[0:1], v[26:27]
	s_waitcnt lgkmcnt(6)
	v_mul_f64 v[32:33], v[238:239], v[110:111]
	v_fma_f64 v[250:251], v[94:95], v[86:87], -v[88:89]
	v_fmac_f64_e32 v[32:33], v[240:241], v[112:113]
	v_mul_f64 v[92:93], v[108:109], v[92:93]
	v_mul_f64 v[30:31], v[234:235], v[102:103]
	v_fma_f64 v[252:253], v[106:107], v[90:91], -v[92:93]
	s_waitcnt lgkmcnt(4)
	v_mul_f64 v[36:37], v[18:19], v[118:119]
	v_mul_f64 v[98:99], v[116:117], v[98:99]
	v_fmac_f64_e32 v[36:37], v[20:21], v[120:121]
	v_mul_f64 v[102:103], v[236:237], v[102:103]
	v_mul_f64 v[34:35], v[22:23], v[122:123]
	;; [unrolled: 1-line block ×3, first 2 shown]
	s_waitcnt lgkmcnt(2)
	v_mul_f64 v[40:41], v[10:11], v[124:125]
	v_fma_f64 v[248:249], v[238:239], v[112:113], -v[110:111]
	v_mul_f64 v[20:21], v[20:21], v[118:119]
	v_mul_f64 v[38:39], v[14:15], v[130:131]
	v_fma_f64 v[18:19], v[18:19], v[120:121], -v[20:21]
	s_waitcnt lgkmcnt(1)
	v_mul_f64 v[42:43], v[2:3], v[128:129]
	v_fmac_f64_e32 v[28:29], v[116:117], v[100:101]
	v_add_f64 v[0:1], v[0:1], v[28:29]
	v_fmac_f64_e32 v[30:31], v[236:237], v[104:105]
	v_add_f64 v[0:1], v[0:1], v[30:31]
	;; [unrolled: 2-line block ×3, first 2 shown]
	v_add_f64 v[0:1], v[0:1], v[34:35]
	ds_read_b128 v[26:29], v232 offset:1616
	v_fmac_f64_e32 v[38:39], v[16:17], v[132:133]
	v_add_f64 v[0:1], v[0:1], v[36:37]
	v_fmac_f64_e32 v[40:41], v[12:13], v[126:127]
	v_add_f64 v[0:1], v[0:1], v[38:39]
	v_add_f64 v[0:1], v[0:1], v[40:41]
	v_fmac_f64_e32 v[42:43], v[4:5], v[144:145]
	s_waitcnt lgkmcnt(1)
	v_mul_f64 v[30:31], v[6:7], v[136:137]
	v_add_f64 v[0:1], v[0:1], v[42:43]
	v_fmac_f64_e32 v[30:31], v[8:9], v[138:139]
	v_add_f64 v[0:1], v[0:1], v[30:31]
	ds_read_b128 v[30:33], v232 offset:1632
	s_waitcnt lgkmcnt(1)
	v_mul_f64 v[34:35], v[26:27], v[146:147]
	v_fmac_f64_e32 v[34:35], v[28:29], v[162:163]
	v_add_f64 v[0:1], v[0:1], v[34:35]
	ds_read_b128 v[34:37], v232 offset:1648
	s_waitcnt lgkmcnt(1)
	v_mul_f64 v[38:39], v[30:31], v[140:141]
	;; [unrolled: 5-line block ×4, first 2 shown]
	v_fmac_f64_e32 v[46:47], v[40:41], v[150:151]
	v_add_f64 v[0:1], v[0:1], v[46:47]
	ds_read_b128 v[46:49], v232 offset:1696
	s_waitcnt vmcnt(58) lgkmcnt(1)
	v_mul_f64 v[50:51], v[42:43], v[174:175]
	s_waitcnt vmcnt(56)
	v_fmac_f64_e32 v[50:51], v[44:45], v[178:179]
	v_add_f64 v[0:1], v[0:1], v[50:51]
	ds_read_b128 v[50:53], v232 offset:1712
	buffer_load_dword v222, off, s[0:3], 0 offset:984
	buffer_load_dword v227, off, s[0:3], 0 offset:972
	;; [unrolled: 1-line block ×8, first 2 shown]
	s_waitcnt lgkmcnt(1)
	v_mul_f64 v[54:55], v[46:47], v[152:153]
	v_fmac_f64_e32 v[54:55], v[48:49], v[154:155]
	v_add_f64 v[0:1], v[0:1], v[54:55]
	ds_read_b128 v[54:57], v232 offset:1728
	buffer_load_dword v231, off, s[0:3], 0 offset:1004
	buffer_load_dword v230, off, s[0:3], 0 offset:1000
	;; [unrolled: 1-line block ×4, first 2 shown]
	s_waitcnt vmcnt(62) lgkmcnt(1)
	v_mul_f64 v[58:59], v[50:51], v[182:183]
	s_waitcnt vmcnt(60)
	v_fmac_f64_e32 v[58:59], v[52:53], v[186:187]
	v_add_f64 v[0:1], v[0:1], v[58:59]
	ds_read_b128 v[58:61], v232 offset:1744
	s_waitcnt lgkmcnt(1)
	v_mul_f64 v[62:63], v[54:55], v[156:157]
	v_fmac_f64_e32 v[62:63], v[56:57], v[158:159]
	v_add_f64 v[0:1], v[0:1], v[62:63]
	ds_read_b128 v[62:65], v232 offset:1760
	s_waitcnt vmcnt(54) lgkmcnt(1)
	v_mul_f64 v[66:67], v[58:59], v[190:191]
	s_waitcnt vmcnt(52)
	v_fmac_f64_e32 v[66:67], v[60:61], v[194:195]
	v_add_f64 v[0:1], v[0:1], v[66:67]
	ds_read_b128 v[66:69], v232 offset:1776
	s_waitcnt lgkmcnt(1)
	v_mul_f64 v[70:71], v[62:63], v[160:161]
	v_fmac_f64_e32 v[70:71], v[64:65], v[164:165]
	v_add_f64 v[0:1], v[0:1], v[70:71]
	ds_read_b128 v[70:73], v232 offset:1792
	s_waitcnt vmcnt(46) lgkmcnt(1)
	v_mul_f64 v[74:75], v[66:67], v[198:199]
	s_waitcnt vmcnt(44)
	v_fmac_f64_e32 v[74:75], v[68:69], v[202:203]
	v_add_f64 v[0:1], v[0:1], v[74:75]
	ds_read_b128 v[74:77], v232 offset:1808
	ds_read_b128 v[78:81], v232 offset:1824
	s_waitcnt lgkmcnt(2)
	v_mul_f64 v[82:83], v[70:71], v[168:169]
	v_fmac_f64_e32 v[82:83], v[72:73], v[172:173]
	v_add_f64 v[0:1], v[0:1], v[82:83]
	s_waitcnt vmcnt(38) lgkmcnt(1)
	v_mul_f64 v[82:83], v[74:75], v[206:207]
	s_waitcnt vmcnt(36)
	v_fmac_f64_e32 v[82:83], v[76:77], v[208:209]
	v_add_f64 v[0:1], v[0:1], v[82:83]
	s_waitcnt lgkmcnt(0)
	v_mul_f64 v[82:83], v[78:79], v[176:177]
	v_fmac_f64_e32 v[82:83], v[80:81], v[180:181]
	v_add_f64 v[0:1], v[0:1], v[82:83]
	ds_read_b128 v[82:85], v232 offset:1840
	ds_read_b128 v[86:89], v232 offset:1856
	;; [unrolled: 1-line block ×3, first 2 shown]
	v_fma_f64 v[254:255], v[114:115], v[100:101], -v[98:99]
	ds_read_b128 v[98:101], v232 offset:1904
	s_waitcnt vmcnt(30) lgkmcnt(3)
	v_mul_f64 v[94:95], v[82:83], v[210:211]
	s_waitcnt vmcnt(28)
	v_fmac_f64_e32 v[94:95], v[84:85], v[212:213]
	v_add_f64 v[0:1], v[0:1], v[94:95]
	s_waitcnt lgkmcnt(2)
	v_mul_f64 v[94:95], v[86:87], v[184:185]
	v_fmac_f64_e32 v[94:95], v[88:89], v[188:189]
	v_add_f64 v[0:1], v[0:1], v[94:95]
	ds_read_b128 v[94:97], v232 offset:1888
	s_waitcnt vmcnt(22) lgkmcnt(2)
	v_mul_f64 v[106:107], v[90:91], v[214:215]
	s_waitcnt vmcnt(20)
	v_fmac_f64_e32 v[106:107], v[92:93], v[216:217]
	v_add_f64 v[0:1], v[0:1], v[106:107]
	v_fma_f64 v[246:247], v[234:235], v[104:105], -v[102:103]
	s_waitcnt lgkmcnt(0)
	v_mul_f64 v[106:107], v[94:95], v[192:193]
	v_fmac_f64_e32 v[106:107], v[96:97], v[196:197]
	v_add_f64 v[0:1], v[0:1], v[106:107]
	ds_read_b128 v[106:109], v232 offset:1920
	ds_read_b128 v[102:105], v232 offset:1936
	;; [unrolled: 1-line block ×3, first 2 shown]
	s_waitcnt vmcnt(14)
	v_mul_f64 v[114:115], v[98:99], v[218:219]
	s_waitcnt vmcnt(12)
	v_fmac_f64_e32 v[114:115], v[100:101], v[220:221]
	v_add_f64 v[0:1], v[0:1], v[114:115]
	s_waitcnt lgkmcnt(2)
	v_mul_f64 v[114:115], v[106:107], v[200:201]
	v_fmac_f64_e32 v[114:115], v[108:109], v[204:205]
	v_add_f64 v[0:1], v[0:1], v[114:115]
	v_mul_f64 v[24:25], v[24:25], v[122:123]
	v_fma_f64 v[22:23], v[22:23], v[134:135], -v[24:25]
	v_mul_f64 v[16:17], v[16:17], v[130:131]
	v_fma_f64 v[14:15], v[14:15], v[132:133], -v[16:17]
	v_mul_f64 v[12:13], v[12:13], v[124:125]
	v_fma_f64 v[10:11], v[10:11], v[126:127], -v[12:13]
	v_mul_f64 v[4:5], v[4:5], v[128:129]
	v_fma_f64 v[2:3], v[2:3], v[144:145], -v[4:5]
	s_waitcnt vmcnt(9) lgkmcnt(1)
	v_mul_f64 v[114:115], v[102:103], v[226:227]
	s_waitcnt vmcnt(7)
	v_fmac_f64_e32 v[114:115], v[104:105], v[228:229]
	v_add_f64 v[0:1], v[0:1], v[114:115]
	s_waitcnt vmcnt(5) lgkmcnt(0)
	v_mul_f64 v[114:115], v[110:111], v[222:223]
	s_waitcnt vmcnt(4)
	v_fmac_f64_e32 v[114:115], v[112:113], v[224:225]
	v_add_f64 v[0:1], v[0:1], v[114:115]
	ds_read_b128 v[114:117], v232 offset:1968
	s_waitcnt vmcnt(2) lgkmcnt(0)
	v_mul_f64 v[232:233], v[114:115], v[230:231]
	s_waitcnt vmcnt(0)
	v_fmac_f64_e32 v[232:233], v[116:117], v[242:243]
	v_add_f64 v[244:245], v[0:1], v[232:233]
	v_add_f64 v[0:1], v[250:251], 0
	;; [unrolled: 1-line block ×4, first 2 shown]
	buffer_load_dword v254, off, s[0:3], 0 offset:448
	buffer_load_dword v255, off, s[0:3], 0 offset:452
	;; [unrolled: 1-line block ×4, first 2 shown]
	v_add_f64 v[0:1], v[250:251], v[246:247]
	v_add_f64 v[0:1], v[0:1], v[248:249]
	;; [unrolled: 1-line block ×7, first 2 shown]
	v_mul_f64 v[2:3], v[8:9], v[136:137]
	v_fma_f64 v[2:3], v[6:7], v[138:139], -v[2:3]
	v_add_f64 v[0:1], v[0:1], v[2:3]
	v_mul_f64 v[2:3], v[28:29], v[146:147]
	v_fma_f64 v[2:3], v[26:27], v[162:163], -v[2:3]
	v_add_f64 v[0:1], v[0:1], v[2:3]
	;; [unrolled: 3-line block ×24, first 2 shown]
	v_accvgpr_read_b32 v233, a185
	s_waitcnt vmcnt(2)
	v_add_f64 v[0:1], v[254:255], -v[0:1]
	v_cmp_lt_u32_e32 vcc, 26, v233
	s_waitcnt vmcnt(0)
	v_add_f64 v[2:3], v[252:253], -v[244:245]
	buffer_store_dword v1, off, s[0:3], 0 offset:452
	buffer_store_dword v0, off, s[0:3], 0 offset:448
	;; [unrolled: 1-line block ×4, first 2 shown]
	s_and_saveexec_b64 s[4:5], vcc
	s_cbranch_execz .LBB61_345
; %bb.344:
	v_accvgpr_read_b32 v0, a159
	buffer_load_dword v2, v0, s[0:3], 0 offen
	buffer_load_dword v3, v0, s[0:3], 0 offen offset:4
	buffer_load_dword v4, v0, s[0:3], 0 offen offset:8
	;; [unrolled: 1-line block ×3, first 2 shown]
	v_mov_b32_e32 v0, 0
	v_accvgpr_read_b32 v1, a186
	buffer_store_dword v0, off, s[0:3], 0 offset:432
	buffer_store_dword v0, off, s[0:3], 0 offset:436
	;; [unrolled: 1-line block ×4, first 2 shown]
	s_waitcnt vmcnt(4)
	ds_write_b128 v1, v[2:5]
.LBB61_345:
	s_or_b64 exec, exec, s[4:5]
	s_waitcnt lgkmcnt(0)
	; wave barrier
	s_waitcnt lgkmcnt(0)
	buffer_load_dword v82, off, s[0:3], 0 offset:448
	buffer_load_dword v83, off, s[0:3], 0 offset:452
	;; [unrolled: 1-line block ×54, first 2 shown]
	v_mov_b32_e32 v232, 0
	ds_read_b128 v[90:93], v232 offset:1424
	ds_read_b128 v[106:109], v232 offset:1440
	;; [unrolled: 1-line block ×9, first 2 shown]
	buffer_load_dword v149, off, s[0:3], 0 offset:676
	buffer_load_dword v148, off, s[0:3], 0 offset:672
	;; [unrolled: 1-line block ×62, first 2 shown]
	v_cmp_lt_u32_e32 vcc, 25, v233
	s_waitcnt vmcnt(62) lgkmcnt(8)
	v_mul_f64 v[0:1], v[90:91], v[84:85]
	v_fmac_f64_e32 v[0:1], v[92:93], v[82:83]
	v_add_f64 v[0:1], v[0:1], 0
	v_mul_f64 v[84:85], v[92:93], v[84:85]
	s_waitcnt lgkmcnt(7)
	v_mul_f64 v[14:15], v[106:107], v[88:89]
	v_fmac_f64_e32 v[14:15], v[108:109], v[86:87]
	s_waitcnt lgkmcnt(6)
	v_mul_f64 v[16:17], v[114:115], v[94:95]
	v_add_f64 v[0:1], v[0:1], v[14:15]
	s_waitcnt lgkmcnt(4)
	v_mul_f64 v[20:21], v[238:239], v[102:103]
	v_fma_f64 v[246:247], v[90:91], v[82:83], -v[84:85]
	v_fmac_f64_e32 v[20:21], v[240:241], v[104:105]
	v_mul_f64 v[88:89], v[108:109], v[88:89]
	v_mul_f64 v[18:19], v[234:235], v[98:99]
	v_fma_f64 v[248:249], v[106:107], v[86:87], -v[88:89]
	s_waitcnt lgkmcnt(2)
	v_mul_f64 v[24:25], v[10:11], v[118:119]
	v_mul_f64 v[94:95], v[116:117], v[94:95]
	v_fmac_f64_e32 v[24:25], v[12:13], v[120:121]
	v_mul_f64 v[98:99], v[236:237], v[98:99]
	v_mul_f64 v[22:23], v[242:243], v[110:111]
	;; [unrolled: 1-line block ×3, first 2 shown]
	s_waitcnt lgkmcnt(1)
	v_mul_f64 v[26:27], v[6:7], v[122:123]
	v_mul_f64 v[110:111], v[244:245], v[110:111]
	v_fmac_f64_e32 v[16:17], v[116:117], v[96:97]
	v_add_f64 v[0:1], v[0:1], v[16:17]
	v_fmac_f64_e32 v[18:19], v[236:237], v[100:101]
	v_add_f64 v[0:1], v[0:1], v[18:19]
	ds_read_b128 v[14:17], v232 offset:1568
	v_fmac_f64_e32 v[22:23], v[244:245], v[112:113]
	v_add_f64 v[0:1], v[0:1], v[20:21]
	v_add_f64 v[0:1], v[0:1], v[22:23]
	v_fmac_f64_e32 v[26:27], v[8:9], v[126:127]
	v_add_f64 v[0:1], v[0:1], v[24:25]
	s_waitcnt lgkmcnt(1)
	v_mul_f64 v[18:19], v[2:3], v[124:125]
	v_add_f64 v[0:1], v[0:1], v[26:27]
	v_fmac_f64_e32 v[18:19], v[4:5], v[128:129]
	v_add_f64 v[0:1], v[0:1], v[18:19]
	ds_read_b128 v[18:21], v232 offset:1584
	s_waitcnt lgkmcnt(1)
	v_mul_f64 v[22:23], v[14:15], v[134:135]
	v_fmac_f64_e32 v[22:23], v[16:17], v[136:137]
	v_add_f64 v[0:1], v[0:1], v[22:23]
	ds_read_b128 v[22:25], v232 offset:1600
	s_waitcnt lgkmcnt(1)
	v_mul_f64 v[26:27], v[18:19], v[130:131]
	;; [unrolled: 5-line block ×4, first 2 shown]
	v_fmac_f64_e32 v[34:35], v[28:29], v[140:141]
	v_add_f64 v[0:1], v[0:1], v[34:35]
	ds_read_b128 v[34:37], v232 offset:1648
	s_waitcnt vmcnt(58) lgkmcnt(1)
	v_mul_f64 v[38:39], v[30:31], v[162:163]
	s_waitcnt vmcnt(56)
	v_fmac_f64_e32 v[38:39], v[32:33], v[166:167]
	v_add_f64 v[0:1], v[0:1], v[38:39]
	ds_read_b128 v[38:41], v232 offset:1664
	s_waitcnt lgkmcnt(1)
	v_mul_f64 v[42:43], v[34:35], v[142:143]
	v_fmac_f64_e32 v[42:43], v[36:37], v[148:149]
	v_add_f64 v[0:1], v[0:1], v[42:43]
	ds_read_b128 v[42:45], v232 offset:1680
	s_waitcnt vmcnt(50) lgkmcnt(1)
	v_mul_f64 v[46:47], v[38:39], v[170:171]
	s_waitcnt vmcnt(48)
	v_fmac_f64_e32 v[46:47], v[40:41], v[174:175]
	v_add_f64 v[0:1], v[0:1], v[46:47]
	ds_read_b128 v[46:49], v232 offset:1696
	buffer_load_dword v211, off, s[0:3], 0 offset:924
	buffer_load_dword v210, off, s[0:3], 0 offset:920
	;; [unrolled: 1-line block ×8, first 2 shown]
	s_waitcnt lgkmcnt(1)
	v_mul_f64 v[50:51], v[42:43], v[150:151]
	v_fmac_f64_e32 v[50:51], v[44:45], v[152:153]
	v_add_f64 v[0:1], v[0:1], v[50:51]
	ds_read_b128 v[50:53], v232 offset:1712
	s_waitcnt vmcnt(50) lgkmcnt(1)
	v_mul_f64 v[54:55], v[46:47], v[178:179]
	s_waitcnt vmcnt(48)
	v_fmac_f64_e32 v[54:55], v[48:49], v[182:183]
	buffer_load_dword v215, off, s[0:3], 0 offset:972
	buffer_load_dword v221, off, s[0:3], 0 offset:956
	buffer_load_dword v220, off, s[0:3], 0 offset:952
	buffer_load_dword v227, off, s[0:3], 0 offset:948
	buffer_load_dword v226, off, s[0:3], 0 offset:944
	buffer_load_dword v214, off, s[0:3], 0 offset:968
	buffer_load_dword v225, off, s[0:3], 0 offset:964
	buffer_load_dword v224, off, s[0:3], 0 offset:960
	buffer_load_dword v223, off, s[0:3], 0 offset:988
	buffer_load_dword v222, off, s[0:3], 0 offset:984
	buffer_load_dword v229, off, s[0:3], 0 offset:980
	buffer_load_dword v228, off, s[0:3], 0 offset:976
	v_add_f64 v[0:1], v[0:1], v[54:55]
	ds_read_b128 v[54:57], v232 offset:1728
	s_waitcnt lgkmcnt(1)
	v_mul_f64 v[58:59], v[50:51], v[154:155]
	v_fmac_f64_e32 v[58:59], v[52:53], v[156:157]
	v_add_f64 v[0:1], v[0:1], v[58:59]
	ds_read_b128 v[58:61], v232 offset:1744
	s_waitcnt vmcnt(54) lgkmcnt(1)
	v_mul_f64 v[62:63], v[54:55], v[186:187]
	s_waitcnt vmcnt(52)
	v_fmac_f64_e32 v[62:63], v[56:57], v[190:191]
	v_add_f64 v[0:1], v[0:1], v[62:63]
	ds_read_b128 v[62:65], v232 offset:1760
	s_waitcnt lgkmcnt(1)
	v_mul_f64 v[66:67], v[58:59], v[158:159]
	v_fmac_f64_e32 v[66:67], v[60:61], v[160:161]
	v_add_f64 v[0:1], v[0:1], v[66:67]
	ds_read_b128 v[66:69], v232 offset:1776
	s_waitcnt vmcnt(46) lgkmcnt(1)
	v_mul_f64 v[70:71], v[62:63], v[194:195]
	s_waitcnt vmcnt(44)
	v_fmac_f64_e32 v[70:71], v[64:65], v[196:197]
	v_add_f64 v[0:1], v[0:1], v[70:71]
	ds_read_b128 v[70:73], v232 offset:1792
	ds_read_b128 v[74:77], v232 offset:1808
	s_waitcnt lgkmcnt(2)
	v_mul_f64 v[78:79], v[66:67], v[164:165]
	v_fmac_f64_e32 v[78:79], v[68:69], v[168:169]
	v_add_f64 v[0:1], v[0:1], v[78:79]
	s_waitcnt vmcnt(38) lgkmcnt(1)
	v_mul_f64 v[78:79], v[70:71], v[198:199]
	s_waitcnt vmcnt(36)
	v_fmac_f64_e32 v[78:79], v[72:73], v[200:201]
	v_add_f64 v[0:1], v[0:1], v[78:79]
	s_waitcnt lgkmcnt(0)
	v_mul_f64 v[78:79], v[74:75], v[172:173]
	v_fmac_f64_e32 v[78:79], v[76:77], v[176:177]
	v_add_f64 v[0:1], v[0:1], v[78:79]
	ds_read_b128 v[78:81], v232 offset:1824
	ds_read_b128 v[82:85], v232 offset:1840
	;; [unrolled: 1-line block ×3, first 2 shown]
	v_fma_f64 v[252:253], v[114:115], v[96:97], -v[94:95]
	ds_read_b128 v[94:97], v232 offset:1888
	s_waitcnt vmcnt(30) lgkmcnt(3)
	v_mul_f64 v[90:91], v[78:79], v[202:203]
	s_waitcnt vmcnt(28)
	v_fmac_f64_e32 v[90:91], v[80:81], v[204:205]
	v_add_f64 v[0:1], v[0:1], v[90:91]
	s_waitcnt lgkmcnt(2)
	v_mul_f64 v[90:91], v[82:83], v[180:181]
	v_fmac_f64_e32 v[90:91], v[84:85], v[184:185]
	v_add_f64 v[0:1], v[0:1], v[90:91]
	s_waitcnt vmcnt(22) lgkmcnt(1)
	v_mul_f64 v[90:91], v[86:87], v[206:207]
	s_waitcnt vmcnt(20)
	v_fmac_f64_e32 v[90:91], v[88:89], v[208:209]
	v_add_f64 v[0:1], v[0:1], v[90:91]
	ds_read_b128 v[90:93], v232 offset:1872
	v_fma_f64 v[234:235], v[234:235], v[100:101], -v[98:99]
	ds_read_b128 v[98:101], v232 offset:1904
	buffer_load_dword v230, off, s[0:3], 0 offset:1000
	v_fma_f64 v[236:237], v[238:239], v[104:105], -v[102:103]
	s_waitcnt lgkmcnt(1)
	v_mul_f64 v[106:107], v[90:91], v[188:189]
	v_fmac_f64_e32 v[106:107], v[92:93], v[192:193]
	v_add_f64 v[0:1], v[0:1], v[106:107]
	ds_read_b128 v[102:105], v232 offset:1920
	v_fma_f64 v[250:251], v[242:243], v[112:113], -v[110:111]
	ds_read_b128 v[110:113], v232 offset:1952
	v_mul_f64 v[12:13], v[12:13], v[118:119]
	v_fma_f64 v[10:11], v[10:11], v[120:121], -v[12:13]
	v_mul_f64 v[8:9], v[8:9], v[122:123]
	v_fma_f64 v[6:7], v[6:7], v[126:127], -v[8:9]
	;; [unrolled: 2-line block ×3, first 2 shown]
	s_waitcnt vmcnt(19)
	v_mul_f64 v[106:107], v[94:95], v[210:211]
	s_waitcnt vmcnt(17)
	v_fmac_f64_e32 v[106:107], v[96:97], v[212:213]
	v_add_f64 v[0:1], v[0:1], v[106:107]
	s_waitcnt vmcnt(15) lgkmcnt(2)
	v_mul_f64 v[106:107], v[98:99], v[216:217]
	s_waitcnt vmcnt(13)
	v_fmac_f64_e32 v[106:107], v[100:101], v[218:219]
	v_add_f64 v[0:1], v[0:1], v[106:107]
	ds_read_b128 v[106:109], v232 offset:1936
	buffer_load_dword v244, off, s[0:3], 0 offset:992
	buffer_load_dword v231, off, s[0:3], 0 offset:1004
	;; [unrolled: 1-line block ×3, first 2 shown]
	s_waitcnt vmcnt(13) lgkmcnt(2)
	v_mul_f64 v[114:115], v[102:103], v[220:221]
	s_waitcnt vmcnt(11)
	v_fmac_f64_e32 v[114:115], v[104:105], v[226:227]
	v_add_f64 v[0:1], v[0:1], v[114:115]
	s_waitcnt vmcnt(10) lgkmcnt(0)
	v_mul_f64 v[114:115], v[106:107], v[214:215]
	s_waitcnt vmcnt(8)
	v_fmac_f64_e32 v[114:115], v[108:109], v[224:225]
	v_add_f64 v[0:1], v[0:1], v[114:115]
	s_waitcnt vmcnt(6)
	v_mul_f64 v[114:115], v[110:111], v[222:223]
	s_waitcnt vmcnt(4)
	v_fmac_f64_e32 v[114:115], v[112:113], v[228:229]
	v_add_f64 v[0:1], v[0:1], v[114:115]
	ds_read_b128 v[114:117], v232 offset:1968
	s_waitcnt vmcnt(1) lgkmcnt(0)
	v_mul_f64 v[238:239], v[114:115], v[230:231]
	s_waitcnt vmcnt(0)
	v_fmac_f64_e32 v[238:239], v[116:117], v[244:245]
	v_add_f64 v[242:243], v[0:1], v[238:239]
	v_add_f64 v[0:1], v[246:247], 0
	;; [unrolled: 1-line block ×3, first 2 shown]
	buffer_load_dword v248, off, s[0:3], 0 offset:432
	buffer_load_dword v249, off, s[0:3], 0 offset:436
	;; [unrolled: 1-line block ×4, first 2 shown]
	v_add_f64 v[0:1], v[0:1], v[252:253]
	v_add_f64 v[0:1], v[0:1], v[234:235]
	;; [unrolled: 1-line block ×7, first 2 shown]
	v_mul_f64 v[2:3], v[16:17], v[134:135]
	v_fma_f64 v[2:3], v[14:15], v[136:137], -v[2:3]
	v_add_f64 v[0:1], v[0:1], v[2:3]
	v_mul_f64 v[2:3], v[20:21], v[130:131]
	v_fma_f64 v[2:3], v[18:19], v[132:133], -v[2:3]
	v_add_f64 v[0:1], v[0:1], v[2:3]
	;; [unrolled: 3-line block ×26, first 2 shown]
	s_waitcnt vmcnt(2)
	v_add_f64 v[0:1], v[248:249], -v[0:1]
	s_waitcnt vmcnt(0)
	v_add_f64 v[2:3], v[246:247], -v[242:243]
	buffer_store_dword v1, off, s[0:3], 0 offset:436
	buffer_store_dword v0, off, s[0:3], 0 offset:432
	;; [unrolled: 1-line block ×4, first 2 shown]
	s_and_saveexec_b64 s[4:5], vcc
	s_cbranch_execz .LBB61_347
; %bb.346:
	v_accvgpr_read_b32 v0, a160
	buffer_load_dword v2, v0, s[0:3], 0 offen
	buffer_load_dword v3, v0, s[0:3], 0 offen offset:4
	buffer_load_dword v4, v0, s[0:3], 0 offen offset:8
	;; [unrolled: 1-line block ×3, first 2 shown]
	v_accvgpr_read_b32 v0, a186
	buffer_store_dword v232, off, s[0:3], 0 offset:416
	buffer_store_dword v232, off, s[0:3], 0 offset:420
	;; [unrolled: 1-line block ×4, first 2 shown]
	s_waitcnt vmcnt(4)
	ds_write_b128 v0, v[2:5]
.LBB61_347:
	s_or_b64 exec, exec, s[4:5]
	s_waitcnt lgkmcnt(0)
	; wave barrier
	s_waitcnt lgkmcnt(0)
	buffer_load_dword v84, off, s[0:3], 0 offset:432
	buffer_load_dword v85, off, s[0:3], 0 offset:436
	;; [unrolled: 1-line block ×34, first 2 shown]
	ds_read_b128 v[74:77], v232 offset:1408
	ds_read_b128 v[78:81], v232 offset:1424
	;; [unrolled: 1-line block ×8, first 2 shown]
	buffer_load_dword v125, off, s[0:3], 0 offset:548
	buffer_load_dword v124, off, s[0:3], 0 offset:544
	ds_read_b128 v[6:9], v232 offset:1536
	buffer_load_dword v127, off, s[0:3], 0 offset:604
	buffer_load_dword v126, off, s[0:3], 0 offset:600
	;; [unrolled: 1-line block ×80, first 2 shown]
	v_cmp_lt_u32_e32 vcc, 24, v233
	s_waitcnt vmcnt(62) lgkmcnt(8)
	v_mul_f64 v[0:1], v[74:75], v[106:107]
	v_fmac_f64_e32 v[0:1], v[76:77], v[84:85]
	v_add_f64 v[0:1], v[0:1], 0
	v_mul_f64 v[76:77], v[76:77], v[106:107]
	s_waitcnt lgkmcnt(7)
	v_mul_f64 v[10:11], v[78:79], v[96:97]
	v_fmac_f64_e32 v[10:11], v[80:81], v[82:83]
	s_waitcnt lgkmcnt(6)
	v_mul_f64 v[12:13], v[86:87], v[94:95]
	v_add_f64 v[0:1], v[0:1], v[10:11]
	s_waitcnt lgkmcnt(4)
	v_mul_f64 v[16:17], v[98:99], v[108:109]
	v_fma_f64 v[234:235], v[74:75], v[84:85], -v[76:77]
	v_fmac_f64_e32 v[16:17], v[100:101], v[114:115]
	v_mul_f64 v[80:81], v[80:81], v[96:97]
	v_mul_f64 v[14:15], v[90:91], v[116:117]
	v_fma_f64 v[236:237], v[78:79], v[82:83], -v[80:81]
	s_waitcnt lgkmcnt(2)
	v_mul_f64 v[20:21], v[110:111], v[230:231]
	v_mul_f64 v[100:101], v[100:101], v[108:109]
	;; [unrolled: 1-line block ×3, first 2 shown]
	s_waitcnt lgkmcnt(1)
	v_mul_f64 v[22:23], v[2:3], v[118:119]
	v_fmac_f64_e32 v[12:13], v[88:89], v[250:251]
	v_add_f64 v[0:1], v[0:1], v[12:13]
	v_fmac_f64_e32 v[14:15], v[92:93], v[248:249]
	v_add_f64 v[0:1], v[0:1], v[14:15]
	;; [unrolled: 2-line block ×4, first 2 shown]
	v_add_f64 v[0:1], v[0:1], v[20:21]
	s_waitcnt lgkmcnt(0)
	v_mul_f64 v[14:15], v[6:7], v[120:121]
	ds_read_b128 v[10:13], v232 offset:1552
	v_fmac_f64_e32 v[22:23], v[4:5], v[124:125]
	v_add_f64 v[0:1], v[0:1], v[22:23]
	v_fmac_f64_e32 v[14:15], v[8:9], v[122:123]
	v_add_f64 v[0:1], v[0:1], v[14:15]
	ds_read_b128 v[14:17], v232 offset:1568
	s_waitcnt lgkmcnt(1)
	v_mul_f64 v[18:19], v[10:11], v[130:131]
	v_fmac_f64_e32 v[18:19], v[12:13], v[132:133]
	v_add_f64 v[0:1], v[0:1], v[18:19]
	ds_read_b128 v[18:21], v232 offset:1584
	s_waitcnt lgkmcnt(1)
	v_mul_f64 v[22:23], v[14:15], v[126:127]
	;; [unrolled: 5-line block ×4, first 2 shown]
	v_fmac_f64_e32 v[30:31], v[24:25], v[136:137]
	v_add_f64 v[0:1], v[0:1], v[30:31]
	ds_read_b128 v[30:33], v232 offset:1632
	s_waitcnt vmcnt(58) lgkmcnt(1)
	v_mul_f64 v[34:35], v[26:27], v[158:159]
	s_waitcnt vmcnt(56)
	v_fmac_f64_e32 v[34:35], v[28:29], v[162:163]
	v_add_f64 v[0:1], v[0:1], v[34:35]
	ds_read_b128 v[34:37], v232 offset:1648
	s_waitcnt lgkmcnt(1)
	v_mul_f64 v[38:39], v[30:31], v[138:139]
	v_fmac_f64_e32 v[38:39], v[32:33], v[140:141]
	v_add_f64 v[0:1], v[0:1], v[38:39]
	ds_read_b128 v[38:41], v232 offset:1664
	s_waitcnt vmcnt(50) lgkmcnt(1)
	v_mul_f64 v[42:43], v[34:35], v[166:167]
	s_waitcnt vmcnt(48)
	v_fmac_f64_e32 v[42:43], v[36:37], v[170:171]
	v_add_f64 v[0:1], v[0:1], v[42:43]
	ds_read_b128 v[42:45], v232 offset:1680
	s_waitcnt lgkmcnt(1)
	v_mul_f64 v[46:47], v[38:39], v[146:147]
	v_fmac_f64_e32 v[46:47], v[40:41], v[148:149]
	v_add_f64 v[0:1], v[0:1], v[46:47]
	ds_read_b128 v[46:49], v232 offset:1696
	buffer_load_dword v207, off, s[0:3], 0 offset:924
	buffer_load_dword v209, off, s[0:3], 0 offset:908
	;; [unrolled: 1-line block ×12, first 2 shown]
	s_waitcnt vmcnt(54) lgkmcnt(1)
	v_mul_f64 v[50:51], v[42:43], v[174:175]
	s_waitcnt vmcnt(52)
	v_fmac_f64_e32 v[50:51], v[44:45], v[178:179]
	v_add_f64 v[0:1], v[0:1], v[50:51]
	ds_read_b128 v[50:53], v232 offset:1712
	s_waitcnt lgkmcnt(1)
	v_mul_f64 v[54:55], v[46:47], v[150:151]
	v_fmac_f64_e32 v[54:55], v[48:49], v[152:153]
	buffer_load_dword v221, off, s[0:3], 0 offset:956
	buffer_load_dword v220, off, s[0:3], 0 offset:952
	;; [unrolled: 1-line block ×12, first 2 shown]
	v_add_f64 v[0:1], v[0:1], v[54:55]
	ds_read_b128 v[54:57], v232 offset:1728
	s_waitcnt vmcnt(58) lgkmcnt(1)
	v_mul_f64 v[58:59], v[50:51], v[182:183]
	s_waitcnt vmcnt(56)
	v_fmac_f64_e32 v[58:59], v[52:53], v[186:187]
	v_add_f64 v[0:1], v[0:1], v[58:59]
	ds_read_b128 v[58:61], v232 offset:1744
	s_waitcnt lgkmcnt(1)
	v_mul_f64 v[62:63], v[54:55], v[154:155]
	v_fmac_f64_e32 v[62:63], v[56:57], v[156:157]
	v_add_f64 v[0:1], v[0:1], v[62:63]
	ds_read_b128 v[62:65], v232 offset:1760
	ds_read_b128 v[66:69], v232 offset:1776
	s_waitcnt vmcnt(50) lgkmcnt(2)
	v_mul_f64 v[70:71], v[58:59], v[190:191]
	s_waitcnt vmcnt(48)
	v_fmac_f64_e32 v[70:71], v[60:61], v[192:193]
	v_add_f64 v[0:1], v[0:1], v[70:71]
	s_waitcnt lgkmcnt(1)
	v_mul_f64 v[70:71], v[62:63], v[160:161]
	v_fmac_f64_e32 v[70:71], v[64:65], v[164:165]
	v_add_f64 v[0:1], v[0:1], v[70:71]
	s_waitcnt vmcnt(42) lgkmcnt(0)
	v_mul_f64 v[70:71], v[66:67], v[194:195]
	s_waitcnt vmcnt(40)
	v_fmac_f64_e32 v[70:71], v[68:69], v[196:197]
	v_add_f64 v[0:1], v[0:1], v[70:71]
	ds_read_b128 v[70:73], v232 offset:1792
	ds_read_b128 v[74:77], v232 offset:1808
	;; [unrolled: 1-line block ×3, first 2 shown]
	v_mul_f64 v[88:89], v[88:89], v[94:95]
	v_fma_f64 v[238:239], v[86:87], v[250:251], -v[88:89]
	ds_read_b128 v[86:89], v232 offset:1856
	s_waitcnt lgkmcnt(3)
	v_mul_f64 v[84:85], v[70:71], v[168:169]
	v_fmac_f64_e32 v[84:85], v[72:73], v[172:173]
	s_waitcnt vmcnt(34) lgkmcnt(2)
	v_mul_f64 v[82:83], v[74:75], v[198:199]
	v_add_f64 v[0:1], v[0:1], v[84:85]
	s_waitcnt vmcnt(32)
	v_fmac_f64_e32 v[82:83], v[76:77], v[200:201]
	v_add_f64 v[0:1], v[0:1], v[82:83]
	s_waitcnt lgkmcnt(1)
	v_mul_f64 v[82:83], v[78:79], v[176:177]
	v_fmac_f64_e32 v[82:83], v[80:81], v[180:181]
	v_add_f64 v[0:1], v[0:1], v[82:83]
	ds_read_b128 v[82:85], v232 offset:1840
	v_mul_f64 v[92:93], v[92:93], v[116:117]
	v_fma_f64 v[240:241], v[90:91], v[248:249], -v[92:93]
	ds_read_b128 v[90:93], v232 offset:1872
	v_fma_f64 v[248:249], v[98:99], v[114:115], -v[100:101]
	s_waitcnt vmcnt(26) lgkmcnt(1)
	v_mul_f64 v[94:95], v[82:83], v[202:203]
	s_waitcnt vmcnt(24)
	v_fmac_f64_e32 v[94:95], v[84:85], v[204:205]
	v_add_f64 v[0:1], v[0:1], v[94:95]
	v_mul_f64 v[94:95], v[86:87], v[184:185]
	v_fmac_f64_e32 v[94:95], v[88:89], v[188:189]
	v_add_f64 v[0:1], v[0:1], v[94:95]
	ds_read_b128 v[94:97], v232 offset:1888
	ds_read_b128 v[98:101], v232 offset:1904
	v_mul_f64 v[104:105], v[104:105], v[244:245]
	v_mul_f64 v[112:113], v[112:113], v[230:231]
	v_fma_f64 v[250:251], v[102:103], v[246:247], -v[104:105]
	v_fma_f64 v[252:253], v[110:111], v[242:243], -v[112:113]
	ds_read_b128 v[110:113], v232 offset:1952
	v_mul_f64 v[4:5], v[4:5], v[118:119]
	v_fma_f64 v[2:3], v[2:3], v[124:125], -v[4:5]
	ds_read_b128 v[102:105], v232 offset:1936
	s_waitcnt vmcnt(21) lgkmcnt(4)
	v_mul_f64 v[106:107], v[90:91], v[208:209]
	s_waitcnt vmcnt(19)
	v_fmac_f64_e32 v[106:107], v[92:93], v[214:215]
	v_add_f64 v[0:1], v[0:1], v[106:107]
	s_waitcnt vmcnt(18) lgkmcnt(3)
	v_mul_f64 v[106:107], v[94:95], v[206:207]
	s_waitcnt vmcnt(16)
	v_fmac_f64_e32 v[106:107], v[96:97], v[212:213]
	v_add_f64 v[0:1], v[0:1], v[106:107]
	ds_read_b128 v[106:109], v232 offset:1920
	buffer_load_dword v243, off, s[0:3], 0 offset:1004
	buffer_load_dword v242, off, s[0:3], 0 offset:1000
	;; [unrolled: 1-line block ×4, first 2 shown]
	s_waitcnt vmcnt(18) lgkmcnt(3)
	v_mul_f64 v[114:115], v[98:99], v[210:211]
	s_waitcnt vmcnt(16)
	v_fmac_f64_e32 v[114:115], v[100:101], v[216:217]
	v_add_f64 v[0:1], v[0:1], v[114:115]
	s_waitcnt vmcnt(14) lgkmcnt(0)
	v_mul_f64 v[114:115], v[106:107], v[220:221]
	s_waitcnt vmcnt(12)
	v_fmac_f64_e32 v[114:115], v[108:109], v[222:223]
	v_add_f64 v[0:1], v[0:1], v[114:115]
	s_waitcnt vmcnt(9)
	v_mul_f64 v[114:115], v[102:103], v[226:227]
	s_waitcnt vmcnt(7)
	v_fmac_f64_e32 v[114:115], v[104:105], v[228:229]
	v_add_f64 v[0:1], v[0:1], v[114:115]
	s_waitcnt vmcnt(5)
	v_mul_f64 v[114:115], v[110:111], v[218:219]
	s_waitcnt vmcnt(4)
	v_fmac_f64_e32 v[114:115], v[112:113], v[224:225]
	v_add_f64 v[0:1], v[0:1], v[114:115]
	ds_read_b128 v[114:117], v232 offset:1968
	s_waitcnt vmcnt(2) lgkmcnt(0)
	v_mul_f64 v[230:231], v[114:115], v[242:243]
	s_waitcnt vmcnt(0)
	v_fmac_f64_e32 v[230:231], v[116:117], v[244:245]
	v_add_f64 v[230:231], v[0:1], v[230:231]
	v_add_f64 v[0:1], v[234:235], 0
	;; [unrolled: 1-line block ×6, first 2 shown]
	buffer_load_dword v248, off, s[0:3], 0 offset:416
	buffer_load_dword v249, off, s[0:3], 0 offset:420
	;; [unrolled: 1-line block ×4, first 2 shown]
	v_add_f64 v[0:1], v[254:255], v[250:251]
	v_add_f64 v[0:1], v[0:1], v[252:253]
	;; [unrolled: 1-line block ×3, first 2 shown]
	v_mul_f64 v[2:3], v[8:9], v[120:121]
	v_fma_f64 v[2:3], v[6:7], v[122:123], -v[2:3]
	v_add_f64 v[0:1], v[0:1], v[2:3]
	v_mul_f64 v[2:3], v[12:13], v[130:131]
	v_fma_f64 v[2:3], v[10:11], v[132:133], -v[2:3]
	v_add_f64 v[0:1], v[0:1], v[2:3]
	v_mul_f64 v[2:3], v[16:17], v[126:127]
	v_fma_f64 v[2:3], v[14:15], v[128:129], -v[2:3]
	v_add_f64 v[0:1], v[0:1], v[2:3]
	v_mul_f64 v[2:3], v[20:21], v[142:143]
	v_fma_f64 v[2:3], v[18:19], v[144:145], -v[2:3]
	v_add_f64 v[0:1], v[0:1], v[2:3]
	v_mul_f64 v[2:3], v[24:25], v[134:135]
	v_fma_f64 v[2:3], v[22:23], v[136:137], -v[2:3]
	v_add_f64 v[0:1], v[0:1], v[2:3]
	v_mul_f64 v[2:3], v[28:29], v[158:159]
	v_fma_f64 v[2:3], v[26:27], v[162:163], -v[2:3]
	v_add_f64 v[0:1], v[0:1], v[2:3]
	v_mul_f64 v[2:3], v[32:33], v[138:139]
	v_fma_f64 v[2:3], v[30:31], v[140:141], -v[2:3]
	v_add_f64 v[0:1], v[0:1], v[2:3]
	v_mul_f64 v[2:3], v[36:37], v[166:167]
	v_fma_f64 v[2:3], v[34:35], v[170:171], -v[2:3]
	v_add_f64 v[0:1], v[0:1], v[2:3]
	v_mul_f64 v[2:3], v[40:41], v[146:147]
	v_fma_f64 v[2:3], v[38:39], v[148:149], -v[2:3]
	v_add_f64 v[0:1], v[0:1], v[2:3]
	v_mul_f64 v[2:3], v[44:45], v[174:175]
	v_fma_f64 v[2:3], v[42:43], v[178:179], -v[2:3]
	v_add_f64 v[0:1], v[0:1], v[2:3]
	v_mul_f64 v[2:3], v[48:49], v[150:151]
	v_fma_f64 v[2:3], v[46:47], v[152:153], -v[2:3]
	v_add_f64 v[0:1], v[0:1], v[2:3]
	v_mul_f64 v[2:3], v[52:53], v[182:183]
	v_fma_f64 v[2:3], v[50:51], v[186:187], -v[2:3]
	v_add_f64 v[0:1], v[0:1], v[2:3]
	v_mul_f64 v[2:3], v[56:57], v[154:155]
	v_fma_f64 v[2:3], v[54:55], v[156:157], -v[2:3]
	v_add_f64 v[0:1], v[0:1], v[2:3]
	v_mul_f64 v[2:3], v[60:61], v[190:191]
	v_fma_f64 v[2:3], v[58:59], v[192:193], -v[2:3]
	v_add_f64 v[0:1], v[0:1], v[2:3]
	v_mul_f64 v[2:3], v[64:65], v[160:161]
	v_fma_f64 v[2:3], v[62:63], v[164:165], -v[2:3]
	v_add_f64 v[0:1], v[0:1], v[2:3]
	v_mul_f64 v[2:3], v[68:69], v[194:195]
	v_fma_f64 v[2:3], v[66:67], v[196:197], -v[2:3]
	v_add_f64 v[0:1], v[0:1], v[2:3]
	v_mul_f64 v[2:3], v[72:73], v[168:169]
	v_fma_f64 v[2:3], v[70:71], v[172:173], -v[2:3]
	v_add_f64 v[0:1], v[0:1], v[2:3]
	v_mul_f64 v[2:3], v[76:77], v[198:199]
	v_fma_f64 v[2:3], v[74:75], v[200:201], -v[2:3]
	v_add_f64 v[0:1], v[0:1], v[2:3]
	v_mul_f64 v[2:3], v[80:81], v[176:177]
	v_fma_f64 v[2:3], v[78:79], v[180:181], -v[2:3]
	v_add_f64 v[0:1], v[0:1], v[2:3]
	v_mul_f64 v[2:3], v[84:85], v[202:203]
	v_fma_f64 v[2:3], v[82:83], v[204:205], -v[2:3]
	v_add_f64 v[0:1], v[0:1], v[2:3]
	v_mul_f64 v[2:3], v[88:89], v[184:185]
	v_fma_f64 v[2:3], v[86:87], v[188:189], -v[2:3]
	v_add_f64 v[0:1], v[0:1], v[2:3]
	v_mul_f64 v[2:3], v[92:93], v[208:209]
	v_fma_f64 v[2:3], v[90:91], v[214:215], -v[2:3]
	v_add_f64 v[0:1], v[0:1], v[2:3]
	v_mul_f64 v[2:3], v[96:97], v[206:207]
	v_fma_f64 v[2:3], v[94:95], v[212:213], -v[2:3]
	v_add_f64 v[0:1], v[0:1], v[2:3]
	v_mul_f64 v[2:3], v[100:101], v[210:211]
	v_fma_f64 v[2:3], v[98:99], v[216:217], -v[2:3]
	v_add_f64 v[0:1], v[0:1], v[2:3]
	v_mul_f64 v[2:3], v[108:109], v[220:221]
	v_fma_f64 v[2:3], v[106:107], v[222:223], -v[2:3]
	v_add_f64 v[0:1], v[0:1], v[2:3]
	v_mul_f64 v[2:3], v[104:105], v[226:227]
	v_fma_f64 v[2:3], v[102:103], v[228:229], -v[2:3]
	v_add_f64 v[0:1], v[0:1], v[2:3]
	v_mul_f64 v[2:3], v[112:113], v[218:219]
	v_fma_f64 v[2:3], v[110:111], v[224:225], -v[2:3]
	v_add_f64 v[0:1], v[0:1], v[2:3]
	v_mul_f64 v[2:3], v[116:117], v[242:243]
	v_fma_f64 v[2:3], v[114:115], v[244:245], -v[2:3]
	v_add_f64 v[0:1], v[0:1], v[2:3]
	s_waitcnt vmcnt(2)
	v_add_f64 v[0:1], v[248:249], -v[0:1]
	s_waitcnt vmcnt(0)
	v_add_f64 v[2:3], v[246:247], -v[230:231]
	buffer_store_dword v1, off, s[0:3], 0 offset:420
	buffer_store_dword v0, off, s[0:3], 0 offset:416
	;; [unrolled: 1-line block ×4, first 2 shown]
	s_and_saveexec_b64 s[4:5], vcc
	s_cbranch_execz .LBB61_349
; %bb.348:
	v_accvgpr_read_b32 v0, a161
	buffer_load_dword v2, v0, s[0:3], 0 offen
	buffer_load_dword v3, v0, s[0:3], 0 offen offset:4
	buffer_load_dword v4, v0, s[0:3], 0 offen offset:8
	buffer_load_dword v5, v0, s[0:3], 0 offen offset:12
	v_mov_b32_e32 v0, 0
	v_accvgpr_read_b32 v1, a186
	buffer_store_dword v0, off, s[0:3], 0 offset:400
	buffer_store_dword v0, off, s[0:3], 0 offset:404
	;; [unrolled: 1-line block ×4, first 2 shown]
	s_waitcnt vmcnt(4)
	ds_write_b128 v1, v[2:5]
.LBB61_349:
	s_or_b64 exec, exec, s[4:5]
	s_waitcnt lgkmcnt(0)
	; wave barrier
	s_waitcnt lgkmcnt(0)
	buffer_load_dword v66, off, s[0:3], 0 offset:416
	buffer_load_dword v67, off, s[0:3], 0 offset:420
	;; [unrolled: 1-line block ×55, first 2 shown]
	v_mov_b32_e32 v232, 0
	ds_read_b128 v[74:77], v232 offset:1392
	ds_read_b128 v[86:89], v232 offset:1408
	;; [unrolled: 1-line block ×9, first 2 shown]
	buffer_load_dword v136, off, s[0:3], 0 offset:640
	buffer_load_dword v155, off, s[0:3], 0 offset:636
	;; [unrolled: 1-line block ×61, first 2 shown]
	v_cmp_lt_u32_e32 vcc, 23, v233
	s_waitcnt vmcnt(62) lgkmcnt(8)
	v_mul_f64 v[0:1], v[74:75], v[68:69]
	v_fmac_f64_e32 v[0:1], v[76:77], v[66:67]
	v_add_f64 v[0:1], v[0:1], 0
	v_mul_f64 v[68:69], v[76:77], v[68:69]
	s_waitcnt lgkmcnt(7)
	v_mul_f64 v[6:7], v[86:87], v[72:73]
	v_fmac_f64_e32 v[6:7], v[88:89], v[70:71]
	s_waitcnt lgkmcnt(6)
	v_mul_f64 v[8:9], v[98:99], v[78:79]
	v_add_f64 v[0:1], v[0:1], v[6:7]
	s_waitcnt lgkmcnt(4)
	v_mul_f64 v[12:13], v[114:115], v[90:91]
	v_fma_f64 v[246:247], v[74:75], v[66:67], -v[68:69]
	v_fmac_f64_e32 v[12:13], v[116:117], v[92:93]
	v_mul_f64 v[72:73], v[88:89], v[72:73]
	v_mul_f64 v[10:11], v[110:111], v[82:83]
	v_fma_f64 v[248:249], v[86:87], v[70:71], -v[72:73]
	s_waitcnt lgkmcnt(2)
	v_mul_f64 v[16:17], v[238:239], v[102:103]
	v_mul_f64 v[78:79], v[100:101], v[78:79]
	;; [unrolled: 1-line block ×5, first 2 shown]
	s_waitcnt lgkmcnt(1)
	v_mul_f64 v[18:19], v[242:243], v[106:107]
	v_fmac_f64_e32 v[18:19], v[244:245], v[108:109]
	v_fmac_f64_e32 v[8:9], v[100:101], v[80:81]
	v_add_f64 v[0:1], v[0:1], v[8:9]
	v_fmac_f64_e32 v[10:11], v[112:113], v[84:85]
	v_add_f64 v[0:1], v[0:1], v[10:11]
	;; [unrolled: 2-line block ×3, first 2 shown]
	ds_read_b128 v[6:9], v232 offset:1536
	v_fmac_f64_e32 v[16:17], v[240:241], v[104:105]
	v_add_f64 v[0:1], v[0:1], v[14:15]
	v_add_f64 v[0:1], v[0:1], v[16:17]
	s_waitcnt lgkmcnt(1)
	v_mul_f64 v[10:11], v[2:3], v[118:119]
	v_add_f64 v[0:1], v[0:1], v[18:19]
	v_fmac_f64_e32 v[10:11], v[4:5], v[120:121]
	v_add_f64 v[0:1], v[0:1], v[10:11]
	ds_read_b128 v[10:13], v232 offset:1552
	s_waitcnt lgkmcnt(1)
	v_mul_f64 v[14:15], v[6:7], v[126:127]
	v_fmac_f64_e32 v[14:15], v[8:9], v[128:129]
	v_add_f64 v[0:1], v[0:1], v[14:15]
	ds_read_b128 v[14:17], v232 offset:1568
	s_waitcnt lgkmcnt(1)
	v_mul_f64 v[18:19], v[10:11], v[122:123]
	;; [unrolled: 5-line block ×4, first 2 shown]
	v_fmac_f64_e32 v[26:27], v[20:21], v[132:133]
	v_add_f64 v[0:1], v[0:1], v[26:27]
	ds_read_b128 v[26:29], v232 offset:1616
	s_waitcnt vmcnt(58) lgkmcnt(1)
	v_mul_f64 v[30:31], v[22:23], v[154:155]
	s_waitcnt vmcnt(56)
	v_fmac_f64_e32 v[30:31], v[24:25], v[158:159]
	v_add_f64 v[0:1], v[0:1], v[30:31]
	ds_read_b128 v[30:33], v232 offset:1632
	s_waitcnt lgkmcnt(1)
	v_mul_f64 v[34:35], v[26:27], v[134:135]
	v_fmac_f64_e32 v[34:35], v[28:29], v[136:137]
	v_add_f64 v[0:1], v[0:1], v[34:35]
	ds_read_b128 v[34:37], v232 offset:1648
	s_waitcnt vmcnt(50) lgkmcnt(1)
	v_mul_f64 v[38:39], v[30:31], v[162:163]
	s_waitcnt vmcnt(48)
	v_fmac_f64_e32 v[38:39], v[32:33], v[166:167]
	v_add_f64 v[0:1], v[0:1], v[38:39]
	ds_read_b128 v[38:41], v232 offset:1664
	s_waitcnt lgkmcnt(1)
	v_mul_f64 v[42:43], v[34:35], v[142:143]
	v_fmac_f64_e32 v[42:43], v[36:37], v[144:145]
	v_add_f64 v[0:1], v[0:1], v[42:43]
	ds_read_b128 v[42:45], v232 offset:1680
	s_waitcnt vmcnt(42) lgkmcnt(1)
	v_mul_f64 v[46:47], v[38:39], v[170:171]
	s_waitcnt vmcnt(40)
	v_fmac_f64_e32 v[46:47], v[40:41], v[174:175]
	v_add_f64 v[0:1], v[0:1], v[46:47]
	ds_read_b128 v[46:49], v232 offset:1696
	buffer_load_dword v203, off, s[0:3], 0 offset:892
	buffer_load_dword v202, off, s[0:3], 0 offset:888
	;; [unrolled: 1-line block ×4, first 2 shown]
	s_waitcnt lgkmcnt(1)
	v_mul_f64 v[50:51], v[42:43], v[146:147]
	v_fmac_f64_e32 v[50:51], v[44:45], v[148:149]
	v_add_f64 v[0:1], v[0:1], v[50:51]
	ds_read_b128 v[50:53], v232 offset:1712
	buffer_load_dword v207, off, s[0:3], 0 offset:908
	buffer_load_dword v206, off, s[0:3], 0 offset:904
	buffer_load_dword v211, off, s[0:3], 0 offset:900
	buffer_load_dword v210, off, s[0:3], 0 offset:896
	buffer_load_dword v209, off, s[0:3], 0 offset:924
	buffer_load_dword v208, off, s[0:3], 0 offset:920
	buffer_load_dword v213, off, s[0:3], 0 offset:916
	buffer_load_dword v212, off, s[0:3], 0 offset:912
	s_waitcnt vmcnt(46) lgkmcnt(1)
	v_mul_f64 v[54:55], v[46:47], v[178:179]
	s_waitcnt vmcnt(44)
	v_fmac_f64_e32 v[54:55], v[48:49], v[182:183]
	v_add_f64 v[0:1], v[0:1], v[54:55]
	ds_read_b128 v[54:57], v232 offset:1728
	buffer_load_dword v217, off, s[0:3], 0 offset:940
	buffer_load_dword v216, off, s[0:3], 0 offset:936
	;; [unrolled: 1-line block ×12, first 2 shown]
	s_waitcnt lgkmcnt(1)
	v_mul_f64 v[58:59], v[50:51], v[150:151]
	v_fmac_f64_e32 v[58:59], v[52:53], v[152:153]
	v_add_f64 v[0:1], v[0:1], v[58:59]
	ds_read_b128 v[58:61], v232 offset:1744
	s_waitcnt vmcnt(50) lgkmcnt(1)
	v_mul_f64 v[62:63], v[54:55], v[186:187]
	s_waitcnt vmcnt(48)
	v_fmac_f64_e32 v[62:63], v[56:57], v[188:189]
	v_add_f64 v[0:1], v[0:1], v[62:63]
	buffer_load_dword v227, off, s[0:3], 0 offset:988
	buffer_load_dword v226, off, s[0:3], 0 offset:984
	buffer_load_dword v229, off, s[0:3], 0 offset:980
	buffer_load_dword v228, off, s[0:3], 0 offset:976
	s_waitcnt lgkmcnt(0)
	v_mul_f64 v[62:63], v[58:59], v[156:157]
	v_fmac_f64_e32 v[62:63], v[60:61], v[160:161]
	v_add_f64 v[0:1], v[0:1], v[62:63]
	ds_read_b128 v[62:65], v232 offset:1760
	ds_read_b128 v[66:69], v232 offset:1776
	;; [unrolled: 1-line block ×3, first 2 shown]
	v_fma_f64 v[252:253], v[98:99], v[80:81], -v[78:79]
	ds_read_b128 v[78:81], v232 offset:1824
	s_waitcnt vmcnt(46) lgkmcnt(3)
	v_mul_f64 v[74:75], v[62:63], v[190:191]
	s_waitcnt vmcnt(44)
	v_fmac_f64_e32 v[74:75], v[64:65], v[192:193]
	v_add_f64 v[0:1], v[0:1], v[74:75]
	s_waitcnt lgkmcnt(2)
	v_mul_f64 v[74:75], v[66:67], v[164:165]
	v_fmac_f64_e32 v[74:75], v[68:69], v[168:169]
	v_add_f64 v[0:1], v[0:1], v[74:75]
	ds_read_b128 v[74:77], v232 offset:1808
	s_waitcnt vmcnt(38) lgkmcnt(2)
	v_mul_f64 v[86:87], v[70:71], v[194:195]
	s_waitcnt vmcnt(36)
	v_fmac_f64_e32 v[86:87], v[72:73], v[196:197]
	v_fma_f64 v[254:255], v[110:111], v[84:85], -v[82:83]
	ds_read_b128 v[82:85], v232 offset:1840
	v_add_f64 v[0:1], v[0:1], v[86:87]
	s_waitcnt lgkmcnt(1)
	v_mul_f64 v[86:87], v[74:75], v[172:173]
	v_fmac_f64_e32 v[86:87], v[76:77], v[176:177]
	v_add_f64 v[0:1], v[0:1], v[86:87]
	s_waitcnt vmcnt(30)
	v_mul_f64 v[86:87], v[78:79], v[198:199]
	s_waitcnt vmcnt(28)
	v_fmac_f64_e32 v[86:87], v[80:81], v[200:201]
	v_add_f64 v[0:1], v[0:1], v[86:87]
	s_waitcnt lgkmcnt(0)
	v_mul_f64 v[86:87], v[82:83], v[180:181]
	v_fmac_f64_e32 v[86:87], v[84:85], v[184:185]
	v_add_f64 v[0:1], v[0:1], v[86:87]
	ds_read_b128 v[86:89], v232 offset:1856
	v_fma_f64 v[230:231], v[114:115], v[92:93], -v[90:91]
	ds_read_b128 v[90:93], v232 offset:1872
	v_mul_f64 v[94:95], v[236:237], v[94:95]
	v_fma_f64 v[234:235], v[234:235], v[96:97], -v[94:95]
	ds_read_b128 v[94:97], v232 offset:1888
	v_mul_f64 v[102:103], v[240:241], v[102:103]
	;; [unrolled: 3-line block ×3, first 2 shown]
	v_fma_f64 v[250:251], v[242:243], v[108:109], -v[106:107]
	v_mul_f64 v[4:5], v[4:5], v[118:119]
	v_fma_f64 v[2:3], v[2:3], v[120:121], -v[4:5]
	v_mul_f64 v[4:5], v[8:9], v[126:127]
	v_fma_f64 v[4:5], v[6:7], v[128:129], -v[4:5]
	ds_read_b128 v[106:109], v232 offset:1936
	s_waitcnt vmcnt(26) lgkmcnt(4)
	v_mul_f64 v[98:99], v[86:87], v[202:203]
	s_waitcnt vmcnt(24)
	v_fmac_f64_e32 v[98:99], v[88:89], v[204:205]
	v_add_f64 v[0:1], v[0:1], v[98:99]
	s_waitcnt vmcnt(22) lgkmcnt(3)
	v_mul_f64 v[98:99], v[90:91], v[206:207]
	s_waitcnt vmcnt(20)
	v_fmac_f64_e32 v[98:99], v[92:93], v[210:211]
	v_add_f64 v[0:1], v[0:1], v[98:99]
	;; [unrolled: 5-line block ×3, first 2 shown]
	ds_read_b128 v[98:101], v232 offset:1904
	s_waitcnt vmcnt(14) lgkmcnt(0)
	v_mul_f64 v[110:111], v[98:99], v[216:217]
	s_waitcnt vmcnt(12)
	v_fmac_f64_e32 v[110:111], v[100:101], v[218:219]
	v_add_f64 v[0:1], v[0:1], v[110:111]
	s_waitcnt vmcnt(9)
	v_mul_f64 v[110:111], v[102:103], v[222:223]
	s_waitcnt vmcnt(7)
	v_fmac_f64_e32 v[110:111], v[104:105], v[224:225]
	v_add_f64 v[0:1], v[0:1], v[110:111]
	s_waitcnt vmcnt(5)
	v_mul_f64 v[110:111], v[106:107], v[214:215]
	s_waitcnt vmcnt(4)
	v_fmac_f64_e32 v[110:111], v[108:109], v[220:221]
	v_add_f64 v[0:1], v[0:1], v[110:111]
	ds_read_b128 v[110:113], v232 offset:1952
	buffer_load_dword v242, off, s[0:3], 0 offset:1000
	buffer_load_dword v243, off, s[0:3], 0 offset:1004
	;; [unrolled: 1-line block ×4, first 2 shown]
	s_waitcnt vmcnt(6) lgkmcnt(0)
	v_mul_f64 v[114:115], v[110:111], v[226:227]
	s_waitcnt vmcnt(4)
	v_fmac_f64_e32 v[114:115], v[112:113], v[228:229]
	v_add_f64 v[0:1], v[0:1], v[114:115]
	ds_read_b128 v[114:117], v232 offset:1968
	s_waitcnt vmcnt(2) lgkmcnt(0)
	v_mul_f64 v[238:239], v[114:115], v[242:243]
	s_waitcnt vmcnt(0)
	v_fmac_f64_e32 v[238:239], v[116:117], v[244:245]
	v_add_f64 v[0:1], v[0:1], v[238:239]
	v_add_f64 v[238:239], v[246:247], 0
	;; [unrolled: 1-line block ×3, first 2 shown]
	buffer_load_dword v248, off, s[0:3], 0 offset:400
	buffer_load_dword v249, off, s[0:3], 0 offset:404
	;; [unrolled: 1-line block ×4, first 2 shown]
	v_add_f64 v[238:239], v[238:239], v[252:253]
	v_add_f64 v[238:239], v[238:239], v[254:255]
	v_add_f64 v[230:231], v[238:239], v[230:231]
	v_add_f64 v[230:231], v[230:231], v[234:235]
	v_add_f64 v[252:253], v[230:231], v[236:237]
	v_add_f64 v[230:231], v[252:253], v[250:251]
	v_add_f64 v[2:3], v[230:231], v[2:3]
	v_add_f64 v[2:3], v[2:3], v[4:5]
	v_mul_f64 v[4:5], v[12:13], v[122:123]
	v_fma_f64 v[4:5], v[10:11], v[124:125], -v[4:5]
	v_add_f64 v[2:3], v[2:3], v[4:5]
	v_mul_f64 v[4:5], v[16:17], v[138:139]
	v_fma_f64 v[4:5], v[14:15], v[140:141], -v[4:5]
	v_add_f64 v[2:3], v[2:3], v[4:5]
	;; [unrolled: 3-line block ×27, first 2 shown]
	s_waitcnt vmcnt(2)
	v_add_f64 v[2:3], v[248:249], -v[2:3]
	s_waitcnt vmcnt(0)
	v_add_f64 v[0:1], v[246:247], -v[0:1]
	buffer_store_dword v3, off, s[0:3], 0 offset:404
	buffer_store_dword v2, off, s[0:3], 0 offset:400
	;; [unrolled: 1-line block ×4, first 2 shown]
	s_and_saveexec_b64 s[4:5], vcc
	s_cbranch_execz .LBB61_351
; %bb.350:
	v_accvgpr_read_b32 v0, a162
	buffer_load_dword v2, v0, s[0:3], 0 offen
	buffer_load_dword v3, v0, s[0:3], 0 offen offset:4
	buffer_load_dword v4, v0, s[0:3], 0 offen offset:8
	;; [unrolled: 1-line block ×3, first 2 shown]
	v_accvgpr_read_b32 v0, a186
	buffer_store_dword v232, off, s[0:3], 0 offset:384
	buffer_store_dword v232, off, s[0:3], 0 offset:388
	;; [unrolled: 1-line block ×4, first 2 shown]
	s_waitcnt vmcnt(4)
	ds_write_b128 v0, v[2:5]
.LBB61_351:
	s_or_b64 exec, exec, s[4:5]
	s_waitcnt lgkmcnt(0)
	; wave barrier
	s_waitcnt lgkmcnt(0)
	buffer_load_dword v66, off, s[0:3], 0 offset:400
	buffer_load_dword v67, off, s[0:3], 0 offset:404
	buffer_load_dword v68, off, s[0:3], 0 offset:408
	buffer_load_dword v69, off, s[0:3], 0 offset:412
	buffer_load_dword v62, off, s[0:3], 0 offset:416
	buffer_load_dword v63, off, s[0:3], 0 offset:420
	buffer_load_dword v64, off, s[0:3], 0 offset:424
	buffer_load_dword v65, off, s[0:3], 0 offset:428
	buffer_load_dword v70, off, s[0:3], 0 offset:440
	buffer_load_dword v71, off, s[0:3], 0 offset:444
	buffer_load_dword v83, off, s[0:3], 0 offset:476
	buffer_load_dword v82, off, s[0:3], 0 offset:472
	buffer_load_dword v85, off, s[0:3], 0 offset:468
	buffer_load_dword v84, off, s[0:3], 0 offset:464
	buffer_load_dword v75, off, s[0:3], 0 offset:460
	buffer_load_dword v74, off, s[0:3], 0 offset:456
	buffer_load_dword v95, off, s[0:3], 0 offset:508
	buffer_load_dword v94, off, s[0:3], 0 offset:504
	buffer_load_dword v97, off, s[0:3], 0 offset:500
	buffer_load_dword v96, off, s[0:3], 0 offset:496
	buffer_load_dword v87, off, s[0:3], 0 offset:492
	buffer_load_dword v86, off, s[0:3], 0 offset:488
	buffer_load_dword v107, off, s[0:3], 0 offset:540
	buffer_load_dword v106, off, s[0:3], 0 offset:536
	buffer_load_dword v108, off, s[0:3], 0 offset:528
	buffer_load_dword v99, off, s[0:3], 0 offset:524
	buffer_load_dword v98, off, s[0:3], 0 offset:520
	buffer_load_dword v5, off, s[0:3], 0 offset:556
	buffer_load_dword v4, off, s[0:3], 0 offset:552
	buffer_load_dword v72, off, s[0:3], 0 offset:432
	buffer_load_dword v73, off, s[0:3], 0 offset:436
	buffer_load_dword v77, off, s[0:3], 0 offset:452
	buffer_load_dword v76, off, s[0:3], 0 offset:448
	buffer_load_dword v89, off, s[0:3], 0 offset:484
	buffer_load_dword v88, off, s[0:3], 0 offset:480
	buffer_load_dword v101, off, s[0:3], 0 offset:516
	buffer_load_dword v100, off, s[0:3], 0 offset:512
	buffer_load_dword v109, off, s[0:3], 0 offset:532
	buffer_load_dword v0, off, s[0:3], 0 offset:568
	buffer_load_dword v122, off, s[0:3], 0 offset:560
	buffer_load_dword v123, off, s[0:3], 0 offset:564
	buffer_load_dword v1, off, s[0:3], 0 offset:572
	ds_read_b128 v[78:81], v232 offset:1376
	ds_read_b128 v[90:93], v232 offset:1392
	;; [unrolled: 1-line block ×10, first 2 shown]
	buffer_load_dword v129, off, s[0:3], 0 offset:548
	buffer_load_dword v128, off, s[0:3], 0 offset:544
	ds_read_b128 v[6:9], v232 offset:1536
	buffer_load_dword v125, off, s[0:3], 0 offset:604
	buffer_load_dword v124, off, s[0:3], 0 offset:600
	;; [unrolled: 1-line block ×80, first 2 shown]
	s_waitcnt vmcnt(62) lgkmcnt(9)
	v_mul_f64 v[10:11], v[90:91], v[64:65]
	v_fmac_f64_e32 v[10:11], v[92:93], v[62:63]
	s_waitcnt lgkmcnt(8)
	v_mul_f64 v[12:13], v[102:103], v[70:71]
	v_mul_f64 v[64:65], v[92:93], v[64:65]
	s_waitcnt lgkmcnt(6)
	v_mul_f64 v[16:17], v[114:115], v[82:83]
	v_fma_f64 v[230:231], v[90:91], v[62:63], -v[64:65]
	v_fmac_f64_e32 v[16:17], v[116:117], v[84:85]
	v_mul_f64 v[70:71], v[104:105], v[70:71]
	v_mul_f64 v[14:15], v[110:111], v[74:75]
	;; [unrolled: 1-line block ×3, first 2 shown]
	s_waitcnt lgkmcnt(4)
	v_mul_f64 v[20:21], v[238:239], v[94:95]
	v_mul_f64 v[82:83], v[116:117], v[82:83]
	v_fmac_f64_e32 v[20:21], v[240:241], v[96:97]
	v_mul_f64 v[94:95], v[240:241], v[94:95]
	v_mul_f64 v[18:19], v[234:235], v[86:87]
	v_mul_f64 v[86:87], v[236:237], v[86:87]
	s_waitcnt lgkmcnt(2)
	v_mul_f64 v[24:25], v[246:247], v[106:107]
	v_fma_f64 v[240:241], v[238:239], v[96:97], -v[94:95]
	v_mul_f64 v[106:107], v[248:249], v[106:107]
	v_mul_f64 v[22:23], v[242:243], v[98:99]
	;; [unrolled: 1-line block ×3, first 2 shown]
	s_waitcnt lgkmcnt(1)
	v_mul_f64 v[26:27], v[118:119], v[4:5]
	v_mul_f64 v[4:5], v[120:121], v[4:5]
	v_fmac_f64_e32 v[12:13], v[104:105], v[72:73]
	v_fma_f64 v[250:251], v[102:103], v[72:73], -v[70:71]
	v_fmac_f64_e32 v[14:15], v[112:113], v[76:77]
	v_fma_f64 v[252:253], v[110:111], v[76:77], -v[74:75]
	;; [unrolled: 2-line block ×3, first 2 shown]
	v_fmac_f64_e32 v[22:23], v[244:245], v[100:101]
	v_fmac_f64_e32 v[24:25], v[248:249], v[108:109]
	v_fma_f64 v[238:239], v[242:243], v[100:101], -v[98:99]
	v_fma_f64 v[236:237], v[246:247], v[108:109], -v[106:107]
	v_pk_mov_b32 v[2:3], v[0:1], v[0:1] op_sel:[0,1]
	v_mul_f64 v[0:1], v[78:79], v[68:69]
	v_fmac_f64_e32 v[0:1], v[80:81], v[66:67]
	v_add_f64 v[0:1], v[0:1], 0
	v_add_f64 v[0:1], v[0:1], v[10:11]
	;; [unrolled: 1-line block ×9, first 2 shown]
	v_fmac_f64_e32 v[26:27], v[120:121], v[128:129]
	ds_read_b128 v[10:13], v232 offset:1552
	s_waitcnt lgkmcnt(1)
	v_mul_f64 v[14:15], v[6:7], v[2:3]
	v_add_f64 v[0:1], v[0:1], v[26:27]
	v_fmac_f64_e32 v[14:15], v[8:9], v[122:123]
	v_add_f64 v[0:1], v[0:1], v[14:15]
	ds_read_b128 v[14:17], v232 offset:1568
	s_waitcnt lgkmcnt(1)
	v_mul_f64 v[18:19], v[10:11], v[130:131]
	v_fmac_f64_e32 v[18:19], v[12:13], v[146:147]
	v_add_f64 v[0:1], v[0:1], v[18:19]
	ds_read_b128 v[18:21], v232 offset:1584
	s_waitcnt lgkmcnt(1)
	v_mul_f64 v[22:23], v[14:15], v[124:125]
	;; [unrolled: 5-line block ×4, first 2 shown]
	v_fmac_f64_e32 v[30:31], v[24:25], v[134:135]
	v_add_f64 v[0:1], v[0:1], v[30:31]
	ds_read_b128 v[30:33], v232 offset:1632
	s_waitcnt vmcnt(58) lgkmcnt(1)
	v_mul_f64 v[34:35], v[26:27], v[158:159]
	s_waitcnt vmcnt(56)
	v_fmac_f64_e32 v[34:35], v[28:29], v[162:163]
	v_add_f64 v[0:1], v[0:1], v[34:35]
	ds_read_b128 v[34:37], v232 offset:1648
	s_waitcnt lgkmcnt(1)
	v_mul_f64 v[38:39], v[30:31], v[136:137]
	v_fmac_f64_e32 v[38:39], v[32:33], v[138:139]
	v_add_f64 v[0:1], v[0:1], v[38:39]
	ds_read_b128 v[38:41], v232 offset:1664
	s_waitcnt vmcnt(50) lgkmcnt(1)
	v_mul_f64 v[42:43], v[34:35], v[166:167]
	s_waitcnt vmcnt(48)
	v_fmac_f64_e32 v[42:43], v[36:37], v[170:171]
	v_add_f64 v[0:1], v[0:1], v[42:43]
	ds_read_b128 v[42:45], v232 offset:1680
	s_waitcnt lgkmcnt(1)
	v_mul_f64 v[46:47], v[38:39], v[140:141]
	;; [unrolled: 11-line block ×3, first 2 shown]
	buffer_load_dword v207, off, s[0:3], 0 offset:908
	buffer_load_dword v206, off, s[0:3], 0 offset:904
	;; [unrolled: 1-line block ×4, first 2 shown]
	v_fmac_f64_e32 v[54:55], v[48:49], v[148:149]
	v_add_f64 v[0:1], v[0:1], v[54:55]
	ds_read_b128 v[54:57], v232 offset:1728
	buffer_load_dword v212, off, s[0:3], 0 offset:920
	buffer_load_dword v214, off, s[0:3], 0 offset:912
	;; [unrolled: 1-line block ×16, first 2 shown]
	s_waitcnt vmcnt(54) lgkmcnt(1)
	v_mul_f64 v[58:59], v[50:51], v[182:183]
	s_waitcnt vmcnt(52)
	v_fmac_f64_e32 v[58:59], v[52:53], v[186:187]
	v_add_f64 v[0:1], v[0:1], v[58:59]
	ds_read_b128 v[58:61], v232 offset:1744
	v_mul_f64 v[68:69], v[80:81], v[68:69]
	buffer_load_dword v226, off, s[0:3], 0 offset:984
	buffer_load_dword v228, off, s[0:3], 0 offset:976
	;; [unrolled: 1-line block ×4, first 2 shown]
	ds_read_b128 v[62:65], v232 offset:1760
	ds_read_b128 v[70:73], v232 offset:1792
	v_fma_f64 v[254:255], v[78:79], v[66:67], -v[68:69]
	s_waitcnt lgkmcnt(3)
	v_mul_f64 v[66:67], v[54:55], v[152:153]
	v_fmac_f64_e32 v[66:67], v[56:57], v[156:157]
	v_add_f64 v[0:1], v[0:1], v[66:67]
	s_waitcnt vmcnt(50) lgkmcnt(2)
	v_mul_f64 v[66:67], v[58:59], v[190:191]
	s_waitcnt vmcnt(48)
	v_fmac_f64_e32 v[66:67], v[60:61], v[192:193]
	v_add_f64 v[0:1], v[0:1], v[66:67]
	s_waitcnt lgkmcnt(1)
	v_mul_f64 v[66:67], v[62:63], v[160:161]
	v_fmac_f64_e32 v[66:67], v[64:65], v[164:165]
	v_add_f64 v[0:1], v[0:1], v[66:67]
	ds_read_b128 v[66:69], v232 offset:1776
	ds_read_b128 v[74:77], v232 offset:1808
	v_accvgpr_write_b32 a189, v3
	v_accvgpr_write_b32 a188, v2
	v_fma_f64 v[2:3], v[114:115], v[84:85], -v[82:83]
	s_waitcnt vmcnt(42) lgkmcnt(1)
	v_mul_f64 v[78:79], v[66:67], v[194:195]
	s_waitcnt vmcnt(40)
	v_fmac_f64_e32 v[78:79], v[68:69], v[196:197]
	v_add_f64 v[0:1], v[0:1], v[78:79]
	v_mul_f64 v[78:79], v[70:71], v[168:169]
	v_fmac_f64_e32 v[78:79], v[72:73], v[172:173]
	v_add_f64 v[0:1], v[0:1], v[78:79]
	ds_read_b128 v[78:81], v232 offset:1824
	ds_read_b128 v[82:85], v232 offset:1840
	s_waitcnt vmcnt(34) lgkmcnt(2)
	v_mul_f64 v[90:91], v[74:75], v[198:199]
	s_waitcnt vmcnt(32)
	v_fmac_f64_e32 v[90:91], v[76:77], v[200:201]
	ds_read_b128 v[86:89], v232 offset:1856
	ds_read_b128 v[94:97], v232 offset:1888
	v_add_f64 v[0:1], v[0:1], v[90:91]
	s_waitcnt lgkmcnt(3)
	v_mul_f64 v[90:91], v[78:79], v[176:177]
	v_fmac_f64_e32 v[90:91], v[80:81], v[180:181]
	v_add_f64 v[0:1], v[0:1], v[90:91]
	s_waitcnt vmcnt(26) lgkmcnt(2)
	v_mul_f64 v[90:91], v[82:83], v[202:203]
	s_waitcnt vmcnt(24)
	v_fmac_f64_e32 v[90:91], v[84:85], v[204:205]
	v_add_f64 v[0:1], v[0:1], v[90:91]
	s_waitcnt lgkmcnt(1)
	v_mul_f64 v[90:91], v[86:87], v[184:185]
	v_fmac_f64_e32 v[90:91], v[88:89], v[188:189]
	v_add_f64 v[0:1], v[0:1], v[90:91]
	ds_read_b128 v[90:93], v232 offset:1872
	ds_read_b128 v[98:101], v232 offset:1904
	v_fma_f64 v[4:5], v[118:119], v[128:129], -v[4:5]
	ds_read_b128 v[106:109], v232 offset:1936
	s_waitcnt vmcnt(13) lgkmcnt(1)
	v_mul_f64 v[110:111], v[98:99], v[216:217]
	v_mul_f64 v[102:103], v[90:91], v[206:207]
	s_waitcnt vmcnt(11)
	v_fmac_f64_e32 v[110:111], v[100:101], v[222:223]
	v_fmac_f64_e32 v[102:103], v[92:93], v[208:209]
	v_add_f64 v[0:1], v[0:1], v[102:103]
	v_mul_f64 v[102:103], v[94:95], v[212:213]
	v_fmac_f64_e32 v[102:103], v[96:97], v[214:215]
	v_add_f64 v[0:1], v[0:1], v[102:103]
	ds_read_b128 v[102:105], v232 offset:1920
	v_add_f64 v[0:1], v[0:1], v[110:111]
	s_waitcnt vmcnt(10) lgkmcnt(0)
	v_mul_f64 v[110:111], v[102:103], v[210:211]
	s_waitcnt vmcnt(8)
	v_fmac_f64_e32 v[110:111], v[104:105], v[220:221]
	v_add_f64 v[0:1], v[0:1], v[110:111]
	s_waitcnt vmcnt(6)
	v_mul_f64 v[110:111], v[106:107], v[218:219]
	s_waitcnt vmcnt(4)
	v_fmac_f64_e32 v[110:111], v[108:109], v[224:225]
	v_add_f64 v[0:1], v[0:1], v[110:111]
	ds_read_b128 v[110:113], v232 offset:1952
	buffer_load_dword v243, off, s[0:3], 0 offset:1004
	buffer_load_dword v242, off, s[0:3], 0 offset:1000
	;; [unrolled: 1-line block ×4, first 2 shown]
	s_waitcnt vmcnt(5) lgkmcnt(0)
	v_mul_f64 v[114:115], v[110:111], v[226:227]
	s_waitcnt vmcnt(4)
	v_fmac_f64_e32 v[114:115], v[112:113], v[228:229]
	v_add_f64 v[0:1], v[0:1], v[114:115]
	ds_read_b128 v[114:117], v232 offset:1968
	buffer_load_dword v248, off, s[0:3], 0 offset:384
	buffer_load_dword v249, off, s[0:3], 0 offset:388
	;; [unrolled: 1-line block ×4, first 2 shown]
	s_waitcnt vmcnt(6) lgkmcnt(0)
	v_mul_f64 v[232:233], v[114:115], v[242:243]
	s_waitcnt vmcnt(4)
	v_fmac_f64_e32 v[232:233], v[116:117], v[244:245]
	v_add_f64 v[0:1], v[0:1], v[232:233]
	v_add_f64 v[232:233], v[254:255], 0
	;; [unrolled: 1-line block ×11, first 2 shown]
	v_accvgpr_read_b32 v4, a188
	v_accvgpr_read_b32 v5, a189
	v_mul_f64 v[4:5], v[8:9], v[4:5]
	v_fma_f64 v[4:5], v[6:7], v[122:123], -v[4:5]
	v_add_f64 v[2:3], v[2:3], v[4:5]
	v_mul_f64 v[4:5], v[12:13], v[130:131]
	v_fma_f64 v[4:5], v[10:11], v[146:147], -v[4:5]
	v_add_f64 v[2:3], v[2:3], v[4:5]
	;; [unrolled: 3-line block ×28, first 2 shown]
	v_accvgpr_read_b32 v233, a185
	s_waitcnt vmcnt(2)
	v_add_f64 v[2:3], v[248:249], -v[2:3]
	v_cmp_lt_u32_e32 vcc, 22, v233
	s_waitcnt vmcnt(0)
	v_add_f64 v[0:1], v[246:247], -v[0:1]
	buffer_store_dword v3, off, s[0:3], 0 offset:388
	buffer_store_dword v2, off, s[0:3], 0 offset:384
	;; [unrolled: 1-line block ×4, first 2 shown]
	s_and_saveexec_b64 s[4:5], vcc
	s_cbranch_execz .LBB61_353
; %bb.352:
	v_accvgpr_read_b32 v0, a163
	buffer_load_dword v2, v0, s[0:3], 0 offen
	buffer_load_dword v3, v0, s[0:3], 0 offen offset:4
	buffer_load_dword v4, v0, s[0:3], 0 offen offset:8
	;; [unrolled: 1-line block ×3, first 2 shown]
	v_mov_b32_e32 v0, 0
	v_accvgpr_read_b32 v1, a186
	buffer_store_dword v0, off, s[0:3], 0 offset:368
	buffer_store_dword v0, off, s[0:3], 0 offset:372
	;; [unrolled: 1-line block ×4, first 2 shown]
	s_waitcnt vmcnt(4)
	ds_write_b128 v1, v[2:5]
.LBB61_353:
	s_or_b64 exec, exec, s[4:5]
	s_waitcnt lgkmcnt(0)
	; wave barrier
	s_waitcnt lgkmcnt(0)
	buffer_load_dword v54, off, s[0:3], 0 offset:384
	buffer_load_dword v55, off, s[0:3], 0 offset:388
	;; [unrolled: 1-line block ×49, first 2 shown]
	v_mov_b32_e32 v232, 0
	ds_read_b128 v[62:65], v232 offset:1360
	ds_read_b128 v[74:77], v232 offset:1376
	;; [unrolled: 1-line block ×11, first 2 shown]
	buffer_load_dword v126, off, s[0:3], 0 offset:568
	buffer_load_dword v143, off, s[0:3], 0 offset:564
	;; [unrolled: 1-line block ×75, first 2 shown]
	v_cmp_lt_u32_e32 vcc, 21, v233
	s_waitcnt vmcnt(62) lgkmcnt(9)
	v_mul_f64 v[6:7], v[74:75], v[60:61]
	v_fmac_f64_e32 v[6:7], v[76:77], v[58:59]
	s_waitcnt lgkmcnt(8)
	v_mul_f64 v[8:9], v[86:87], v[66:67]
	v_mul_f64 v[60:61], v[76:77], v[60:61]
	s_waitcnt lgkmcnt(6)
	v_mul_f64 v[12:13], v[110:111], v[78:79]
	v_fma_f64 v[248:249], v[74:75], v[58:59], -v[60:61]
	v_fmac_f64_e32 v[12:13], v[112:113], v[80:81]
	v_mul_f64 v[66:67], v[88:89], v[66:67]
	v_mul_f64 v[10:11], v[98:99], v[70:71]
	;; [unrolled: 1-line block ×3, first 2 shown]
	s_waitcnt lgkmcnt(4)
	v_mul_f64 v[16:17], v[226:227], v[90:91]
	v_mul_f64 v[78:79], v[112:113], v[78:79]
	v_fmac_f64_e32 v[16:17], v[228:229], v[92:93]
	v_fma_f64 v[230:231], v[110:111], v[80:81], -v[78:79]
	v_mul_f64 v[14:15], v[114:115], v[82:83]
	v_mul_f64 v[82:83], v[116:117], v[82:83]
	s_waitcnt lgkmcnt(2)
	v_mul_f64 v[20:21], v[238:239], v[102:103]
	v_mul_f64 v[90:91], v[228:229], v[90:91]
	;; [unrolled: 1-line block ×5, first 2 shown]
	s_waitcnt lgkmcnt(1)
	v_mul_f64 v[22:23], v[242:243], v[106:107]
	v_mul_f64 v[106:107], v[244:245], v[106:107]
	v_fmac_f64_e32 v[8:9], v[88:89], v[68:69]
	v_fma_f64 v[252:253], v[86:87], v[68:69], -v[66:67]
	v_fmac_f64_e32 v[10:11], v[100:101], v[72:73]
	v_fma_f64 v[254:255], v[98:99], v[72:73], -v[70:71]
	;; [unrolled: 2-line block ×3, first 2 shown]
	v_fmac_f64_e32 v[18:19], v[236:237], v[96:97]
	v_fmac_f64_e32 v[20:21], v[240:241], v[104:105]
	;; [unrolled: 1-line block ×3, first 2 shown]
	v_fma_f64 v[236:237], v[234:235], v[96:97], -v[94:95]
	v_pk_mov_b32 v[2:3], v[0:1], v[0:1] op_sel:[0,1]
	v_mul_f64 v[0:1], v[62:63], v[56:57]
	v_fmac_f64_e32 v[0:1], v[64:65], v[54:55]
	v_add_f64 v[0:1], v[0:1], 0
	v_add_f64 v[0:1], v[0:1], v[6:7]
	;; [unrolled: 1-line block ×9, first 2 shown]
	ds_read_b128 v[6:9], v232 offset:1536
	s_waitcnt lgkmcnt(1)
	v_mul_f64 v[10:11], v[118:119], v[4:5]
	v_add_f64 v[0:1], v[0:1], v[22:23]
	v_fmac_f64_e32 v[10:11], v[120:121], v[2:3]
	v_add_f64 v[0:1], v[0:1], v[10:11]
	ds_read_b128 v[10:13], v232 offset:1552
	s_waitcnt lgkmcnt(1)
	v_mul_f64 v[14:15], v[6:7], v[126:127]
	v_fmac_f64_e32 v[14:15], v[8:9], v[142:143]
	v_add_f64 v[0:1], v[0:1], v[14:15]
	ds_read_b128 v[14:17], v232 offset:1568
	s_waitcnt lgkmcnt(1)
	v_mul_f64 v[18:19], v[10:11], v[122:123]
	;; [unrolled: 5-line block ×4, first 2 shown]
	v_fmac_f64_e32 v[26:27], v[20:21], v[130:131]
	v_add_f64 v[0:1], v[0:1], v[26:27]
	ds_read_b128 v[26:29], v232 offset:1616
	s_waitcnt vmcnt(58) lgkmcnt(1)
	v_mul_f64 v[30:31], v[22:23], v[154:155]
	s_waitcnt vmcnt(56)
	v_fmac_f64_e32 v[30:31], v[24:25], v[158:159]
	v_add_f64 v[0:1], v[0:1], v[30:31]
	ds_read_b128 v[30:33], v232 offset:1632
	s_waitcnt lgkmcnt(1)
	v_mul_f64 v[34:35], v[26:27], v[132:133]
	v_fmac_f64_e32 v[34:35], v[28:29], v[134:135]
	v_add_f64 v[0:1], v[0:1], v[34:35]
	ds_read_b128 v[34:37], v232 offset:1648
	s_waitcnt vmcnt(50) lgkmcnt(1)
	v_mul_f64 v[38:39], v[30:31], v[162:163]
	s_waitcnt vmcnt(48)
	v_fmac_f64_e32 v[38:39], v[32:33], v[166:167]
	v_add_f64 v[0:1], v[0:1], v[38:39]
	ds_read_b128 v[38:41], v232 offset:1664
	s_waitcnt lgkmcnt(1)
	v_mul_f64 v[42:43], v[34:35], v[136:137]
	;; [unrolled: 11-line block ×3, first 2 shown]
	buffer_load_dword v203, off, s[0:3], 0 offset:892
	buffer_load_dword v202, off, s[0:3], 0 offset:888
	;; [unrolled: 1-line block ×4, first 2 shown]
	v_fmac_f64_e32 v[50:51], v[44:45], v[144:145]
	v_add_f64 v[0:1], v[0:1], v[50:51]
	ds_read_b128 v[50:53], v232 offset:1712
	buffer_load_dword v206, off, s[0:3], 0 offset:904
	buffer_load_dword v208, off, s[0:3], 0 offset:896
	;; [unrolled: 1-line block ×12, first 2 shown]
	s_waitcnt vmcnt(50) lgkmcnt(1)
	v_mul_f64 v[210:211], v[46:47], v[178:179]
	s_waitcnt vmcnt(48)
	v_fmac_f64_e32 v[210:211], v[48:49], v[182:183]
	v_add_f64 v[0:1], v[0:1], v[210:211]
	buffer_load_dword v210, off, s[0:3], 0 offset:968
	buffer_load_dword v223, off, s[0:3], 0 offset:956
	;; [unrolled: 1-line block ×8, first 2 shown]
	v_mul_f64 v[56:57], v[64:65], v[56:57]
	v_fma_f64 v[246:247], v[62:63], v[54:55], -v[56:57]
	ds_read_b128 v[54:57], v232 offset:1728
	ds_read_b128 v[58:61], v232 offset:1744
	s_waitcnt lgkmcnt(2)
	v_mul_f64 v[62:63], v[50:51], v[148:149]
	v_fmac_f64_e32 v[62:63], v[52:53], v[152:153]
	v_add_f64 v[0:1], v[0:1], v[62:63]
	s_waitcnt vmcnt(50) lgkmcnt(1)
	v_mul_f64 v[62:63], v[54:55], v[186:187]
	s_waitcnt vmcnt(48)
	v_fmac_f64_e32 v[62:63], v[56:57], v[188:189]
	v_add_f64 v[0:1], v[0:1], v[62:63]
	s_waitcnt lgkmcnt(0)
	v_mul_f64 v[62:63], v[58:59], v[156:157]
	v_fmac_f64_e32 v[62:63], v[60:61], v[160:161]
	v_add_f64 v[0:1], v[0:1], v[62:63]
	ds_read_b128 v[62:65], v232 offset:1760
	ds_read_b128 v[66:69], v232 offset:1776
	;; [unrolled: 1-line block ×5, first 2 shown]
	s_waitcnt vmcnt(42) lgkmcnt(4)
	v_mul_f64 v[74:75], v[62:63], v[190:191]
	s_waitcnt vmcnt(40)
	v_fmac_f64_e32 v[74:75], v[64:65], v[192:193]
	v_add_f64 v[0:1], v[0:1], v[74:75]
	s_waitcnt lgkmcnt(3)
	v_mul_f64 v[74:75], v[66:67], v[164:165]
	v_fmac_f64_e32 v[74:75], v[68:69], v[168:169]
	v_add_f64 v[0:1], v[0:1], v[74:75]
	ds_read_b128 v[74:77], v232 offset:1808
	s_waitcnt vmcnt(34) lgkmcnt(3)
	v_mul_f64 v[86:87], v[70:71], v[194:195]
	s_waitcnt vmcnt(32)
	v_fmac_f64_e32 v[86:87], v[72:73], v[196:197]
	v_add_f64 v[0:1], v[0:1], v[86:87]
	v_accvgpr_write_b32 a189, v3
	s_waitcnt lgkmcnt(0)
	v_mul_f64 v[86:87], v[74:75], v[172:173]
	v_fmac_f64_e32 v[86:87], v[76:77], v[176:177]
	v_add_f64 v[0:1], v[0:1], v[86:87]
	s_waitcnt vmcnt(26)
	v_mul_f64 v[86:87], v[78:79], v[198:199]
	s_waitcnt vmcnt(24)
	v_fmac_f64_e32 v[86:87], v[80:81], v[200:201]
	v_add_f64 v[0:1], v[0:1], v[86:87]
	v_mul_f64 v[86:87], v[82:83], v[180:181]
	v_fmac_f64_e32 v[86:87], v[84:85], v[184:185]
	v_add_f64 v[0:1], v[0:1], v[86:87]
	ds_read_b128 v[86:89], v232 offset:1856
	v_accvgpr_write_b32 a188, v2
	v_fma_f64 v[2:3], v[226:227], v[92:93], -v[90:91]
	ds_read_b128 v[90:93], v232 offset:1872
	ds_read_b128 v[94:97], v232 offset:1888
	v_fma_f64 v[238:239], v[238:239], v[104:105], -v[102:103]
	ds_read_b128 v[102:105], v232 offset:1920
	v_fma_f64 v[234:235], v[242:243], v[108:109], -v[106:107]
	ds_read_b128 v[106:109], v232 offset:1936
	v_mul_f64 v[4:5], v[120:121], v[4:5]
	v_accvgpr_read_b32 v120, a188
	v_accvgpr_read_b32 v121, a189
	v_fma_f64 v[4:5], v[118:119], v[120:121], -v[4:5]
	s_waitcnt vmcnt(22) lgkmcnt(4)
	v_mul_f64 v[98:99], v[86:87], v[202:203]
	s_waitcnt vmcnt(20)
	v_fmac_f64_e32 v[98:99], v[88:89], v[204:205]
	v_add_f64 v[0:1], v[0:1], v[98:99]
	s_waitcnt vmcnt(17) lgkmcnt(3)
	v_mul_f64 v[98:99], v[90:91], v[206:207]
	s_waitcnt vmcnt(16)
	v_fmac_f64_e32 v[98:99], v[92:93], v[208:209]
	v_add_f64 v[0:1], v[0:1], v[98:99]
	ds_read_b128 v[98:101], v232 offset:1904
	s_waitcnt vmcnt(14) lgkmcnt(3)
	v_mul_f64 v[110:111], v[94:95], v[212:213]
	s_waitcnt vmcnt(12)
	v_fmac_f64_e32 v[110:111], v[96:97], v[216:217]
	buffer_load_dword v227, off, s[0:3], 0 offset:988
	buffer_load_dword v226, off, s[0:3], 0 offset:984
	;; [unrolled: 1-line block ×4, first 2 shown]
	v_add_f64 v[0:1], v[0:1], v[110:111]
	s_waitcnt vmcnt(14) lgkmcnt(0)
	v_mul_f64 v[110:111], v[98:99], v[214:215]
	s_waitcnt vmcnt(12)
	v_fmac_f64_e32 v[110:111], v[100:101], v[218:219]
	v_add_f64 v[0:1], v[0:1], v[110:111]
	s_waitcnt vmcnt(9)
	v_mul_f64 v[110:111], v[102:103], v[222:223]
	s_waitcnt vmcnt(7)
	v_fmac_f64_e32 v[110:111], v[104:105], v[224:225]
	v_add_f64 v[0:1], v[0:1], v[110:111]
	s_waitcnt vmcnt(5)
	v_mul_f64 v[110:111], v[106:107], v[210:211]
	s_waitcnt vmcnt(4)
	v_fmac_f64_e32 v[110:111], v[108:109], v[220:221]
	v_add_f64 v[0:1], v[0:1], v[110:111]
	ds_read_b128 v[110:113], v232 offset:1952
	buffer_load_dword v242, off, s[0:3], 0 offset:1000
	buffer_load_dword v243, off, s[0:3], 0 offset:1004
	;; [unrolled: 1-line block ×4, first 2 shown]
	s_waitcnt vmcnt(6) lgkmcnt(0)
	v_mul_f64 v[114:115], v[110:111], v[226:227]
	s_waitcnt vmcnt(4)
	v_fmac_f64_e32 v[114:115], v[112:113], v[228:229]
	v_add_f64 v[0:1], v[0:1], v[114:115]
	ds_read_b128 v[114:117], v232 offset:1968
	s_waitcnt vmcnt(2) lgkmcnt(0)
	v_mul_f64 v[240:241], v[114:115], v[242:243]
	s_waitcnt vmcnt(0)
	v_fmac_f64_e32 v[240:241], v[116:117], v[244:245]
	v_add_f64 v[0:1], v[0:1], v[240:241]
	v_add_f64 v[240:241], v[246:247], 0
	;; [unrolled: 1-line block ×3, first 2 shown]
	buffer_load_dword v248, off, s[0:3], 0 offset:368
	buffer_load_dword v249, off, s[0:3], 0 offset:372
	;; [unrolled: 1-line block ×4, first 2 shown]
	v_add_f64 v[240:241], v[240:241], v[252:253]
	v_add_f64 v[240:241], v[240:241], v[254:255]
	;; [unrolled: 1-line block ×9, first 2 shown]
	v_mul_f64 v[4:5], v[8:9], v[126:127]
	v_fma_f64 v[4:5], v[6:7], v[142:143], -v[4:5]
	v_add_f64 v[2:3], v[2:3], v[4:5]
	v_mul_f64 v[4:5], v[12:13], v[122:123]
	v_fma_f64 v[4:5], v[10:11], v[124:125], -v[4:5]
	v_add_f64 v[2:3], v[2:3], v[4:5]
	;; [unrolled: 3-line block ×28, first 2 shown]
	s_waitcnt vmcnt(2)
	v_add_f64 v[2:3], v[248:249], -v[2:3]
	s_waitcnt vmcnt(0)
	v_add_f64 v[0:1], v[246:247], -v[0:1]
	buffer_store_dword v3, off, s[0:3], 0 offset:372
	buffer_store_dword v2, off, s[0:3], 0 offset:368
	;; [unrolled: 1-line block ×4, first 2 shown]
	s_and_saveexec_b64 s[4:5], vcc
	s_cbranch_execz .LBB61_355
; %bb.354:
	v_accvgpr_read_b32 v0, a164
	buffer_load_dword v2, v0, s[0:3], 0 offen
	buffer_load_dword v3, v0, s[0:3], 0 offen offset:4
	buffer_load_dword v4, v0, s[0:3], 0 offen offset:8
	;; [unrolled: 1-line block ×3, first 2 shown]
	v_accvgpr_read_b32 v0, a186
	buffer_store_dword v232, off, s[0:3], 0 offset:352
	buffer_store_dword v232, off, s[0:3], 0 offset:356
	;; [unrolled: 1-line block ×4, first 2 shown]
	s_waitcnt vmcnt(4)
	ds_write_b128 v0, v[2:5]
.LBB61_355:
	s_or_b64 exec, exec, s[4:5]
	s_waitcnt lgkmcnt(0)
	; wave barrier
	s_waitcnt lgkmcnt(0)
	buffer_load_dword v56, off, s[0:3], 0 offset:368
	buffer_load_dword v57, off, s[0:3], 0 offset:372
	;; [unrolled: 1-line block ×42, first 2 shown]
	ds_read_b128 v[78:81], v232 offset:1344
	ds_read_b128 v[90:93], v232 offset:1360
	;; [unrolled: 1-line block ×10, first 2 shown]
	buffer_load_dword v1, off, s[0:3], 0 offset:516
	buffer_load_dword v0, off, s[0:3], 0 offset:512
	ds_read_b128 v[106:109], v232 offset:1504
	buffer_load_dword v3, off, s[0:3], 0 offset:572
	buffer_load_dword v2, off, s[0:3], 0 offset:568
	v_cmp_lt_u32_e32 vcc, 20, v233
	s_waitcnt vmcnt(38) lgkmcnt(9)
	v_mul_f64 v[4:5], v[90:91], v[62:63]
	v_fmac_f64_e32 v[4:5], v[92:93], v[54:55]
	s_waitcnt vmcnt(36) lgkmcnt(8)
	v_mul_f64 v[6:7], v[114:115], v[58:59]
	v_mul_f64 v[58:59], v[116:117], v[58:59]
	s_waitcnt vmcnt(34) lgkmcnt(6)
	v_mul_f64 v[10:11], v[234:235], v[70:71]
	v_mul_f64 v[70:71], v[236:237], v[70:71]
	s_waitcnt vmcnt(32)
	v_fmac_f64_e32 v[10:11], v[236:237], v[72:73]
	s_waitcnt vmcnt(30)
	v_mul_f64 v[8:9], v[226:227], v[64:65]
	s_waitcnt vmcnt(28) lgkmcnt(4)
	v_mul_f64 v[14:15], v[242:243], v[82:83]
	v_mul_f64 v[82:83], v[244:245], v[82:83]
	s_waitcnt vmcnt(26)
	v_fmac_f64_e32 v[14:15], v[244:245], v[84:85]
	s_waitcnt vmcnt(24)
	v_mul_f64 v[12:13], v[238:239], v[74:75]
	v_mul_f64 v[74:75], v[240:241], v[74:75]
	s_waitcnt vmcnt(22) lgkmcnt(2)
	v_mul_f64 v[18:19], v[250:251], v[94:95]
	v_mul_f64 v[94:95], v[252:253], v[94:95]
	s_waitcnt vmcnt(19)
	v_mul_f64 v[16:17], v[246:247], v[86:87]
	v_mul_f64 v[86:87], v[248:249], v[86:87]
	s_waitcnt vmcnt(17) lgkmcnt(1)
	v_mul_f64 v[20:21], v[98:99], v[102:103]
	s_waitcnt vmcnt(15)
	v_fmac_f64_e32 v[6:7], v[116:117], v[68:69]
	s_waitcnt vmcnt(13)
	v_fmac_f64_e32 v[8:9], v[228:229], v[66:67]
	;; [unrolled: 2-line block ×3, first 2 shown]
	v_fma_f64 v[238:239], v[238:239], v[76:77], -v[74:75]
	s_waitcnt vmcnt(9)
	v_fmac_f64_e32 v[16:17], v[248:249], v[88:89]
	s_waitcnt vmcnt(8)
	v_fmac_f64_e32 v[18:19], v[252:253], v[96:97]
	v_fma_f64 v[240:241], v[242:243], v[84:85], -v[82:83]
	v_fma_f64 v[246:247], v[246:247], v[88:89], -v[86:87]
	;; [unrolled: 1-line block ×3, first 2 shown]
	s_waitcnt vmcnt(2)
	v_fmac_f64_e32 v[20:21], v[100:101], v[0:1]
	v_mul_f64 v[100:101], v[100:101], v[102:103]
	s_waitcnt vmcnt(0)
	v_pk_mov_b32 v[22:23], v[2:3], v[2:3] op_sel:[0,1]
	buffer_load_dword v3, off, s[0:3], 0 offset:564
	buffer_load_dword v2, off, s[0:3], 0 offset:560
	;; [unrolled: 1-line block ×78, first 2 shown]
	ds_read_b128 v[118:121], v232 offset:1520
	v_accvgpr_write_b32 a189, v23
	v_accvgpr_write_b32 a188, v22
	v_fma_f64 v[250:251], v[98:99], v[0:1], -v[100:101]
	s_waitcnt vmcnt(62)
	v_pk_mov_b32 v[24:25], v[2:3], v[2:3] op_sel:[0,1]
	v_mul_f64 v[2:3], v[78:79], v[60:61]
	v_fmac_f64_e32 v[2:3], v[80:81], v[56:57]
	v_add_f64 v[2:3], v[2:3], 0
	v_add_f64 v[2:3], v[2:3], v[4:5]
	;; [unrolled: 1-line block ×9, first 2 shown]
	s_waitcnt lgkmcnt(1)
	v_mul_f64 v[8:9], v[106:107], v[110:111]
	v_add_f64 v[6:7], v[2:3], v[20:21]
	v_fmac_f64_e32 v[8:9], v[108:109], v[112:113]
	v_add_f64 v[10:11], v[6:7], v[8:9]
	ds_read_b128 v[6:9], v232 offset:1536
	s_waitcnt lgkmcnt(1)
	v_mul_f64 v[12:13], v[118:119], v[122:123]
	v_fmac_f64_e32 v[12:13], v[120:121], v[138:139]
	v_add_f64 v[14:15], v[10:11], v[12:13]
	ds_read_b128 v[10:13], v232 offset:1552
	s_waitcnt lgkmcnt(1)
	v_mul_f64 v[16:17], v[6:7], v[22:23]
	v_fmac_f64_e32 v[16:17], v[8:9], v[24:25]
	v_add_f64 v[18:19], v[14:15], v[16:17]
	ds_read_b128 v[14:17], v232 offset:1568
	s_waitcnt lgkmcnt(1)
	v_mul_f64 v[20:21], v[10:11], v[142:143]
	v_fmac_f64_e32 v[20:21], v[12:13], v[146:147]
	v_add_f64 v[22:23], v[18:19], v[20:21]
	ds_read_b128 v[18:21], v232 offset:1584
	v_accvgpr_write_b32 a191, v25
	v_accvgpr_write_b32 a190, v24
	s_waitcnt lgkmcnt(1)
	v_mul_f64 v[24:25], v[14:15], v[124:125]
	v_fmac_f64_e32 v[24:25], v[16:17], v[126:127]
	v_add_f64 v[26:27], v[22:23], v[24:25]
	ds_read_b128 v[22:25], v232 offset:1600
	s_waitcnt vmcnt(58) lgkmcnt(1)
	v_mul_f64 v[28:29], v[18:19], v[150:151]
	s_waitcnt vmcnt(56)
	v_fmac_f64_e32 v[28:29], v[20:21], v[154:155]
	v_add_f64 v[30:31], v[26:27], v[28:29]
	ds_read_b128 v[26:29], v232 offset:1616
	s_waitcnt lgkmcnt(1)
	v_mul_f64 v[32:33], v[22:23], v[128:129]
	v_fmac_f64_e32 v[32:33], v[24:25], v[130:131]
	v_add_f64 v[34:35], v[30:31], v[32:33]
	ds_read_b128 v[30:33], v232 offset:1632
	s_waitcnt vmcnt(50) lgkmcnt(1)
	v_mul_f64 v[36:37], v[26:27], v[158:159]
	s_waitcnt vmcnt(48)
	v_fmac_f64_e32 v[36:37], v[28:29], v[162:163]
	v_add_f64 v[38:39], v[34:35], v[36:37]
	ds_read_b128 v[34:37], v232 offset:1648
	;; [unrolled: 11-line block ×4, first 2 shown]
	buffer_load_dword v198, off, s[0:3], 0 offset:888
	buffer_load_dword v203, off, s[0:3], 0 offset:876
	;; [unrolled: 1-line block ×8, first 2 shown]
	s_waitcnt lgkmcnt(1)
	v_mul_f64 v[206:207], v[46:47], v[144:145]
	v_fmac_f64_e32 v[206:207], v[48:49], v[148:149]
	v_add_f64 v[104:105], v[104:105], v[206:207]
	buffer_load_dword v207, off, s[0:3], 0 offset:908
	buffer_load_dword v206, off, s[0:3], 0 offset:904
	;; [unrolled: 1-line block ×8, first 2 shown]
	v_mul_f64 v[60:61], v[80:81], v[60:61]
	s_waitcnt vmcnt(42) lgkmcnt(0)
	v_mul_f64 v[230:231], v[50:51], v[182:183]
	v_fma_f64 v[254:255], v[78:79], v[56:57], -v[60:61]
	v_mul_f64 v[56:57], v[92:93], v[62:63]
	v_fma_f64 v[2:3], v[90:91], v[54:55], -v[56:57]
	buffer_load_dword v210, off, s[0:3], 0 offset:952
	buffer_load_dword v219, off, s[0:3], 0 offset:940
	;; [unrolled: 1-line block ×12, first 2 shown]
	s_waitcnt vmcnt(52)
	v_fmac_f64_e32 v[230:231], v[52:53], v[184:185]
	ds_read_b128 v[54:57], v232 offset:1728
	v_add_f64 v[4:5], v[104:105], v[230:231]
	v_fma_f64 v[230:231], v[114:115], v[68:69], -v[58:59]
	ds_read_b128 v[58:61], v232 offset:1744
	v_mul_f64 v[62:63], v[228:229], v[64:65]
	v_fma_f64 v[78:79], v[226:227], v[66:67], -v[62:63]
	ds_read_b128 v[62:65], v232 offset:1760
	s_waitcnt lgkmcnt(2)
	v_mul_f64 v[68:69], v[54:55], v[152:153]
	v_fmac_f64_e32 v[68:69], v[56:57], v[156:157]
	s_waitcnt vmcnt(46) lgkmcnt(1)
	v_mul_f64 v[66:67], v[58:59], v[186:187]
	v_add_f64 v[4:5], v[4:5], v[68:69]
	s_waitcnt vmcnt(44)
	v_fmac_f64_e32 v[66:67], v[60:61], v[188:189]
	v_add_f64 v[4:5], v[4:5], v[66:67]
	v_fma_f64 v[80:81], v[234:235], v[72:73], -v[70:71]
	ds_read_b128 v[70:73], v232 offset:1792
	s_waitcnt lgkmcnt(1)
	v_mul_f64 v[66:67], v[62:63], v[160:161]
	v_fmac_f64_e32 v[66:67], v[64:65], v[164:165]
	v_add_f64 v[4:5], v[4:5], v[66:67]
	ds_read_b128 v[66:69], v232 offset:1776
	ds_read_b128 v[74:77], v232 offset:1808
	;; [unrolled: 1-line block ×6, first 2 shown]
	s_waitcnt vmcnt(38) lgkmcnt(5)
	v_mul_f64 v[90:91], v[66:67], v[190:191]
	s_waitcnt vmcnt(36)
	v_fmac_f64_e32 v[90:91], v[68:69], v[192:193]
	v_add_f64 v[4:5], v[4:5], v[90:91]
	v_mul_f64 v[90:91], v[70:71], v[168:169]
	v_fmac_f64_e32 v[90:91], v[72:73], v[172:173]
	v_add_f64 v[4:5], v[4:5], v[90:91]
	s_waitcnt vmcnt(30) lgkmcnt(4)
	v_mul_f64 v[90:91], v[74:75], v[194:195]
	s_waitcnt vmcnt(28)
	v_fmac_f64_e32 v[90:91], v[76:77], v[196:197]
	v_add_f64 v[4:5], v[4:5], v[90:91]
	s_waitcnt lgkmcnt(3)
	v_mul_f64 v[90:91], v[234:235], v[176:177]
	v_fmac_f64_e32 v[90:91], v[236:237], v[180:181]
	v_add_f64 v[4:5], v[4:5], v[90:91]
	ds_read_b128 v[98:101], v232 offset:1904
	s_waitcnt vmcnt(25) lgkmcnt(3)
	v_mul_f64 v[90:91], v[82:83], v[202:203]
	s_waitcnt vmcnt(23)
	v_fmac_f64_e32 v[90:91], v[84:85], v[204:205]
	v_add_f64 v[4:5], v[4:5], v[90:91]
	s_waitcnt vmcnt(21) lgkmcnt(2)
	v_mul_f64 v[90:91], v[86:87], v[198:199]
	s_waitcnt vmcnt(20)
	v_fmac_f64_e32 v[90:91], v[88:89], v[200:201]
	v_add_f64 v[4:5], v[4:5], v[90:91]
	ds_read_b128 v[90:93], v232 offset:1872
	s_waitcnt vmcnt(18) lgkmcnt(0)
	v_mul_f64 v[104:105], v[90:91], v[206:207]
	s_waitcnt vmcnt(16)
	v_fmac_f64_e32 v[104:105], v[92:93], v[208:209]
	v_add_f64 v[0:1], v[4:5], v[104:105]
	s_waitcnt vmcnt(14)
	v_mul_f64 v[4:5], v[94:95], v[212:213]
	s_waitcnt vmcnt(12)
	v_fmac_f64_e32 v[4:5], v[96:97], v[214:215]
	v_add_f64 v[0:1], v[0:1], v[4:5]
	v_mul_f64 v[4:5], v[108:109], v[110:111]
	ds_read_b128 v[102:105], v232 offset:1920
	v_fma_f64 v[252:253], v[106:107], v[112:113], -v[4:5]
	ds_read_b128 v[106:109], v232 offset:1936
	buffer_load_dword v226, off, s[0:3], 0 offset:984
	buffer_load_dword v227, off, s[0:3], 0 offset:988
	;; [unrolled: 1-line block ×4, first 2 shown]
	ds_read_b128 v[110:113], v232 offset:1952
	buffer_load_dword v243, off, s[0:3], 0 offset:1004
	buffer_load_dword v242, off, s[0:3], 0 offset:1000
	;; [unrolled: 1-line block ×4, first 2 shown]
	s_waitcnt vmcnt(17)
	v_mul_f64 v[4:5], v[98:99], v[218:219]
	s_waitcnt vmcnt(15)
	v_fmac_f64_e32 v[4:5], v[100:101], v[222:223]
	v_add_f64 v[0:1], v[0:1], v[4:5]
	s_waitcnt vmcnt(13) lgkmcnt(2)
	v_mul_f64 v[4:5], v[102:103], v[210:211]
	s_waitcnt vmcnt(12)
	v_fmac_f64_e32 v[4:5], v[104:105], v[216:217]
	ds_read_b128 v[114:117], v232 offset:1968
	v_add_f64 v[0:1], v[0:1], v[4:5]
	s_waitcnt vmcnt(10) lgkmcnt(2)
	v_mul_f64 v[4:5], v[106:107], v[220:221]
	s_waitcnt vmcnt(8)
	v_fmac_f64_e32 v[4:5], v[108:109], v[224:225]
	v_add_f64 v[0:1], v[0:1], v[4:5]
	s_waitcnt vmcnt(6) lgkmcnt(1)
	v_mul_f64 v[4:5], v[110:111], v[226:227]
	s_waitcnt vmcnt(4)
	v_fmac_f64_e32 v[4:5], v[112:113], v[228:229]
	;; [unrolled: 5-line block ×3, first 2 shown]
	v_add_f64 v[0:1], v[0:1], v[4:5]
	v_add_f64 v[4:5], v[254:255], 0
	;; [unrolled: 1-line block ×10, first 2 shown]
	buffer_load_dword v248, off, s[0:3], 0 offset:352
	buffer_load_dword v249, off, s[0:3], 0 offset:356
	;; [unrolled: 1-line block ×4, first 2 shown]
	v_add_f64 v[2:3], v[254:255], v[250:251]
	v_mul_f64 v[4:5], v[120:121], v[122:123]
	v_add_f64 v[2:3], v[2:3], v[252:253]
	v_fma_f64 v[4:5], v[118:119], v[138:139], -v[4:5]
	v_add_f64 v[2:3], v[2:3], v[4:5]
	v_accvgpr_read_b32 v4, a188
	v_accvgpr_read_b32 v5, a189
	v_mul_f64 v[4:5], v[8:9], v[4:5]
	v_accvgpr_read_b32 v8, a190
	v_accvgpr_read_b32 v9, a191
	v_fma_f64 v[4:5], v[6:7], v[8:9], -v[4:5]
	v_add_f64 v[2:3], v[2:3], v[4:5]
	v_mul_f64 v[4:5], v[12:13], v[142:143]
	v_fma_f64 v[4:5], v[10:11], v[146:147], -v[4:5]
	v_add_f64 v[2:3], v[2:3], v[4:5]
	v_mul_f64 v[4:5], v[16:17], v[124:125]
	;; [unrolled: 3-line block ×27, first 2 shown]
	v_fma_f64 v[4:5], v[114:115], v[244:245], -v[4:5]
	v_add_f64 v[2:3], v[2:3], v[4:5]
	s_waitcnt vmcnt(2)
	v_add_f64 v[2:3], v[248:249], -v[2:3]
	s_waitcnt vmcnt(0)
	v_add_f64 v[0:1], v[246:247], -v[0:1]
	buffer_store_dword v3, off, s[0:3], 0 offset:356
	buffer_store_dword v2, off, s[0:3], 0 offset:352
	;; [unrolled: 1-line block ×4, first 2 shown]
	s_and_saveexec_b64 s[4:5], vcc
	s_cbranch_execz .LBB61_357
; %bb.356:
	v_accvgpr_read_b32 v0, a165
	buffer_load_dword v2, v0, s[0:3], 0 offen
	buffer_load_dword v3, v0, s[0:3], 0 offen offset:4
	buffer_load_dword v4, v0, s[0:3], 0 offen offset:8
	;; [unrolled: 1-line block ×3, first 2 shown]
	v_mov_b32_e32 v0, 0
	v_accvgpr_read_b32 v1, a186
	buffer_store_dword v0, off, s[0:3], 0 offset:336
	buffer_store_dword v0, off, s[0:3], 0 offset:340
	;; [unrolled: 1-line block ×4, first 2 shown]
	s_waitcnt vmcnt(4)
	ds_write_b128 v1, v[2:5]
.LBB61_357:
	s_or_b64 exec, exec, s[4:5]
	s_waitcnt lgkmcnt(0)
	; wave barrier
	s_waitcnt lgkmcnt(0)
	buffer_load_dword v54, off, s[0:3], 0 offset:352
	buffer_load_dword v55, off, s[0:3], 0 offset:356
	;; [unrolled: 1-line block ×46, first 2 shown]
	v_mov_b32_e32 v232, 0
	v_cmp_lt_u32_e32 vcc, 19, v233
	s_waitcnt vmcnt(0)
	v_pk_mov_b32 v[20:21], v[0:1], v[0:1] op_sel:[0,1]
	buffer_load_dword v1, off, s[0:3], 0 offset:548
	buffer_load_dword v0, off, s[0:3], 0 offset:544
	;; [unrolled: 1-line block ×3, first 2 shown]
	ds_read_b128 v[94:97], v232 offset:1328
	ds_read_b128 v[108:111], v232 offset:1344
	;; [unrolled: 1-line block ×11, first 2 shown]
	buffer_load_dword v106, off, s[0:3], 0 offset:536
	buffer_load_dword v231, off, s[0:3], 0 offset:532
	;; [unrolled: 1-line block ×75, first 2 shown]
	s_waitcnt lgkmcnt(9)
	v_mul_f64 v[2:3], v[108:109], v[62:63]
	s_waitcnt lgkmcnt(8)
	v_mul_f64 v[4:5], v[112:113], v[60:61]
	v_fmac_f64_e32 v[2:3], v[110:111], v[58:59]
	s_waitcnt lgkmcnt(7)
	v_mul_f64 v[6:7], v[222:223], v[68:69]
	v_fmac_f64_e32 v[4:5], v[114:115], v[84:85]
	;; [unrolled: 3-line block ×5, first 2 shown]
	ds_read_b128 v[116:119], v232 offset:1504
	ds_read_b128 v[120:123], v232 offset:1520
	s_waitcnt lgkmcnt(5)
	v_mul_f64 v[14:15], v[242:243], v[78:79]
	v_fmac_f64_e32 v[12:13], v[240:241], v[76:77]
	s_waitcnt lgkmcnt(4)
	v_mul_f64 v[16:17], v[246:247], v[86:87]
	v_fmac_f64_e32 v[14:15], v[244:245], v[80:81]
	;; [unrolled: 3-line block ×3, first 2 shown]
	v_fmac_f64_e32 v[18:19], v[252:253], v[92:93]
	v_accvgpr_write_b32 a189, v21
	v_accvgpr_write_b32 a188, v20
	v_mul_f64 v[62:63], v[110:111], v[62:63]
	v_mul_f64 v[74:75], v[240:241], v[74:75]
	;; [unrolled: 1-line block ×4, first 2 shown]
	v_fma_f64 v[246:247], v[246:247], v[88:89], -v[86:87]
	v_mul_f64 v[90:91], v[252:253], v[90:91]
	v_fma_f64 v[248:249], v[250:251], v[92:93], -v[90:91]
	s_waitcnt vmcnt(62)
	v_pk_mov_b32 v[22:23], v[0:1], v[0:1] op_sel:[0,1]
	v_mul_f64 v[0:1], v[94:95], v[56:57]
	v_fmac_f64_e32 v[0:1], v[96:97], v[54:55]
	v_add_f64 v[0:1], v[0:1], 0
	v_add_f64 v[0:1], v[0:1], v[2:3]
	;; [unrolled: 1-line block ×9, first 2 shown]
	s_waitcnt lgkmcnt(2)
	v_mul_f64 v[2:3], v[98:99], v[102:103]
	v_add_f64 v[0:1], v[0:1], v[18:19]
	v_fmac_f64_e32 v[2:3], v[100:101], v[104:105]
	s_waitcnt lgkmcnt(1)
	v_mul_f64 v[6:7], v[116:117], v[106:107]
	v_add_f64 v[0:1], v[0:1], v[2:3]
	v_fmac_f64_e32 v[6:7], v[118:119], v[230:231]
	s_waitcnt lgkmcnt(0)
	v_mul_f64 v[10:11], v[120:121], v[20:21]
	v_add_f64 v[0:1], v[0:1], v[6:7]
	ds_read_b128 v[6:9], v232 offset:1536
	v_fmac_f64_e32 v[10:11], v[122:123], v[22:23]
	v_add_f64 v[0:1], v[0:1], v[10:11]
	ds_read_b128 v[10:13], v232 offset:1552
	v_accvgpr_write_b32 a191, v23
	s_waitcnt lgkmcnt(1)
	v_mul_f64 v[14:15], v[6:7], v[138:139]
	v_fmac_f64_e32 v[14:15], v[8:9], v[142:143]
	v_add_f64 v[0:1], v[0:1], v[14:15]
	s_waitcnt lgkmcnt(0)
	v_mul_f64 v[18:19], v[10:11], v[254:255]
	ds_read_b128 v[14:17], v232 offset:1568
	v_fmac_f64_e32 v[18:19], v[12:13], v[124:125]
	v_add_f64 v[0:1], v[0:1], v[18:19]
	ds_read_b128 v[18:21], v232 offset:1584
	v_accvgpr_write_b32 a190, v22
	s_waitcnt vmcnt(58) lgkmcnt(1)
	v_mul_f64 v[22:23], v[14:15], v[146:147]
	s_waitcnt vmcnt(56)
	v_fmac_f64_e32 v[22:23], v[16:17], v[150:151]
	v_add_f64 v[0:1], v[0:1], v[22:23]
	s_waitcnt lgkmcnt(0)
	v_mul_f64 v[26:27], v[18:19], v[126:127]
	ds_read_b128 v[22:25], v232 offset:1600
	v_fmac_f64_e32 v[26:27], v[20:21], v[128:129]
	v_add_f64 v[0:1], v[0:1], v[26:27]
	ds_read_b128 v[26:29], v232 offset:1616
	v_mul_f64 v[56:57], v[96:97], v[56:57]
	s_waitcnt vmcnt(50) lgkmcnt(1)
	v_mul_f64 v[30:31], v[22:23], v[154:155]
	s_waitcnt vmcnt(48)
	v_fmac_f64_e32 v[30:31], v[24:25], v[158:159]
	v_add_f64 v[0:1], v[0:1], v[30:31]
	s_waitcnt lgkmcnt(0)
	v_mul_f64 v[34:35], v[26:27], v[130:131]
	ds_read_b128 v[30:33], v232 offset:1632
	v_fmac_f64_e32 v[34:35], v[28:29], v[132:133]
	v_add_f64 v[0:1], v[0:1], v[34:35]
	ds_read_b128 v[34:37], v232 offset:1648
	v_fma_f64 v[4:5], v[94:95], v[54:55], -v[56:57]
	s_waitcnt vmcnt(42) lgkmcnt(1)
	v_mul_f64 v[38:39], v[30:31], v[162:163]
	s_waitcnt vmcnt(40)
	v_fmac_f64_e32 v[38:39], v[32:33], v[166:167]
	v_add_f64 v[0:1], v[0:1], v[38:39]
	s_waitcnt lgkmcnt(0)
	v_mul_f64 v[42:43], v[34:35], v[134:135]
	ds_read_b128 v[38:41], v232 offset:1664
	v_fmac_f64_e32 v[42:43], v[36:37], v[136:137]
	v_add_f64 v[0:1], v[0:1], v[42:43]
	ds_read_b128 v[42:45], v232 offset:1680
	v_fma_f64 v[96:97], v[108:109], v[58:59], -v[62:63]
	s_waitcnt vmcnt(34) lgkmcnt(1)
	v_mul_f64 v[46:47], v[38:39], v[170:171]
	s_waitcnt vmcnt(32)
	v_fmac_f64_e32 v[46:47], v[40:41], v[174:175]
	v_add_f64 v[0:1], v[0:1], v[46:47]
	s_waitcnt lgkmcnt(0)
	v_mul_f64 v[50:51], v[42:43], v[140:141]
	ds_read_b128 v[46:49], v232 offset:1696
	v_fmac_f64_e32 v[50:51], v[44:45], v[144:145]
	v_add_f64 v[0:1], v[0:1], v[50:51]
	ds_read_b128 v[50:53], v232 offset:1712
	buffer_load_dword v195, off, s[0:3], 0 offset:860
	buffer_load_dword v194, off, s[0:3], 0 offset:856
	;; [unrolled: 1-line block ×8, first 2 shown]
	s_waitcnt vmcnt(34) lgkmcnt(1)
	v_mul_f64 v[198:199], v[46:47], v[178:179]
	s_waitcnt vmcnt(32)
	v_fmac_f64_e32 v[198:199], v[48:49], v[180:181]
	v_add_f64 v[0:1], v[0:1], v[198:199]
	buffer_load_dword v199, off, s[0:3], 0 offset:908
	buffer_load_dword v205, off, s[0:3], 0 offset:892
	;; [unrolled: 1-line block ×8, first 2 shown]
	ds_read_b128 v[54:57], v232 offset:1728
	buffer_load_dword v211, off, s[0:3], 0 offset:924
	buffer_load_dword v210, off, s[0:3], 0 offset:920
	;; [unrolled: 1-line block ×12, first 2 shown]
	v_mul_f64 v[58:59], v[114:115], v[60:61]
	v_fma_f64 v[84:85], v[112:113], v[84:85], -v[58:59]
	v_mul_f64 v[58:59], v[224:225], v[68:69]
	v_fma_f64 v[82:83], v[222:223], v[82:83], -v[58:59]
	buffer_load_dword v222, off, s[0:3], 0 offset:968
	buffer_load_dword v224, off, s[0:3], 0 offset:960
	;; [unrolled: 1-line block ×4, first 2 shown]
	s_waitcnt lgkmcnt(1)
	v_mul_f64 v[94:95], v[50:51], v[148:149]
	v_fmac_f64_e32 v[94:95], v[52:53], v[152:153]
	s_waitcnt vmcnt(50) lgkmcnt(0)
	v_mul_f64 v[58:59], v[54:55], v[182:183]
	v_add_f64 v[0:1], v[0:1], v[94:95]
	s_waitcnt vmcnt(48)
	v_fmac_f64_e32 v[58:59], v[56:57], v[184:185]
	v_add_f64 v[0:1], v[0:1], v[58:59]
	ds_read_b128 v[58:61], v232 offset:1744
	v_mul_f64 v[62:63], v[228:229], v[64:65]
	v_fma_f64 v[94:95], v[226:227], v[66:67], -v[62:63]
	ds_read_b128 v[62:65], v232 offset:1760
	v_mul_f64 v[66:67], v[236:237], v[70:71]
	v_fma_f64 v[226:227], v[234:235], v[72:73], -v[66:67]
	ds_read_b128 v[66:69], v232 offset:1776
	s_waitcnt lgkmcnt(2)
	v_mul_f64 v[108:109], v[58:59], v[156:157]
	v_fmac_f64_e32 v[108:109], v[60:61], v[160:161]
	s_waitcnt vmcnt(42) lgkmcnt(1)
	v_mul_f64 v[70:71], v[62:63], v[186:187]
	v_add_f64 v[0:1], v[0:1], v[108:109]
	s_waitcnt vmcnt(40)
	v_fmac_f64_e32 v[70:71], v[64:65], v[188:189]
	v_add_f64 v[0:1], v[0:1], v[70:71]
	v_fma_f64 v[228:229], v[238:239], v[76:77], -v[74:75]
	ds_read_b128 v[74:77], v232 offset:1808
	s_waitcnt lgkmcnt(1)
	v_mul_f64 v[70:71], v[66:67], v[164:165]
	v_fmac_f64_e32 v[70:71], v[68:69], v[168:169]
	v_add_f64 v[0:1], v[0:1], v[70:71]
	ds_read_b128 v[70:73], v232 offset:1792
	v_fma_f64 v[2:3], v[242:243], v[80:81], -v[78:79]
	ds_read_b128 v[78:81], v232 offset:1824
	ds_read_b128 v[238:241], v232 offset:1840
	;; [unrolled: 1-line block ×3, first 2 shown]
	s_waitcnt vmcnt(34) lgkmcnt(3)
	v_mul_f64 v[108:109], v[70:71], v[190:191]
	s_waitcnt vmcnt(32)
	v_fmac_f64_e32 v[108:109], v[72:73], v[192:193]
	v_add_f64 v[0:1], v[0:1], v[108:109]
	v_mul_f64 v[108:109], v[74:75], v[172:173]
	v_fmac_f64_e32 v[108:109], v[76:77], v[176:177]
	v_add_f64 v[0:1], v[0:1], v[108:109]
	ds_read_b128 v[90:93], v232 offset:1872
	ds_read_b128 v[234:237], v232 offset:1888
	v_mul_f64 v[100:101], v[100:101], v[102:103]
	v_mul_f64 v[102:103], v[118:119], v[106:107]
	v_fma_f64 v[252:253], v[98:99], v[104:105], -v[100:101]
	ds_read_b128 v[98:101], v232 offset:1904
	v_fma_f64 v[102:103], v[116:117], v[230:231], -v[102:103]
	v_accvgpr_write_b32 a193, v103
	v_accvgpr_write_b32 a192, v102
	ds_read_b128 v[102:105], v232 offset:1920
	v_add_f64 v[4:5], v[4:5], 0
	v_add_f64 v[4:5], v[4:5], v[96:97]
	;; [unrolled: 1-line block ×10, first 2 shown]
	v_accvgpr_read_b32 v4, a188
	v_add_f64 v[252:253], v[2:3], v[252:253]
	v_accvgpr_read_b32 v2, a192
	v_accvgpr_read_b32 v5, a189
	;; [unrolled: 1-line block ×4, first 2 shown]
	v_mul_f64 v[4:5], v[122:123], v[4:5]
	v_accvgpr_read_b32 v83, a191
	v_add_f64 v[2:3], v[252:253], v[2:3]
	s_waitcnt vmcnt(30) lgkmcnt(6)
	v_mul_f64 v[108:109], v[78:79], v[194:195]
	v_fma_f64 v[4:5], v[120:121], v[82:83], -v[4:5]
	s_waitcnt vmcnt(28)
	v_fmac_f64_e32 v[108:109], v[80:81], v[196:197]
	v_add_f64 v[0:1], v[0:1], v[108:109]
	s_waitcnt vmcnt(25) lgkmcnt(5)
	v_mul_f64 v[108:109], v[238:239], v[200:201]
	s_waitcnt vmcnt(24)
	v_fmac_f64_e32 v[108:109], v[240:241], v[202:203]
	v_add_f64 v[0:1], v[0:1], v[108:109]
	s_waitcnt vmcnt(21) lgkmcnt(4)
	v_mul_f64 v[108:109], v[86:87], v[204:205]
	;; [unrolled: 5-line block ×4, first 2 shown]
	s_waitcnt vmcnt(12)
	v_fmac_f64_e32 v[108:109], v[236:237], v[212:213]
	s_waitcnt vmcnt(9) lgkmcnt(1)
	v_mul_f64 v[106:107], v[98:99], v[214:215]
	v_add_f64 v[0:1], v[0:1], v[108:109]
	s_waitcnt vmcnt(8)
	v_fmac_f64_e32 v[106:107], v[100:101], v[216:217]
	v_add_f64 v[0:1], v[0:1], v[106:107]
	s_waitcnt vmcnt(6) lgkmcnt(0)
	v_mul_f64 v[106:107], v[102:103], v[218:219]
	s_waitcnt vmcnt(4)
	v_fmac_f64_e32 v[106:107], v[104:105], v[220:221]
	v_add_f64 v[0:1], v[0:1], v[106:107]
	ds_read_b128 v[106:109], v232 offset:1936
	v_add_f64 v[2:3], v[2:3], v[4:5]
	v_mul_f64 v[4:5], v[8:9], v[138:139]
	v_fma_f64 v[4:5], v[6:7], v[142:143], -v[4:5]
	v_add_f64 v[2:3], v[2:3], v[4:5]
	s_waitcnt vmcnt(1) lgkmcnt(0)
	v_mul_f64 v[110:111], v[106:107], v[222:223]
	s_waitcnt vmcnt(0)
	v_fmac_f64_e32 v[110:111], v[108:109], v[224:225]
	v_add_f64 v[114:115], v[0:1], v[110:111]
	buffer_load_dword v1, off, s[0:3], 0 offset:988
	buffer_load_dword v0, off, s[0:3], 0 offset:984
	buffer_load_dword v119, off, s[0:3], 0 offset:980
	buffer_load_dword v118, off, s[0:3], 0 offset:976
	ds_read_b128 v[110:113], v232 offset:1952
	buffer_load_dword v242, off, s[0:3], 0 offset:1000
	buffer_load_dword v243, off, s[0:3], 0 offset:1004
	;; [unrolled: 1-line block ×4, first 2 shown]
	v_mul_f64 v[4:5], v[12:13], v[254:255]
	v_fma_f64 v[4:5], v[10:11], v[124:125], -v[4:5]
	v_add_f64 v[2:3], v[2:3], v[4:5]
	v_mul_f64 v[4:5], v[16:17], v[146:147]
	v_fma_f64 v[4:5], v[14:15], v[150:151], -v[4:5]
	v_add_f64 v[2:3], v[2:3], v[4:5]
	;; [unrolled: 3-line block ×25, first 2 shown]
	s_waitcnt vmcnt(6) lgkmcnt(0)
	v_mul_f64 v[116:117], v[110:111], v[0:1]
	v_mul_f64 v[0:1], v[112:113], v[0:1]
	s_waitcnt vmcnt(4)
	v_fmac_f64_e32 v[116:117], v[112:113], v[118:119]
	v_add_f64 v[230:231], v[114:115], v[116:117]
	ds_read_b128 v[114:117], v232 offset:1968
	buffer_load_dword v248, off, s[0:3], 0 offset:336
	buffer_load_dword v249, off, s[0:3], 0 offset:340
	;; [unrolled: 1-line block ×4, first 2 shown]
	v_fma_f64 v[0:1], v[110:111], v[118:119], -v[0:1]
	v_add_f64 v[0:1], v[2:3], v[0:1]
	s_waitcnt vmcnt(6) lgkmcnt(0)
	v_mul_f64 v[2:3], v[116:117], v[242:243]
	v_mul_f64 v[250:251], v[114:115], v[242:243]
	s_waitcnt vmcnt(4)
	v_fma_f64 v[2:3], v[114:115], v[244:245], -v[2:3]
	v_fmac_f64_e32 v[250:251], v[116:117], v[244:245]
	v_add_f64 v[0:1], v[0:1], v[2:3]
	v_add_f64 v[230:231], v[230:231], v[250:251]
	s_waitcnt vmcnt(2)
	v_add_f64 v[0:1], v[248:249], -v[0:1]
	s_waitcnt vmcnt(0)
	v_add_f64 v[2:3], v[246:247], -v[230:231]
	buffer_store_dword v1, off, s[0:3], 0 offset:340
	buffer_store_dword v0, off, s[0:3], 0 offset:336
	;; [unrolled: 1-line block ×4, first 2 shown]
	s_and_saveexec_b64 s[4:5], vcc
	s_cbranch_execz .LBB61_359
; %bb.358:
	v_accvgpr_read_b32 v0, a166
	buffer_load_dword v2, v0, s[0:3], 0 offen
	buffer_load_dword v3, v0, s[0:3], 0 offen offset:4
	buffer_load_dword v4, v0, s[0:3], 0 offen offset:8
	;; [unrolled: 1-line block ×3, first 2 shown]
	v_accvgpr_read_b32 v0, a186
	buffer_store_dword v232, off, s[0:3], 0 offset:320
	buffer_store_dword v232, off, s[0:3], 0 offset:324
	;; [unrolled: 1-line block ×4, first 2 shown]
	s_waitcnt vmcnt(4)
	ds_write_b128 v0, v[2:5]
.LBB61_359:
	s_or_b64 exec, exec, s[4:5]
	s_waitcnt lgkmcnt(0)
	; wave barrier
	s_waitcnt lgkmcnt(0)
	buffer_load_dword v58, off, s[0:3], 0 offset:336
	buffer_load_dword v59, off, s[0:3], 0 offset:340
	;; [unrolled: 1-line block ×42, first 2 shown]
	ds_read_b128 v[110:113], v232 offset:1312
	ds_read_b128 v[114:117], v232 offset:1328
	;; [unrolled: 1-line block ×10, first 2 shown]
	buffer_load_dword v1, off, s[0:3], 0 offset:484
	buffer_load_dword v0, off, s[0:3], 0 offset:480
	ds_read_b128 v[90:93], v232 offset:1472
	buffer_load_dword v105, off, s[0:3], 0 offset:540
	buffer_load_dword v104, off, s[0:3], 0 offset:536
	buffer_load_dword v107, off, s[0:3], 0 offset:532
	buffer_load_dword v106, off, s[0:3], 0 offset:528
	buffer_load_dword v109, off, s[0:3], 0 offset:524
	buffer_load_dword v108, off, s[0:3], 0 offset:520
	s_waitcnt vmcnt(46) lgkmcnt(10)
	v_mul_f64 v[2:3], v[110:111], v[60:61]
	v_fmac_f64_e32 v[2:3], v[112:113], v[58:59]
	v_add_f64 v[2:3], v[2:3], 0
	v_mul_f64 v[60:61], v[112:113], v[60:61]
	s_waitcnt vmcnt(42) lgkmcnt(9)
	v_mul_f64 v[4:5], v[114:115], v[62:63]
	v_fmac_f64_e32 v[4:5], v[116:117], v[56:57]
	v_add_f64 v[2:3], v[2:3], v[4:5]
	buffer_load_dword v231, off, s[0:3], 0 offset:516
	buffer_load_dword v230, off, s[0:3], 0 offset:512
	;; [unrolled: 1-line block ×4, first 2 shown]
	s_waitcnt vmcnt(44) lgkmcnt(8)
	v_mul_f64 v[6:7], v[210:211], v[218:219]
	s_waitcnt vmcnt(42) lgkmcnt(6)
	v_mul_f64 v[10:11], v[222:223], v[64:65]
	s_waitcnt vmcnt(40)
	v_fmac_f64_e32 v[10:11], v[224:225], v[66:67]
	s_waitcnt vmcnt(38)
	v_mul_f64 v[8:9], v[214:215], v[68:69]
	s_waitcnt vmcnt(36) lgkmcnt(4)
	v_mul_f64 v[14:15], v[234:235], v[70:71]
	s_waitcnt vmcnt(34)
	v_fmac_f64_e32 v[14:15], v[236:237], v[72:73]
	s_waitcnt vmcnt(32)
	v_mul_f64 v[12:13], v[226:227], v[74:75]
	s_waitcnt vmcnt(30) lgkmcnt(2)
	v_mul_f64 v[18:19], v[242:243], v[78:79]
	v_mul_f64 v[78:79], v[244:245], v[78:79]
	s_waitcnt vmcnt(27)
	v_mul_f64 v[16:17], v[238:239], v[76:77]
	s_waitcnt vmcnt(25) lgkmcnt(1)
	v_mul_f64 v[20:21], v[82:83], v[86:87]
	s_waitcnt vmcnt(23)
	v_fmac_f64_e32 v[6:7], v[212:213], v[100:101]
	v_add_f64 v[2:3], v[2:3], v[6:7]
	s_waitcnt vmcnt(21)
	v_fmac_f64_e32 v[8:9], v[216:217], v[98:99]
	v_add_f64 v[2:3], v[2:3], v[8:9]
	;; [unrolled: 3-line block ×3, first 2 shown]
	v_add_f64 v[2:3], v[2:3], v[12:13]
	s_waitcnt vmcnt(17)
	v_fmac_f64_e32 v[16:17], v[240:241], v[88:89]
	v_add_f64 v[2:3], v[2:3], v[14:15]
	s_waitcnt vmcnt(16)
	v_fmac_f64_e32 v[18:19], v[244:245], v[80:81]
	v_add_f64 v[2:3], v[2:3], v[16:17]
	v_add_f64 v[2:3], v[2:3], v[18:19]
	s_waitcnt vmcnt(10)
	v_fmac_f64_e32 v[20:21], v[84:85], v[0:1]
	v_add_f64 v[2:3], v[2:3], v[20:21]
	v_mul_f64 v[84:85], v[84:85], v[86:87]
	s_waitcnt vmcnt(0)
	v_pk_mov_b32 v[18:19], v[4:5], v[4:5] op_sel:[0,1]
	buffer_load_dword v5, off, s[0:3], 0 offset:564
	buffer_load_dword v4, off, s[0:3], 0 offset:560
	v_accvgpr_write_b32 a189, v19
	v_accvgpr_write_b32 a188, v18
	s_waitcnt vmcnt(0)
	v_pk_mov_b32 v[22:23], v[4:5], v[4:5] op_sel:[0,1]
	buffer_load_dword v135, off, s[0:3], 0 offset:556
	buffer_load_dword v134, off, s[0:3], 0 offset:552
	;; [unrolled: 1-line block ×6, first 2 shown]
	v_accvgpr_write_b32 a191, v23
	v_accvgpr_write_b32 a190, v22
	s_waitcnt vmcnt(0)
	v_pk_mov_b32 v[26:27], v[4:5], v[4:5] op_sel:[0,1]
	buffer_load_dword v5, off, s[0:3], 0 offset:596
	buffer_load_dword v4, off, s[0:3], 0 offset:592
	v_accvgpr_write_b32 a193, v27
	v_accvgpr_write_b32 a192, v26
	s_waitcnt vmcnt(0)
	v_pk_mov_b32 v[28:29], v[4:5], v[4:5] op_sel:[0,1]
	buffer_load_dword v143, off, s[0:3], 0 offset:588
	buffer_load_dword v142, off, s[0:3], 0 offset:584
	;; [unrolled: 1-line block ×60, first 2 shown]
	ds_read_b128 v[246:249], v232 offset:1488
	ds_read_b128 v[252:255], v232 offset:1504
	;; [unrolled: 1-line block ×5, first 2 shown]
	v_accvgpr_write_b32 a195, v29
	s_waitcnt lgkmcnt(3)
	v_mul_f64 v[8:9], v[252:253], v[104:105]
	v_fmac_f64_e32 v[8:9], v[254:255], v[106:107]
	s_waitcnt lgkmcnt(2)
	v_mul_f64 v[12:13], v[118:119], v[134:135]
	v_fmac_f64_e32 v[12:13], v[120:121], v[138:139]
	s_waitcnt lgkmcnt(1)
	v_mul_f64 v[16:17], v[190:191], v[18:19]
	v_fmac_f64_e32 v[16:17], v[192:193], v[22:23]
	v_accvgpr_write_b32 a194, v28
	s_waitcnt vmcnt(54)
	v_pk_mov_b32 v[34:35], v[4:5], v[4:5] op_sel:[0,1]
	v_mul_f64 v[4:5], v[90:91], v[96:97]
	v_fmac_f64_e32 v[4:5], v[92:93], v[102:103]
	v_add_f64 v[2:3], v[2:3], v[4:5]
	v_mul_f64 v[4:5], v[246:247], v[108:109]
	v_fmac_f64_e32 v[4:5], v[248:249], v[230:231]
	v_add_f64 v[6:7], v[2:3], v[4:5]
	v_add_f64 v[10:11], v[6:7], v[8:9]
	;; [unrolled: 1-line block ×4, first 2 shown]
	ds_read_b128 v[14:17], v232 offset:1568
	s_waitcnt lgkmcnt(1)
	v_mul_f64 v[20:21], v[122:123], v[142:143]
	v_fmac_f64_e32 v[20:21], v[124:125], v[146:147]
	v_add_f64 v[22:23], v[18:19], v[20:21]
	ds_read_b128 v[18:21], v232 offset:1584
	s_waitcnt lgkmcnt(1)
	v_mul_f64 v[24:25], v[14:15], v[26:27]
	v_fmac_f64_e32 v[24:25], v[16:17], v[28:29]
	v_add_f64 v[26:27], v[22:23], v[24:25]
	ds_read_b128 v[22:25], v232 offset:1600
	s_waitcnt vmcnt(50) lgkmcnt(1)
	v_mul_f64 v[28:29], v[18:19], v[150:151]
	s_waitcnt vmcnt(48)
	v_fmac_f64_e32 v[28:29], v[20:21], v[154:155]
	v_add_f64 v[30:31], v[26:27], v[28:29]
	ds_read_b128 v[26:29], v232 offset:1616
	s_waitcnt lgkmcnt(1)
	v_mul_f64 v[32:33], v[22:23], v[34:35]
	v_accvgpr_write_b32 a197, v35
	v_fmac_f64_e32 v[32:33], v[24:25], v[128:129]
	v_accvgpr_write_b32 a196, v34
	v_add_f64 v[34:35], v[30:31], v[32:33]
	ds_read_b128 v[30:33], v232 offset:1632
	s_waitcnt vmcnt(42) lgkmcnt(1)
	v_mul_f64 v[36:37], v[26:27], v[158:159]
	s_waitcnt vmcnt(40)
	v_fmac_f64_e32 v[36:37], v[28:29], v[162:163]
	v_add_f64 v[38:39], v[34:35], v[36:37]
	ds_read_b128 v[34:37], v232 offset:1648
	s_waitcnt lgkmcnt(1)
	v_mul_f64 v[40:41], v[30:31], v[130:131]
	v_fmac_f64_e32 v[40:41], v[32:33], v[132:133]
	v_add_f64 v[42:43], v[38:39], v[40:41]
	ds_read_b128 v[38:41], v232 offset:1664
	s_waitcnt vmcnt(34) lgkmcnt(1)
	v_mul_f64 v[44:45], v[34:35], v[166:167]
	s_waitcnt vmcnt(32)
	v_fmac_f64_e32 v[44:45], v[36:37], v[170:171]
	v_add_f64 v[46:47], v[42:43], v[44:45]
	ds_read_b128 v[42:45], v232 offset:1680
	s_waitcnt lgkmcnt(1)
	v_mul_f64 v[48:49], v[38:39], v[136:137]
	v_fmac_f64_e32 v[48:49], v[40:41], v[140:141]
	v_add_f64 v[50:51], v[46:47], v[48:49]
	ds_read_b128 v[46:49], v232 offset:1696
	s_waitcnt vmcnt(26) lgkmcnt(1)
	v_mul_f64 v[52:53], v[42:43], v[174:175]
	s_waitcnt vmcnt(24)
	v_fmac_f64_e32 v[52:53], v[44:45], v[176:177]
	v_add_f64 v[250:251], v[50:51], v[52:53]
	ds_read_b128 v[50:53], v232 offset:1712
	buffer_load_dword v13, off, s[0:3], 0 offset:844
	buffer_load_dword v12, off, s[0:3], 0 offset:840
	;; [unrolled: 1-line block ×20, first 2 shown]
	v_mul_f64 v[4:5], v[116:117], v[62:63]
	v_fma_f64 v[8:9], v[114:115], v[56:57], -v[4:5]
	v_mul_f64 v[56:57], v[212:213], v[218:219]
	v_fma_f64 v[100:101], v[210:211], v[100:101], -v[56:57]
	;; [unrolled: 2-line block ×3, first 2 shown]
	buffer_load_dword v212, off, s[0:3], 0 offset:920
	buffer_load_dword v214, off, s[0:3], 0 offset:912
	;; [unrolled: 1-line block ×12, first 2 shown]
	s_waitcnt lgkmcnt(1)
	v_mul_f64 v[54:55], v[46:47], v[144:145]
	v_fmac_f64_e32 v[54:55], v[48:49], v[148:149]
	v_fma_f64 v[10:11], v[110:111], v[58:59], -v[60:61]
	v_add_f64 v[58:59], v[250:251], v[54:55]
	v_mul_f64 v[54:55], v[224:225], v[64:65]
	v_fma_f64 v[250:251], v[222:223], v[66:67], -v[54:55]
	buffer_load_dword v223, off, s[0:3], 0 offset:972
	buffer_load_dword v222, off, s[0:3], 0 offset:968
	;; [unrolled: 1-line block ×4, first 2 shown]
	s_waitcnt vmcnt(54) lgkmcnt(0)
	v_mul_f64 v[60:61], v[50:51], v[178:179]
	ds_read_b128 v[54:57], v232 offset:1728
	s_waitcnt vmcnt(52)
	v_fmac_f64_e32 v[60:61], v[52:53], v[180:181]
	v_add_f64 v[62:63], v[58:59], v[60:61]
	v_mul_f64 v[58:59], v[228:229], v[74:75]
	v_fma_f64 v[74:75], v[226:227], v[94:95], -v[58:59]
	ds_read_b128 v[58:61], v232 offset:1744
	s_waitcnt lgkmcnt(1)
	v_mul_f64 v[64:65], v[54:55], v[152:153]
	v_fmac_f64_e32 v[64:65], v[56:57], v[156:157]
	v_add_f64 v[94:95], v[62:63], v[64:65]
	ds_read_b128 v[62:65], v232 offset:1760
	v_mul_f64 v[66:67], v[236:237], v[70:71]
	s_waitcnt vmcnt(46) lgkmcnt(1)
	v_mul_f64 v[70:71], v[58:59], v[182:183]
	v_fma_f64 v[226:227], v[234:235], v[72:73], -v[66:67]
	ds_read_b128 v[66:69], v232 offset:1776
	s_waitcnt vmcnt(44)
	v_fmac_f64_e32 v[70:71], v[60:61], v[184:185]
	v_add_f64 v[94:95], v[94:95], v[70:71]
	v_mul_f64 v[70:71], v[240:241], v[76:77]
	v_fma_f64 v[6:7], v[238:239], v[88:89], -v[70:71]
	ds_read_b128 v[70:73], v232 offset:1792
	ds_read_b128 v[238:241], v232 offset:1808
	s_waitcnt lgkmcnt(3)
	v_mul_f64 v[110:111], v[62:63], v[160:161]
	v_fmac_f64_e32 v[110:111], v[64:65], v[164:165]
	s_waitcnt vmcnt(38) lgkmcnt(2)
	v_mul_f64 v[88:89], v[66:67], v[186:187]
	v_fma_f64 v[4:5], v[242:243], v[80:81], -v[78:79]
	ds_read_b128 v[78:81], v232 offset:1824
	v_add_f64 v[76:77], v[94:95], v[110:111]
	s_waitcnt vmcnt(36)
	v_fmac_f64_e32 v[88:89], v[68:69], v[188:189]
	v_add_f64 v[76:77], v[76:77], v[88:89]
	s_waitcnt lgkmcnt(2)
	v_mul_f64 v[88:89], v[70:71], v[168:169]
	v_fmac_f64_e32 v[88:89], v[72:73], v[172:173]
	v_add_f64 v[76:77], v[76:77], v[88:89]
	v_fma_f64 v[2:3], v[82:83], v[0:1], -v[84:85]
	ds_read_b128 v[82:85], v232 offset:1840
	v_mul_f64 v[92:93], v[92:93], v[96:97]
	v_fma_f64 v[0:1], v[90:91], v[102:103], -v[92:93]
	ds_read_b128 v[234:237], v232 offset:1888
	v_mul_f64 v[96:97], v[248:249], v[108:109]
	v_fma_f64 v[230:231], v[246:247], v[230:231], -v[96:97]
	v_mul_f64 v[102:103], v[254:255], v[104:105]
	v_fma_f64 v[252:253], v[252:253], v[106:107], -v[102:103]
	ds_read_b128 v[102:105], v232 offset:1920
	v_add_f64 v[10:11], v[10:11], 0
	v_add_f64 v[8:9], v[10:11], v[8:9]
	;; [unrolled: 1-line block ×3, first 2 shown]
	ds_read_b128 v[90:93], v232 offset:1872
	v_add_f64 v[8:9], v[8:9], v[98:99]
	v_add_f64 v[8:9], v[8:9], v[250:251]
	;; [unrolled: 1-line block ×9, first 2 shown]
	v_mul_f64 v[2:3], v[120:121], v[134:135]
	s_waitcnt vmcnt(25) lgkmcnt(3)
	v_mul_f64 v[94:95], v[82:83], v[200:201]
	v_add_f64 v[0:1], v[0:1], v[252:253]
	s_waitcnt vmcnt(23)
	v_fmac_f64_e32 v[94:95], v[84:85], v[206:207]
	v_fma_f64 v[2:3], v[118:119], v[138:139], -v[2:3]
	v_mul_f64 v[88:89], v[238:239], v[12:13]
	v_add_f64 v[0:1], v[0:1], v[2:3]
	v_fmac_f64_e32 v[88:89], v[240:241], v[126:127]
	v_mul_f64 v[86:87], v[78:79], v[196:197]
	v_add_f64 v[76:77], v[76:77], v[88:89]
	v_fmac_f64_e32 v[86:87], v[80:81], v[198:199]
	v_add_f64 v[76:77], v[76:77], v[86:87]
	ds_read_b128 v[86:89], v232 offset:1856
	v_add_f64 v[76:77], v[76:77], v[94:95]
	v_accvgpr_read_b32 v2, a188
	v_accvgpr_read_b32 v3, a189
	;; [unrolled: 1-line block ×3, first 2 shown]
	s_waitcnt vmcnt(22) lgkmcnt(0)
	v_mul_f64 v[94:95], v[86:87], v[194:195]
	s_waitcnt vmcnt(20)
	v_fmac_f64_e32 v[94:95], v[88:89], v[204:205]
	v_add_f64 v[76:77], v[76:77], v[94:95]
	s_waitcnt vmcnt(18)
	v_mul_f64 v[94:95], v[90:91], v[202:203]
	s_waitcnt vmcnt(16)
	v_fmac_f64_e32 v[94:95], v[92:93], v[208:209]
	v_add_f64 v[76:77], v[76:77], v[94:95]
	ds_read_b128 v[94:97], v232 offset:1904
	s_waitcnt vmcnt(13)
	v_mul_f64 v[106:107], v[234:235], v[212:213]
	s_waitcnt vmcnt(12)
	v_fmac_f64_e32 v[106:107], v[236:237], v[214:215]
	v_add_f64 v[76:77], v[76:77], v[106:107]
	v_mul_f64 v[2:3], v[192:193], v[2:3]
	s_waitcnt vmcnt(9) lgkmcnt(0)
	v_mul_f64 v[106:107], v[94:95], v[218:219]
	s_waitcnt vmcnt(7)
	v_fmac_f64_e32 v[106:107], v[96:97], v[220:221]
	v_add_f64 v[76:77], v[76:77], v[106:107]
	s_waitcnt vmcnt(5)
	v_mul_f64 v[106:107], v[102:103], v[210:211]
	s_waitcnt vmcnt(4)
	v_fmac_f64_e32 v[106:107], v[104:105], v[216:217]
	v_add_f64 v[76:77], v[76:77], v[106:107]
	ds_read_b128 v[106:109], v232 offset:1936
	v_accvgpr_read_b32 v5, a191
	v_fma_f64 v[2:3], v[190:191], v[4:5], -v[2:3]
	v_add_f64 v[0:1], v[0:1], v[2:3]
	v_mul_f64 v[2:3], v[124:125], v[142:143]
	s_waitcnt vmcnt(2) lgkmcnt(0)
	v_mul_f64 v[110:111], v[106:107], v[222:223]
	s_waitcnt vmcnt(0)
	v_fmac_f64_e32 v[110:111], v[108:109], v[224:225]
	v_add_f64 v[114:115], v[76:77], v[110:111]
	buffer_load_dword v76, off, s[0:3], 0 offset:984
	buffer_load_dword v77, off, s[0:3], 0 offset:988
	;; [unrolled: 1-line block ×4, first 2 shown]
	ds_read_b128 v[110:113], v232 offset:1952
	buffer_load_dword v243, off, s[0:3], 0 offset:1004
	buffer_load_dword v242, off, s[0:3], 0 offset:1000
	;; [unrolled: 1-line block ×4, first 2 shown]
	v_fma_f64 v[2:3], v[122:123], v[146:147], -v[2:3]
	v_add_f64 v[0:1], v[0:1], v[2:3]
	v_accvgpr_read_b32 v2, a192
	v_accvgpr_read_b32 v3, a193
	;; [unrolled: 1-line block ×3, first 2 shown]
	v_mul_f64 v[2:3], v[16:17], v[2:3]
	v_accvgpr_read_b32 v5, a195
	v_fma_f64 v[2:3], v[14:15], v[4:5], -v[2:3]
	v_add_f64 v[0:1], v[0:1], v[2:3]
	v_mul_f64 v[2:3], v[20:21], v[150:151]
	v_fma_f64 v[2:3], v[18:19], v[154:155], -v[2:3]
	v_add_f64 v[0:1], v[0:1], v[2:3]
	v_accvgpr_read_b32 v2, a196
	v_accvgpr_read_b32 v3, a197
	v_mul_f64 v[2:3], v[24:25], v[2:3]
	v_fma_f64 v[2:3], v[22:23], v[128:129], -v[2:3]
	v_add_f64 v[0:1], v[0:1], v[2:3]
	v_mul_f64 v[2:3], v[28:29], v[158:159]
	v_fma_f64 v[2:3], v[26:27], v[162:163], -v[2:3]
	v_add_f64 v[0:1], v[0:1], v[2:3]
	;; [unrolled: 3-line block ×20, first 2 shown]
	v_mul_f64 v[2:3], v[104:105], v[210:211]
	s_waitcnt vmcnt(6) lgkmcnt(0)
	v_mul_f64 v[116:117], v[110:111], v[76:77]
	v_fma_f64 v[2:3], v[102:103], v[216:217], -v[2:3]
	s_waitcnt vmcnt(4)
	v_fmac_f64_e32 v[116:117], v[112:113], v[228:229]
	v_add_f64 v[246:247], v[114:115], v[116:117]
	ds_read_b128 v[114:117], v232 offset:1968
	v_add_f64 v[0:1], v[0:1], v[2:3]
	v_mul_f64 v[2:3], v[108:109], v[222:223]
	v_fma_f64 v[2:3], v[106:107], v[224:225], -v[2:3]
	v_add_f64 v[0:1], v[0:1], v[2:3]
	s_waitcnt vmcnt(2) lgkmcnt(0)
	v_mul_f64 v[232:233], v[114:115], v[242:243]
	s_waitcnt vmcnt(0)
	v_fmac_f64_e32 v[232:233], v[116:117], v[244:245]
	v_add_f64 v[232:233], v[246:247], v[232:233]
	buffer_load_dword v248, off, s[0:3], 0 offset:320
	buffer_load_dword v249, off, s[0:3], 0 offset:324
	;; [unrolled: 1-line block ×4, first 2 shown]
	v_mul_f64 v[2:3], v[112:113], v[76:77]
	v_fma_f64 v[2:3], v[110:111], v[228:229], -v[2:3]
	v_add_f64 v[0:1], v[0:1], v[2:3]
	v_mul_f64 v[2:3], v[116:117], v[242:243]
	v_fma_f64 v[2:3], v[114:115], v[244:245], -v[2:3]
	v_add_f64 v[0:1], v[0:1], v[2:3]
	s_waitcnt vmcnt(2)
	v_add_f64 v[0:1], v[248:249], -v[0:1]
	s_waitcnt vmcnt(0)
	v_add_f64 v[2:3], v[246:247], -v[232:233]
	buffer_store_dword v1, off, s[0:3], 0 offset:324
	buffer_store_dword v0, off, s[0:3], 0 offset:320
	;; [unrolled: 1-line block ×4, first 2 shown]
	v_accvgpr_read_b32 v0, a185
	v_cmp_lt_u32_e32 vcc, 18, v0
	s_and_saveexec_b64 s[4:5], vcc
	s_cbranch_execz .LBB61_361
; %bb.360:
	v_accvgpr_read_b32 v0, a167
	buffer_load_dword v2, v0, s[0:3], 0 offen
	buffer_load_dword v3, v0, s[0:3], 0 offen offset:4
	buffer_load_dword v4, v0, s[0:3], 0 offen offset:8
	;; [unrolled: 1-line block ×3, first 2 shown]
	v_mov_b32_e32 v0, 0
	v_accvgpr_read_b32 v1, a186
	buffer_store_dword v0, off, s[0:3], 0 offset:304
	buffer_store_dword v0, off, s[0:3], 0 offset:308
	;; [unrolled: 1-line block ×4, first 2 shown]
	s_waitcnt vmcnt(4)
	ds_write_b128 v1, v[2:5]
.LBB61_361:
	s_or_b64 exec, exec, s[4:5]
	s_waitcnt lgkmcnt(0)
	; wave barrier
	s_waitcnt lgkmcnt(0)
	buffer_load_dword v50, off, s[0:3], 0 offset:320
	buffer_load_dword v51, off, s[0:3], 0 offset:324
	;; [unrolled: 1-line block ×54, first 2 shown]
	v_mov_b32_e32 v134, 0
	ds_read_b128 v[102:105], v134 offset:1296
	ds_read_b128 v[106:109], v134 offset:1312
	;; [unrolled: 1-line block ×9, first 2 shown]
	s_waitcnt vmcnt(50) lgkmcnt(8)
	v_mul_f64 v[6:7], v[102:103], v[56:57]
	v_fmac_f64_e32 v[6:7], v[104:105], v[50:51]
	v_add_f64 v[6:7], v[6:7], 0
	v_mul_f64 v[56:57], v[104:105], v[56:57]
	s_waitcnt vmcnt(46) lgkmcnt(7)
	v_mul_f64 v[8:9], v[106:107], v[200:201]
	v_fmac_f64_e32 v[8:9], v[108:109], v[52:53]
	s_waitcnt vmcnt(44) lgkmcnt(6)
	v_mul_f64 v[10:11], v[110:111], v[54:55]
	v_add_f64 v[6:7], v[6:7], v[8:9]
	s_waitcnt vmcnt(42) lgkmcnt(4)
	v_mul_f64 v[14:15], v[206:207], v[62:63]
	s_waitcnt vmcnt(40)
	v_fmac_f64_e32 v[14:15], v[208:209], v[60:61]
	s_waitcnt vmcnt(38)
	v_mul_f64 v[12:13], v[114:115], v[64:65]
	s_waitcnt vmcnt(36) lgkmcnt(2)
	v_mul_f64 v[18:19], v[226:227], v[66:67]
	s_waitcnt vmcnt(34)
	v_fmac_f64_e32 v[18:19], v[228:229], v[70:71]
	s_waitcnt vmcnt(32)
	v_mul_f64 v[16:17], v[222:223], v[76:77]
	s_waitcnt vmcnt(30) lgkmcnt(1)
	v_mul_f64 v[20:21], v[230:231], v[68:69]
	s_waitcnt vmcnt(28)
	v_fmac_f64_e32 v[10:11], v[112:113], v[2:3]
	v_add_f64 v[6:7], v[6:7], v[10:11]
	s_waitcnt vmcnt(26)
	v_fmac_f64_e32 v[12:13], v[116:117], v[4:5]
	v_add_f64 v[6:7], v[6:7], v[12:13]
	v_add_f64 v[6:7], v[6:7], v[14:15]
	s_waitcnt vmcnt(24)
	v_fmac_f64_e32 v[16:17], v[224:225], v[78:79]
	v_add_f64 v[6:7], v[6:7], v[16:17]
	s_waitcnt vmcnt(22)
	v_fmac_f64_e32 v[20:21], v[232:233], v[72:73]
	v_add_f64 v[6:7], v[6:7], v[18:19]
	v_add_f64 v[6:7], v[6:7], v[20:21]
	s_waitcnt vmcnt(0)
	v_pk_mov_b32 v[22:23], v[0:1], v[0:1] op_sel:[0,1]
	buffer_load_dword v1, off, s[0:3], 0 offset:548
	buffer_load_dword v0, off, s[0:3], 0 offset:544
	v_accvgpr_write_b32 a189, v23
	v_accvgpr_write_b32 a188, v22
	s_waitcnt vmcnt(0)
	v_pk_mov_b32 v[14:15], v[0:1], v[0:1] op_sel:[0,1]
	buffer_load_dword v1, off, s[0:3], 0 offset:540
	buffer_load_dword v0, off, s[0:3], 0 offset:536
	;; [unrolled: 1-line block ×6, first 2 shown]
	v_accvgpr_write_b32 a191, v15
	v_accvgpr_write_b32 a190, v14
	s_waitcnt vmcnt(0)
	v_pk_mov_b32 v[24:25], v[8:9], v[8:9] op_sel:[0,1]
	buffer_load_dword v9, off, s[0:3], 0 offset:580
	buffer_load_dword v8, off, s[0:3], 0 offset:576
	v_accvgpr_write_b32 a193, v25
	v_accvgpr_write_b32 a192, v24
	s_waitcnt vmcnt(0)
	v_pk_mov_b32 v[26:27], v[8:9], v[8:9] op_sel:[0,1]
	buffer_load_dword v139, off, s[0:3], 0 offset:572
	buffer_load_dword v138, off, s[0:3], 0 offset:568
	;; [unrolled: 1-line block ×6, first 2 shown]
	v_accvgpr_write_b32 a195, v27
	v_accvgpr_write_b32 a194, v26
	s_waitcnt vmcnt(0)
	v_pk_mov_b32 v[30:31], v[8:9], v[8:9] op_sel:[0,1]
	buffer_load_dword v9, off, s[0:3], 0 offset:612
	buffer_load_dword v8, off, s[0:3], 0 offset:608
	v_accvgpr_write_b32 a197, v31
	v_accvgpr_write_b32 a196, v30
	s_waitcnt vmcnt(0)
	v_pk_mov_b32 v[32:33], v[8:9], v[8:9] op_sel:[0,1]
	buffer_load_dword v147, off, s[0:3], 0 offset:604
	buffer_load_dword v146, off, s[0:3], 0 offset:600
	;; [unrolled: 1-line block ×44, first 2 shown]
	ds_read_b128 v[240:243], v134 offset:1440
	ds_read_b128 v[244:247], v134 offset:1456
	;; [unrolled: 1-line block ×8, first 2 shown]
	v_accvgpr_write_b32 a199, v33
	v_accvgpr_write_b32 a198, v32
	s_waitcnt lgkmcnt(2)
	v_mul_f64 v[12:13], v[126:127], v[22:23]
	v_fmac_f64_e32 v[12:13], v[128:129], v[14:15]
	s_waitcnt lgkmcnt(1)
	v_mul_f64 v[16:17], v[122:123], v[138:139]
	v_fmac_f64_e32 v[16:17], v[124:125], v[142:143]
	;; [unrolled: 3-line block ×3, first 2 shown]
	s_waitcnt vmcnt(38)
	v_pk_mov_b32 v[38:39], v[8:9], v[8:9] op_sel:[0,1]
	v_mul_f64 v[8:9], v[234:235], v[74:75]
	v_fmac_f64_e32 v[8:9], v[236:237], v[84:85]
	v_add_f64 v[6:7], v[6:7], v[8:9]
	v_mul_f64 v[8:9], v[240:241], v[90:91]
	v_fmac_f64_e32 v[8:9], v[242:243], v[92:93]
	v_add_f64 v[6:7], v[6:7], v[8:9]
	;; [unrolled: 3-line block ×6, first 2 shown]
	v_add_f64 v[14:15], v[10:11], v[12:13]
	v_add_f64 v[18:19], v[14:15], v[16:17]
	ds_read_b128 v[14:17], v134 offset:1568
	v_add_f64 v[22:23], v[18:19], v[20:21]
	ds_read_b128 v[18:21], v134 offset:1584
	v_accvgpr_write_b32 a201, v39
	v_accvgpr_write_b32 a200, v38
	s_waitcnt lgkmcnt(1)
	v_mul_f64 v[24:25], v[14:15], v[146:147]
	v_fmac_f64_e32 v[24:25], v[16:17], v[150:151]
	v_add_f64 v[26:27], v[22:23], v[24:25]
	ds_read_b128 v[22:25], v134 offset:1600
	s_waitcnt lgkmcnt(1)
	v_mul_f64 v[28:29], v[18:19], v[30:31]
	v_fmac_f64_e32 v[28:29], v[20:21], v[32:33]
	v_add_f64 v[30:31], v[26:27], v[28:29]
	ds_read_b128 v[26:29], v134 offset:1616
	s_waitcnt vmcnt(34) lgkmcnt(1)
	v_mul_f64 v[32:33], v[22:23], v[154:155]
	s_waitcnt vmcnt(32)
	v_fmac_f64_e32 v[32:33], v[24:25], v[158:159]
	v_add_f64 v[34:35], v[30:31], v[32:33]
	ds_read_b128 v[30:33], v134 offset:1632
	s_waitcnt lgkmcnt(1)
	v_mul_f64 v[36:37], v[26:27], v[38:39]
	v_fmac_f64_e32 v[36:37], v[28:29], v[132:133]
	v_add_f64 v[38:39], v[34:35], v[36:37]
	ds_read_b128 v[34:37], v134 offset:1648
	s_waitcnt vmcnt(26) lgkmcnt(1)
	v_mul_f64 v[40:41], v[30:31], v[162:163]
	s_waitcnt vmcnt(24)
	v_fmac_f64_e32 v[40:41], v[32:33], v[164:165]
	v_add_f64 v[42:43], v[38:39], v[40:41]
	ds_read_b128 v[38:41], v134 offset:1664
	s_waitcnt lgkmcnt(1)
	v_mul_f64 v[44:45], v[34:35], v[130:131]
	v_fmac_f64_e32 v[44:45], v[36:37], v[136:137]
	v_add_f64 v[46:47], v[42:43], v[44:45]
	ds_read_b128 v[42:45], v134 offset:1680
	buffer_load_dword v179, off, s[0:3], 0 offset:812
	buffer_load_dword v181, off, s[0:3], 0 offset:796
	;; [unrolled: 1-line block ×8, first 2 shown]
	s_waitcnt vmcnt(26) lgkmcnt(1)
	v_mul_f64 v[48:49], v[38:39], v[166:167]
	s_waitcnt vmcnt(24)
	v_fmac_f64_e32 v[48:49], v[40:41], v[168:169]
	v_add_f64 v[190:191], v[46:47], v[48:49]
	ds_read_b128 v[46:49], v134 offset:1696
	buffer_load_dword v187, off, s[0:3], 0 offset:828
	buffer_load_dword v186, off, s[0:3], 0 offset:824
	;; [unrolled: 1-line block ×4, first 2 shown]
	s_waitcnt lgkmcnt(1)
	v_mul_f64 v[192:193], v[42:43], v[140:141]
	v_fmac_f64_e32 v[192:193], v[44:45], v[144:145]
	v_add_f64 v[58:59], v[190:191], v[192:193]
	buffer_load_dword v191, off, s[0:3], 0 offset:844
	buffer_load_dword v190, off, s[0:3], 0 offset:840
	;; [unrolled: 1-line block ×9, first 2 shown]
	v_mul_f64 v[8:9], v[108:109], v[200:201]
	buffer_load_dword v200, off, s[0:3], 0 offset:864
	buffer_load_dword v199, off, s[0:3], 0 offset:876
	;; [unrolled: 1-line block ×7, first 2 shown]
	v_mul_f64 v[10:11], v[116:117], v[64:65]
	v_fma_f64 v[4:5], v[114:115], v[4:5], -v[10:11]
	v_mul_f64 v[10:11], v[208:209], v[62:63]
	buffer_load_dword v209, off, s[0:3], 0 offset:908
	buffer_load_dword v208, off, s[0:3], 0 offset:904
	;; [unrolled: 1-line block ×4, first 2 shown]
	v_fma_f64 v[6:7], v[102:103], v[50:51], -v[56:57]
	v_fma_f64 v[102:103], v[206:207], v[60:61], -v[10:11]
	buffer_load_dword v207, off, s[0:3], 0 offset:940
	buffer_load_dword v213, off, s[0:3], 0 offset:924
	;; [unrolled: 1-line block ×12, first 2 shown]
	v_mul_f64 v[50:51], v[112:113], v[54:55]
	v_fma_f64 v[8:9], v[106:107], v[52:53], -v[8:9]
	v_fma_f64 v[2:3], v[110:111], v[2:3], -v[50:51]
	ds_read_b128 v[50:53], v134 offset:1712
	ds_read_b128 v[54:57], v134 offset:1728
	s_waitcnt vmcnt(54) lgkmcnt(2)
	v_mul_f64 v[10:11], v[46:47], v[170:171]
	v_mul_f64 v[12:13], v[224:225], v[76:77]
	s_waitcnt vmcnt(52)
	v_fmac_f64_e32 v[10:11], v[48:49], v[172:173]
	v_fma_f64 v[104:105], v[222:223], v[78:79], -v[12:13]
	s_waitcnt lgkmcnt(1)
	v_mul_f64 v[12:13], v[50:51], v[148:149]
	v_add_f64 v[10:11], v[58:59], v[10:11]
	v_fmac_f64_e32 v[12:13], v[52:53], v[152:153]
	ds_read_b128 v[58:61], v134 offset:1744
	ds_read_b128 v[62:65], v134 offset:1760
	v_add_f64 v[10:11], v[10:11], v[12:13]
	s_waitcnt vmcnt(46) lgkmcnt(2)
	v_mul_f64 v[12:13], v[54:55], v[174:175]
	s_waitcnt vmcnt(44)
	v_fmac_f64_e32 v[12:13], v[56:57], v[176:177]
	v_add_f64 v[10:11], v[10:11], v[12:13]
	v_mul_f64 v[12:13], v[228:229], v[66:67]
	v_mul_f64 v[66:67], v[232:233], v[68:69]
	v_fma_f64 v[230:231], v[230:231], v[72:73], -v[66:67]
	ds_read_b128 v[66:69], v134 offset:1776
	v_fma_f64 v[222:223], v[226:227], v[70:71], -v[12:13]
	ds_read_b128 v[70:73], v134 offset:1792
	s_waitcnt lgkmcnt(3)
	v_mul_f64 v[12:13], v[58:59], v[156:157]
	v_fmac_f64_e32 v[12:13], v[60:61], v[160:161]
	v_add_f64 v[10:11], v[10:11], v[12:13]
	v_mul_f64 v[78:79], v[242:243], v[90:91]
	v_fma_f64 v[240:241], v[240:241], v[92:93], -v[78:79]
	v_mul_f64 v[90:91], v[250:251], v[98:99]
	v_fma_f64 v[248:249], v[248:249], v[100:101], -v[90:91]
	ds_read_b128 v[90:93], v134 offset:1872
	v_mul_f64 v[94:95], v[254:255], v[94:95]
	v_fma_f64 v[252:253], v[252:253], v[96:97], -v[94:95]
	ds_read_b128 v[94:97], v134 offset:1888
	v_add_f64 v[6:7], v[6:7], 0
	v_add_f64 v[6:7], v[6:7], v[8:9]
	;; [unrolled: 1-line block ×4, first 2 shown]
	v_mul_f64 v[0:1], v[82:83], v[0:1]
	v_add_f64 v[2:3], v[2:3], v[102:103]
	v_fma_f64 v[250:251], v[80:81], v[238:239], -v[0:1]
	v_add_f64 v[2:3], v[2:3], v[104:105]
	v_add_f64 v[2:3], v[2:3], v[222:223]
	;; [unrolled: 1-line block ×3, first 2 shown]
	v_accvgpr_read_b32 v4, a188
	v_accvgpr_read_b32 v5, a189
	;; [unrolled: 1-line block ×3, first 2 shown]
	v_mul_f64 v[4:5], v[128:129], v[4:5]
	v_accvgpr_read_b32 v7, a191
	v_fma_f64 v[4:5], v[126:127], v[6:7], -v[4:5]
	v_accvgpr_read_b32 v6, a194
	v_accvgpr_read_b32 v7, a195
	s_waitcnt vmcnt(41) lgkmcnt(4)
	v_mul_f64 v[12:13], v[62:63], v[180:181]
	s_waitcnt vmcnt(39)
	v_fmac_f64_e32 v[12:13], v[64:65], v[184:185]
	v_add_f64 v[10:11], v[10:11], v[12:13]
	s_waitcnt vmcnt(38) lgkmcnt(3)
	v_mul_f64 v[12:13], v[66:67], v[178:179]
	s_waitcnt vmcnt(36)
	v_fmac_f64_e32 v[12:13], v[68:69], v[182:183]
	v_add_f64 v[10:11], v[10:11], v[12:13]
	v_mul_f64 v[12:13], v[236:237], v[74:75]
	ds_read_b128 v[74:77], v134 offset:1808
	v_fma_f64 v[236:237], v[234:235], v[84:85], -v[12:13]
	ds_read_b128 v[232:235], v134 offset:1824
	s_waitcnt vmcnt(34) lgkmcnt(4)
	v_mul_f64 v[12:13], v[70:71], v[186:187]
	s_waitcnt vmcnt(32)
	v_fmac_f64_e32 v[12:13], v[72:73], v[188:189]
	v_add_f64 v[10:11], v[10:11], v[12:13]
	s_waitcnt vmcnt(30) lgkmcnt(1)
	v_mul_f64 v[12:13], v[74:75], v[190:191]
	s_waitcnt vmcnt(28)
	v_fmac_f64_e32 v[12:13], v[76:77], v[194:195]
	v_add_f64 v[10:11], v[10:11], v[12:13]
	;; [unrolled: 5-line block ×3, first 2 shown]
	ds_read_b128 v[10:13], v134 offset:1840
	v_mul_f64 v[84:85], v[246:247], v[86:87]
	v_fma_f64 v[246:247], v[244:245], v[88:89], -v[84:85]
	ds_read_b128 v[86:89], v134 offset:1856
	s_waitcnt vmcnt(9)
	v_mul_f64 v[0:1], v[94:95], v[212:213]
	s_waitcnt lgkmcnt(1)
	v_mul_f64 v[84:85], v[10:11], v[198:199]
	v_fmac_f64_e32 v[84:85], v[12:13], v[200:201]
	v_add_f64 v[78:79], v[78:79], v[84:85]
	s_waitcnt lgkmcnt(0)
	v_mul_f64 v[98:99], v[86:87], v[202:203]
	v_fmac_f64_e32 v[98:99], v[88:89], v[204:205]
	v_add_f64 v[78:79], v[78:79], v[98:99]
	v_mul_f64 v[98:99], v[90:91], v[208:209]
	buffer_load_dword v84, off, s[0:3], 0 offset:968
	v_fmac_f64_e32 v[98:99], v[92:93], v[210:211]
	v_add_f64 v[106:107], v[78:79], v[98:99]
	ds_read_b128 v[98:101], v134 offset:1904
	ds_read_b128 v[78:81], v134 offset:1920
	buffer_load_dword v224, off, s[0:3], 0 offset:960
	buffer_load_dword v85, off, s[0:3], 0 offset:972
	;; [unrolled: 1-line block ×3, first 2 shown]
	s_waitcnt vmcnt(11)
	v_fmac_f64_e32 v[0:1], v[96:97], v[218:219]
	v_add_f64 v[0:1], v[106:107], v[0:1]
	ds_read_b128 v[106:109], v134 offset:1936
	buffer_load_dword v227, off, s[0:3], 0 offset:988
	buffer_load_dword v226, off, s[0:3], 0 offset:984
	;; [unrolled: 1-line block ×4, first 2 shown]
	v_add_f64 v[2:3], v[2:3], v[236:237]
	ds_read_b128 v[110:113], v134 offset:1952
	buffer_load_dword v242, off, s[0:3], 0 offset:1000
	buffer_load_dword v243, off, s[0:3], 0 offset:1004
	;; [unrolled: 1-line block ×4, first 2 shown]
	v_add_f64 v[2:3], v[2:3], v[240:241]
	v_add_f64 v[2:3], v[2:3], v[246:247]
	ds_read_b128 v[114:117], v134 offset:1968
	v_add_f64 v[2:3], v[2:3], v[248:249]
	buffer_load_dword v248, off, s[0:3], 0 offset:304
	buffer_load_dword v249, off, s[0:3], 0 offset:308
	;; [unrolled: 1-line block ×4, first 2 shown]
	v_add_f64 v[252:253], v[2:3], v[252:253]
	v_add_f64 v[2:3], v[252:253], v[250:251]
	;; [unrolled: 1-line block ×3, first 2 shown]
	v_mul_f64 v[4:5], v[124:125], v[138:139]
	v_fma_f64 v[4:5], v[122:123], v[142:143], -v[4:5]
	v_add_f64 v[2:3], v[2:3], v[4:5]
	v_accvgpr_read_b32 v4, a192
	v_accvgpr_read_b32 v5, a193
	v_mul_f64 v[4:5], v[120:121], v[4:5]
	v_fma_f64 v[4:5], v[118:119], v[6:7], -v[4:5]
	v_add_f64 v[2:3], v[2:3], v[4:5]
	v_mul_f64 v[4:5], v[16:17], v[146:147]
	v_fma_f64 v[4:5], v[14:15], v[150:151], -v[4:5]
	v_add_f64 v[2:3], v[2:3], v[4:5]
	v_accvgpr_read_b32 v4, a196
	v_accvgpr_read_b32 v5, a197
	;; [unrolled: 1-line block ×3, first 2 shown]
	v_mul_f64 v[4:5], v[20:21], v[4:5]
	v_accvgpr_read_b32 v7, a199
	v_fma_f64 v[4:5], v[18:19], v[6:7], -v[4:5]
	v_add_f64 v[2:3], v[2:3], v[4:5]
	v_mul_f64 v[4:5], v[24:25], v[154:155]
	v_fma_f64 v[4:5], v[22:23], v[158:159], -v[4:5]
	v_add_f64 v[2:3], v[2:3], v[4:5]
	v_accvgpr_read_b32 v4, a200
	v_accvgpr_read_b32 v5, a201
	v_mul_f64 v[4:5], v[28:29], v[4:5]
	v_fma_f64 v[4:5], v[26:27], v[132:133], -v[4:5]
	v_add_f64 v[2:3], v[2:3], v[4:5]
	v_mul_f64 v[4:5], v[32:33], v[162:163]
	v_fma_f64 v[4:5], v[30:31], v[164:165], -v[4:5]
	v_add_f64 v[2:3], v[2:3], v[4:5]
	;; [unrolled: 3-line block ×17, first 2 shown]
	v_mul_f64 v[4:5], v[96:97], v[212:213]
	v_fma_f64 v[4:5], v[94:95], v[218:219], -v[4:5]
	s_waitcnt vmcnt(22) lgkmcnt(4)
	v_mul_f64 v[82:83], v[98:99], v[206:207]
	v_add_f64 v[2:3], v[2:3], v[4:5]
	v_mul_f64 v[4:5], v[100:101], v[206:207]
	s_waitcnt vmcnt(20)
	v_fmac_f64_e32 v[82:83], v[100:101], v[216:217]
	v_fma_f64 v[4:5], v[98:99], v[216:217], -v[4:5]
	v_add_f64 v[0:1], v[0:1], v[82:83]
	s_waitcnt vmcnt(18) lgkmcnt(3)
	v_mul_f64 v[82:83], v[78:79], v[214:215]
	v_add_f64 v[2:3], v[2:3], v[4:5]
	v_mul_f64 v[4:5], v[80:81], v[214:215]
	s_waitcnt vmcnt(16)
	v_fmac_f64_e32 v[82:83], v[80:81], v[220:221]
	v_fma_f64 v[4:5], v[78:79], v[220:221], -v[4:5]
	v_add_f64 v[0:1], v[0:1], v[82:83]
	;; [unrolled: 8-line block ×5, first 2 shown]
	v_add_f64 v[2:3], v[2:3], v[4:5]
	s_waitcnt vmcnt(2)
	v_add_f64 v[2:3], v[248:249], -v[2:3]
	s_waitcnt vmcnt(0)
	v_add_f64 v[0:1], v[246:247], -v[0:1]
	buffer_store_dword v3, off, s[0:3], 0 offset:308
	buffer_store_dword v2, off, s[0:3], 0 offset:304
	;; [unrolled: 1-line block ×4, first 2 shown]
	v_accvgpr_read_b32 v0, a185
	v_cmp_lt_u32_e32 vcc, 17, v0
	s_and_saveexec_b64 s[4:5], vcc
	s_cbranch_execz .LBB61_363
; %bb.362:
	v_accvgpr_read_b32 v3, a168
	buffer_load_dword v0, v3, s[0:3], 0 offen
	buffer_load_dword v1, v3, s[0:3], 0 offen offset:4
	buffer_load_dword v2, v3, s[0:3], 0 offen offset:8
	s_nop 0
	buffer_load_dword v3, v3, s[0:3], 0 offen offset:12
	v_accvgpr_read_b32 v4, a186
	buffer_store_dword v134, off, s[0:3], 0 offset:288
	buffer_store_dword v134, off, s[0:3], 0 offset:292
	;; [unrolled: 1-line block ×4, first 2 shown]
	s_waitcnt vmcnt(4)
	ds_write_b128 v4, v[0:3]
.LBB61_363:
	s_or_b64 exec, exec, s[4:5]
	s_waitcnt lgkmcnt(0)
	; wave barrier
	s_waitcnt lgkmcnt(0)
	buffer_load_dword v90, off, s[0:3], 0 offset:304
	buffer_load_dword v91, off, s[0:3], 0 offset:308
	;; [unrolled: 1-line block ×36, first 2 shown]
	ds_read_b128 v[82:85], v134 offset:1280
	ds_read_b128 v[78:81], v134 offset:1296
	;; [unrolled: 1-line block ×9, first 2 shown]
	buffer_load_dword v225, off, s[0:3], 0 offset:476
	buffer_load_dword v224, off, s[0:3], 0 offset:472
	;; [unrolled: 1-line block ×19, first 2 shown]
	s_waitcnt vmcnt(51) lgkmcnt(8)
	v_mul_f64 v[0:1], v[82:83], v[92:93]
	v_fmac_f64_e32 v[0:1], v[84:85], v[90:91]
	v_add_f64 v[0:1], v[0:1], 0
	s_waitcnt vmcnt(47) lgkmcnt(7)
	v_mul_f64 v[2:3], v[78:79], v[94:95]
	v_fmac_f64_e32 v[2:3], v[80:81], v[194:195]
	s_waitcnt vmcnt(45) lgkmcnt(6)
	v_mul_f64 v[4:5], v[74:75], v[88:89]
	v_add_f64 v[0:1], v[0:1], v[2:3]
	s_waitcnt vmcnt(43) lgkmcnt(4)
	v_mul_f64 v[8:9], v[62:63], v[96:97]
	v_mul_f64 v[80:81], v[80:81], v[94:95]
	s_waitcnt vmcnt(41)
	v_fmac_f64_e32 v[8:9], v[64:65], v[98:99]
	v_fma_f64 v[200:201], v[78:79], v[194:195], -v[80:81]
	s_waitcnt vmcnt(39)
	v_mul_f64 v[6:7], v[70:71], v[100:101]
	v_mul_f64 v[64:65], v[64:65], v[96:97]
	s_waitcnt vmcnt(37) lgkmcnt(2)
	v_mul_f64 v[12:13], v[54:55], v[104:105]
	v_fma_f64 v[94:95], v[62:63], v[98:99], -v[64:65]
	s_waitcnt vmcnt(35)
	v_fmac_f64_e32 v[12:13], v[56:57], v[108:109]
	v_mul_f64 v[56:57], v[56:57], v[104:105]
	s_waitcnt vmcnt(33)
	v_mul_f64 v[10:11], v[50:51], v[112:113]
	v_fma_f64 v[98:99], v[54:55], v[108:109], -v[56:57]
	s_waitcnt vmcnt(31) lgkmcnt(1)
	v_mul_f64 v[14:15], v[58:59], v[106:107]
	s_waitcnt vmcnt(29)
	v_fmac_f64_e32 v[4:5], v[76:77], v[198:199]
	v_add_f64 v[0:1], v[0:1], v[4:5]
	s_waitcnt vmcnt(27)
	v_fmac_f64_e32 v[6:7], v[72:73], v[116:117]
	v_add_f64 v[0:1], v[0:1], v[6:7]
	;; [unrolled: 3-line block ×3, first 2 shown]
	v_add_f64 v[0:1], v[0:1], v[10:11]
	v_add_f64 v[0:1], v[0:1], v[12:13]
	buffer_load_dword v242, off, s[0:3], 0 offset:528
	buffer_load_dword v13, off, s[0:3], 0 offset:524
	;; [unrolled: 1-line block ×7, first 2 shown]
	s_waitcnt vmcnt(30)
	v_fmac_f64_e32 v[14:15], v[60:61], v[110:111]
	v_add_f64 v[0:1], v[0:1], v[14:15]
	v_mul_f64 v[76:77], v[76:77], v[88:89]
	v_mul_f64 v[52:53], v[52:53], v[112:113]
	v_fma_f64 v[96:97], v[50:51], v[114:115], -v[52:53]
	v_mul_f64 v[60:61], v[60:61], v[106:107]
	v_mul_f64 v[72:73], v[72:73], v[100:101]
	v_fma_f64 v[100:101], v[58:59], v[110:111], -v[60:61]
	s_waitcnt vmcnt(0)
	v_pk_mov_b32 v[18:19], v[2:3], v[2:3] op_sel:[0,1]
	buffer_load_dword v3, off, s[0:3], 0 offset:564
	buffer_load_dword v2, off, s[0:3], 0 offset:560
	v_accvgpr_write_b32 a191, v19
	v_accvgpr_write_b32 a190, v18
	s_waitcnt vmcnt(0)
	v_pk_mov_b32 v[20:21], v[2:3], v[2:3] op_sel:[0,1]
	buffer_load_dword v241, off, s[0:3], 0 offset:556
	buffer_load_dword v240, off, s[0:3], 0 offset:552
	;; [unrolled: 1-line block ×4, first 2 shown]
	v_accvgpr_write_b32 a193, v21
	v_accvgpr_write_b32 a192, v20
	s_waitcnt vmcnt(0)
	v_pk_mov_b32 v[22:23], v[2:3], v[2:3] op_sel:[0,1]
	buffer_load_dword v3, off, s[0:3], 0 offset:604
	buffer_load_dword v2, off, s[0:3], 0 offset:600
	v_accvgpr_write_b32 a189, v23
	v_accvgpr_write_b32 a188, v22
	s_waitcnt vmcnt(0)
	v_pk_mov_b32 v[26:27], v[2:3], v[2:3] op_sel:[0,1]
	buffer_load_dword v3, off, s[0:3], 0 offset:596
	buffer_load_dword v2, off, s[0:3], 0 offset:592
	;; [unrolled: 6-line block ×3, first 2 shown]
	buffer_load_dword v147, off, s[0:3], 0 offset:580
	buffer_load_dword v146, off, s[0:3], 0 offset:576
	;; [unrolled: 1-line block ×4, first 2 shown]
	v_accvgpr_write_b32 a197, v29
	v_accvgpr_write_b32 a196, v28
	s_waitcnt vmcnt(0)
	v_pk_mov_b32 v[34:35], v[2:3], v[2:3] op_sel:[0,1]
	buffer_load_dword v3, off, s[0:3], 0 offset:628
	buffer_load_dword v2, off, s[0:3], 0 offset:624
	v_accvgpr_write_b32 a199, v35
	v_accvgpr_write_b32 a198, v34
	s_waitcnt vmcnt(0)
	v_pk_mov_b32 v[36:37], v[2:3], v[2:3] op_sel:[0,1]
	buffer_load_dword v151, off, s[0:3], 0 offset:620
	buffer_load_dword v150, off, s[0:3], 0 offset:616
	;; [unrolled: 1-line block ×6, first 2 shown]
	v_accvgpr_write_b32 a201, v37
	v_accvgpr_write_b32 a200, v36
	s_waitcnt vmcnt(0)
	v_pk_mov_b32 v[42:43], v[2:3], v[2:3] op_sel:[0,1]
	buffer_load_dword v3, off, s[0:3], 0 offset:660
	buffer_load_dword v2, off, s[0:3], 0 offset:656
	;; [unrolled: 1-line block ×30, first 2 shown]
	ds_read_b128 v[248:251], v134 offset:1424
	ds_read_b128 v[252:255], v134 offset:1440
	;; [unrolled: 1-line block ×7, first 2 shown]
	v_accvgpr_write_b32 a203, v43
	v_accvgpr_write_b32 a202, v42
	s_waitcnt lgkmcnt(5)
	v_mul_f64 v[78:79], v[254:255], v[224:225]
	s_waitcnt lgkmcnt(0)
	v_mul_f64 v[24:25], v[122:123], v[26:27]
	v_fmac_f64_e32 v[24:25], v[124:125], v[28:29]
	s_waitcnt vmcnt(28)
	v_pk_mov_b32 v[44:45], v[2:3], v[2:3] op_sel:[0,1]
	v_mul_f64 v[2:3], v[66:67], v[102:103]
	v_fmac_f64_e32 v[2:3], v[68:69], v[222:223]
	v_add_f64 v[0:1], v[0:1], v[2:3]
	v_mul_f64 v[2:3], v[248:249], v[228:229]
	v_fmac_f64_e32 v[2:3], v[250:251], v[230:231]
	v_add_f64 v[0:1], v[0:1], v[2:3]
	;; [unrolled: 3-line block ×3, first 2 shown]
	ds_read_b128 v[0:3], v134 offset:1472
	v_mul_f64 v[6:7], v[118:119], v[236:237]
	v_fmac_f64_e32 v[6:7], v[120:121], v[246:247]
	v_add_f64 v[8:9], v[4:5], v[6:7]
	ds_read_b128 v[4:7], v134 offset:1488
	s_waitcnt lgkmcnt(1)
	v_mul_f64 v[10:11], v[0:1], v[234:235]
	v_fmac_f64_e32 v[10:11], v[2:3], v[244:245]
	v_add_f64 v[14:15], v[8:9], v[10:11]
	ds_read_b128 v[8:11], v134 offset:1504
	s_waitcnt lgkmcnt(1)
	v_mul_f64 v[16:17], v[4:5], v[12:13]
	v_fmac_f64_e32 v[16:17], v[6:7], v[86:87]
	v_add_f64 v[14:15], v[14:15], v[16:17]
	v_accvgpr_write_b32 a205, v45
	s_waitcnt lgkmcnt(0)
	v_mul_f64 v[16:17], v[8:9], v[232:233]
	v_fmac_f64_e32 v[16:17], v[10:11], v[242:243]
	v_add_f64 v[14:15], v[14:15], v[16:17]
	v_mul_f64 v[16:17], v[136:137], v[240:241]
	v_fmac_f64_e32 v[16:17], v[138:139], v[22:23]
	v_add_f64 v[14:15], v[14:15], v[16:17]
	v_mul_f64 v[16:17], v[126:127], v[18:19]
	v_fmac_f64_e32 v[16:17], v[128:129], v[20:21]
	v_mul_f64 v[20:21], v[130:131], v[142:143]
	v_add_f64 v[18:19], v[14:15], v[16:17]
	v_fmac_f64_e32 v[20:21], v[132:133], v[146:147]
	v_add_f64 v[22:23], v[18:19], v[20:21]
	ds_read_b128 v[18:21], v134 offset:1584
	v_add_f64 v[26:27], v[22:23], v[24:25]
	ds_read_b128 v[22:25], v134 offset:1600
	v_accvgpr_write_b32 a204, v44
	v_mul_f64 v[16:17], v[84:85], v[92:93]
	s_waitcnt lgkmcnt(1)
	v_mul_f64 v[28:29], v[18:19], v[150:151]
	v_fmac_f64_e32 v[28:29], v[20:21], v[154:155]
	v_add_f64 v[30:31], v[26:27], v[28:29]
	ds_read_b128 v[26:29], v134 offset:1616
	s_waitcnt lgkmcnt(1)
	v_mul_f64 v[32:33], v[22:23], v[34:35]
	v_fmac_f64_e32 v[32:33], v[24:25], v[36:37]
	v_add_f64 v[34:35], v[30:31], v[32:33]
	ds_read_b128 v[30:33], v134 offset:1632
	s_waitcnt vmcnt(26) lgkmcnt(1)
	v_mul_f64 v[36:37], v[26:27], v[158:159]
	s_waitcnt vmcnt(24)
	v_fmac_f64_e32 v[36:37], v[28:29], v[160:161]
	v_add_f64 v[38:39], v[34:35], v[36:37]
	ds_read_b128 v[34:37], v134 offset:1648
	s_waitcnt lgkmcnt(1)
	v_mul_f64 v[40:41], v[30:31], v[42:43]
	v_fmac_f64_e32 v[40:41], v[32:33], v[44:45]
	v_add_f64 v[42:43], v[38:39], v[40:41]
	ds_read_b128 v[38:41], v134 offset:1664
	s_waitcnt vmcnt(18) lgkmcnt(1)
	v_mul_f64 v[44:45], v[34:35], v[162:163]
	s_waitcnt vmcnt(16)
	v_fmac_f64_e32 v[44:45], v[36:37], v[164:165]
	v_add_f64 v[46:47], v[42:43], v[44:45]
	ds_read_b128 v[42:45], v134 offset:1680
	buffer_load_dword v175, off, s[0:3], 0 offset:780
	buffer_load_dword v174, off, s[0:3], 0 offset:776
	;; [unrolled: 1-line block ×4, first 2 shown]
	s_waitcnt lgkmcnt(1)
	v_mul_f64 v[48:49], v[38:39], v[238:239]
	v_fmac_f64_e32 v[48:49], v[40:41], v[140:141]
	v_add_f64 v[178:179], v[46:47], v[48:49]
	ds_read_b128 v[46:49], v134 offset:1696
	buffer_load_dword v181, off, s[0:3], 0 offset:796
	buffer_load_dword v180, off, s[0:3], 0 offset:792
	;; [unrolled: 1-line block ×4, first 2 shown]
	s_waitcnt vmcnt(18) lgkmcnt(1)
	v_mul_f64 v[184:185], v[42:43], v[166:167]
	s_waitcnt vmcnt(16)
	v_fmac_f64_e32 v[184:185], v[44:45], v[168:169]
	v_add_f64 v[14:15], v[178:179], v[184:185]
	buffer_load_dword v179, off, s[0:3], 0 offset:828
	buffer_load_dword v187, off, s[0:3], 0 offset:812
	;; [unrolled: 1-line block ×16, first 2 shown]
	v_fma_f64 v[16:17], v[82:83], v[90:91], -v[16:17]
	v_fma_f64 v[90:91], v[74:75], v[198:199], -v[76:77]
	buffer_load_dword v199, off, s[0:3], 0 offset:892
	buffer_load_dword v89, off, s[0:3], 0 offset:876
	;; [unrolled: 1-line block ×12, first 2 shown]
	s_waitcnt lgkmcnt(0)
	v_mul_f64 v[50:51], v[46:47], v[144:145]
	v_fmac_f64_e32 v[50:51], v[48:49], v[148:149]
	buffer_load_dword v213, off, s[0:3], 0 offset:924
	buffer_load_dword v212, off, s[0:3], 0 offset:920
	;; [unrolled: 1-line block ×12, first 2 shown]
	v_add_f64 v[14:15], v[14:15], v[50:51]
	ds_read_b128 v[50:53], v134 offset:1712
	ds_read_b128 v[54:57], v134 offset:1728
	;; [unrolled: 1-line block ×3, first 2 shown]
	v_mul_f64 v[68:69], v[68:69], v[102:103]
	v_fma_f64 v[102:103], v[66:67], v[222:223], -v[68:69]
	ds_read_b128 v[66:69], v134 offset:1776
	s_waitcnt vmcnt(50) lgkmcnt(3)
	v_mul_f64 v[62:63], v[50:51], v[170:171]
	s_waitcnt vmcnt(48)
	v_fmac_f64_e32 v[62:63], v[52:53], v[172:173]
	v_add_f64 v[14:15], v[14:15], v[62:63]
	s_waitcnt lgkmcnt(2)
	v_mul_f64 v[62:63], v[54:55], v[152:153]
	v_fmac_f64_e32 v[62:63], v[56:57], v[156:157]
	v_add_f64 v[14:15], v[14:15], v[62:63]
	v_fma_f64 v[92:93], v[70:71], v[116:117], -v[72:73]
	v_mul_f64 v[70:71], v[250:251], v[228:229]
	v_fma_f64 v[104:105], v[248:249], v[230:231], -v[70:71]
	v_fma_f64 v[248:249], v[252:253], v[226:227], -v[78:79]
	v_mul_f64 v[2:3], v[2:3], v[234:235]
	v_mul_f64 v[6:7], v[6:7], v[12:13]
	;; [unrolled: 1-line block ×3, first 2 shown]
	v_fma_f64 v[234:235], v[0:1], v[244:245], -v[2:3]
	ds_read_b128 v[0:3], v134 offset:1872
	v_fma_f64 v[250:251], v[4:5], v[86:87], -v[6:7]
	ds_read_b128 v[4:7], v134 offset:1904
	v_fma_f64 v[252:253], v[8:9], v[242:243], -v[10:11]
	ds_read_b128 v[8:11], v134 offset:1920
	v_add_f64 v[16:17], v[16:17], 0
	v_add_f64 v[16:17], v[16:17], v[200:201]
	;; [unrolled: 1-line block ×10, first 2 shown]
	ds_read_b128 v[70:73], v134 offset:1792
	v_add_f64 v[16:17], v[16:17], v[248:249]
	v_accvgpr_read_b32 v90, a188
	v_accvgpr_read_b32 v91, a189
	v_mul_f64 v[20:21], v[20:21], v[150:151]
	v_fma_f64 v[18:19], v[18:19], v[154:155], -v[20:21]
	v_accvgpr_read_b32 v20, a200
	v_accvgpr_read_b32 v21, a201
	v_accvgpr_read_b32 v233, a185
	v_cmp_lt_u32_e32 vcc, 16, v233
	ds_read_b128 v[78:81], v134 offset:1824
	s_waitcnt vmcnt(46) lgkmcnt(6)
	v_mul_f64 v[62:63], v[58:59], v[174:175]
	s_waitcnt vmcnt(44)
	v_fmac_f64_e32 v[62:63], v[60:61], v[176:177]
	v_add_f64 v[14:15], v[14:15], v[62:63]
	ds_read_b128 v[62:65], v134 offset:1760
	s_waitcnt vmcnt(42) lgkmcnt(0)
	v_mul_f64 v[74:75], v[62:63], v[180:181]
	s_waitcnt vmcnt(40)
	v_fmac_f64_e32 v[74:75], v[64:65], v[182:183]
	v_add_f64 v[14:15], v[14:15], v[74:75]
	s_waitcnt vmcnt(37)
	v_mul_f64 v[74:75], v[66:67], v[186:187]
	s_waitcnt vmcnt(35)
	v_fmac_f64_e32 v[74:75], v[68:69], v[190:191]
	v_add_f64 v[14:15], v[14:15], v[74:75]
	s_waitcnt vmcnt(34)
	v_mul_f64 v[74:75], v[70:71], v[178:179]
	s_waitcnt vmcnt(32)
	v_fmac_f64_e32 v[74:75], v[72:73], v[188:189]
	v_add_f64 v[14:15], v[14:15], v[74:75]
	ds_read_b128 v[74:77], v134 offset:1808
	s_waitcnt vmcnt(25)
	v_mul_f64 v[106:107], v[78:79], v[184:185]
	s_waitcnt vmcnt(24)
	v_fmac_f64_e32 v[106:107], v[80:81], v[194:195]
	s_waitcnt lgkmcnt(0)
	v_mul_f64 v[82:83], v[74:75], v[192:193]
	v_fmac_f64_e32 v[82:83], v[76:77], v[196:197]
	v_add_f64 v[14:15], v[14:15], v[82:83]
	v_mul_f64 v[82:83], v[120:121], v[236:237]
	v_fma_f64 v[236:237], v[118:119], v[246:247], -v[82:83]
	ds_read_b128 v[82:85], v134 offset:1840
	ds_read_b128 v[118:121], v134 offset:1856
	v_add_f64 v[14:15], v[14:15], v[106:107]
	v_add_f64 v[16:17], v[16:17], v[236:237]
	;; [unrolled: 1-line block ×3, first 2 shown]
	s_waitcnt vmcnt(21) lgkmcnt(1)
	v_mul_f64 v[106:107], v[82:83], v[88:89]
	s_waitcnt vmcnt(19)
	v_fmac_f64_e32 v[106:107], v[84:85], v[206:207]
	v_add_f64 v[14:15], v[14:15], v[106:107]
	s_waitcnt vmcnt(18) lgkmcnt(0)
	v_mul_f64 v[106:107], v[118:119], v[198:199]
	s_waitcnt vmcnt(16)
	v_fmac_f64_e32 v[106:107], v[120:121], v[204:205]
	v_add_f64 v[106:107], v[14:15], v[106:107]
	ds_read_b128 v[12:15], v134 offset:1888
	buffer_load_dword v223, off, s[0:3], 0 offset:972
	buffer_load_dword v222, off, s[0:3], 0 offset:968
	;; [unrolled: 1-line block ×4, first 2 shown]
	s_waitcnt vmcnt(18)
	v_mul_f64 v[108:109], v[0:1], v[202:203]
	s_waitcnt vmcnt(16)
	v_fmac_f64_e32 v[108:109], v[2:3], v[208:209]
	v_add_f64 v[86:87], v[106:107], v[108:109]
	s_waitcnt vmcnt(14) lgkmcnt(0)
	v_mul_f64 v[106:107], v[12:13], v[212:213]
	s_waitcnt vmcnt(12)
	v_fmac_f64_e32 v[106:107], v[14:15], v[214:215]
	v_add_f64 v[86:87], v[86:87], v[106:107]
	s_waitcnt vmcnt(9)
	v_mul_f64 v[106:107], v[4:5], v[218:219]
	s_waitcnt vmcnt(7)
	v_fmac_f64_e32 v[106:107], v[6:7], v[220:221]
	v_add_f64 v[86:87], v[86:87], v[106:107]
	s_waitcnt vmcnt(5)
	v_mul_f64 v[106:107], v[8:9], v[210:211]
	s_waitcnt vmcnt(4)
	v_fmac_f64_e32 v[106:107], v[10:11], v[216:217]
	v_add_f64 v[86:87], v[86:87], v[106:107]
	ds_read_b128 v[106:109], v134 offset:1936
	buffer_load_dword v226, off, s[0:3], 0 offset:984
	buffer_load_dword v227, off, s[0:3], 0 offset:988
	;; [unrolled: 1-line block ×4, first 2 shown]
	v_add_f64 v[16:17], v[254:255], v[250:251]
	v_add_f64 v[16:17], v[16:17], v[252:253]
	v_mul_f64 v[2:3], v[2:3], v[202:203]
	v_fma_f64 v[0:1], v[0:1], v[208:209], -v[2:3]
	v_mul_f64 v[2:3], v[14:15], v[212:213]
	v_fma_f64 v[2:3], v[12:13], v[214:215], -v[2:3]
	s_waitcnt vmcnt(6) lgkmcnt(0)
	v_mul_f64 v[110:111], v[106:107], v[222:223]
	s_waitcnt vmcnt(4)
	v_fmac_f64_e32 v[110:111], v[108:109], v[224:225]
	v_add_f64 v[86:87], v[86:87], v[110:111]
	ds_read_b128 v[110:113], v134 offset:1952
	buffer_load_dword v243, off, s[0:3], 0 offset:1004
	buffer_load_dword v242, off, s[0:3], 0 offset:1000
	;; [unrolled: 1-line block ×4, first 2 shown]
	s_waitcnt vmcnt(6) lgkmcnt(0)
	v_mul_f64 v[114:115], v[110:111], v[226:227]
	s_waitcnt vmcnt(4)
	v_fmac_f64_e32 v[114:115], v[112:113], v[228:229]
	v_add_f64 v[86:87], v[86:87], v[114:115]
	ds_read_b128 v[114:117], v134 offset:1968
	buffer_load_dword v248, off, s[0:3], 0 offset:288
	buffer_load_dword v249, off, s[0:3], 0 offset:292
	;; [unrolled: 1-line block ×4, first 2 shown]
	s_waitcnt vmcnt(6) lgkmcnt(0)
	v_mul_f64 v[134:135], v[114:115], v[242:243]
	s_waitcnt vmcnt(4)
	v_fmac_f64_e32 v[134:135], v[116:117], v[244:245]
	v_add_f64 v[230:231], v[86:87], v[134:135]
	v_mul_f64 v[86:87], v[138:139], v[240:241]
	v_fma_f64 v[86:87], v[136:137], v[90:91], -v[86:87]
	v_add_f64 v[16:17], v[16:17], v[86:87]
	v_accvgpr_read_b32 v86, a190
	v_accvgpr_read_b32 v87, a191
	;; [unrolled: 1-line block ×3, first 2 shown]
	v_mul_f64 v[86:87], v[128:129], v[86:87]
	v_accvgpr_read_b32 v91, a193
	v_fma_f64 v[86:87], v[126:127], v[90:91], -v[86:87]
	v_add_f64 v[16:17], v[16:17], v[86:87]
	v_mul_f64 v[86:87], v[132:133], v[142:143]
	v_fma_f64 v[86:87], v[130:131], v[146:147], -v[86:87]
	v_add_f64 v[16:17], v[16:17], v[86:87]
	v_accvgpr_read_b32 v86, a194
	v_accvgpr_read_b32 v87, a195
	;; [unrolled: 1-line block ×3, first 2 shown]
	v_mul_f64 v[86:87], v[124:125], v[86:87]
	v_accvgpr_read_b32 v91, a197
	v_fma_f64 v[86:87], v[122:123], v[90:91], -v[86:87]
	v_add_f64 v[16:17], v[16:17], v[86:87]
	v_add_f64 v[16:17], v[16:17], v[18:19]
	v_accvgpr_read_b32 v18, a198
	v_accvgpr_read_b32 v19, a199
	v_mul_f64 v[18:19], v[24:25], v[18:19]
	v_fma_f64 v[18:19], v[22:23], v[20:21], -v[18:19]
	v_add_f64 v[16:17], v[16:17], v[18:19]
	v_mul_f64 v[18:19], v[28:29], v[158:159]
	v_fma_f64 v[18:19], v[26:27], v[160:161], -v[18:19]
	v_add_f64 v[16:17], v[16:17], v[18:19]
	v_accvgpr_read_b32 v18, a202
	v_accvgpr_read_b32 v19, a203
	;; [unrolled: 1-line block ×3, first 2 shown]
	v_mul_f64 v[18:19], v[32:33], v[18:19]
	v_accvgpr_read_b32 v21, a205
	v_fma_f64 v[18:19], v[30:31], v[20:21], -v[18:19]
	v_add_f64 v[16:17], v[16:17], v[18:19]
	v_mul_f64 v[18:19], v[36:37], v[162:163]
	v_fma_f64 v[18:19], v[34:35], v[164:165], -v[18:19]
	v_add_f64 v[16:17], v[16:17], v[18:19]
	v_mul_f64 v[18:19], v[40:41], v[238:239]
	;; [unrolled: 3-line block ×14, first 2 shown]
	v_fma_f64 v[18:19], v[118:119], v[204:205], -v[18:19]
	v_add_f64 v[16:17], v[16:17], v[18:19]
	v_add_f64 v[0:1], v[16:17], v[0:1]
	;; [unrolled: 1-line block ×3, first 2 shown]
	v_mul_f64 v[2:3], v[6:7], v[218:219]
	v_fma_f64 v[2:3], v[4:5], v[220:221], -v[2:3]
	v_add_f64 v[0:1], v[0:1], v[2:3]
	v_mul_f64 v[2:3], v[10:11], v[210:211]
	v_fma_f64 v[2:3], v[8:9], v[216:217], -v[2:3]
	v_add_f64 v[0:1], v[0:1], v[2:3]
	;; [unrolled: 3-line block ×5, first 2 shown]
	s_waitcnt vmcnt(2)
	v_add_f64 v[0:1], v[248:249], -v[0:1]
	s_waitcnt vmcnt(0)
	v_add_f64 v[2:3], v[246:247], -v[230:231]
	buffer_store_dword v1, off, s[0:3], 0 offset:292
	buffer_store_dword v0, off, s[0:3], 0 offset:288
	;; [unrolled: 1-line block ×4, first 2 shown]
	s_and_saveexec_b64 s[4:5], vcc
	s_cbranch_execz .LBB61_365
; %bb.364:
	v_accvgpr_read_b32 v3, a169
	buffer_load_dword v0, v3, s[0:3], 0 offen
	buffer_load_dword v1, v3, s[0:3], 0 offen offset:4
	buffer_load_dword v2, v3, s[0:3], 0 offen offset:8
	s_nop 0
	buffer_load_dword v3, v3, s[0:3], 0 offen offset:12
	v_mov_b32_e32 v4, 0
	v_accvgpr_read_b32 v5, a186
	buffer_store_dword v4, off, s[0:3], 0 offset:272
	buffer_store_dword v4, off, s[0:3], 0 offset:276
	;; [unrolled: 1-line block ×4, first 2 shown]
	s_waitcnt vmcnt(4)
	ds_write_b128 v5, v[0:3]
.LBB61_365:
	s_or_b64 exec, exec, s[4:5]
	s_waitcnt lgkmcnt(0)
	; wave barrier
	s_waitcnt lgkmcnt(0)
	buffer_load_dword v56, off, s[0:3], 0 offset:288
	buffer_load_dword v57, off, s[0:3], 0 offset:292
	;; [unrolled: 1-line block ×36, first 2 shown]
	v_mov_b32_e32 v232, 0
	buffer_load_dword v87, off, s[0:3], 0 offset:460
	buffer_load_dword v86, off, s[0:3], 0 offset:456
	;; [unrolled: 1-line block ×18, first 2 shown]
	ds_read_b128 v[110:113], v232 offset:1264
	ds_read_b128 v[114:117], v232 offset:1280
	;; [unrolled: 1-line block ×9, first 2 shown]
	v_cmp_lt_u32_e32 vcc, 15, v233
	s_waitcnt vmcnt(50) lgkmcnt(8)
	v_mul_f64 v[0:1], v[110:111], v[58:59]
	v_fmac_f64_e32 v[0:1], v[112:113], v[56:57]
	v_add_f64 v[0:1], v[0:1], 0
	s_waitcnt vmcnt(46) lgkmcnt(7)
	v_mul_f64 v[2:3], v[114:115], v[54:55]
	v_fmac_f64_e32 v[2:3], v[116:117], v[52:53]
	s_waitcnt vmcnt(44) lgkmcnt(6)
	v_mul_f64 v[4:5], v[194:195], v[50:51]
	v_add_f64 v[0:1], v[0:1], v[2:3]
	s_waitcnt vmcnt(42) lgkmcnt(4)
	v_mul_f64 v[8:9], v[202:203], v[60:61]
	v_mul_f64 v[50:51], v[196:197], v[50:51]
	s_waitcnt vmcnt(40)
	v_fmac_f64_e32 v[8:9], v[204:205], v[62:63]
	v_mul_f64 v[54:55], v[116:117], v[54:55]
	s_waitcnt vmcnt(38)
	v_mul_f64 v[6:7], v[198:199], v[64:65]
	s_waitcnt vmcnt(36) lgkmcnt(2)
	v_mul_f64 v[12:13], v[212:213], v[74:75]
	s_waitcnt vmcnt(34)
	v_fmac_f64_e32 v[12:13], v[214:215], v[72:73]
	s_waitcnt vmcnt(32)
	v_mul_f64 v[10:11], v[206:207], v[76:77]
	s_waitcnt vmcnt(30) lgkmcnt(1)
	v_mul_f64 v[14:15], v[218:219], v[68:69]
	s_waitcnt vmcnt(28)
	v_fmac_f64_e32 v[4:5], v[196:197], v[82:83]
	v_add_f64 v[0:1], v[0:1], v[4:5]
	s_waitcnt vmcnt(26)
	v_fmac_f64_e32 v[6:7], v[200:201], v[80:81]
	v_add_f64 v[0:1], v[0:1], v[6:7]
	;; [unrolled: 3-line block ×3, first 2 shown]
	v_add_f64 v[0:1], v[0:1], v[10:11]
	v_add_f64 v[2:3], v[0:1], v[12:13]
	buffer_load_dword v105, off, s[0:3], 0 offset:516
	buffer_load_dword v104, off, s[0:3], 0 offset:512
	;; [unrolled: 1-line block ×8, first 2 shown]
	s_waitcnt vmcnt(30)
	v_fmac_f64_e32 v[14:15], v[220:221], v[70:71]
	v_add_f64 v[2:3], v[2:3], v[14:15]
	s_waitcnt vmcnt(0)
	v_pk_mov_b32 v[16:17], v[4:5], v[4:5] op_sel:[0,1]
	buffer_load_dword v5, off, s[0:3], 0 offset:548
	buffer_load_dword v4, off, s[0:3], 0 offset:544
	v_accvgpr_write_b32 a189, v17
	v_accvgpr_write_b32 a188, v16
	s_waitcnt vmcnt(0)
	v_pk_mov_b32 v[18:19], v[4:5], v[4:5] op_sel:[0,1]
	buffer_load_dword v107, off, s[0:3], 0 offset:540
	buffer_load_dword v106, off, s[0:3], 0 offset:536
	;; [unrolled: 1-line block ×6, first 2 shown]
	v_accvgpr_write_b32 a191, v19
	v_accvgpr_write_b32 a190, v18
	s_waitcnt vmcnt(0)
	v_pk_mov_b32 v[22:23], v[4:5], v[4:5] op_sel:[0,1]
	buffer_load_dword v5, off, s[0:3], 0 offset:580
	buffer_load_dword v4, off, s[0:3], 0 offset:576
	v_accvgpr_write_b32 a193, v23
	v_accvgpr_write_b32 a192, v22
	s_waitcnt vmcnt(0)
	v_pk_mov_b32 v[24:25], v[4:5], v[4:5] op_sel:[0,1]
	buffer_load_dword v139, off, s[0:3], 0 offset:572
	buffer_load_dword v138, off, s[0:3], 0 offset:568
	;; [unrolled: 1-line block ×6, first 2 shown]
	v_accvgpr_write_b32 a195, v25
	v_accvgpr_write_b32 a194, v24
	s_waitcnt vmcnt(0)
	v_pk_mov_b32 v[30:31], v[4:5], v[4:5] op_sel:[0,1]
	buffer_load_dword v5, off, s[0:3], 0 offset:612
	buffer_load_dword v4, off, s[0:3], 0 offset:608
	v_accvgpr_write_b32 a197, v31
	v_accvgpr_write_b32 a196, v30
	s_waitcnt vmcnt(0)
	v_pk_mov_b32 v[32:33], v[4:5], v[4:5] op_sel:[0,1]
	buffer_load_dword v147, off, s[0:3], 0 offset:604
	buffer_load_dword v146, off, s[0:3], 0 offset:600
	;; [unrolled: 1-line block ×36, first 2 shown]
	ds_read_b128 v[226:229], v232 offset:1408
	ds_read_b128 v[234:237], v232 offset:1424
	ds_read_b128 v[238:241], v232 offset:1440
	ds_read_b128 v[242:245], v232 offset:1456
	ds_read_b128 v[246:249], v232 offset:1472
	ds_read_b128 v[250:253], v232 offset:1488
	ds_read_b128 v[118:121], v232 offset:1504
	ds_read_b128 v[130:133], v232 offset:1520
	ds_read_b128 v[126:129], v232 offset:1536
	ds_read_b128 v[122:125], v232 offset:1552
	v_accvgpr_write_b32 a199, v33
	s_waitcnt lgkmcnt(3)
	v_mul_f64 v[8:9], v[118:119], v[106:107]
	v_fmac_f64_e32 v[8:9], v[120:121], v[108:109]
	s_waitcnt lgkmcnt(2)
	v_mul_f64 v[12:13], v[130:131], v[16:17]
	v_fmac_f64_e32 v[12:13], v[132:133], v[18:19]
	;; [unrolled: 3-line block ×4, first 2 shown]
	v_accvgpr_write_b32 a198, v32
	s_waitcnt vmcnt(28)
	v_pk_mov_b32 v[38:39], v[4:5], v[4:5] op_sel:[0,1]
	v_mul_f64 v[4:5], v[222:223], v[66:67]
	v_fmac_f64_e32 v[4:5], v[224:225], v[84:85]
	v_add_f64 v[2:3], v[2:3], v[4:5]
	v_mul_f64 v[4:5], v[226:227], v[90:91]
	v_fmac_f64_e32 v[4:5], v[228:229], v[92:93]
	v_add_f64 v[2:3], v[2:3], v[4:5]
	;; [unrolled: 3-line block ×7, first 2 shown]
	v_add_f64 v[10:11], v[6:7], v[8:9]
	v_add_f64 v[14:15], v[10:11], v[12:13]
	;; [unrolled: 1-line block ×3, first 2 shown]
	ds_read_b128 v[14:17], v232 offset:1568
	v_add_f64 v[22:23], v[18:19], v[20:21]
	ds_read_b128 v[18:21], v232 offset:1584
	v_accvgpr_write_b32 a201, v39
	v_accvgpr_write_b32 a200, v38
	s_waitcnt lgkmcnt(1)
	v_mul_f64 v[24:25], v[14:15], v[146:147]
	v_fmac_f64_e32 v[24:25], v[16:17], v[150:151]
	v_add_f64 v[26:27], v[22:23], v[24:25]
	ds_read_b128 v[22:25], v232 offset:1600
	s_waitcnt lgkmcnt(1)
	v_mul_f64 v[28:29], v[18:19], v[30:31]
	v_fmac_f64_e32 v[28:29], v[20:21], v[32:33]
	v_add_f64 v[30:31], v[26:27], v[28:29]
	ds_read_b128 v[26:29], v232 offset:1616
	s_waitcnt vmcnt(26) lgkmcnt(1)
	v_mul_f64 v[32:33], v[22:23], v[154:155]
	s_waitcnt vmcnt(24)
	v_fmac_f64_e32 v[32:33], v[24:25], v[156:157]
	v_add_f64 v[34:35], v[30:31], v[32:33]
	ds_read_b128 v[30:33], v232 offset:1632
	s_waitcnt lgkmcnt(1)
	v_mul_f64 v[36:37], v[26:27], v[254:255]
	v_fmac_f64_e32 v[36:37], v[28:29], v[38:39]
	v_add_f64 v[38:39], v[34:35], v[36:37]
	ds_read_b128 v[34:37], v232 offset:1648
	s_waitcnt vmcnt(18) lgkmcnt(1)
	v_mul_f64 v[40:41], v[30:31], v[158:159]
	s_waitcnt vmcnt(16)
	;; [unrolled: 11-line block ×3, first 2 shown]
	v_fmac_f64_e32 v[48:49], v[40:41], v[164:165]
	v_add_f64 v[172:173], v[46:47], v[48:49]
	ds_read_b128 v[46:49], v232 offset:1696
	buffer_load_dword v171, off, s[0:3], 0 offset:764
	buffer_load_dword v170, off, s[0:3], 0 offset:760
	;; [unrolled: 1-line block ×4, first 2 shown]
	s_waitcnt lgkmcnt(1)
	v_mul_f64 v[176:177], v[42:43], v[140:141]
	v_fmac_f64_e32 v[176:177], v[44:45], v[144:145]
	v_add_f64 v[2:3], v[172:173], v[176:177]
	buffer_load_dword v177, off, s[0:3], 0 offset:780
	buffer_load_dword v176, off, s[0:3], 0 offset:776
	buffer_load_dword v179, off, s[0:3], 0 offset:772
	buffer_load_dword v178, off, s[0:3], 0 offset:768
	buffer_load_dword v173, off, s[0:3], 0 offset:812
	buffer_load_dword v183, off, s[0:3], 0 offset:796
	buffer_load_dword v182, off, s[0:3], 0 offset:792
	buffer_load_dword v187, off, s[0:3], 0 offset:788
	buffer_load_dword v186, off, s[0:3], 0 offset:784
	buffer_load_dword v172, off, s[0:3], 0 offset:808
	buffer_load_dword v185, off, s[0:3], 0 offset:804
	buffer_load_dword v184, off, s[0:3], 0 offset:800
	buffer_load_dword v180, off, s[0:3], 0 offset:840
	buffer_load_dword v191, off, s[0:3], 0 offset:828
	buffer_load_dword v190, off, s[0:3], 0 offset:824
	buffer_load_dword v193, off, s[0:3], 0 offset:820
	buffer_load_dword v192, off, s[0:3], 0 offset:816
	buffer_load_dword v188, off, s[0:3], 0 offset:832
	buffer_load_dword v181, off, s[0:3], 0 offset:844
	buffer_load_dword v189, off, s[0:3], 0 offset:836
	v_mul_f64 v[4:5], v[112:113], v[58:59]
	v_fma_f64 v[112:113], v[194:195], v[82:83], -v[50:51]
	buffer_load_dword v195, off, s[0:3], 0 offset:860
	buffer_load_dword v194, off, s[0:3], 0 offset:856
	;; [unrolled: 1-line block ×4, first 2 shown]
	v_mul_f64 v[50:51], v[200:201], v[64:65]
	v_fma_f64 v[80:81], v[198:199], v[80:81], -v[50:51]
	v_mul_f64 v[50:51], v[204:205], v[60:61]
	v_fma_f64 v[210:211], v[202:203], v[62:63], -v[50:51]
	buffer_load_dword v199, off, s[0:3], 0 offset:876
	buffer_load_dword v198, off, s[0:3], 0 offset:872
	;; [unrolled: 1-line block ×8, first 2 shown]
	v_fma_f64 v[10:11], v[110:111], v[56:57], -v[4:5]
	v_fma_f64 v[110:111], v[114:115], v[52:53], -v[54:55]
	ds_read_b128 v[50:53], v232 offset:1712
	v_mul_f64 v[54:55], v[208:209], v[76:77]
	v_fma_f64 v[76:77], v[206:207], v[78:79], -v[54:55]
	v_mul_f64 v[54:55], v[214:215], v[74:75]
	v_fma_f64 v[74:75], v[212:213], v[72:73], -v[54:55]
	s_waitcnt vmcnt(38) lgkmcnt(1)
	v_mul_f64 v[54:55], v[46:47], v[166:167]
	s_waitcnt vmcnt(36)
	v_fmac_f64_e32 v[54:55], v[48:49], v[168:169]
	v_add_f64 v[2:3], v[2:3], v[54:55]
	s_waitcnt lgkmcnt(0)
	v_mul_f64 v[54:55], v[50:51], v[148:149]
	v_mul_f64 v[56:57], v[220:221], v[68:69]
	v_fmac_f64_e32 v[54:55], v[52:53], v[152:153]
	buffer_load_dword v209, off, s[0:3], 0 offset:908
	buffer_load_dword v208, off, s[0:3], 0 offset:904
	;; [unrolled: 1-line block ×12, first 2 shown]
	v_fma_f64 v[114:115], v[218:219], v[70:71], -v[56:57]
	buffer_load_dword v219, off, s[0:3], 0 offset:956
	buffer_load_dword v218, off, s[0:3], 0 offset:952
	;; [unrolled: 1-line block ×4, first 2 shown]
	v_add_f64 v[2:3], v[2:3], v[54:55]
	ds_read_b128 v[54:57], v232 offset:1728
	v_mul_f64 v[58:59], v[224:225], v[66:67]
	v_fma_f64 v[222:223], v[222:223], v[84:85], -v[58:59]
	ds_read_b128 v[58:61], v232 offset:1744
	ds_read_b128 v[70:73], v232 offset:1792
	v_mul_f64 v[84:85], v[240:241], v[100:101]
	v_fma_f64 v[4:5], v[238:239], v[102:103], -v[84:85]
	ds_read_b128 v[238:241], v232 offset:1808
	v_add_f64 v[10:11], v[10:11], 0
	v_add_f64 v[10:11], v[10:11], v[110:111]
	;; [unrolled: 1-line block ×9, first 2 shown]
	ds_read_b128 v[66:69], v232 offset:1776
	s_waitcnt vmcnt(50) lgkmcnt(4)
	v_mul_f64 v[62:63], v[54:55], v[170:171]
	s_waitcnt vmcnt(48)
	v_fmac_f64_e32 v[62:63], v[56:57], v[174:175]
	v_add_f64 v[2:3], v[2:3], v[62:63]
	v_mul_f64 v[62:63], v[228:229], v[90:91]
	v_fma_f64 v[6:7], v[226:227], v[92:93], -v[62:63]
	ds_read_b128 v[62:65], v232 offset:1760
	s_waitcnt vmcnt(46) lgkmcnt(4)
	v_mul_f64 v[8:9], v[58:59], v[176:177]
	s_waitcnt vmcnt(44)
	v_fmac_f64_e32 v[8:9], v[60:61], v[178:179]
	v_add_f64 v[2:3], v[2:3], v[8:9]
	v_mul_f64 v[8:9], v[236:237], v[86:87]
	s_waitcnt vmcnt(41) lgkmcnt(0)
	v_mul_f64 v[82:83], v[62:63], v[182:183]
	s_waitcnt vmcnt(39)
	v_fmac_f64_e32 v[82:83], v[64:65], v[186:187]
	v_fma_f64 v[8:9], v[234:235], v[88:89], -v[8:9]
	v_add_f64 v[2:3], v[2:3], v[82:83]
	s_waitcnt vmcnt(38)
	v_mul_f64 v[82:83], v[66:67], v[172:173]
	ds_read_b128 v[234:237], v232 offset:1824
	s_waitcnt vmcnt(36)
	v_fmac_f64_e32 v[82:83], v[68:69], v[184:185]
	v_add_f64 v[2:3], v[2:3], v[82:83]
	ds_read_b128 v[82:85], v232 offset:1840
	s_waitcnt vmcnt(33)
	v_mul_f64 v[12:13], v[70:71], v[190:191]
	s_waitcnt vmcnt(31)
	v_fmac_f64_e32 v[12:13], v[72:73], v[192:193]
	v_mul_f64 v[86:87], v[248:249], v[230:231]
	v_add_f64 v[2:3], v[2:3], v[12:13]
	s_waitcnt vmcnt(29)
	v_mul_f64 v[12:13], v[238:239], v[180:181]
	v_fma_f64 v[246:247], v[246:247], v[0:1], -v[86:87]
	ds_read_b128 v[86:89], v232 offset:1856
	s_waitcnt vmcnt(28)
	v_fmac_f64_e32 v[12:13], v[240:241], v[188:189]
	s_waitcnt vmcnt(26) lgkmcnt(2)
	v_mul_f64 v[90:91], v[234:235], v[194:195]
	v_add_f64 v[2:3], v[2:3], v[12:13]
	s_waitcnt vmcnt(24)
	v_fmac_f64_e32 v[90:91], v[236:237], v[196:197]
	v_add_f64 v[0:1], v[2:3], v[90:91]
	ds_read_b128 v[90:93], v232 offset:1872
	s_waitcnt vmcnt(22) lgkmcnt(2)
	v_mul_f64 v[2:3], v[82:83], v[198:199]
	s_waitcnt vmcnt(20)
	v_fmac_f64_e32 v[2:3], v[84:85], v[202:203]
	v_add_f64 v[0:1], v[0:1], v[2:3]
	s_waitcnt vmcnt(18) lgkmcnt(1)
	v_mul_f64 v[2:3], v[86:87], v[200:201]
	v_mul_f64 v[12:13], v[244:245], v[96:97]
	s_waitcnt vmcnt(16)
	v_fmac_f64_e32 v[2:3], v[88:89], v[204:205]
	v_fma_f64 v[12:13], v[242:243], v[98:99], -v[12:13]
	v_add_f64 v[0:1], v[0:1], v[2:3]
	v_mul_f64 v[2:3], v[252:253], v[94:95]
	v_mul_f64 v[98:99], v[120:121], v[106:107]
	v_fma_f64 v[252:253], v[250:251], v[104:105], -v[2:3]
	ds_read_b128 v[94:97], v232 offset:1888
	v_fma_f64 v[250:251], v[118:119], v[108:109], -v[98:99]
	ds_read_b128 v[98:101], v232 offset:1904
	ds_read_b128 v[102:105], v232 offset:1920
	buffer_load_dword v120, off, s[0:3], 0 offset:968
	buffer_load_dword v121, off, s[0:3], 0 offset:972
	;; [unrolled: 1-line block ×4, first 2 shown]
	s_waitcnt vmcnt(18) lgkmcnt(3)
	v_mul_f64 v[2:3], v[90:91], v[208:209]
	s_waitcnt vmcnt(16)
	v_fmac_f64_e32 v[2:3], v[92:93], v[78:79]
	v_add_f64 v[0:1], v[0:1], v[2:3]
	s_waitcnt vmcnt(13) lgkmcnt(2)
	v_mul_f64 v[2:3], v[94:95], v[214:215]
	s_waitcnt vmcnt(11)
	v_fmac_f64_e32 v[2:3], v[96:97], v[216:217]
	ds_read_b128 v[106:109], v232 offset:1936
	buffer_load_dword v227, off, s[0:3], 0 offset:988
	buffer_load_dword v226, off, s[0:3], 0 offset:984
	;; [unrolled: 1-line block ×4, first 2 shown]
	v_add_f64 v[0:1], v[0:1], v[2:3]
	s_waitcnt vmcnt(13) lgkmcnt(2)
	v_mul_f64 v[2:3], v[98:99], v[206:207]
	s_waitcnt vmcnt(12)
	v_fmac_f64_e32 v[2:3], v[100:101], v[212:213]
	v_add_f64 v[0:1], v[0:1], v[2:3]
	s_waitcnt vmcnt(10) lgkmcnt(1)
	v_mul_f64 v[2:3], v[102:103], v[218:219]
	s_waitcnt vmcnt(8)
	v_fmac_f64_e32 v[2:3], v[104:105], v[220:221]
	v_add_f64 v[0:1], v[0:1], v[2:3]
	v_add_f64 v[6:7], v[10:11], v[6:7]
	;; [unrolled: 1-line block ×6, first 2 shown]
	v_accvgpr_read_b32 v6, a188
	v_accvgpr_read_b32 v7, a189
	;; [unrolled: 1-line block ×3, first 2 shown]
	v_add_f64 v[252:253], v[4:5], v[252:253]
	v_mul_f64 v[6:7], v[132:133], v[6:7]
	v_accvgpr_read_b32 v9, a191
	v_add_f64 v[4:5], v[252:253], v[250:251]
	v_fma_f64 v[6:7], v[130:131], v[8:9], -v[6:7]
	v_add_f64 v[4:5], v[4:5], v[6:7]
	v_mul_f64 v[6:7], v[128:129], v[138:139]
	v_fma_f64 v[6:7], v[126:127], v[142:143], -v[6:7]
	v_add_f64 v[4:5], v[4:5], v[6:7]
	v_accvgpr_read_b32 v6, a192
	v_accvgpr_read_b32 v7, a193
	;; [unrolled: 1-line block ×3, first 2 shown]
	v_mul_f64 v[6:7], v[124:125], v[6:7]
	v_accvgpr_read_b32 v9, a195
	v_fma_f64 v[6:7], v[122:123], v[8:9], -v[6:7]
	v_add_f64 v[4:5], v[4:5], v[6:7]
	v_mul_f64 v[6:7], v[16:17], v[146:147]
	v_fma_f64 v[6:7], v[14:15], v[150:151], -v[6:7]
	v_add_f64 v[4:5], v[4:5], v[6:7]
	v_accvgpr_read_b32 v6, a196
	v_accvgpr_read_b32 v7, a197
	;; [unrolled: 1-line block ×3, first 2 shown]
	v_mul_f64 v[6:7], v[20:21], v[6:7]
	v_accvgpr_read_b32 v9, a199
	v_fma_f64 v[6:7], v[18:19], v[8:9], -v[6:7]
	v_add_f64 v[4:5], v[4:5], v[6:7]
	v_mul_f64 v[6:7], v[24:25], v[154:155]
	v_fma_f64 v[6:7], v[22:23], v[156:157], -v[6:7]
	v_accvgpr_read_b32 v8, a200
	v_add_f64 v[4:5], v[4:5], v[6:7]
	v_mul_f64 v[6:7], v[28:29], v[254:255]
	v_accvgpr_read_b32 v9, a201
	v_fma_f64 v[6:7], v[26:27], v[8:9], -v[6:7]
	v_add_f64 v[4:5], v[4:5], v[6:7]
	v_mul_f64 v[6:7], v[32:33], v[158:159]
	v_fma_f64 v[6:7], v[30:31], v[160:161], -v[6:7]
	v_add_f64 v[4:5], v[4:5], v[6:7]
	v_mul_f64 v[6:7], v[36:37], v[134:135]
	;; [unrolled: 3-line block ×7, first 2 shown]
	v_fma_f64 v[6:7], v[54:55], v[174:175], -v[6:7]
	v_add_f64 v[4:5], v[4:5], v[6:7]
	s_waitcnt vmcnt(6) lgkmcnt(0)
	v_mul_f64 v[2:3], v[106:107], v[120:121]
	v_mul_f64 v[6:7], v[60:61], v[176:177]
	s_waitcnt vmcnt(4)
	v_fmac_f64_e32 v[2:3], v[108:109], v[224:225]
	v_add_f64 v[116:117], v[0:1], v[2:3]
	ds_read_b128 v[0:3], v232 offset:1952
	buffer_load_dword v242, off, s[0:3], 0 offset:1000
	buffer_load_dword v243, off, s[0:3], 0 offset:1004
	;; [unrolled: 1-line block ×4, first 2 shown]
	v_fma_f64 v[6:7], v[58:59], v[178:179], -v[6:7]
	v_add_f64 v[4:5], v[4:5], v[6:7]
	v_mul_f64 v[6:7], v[64:65], v[182:183]
	s_waitcnt vmcnt(6) lgkmcnt(0)
	v_mul_f64 v[118:119], v[0:1], v[226:227]
	s_waitcnt vmcnt(4)
	v_fmac_f64_e32 v[118:119], v[2:3], v[228:229]
	v_add_f64 v[230:231], v[116:117], v[118:119]
	ds_read_b128 v[116:119], v232 offset:1968
	v_fma_f64 v[6:7], v[62:63], v[186:187], -v[6:7]
	v_add_f64 v[4:5], v[4:5], v[6:7]
	v_mul_f64 v[6:7], v[68:69], v[172:173]
	v_fma_f64 v[6:7], v[66:67], v[184:185], -v[6:7]
	v_add_f64 v[4:5], v[4:5], v[6:7]
	v_mul_f64 v[6:7], v[72:73], v[190:191]
	;; [unrolled: 3-line block ×11, first 2 shown]
	v_fma_f64 v[6:7], v[106:107], v[224:225], -v[6:7]
	v_mul_f64 v[2:3], v[2:3], v[226:227]
	v_add_f64 v[4:5], v[4:5], v[6:7]
	v_fma_f64 v[0:1], v[0:1], v[228:229], -v[2:3]
	v_add_f64 v[0:1], v[4:5], v[0:1]
	s_waitcnt vmcnt(2) lgkmcnt(0)
	v_mul_f64 v[248:249], v[116:117], v[242:243]
	v_mul_f64 v[2:3], v[118:119], v[242:243]
	s_waitcnt vmcnt(0)
	v_fmac_f64_e32 v[248:249], v[118:119], v[244:245]
	v_add_f64 v[230:231], v[230:231], v[248:249]
	buffer_load_dword v248, off, s[0:3], 0 offset:272
	buffer_load_dword v249, off, s[0:3], 0 offset:276
	;; [unrolled: 1-line block ×4, first 2 shown]
	v_fma_f64 v[2:3], v[116:117], v[244:245], -v[2:3]
	v_add_f64 v[0:1], v[0:1], v[2:3]
	s_waitcnt vmcnt(2)
	v_add_f64 v[0:1], v[248:249], -v[0:1]
	s_waitcnt vmcnt(0)
	v_add_f64 v[2:3], v[246:247], -v[230:231]
	buffer_store_dword v1, off, s[0:3], 0 offset:276
	buffer_store_dword v0, off, s[0:3], 0 offset:272
	;; [unrolled: 1-line block ×4, first 2 shown]
	s_and_saveexec_b64 s[4:5], vcc
	s_cbranch_execz .LBB61_367
; %bb.366:
	v_accvgpr_read_b32 v3, a170
	buffer_load_dword v0, v3, s[0:3], 0 offen
	buffer_load_dword v1, v3, s[0:3], 0 offen offset:4
	buffer_load_dword v2, v3, s[0:3], 0 offen offset:8
	s_nop 0
	buffer_load_dword v3, v3, s[0:3], 0 offen offset:12
	v_accvgpr_read_b32 v4, a186
	buffer_store_dword v232, off, s[0:3], 0 offset:256
	buffer_store_dword v232, off, s[0:3], 0 offset:260
	;; [unrolled: 1-line block ×4, first 2 shown]
	s_waitcnt vmcnt(4)
	ds_write_b128 v4, v[0:3]
.LBB61_367:
	s_or_b64 exec, exec, s[4:5]
	s_waitcnt lgkmcnt(0)
	; wave barrier
	s_waitcnt lgkmcnt(0)
	buffer_load_dword v60, off, s[0:3], 0 offset:272
	buffer_load_dword v61, off, s[0:3], 0 offset:276
	;; [unrolled: 1-line block ×42, first 2 shown]
	ds_read_b128 v[114:117], v232 offset:1248
	ds_read_b128 v[180:183], v232 offset:1264
	ds_read_b128 v[184:187], v232 offset:1280
	ds_read_b128 v[192:195], v232 offset:1296
	ds_read_b128 v[198:201], v232 offset:1312
	ds_read_b128 v[202:205], v232 offset:1328
	ds_read_b128 v[206:209], v232 offset:1344
	ds_read_b128 v[210:213], v232 offset:1360
	ds_read_b128 v[218:221], v232 offset:1376
	ds_read_b128 v[54:57], v232 offset:1392
	buffer_load_dword v1, off, s[0:3], 0 offset:420
	buffer_load_dword v0, off, s[0:3], 0 offset:416
	ds_read_b128 v[62:65], v232 offset:1408
	buffer_load_dword v101, off, s[0:3], 0 offset:476
	buffer_load_dword v100, off, s[0:3], 0 offset:472
	;; [unrolled: 1-line block ×6, first 2 shown]
	s_waitcnt vmcnt(46) lgkmcnt(10)
	v_mul_f64 v[2:3], v[114:115], v[66:67]
	v_fmac_f64_e32 v[2:3], v[116:117], v[60:61]
	v_add_f64 v[2:3], v[2:3], 0
	s_waitcnt vmcnt(42) lgkmcnt(9)
	v_mul_f64 v[4:5], v[180:181], v[58:59]
	v_fmac_f64_e32 v[4:5], v[182:183], v[50:51]
	v_add_f64 v[2:3], v[2:3], v[4:5]
	buffer_load_dword v231, off, s[0:3], 0 offset:452
	buffer_load_dword v230, off, s[0:3], 0 offset:448
	;; [unrolled: 1-line block ×20, first 2 shown]
	s_waitcnt vmcnt(60) lgkmcnt(8)
	v_mul_f64 v[6:7], v[184:185], v[52:53]
	s_waitcnt vmcnt(58) lgkmcnt(6)
	v_mul_f64 v[10:11], v[198:199], v[68:69]
	s_waitcnt vmcnt(56)
	v_fmac_f64_e32 v[10:11], v[200:201], v[70:71]
	v_mul_f64 v[58:59], v[182:183], v[58:59]
	s_waitcnt vmcnt(54)
	v_mul_f64 v[8:9], v[192:193], v[72:73]
	v_fma_f64 v[58:59], v[180:181], v[50:51], -v[58:59]
	s_waitcnt vmcnt(52) lgkmcnt(4)
	v_mul_f64 v[14:15], v[206:207], v[74:75]
	v_mul_f64 v[50:51], v[186:187], v[52:53]
	s_waitcnt vmcnt(50)
	v_fmac_f64_e32 v[14:15], v[208:209], v[76:77]
	s_waitcnt vmcnt(48)
	v_mul_f64 v[12:13], v[202:203], v[214:215]
	s_waitcnt vmcnt(46) lgkmcnt(2)
	v_mul_f64 v[18:19], v[218:219], v[82:83]
	s_waitcnt vmcnt(43)
	v_mul_f64 v[16:17], v[210:211], v[86:87]
	s_waitcnt vmcnt(41) lgkmcnt(1)
	v_mul_f64 v[20:21], v[54:55], v[80:81]
	s_waitcnt vmcnt(39)
	v_fmac_f64_e32 v[6:7], v[186:187], v[96:97]
	v_add_f64 v[2:3], v[2:3], v[6:7]
	s_waitcnt vmcnt(37)
	v_fmac_f64_e32 v[8:9], v[194:195], v[92:93]
	v_add_f64 v[2:3], v[2:3], v[8:9]
	;; [unrolled: 3-line block ×3, first 2 shown]
	v_add_f64 v[2:3], v[2:3], v[12:13]
	s_waitcnt vmcnt(33)
	v_fmac_f64_e32 v[16:17], v[212:213], v[88:89]
	v_add_f64 v[2:3], v[2:3], v[14:15]
	s_waitcnt vmcnt(32)
	v_fmac_f64_e32 v[18:19], v[220:221], v[84:85]
	v_add_f64 v[2:3], v[2:3], v[16:17]
	v_add_f64 v[2:3], v[2:3], v[18:19]
	s_waitcnt vmcnt(26)
	v_fmac_f64_e32 v[20:21], v[56:57], v[0:1]
	v_add_f64 v[2:3], v[2:3], v[20:21]
	v_mul_f64 v[56:57], v[56:57], v[80:81]
	s_waitcnt vmcnt(0)
	v_pk_mov_b32 v[18:19], v[4:5], v[4:5] op_sel:[0,1]
	buffer_load_dword v5, off, s[0:3], 0 offset:564
	buffer_load_dword v4, off, s[0:3], 0 offset:560
	v_accvgpr_write_b32 a191, v19
	v_accvgpr_write_b32 a190, v18
	s_waitcnt vmcnt(0)
	v_pk_mov_b32 v[22:23], v[4:5], v[4:5] op_sel:[0,1]
	buffer_load_dword v5, off, s[0:3], 0 offset:556
	buffer_load_dword v4, off, s[0:3], 0 offset:552
	v_accvgpr_write_b32 a193, v23
	v_accvgpr_write_b32 a192, v22
	s_waitcnt vmcnt(0)
	v_pk_mov_b32 v[14:15], v[4:5], v[4:5] op_sel:[0,1]
	buffer_load_dword v139, off, s[0:3], 0 offset:548
	buffer_load_dword v138, off, s[0:3], 0 offset:544
	buffer_load_dword v5, off, s[0:3], 0 offset:604
	buffer_load_dword v4, off, s[0:3], 0 offset:600
	v_accvgpr_write_b32 a189, v15
	v_accvgpr_write_b32 a188, v14
	s_waitcnt vmcnt(0)
	v_pk_mov_b32 v[26:27], v[4:5], v[4:5] op_sel:[0,1]
	buffer_load_dword v5, off, s[0:3], 0 offset:596
	buffer_load_dword v4, off, s[0:3], 0 offset:592
	v_accvgpr_write_b32 a195, v27
	v_accvgpr_write_b32 a194, v26
	s_waitcnt vmcnt(0)
	v_pk_mov_b32 v[28:29], v[4:5], v[4:5] op_sel:[0,1]
	buffer_load_dword v143, off, s[0:3], 0 offset:588
	buffer_load_dword v142, off, s[0:3], 0 offset:584
	buffer_load_dword v147, off, s[0:3], 0 offset:580
	buffer_load_dword v146, off, s[0:3], 0 offset:576
	buffer_load_dword v5, off, s[0:3], 0 offset:636
	buffer_load_dword v4, off, s[0:3], 0 offset:632
	v_accvgpr_write_b32 a197, v29
	v_accvgpr_write_b32 a196, v28
	s_waitcnt vmcnt(0)
	v_pk_mov_b32 v[34:35], v[4:5], v[4:5] op_sel:[0,1]
	buffer_load_dword v5, off, s[0:3], 0 offset:628
	buffer_load_dword v4, off, s[0:3], 0 offset:624
	v_accvgpr_write_b32 a199, v35
	v_accvgpr_write_b32 a198, v34
	s_waitcnt vmcnt(0)
	v_pk_mov_b32 v[36:37], v[4:5], v[4:5] op_sel:[0,1]
	buffer_load_dword v151, off, s[0:3], 0 offset:620
	buffer_load_dword v150, off, s[0:3], 0 offset:616
	;; [unrolled: 16-line block ×3, first 2 shown]
	buffer_load_dword v161, off, s[0:3], 0 offset:644
	buffer_load_dword v160, off, s[0:3], 0 offset:640
	buffer_load_dword v5, off, s[0:3], 0 offset:700
	buffer_load_dword v4, off, s[0:3], 0 offset:696
	buffer_load_dword v141, off, s[0:3], 0 offset:692
	buffer_load_dword v140, off, s[0:3], 0 offset:688
	buffer_load_dword v163, off, s[0:3], 0 offset:684
	buffer_load_dword v162, off, s[0:3], 0 offset:680
	buffer_load_dword v165, off, s[0:3], 0 offset:676
	buffer_load_dword v164, off, s[0:3], 0 offset:672
	buffer_load_dword v145, off, s[0:3], 0 offset:732
	buffer_load_dword v144, off, s[0:3], 0 offset:728
	buffer_load_dword v149, off, s[0:3], 0 offset:724
	buffer_load_dword v148, off, s[0:3], 0 offset:720
	buffer_load_dword v167, off, s[0:3], 0 offset:716
	buffer_load_dword v166, off, s[0:3], 0 offset:712
	buffer_load_dword v169, off, s[0:3], 0 offset:708
	buffer_load_dword v168, off, s[0:3], 0 offset:704
	buffer_load_dword v153, off, s[0:3], 0 offset:764
	buffer_load_dword v152, off, s[0:3], 0 offset:760
	buffer_load_dword v157, off, s[0:3], 0 offset:756
	buffer_load_dword v156, off, s[0:3], 0 offset:752
	buffer_load_dword v171, off, s[0:3], 0 offset:748
	buffer_load_dword v170, off, s[0:3], 0 offset:744
	buffer_load_dword v173, off, s[0:3], 0 offset:740
	buffer_load_dword v172, off, s[0:3], 0 offset:736
	ds_read_b128 v[222:225], v232 offset:1424
	ds_read_b128 v[226:229], v232 offset:1440
	;; [unrolled: 1-line block ×10, first 2 shown]
	s_waitcnt lgkmcnt(4)
	v_mul_f64 v[8:9], v[246:247], v[106:107]
	v_fmac_f64_e32 v[8:9], v[248:249], v[108:109]
	s_waitcnt lgkmcnt(3)
	v_mul_f64 v[12:13], v[134:135], v[14:15]
	v_fmac_f64_e32 v[12:13], v[136:137], v[138:139]
	;; [unrolled: 3-line block ×4, first 2 shown]
	ds_read_b128 v[118:121], v232 offset:1584
	s_waitcnt lgkmcnt(1)
	v_mul_f64 v[24:25], v[122:123], v[26:27]
	v_fmac_f64_e32 v[24:25], v[124:125], v[28:29]
	v_accvgpr_write_b32 a205, v45
	v_accvgpr_write_b32 a204, v44
	s_waitcnt vmcnt(22)
	v_pk_mov_b32 v[174:175], v[4:5], v[4:5] op_sel:[0,1]
	v_mul_f64 v[4:5], v[62:63], v[94:95]
	v_fmac_f64_e32 v[4:5], v[64:65], v[98:99]
	v_add_f64 v[2:3], v[2:3], v[4:5]
	v_mul_f64 v[4:5], v[222:223], v[104:105]
	v_fmac_f64_e32 v[4:5], v[224:225], v[230:231]
	v_add_f64 v[2:3], v[2:3], v[4:5]
	;; [unrolled: 3-line block ×6, first 2 shown]
	v_add_f64 v[10:11], v[6:7], v[8:9]
	v_add_f64 v[14:15], v[10:11], v[12:13]
	;; [unrolled: 1-line block ×5, first 2 shown]
	ds_read_b128 v[22:25], v232 offset:1600
	s_waitcnt lgkmcnt(1)
	v_mul_f64 v[28:29], v[118:119], v[150:151]
	v_fmac_f64_e32 v[28:29], v[120:121], v[154:155]
	v_add_f64 v[30:31], v[26:27], v[28:29]
	ds_read_b128 v[26:29], v232 offset:1616
	s_waitcnt lgkmcnt(1)
	v_mul_f64 v[32:33], v[22:23], v[34:35]
	v_fmac_f64_e32 v[32:33], v[24:25], v[36:37]
	v_add_f64 v[34:35], v[30:31], v[32:33]
	;; [unrolled: 5-line block ×4, first 2 shown]
	ds_read_b128 v[38:41], v232 offset:1664
	ds_read_b128 v[42:45], v232 offset:1680
	s_waitcnt vmcnt(18) lgkmcnt(2)
	v_mul_f64 v[48:49], v[34:35], v[162:163]
	s_waitcnt vmcnt(16)
	v_fmac_f64_e32 v[48:49], v[36:37], v[164:165]
	v_add_f64 v[46:47], v[46:47], v[48:49]
	s_waitcnt lgkmcnt(1)
	v_mul_f64 v[48:49], v[38:39], v[174:175]
	v_fmac_f64_e32 v[48:49], v[40:41], v[140:141]
	v_add_f64 v[46:47], v[46:47], v[48:49]
	s_waitcnt vmcnt(10) lgkmcnt(0)
	v_mul_f64 v[48:49], v[42:43], v[166:167]
	v_accvgpr_write_b32 a207, v175
	s_waitcnt vmcnt(8)
	v_fmac_f64_e32 v[48:49], v[44:45], v[168:169]
	v_accvgpr_write_b32 a206, v174
	v_add_f64 v[2:3], v[46:47], v[48:49]
	ds_read_b128 v[46:49], v232 offset:1696
	buffer_load_dword v175, off, s[0:3], 0 offset:780
	buffer_load_dword v174, off, s[0:3], 0 offset:776
	;; [unrolled: 1-line block ×8, first 2 shown]
	v_mul_f64 v[4:5], v[116:117], v[66:67]
	v_fma_f64 v[14:15], v[114:115], v[60:61], -v[4:5]
	v_fma_f64 v[60:61], v[184:185], v[96:97], -v[50:51]
	buffer_load_dword v185, off, s[0:3], 0 offset:812
	buffer_load_dword v184, off, s[0:3], 0 offset:808
	;; [unrolled: 1-line block ×8, first 2 shown]
	v_mul_f64 v[50:51], v[194:195], v[72:73]
	v_fma_f64 v[92:93], v[192:193], v[92:93], -v[50:51]
	v_mul_f64 v[50:51], v[200:201], v[68:69]
	buffer_load_dword v182, off, s[0:3], 0 offset:856
	buffer_load_dword v195, off, s[0:3], 0 offset:844
	;; [unrolled: 1-line block ×8, first 2 shown]
	v_fma_f64 v[198:199], v[198:199], v[70:71], -v[50:51]
	v_mul_f64 v[50:51], v[204:205], v[214:215]
	v_fma_f64 v[96:97], v[202:203], v[90:91], -v[50:51]
	buffer_load_dword v91, off, s[0:3], 0 offset:876
	buffer_load_dword v90, off, s[0:3], 0 offset:872
	buffer_load_dword v201, off, s[0:3], 0 offset:868
	buffer_load_dword v200, off, s[0:3], 0 offset:864
	v_mul_f64 v[50:51], v[208:209], v[74:75]
	v_fma_f64 v[10:11], v[206:207], v[76:77], -v[50:51]
	buffer_load_dword v204, off, s[0:3], 0 offset:888
	buffer_load_dword v206, off, s[0:3], 0 offset:880
	buffer_load_dword v205, off, s[0:3], 0 offset:892
	buffer_load_dword v207, off, s[0:3], 0 offset:884
	;; [unrolled: 6-line block ×3, first 2 shown]
	buffer_load_dword v214, off, s[0:3], 0 offset:896
	buffer_load_dword v202, off, s[0:3], 0 offset:920
	;; [unrolled: 1-line block ×8, first 2 shown]
	v_mul_f64 v[66:67], v[220:221], v[82:83]
	ds_read_b128 v[50:53], v232 offset:1712
	v_fma_f64 v[6:7], v[218:219], v[84:85], -v[66:67]
	buffer_load_dword v218, off, s[0:3], 0 offset:952
	buffer_load_dword v220, off, s[0:3], 0 offset:944
	;; [unrolled: 1-line block ×4, first 2 shown]
	v_fma_f64 v[4:5], v[54:55], v[0:1], -v[56:57]
	ds_read_b128 v[54:57], v232 offset:1728
	ds_read_b128 v[18:21], v232 offset:1744
	s_waitcnt lgkmcnt(3)
	v_mul_f64 v[12:13], v[46:47], v[144:145]
	v_fmac_f64_e32 v[12:13], v[48:49], v[148:149]
	v_add_f64 v[2:3], v[2:3], v[12:13]
	s_waitcnt vmcnt(50) lgkmcnt(2)
	v_mul_f64 v[12:13], v[50:51], v[170:171]
	v_mul_f64 v[16:17], v[64:65], v[94:95]
	s_waitcnt vmcnt(48)
	v_fmac_f64_e32 v[12:13], v[52:53], v[172:173]
	v_fma_f64 v[16:17], v[62:63], v[98:99], -v[16:17]
	ds_read_b128 v[62:65], v232 offset:1760
	v_add_f64 v[2:3], v[2:3], v[12:13]
	s_waitcnt lgkmcnt(2)
	v_mul_f64 v[12:13], v[54:55], v[152:153]
	v_fmac_f64_e32 v[12:13], v[56:57], v[156:157]
	v_add_f64 v[2:3], v[2:3], v[12:13]
	v_mul_f64 v[74:75], v[228:229], v[100:101]
	v_mul_f64 v[82:83], v[236:237], v[250:251]
	v_fma_f64 v[0:1], v[234:235], v[252:253], -v[82:83]
	ds_read_b128 v[234:237], v232 offset:1824
	ds_read_b128 v[82:85], v232 offset:1840
	;; [unrolled: 1-line block ×3, first 2 shown]
	v_add_f64 v[14:15], v[14:15], 0
	v_add_f64 v[14:15], v[14:15], v[58:59]
	;; [unrolled: 1-line block ×11, first 2 shown]
	v_accvgpr_read_b32 v6, a192
	v_accvgpr_read_b32 v7, a193
	s_waitcnt vmcnt(46) lgkmcnt(4)
	v_mul_f64 v[66:67], v[18:19], v[174:175]
	s_waitcnt vmcnt(44)
	v_fmac_f64_e32 v[66:67], v[20:21], v[178:179]
	v_add_f64 v[2:3], v[2:3], v[66:67]
	v_mul_f64 v[66:67], v[224:225], v[104:105]
	v_fma_f64 v[94:95], v[222:223], v[230:231], -v[66:67]
	ds_read_b128 v[66:69], v232 offset:1776
	s_waitcnt vmcnt(41) lgkmcnt(4)
	v_mul_f64 v[70:71], v[62:63], v[176:177]
	s_waitcnt vmcnt(40)
	v_fmac_f64_e32 v[70:71], v[64:65], v[180:181]
	v_add_f64 v[2:3], v[2:3], v[70:71]
	ds_read_b128 v[70:73], v232 offset:1792
	v_fma_f64 v[230:231], v[226:227], v[102:103], -v[74:75]
	ds_read_b128 v[74:77], v232 offset:1808
	s_waitcnt vmcnt(38) lgkmcnt(2)
	v_mul_f64 v[80:81], v[66:67], v[184:185]
	s_waitcnt vmcnt(36)
	v_fmac_f64_e32 v[80:81], v[68:69], v[188:189]
	v_add_f64 v[2:3], v[2:3], v[80:81]
	s_waitcnt vmcnt(34) lgkmcnt(1)
	v_mul_f64 v[80:81], v[70:71], v[186:187]
	s_waitcnt vmcnt(32)
	v_fmac_f64_e32 v[80:81], v[72:73], v[190:191]
	s_waitcnt vmcnt(29) lgkmcnt(0)
	v_mul_f64 v[12:13], v[74:75], v[194:195]
	v_add_f64 v[2:3], v[2:3], v[80:81]
	s_waitcnt vmcnt(27)
	v_fmac_f64_e32 v[12:13], v[76:77], v[196:197]
	v_add_f64 v[2:3], v[2:3], v[12:13]
	s_waitcnt vmcnt(25)
	v_mul_f64 v[12:13], v[234:235], v[182:183]
	s_waitcnt vmcnt(24)
	v_fmac_f64_e32 v[12:13], v[236:237], v[192:193]
	s_waitcnt vmcnt(22)
	v_mul_f64 v[80:81], v[82:83], v[90:91]
	v_add_f64 v[2:3], v[2:3], v[12:13]
	s_waitcnt vmcnt(20)
	v_fmac_f64_e32 v[80:81], v[84:85], v[200:201]
	v_add_f64 v[2:3], v[2:3], v[80:81]
	v_mul_f64 v[80:81], v[244:245], v[254:255]
	v_fma_f64 v[250:251], v[242:243], v[78:79], -v[80:81]
	ds_read_b128 v[78:81], v232 offset:1872
	v_mul_f64 v[12:13], v[240:241], v[110:111]
	s_waitcnt vmcnt(17)
	v_mul_f64 v[98:99], v[86:87], v[204:205]
	v_fma_f64 v[12:13], v[238:239], v[112:113], -v[12:13]
	s_waitcnt vmcnt(16)
	v_fmac_f64_e32 v[98:99], v[88:89], v[206:207]
	ds_read_b128 v[238:241], v232 offset:1888
	v_add_f64 v[2:3], v[2:3], v[98:99]
	v_mul_f64 v[98:99], v[248:249], v[106:107]
	v_fma_f64 v[252:253], v[246:247], v[108:109], -v[98:99]
	ds_read_b128 v[98:101], v232 offset:1904
	s_waitcnt vmcnt(13) lgkmcnt(2)
	v_mul_f64 v[102:103], v[78:79], v[208:209]
	s_waitcnt vmcnt(11)
	v_fmac_f64_e32 v[102:103], v[80:81], v[214:215]
	v_add_f64 v[2:3], v[2:3], v[102:103]
	s_waitcnt vmcnt(10) lgkmcnt(1)
	v_mul_f64 v[102:103], v[238:239], v[202:203]
	s_waitcnt vmcnt(8)
	v_fmac_f64_e32 v[102:103], v[240:241], v[212:213]
	v_add_f64 v[2:3], v[2:3], v[102:103]
	;; [unrolled: 5-line block ×3, first 2 shown]
	ds_read_b128 v[102:105], v232 offset:1920
	buffer_load_dword v223, off, s[0:3], 0 offset:972
	buffer_load_dword v222, off, s[0:3], 0 offset:968
	;; [unrolled: 1-line block ×4, first 2 shown]
	v_add_f64 v[4:5], v[4:5], v[94:95]
	v_add_f64 v[4:5], v[4:5], v[230:231]
	;; [unrolled: 1-line block ×3, first 2 shown]
	s_waitcnt vmcnt(5) lgkmcnt(0)
	v_mul_f64 v[106:107], v[102:103], v[218:219]
	s_waitcnt vmcnt(4)
	v_fmac_f64_e32 v[106:107], v[104:105], v[220:221]
	v_add_f64 v[2:3], v[2:3], v[106:107]
	ds_read_b128 v[106:109], v232 offset:1936
	buffer_load_dword v226, off, s[0:3], 0 offset:984
	buffer_load_dword v227, off, s[0:3], 0 offset:988
	;; [unrolled: 1-line block ×4, first 2 shown]
	v_accvgpr_read_b32 v4, a188
	v_add_f64 v[254:255], v[0:1], v[12:13]
	v_accvgpr_read_b32 v5, a189
	v_add_f64 v[0:1], v[254:255], v[250:251]
	v_mul_f64 v[4:5], v[136:137], v[4:5]
	v_add_f64 v[0:1], v[0:1], v[252:253]
	v_fma_f64 v[4:5], v[134:135], v[138:139], -v[4:5]
	v_add_f64 v[0:1], v[0:1], v[4:5]
	v_accvgpr_read_b32 v4, a190
	v_accvgpr_read_b32 v5, a191
	v_mul_f64 v[4:5], v[132:133], v[4:5]
	v_fma_f64 v[4:5], v[130:131], v[6:7], -v[4:5]
	v_add_f64 v[0:1], v[0:1], v[4:5]
	v_mul_f64 v[4:5], v[128:129], v[142:143]
	v_fma_f64 v[4:5], v[126:127], v[146:147], -v[4:5]
	v_add_f64 v[0:1], v[0:1], v[4:5]
	v_accvgpr_read_b32 v4, a194
	v_accvgpr_read_b32 v5, a195
	v_accvgpr_read_b32 v6, a196
	v_mul_f64 v[4:5], v[124:125], v[4:5]
	v_accvgpr_read_b32 v7, a197
	v_fma_f64 v[4:5], v[122:123], v[6:7], -v[4:5]
	v_add_f64 v[0:1], v[0:1], v[4:5]
	v_mul_f64 v[4:5], v[120:121], v[150:151]
	v_fma_f64 v[4:5], v[118:119], v[154:155], -v[4:5]
	v_add_f64 v[0:1], v[0:1], v[4:5]
	v_accvgpr_read_b32 v4, a198
	v_accvgpr_read_b32 v5, a199
	v_accvgpr_read_b32 v6, a200
	v_mul_f64 v[4:5], v[24:25], v[4:5]
	v_accvgpr_read_b32 v7, a201
	;; [unrolled: 10-line block ×3, first 2 shown]
	v_fma_f64 v[4:5], v[30:31], v[6:7], -v[4:5]
	v_add_f64 v[0:1], v[0:1], v[4:5]
	v_mul_f64 v[4:5], v[36:37], v[162:163]
	v_fma_f64 v[4:5], v[34:35], v[164:165], -v[4:5]
	v_add_f64 v[0:1], v[0:1], v[4:5]
	v_accvgpr_read_b32 v4, a206
	v_accvgpr_read_b32 v5, a207
	v_mul_f64 v[4:5], v[40:41], v[4:5]
	v_fma_f64 v[4:5], v[38:39], v[140:141], -v[4:5]
	v_add_f64 v[0:1], v[0:1], v[4:5]
	v_mul_f64 v[4:5], v[44:45], v[166:167]
	v_fma_f64 v[4:5], v[42:43], v[168:169], -v[4:5]
	v_add_f64 v[0:1], v[0:1], v[4:5]
	;; [unrolled: 3-line block ×7, first 2 shown]
	s_waitcnt vmcnt(6) lgkmcnt(0)
	v_mul_f64 v[110:111], v[106:107], v[222:223]
	v_mul_f64 v[4:5], v[68:69], v[184:185]
	s_waitcnt vmcnt(4)
	v_fmac_f64_e32 v[110:111], v[108:109], v[224:225]
	v_add_f64 v[2:3], v[2:3], v[110:111]
	ds_read_b128 v[110:113], v232 offset:1952
	buffer_load_dword v243, off, s[0:3], 0 offset:1004
	buffer_load_dword v242, off, s[0:3], 0 offset:1000
	buffer_load_dword v245, off, s[0:3], 0 offset:996
	buffer_load_dword v244, off, s[0:3], 0 offset:992
	v_fma_f64 v[4:5], v[66:67], v[188:189], -v[4:5]
	v_add_f64 v[0:1], v[0:1], v[4:5]
	v_mul_f64 v[4:5], v[72:73], v[186:187]
	s_waitcnt vmcnt(6) lgkmcnt(0)
	v_mul_f64 v[114:115], v[110:111], v[226:227]
	s_waitcnt vmcnt(4)
	v_fmac_f64_e32 v[114:115], v[112:113], v[228:229]
	v_add_f64 v[2:3], v[2:3], v[114:115]
	ds_read_b128 v[114:117], v232 offset:1968
	buffer_load_dword v248, off, s[0:3], 0 offset:256
	buffer_load_dword v249, off, s[0:3], 0 offset:260
	;; [unrolled: 1-line block ×4, first 2 shown]
	v_fma_f64 v[4:5], v[70:71], v[190:191], -v[4:5]
	v_add_f64 v[0:1], v[0:1], v[4:5]
	v_mul_f64 v[4:5], v[76:77], v[194:195]
	v_fma_f64 v[4:5], v[74:75], v[196:197], -v[4:5]
	v_add_f64 v[0:1], v[0:1], v[4:5]
	v_mul_f64 v[4:5], v[236:237], v[182:183]
	;; [unrolled: 3-line block ×10, first 2 shown]
	v_fma_f64 v[4:5], v[110:111], v[228:229], -v[4:5]
	v_add_f64 v[0:1], v[0:1], v[4:5]
	s_waitcnt vmcnt(6) lgkmcnt(0)
	v_mul_f64 v[232:233], v[114:115], v[242:243]
	v_mul_f64 v[4:5], v[116:117], v[242:243]
	s_waitcnt vmcnt(4)
	v_fmac_f64_e32 v[232:233], v[116:117], v[244:245]
	v_fma_f64 v[4:5], v[114:115], v[244:245], -v[4:5]
	v_add_f64 v[2:3], v[2:3], v[232:233]
	v_add_f64 v[0:1], v[0:1], v[4:5]
	v_accvgpr_read_b32 v233, a185
	v_cmp_lt_u32_e32 vcc, 14, v233
	s_waitcnt vmcnt(2)
	v_add_f64 v[0:1], v[248:249], -v[0:1]
	s_waitcnt vmcnt(0)
	v_add_f64 v[2:3], v[246:247], -v[2:3]
	buffer_store_dword v1, off, s[0:3], 0 offset:260
	buffer_store_dword v0, off, s[0:3], 0 offset:256
	;; [unrolled: 1-line block ×4, first 2 shown]
	s_and_saveexec_b64 s[4:5], vcc
	s_cbranch_execz .LBB61_369
; %bb.368:
	v_accvgpr_read_b32 v3, a171
	buffer_load_dword v0, v3, s[0:3], 0 offen
	buffer_load_dword v1, v3, s[0:3], 0 offen offset:4
	buffer_load_dword v2, v3, s[0:3], 0 offen offset:8
	s_nop 0
	buffer_load_dword v3, v3, s[0:3], 0 offen offset:12
	v_mov_b32_e32 v4, 0
	v_accvgpr_read_b32 v5, a186
	buffer_store_dword v4, off, s[0:3], 0 offset:240
	buffer_store_dword v4, off, s[0:3], 0 offset:244
	;; [unrolled: 1-line block ×4, first 2 shown]
	s_waitcnt vmcnt(4)
	ds_write_b128 v5, v[0:3]
.LBB61_369:
	s_or_b64 exec, exec, s[4:5]
	s_waitcnt lgkmcnt(0)
	; wave barrier
	s_waitcnt lgkmcnt(0)
	buffer_load_dword v48, off, s[0:3], 0 offset:256
	buffer_load_dword v49, off, s[0:3], 0 offset:260
	;; [unrolled: 1-line block ×42, first 2 shown]
	v_mov_b32_e32 v232, 0
	buffer_load_dword v99, off, s[0:3], 0 offset:404
	buffer_load_dword v98, off, s[0:3], 0 offset:400
	;; [unrolled: 1-line block ×7, first 2 shown]
	ds_read_b128 v[112:115], v232 offset:1232
	ds_read_b128 v[170:173], v232 offset:1248
	;; [unrolled: 1-line block ×11, first 2 shown]
	v_cmp_lt_u32_e32 vcc, 13, v233
	s_waitcnt vmcnt(45) lgkmcnt(10)
	v_mul_f64 v[0:1], v[112:113], v[52:53]
	v_fmac_f64_e32 v[0:1], v[114:115], v[48:49]
	v_add_f64 v[0:1], v[0:1], 0
	s_waitcnt vmcnt(41) lgkmcnt(9)
	v_mul_f64 v[2:3], v[170:171], v[54:55]
	v_fmac_f64_e32 v[2:3], v[172:173], v[50:51]
	s_waitcnt vmcnt(39) lgkmcnt(8)
	v_mul_f64 v[4:5], v[178:179], v[46:47]
	v_add_f64 v[0:1], v[0:1], v[2:3]
	s_waitcnt vmcnt(37) lgkmcnt(6)
	v_mul_f64 v[8:9], v[188:189], v[62:63]
	v_mul_f64 v[46:47], v[180:181], v[46:47]
	s_waitcnt vmcnt(35)
	v_fmac_f64_e32 v[8:9], v[190:191], v[56:57]
	s_waitcnt vmcnt(33)
	v_mul_f64 v[6:7], v[182:183], v[64:65]
	s_waitcnt vmcnt(31) lgkmcnt(4)
	v_mul_f64 v[12:13], v[198:199], v[66:67]
	s_waitcnt vmcnt(29)
	v_fmac_f64_e32 v[12:13], v[200:201], v[68:69]
	s_waitcnt vmcnt(27)
	v_mul_f64 v[10:11], v[194:195], v[70:71]
	s_waitcnt vmcnt(25) lgkmcnt(2)
	v_mul_f64 v[16:17], v[212:213], v[76:77]
	s_waitcnt vmcnt(22)
	v_mul_f64 v[14:15], v[202:203], v[78:79]
	s_waitcnt vmcnt(20) lgkmcnt(1)
	v_mul_f64 v[18:19], v[218:219], v[72:73]
	s_waitcnt vmcnt(18)
	v_fmac_f64_e32 v[4:5], v[180:181], v[90:91]
	v_add_f64 v[0:1], v[0:1], v[4:5]
	s_waitcnt vmcnt(16)
	v_fmac_f64_e32 v[6:7], v[184:185], v[88:89]
	v_add_f64 v[0:1], v[0:1], v[6:7]
	;; [unrolled: 3-line block ×3, first 2 shown]
	v_add_f64 v[0:1], v[0:1], v[10:11]
	s_waitcnt vmcnt(12)
	v_fmac_f64_e32 v[14:15], v[204:205], v[80:81]
	v_add_f64 v[0:1], v[0:1], v[12:13]
	s_waitcnt vmcnt(11)
	v_fmac_f64_e32 v[16:17], v[214:215], v[74:75]
	v_add_f64 v[0:1], v[0:1], v[14:15]
	v_add_f64 v[2:3], v[0:1], v[16:17]
	buffer_load_dword v96, off, s[0:3], 0 offset:440
	buffer_load_dword v117, off, s[0:3], 0 offset:436
	;; [unrolled: 1-line block ×21, first 2 shown]
	s_waitcnt vmcnt(26)
	v_fmac_f64_e32 v[18:19], v[220:221], v[98:99]
	v_add_f64 v[2:3], v[2:3], v[18:19]
	v_fma_f64 v[90:91], v[178:179], v[90:91], -v[46:47]
	v_mul_f64 v[46:47], v[184:185], v[64:65]
	v_fma_f64 v[88:89], v[182:183], v[88:89], -v[46:47]
	v_mul_f64 v[46:47], v[190:191], v[62:63]
	s_waitcnt vmcnt(0)
	v_pk_mov_b32 v[8:9], v[4:5], v[4:5] op_sel:[0,1]
	buffer_load_dword v5, off, s[0:3], 0 offset:548
	buffer_load_dword v4, off, s[0:3], 0 offset:544
	v_accvgpr_write_b32 a189, v9
	v_accvgpr_write_b32 a188, v8
	s_waitcnt vmcnt(0)
	v_pk_mov_b32 v[12:13], v[4:5], v[4:5] op_sel:[0,1]
	buffer_load_dword v105, off, s[0:3], 0 offset:540
	buffer_load_dword v104, off, s[0:3], 0 offset:536
	buffer_load_dword v107, off, s[0:3], 0 offset:532
	buffer_load_dword v106, off, s[0:3], 0 offset:528
	buffer_load_dword v5, off, s[0:3], 0 offset:588
	buffer_load_dword v4, off, s[0:3], 0 offset:584
	v_accvgpr_write_b32 a191, v13
	v_accvgpr_write_b32 a190, v12
	s_waitcnt vmcnt(0)
	v_pk_mov_b32 v[16:17], v[4:5], v[4:5] op_sel:[0,1]
	buffer_load_dword v5, off, s[0:3], 0 offset:580
	buffer_load_dword v4, off, s[0:3], 0 offset:576
	v_accvgpr_write_b32 a193, v17
	v_accvgpr_write_b32 a192, v16
	s_waitcnt vmcnt(0)
	v_pk_mov_b32 v[22:23], v[4:5], v[4:5] op_sel:[0,1]
	buffer_load_dword v139, off, s[0:3], 0 offset:572
	buffer_load_dword v138, off, s[0:3], 0 offset:568
	buffer_load_dword v143, off, s[0:3], 0 offset:564
	buffer_load_dword v142, off, s[0:3], 0 offset:560
	buffer_load_dword v5, off, s[0:3], 0 offset:620
	buffer_load_dword v4, off, s[0:3], 0 offset:616
	v_accvgpr_write_b32 a195, v23
	v_accvgpr_write_b32 a194, v22
	;; [unrolled: 16-line block ×3, first 2 shown]
	s_waitcnt vmcnt(0)
	v_pk_mov_b32 v[36:37], v[4:5], v[4:5] op_sel:[0,1]
	buffer_load_dword v5, off, s[0:3], 0 offset:644
	buffer_load_dword v4, off, s[0:3], 0 offset:640
	;; [unrolled: 1-line block ×30, first 2 shown]
	ds_read_b128 v[222:225], v232 offset:1408
	ds_read_b128 v[226:229], v232 offset:1424
	;; [unrolled: 1-line block ×12, first 2 shown]
	s_waitcnt lgkmcnt(4)
	v_mul_f64 v[10:11], v[118:119], v[8:9]
	v_fmac_f64_e32 v[10:11], v[120:121], v[12:13]
	s_waitcnt lgkmcnt(3)
	v_mul_f64 v[14:15], v[122:123], v[138:139]
	v_fmac_f64_e32 v[14:15], v[124:125], v[142:143]
	;; [unrolled: 3-line block ×5, first 2 shown]
	v_accvgpr_write_b32 a201, v37
	v_accvgpr_write_b32 a200, v36
	s_waitcnt vmcnt(28)
	v_accvgpr_write_b32 a203, v5
	v_accvgpr_write_b32 a202, v4
	s_waitcnt vmcnt(20)
	v_pk_mov_b32 v[44:45], v[6:7], v[6:7] op_sel:[0,1]
	v_mul_f64 v[6:7], v[58:59], v[84:85]
	v_fmac_f64_e32 v[6:7], v[60:61], v[86:87]
	v_add_f64 v[2:3], v[2:3], v[6:7]
	v_mul_f64 v[6:7], v[222:223], v[96:97]
	v_fmac_f64_e32 v[6:7], v[224:225], v[116:117]
	v_add_f64 v[2:3], v[2:3], v[6:7]
	;; [unrolled: 3-line block ×8, first 2 shown]
	v_add_f64 v[2:3], v[2:3], v[10:11]
	v_add_f64 v[2:3], v[2:3], v[14:15]
	;; [unrolled: 1-line block ×4, first 2 shown]
	ds_read_b128 v[22:25], v232 offset:1600
	v_add_f64 v[2:3], v[2:3], v[26:27]
	ds_read_b128 v[26:29], v232 offset:1616
	v_accvgpr_write_b32 a205, v45
	v_mul_f64 v[6:7], v[172:173], v[54:55]
	s_waitcnt lgkmcnt(1)
	v_mul_f64 v[30:31], v[22:23], v[154:155]
	v_fmac_f64_e32 v[30:31], v[24:25], v[156:157]
	s_waitcnt lgkmcnt(0)
	v_mul_f64 v[34:35], v[26:27], v[36:37]
	v_add_f64 v[2:3], v[2:3], v[30:31]
	ds_read_b128 v[30:33], v232 offset:1632
	v_fmac_f64_e32 v[34:35], v[28:29], v[4:5]
	v_add_f64 v[2:3], v[2:3], v[34:35]
	ds_read_b128 v[34:37], v232 offset:1648
	v_mul_f64 v[4:5], v[114:115], v[52:53]
	s_waitcnt vmcnt(18) lgkmcnt(1)
	v_mul_f64 v[38:39], v[30:31], v[158:159]
	s_waitcnt vmcnt(16)
	v_fmac_f64_e32 v[38:39], v[32:33], v[160:161]
	v_add_f64 v[2:3], v[2:3], v[38:39]
	s_waitcnt lgkmcnt(0)
	v_mul_f64 v[42:43], v[34:35], v[20:21]
	v_fmac_f64_e32 v[42:43], v[36:37], v[44:45]
	ds_read_b128 v[38:41], v232 offset:1664
	v_accvgpr_write_b32 a204, v44
	v_add_f64 v[2:3], v[2:3], v[42:43]
	ds_read_b128 v[42:45], v232 offset:1680
	v_fma_f64 v[16:17], v[112:113], v[48:49], -v[4:5]
	v_fma_f64 v[112:113], v[170:171], v[50:51], -v[6:7]
	buffer_load_dword v171, off, s[0:3], 0 offset:764
	buffer_load_dword v170, off, s[0:3], 0 offset:760
	;; [unrolled: 1-line block ×16, first 2 shown]
	v_fma_f64 v[14:15], v[188:189], v[56:57], -v[46:47]
	buffer_load_dword v180, off, s[0:3], 0 offset:840
	buffer_load_dword v191, off, s[0:3], 0 offset:828
	;; [unrolled: 1-line block ×8, first 2 shown]
	v_mul_f64 v[50:51], v[196:197], v[70:71]
	ds_read_b128 v[46:49], v232 offset:1696
	v_fma_f64 v[12:13], v[194:195], v[82:83], -v[50:51]
	buffer_load_dword v195, off, s[0:3], 0 offset:860
	buffer_load_dword v194, off, s[0:3], 0 offset:856
	buffer_load_dword v197, off, s[0:3], 0 offset:852
	buffer_load_dword v196, off, s[0:3], 0 offset:848
	v_mul_f64 v[50:51], v[200:201], v[66:67]
	v_fma_f64 v[10:11], v[198:199], v[68:69], -v[50:51]
	buffer_load_dword v198, off, s[0:3], 0 offset:872
	buffer_load_dword v200, off, s[0:3], 0 offset:864
	;; [unrolled: 1-line block ×4, first 2 shown]
	v_mul_f64 v[50:51], v[204:205], v[78:79]
	buffer_load_dword v205, off, s[0:3], 0 offset:892
	buffer_load_dword v204, off, s[0:3], 0 offset:888
	;; [unrolled: 1-line block ×8, first 2 shown]
	s_waitcnt vmcnt(50) lgkmcnt(2)
	v_mul_f64 v[52:53], v[38:39], v[162:163]
	v_fma_f64 v[8:9], v[202:203], v[80:81], -v[50:51]
	v_mul_f64 v[50:51], v[214:215], v[76:77]
	s_waitcnt vmcnt(48)
	v_fmac_f64_e32 v[52:53], v[40:41], v[164:165]
	v_fma_f64 v[6:7], v[212:213], v[74:75], -v[50:51]
	v_mul_f64 v[50:51], v[220:221], v[72:73]
	buffer_load_dword v202, off, s[0:3], 0 offset:936
	buffer_load_dword v215, off, s[0:3], 0 offset:924
	;; [unrolled: 1-line block ×8, first 2 shown]
	v_add_f64 v[2:3], v[2:3], v[52:53]
	v_fma_f64 v[218:219], v[218:219], v[98:99], -v[50:51]
	ds_read_b128 v[50:53], v232 offset:1712
	s_waitcnt lgkmcnt(2)
	v_mul_f64 v[54:55], v[42:43], v[140:141]
	v_fmac_f64_e32 v[54:55], v[44:45], v[144:145]
	v_add_f64 v[2:3], v[2:3], v[54:55]
	s_waitcnt vmcnt(50) lgkmcnt(1)
	v_mul_f64 v[54:55], v[46:47], v[166:167]
	s_waitcnt vmcnt(48)
	v_fmac_f64_e32 v[54:55], v[48:49], v[168:169]
	v_mul_f64 v[60:61], v[60:61], v[84:85]
	v_add_f64 v[2:3], v[2:3], v[54:55]
	v_fma_f64 v[86:87], v[58:59], v[86:87], -v[60:61]
	ds_read_b128 v[58:61], v232 offset:1744
	s_waitcnt lgkmcnt(1)
	v_mul_f64 v[54:55], v[50:51], v[148:149]
	v_fmac_f64_e32 v[54:55], v[52:53], v[152:153]
	v_add_f64 v[2:3], v[2:3], v[54:55]
	ds_read_b128 v[54:57], v232 offset:1728
	v_mul_f64 v[70:71], v[228:229], v[92:93]
	v_fma_f64 v[92:93], v[226:227], v[94:95], -v[70:71]
	ds_read_b128 v[70:73], v232 offset:1792
	v_mul_f64 v[82:83], v[240:241], v[108:109]
	v_fma_f64 v[4:5], v[238:239], v[110:111], -v[82:83]
	v_add_f64 v[16:17], v[16:17], 0
	v_add_f64 v[16:17], v[16:17], v[112:113]
	;; [unrolled: 1-line block ×11, first 2 shown]
	ds_read_b128 v[82:85], v232 offset:1840
	ds_read_b128 v[238:241], v232 offset:1856
	s_waitcnt vmcnt(46) lgkmcnt(3)
	v_mul_f64 v[62:63], v[54:55], v[170:171]
	s_waitcnt vmcnt(44)
	v_fmac_f64_e32 v[62:63], v[56:57], v[176:177]
	v_add_f64 v[2:3], v[2:3], v[62:63]
	v_mul_f64 v[62:63], v[224:225], v[96:97]
	v_fma_f64 v[220:221], v[222:223], v[116:117], -v[62:63]
	ds_read_b128 v[62:65], v232 offset:1760
	s_waitcnt vmcnt(41)
	v_mul_f64 v[66:67], v[58:59], v[172:173]
	s_waitcnt vmcnt(40)
	v_fmac_f64_e32 v[66:67], v[60:61], v[18:19]
	v_add_f64 v[2:3], v[2:3], v[66:67]
	ds_read_b128 v[66:69], v232 offset:1776
	s_waitcnt vmcnt(37) lgkmcnt(1)
	v_mul_f64 v[74:75], v[62:63], v[182:183]
	s_waitcnt vmcnt(35)
	v_fmac_f64_e32 v[74:75], v[64:65], v[184:185]
	v_add_f64 v[2:3], v[2:3], v[74:75]
	v_mul_f64 v[74:75], v[236:237], v[230:231]
	v_fma_f64 v[254:255], v[234:235], v[254:255], -v[74:75]
	ds_read_b128 v[74:77], v232 offset:1808
	s_waitcnt vmcnt(34) lgkmcnt(1)
	v_mul_f64 v[78:79], v[66:67], v[178:179]
	s_waitcnt vmcnt(32)
	v_fmac_f64_e32 v[78:79], v[68:69], v[186:187]
	v_add_f64 v[2:3], v[2:3], v[78:79]
	s_waitcnt vmcnt(29)
	v_mul_f64 v[78:79], v[70:71], v[190:191]
	s_waitcnt vmcnt(27)
	v_fmac_f64_e32 v[78:79], v[72:73], v[192:193]
	v_add_f64 v[2:3], v[2:3], v[78:79]
	s_waitcnt vmcnt(25) lgkmcnt(0)
	v_mul_f64 v[78:79], v[74:75], v[180:181]
	s_waitcnt vmcnt(24)
	v_fmac_f64_e32 v[78:79], v[76:77], v[188:189]
	v_add_f64 v[2:3], v[2:3], v[78:79]
	ds_read_b128 v[78:81], v232 offset:1824
	s_waitcnt vmcnt(14)
	v_mul_f64 v[98:99], v[238:239], v[204:205]
	s_waitcnt vmcnt(12)
	v_fmac_f64_e32 v[98:99], v[240:241], v[208:209]
	ds_read_b128 v[234:237], v232 offset:1872
	v_add_f64 v[6:7], v[6:7], v[220:221]
	s_waitcnt lgkmcnt(1)
	v_mul_f64 v[94:95], v[78:79], v[194:195]
	v_fmac_f64_e32 v[94:95], v[80:81], v[196:197]
	v_add_f64 v[2:3], v[2:3], v[94:95]
	v_mul_f64 v[94:95], v[244:245], v[174:175]
	v_fma_f64 v[0:1], v[242:243], v[0:1], -v[94:95]
	v_mul_f64 v[94:95], v[82:83], v[198:199]
	v_fmac_f64_e32 v[94:95], v[84:85], v[200:201]
	v_add_f64 v[2:3], v[2:3], v[94:95]
	v_mul_f64 v[94:95], v[248:249], v[100:101]
	v_fma_f64 v[246:247], v[246:247], v[102:103], -v[94:95]
	ds_read_b128 v[94:97], v232 offset:1888
	v_add_f64 v[102:103], v[2:3], v[98:99]
	ds_read_b128 v[98:101], v232 offset:1904
	buffer_load_dword v175, off, s[0:3], 0 offset:956
	buffer_load_dword v174, off, s[0:3], 0 offset:952
	;; [unrolled: 1-line block ×4, first 2 shown]
	s_waitcnt vmcnt(14) lgkmcnt(2)
	v_mul_f64 v[108:109], v[234:235], v[206:207]
	s_waitcnt vmcnt(12)
	v_fmac_f64_e32 v[108:109], v[236:237], v[210:211]
	v_mul_f64 v[2:3], v[252:253], v[104:105]
	s_waitcnt vmcnt(9) lgkmcnt(1)
	v_mul_f64 v[104:105], v[94:95], v[214:215]
	v_add_f64 v[102:103], v[102:103], v[108:109]
	s_waitcnt vmcnt(7)
	v_fmac_f64_e32 v[104:105], v[96:97], v[216:217]
	v_add_f64 v[102:103], v[102:103], v[104:105]
	s_waitcnt vmcnt(5) lgkmcnt(0)
	v_mul_f64 v[104:105], v[98:99], v[202:203]
	s_waitcnt vmcnt(4)
	v_fmac_f64_e32 v[104:105], v[100:101], v[212:213]
	v_fma_f64 v[2:3], v[250:251], v[106:107], -v[2:3]
	v_add_f64 v[106:107], v[102:103], v[104:105]
	ds_read_b128 v[102:105], v232 offset:1920
	buffer_load_dword v222, off, s[0:3], 0 offset:968
	buffer_load_dword v223, off, s[0:3], 0 offset:972
	;; [unrolled: 1-line block ×4, first 2 shown]
	v_add_f64 v[6:7], v[6:7], v[92:93]
	v_add_f64 v[6:7], v[6:7], v[254:255]
	;; [unrolled: 1-line block ×6, first 2 shown]
	v_accvgpr_read_b32 v2, a188
	v_accvgpr_read_b32 v3, a189
	v_accvgpr_read_b32 v4, a190
	v_mul_f64 v[2:3], v[120:121], v[2:3]
	v_accvgpr_read_b32 v5, a191
	v_fma_f64 v[2:3], v[118:119], v[4:5], -v[2:3]
	v_add_f64 v[0:1], v[0:1], v[2:3]
	v_mul_f64 v[2:3], v[124:125], v[138:139]
	v_fma_f64 v[2:3], v[122:123], v[142:143], -v[2:3]
	v_add_f64 v[0:1], v[0:1], v[2:3]
	v_accvgpr_read_b32 v2, a192
	v_accvgpr_read_b32 v3, a193
	v_accvgpr_read_b32 v4, a194
	v_mul_f64 v[2:3], v[128:129], v[2:3]
	v_accvgpr_read_b32 v5, a195
	v_fma_f64 v[2:3], v[126:127], v[4:5], -v[2:3]
	v_add_f64 v[0:1], v[0:1], v[2:3]
	v_mul_f64 v[2:3], v[132:133], v[146:147]
	v_fma_f64 v[2:3], v[130:131], v[150:151], -v[2:3]
	v_add_f64 v[0:1], v[0:1], v[2:3]
	;; [unrolled: 10-line block ×3, first 2 shown]
	v_accvgpr_read_b32 v2, a200
	v_accvgpr_read_b32 v3, a201
	;; [unrolled: 1-line block ×3, first 2 shown]
	v_mul_f64 v[2:3], v[28:29], v[2:3]
	v_accvgpr_read_b32 v5, a203
	v_fma_f64 v[2:3], v[26:27], v[4:5], -v[2:3]
	v_add_f64 v[0:1], v[0:1], v[2:3]
	v_mul_f64 v[2:3], v[32:33], v[158:159]
	v_fma_f64 v[2:3], v[30:31], v[160:161], -v[2:3]
	v_accvgpr_read_b32 v4, a204
	v_add_f64 v[0:1], v[0:1], v[2:3]
	v_mul_f64 v[2:3], v[36:37], v[20:21]
	v_accvgpr_read_b32 v5, a205
	v_fma_f64 v[2:3], v[34:35], v[4:5], -v[2:3]
	v_add_f64 v[0:1], v[0:1], v[2:3]
	v_mul_f64 v[2:3], v[40:41], v[162:163]
	v_fma_f64 v[2:3], v[38:39], v[164:165], -v[2:3]
	v_add_f64 v[0:1], v[0:1], v[2:3]
	v_mul_f64 v[2:3], v[44:45], v[140:141]
	;; [unrolled: 3-line block ×5, first 2 shown]
	s_waitcnt vmcnt(6) lgkmcnt(0)
	v_mul_f64 v[108:109], v[102:103], v[174:175]
	v_fma_f64 v[2:3], v[54:55], v[176:177], -v[2:3]
	s_waitcnt vmcnt(4)
	v_fmac_f64_e32 v[108:109], v[104:105], v[110:111]
	v_add_f64 v[114:115], v[106:107], v[108:109]
	ds_read_b128 v[106:109], v232 offset:1936
	buffer_load_dword v227, off, s[0:3], 0 offset:988
	buffer_load_dword v226, off, s[0:3], 0 offset:984
	;; [unrolled: 1-line block ×4, first 2 shown]
	ds_read_b128 v[250:253], v232 offset:1952
	buffer_load_dword v242, off, s[0:3], 0 offset:1000
	buffer_load_dword v243, off, s[0:3], 0 offset:1004
	;; [unrolled: 1-line block ×4, first 2 shown]
	v_add_f64 v[0:1], v[0:1], v[2:3]
	v_mul_f64 v[2:3], v[60:61], v[172:173]
	v_fma_f64 v[2:3], v[58:59], v[18:19], -v[2:3]
	v_add_f64 v[0:1], v[0:1], v[2:3]
	v_mul_f64 v[2:3], v[64:65], v[182:183]
	s_waitcnt vmcnt(10) lgkmcnt(1)
	v_mul_f64 v[116:117], v[106:107], v[222:223]
	v_fma_f64 v[2:3], v[62:63], v[184:185], -v[2:3]
	s_waitcnt vmcnt(8)
	v_fmac_f64_e32 v[116:117], v[108:109], v[224:225]
	v_add_f64 v[114:115], v[114:115], v[116:117]
	v_add_f64 v[0:1], v[0:1], v[2:3]
	v_mul_f64 v[2:3], v[68:69], v[178:179]
	v_fma_f64 v[2:3], v[66:67], v[186:187], -v[2:3]
	v_add_f64 v[0:1], v[0:1], v[2:3]
	v_mul_f64 v[2:3], v[72:73], v[190:191]
	v_fma_f64 v[2:3], v[70:71], v[192:193], -v[2:3]
	v_add_f64 v[0:1], v[0:1], v[2:3]
	v_mul_f64 v[2:3], v[76:77], v[180:181]
	v_fma_f64 v[2:3], v[74:75], v[188:189], -v[2:3]
	v_add_f64 v[0:1], v[0:1], v[2:3]
	v_mul_f64 v[2:3], v[80:81], v[194:195]
	v_fma_f64 v[2:3], v[78:79], v[196:197], -v[2:3]
	v_add_f64 v[0:1], v[0:1], v[2:3]
	v_mul_f64 v[2:3], v[84:85], v[198:199]
	v_fma_f64 v[2:3], v[82:83], v[200:201], -v[2:3]
	v_add_f64 v[0:1], v[0:1], v[2:3]
	v_mul_f64 v[2:3], v[240:241], v[204:205]
	v_fma_f64 v[2:3], v[238:239], v[208:209], -v[2:3]
	v_add_f64 v[0:1], v[0:1], v[2:3]
	v_mul_f64 v[2:3], v[236:237], v[206:207]
	v_fma_f64 v[2:3], v[234:235], v[210:211], -v[2:3]
	v_add_f64 v[0:1], v[0:1], v[2:3]
	v_mul_f64 v[2:3], v[96:97], v[214:215]
	v_fma_f64 v[2:3], v[94:95], v[216:217], -v[2:3]
	v_add_f64 v[0:1], v[0:1], v[2:3]
	v_mul_f64 v[2:3], v[100:101], v[202:203]
	v_fma_f64 v[2:3], v[98:99], v[212:213], -v[2:3]
	v_add_f64 v[0:1], v[0:1], v[2:3]
	v_mul_f64 v[2:3], v[104:105], v[174:175]
	v_fma_f64 v[2:3], v[102:103], v[110:111], -v[2:3]
	v_add_f64 v[0:1], v[0:1], v[2:3]
	v_mul_f64 v[2:3], v[108:109], v[222:223]
	v_fma_f64 v[2:3], v[106:107], v[224:225], -v[2:3]
	v_add_f64 v[0:1], v[0:1], v[2:3]
	s_waitcnt vmcnt(6) lgkmcnt(0)
	v_mul_f64 v[116:117], v[250:251], v[226:227]
	v_mul_f64 v[2:3], v[252:253], v[226:227]
	s_waitcnt vmcnt(4)
	v_fmac_f64_e32 v[116:117], v[252:253], v[228:229]
	v_add_f64 v[230:231], v[114:115], v[116:117]
	ds_read_b128 v[114:117], v232 offset:1968
	v_fma_f64 v[2:3], v[250:251], v[228:229], -v[2:3]
	v_add_f64 v[0:1], v[0:1], v[2:3]
	s_waitcnt vmcnt(2) lgkmcnt(0)
	v_mul_f64 v[248:249], v[114:115], v[242:243]
	s_waitcnt vmcnt(0)
	v_fmac_f64_e32 v[248:249], v[116:117], v[244:245]
	v_add_f64 v[230:231], v[230:231], v[248:249]
	buffer_load_dword v248, off, s[0:3], 0 offset:240
	buffer_load_dword v249, off, s[0:3], 0 offset:244
	;; [unrolled: 1-line block ×4, first 2 shown]
	v_mul_f64 v[2:3], v[116:117], v[242:243]
	v_fma_f64 v[2:3], v[114:115], v[244:245], -v[2:3]
	v_add_f64 v[0:1], v[0:1], v[2:3]
	s_waitcnt vmcnt(2)
	v_add_f64 v[0:1], v[248:249], -v[0:1]
	s_waitcnt vmcnt(0)
	v_add_f64 v[2:3], v[246:247], -v[230:231]
	buffer_store_dword v1, off, s[0:3], 0 offset:244
	buffer_store_dword v0, off, s[0:3], 0 offset:240
	;; [unrolled: 1-line block ×4, first 2 shown]
	s_and_saveexec_b64 s[4:5], vcc
	s_cbranch_execz .LBB61_371
; %bb.370:
	v_accvgpr_read_b32 v3, a172
	buffer_load_dword v0, v3, s[0:3], 0 offen
	buffer_load_dword v1, v3, s[0:3], 0 offen offset:4
	buffer_load_dword v2, v3, s[0:3], 0 offen offset:8
	s_nop 0
	buffer_load_dword v3, v3, s[0:3], 0 offen offset:12
	v_accvgpr_read_b32 v4, a186
	buffer_store_dword v232, off, s[0:3], 0 offset:224
	buffer_store_dword v232, off, s[0:3], 0 offset:228
	;; [unrolled: 1-line block ×4, first 2 shown]
	s_waitcnt vmcnt(4)
	ds_write_b128 v4, v[0:3]
.LBB61_371:
	s_or_b64 exec, exec, s[4:5]
	s_waitcnt lgkmcnt(0)
	; wave barrier
	s_waitcnt lgkmcnt(0)
	buffer_load_dword v42, off, s[0:3], 0 offset:240
	buffer_load_dword v43, off, s[0:3], 0 offset:244
	buffer_load_dword v48, off, s[0:3], 0 offset:248
	buffer_load_dword v49, off, s[0:3], 0 offset:252
	buffer_load_dword v44, off, s[0:3], 0 offset:256
	buffer_load_dword v45, off, s[0:3], 0 offset:260
	buffer_load_dword v54, off, s[0:3], 0 offset:264
	buffer_load_dword v55, off, s[0:3], 0 offset:268
	buffer_load_dword v46, off, s[0:3], 0 offset:280
	buffer_load_dword v47, off, s[0:3], 0 offset:284
	buffer_load_dword v59, off, s[0:3], 0 offset:316
	buffer_load_dword v58, off, s[0:3], 0 offset:312
	buffer_load_dword v57, off, s[0:3], 0 offset:308
	buffer_load_dword v56, off, s[0:3], 0 offset:304
	buffer_load_dword v61, off, s[0:3], 0 offset:300
	buffer_load_dword v60, off, s[0:3], 0 offset:296
	buffer_load_dword v63, off, s[0:3], 0 offset:348
	buffer_load_dword v62, off, s[0:3], 0 offset:344
	buffer_load_dword v65, off, s[0:3], 0 offset:340
	buffer_load_dword v64, off, s[0:3], 0 offset:336
	buffer_load_dword v67, off, s[0:3], 0 offset:332
	buffer_load_dword v66, off, s[0:3], 0 offset:328
	buffer_load_dword v69, off, s[0:3], 0 offset:380
	buffer_load_dword v68, off, s[0:3], 0 offset:376
	buffer_load_dword v70, off, s[0:3], 0 offset:368
	buffer_load_dword v207, off, s[0:3], 0 offset:364
	buffer_load_dword v206, off, s[0:3], 0 offset:360
	buffer_load_dword v73, off, s[0:3], 0 offset:396
	buffer_load_dword v72, off, s[0:3], 0 offset:392
	buffer_load_dword v82, off, s[0:3], 0 offset:272
	buffer_load_dword v83, off, s[0:3], 0 offset:276
	buffer_load_dword v81, off, s[0:3], 0 offset:292
	buffer_load_dword v80, off, s[0:3], 0 offset:288
	buffer_load_dword v79, off, s[0:3], 0 offset:324
	buffer_load_dword v78, off, s[0:3], 0 offset:320
	buffer_load_dword v77, off, s[0:3], 0 offset:356
	buffer_load_dword v76, off, s[0:3], 0 offset:352
	buffer_load_dword v71, off, s[0:3], 0 offset:372
	buffer_load_dword v84, off, s[0:3], 0 offset:408
	buffer_load_dword v86, off, s[0:3], 0 offset:400
	buffer_load_dword v87, off, s[0:3], 0 offset:404
	buffer_load_dword v85, off, s[0:3], 0 offset:412
	ds_read_b128 v[110:113], v232 offset:1216
	ds_read_b128 v[114:117], v232 offset:1232
	;; [unrolled: 1-line block ×10, first 2 shown]
	buffer_load_dword v1, off, s[0:3], 0 offset:388
	buffer_load_dword v0, off, s[0:3], 0 offset:384
	ds_read_b128 v[50:53], v232 offset:1376
	buffer_load_dword v89, off, s[0:3], 0 offset:444
	buffer_load_dword v88, off, s[0:3], 0 offset:440
	;; [unrolled: 1-line block ×8, first 2 shown]
	s_waitcnt vmcnt(48) lgkmcnt(10)
	v_mul_f64 v[2:3], v[110:111], v[48:49]
	v_fmac_f64_e32 v[2:3], v[112:113], v[42:43]
	v_add_f64 v[2:3], v[2:3], 0
	v_mul_f64 v[48:49], v[112:113], v[48:49]
	s_waitcnt vmcnt(44) lgkmcnt(9)
	v_mul_f64 v[4:5], v[114:115], v[54:55]
	v_fmac_f64_e32 v[4:5], v[116:117], v[44:45]
	s_waitcnt vmcnt(42) lgkmcnt(8)
	v_mul_f64 v[6:7], v[174:175], v[46:47]
	v_add_f64 v[2:3], v[2:3], v[4:5]
	s_waitcnt vmcnt(40) lgkmcnt(6)
	v_mul_f64 v[10:11], v[186:187], v[58:59]
	v_mul_f64 v[46:47], v[176:177], v[46:47]
	s_waitcnt vmcnt(38)
	v_fmac_f64_e32 v[10:11], v[188:189], v[56:57]
	s_waitcnt vmcnt(36)
	v_mul_f64 v[8:9], v[178:179], v[60:61]
	s_waitcnt vmcnt(34) lgkmcnt(4)
	v_mul_f64 v[14:15], v[194:195], v[62:63]
	s_waitcnt vmcnt(32)
	v_fmac_f64_e32 v[14:15], v[196:197], v[64:65]
	s_waitcnt vmcnt(30)
	v_mul_f64 v[12:13], v[190:191], v[66:67]
	s_waitcnt vmcnt(28) lgkmcnt(2)
	v_mul_f64 v[18:19], v[202:203], v[68:69]
	s_waitcnt vmcnt(25)
	v_mul_f64 v[16:17], v[198:199], v[206:207]
	s_waitcnt vmcnt(23) lgkmcnt(1)
	v_mul_f64 v[20:21], v[208:209], v[72:73]
	s_waitcnt vmcnt(21)
	v_fmac_f64_e32 v[6:7], v[176:177], v[82:83]
	v_add_f64 v[2:3], v[2:3], v[6:7]
	s_waitcnt vmcnt(19)
	v_fmac_f64_e32 v[8:9], v[180:181], v[80:81]
	v_add_f64 v[2:3], v[2:3], v[8:9]
	;; [unrolled: 3-line block ×3, first 2 shown]
	v_add_f64 v[2:3], v[2:3], v[12:13]
	s_waitcnt vmcnt(15)
	v_fmac_f64_e32 v[16:17], v[200:201], v[76:77]
	v_add_f64 v[2:3], v[2:3], v[14:15]
	s_waitcnt vmcnt(14)
	v_fmac_f64_e32 v[18:19], v[204:205], v[70:71]
	v_add_f64 v[2:3], v[2:3], v[16:17]
	v_add_f64 v[6:7], v[2:3], v[18:19]
	buffer_load_dword v107, off, s[0:3], 0 offset:476
	buffer_load_dword v106, off, s[0:3], 0 offset:472
	;; [unrolled: 1-line block ×26, first 2 shown]
	s_waitcnt vmcnt(34)
	v_fmac_f64_e32 v[20:21], v[210:211], v[0:1]
	v_add_f64 v[6:7], v[6:7], v[20:21]
	v_fma_f64 v[214:215], v[174:175], v[82:83], -v[46:47]
	v_mul_f64 v[46:47], v[180:181], v[60:61]
	v_fma_f64 v[80:81], v[178:179], v[80:81], -v[46:47]
	v_mul_f64 v[46:47], v[188:189], v[58:59]
	v_fma_f64 v[188:189], v[186:187], v[56:57], -v[46:47]
	v_mul_f64 v[46:47], v[192:193], v[66:67]
	v_fma_f64 v[82:83], v[190:191], v[78:79], -v[46:47]
	v_mul_f64 v[46:47], v[196:197], v[62:63]
	s_waitcnt vmcnt(0)
	v_pk_mov_b32 v[18:19], v[4:5], v[4:5] op_sel:[0,1]
	buffer_load_dword v5, off, s[0:3], 0 offset:564
	buffer_load_dword v9, off, s[0:3], 0 offset:556
	;; [unrolled: 1-line block ×3, first 2 shown]
	v_accvgpr_write_b32 a193, v19
	v_accvgpr_write_b32 a192, v18
	s_waitcnt vmcnt(0)
	v_pk_mov_b32 v[14:15], v[8:9], v[8:9] op_sel:[0,1]
	buffer_load_dword v9, off, s[0:3], 0 offset:548
	buffer_load_dword v8, off, s[0:3], 0 offset:544
	;; [unrolled: 1-line block ×3, first 2 shown]
	v_accvgpr_write_b32 a189, v15
	v_accvgpr_write_b32 a188, v14
	s_waitcnt vmcnt(1)
	v_pk_mov_b32 v[16:17], v[8:9], v[8:9] op_sel:[0,1]
	s_waitcnt vmcnt(0)
	v_pk_mov_b32 v[22:23], v[4:5], v[4:5] op_sel:[0,1]
	buffer_load_dword v5, off, s[0:3], 0 offset:604
	buffer_load_dword v4, off, s[0:3], 0 offset:600
	v_accvgpr_write_b32 a191, v17
	v_accvgpr_write_b32 a190, v16
	;; [unrolled: 1-line block ×4, first 2 shown]
	s_waitcnt vmcnt(0)
	v_pk_mov_b32 v[26:27], v[4:5], v[4:5] op_sel:[0,1]
	buffer_load_dword v5, off, s[0:3], 0 offset:596
	buffer_load_dword v9, off, s[0:3], 0 offset:588
	;; [unrolled: 1-line block ×6, first 2 shown]
	v_accvgpr_write_b32 a199, v27
	v_accvgpr_write_b32 a198, v26
	s_waitcnt vmcnt(3)
	v_pk_mov_b32 v[24:25], v[8:9], v[8:9] op_sel:[0,1]
	s_waitcnt vmcnt(0)
	v_pk_mov_b32 v[28:29], v[4:5], v[4:5] op_sel:[0,1]
	buffer_load_dword v5, off, s[0:3], 0 offset:636
	buffer_load_dword v4, off, s[0:3], 0 offset:632
	s_waitcnt lgkmcnt(0)
	v_mul_f64 v[8:9], v[50:51], v[84:85]
	v_fmac_f64_e32 v[8:9], v[52:53], v[86:87]
	v_add_f64 v[6:7], v[6:7], v[8:9]
	v_accvgpr_write_b32 a197, v25
	v_accvgpr_write_b32 a196, v24
	v_accvgpr_write_b32 a201, v29
	v_accvgpr_write_b32 a200, v28
	s_waitcnt vmcnt(0)
	v_pk_mov_b32 v[34:35], v[4:5], v[4:5] op_sel:[0,1]
	buffer_load_dword v5, off, s[0:3], 0 offset:628
	buffer_load_dword v149, off, s[0:3], 0 offset:620
	;; [unrolled: 1-line block ×6, first 2 shown]
	v_accvgpr_write_b32 a203, v35
	v_accvgpr_write_b32 a202, v34
	s_waitcnt vmcnt(0)
	v_pk_mov_b32 v[36:37], v[4:5], v[4:5] op_sel:[0,1]
	buffer_load_dword v5, off, s[0:3], 0 offset:668
	buffer_load_dword v4, off, s[0:3], 0 offset:664
	v_accvgpr_write_b32 a205, v37
	v_accvgpr_write_b32 a204, v36
	s_waitcnt vmcnt(0)
	v_pk_mov_b32 v[38:39], v[4:5], v[4:5] op_sel:[0,1]
	buffer_load_dword v5, off, s[0:3], 0 offset:660
	buffer_load_dword v153, off, s[0:3], 0 offset:652
	;; [unrolled: 1-line block ×6, first 2 shown]
	v_accvgpr_write_b32 a207, v39
	v_accvgpr_write_b32 a206, v38
	s_waitcnt vmcnt(0)
	v_pk_mov_b32 v[40:41], v[4:5], v[4:5] op_sel:[0,1]
	buffer_load_dword v5, off, s[0:3], 0 offset:700
	buffer_load_dword v4, off, s[0:3], 0 offset:696
	;; [unrolled: 1-line block ×14, first 2 shown]
	ds_read_b128 v[218:221], v232 offset:1392
	ds_read_b128 v[222:225], v232 offset:1408
	;; [unrolled: 1-line block ×6, first 2 shown]
	s_waitcnt lgkmcnt(5)
	v_mul_f64 v[8:9], v[218:219], v[96:97]
	v_fmac_f64_e32 v[8:9], v[220:221], v[230:231]
	v_add_f64 v[6:7], v[6:7], v[8:9]
	s_waitcnt lgkmcnt(4)
	v_mul_f64 v[8:9], v[222:223], v[88:89]
	v_fmac_f64_e32 v[8:9], v[224:225], v[90:91]
	v_add_f64 v[6:7], v[6:7], v[8:9]
	;; [unrolled: 4-line block ×3, first 2 shown]
	s_waitcnt lgkmcnt(2)
	v_mul_f64 v[8:9], v[234:235], v[106:107]
	v_fmac_f64_e32 v[8:9], v[236:237], v[108:109]
	ds_read_b128 v[246:249], v232 offset:1488
	ds_read_b128 v[252:255], v232 offset:1504
	v_add_f64 v[6:7], v[6:7], v[8:9]
	s_waitcnt lgkmcnt(3)
	v_mul_f64 v[8:9], v[238:239], v[2:3]
	v_fmac_f64_e32 v[8:9], v[240:241], v[74:75]
	v_add_f64 v[6:7], v[6:7], v[8:9]
	s_waitcnt lgkmcnt(2)
	v_mul_f64 v[8:9], v[242:243], v[92:93]
	ds_read_b128 v[138:141], v232 offset:1520
	ds_read_b128 v[134:137], v232 offset:1536
	v_fmac_f64_e32 v[8:9], v[244:245], v[94:95]
	v_add_f64 v[6:7], v[6:7], v[8:9]
	s_waitcnt lgkmcnt(3)
	v_mul_f64 v[8:9], v[246:247], v[102:103]
	ds_read_b128 v[130:133], v232 offset:1552
	ds_read_b128 v[126:129], v232 offset:1568
	;; [unrolled: 6-line block ×3, first 2 shown]
	v_fmac_f64_e32 v[8:9], v[254:255], v[100:101]
	s_waitcnt lgkmcnt(5)
	v_mul_f64 v[12:13], v[138:139], v[14:15]
	v_add_f64 v[10:11], v[6:7], v[8:9]
	v_fmac_f64_e32 v[12:13], v[140:141], v[16:17]
	s_waitcnt lgkmcnt(4)
	v_mul_f64 v[16:17], v[134:135], v[18:19]
	v_add_f64 v[14:15], v[10:11], v[12:13]
	;; [unrolled: 4-line block ×5, first 2 shown]
	v_fmac_f64_e32 v[28:29], v[124:125], v[150:151]
	v_add_f64 v[30:31], v[26:27], v[28:29]
	ds_read_b128 v[26:29], v232 offset:1616
	s_waitcnt lgkmcnt(1)
	v_mul_f64 v[32:33], v[118:119], v[34:35]
	v_fmac_f64_e32 v[32:33], v[120:121], v[36:37]
	v_add_f64 v[34:35], v[30:31], v[32:33]
	ds_read_b128 v[30:33], v232 offset:1632
	s_waitcnt lgkmcnt(1)
	v_mul_f64 v[36:37], v[26:27], v[152:153]
	;; [unrolled: 5-line block ×3, first 2 shown]
	v_accvgpr_write_b32 a209, v41
	v_fmac_f64_e32 v[166:167], v[32:33], v[40:41]
	v_accvgpr_write_b32 a208, v40
	ds_read_b128 v[38:41], v232 offset:1664
	v_add_f64 v[164:165], v[164:165], v[166:167]
	s_waitcnt vmcnt(12)
	v_accvgpr_write_b32 a211, v5
	v_accvgpr_write_b32 a210, v4
	s_waitcnt vmcnt(9) lgkmcnt(1)
	v_mul_f64 v[166:167], v[34:35], v[156:157]
	v_mul_f64 v[8:9], v[116:117], v[54:55]
	s_waitcnt vmcnt(7)
	v_fmac_f64_e32 v[166:167], v[36:37], v[160:161]
	v_add_f64 v[164:165], v[164:165], v[166:167]
	s_waitcnt lgkmcnt(0)
	v_mul_f64 v[166:167], v[38:39], v[4:5]
	s_waitcnt vmcnt(6)
	v_fmac_f64_e32 v[166:167], v[40:41], v[142:143]
	v_add_f64 v[4:5], v[164:165], v[166:167]
	buffer_load_dword v167, off, s[0:3], 0 offset:724
	buffer_load_dword v166, off, s[0:3], 0 offset:720
	;; [unrolled: 1-line block ×10, first 2 shown]
	v_fma_f64 v[18:19], v[110:111], v[42:43], -v[48:49]
	v_fma_f64 v[14:15], v[114:115], v[44:45], -v[8:9]
	ds_read_b128 v[42:45], v232 offset:1680
	buffer_load_dword v175, off, s[0:3], 0 offset:780
	buffer_load_dword v174, off, s[0:3], 0 offset:776
	buffer_load_dword v177, off, s[0:3], 0 offset:772
	buffer_load_dword v176, off, s[0:3], 0 offset:768
	buffer_load_dword v179, off, s[0:3], 0 offset:796
	buffer_load_dword v178, off, s[0:3], 0 offset:792
	buffer_load_dword v183, off, s[0:3], 0 offset:788
	buffer_load_dword v182, off, s[0:3], 0 offset:784
	buffer_load_dword v181, off, s[0:3], 0 offset:812
	buffer_load_dword v180, off, s[0:3], 0 offset:808
	buffer_load_dword v185, off, s[0:3], 0 offset:804
	buffer_load_dword v184, off, s[0:3], 0 offset:800
	buffer_load_dword v186, off, s[0:3], 0 offset:824
	buffer_load_dword v190, off, s[0:3], 0 offset:816
	buffer_load_dword v187, off, s[0:3], 0 offset:828
	buffer_load_dword v191, off, s[0:3], 0 offset:820
	v_fma_f64 v[10:11], v[194:195], v[64:65], -v[46:47]
	buffer_load_dword v78, off, s[0:3], 0 offset:856
	buffer_load_dword v195, off, s[0:3], 0 offset:844
	;; [unrolled: 1-line block ×8, first 2 shown]
	v_mul_f64 v[46:47], v[200:201], v[206:207]
	v_fma_f64 v[8:9], v[198:199], v[76:77], -v[46:47]
	buffer_load_dword v199, off, s[0:3], 0 offset:876
	buffer_load_dword v198, off, s[0:3], 0 offset:872
	;; [unrolled: 1-line block ×4, first 2 shown]
	v_mul_f64 v[16:17], v[204:205], v[68:69]
	buffer_load_dword v205, off, s[0:3], 0 offset:892
	buffer_load_dword v204, off, s[0:3], 0 offset:888
	;; [unrolled: 1-line block ×4, first 2 shown]
	s_waitcnt vmcnt(44) lgkmcnt(0)
	v_mul_f64 v[12:13], v[42:43], v[158:159]
	v_mul_f64 v[46:47], v[210:211], v[72:73]
	s_waitcnt vmcnt(42)
	v_fmac_f64_e32 v[12:13], v[44:45], v[162:163]
	v_fma_f64 v[16:17], v[202:203], v[70:71], -v[16:17]
	v_fma_f64 v[6:7], v[208:209], v[0:1], -v[46:47]
	buffer_load_dword v202, off, s[0:3], 0 offset:920
	buffer_load_dword v211, off, s[0:3], 0 offset:908
	;; [unrolled: 1-line block ×12, first 2 shown]
	ds_read_b128 v[46:49], v232 offset:1696
	v_add_f64 v[4:5], v[4:5], v[12:13]
	v_mul_f64 v[12:13], v[52:53], v[84:85]
	v_fma_f64 v[12:13], v[50:51], v[86:87], -v[12:13]
	ds_read_b128 v[50:53], v232 offset:1712
	v_mul_f64 v[54:55], v[220:221], v[96:97]
	v_fma_f64 v[84:85], v[218:219], v[230:231], -v[54:55]
	ds_read_b128 v[54:57], v232 offset:1728
	ds_read_b128 v[58:61], v232 offset:1744
	s_waitcnt lgkmcnt(3)
	v_mul_f64 v[20:21], v[46:47], v[146:147]
	ds_read_b128 v[62:65], v232 offset:1760
	v_mul_f64 v[66:67], v[228:229], v[250:251]
	v_fma_f64 v[212:213], v[226:227], v[212:213], -v[66:67]
	ds_read_b128 v[66:69], v232 offset:1776
	v_mul_f64 v[2:3], v[240:241], v[2:3]
	v_fma_f64 v[74:75], v[238:239], v[74:75], -v[2:3]
	v_mul_f64 v[98:99], v[254:255], v[98:99]
	v_fma_f64 v[252:253], v[252:253], v[100:101], -v[98:99]
	v_add_f64 v[18:19], v[18:19], 0
	v_add_f64 v[14:15], v[18:19], v[14:15]
	;; [unrolled: 1-line block ×12, first 2 shown]
	v_accvgpr_read_b32 v8, a190
	v_accvgpr_read_b32 v9, a191
	ds_read_b128 v[238:241], v232 offset:1840
	ds_read_b128 v[98:101], v232 offset:1904
	s_waitcnt vmcnt(52)
	v_fmac_f64_e32 v[20:21], v[48:49], v[166:167]
	v_add_f64 v[4:5], v[4:5], v[20:21]
	s_waitcnt vmcnt(49) lgkmcnt(6)
	v_mul_f64 v[20:21], v[50:51], v[170:171]
	s_waitcnt vmcnt(47)
	v_fmac_f64_e32 v[20:21], v[52:53], v[172:173]
	v_add_f64 v[4:5], v[4:5], v[20:21]
	s_waitcnt vmcnt(45) lgkmcnt(5)
	v_mul_f64 v[20:21], v[54:55], v[164:165]
	s_waitcnt vmcnt(44)
	v_fmac_f64_e32 v[20:21], v[56:57], v[168:169]
	s_waitcnt vmcnt(42) lgkmcnt(4)
	v_mul_f64 v[70:71], v[58:59], v[174:175]
	v_add_f64 v[4:5], v[4:5], v[20:21]
	s_waitcnt vmcnt(40)
	v_fmac_f64_e32 v[70:71], v[60:61], v[176:177]
	v_add_f64 v[4:5], v[4:5], v[70:71]
	s_waitcnt vmcnt(38) lgkmcnt(3)
	v_mul_f64 v[70:71], v[62:63], v[178:179]
	s_waitcnt vmcnt(36)
	v_fmac_f64_e32 v[70:71], v[64:65], v[182:183]
	v_add_f64 v[4:5], v[4:5], v[70:71]
	s_waitcnt vmcnt(34) lgkmcnt(2)
	v_mul_f64 v[70:71], v[66:67], v[180:181]
	s_waitcnt vmcnt(32)
	v_fmac_f64_e32 v[70:71], v[68:69], v[184:185]
	v_add_f64 v[86:87], v[4:5], v[70:71]
	ds_read_b128 v[70:73], v232 offset:1792
	v_mul_f64 v[4:5], v[236:237], v[106:107]
	v_fma_f64 v[230:231], v[234:235], v[108:109], -v[4:5]
	ds_read_b128 v[234:237], v232 offset:1808
	ds_read_b128 v[2:5], v232 offset:1824
	v_mul_f64 v[20:21], v[224:225], v[88:89]
	s_waitcnt vmcnt(29) lgkmcnt(2)
	v_mul_f64 v[88:89], v[70:71], v[186:187]
	s_waitcnt vmcnt(28)
	v_fmac_f64_e32 v[88:89], v[72:73], v[190:191]
	v_add_f64 v[86:87], v[86:87], v[88:89]
	s_waitcnt vmcnt(25) lgkmcnt(1)
	v_mul_f64 v[88:89], v[234:235], v[194:195]
	s_waitcnt vmcnt(23)
	v_fmac_f64_e32 v[88:89], v[236:237], v[196:197]
	v_add_f64 v[86:87], v[86:87], v[88:89]
	;; [unrolled: 5-line block ×3, first 2 shown]
	v_mul_f64 v[86:87], v[244:245], v[92:93]
	v_fma_f64 v[0:1], v[242:243], v[94:95], -v[86:87]
	ds_read_b128 v[86:89], v232 offset:1856
	v_fma_f64 v[20:21], v[222:223], v[90:91], -v[20:21]
	s_waitcnt vmcnt(18)
	v_mul_f64 v[24:25], v[238:239], v[198:199]
	v_mul_f64 v[90:91], v[248:249], v[102:103]
	s_waitcnt vmcnt(16)
	v_fmac_f64_e32 v[24:25], v[240:241], v[200:201]
	v_fma_f64 v[250:251], v[246:247], v[104:105], -v[90:91]
	ds_read_b128 v[90:93], v232 offset:1872
	s_waitcnt vmcnt(14) lgkmcnt(1)
	v_mul_f64 v[94:95], v[86:87], v[204:205]
	v_add_f64 v[24:25], v[96:97], v[24:25]
	s_waitcnt vmcnt(12)
	v_fmac_f64_e32 v[94:95], v[88:89], v[206:207]
	v_add_f64 v[24:25], v[24:25], v[94:95]
	ds_read_b128 v[94:97], v232 offset:1888
	buffer_load_dword v218, off, s[0:3], 0 offset:952
	buffer_load_dword v219, off, s[0:3], 0 offset:956
	;; [unrolled: 1-line block ×4, first 2 shown]
	s_waitcnt vmcnt(13) lgkmcnt(1)
	v_mul_f64 v[102:103], v[90:91], v[210:211]
	s_waitcnt vmcnt(11)
	v_fmac_f64_e32 v[102:103], v[92:93], v[76:77]
	v_add_f64 v[24:25], v[24:25], v[102:103]
	s_waitcnt vmcnt(9) lgkmcnt(0)
	v_mul_f64 v[102:103], v[94:95], v[202:203]
	s_waitcnt vmcnt(8)
	v_fmac_f64_e32 v[102:103], v[96:97], v[208:209]
	v_add_f64 v[24:25], v[24:25], v[102:103]
	s_waitcnt vmcnt(6)
	v_mul_f64 v[102:103], v[98:99], v[22:23]
	s_waitcnt vmcnt(4)
	v_fmac_f64_e32 v[102:103], v[100:101], v[216:217]
	v_add_f64 v[24:25], v[24:25], v[102:103]
	ds_read_b128 v[102:105], v232 offset:1920
	buffer_load_dword v223, off, s[0:3], 0 offset:972
	buffer_load_dword v222, off, s[0:3], 0 offset:968
	;; [unrolled: 1-line block ×4, first 2 shown]
	v_add_f64 v[6:7], v[6:7], v[20:21]
	v_add_f64 v[6:7], v[6:7], v[212:213]
	;; [unrolled: 1-line block ×5, first 2 shown]
	v_accvgpr_read_b32 v6, a188
	v_accvgpr_read_b32 v7, a189
	v_add_f64 v[0:1], v[254:255], v[250:251]
	v_mul_f64 v[6:7], v[140:141], v[6:7]
	v_add_f64 v[0:1], v[0:1], v[252:253]
	v_fma_f64 v[6:7], v[138:139], v[8:9], -v[6:7]
	v_add_f64 v[0:1], v[0:1], v[6:7]
	v_accvgpr_read_b32 v6, a192
	v_accvgpr_read_b32 v7, a193
	;; [unrolled: 1-line block ×3, first 2 shown]
	v_mul_f64 v[6:7], v[136:137], v[6:7]
	v_accvgpr_read_b32 v9, a195
	v_fma_f64 v[6:7], v[134:135], v[8:9], -v[6:7]
	v_add_f64 v[0:1], v[0:1], v[6:7]
	v_accvgpr_read_b32 v6, a196
	v_accvgpr_read_b32 v7, a197
	v_mul_f64 v[6:7], v[132:133], v[6:7]
	v_fma_f64 v[6:7], v[130:131], v[144:145], -v[6:7]
	v_add_f64 v[0:1], v[0:1], v[6:7]
	v_accvgpr_read_b32 v6, a198
	v_accvgpr_read_b32 v7, a199
	v_accvgpr_read_b32 v8, a200
	v_mul_f64 v[6:7], v[128:129], v[6:7]
	v_accvgpr_read_b32 v9, a201
	v_fma_f64 v[6:7], v[126:127], v[8:9], -v[6:7]
	v_add_f64 v[0:1], v[0:1], v[6:7]
	v_mul_f64 v[6:7], v[124:125], v[148:149]
	v_fma_f64 v[6:7], v[122:123], v[150:151], -v[6:7]
	v_add_f64 v[0:1], v[0:1], v[6:7]
	v_accvgpr_read_b32 v6, a202
	v_accvgpr_read_b32 v7, a203
	v_accvgpr_read_b32 v8, a204
	v_mul_f64 v[6:7], v[120:121], v[6:7]
	v_accvgpr_read_b32 v9, a205
	v_fma_f64 v[6:7], v[118:119], v[8:9], -v[6:7]
	v_add_f64 v[0:1], v[0:1], v[6:7]
	;; [unrolled: 10-line block ×3, first 2 shown]
	v_mul_f64 v[6:7], v[36:37], v[156:157]
	v_fma_f64 v[6:7], v[34:35], v[160:161], -v[6:7]
	v_add_f64 v[0:1], v[0:1], v[6:7]
	v_accvgpr_read_b32 v6, a210
	v_accvgpr_read_b32 v7, a211
	v_mul_f64 v[6:7], v[40:41], v[6:7]
	v_fma_f64 v[6:7], v[38:39], v[142:143], -v[6:7]
	v_add_f64 v[0:1], v[0:1], v[6:7]
	v_mul_f64 v[6:7], v[44:45], v[158:159]
	v_fma_f64 v[6:7], v[42:43], v[162:163], -v[6:7]
	v_add_f64 v[0:1], v[0:1], v[6:7]
	;; [unrolled: 3-line block ×3, first 2 shown]
	v_mul_f64 v[6:7], v[52:53], v[170:171]
	s_waitcnt vmcnt(6) lgkmcnt(0)
	v_mul_f64 v[106:107], v[102:103], v[218:219]
	v_fma_f64 v[6:7], v[50:51], v[172:173], -v[6:7]
	s_waitcnt vmcnt(4)
	v_fmac_f64_e32 v[106:107], v[104:105], v[220:221]
	v_add_f64 v[24:25], v[24:25], v[106:107]
	ds_read_b128 v[106:109], v232 offset:1936
	buffer_load_dword v226, off, s[0:3], 0 offset:984
	buffer_load_dword v227, off, s[0:3], 0 offset:988
	;; [unrolled: 1-line block ×4, first 2 shown]
	v_add_f64 v[0:1], v[0:1], v[6:7]
	v_mul_f64 v[6:7], v[56:57], v[164:165]
	v_fma_f64 v[6:7], v[54:55], v[168:169], -v[6:7]
	v_add_f64 v[0:1], v[0:1], v[6:7]
	v_mul_f64 v[6:7], v[60:61], v[174:175]
	s_waitcnt vmcnt(6) lgkmcnt(0)
	v_mul_f64 v[110:111], v[106:107], v[222:223]
	v_fma_f64 v[6:7], v[58:59], v[176:177], -v[6:7]
	s_waitcnt vmcnt(4)
	v_fmac_f64_e32 v[110:111], v[108:109], v[224:225]
	v_add_f64 v[24:25], v[24:25], v[110:111]
	ds_read_b128 v[110:113], v232 offset:1952
	buffer_load_dword v243, off, s[0:3], 0 offset:1004
	buffer_load_dword v242, off, s[0:3], 0 offset:1000
	;; [unrolled: 1-line block ×4, first 2 shown]
	v_add_f64 v[0:1], v[0:1], v[6:7]
	v_mul_f64 v[6:7], v[64:65], v[178:179]
	v_fma_f64 v[6:7], v[62:63], v[182:183], -v[6:7]
	v_add_f64 v[0:1], v[0:1], v[6:7]
	v_mul_f64 v[6:7], v[68:69], v[180:181]
	v_fma_f64 v[6:7], v[66:67], v[184:185], -v[6:7]
	v_add_f64 v[0:1], v[0:1], v[6:7]
	v_mul_f64 v[6:7], v[72:73], v[186:187]
	v_fma_f64 v[6:7], v[70:71], v[190:191], -v[6:7]
	v_add_f64 v[0:1], v[0:1], v[6:7]
	v_mul_f64 v[6:7], v[236:237], v[194:195]
	v_fma_f64 v[6:7], v[234:235], v[196:197], -v[6:7]
	v_mul_f64 v[4:5], v[4:5], v[78:79]
	v_add_f64 v[0:1], v[0:1], v[6:7]
	v_fma_f64 v[2:3], v[2:3], v[192:193], -v[4:5]
	v_add_f64 v[0:1], v[0:1], v[2:3]
	v_mul_f64 v[2:3], v[240:241], v[198:199]
	v_fma_f64 v[2:3], v[238:239], v[200:201], -v[2:3]
	v_add_f64 v[0:1], v[0:1], v[2:3]
	v_mul_f64 v[2:3], v[88:89], v[204:205]
	;; [unrolled: 3-line block ×7, first 2 shown]
	v_fma_f64 v[2:3], v[106:107], v[224:225], -v[2:3]
	v_add_f64 v[0:1], v[0:1], v[2:3]
	s_waitcnt vmcnt(6) lgkmcnt(0)
	v_mul_f64 v[114:115], v[110:111], v[226:227]
	v_mul_f64 v[2:3], v[112:113], v[226:227]
	s_waitcnt vmcnt(4)
	v_fmac_f64_e32 v[114:115], v[112:113], v[228:229]
	v_add_f64 v[24:25], v[24:25], v[114:115]
	ds_read_b128 v[114:117], v232 offset:1968
	buffer_load_dword v248, off, s[0:3], 0 offset:224
	buffer_load_dword v249, off, s[0:3], 0 offset:228
	;; [unrolled: 1-line block ×4, first 2 shown]
	v_fma_f64 v[2:3], v[110:111], v[228:229], -v[2:3]
	v_add_f64 v[0:1], v[0:1], v[2:3]
	s_waitcnt vmcnt(6) lgkmcnt(0)
	v_mul_f64 v[232:233], v[114:115], v[242:243]
	v_mul_f64 v[2:3], v[116:117], v[242:243]
	s_waitcnt vmcnt(4)
	v_fmac_f64_e32 v[232:233], v[116:117], v[244:245]
	v_add_f64 v[232:233], v[24:25], v[232:233]
	v_fma_f64 v[2:3], v[114:115], v[244:245], -v[2:3]
	v_add_f64 v[0:1], v[0:1], v[2:3]
	s_waitcnt vmcnt(2)
	v_add_f64 v[0:1], v[248:249], -v[0:1]
	s_waitcnt vmcnt(0)
	v_add_f64 v[2:3], v[246:247], -v[232:233]
	v_accvgpr_read_b32 v233, a185
	v_cmp_lt_u32_e32 vcc, 12, v233
	buffer_store_dword v1, off, s[0:3], 0 offset:228
	buffer_store_dword v0, off, s[0:3], 0 offset:224
	;; [unrolled: 1-line block ×4, first 2 shown]
	s_and_saveexec_b64 s[4:5], vcc
	s_cbranch_execz .LBB61_373
; %bb.372:
	v_accvgpr_read_b32 v3, a173
	buffer_load_dword v0, v3, s[0:3], 0 offen
	buffer_load_dword v1, v3, s[0:3], 0 offen offset:4
	buffer_load_dword v2, v3, s[0:3], 0 offen offset:8
	s_nop 0
	buffer_load_dword v3, v3, s[0:3], 0 offen offset:12
	v_mov_b32_e32 v4, 0
	v_accvgpr_read_b32 v5, a186
	buffer_store_dword v4, off, s[0:3], 0 offset:208
	buffer_store_dword v4, off, s[0:3], 0 offset:212
	;; [unrolled: 1-line block ×4, first 2 shown]
	s_waitcnt vmcnt(4)
	ds_write_b128 v5, v[0:3]
.LBB61_373:
	s_or_b64 exec, exec, s[4:5]
	s_waitcnt lgkmcnt(0)
	; wave barrier
	s_waitcnt lgkmcnt(0)
	buffer_load_dword v38, off, s[0:3], 0 offset:224
	buffer_load_dword v39, off, s[0:3], 0 offset:228
	;; [unrolled: 1-line block ×42, first 2 shown]
	v_mov_b32_e32 v232, 0
	buffer_load_dword v99, off, s[0:3], 0 offset:372
	buffer_load_dword v98, off, s[0:3], 0 offset:368
	buffer_load_dword v79, off, s[0:3], 0 offset:428
	buffer_load_dword v78, off, s[0:3], 0 offset:424
	buffer_load_dword v81, off, s[0:3], 0 offset:420
	buffer_load_dword v80, off, s[0:3], 0 offset:416
	buffer_load_dword v85, off, s[0:3], 0 offset:412
	ds_read_b128 v[108:111], v232 offset:1200
	ds_read_b128 v[112:115], v232 offset:1216
	ds_read_b128 v[170:173], v232 offset:1232
	ds_read_b128 v[174:177], v232 offset:1248
	ds_read_b128 v[180:183], v232 offset:1264
	ds_read_b128 v[184:187], v232 offset:1280
	ds_read_b128 v[190:193], v232 offset:1296
	ds_read_b128 v[194:197], v232 offset:1312
	ds_read_b128 v[198:201], v232 offset:1328
	ds_read_b128 v[202:205], v232 offset:1344
	ds_read_b128 v[206:209], v232 offset:1360
	v_cmp_lt_u32_e32 vcc, 11, v233
	s_waitcnt vmcnt(45) lgkmcnt(10)
	v_mul_f64 v[0:1], v[108:109], v[40:41]
	v_fmac_f64_e32 v[0:1], v[110:111], v[38:39]
	v_add_f64 v[0:1], v[0:1], 0
	v_mul_f64 v[40:41], v[110:111], v[40:41]
	s_waitcnt vmcnt(41) lgkmcnt(9)
	v_mul_f64 v[2:3], v[112:113], v[46:47]
	v_fmac_f64_e32 v[2:3], v[114:115], v[44:45]
	s_waitcnt vmcnt(39) lgkmcnt(8)
	v_mul_f64 v[4:5], v[170:171], v[42:43]
	v_add_f64 v[0:1], v[0:1], v[2:3]
	s_waitcnt vmcnt(37) lgkmcnt(6)
	v_mul_f64 v[8:9], v[180:181], v[48:49]
	v_mul_f64 v[42:43], v[172:173], v[42:43]
	s_waitcnt vmcnt(35)
	v_fmac_f64_e32 v[8:9], v[182:183], v[50:51]
	s_waitcnt vmcnt(33)
	v_mul_f64 v[6:7], v[174:175], v[52:53]
	s_waitcnt vmcnt(31) lgkmcnt(4)
	v_mul_f64 v[12:13], v[190:191], v[56:57]
	s_waitcnt vmcnt(29)
	v_fmac_f64_e32 v[12:13], v[192:193], v[54:55]
	s_waitcnt vmcnt(27)
	v_mul_f64 v[10:11], v[184:185], v[58:59]
	s_waitcnt vmcnt(25) lgkmcnt(2)
	v_mul_f64 v[16:17], v[198:199], v[64:65]
	s_waitcnt vmcnt(22)
	v_mul_f64 v[14:15], v[194:195], v[66:67]
	s_waitcnt vmcnt(20) lgkmcnt(1)
	v_mul_f64 v[18:19], v[202:203], v[60:61]
	s_waitcnt vmcnt(18)
	v_fmac_f64_e32 v[4:5], v[172:173], v[74:75]
	v_add_f64 v[0:1], v[0:1], v[4:5]
	s_waitcnt vmcnt(16)
	v_fmac_f64_e32 v[6:7], v[176:177], v[72:73]
	v_add_f64 v[0:1], v[0:1], v[6:7]
	;; [unrolled: 3-line block ×3, first 2 shown]
	v_add_f64 v[0:1], v[0:1], v[10:11]
	s_waitcnt vmcnt(12)
	v_fmac_f64_e32 v[14:15], v[196:197], v[68:69]
	v_add_f64 v[0:1], v[0:1], v[12:13]
	s_waitcnt vmcnt(11)
	v_fmac_f64_e32 v[16:17], v[200:201], v[62:63]
	v_add_f64 v[0:1], v[0:1], v[14:15]
	v_add_f64 v[2:3], v[0:1], v[16:17]
	buffer_load_dword v84, off, s[0:3], 0 offset:408
	buffer_load_dword v117, off, s[0:3], 0 offset:404
	;; [unrolled: 1-line block ×29, first 2 shown]
	s_waitcnt vmcnt(34)
	v_fmac_f64_e32 v[18:19], v[204:205], v[98:99]
	s_waitcnt lgkmcnt(0)
	v_mul_f64 v[6:7], v[206:207], v[76:77]
	v_add_f64 v[2:3], v[2:3], v[18:19]
	v_fmac_f64_e32 v[6:7], v[208:209], v[82:83]
	v_add_f64 v[2:3], v[2:3], v[6:7]
	v_fma_f64 v[74:75], v[170:171], v[74:75], -v[42:43]
	v_mul_f64 v[42:43], v[176:177], v[52:53]
	v_fma_f64 v[210:211], v[174:175], v[72:73], -v[42:43]
	v_mul_f64 v[52:53], v[204:205], v[60:61]
	s_waitcnt vmcnt(0)
	v_pk_mov_b32 v[8:9], v[4:5], v[4:5] op_sel:[0,1]
	buffer_load_dword v5, off, s[0:3], 0 offset:548
	buffer_load_dword v4, off, s[0:3], 0 offset:544
	v_accvgpr_write_b32 a189, v9
	v_accvgpr_write_b32 a188, v8
	s_waitcnt vmcnt(0)
	v_pk_mov_b32 v[12:13], v[4:5], v[4:5] op_sel:[0,1]
	buffer_load_dword v95, off, s[0:3], 0 offset:540
	buffer_load_dword v94, off, s[0:3], 0 offset:536
	buffer_load_dword v97, off, s[0:3], 0 offset:532
	buffer_load_dword v96, off, s[0:3], 0 offset:528
	buffer_load_dword v5, off, s[0:3], 0 offset:588
	buffer_load_dword v4, off, s[0:3], 0 offset:584
	v_accvgpr_write_b32 a191, v13
	v_accvgpr_write_b32 a190, v12
	s_waitcnt vmcnt(0)
	v_pk_mov_b32 v[16:17], v[4:5], v[4:5] op_sel:[0,1]
	buffer_load_dword v5, off, s[0:3], 0 offset:580
	buffer_load_dword v4, off, s[0:3], 0 offset:576
	v_accvgpr_write_b32 a193, v17
	v_accvgpr_write_b32 a192, v16
	s_waitcnt vmcnt(0)
	v_pk_mov_b32 v[20:21], v[4:5], v[4:5] op_sel:[0,1]
	buffer_load_dword v25, off, s[0:3], 0 offset:572
	buffer_load_dword v24, off, s[0:3], 0 offset:568
	buffer_load_dword v143, off, s[0:3], 0 offset:564
	buffer_load_dword v142, off, s[0:3], 0 offset:560
	buffer_load_dword v5, off, s[0:3], 0 offset:620
	buffer_load_dword v4, off, s[0:3], 0 offset:616
	v_accvgpr_write_b32 a195, v21
	v_accvgpr_write_b32 a194, v20
	;; [unrolled: 16-line block ×4, first 2 shown]
	s_waitcnt vmcnt(0)
	v_pk_mov_b32 v[166:167], v[4:5], v[4:5] op_sel:[0,1]
	buffer_load_dword v5, off, s[0:3], 0 offset:676
	buffer_load_dword v4, off, s[0:3], 0 offset:672
	v_accvgpr_write_b32 a205, v167
	v_accvgpr_write_b32 a204, v166
	s_waitcnt vmcnt(0)
	v_pk_mov_b32 v[168:169], v[4:5], v[4:5] op_sel:[0,1]
	buffer_load_dword v155, off, s[0:3], 0 offset:668
	buffer_load_dword v154, off, s[0:3], 0 offset:664
	;; [unrolled: 1-line block ×12, first 2 shown]
	ds_read_b128 v[214:217], v232 offset:1376
	ds_read_b128 v[218:221], v232 offset:1392
	;; [unrolled: 1-line block ×6, first 2 shown]
	s_waitcnt lgkmcnt(5)
	v_mul_f64 v[6:7], v[214:215], v[84:85]
	v_fmac_f64_e32 v[6:7], v[216:217], v[116:117]
	v_add_f64 v[2:3], v[2:3], v[6:7]
	s_waitcnt lgkmcnt(4)
	v_mul_f64 v[6:7], v[218:219], v[78:79]
	v_fmac_f64_e32 v[6:7], v[220:221], v[80:81]
	v_add_f64 v[2:3], v[2:3], v[6:7]
	;; [unrolled: 4-line block ×3, first 2 shown]
	s_waitcnt lgkmcnt(2)
	v_mul_f64 v[6:7], v[226:227], v[104:105]
	v_fmac_f64_e32 v[6:7], v[228:229], v[106:107]
	ds_read_b128 v[242:245], v232 offset:1472
	ds_read_b128 v[246:249], v232 offset:1488
	v_add_f64 v[2:3], v[2:3], v[6:7]
	s_waitcnt lgkmcnt(3)
	v_mul_f64 v[6:7], v[234:235], v[162:163]
	v_fmac_f64_e32 v[6:7], v[236:237], v[0:1]
	v_add_f64 v[2:3], v[2:3], v[6:7]
	s_waitcnt lgkmcnt(2)
	v_mul_f64 v[6:7], v[238:239], v[86:87]
	v_fmac_f64_e32 v[6:7], v[240:241], v[88:89]
	ds_read_b128 v[250:253], v232 offset:1504
	ds_read_b128 v[118:121], v232 offset:1520
	v_add_f64 v[2:3], v[2:3], v[6:7]
	s_waitcnt lgkmcnt(3)
	v_mul_f64 v[6:7], v[242:243], v[100:101]
	v_fmac_f64_e32 v[6:7], v[244:245], v[102:103]
	ds_read_b128 v[122:125], v232 offset:1536
	ds_read_b128 v[126:129], v232 offset:1552
	;; [unrolled: 6-line block ×3, first 2 shown]
	v_add_f64 v[2:3], v[2:3], v[6:7]
	s_waitcnt lgkmcnt(5)
	v_mul_f64 v[6:7], v[250:251], v[94:95]
	v_fmac_f64_e32 v[6:7], v[252:253], v[96:97]
	s_waitcnt lgkmcnt(4)
	v_mul_f64 v[10:11], v[118:119], v[8:9]
	v_add_f64 v[2:3], v[2:3], v[6:7]
	v_fmac_f64_e32 v[10:11], v[120:121], v[12:13]
	s_waitcnt lgkmcnt(3)
	v_mul_f64 v[14:15], v[122:123], v[24:25]
	v_add_f64 v[2:3], v[2:3], v[10:11]
	;; [unrolled: 4-line block ×5, first 2 shown]
	ds_read_b128 v[138:141], v232 offset:1600
	v_fmac_f64_e32 v[26:27], v[136:137], v[30:31]
	v_add_f64 v[2:3], v[2:3], v[26:27]
	ds_read_b128 v[26:29], v232 offset:1616
	v_fma_f64 v[20:21], v[108:109], v[38:39], -v[40:41]
	s_waitcnt lgkmcnt(1)
	v_mul_f64 v[30:31], v[138:139], v[150:151]
	v_fmac_f64_e32 v[30:31], v[140:141], v[152:153]
	v_add_f64 v[2:3], v[2:3], v[30:31]
	s_waitcnt lgkmcnt(0)
	v_mul_f64 v[34:35], v[26:27], v[36:37]
	ds_read_b128 v[30:33], v232 offset:1632
	v_fmac_f64_e32 v[34:35], v[28:29], v[164:165]
	v_add_f64 v[2:3], v[2:3], v[34:35]
	ds_read_b128 v[34:37], v232 offset:1648
	ds_read_b128 v[38:41], v232 offset:1664
	buffer_load_dword v23, off, s[0:3], 0 offset:732
	buffer_load_dword v22, off, s[0:3], 0 offset:728
	;; [unrolled: 1-line block ×4, first 2 shown]
	s_waitcnt vmcnt(14) lgkmcnt(2)
	v_mul_f64 v[108:109], v[30:31], v[154:155]
	v_accvgpr_write_b32 a207, v169
	s_waitcnt vmcnt(12)
	v_fmac_f64_e32 v[108:109], v[32:33], v[156:157]
	v_add_f64 v[2:3], v[2:3], v[108:109]
	s_waitcnt lgkmcnt(1)
	v_mul_f64 v[108:109], v[34:35], v[166:167]
	v_fmac_f64_e32 v[108:109], v[36:37], v[168:169]
	v_accvgpr_write_b32 a206, v168
	buffer_load_dword v166, off, s[0:3], 0 offset:744
	buffer_load_dword v168, off, s[0:3], 0 offset:736
	buffer_load_dword v167, off, s[0:3], 0 offset:748
	buffer_load_dword v169, off, s[0:3], 0 offset:740
	buffer_load_dword v171, off, s[0:3], 0 offset:780
	buffer_load_dword v173, off, s[0:3], 0 offset:764
	buffer_load_dword v172, off, s[0:3], 0 offset:760
	buffer_load_dword v179, off, s[0:3], 0 offset:756
	buffer_load_dword v178, off, s[0:3], 0 offset:752
	buffer_load_dword v170, off, s[0:3], 0 offset:776
	buffer_load_dword v177, off, s[0:3], 0 offset:772
	buffer_load_dword v176, off, s[0:3], 0 offset:768
	s_waitcnt vmcnt(18) lgkmcnt(0)
	v_mul_f64 v[110:111], v[38:39], v[158:159]
	v_add_f64 v[108:109], v[2:3], v[108:109]
	s_waitcnt vmcnt(16)
	v_fmac_f64_e32 v[110:111], v[40:41], v[160:161]
	v_mul_f64 v[2:3], v[114:115], v[46:47]
	v_mul_f64 v[46:47], v[182:183], v[48:49]
	v_fma_f64 v[18:19], v[112:113], v[44:45], -v[2:3]
	v_add_f64 v[108:109], v[108:109], v[110:111]
	ds_read_b128 v[42:45], v232 offset:1680
	v_fma_f64 v[110:111], v[180:181], v[50:51], -v[46:47]
	buffer_load_dword v174, off, s[0:3], 0 offset:808
	buffer_load_dword v181, off, s[0:3], 0 offset:796
	;; [unrolled: 1-line block ×5, first 2 shown]
	v_mul_f64 v[46:47], v[186:187], v[58:59]
	v_fma_f64 v[112:113], v[184:185], v[70:71], -v[46:47]
	buffer_load_dword v184, off, s[0:3], 0 offset:800
	buffer_load_dword v175, off, s[0:3], 0 offset:812
	;; [unrolled: 1-line block ×7, first 2 shown]
	v_mul_f64 v[46:47], v[192:193], v[56:57]
	v_fma_f64 v[16:17], v[190:191], v[54:55], -v[46:47]
	v_mul_f64 v[46:47], v[196:197], v[66:67]
	v_fma_f64 v[14:15], v[194:195], v[68:69], -v[46:47]
	buffer_load_dword v192, off, s[0:3], 0 offset:840
	buffer_load_dword v194, off, s[0:3], 0 offset:832
	;; [unrolled: 1-line block ×4, first 2 shown]
	v_mul_f64 v[46:47], v[200:201], v[64:65]
	v_fma_f64 v[12:13], v[198:199], v[62:63], -v[46:47]
	buffer_load_dword v191, off, s[0:3], 0 offset:876
	buffer_load_dword v197, off, s[0:3], 0 offset:860
	;; [unrolled: 1-line block ×8, first 2 shown]
	ds_read_b128 v[46:49], v232 offset:1696
	v_fma_f64 v[10:11], v[202:203], v[98:99], -v[52:53]
	buffer_load_dword v203, off, s[0:3], 0 offset:892
	buffer_load_dword v202, off, s[0:3], 0 offset:888
	;; [unrolled: 1-line block ×4, first 2 shown]
	v_mul_f64 v[52:53], v[208:209], v[76:77]
	v_fma_f64 v[8:9], v[206:207], v[82:83], -v[52:53]
	buffer_load_dword v206, off, s[0:3], 0 offset:904
	buffer_load_dword v208, off, s[0:3], 0 offset:896
	;; [unrolled: 1-line block ×8, first 2 shown]
	s_waitcnt lgkmcnt(1)
	v_mul_f64 v[50:51], v[42:43], v[4:5]
	v_mul_f64 v[52:53], v[216:217], v[84:85]
	v_fmac_f64_e32 v[50:51], v[44:45], v[144:145]
	v_fma_f64 v[6:7], v[214:215], v[116:117], -v[52:53]
	v_add_f64 v[50:51], v[108:109], v[50:51]
	buffer_load_dword v214, off, s[0:3], 0 offset:936
	buffer_load_dword v216, off, s[0:3], 0 offset:928
	;; [unrolled: 1-line block ×4, first 2 shown]
	v_mul_f64 v[54:55], v[220:221], v[78:79]
	v_fma_f64 v[218:219], v[218:219], v[80:81], -v[54:55]
	ds_read_b128 v[54:57], v232 offset:1728
	v_mul_f64 v[58:59], v[224:225], v[230:231]
	v_fma_f64 v[254:255], v[222:223], v[254:255], -v[58:59]
	ds_read_b128 v[58:61], v232 offset:1744
	;; [unrolled: 3-line block ×3, first 2 shown]
	v_accvgpr_write_b32 a209, v5
	v_mul_f64 v[70:71], v[236:237], v[162:163]
	v_accvgpr_write_b32 a208, v4
	v_fma_f64 v[4:5], v[234:235], v[0:1], -v[70:71]
	ds_read_b128 v[234:237], v232 offset:1808
	v_mul_f64 v[82:83], v[244:245], v[100:101]
	v_fma_f64 v[0:1], v[242:243], v[102:103], -v[82:83]
	ds_read_b128 v[82:85], v232 offset:1840
	v_mul_f64 v[90:91], v[248:249], v[90:91]
	v_fma_f64 v[246:247], v[246:247], v[92:93], -v[90:91]
	ds_read_b128 v[90:93], v232 offset:1872
	v_mul_f64 v[94:95], v[252:253], v[94:95]
	v_fma_f64 v[250:251], v[250:251], v[96:97], -v[94:95]
	v_add_f64 v[20:21], v[20:21], 0
	v_add_f64 v[18:19], v[20:21], v[18:19]
	;; [unrolled: 1-line block ×8, first 2 shown]
	ds_read_b128 v[70:73], v232 offset:1792
	v_add_f64 v[12:13], v[14:15], v[12:13]
	v_add_f64 v[10:11], v[12:13], v[10:11]
	;; [unrolled: 1-line block ×3, first 2 shown]
	s_waitcnt vmcnt(54) lgkmcnt(7)
	v_mul_f64 v[52:53], v[46:47], v[22:23]
	v_add_f64 v[6:7], v[8:9], v[6:7]
	s_waitcnt vmcnt(52)
	v_fmac_f64_e32 v[52:53], v[48:49], v[164:165]
	v_add_f64 v[62:63], v[50:51], v[52:53]
	ds_read_b128 v[50:53], v232 offset:1712
	v_add_f64 v[6:7], v[6:7], v[218:219]
	v_add_f64 v[6:7], v[6:7], v[254:255]
	;; [unrolled: 1-line block ×4, first 2 shown]
	s_waitcnt vmcnt(49) lgkmcnt(0)
	v_mul_f64 v[64:65], v[50:51], v[166:167]
	s_waitcnt vmcnt(48)
	v_fmac_f64_e32 v[64:65], v[52:53], v[168:169]
	v_add_f64 v[62:63], v[62:63], v[64:65]
	s_waitcnt vmcnt(45)
	v_mul_f64 v[64:65], v[54:55], v[172:173]
	s_waitcnt vmcnt(43)
	v_fmac_f64_e32 v[64:65], v[56:57], v[178:179]
	v_add_f64 v[62:63], v[62:63], v[64:65]
	s_waitcnt vmcnt(42)
	v_mul_f64 v[64:65], v[58:59], v[170:171]
	s_waitcnt vmcnt(40)
	v_fmac_f64_e32 v[64:65], v[60:61], v[176:177]
	v_add_f64 v[78:79], v[62:63], v[64:65]
	ds_read_b128 v[62:65], v232 offset:1760
	ds_read_b128 v[94:97], v232 offset:1888
	s_waitcnt vmcnt(37) lgkmcnt(1)
	v_mul_f64 v[80:81], v[62:63], v[180:181]
	s_waitcnt vmcnt(35)
	v_fmac_f64_e32 v[80:81], v[64:65], v[182:183]
	v_add_f64 v[78:79], v[78:79], v[80:81]
	s_waitcnt vmcnt(33)
	v_mul_f64 v[80:81], v[66:67], v[174:175]
	s_waitcnt vmcnt(32)
	v_fmac_f64_e32 v[80:81], v[68:69], v[184:185]
	v_add_f64 v[78:79], v[78:79], v[80:81]
	s_waitcnt vmcnt(30)
	v_mul_f64 v[80:81], v[70:71], v[186:187]
	s_waitcnt vmcnt(28)
	v_fmac_f64_e32 v[80:81], v[72:73], v[188:189]
	v_add_f64 v[98:99], v[78:79], v[80:81]
	v_mul_f64 v[78:79], v[240:241], v[86:87]
	v_fma_f64 v[2:3], v[238:239], v[88:89], -v[78:79]
	ds_read_b128 v[78:81], v232 offset:1824
	s_waitcnt vmcnt(25)
	v_mul_f64 v[86:87], v[234:235], v[192:193]
	s_waitcnt vmcnt(24)
	v_fmac_f64_e32 v[86:87], v[236:237], v[194:195]
	v_add_f64 v[86:87], v[98:99], v[86:87]
	v_add_f64 v[2:3], v[4:5], v[2:3]
	s_waitcnt vmcnt(21) lgkmcnt(0)
	v_mul_f64 v[88:89], v[78:79], v[196:197]
	s_waitcnt vmcnt(19)
	v_fmac_f64_e32 v[88:89], v[80:81], v[200:201]
	v_add_f64 v[86:87], v[86:87], v[88:89]
	s_waitcnt vmcnt(18)
	v_mul_f64 v[88:89], v[82:83], v[190:191]
	s_waitcnt vmcnt(16)
	v_fmac_f64_e32 v[88:89], v[84:85], v[198:199]
	v_add_f64 v[98:99], v[86:87], v[88:89]
	ds_read_b128 v[86:89], v232 offset:1856
	v_add_f64 v[0:1], v[2:3], v[0:1]
	v_add_f64 v[0:1], v[0:1], v[246:247]
	v_accvgpr_read_b32 v2, a188
	v_accvgpr_read_b32 v3, a189
	s_waitcnt vmcnt(14) lgkmcnt(0)
	v_mul_f64 v[100:101], v[86:87], v[202:203]
	s_waitcnt vmcnt(12)
	v_fmac_f64_e32 v[100:101], v[88:89], v[204:205]
	v_add_f64 v[98:99], v[98:99], v[100:101]
	s_waitcnt vmcnt(9)
	v_mul_f64 v[100:101], v[90:91], v[206:207]
	s_waitcnt vmcnt(8)
	v_fmac_f64_e32 v[100:101], v[92:93], v[208:209]
	v_add_f64 v[98:99], v[98:99], v[100:101]
	s_waitcnt vmcnt(6)
	v_mul_f64 v[100:101], v[94:95], v[76:77]
	s_waitcnt vmcnt(4)
	v_fmac_f64_e32 v[100:101], v[96:97], v[212:213]
	v_add_f64 v[102:103], v[98:99], v[100:101]
	ds_read_b128 v[98:101], v232 offset:1904
	buffer_load_dword v253, off, s[0:3], 0 offset:956
	buffer_load_dword v252, off, s[0:3], 0 offset:952
	;; [unrolled: 1-line block ×4, first 2 shown]
	v_accvgpr_read_b32 v4, a190
	v_mul_f64 v[2:3], v[120:121], v[2:3]
	v_accvgpr_read_b32 v5, a191
	s_waitcnt vmcnt(5) lgkmcnt(0)
	v_mul_f64 v[104:105], v[98:99], v[214:215]
	s_waitcnt vmcnt(4)
	v_fmac_f64_e32 v[104:105], v[100:101], v[216:217]
	v_add_f64 v[106:107], v[102:103], v[104:105]
	ds_read_b128 v[102:105], v232 offset:1920
	buffer_load_dword v222, off, s[0:3], 0 offset:968
	buffer_load_dword v223, off, s[0:3], 0 offset:972
	;; [unrolled: 1-line block ×4, first 2 shown]
	v_add_f64 v[0:1], v[0:1], v[250:251]
	v_fma_f64 v[2:3], v[118:119], v[4:5], -v[2:3]
	v_add_f64 v[0:1], v[0:1], v[2:3]
	v_mul_f64 v[2:3], v[124:125], v[24:25]
	v_fma_f64 v[2:3], v[122:123], v[142:143], -v[2:3]
	v_add_f64 v[0:1], v[0:1], v[2:3]
	v_accvgpr_read_b32 v2, a192
	v_accvgpr_read_b32 v3, a193
	v_accvgpr_read_b32 v4, a194
	v_mul_f64 v[2:3], v[128:129], v[2:3]
	v_accvgpr_read_b32 v5, a195
	v_fma_f64 v[2:3], v[126:127], v[4:5], -v[2:3]
	v_add_f64 v[0:1], v[0:1], v[2:3]
	v_mul_f64 v[2:3], v[132:133], v[146:147]
	v_fma_f64 v[2:3], v[130:131], v[148:149], -v[2:3]
	v_add_f64 v[0:1], v[0:1], v[2:3]
	v_accvgpr_read_b32 v2, a196
	v_accvgpr_read_b32 v3, a197
	v_accvgpr_read_b32 v4, a198
	v_mul_f64 v[2:3], v[136:137], v[2:3]
	v_accvgpr_read_b32 v5, a199
	;; [unrolled: 10-line block ×4, first 2 shown]
	v_fma_f64 v[2:3], v[34:35], v[4:5], -v[2:3]
	v_add_f64 v[0:1], v[0:1], v[2:3]
	v_mul_f64 v[2:3], v[40:41], v[158:159]
	v_fma_f64 v[2:3], v[38:39], v[160:161], -v[2:3]
	v_add_f64 v[0:1], v[0:1], v[2:3]
	v_accvgpr_read_b32 v2, a208
	v_accvgpr_read_b32 v3, a209
	v_mul_f64 v[2:3], v[44:45], v[2:3]
	v_fma_f64 v[2:3], v[42:43], v[144:145], -v[2:3]
	v_add_f64 v[0:1], v[0:1], v[2:3]
	v_mul_f64 v[2:3], v[48:49], v[22:23]
	v_fma_f64 v[2:3], v[46:47], v[164:165], -v[2:3]
	v_add_f64 v[0:1], v[0:1], v[2:3]
	;; [unrolled: 3-line block ×7, first 2 shown]
	s_waitcnt vmcnt(6) lgkmcnt(0)
	v_mul_f64 v[108:109], v[102:103], v[252:253]
	v_mul_f64 v[2:3], v[72:73], v[186:187]
	s_waitcnt vmcnt(4)
	v_fmac_f64_e32 v[108:109], v[104:105], v[220:221]
	v_add_f64 v[114:115], v[106:107], v[108:109]
	ds_read_b128 v[106:109], v232 offset:1936
	buffer_load_dword v227, off, s[0:3], 0 offset:988
	buffer_load_dword v226, off, s[0:3], 0 offset:984
	;; [unrolled: 1-line block ×4, first 2 shown]
	ds_read_b128 v[238:241], v232 offset:1952
	buffer_load_dword v242, off, s[0:3], 0 offset:1000
	buffer_load_dword v243, off, s[0:3], 0 offset:1004
	buffer_load_dword v244, off, s[0:3], 0 offset:992
	buffer_load_dword v245, off, s[0:3], 0 offset:996
	v_fma_f64 v[2:3], v[70:71], v[188:189], -v[2:3]
	s_waitcnt vmcnt(10) lgkmcnt(1)
	v_mul_f64 v[116:117], v[106:107], v[222:223]
	s_waitcnt vmcnt(8)
	v_fmac_f64_e32 v[116:117], v[108:109], v[224:225]
	v_add_f64 v[114:115], v[114:115], v[116:117]
	v_add_f64 v[0:1], v[0:1], v[2:3]
	v_mul_f64 v[2:3], v[236:237], v[192:193]
	v_fma_f64 v[2:3], v[234:235], v[194:195], -v[2:3]
	v_add_f64 v[0:1], v[0:1], v[2:3]
	v_mul_f64 v[2:3], v[80:81], v[196:197]
	v_fma_f64 v[2:3], v[78:79], v[200:201], -v[2:3]
	;; [unrolled: 3-line block ×9, first 2 shown]
	v_add_f64 v[0:1], v[0:1], v[2:3]
	s_waitcnt vmcnt(6) lgkmcnt(0)
	v_mul_f64 v[116:117], v[238:239], v[226:227]
	v_mul_f64 v[2:3], v[240:241], v[226:227]
	s_waitcnt vmcnt(4)
	v_fmac_f64_e32 v[116:117], v[240:241], v[228:229]
	v_add_f64 v[162:163], v[114:115], v[116:117]
	ds_read_b128 v[114:117], v232 offset:1968
	v_fma_f64 v[2:3], v[238:239], v[228:229], -v[2:3]
	v_add_f64 v[0:1], v[0:1], v[2:3]
	s_waitcnt vmcnt(2) lgkmcnt(0)
	v_mul_f64 v[248:249], v[114:115], v[242:243]
	s_waitcnt vmcnt(0)
	v_fmac_f64_e32 v[248:249], v[116:117], v[244:245]
	v_add_f64 v[162:163], v[162:163], v[248:249]
	buffer_load_dword v248, off, s[0:3], 0 offset:208
	buffer_load_dword v249, off, s[0:3], 0 offset:212
	;; [unrolled: 1-line block ×4, first 2 shown]
	v_mul_f64 v[2:3], v[116:117], v[242:243]
	v_fma_f64 v[2:3], v[114:115], v[244:245], -v[2:3]
	v_add_f64 v[0:1], v[0:1], v[2:3]
	s_waitcnt vmcnt(2)
	v_add_f64 v[0:1], v[248:249], -v[0:1]
	s_waitcnt vmcnt(0)
	v_add_f64 v[2:3], v[246:247], -v[162:163]
	buffer_store_dword v1, off, s[0:3], 0 offset:212
	buffer_store_dword v0, off, s[0:3], 0 offset:208
	;; [unrolled: 1-line block ×4, first 2 shown]
	s_and_saveexec_b64 s[4:5], vcc
	s_cbranch_execz .LBB61_375
; %bb.374:
	v_accvgpr_read_b32 v3, a174
	buffer_load_dword v0, v3, s[0:3], 0 offen
	buffer_load_dword v1, v3, s[0:3], 0 offen offset:4
	buffer_load_dword v2, v3, s[0:3], 0 offen offset:8
	s_nop 0
	buffer_load_dword v3, v3, s[0:3], 0 offen offset:12
	v_accvgpr_read_b32 v4, a186
	buffer_store_dword v232, off, s[0:3], 0 offset:192
	buffer_store_dword v232, off, s[0:3], 0 offset:196
	;; [unrolled: 1-line block ×4, first 2 shown]
	s_waitcnt vmcnt(4)
	ds_write_b128 v4, v[0:3]
.LBB61_375:
	s_or_b64 exec, exec, s[4:5]
	s_waitcnt lgkmcnt(0)
	; wave barrier
	s_waitcnt lgkmcnt(0)
	buffer_load_dword v34, off, s[0:3], 0 offset:208
	buffer_load_dword v35, off, s[0:3], 0 offset:212
	;; [unrolled: 1-line block ×42, first 2 shown]
	ds_read_b128 v[42:45], v232 offset:1184
	ds_read_b128 v[108:111], v232 offset:1200
	;; [unrolled: 1-line block ×10, first 2 shown]
	buffer_load_dword v1, off, s[0:3], 0 offset:356
	buffer_load_dword v0, off, s[0:3], 0 offset:352
	ds_read_b128 v[46:49], v232 offset:1344
	buffer_load_dword v85, off, s[0:3], 0 offset:412
	buffer_load_dword v84, off, s[0:3], 0 offset:408
	;; [unrolled: 1-line block ×6, first 2 shown]
	s_waitcnt vmcnt(46) lgkmcnt(10)
	v_mul_f64 v[2:3], v[42:43], v[36:37]
	v_fmac_f64_e32 v[2:3], v[44:45], v[34:35]
	v_add_f64 v[2:3], v[2:3], 0
	v_mul_f64 v[36:37], v[44:45], v[36:37]
	s_waitcnt vmcnt(42) lgkmcnt(9)
	v_mul_f64 v[4:5], v[108:109], v[40:41]
	v_fmac_f64_e32 v[4:5], v[110:111], v[38:39]
	s_waitcnt vmcnt(40) lgkmcnt(8)
	v_mul_f64 v[6:7], v[112:113], v[158:159]
	v_add_f64 v[2:3], v[2:3], v[4:5]
	s_waitcnt vmcnt(38) lgkmcnt(6)
	v_mul_f64 v[10:11], v[170:171], v[52:53]
	v_mul_f64 v[52:53], v[172:173], v[52:53]
	s_waitcnt vmcnt(36)
	v_fmac_f64_e32 v[10:11], v[172:173], v[54:55]
	s_waitcnt vmcnt(34)
	v_mul_f64 v[8:9], v[166:167], v[56:57]
	v_mul_f64 v[56:57], v[168:169], v[56:57]
	s_waitcnt vmcnt(32) lgkmcnt(4)
	v_mul_f64 v[14:15], v[182:183], v[58:59]
	s_waitcnt vmcnt(30)
	v_fmac_f64_e32 v[14:15], v[184:185], v[60:61]
	s_waitcnt vmcnt(28)
	v_mul_f64 v[12:13], v[178:179], v[200:201]
	s_waitcnt vmcnt(26) lgkmcnt(2)
	v_mul_f64 v[18:19], v[190:191], v[64:65]
	s_waitcnt vmcnt(23)
	v_mul_f64 v[16:17], v[186:187], v[70:71]
	s_waitcnt vmcnt(21) lgkmcnt(1)
	v_mul_f64 v[20:21], v[194:195], v[68:69]
	s_waitcnt vmcnt(19)
	v_fmac_f64_e32 v[6:7], v[114:115], v[78:79]
	v_add_f64 v[2:3], v[2:3], v[6:7]
	s_waitcnt vmcnt(17)
	v_fmac_f64_e32 v[8:9], v[168:169], v[76:77]
	v_add_f64 v[2:3], v[2:3], v[8:9]
	;; [unrolled: 3-line block ×3, first 2 shown]
	v_add_f64 v[2:3], v[2:3], v[12:13]
	s_waitcnt vmcnt(13)
	v_fmac_f64_e32 v[16:17], v[188:189], v[72:73]
	v_add_f64 v[2:3], v[2:3], v[14:15]
	s_waitcnt vmcnt(12)
	v_fmac_f64_e32 v[18:19], v[192:193], v[66:67]
	v_add_f64 v[2:3], v[2:3], v[16:17]
	v_add_f64 v[6:7], v[2:3], v[18:19]
	buffer_load_dword v207, off, s[0:3], 0 offset:388
	buffer_load_dword v206, off, s[0:3], 0 offset:384
	;; [unrolled: 1-line block ×36, first 2 shown]
	s_waitcnt vmcnt(42)
	v_fmac_f64_e32 v[20:21], v[196:197], v[0:1]
	s_waitcnt lgkmcnt(0)
	v_mul_f64 v[8:9], v[46:47], v[80:81]
	v_add_f64 v[6:7], v[6:7], v[20:21]
	v_fmac_f64_e32 v[8:9], v[48:49], v[82:83]
	v_add_f64 v[6:7], v[6:7], v[8:9]
	v_fma_f64 v[208:209], v[166:167], v[76:77], -v[56:57]
	v_fma_f64 v[76:77], v[170:171], v[54:55], -v[52:53]
	v_mul_f64 v[52:53], v[180:181], v[200:201]
	v_fma_f64 v[74:75], v[178:179], v[74:75], -v[52:53]
	v_mul_f64 v[52:53], v[184:185], v[58:59]
	v_mul_f64 v[54:55], v[188:189], v[70:71]
	s_waitcnt vmcnt(0)
	v_pk_mov_b32 v[18:19], v[4:5], v[4:5] op_sel:[0,1]
	buffer_load_dword v5, off, s[0:3], 0 offset:564
	buffer_load_dword v4, off, s[0:3], 0 offset:560
	v_accvgpr_write_b32 a193, v19
	v_accvgpr_write_b32 a192, v18
	s_waitcnt vmcnt(0)
	v_pk_mov_b32 v[22:23], v[4:5], v[4:5] op_sel:[0,1]
	buffer_load_dword v5, off, s[0:3], 0 offset:556
	buffer_load_dword v4, off, s[0:3], 0 offset:552
	v_accvgpr_write_b32 a195, v23
	v_accvgpr_write_b32 a194, v22
	;; [unrolled: 6-line block ×9, first 2 shown]
	s_waitcnt vmcnt(0)
	v_pk_mov_b32 v[162:163], v[4:5], v[4:5] op_sel:[0,1]
	buffer_load_dword v147, off, s[0:3], 0 offset:620
	buffer_load_dword v146, off, s[0:3], 0 offset:616
	;; [unrolled: 1-line block ×6, first 2 shown]
	v_accvgpr_write_b32 a207, v163
	v_accvgpr_write_b32 a206, v162
	s_waitcnt vmcnt(0)
	v_pk_mov_b32 v[164:165], v[4:5], v[4:5] op_sel:[0,1]
	buffer_load_dword v5, off, s[0:3], 0 offset:660
	buffer_load_dword v4, off, s[0:3], 0 offset:656
	v_accvgpr_write_b32 a209, v165
	v_accvgpr_write_b32 a208, v164
	s_waitcnt vmcnt(0)
	v_pk_mov_b32 v[174:175], v[4:5], v[4:5] op_sel:[0,1]
	buffer_load_dword v151, off, s[0:3], 0 offset:652
	buffer_load_dword v150, off, s[0:3], 0 offset:648
	;; [unrolled: 1-line block ×6, first 2 shown]
	v_accvgpr_write_b32 a211, v175
	v_accvgpr_write_b32 a210, v174
	s_waitcnt vmcnt(0)
	v_pk_mov_b32 v[210:211], v[4:5], v[4:5] op_sel:[0,1]
	buffer_load_dword v5, off, s[0:3], 0 offset:692
	buffer_load_dword v4, off, s[0:3], 0 offset:688
	;; [unrolled: 1-line block ×6, first 2 shown]
	ds_read_b128 v[202:205], v232 offset:1360
	ds_read_b128 v[214:217], v232 offset:1376
	;; [unrolled: 1-line block ×6, first 2 shown]
	s_waitcnt lgkmcnt(5)
	v_mul_f64 v[8:9], v[202:203], v[116:117]
	v_fmac_f64_e32 v[8:9], v[204:205], v[206:207]
	v_add_f64 v[6:7], v[6:7], v[8:9]
	s_waitcnt lgkmcnt(4)
	v_mul_f64 v[8:9], v[214:215], v[84:85]
	v_fmac_f64_e32 v[8:9], v[216:217], v[86:87]
	v_add_f64 v[6:7], v[6:7], v[8:9]
	;; [unrolled: 4-line block ×3, first 2 shown]
	s_waitcnt lgkmcnt(2)
	v_mul_f64 v[8:9], v[222:223], v[230:231]
	v_fmac_f64_e32 v[8:9], v[224:225], v[250:251]
	ds_read_b128 v[238:241], v232 offset:1456
	ds_read_b128 v[242:245], v232 offset:1472
	v_add_f64 v[6:7], v[6:7], v[8:9]
	s_waitcnt lgkmcnt(3)
	v_mul_f64 v[8:9], v[226:227], v[2:3]
	v_fmac_f64_e32 v[8:9], v[228:229], v[62:63]
	v_add_f64 v[6:7], v[6:7], v[8:9]
	s_waitcnt lgkmcnt(2)
	v_mul_f64 v[8:9], v[234:235], v[100:101]
	v_fmac_f64_e32 v[8:9], v[236:237], v[102:103]
	ds_read_b128 v[246:249], v232 offset:1488
	ds_read_b128 v[252:255], v232 offset:1504
	v_add_f64 v[6:7], v[6:7], v[8:9]
	s_waitcnt lgkmcnt(3)
	v_mul_f64 v[8:9], v[238:239], v[104:105]
	v_fmac_f64_e32 v[8:9], v[240:241], v[106:107]
	v_add_f64 v[6:7], v[6:7], v[8:9]
	s_waitcnt lgkmcnt(2)
	v_mul_f64 v[8:9], v[242:243], v[88:89]
	ds_read_b128 v[142:145], v232 offset:1520
	ds_read_b128 v[138:141], v232 offset:1536
	v_fmac_f64_e32 v[8:9], v[244:245], v[92:93]
	v_add_f64 v[6:7], v[6:7], v[8:9]
	s_waitcnt lgkmcnt(3)
	v_mul_f64 v[8:9], v[246:247], v[90:91]
	ds_read_b128 v[134:137], v232 offset:1552
	ds_read_b128 v[130:133], v232 offset:1568
	;; [unrolled: 6-line block ×3, first 2 shown]
	v_fmac_f64_e32 v[8:9], v[254:255], v[96:97]
	s_waitcnt lgkmcnt(5)
	v_mul_f64 v[12:13], v[142:143], v[14:15]
	v_add_f64 v[10:11], v[6:7], v[8:9]
	v_fmac_f64_e32 v[12:13], v[144:145], v[16:17]
	s_waitcnt lgkmcnt(4)
	v_mul_f64 v[16:17], v[138:139], v[18:19]
	v_add_f64 v[14:15], v[10:11], v[12:13]
	;; [unrolled: 4-line block ×6, first 2 shown]
	ds_read_b128 v[118:121], v232 offset:1616
	v_fmac_f64_e32 v[32:33], v[124:125], v[162:163]
	v_add_f64 v[160:161], v[30:31], v[32:33]
	ds_read_b128 v[30:33], v232 offset:1632
	v_fma_f64 v[22:23], v[42:43], v[34:35], -v[36:37]
	ds_read_b128 v[34:37], v232 offset:1648
	s_waitcnt lgkmcnt(2)
	v_mul_f64 v[42:43], v[118:119], v[150:151]
	v_fmac_f64_e32 v[42:43], v[120:121], v[152:153]
	s_waitcnt lgkmcnt(1)
	v_mul_f64 v[44:45], v[30:31], v[164:165]
	v_add_f64 v[42:43], v[160:161], v[42:43]
	v_fmac_f64_e32 v[44:45], v[32:33], v[174:175]
	v_add_f64 v[42:43], v[42:43], v[44:45]
	v_mul_f64 v[8:9], v[110:111], v[40:41]
	v_fma_f64 v[18:19], v[108:109], v[38:39], -v[8:9]
	v_mul_f64 v[108:109], v[114:115], v[158:159]
	s_waitcnt vmcnt(2) lgkmcnt(0)
	v_mul_f64 v[44:45], v[34:35], v[154:155]
	v_fma_f64 v[78:79], v[112:113], v[78:79], -v[108:109]
	s_waitcnt vmcnt(0)
	v_fmac_f64_e32 v[44:45], v[36:37], v[156:157]
	v_add_f64 v[6:7], v[42:43], v[44:45]
	ds_read_b128 v[42:45], v232 offset:1664
	ds_read_b128 v[38:41], v232 offset:1680
	buffer_load_dword v158, off, s[0:3], 0 offset:728
	buffer_load_dword v163, off, s[0:3], 0 offset:716
	;; [unrolled: 1-line block ×24, first 2 shown]
	v_fma_f64 v[108:109], v[182:183], v[60:61], -v[52:53]
	buffer_load_dword v183, off, s[0:3], 0 offset:812
	buffer_load_dword v182, off, s[0:3], 0 offset:808
	;; [unrolled: 1-line block ×4, first 2 shown]
	v_mul_f64 v[12:13], v[192:193], v[64:65]
	buffer_load_dword v188, off, s[0:3], 0 offset:824
	v_fma_f64 v[12:13], v[190:191], v[66:67], -v[12:13]
	buffer_load_dword v190, off, s[0:3], 0 offset:816
	buffer_load_dword v189, off, s[0:3], 0 offset:828
	;; [unrolled: 1-line block ×3, first 2 shown]
	v_fma_f64 v[14:15], v[186:187], v[72:73], -v[54:55]
	v_mul_f64 v[54:55], v[196:197], v[68:69]
	v_fma_f64 v[10:11], v[194:195], v[0:1], -v[54:55]
	buffer_load_dword v187, off, s[0:3], 0 offset:860
	buffer_load_dword v193, off, s[0:3], 0 offset:844
	;; [unrolled: 1-line block ×12, first 2 shown]
	v_mul_f64 v[16:17], v[48:49], v[80:81]
	v_accvgpr_write_b32 a213, v211
	v_fma_f64 v[16:17], v[46:47], v[82:83], -v[16:17]
	v_mul_f64 v[46:47], v[204:205], v[116:117]
	s_waitcnt lgkmcnt(1)
	v_mul_f64 v[52:53], v[42:43], v[210:211]
	v_accvgpr_write_b32 a212, v210
	v_fma_f64 v[8:9], v[202:203], v[206:207], -v[46:47]
	buffer_load_dword v204, off, s[0:3], 0 offset:888
	buffer_load_dword v206, off, s[0:3], 0 offset:880
	;; [unrolled: 1-line block ×12, first 2 shown]
	v_mul_f64 v[20:21], v[216:217], v[84:85]
	v_fma_f64 v[20:21], v[214:215], v[86:87], -v[20:21]
	buffer_load_dword v215, off, s[0:3], 0 offset:940
	buffer_load_dword v214, off, s[0:3], 0 offset:936
	;; [unrolled: 1-line block ×4, first 2 shown]
	v_fmac_f64_e32 v[52:53], v[44:45], v[4:5]
	v_accvgpr_write_b32 a215, v5
	ds_read_b128 v[46:49], v232 offset:1696
	v_accvgpr_write_b32 a214, v4
	v_add_f64 v[4:5], v[6:7], v[52:53]
	v_mul_f64 v[58:59], v[224:225], v[230:231]
	v_fma_f64 v[230:231], v[222:223], v[250:251], -v[58:59]
	v_mul_f64 v[2:3], v[228:229], v[2:3]
	v_fma_f64 v[6:7], v[226:227], v[62:63], -v[2:3]
	ds_read_b128 v[70:73], v232 offset:1792
	v_mul_f64 v[82:83], v[244:245], v[88:89]
	v_fma_f64 v[0:1], v[242:243], v[92:93], -v[82:83]
	v_mul_f64 v[88:89], v[248:249], v[90:91]
	ds_read_b128 v[90:93], v232 offset:1856
	v_fma_f64 v[250:251], v[246:247], v[98:99], -v[88:89]
	v_mul_f64 v[94:95], v[254:255], v[94:95]
	v_fma_f64 v[252:253], v[252:253], v[96:97], -v[94:95]
	ds_read_b128 v[94:97], v232 offset:1888
	v_add_f64 v[22:23], v[22:23], 0
	v_add_f64 v[18:19], v[22:23], v[18:19]
	;; [unrolled: 1-line block ×13, first 2 shown]
	ds_read_b128 v[58:61], v232 offset:1744
	ds_read_b128 v[82:85], v232 offset:1840
	s_waitcnt vmcnt(57) lgkmcnt(6)
	v_mul_f64 v[52:53], v[38:39], v[162:163]
	s_waitcnt vmcnt(55)
	v_fmac_f64_e32 v[52:53], v[40:41], v[164:165]
	v_add_f64 v[4:5], v[4:5], v[52:53]
	v_mul_f64 v[52:53], v[220:221], v[198:199]
	v_fma_f64 v[198:199], v[218:219], v[50:51], -v[52:53]
	ds_read_b128 v[50:53], v232 offset:1712
	s_waitcnt vmcnt(53) lgkmcnt(6)
	v_mul_f64 v[54:55], v[46:47], v[158:159]
	s_waitcnt vmcnt(52)
	v_fmac_f64_e32 v[54:55], v[48:49], v[166:167]
	v_add_f64 v[4:5], v[4:5], v[54:55]
	ds_read_b128 v[54:57], v232 offset:1728
	s_waitcnt vmcnt(48) lgkmcnt(1)
	v_mul_f64 v[64:65], v[50:51], v[174:175]
	s_waitcnt vmcnt(46)
	v_fmac_f64_e32 v[64:65], v[52:53], v[176:177]
	v_add_f64 v[4:5], v[4:5], v[64:65]
	ds_read_b128 v[62:65], v232 offset:1760
	s_waitcnt lgkmcnt(1)
	v_mul_f64 v[66:67], v[54:55], v[160:161]
	s_waitcnt vmcnt(44)
	v_fmac_f64_e32 v[66:67], v[56:57], v[172:173]
	v_add_f64 v[2:3], v[4:5], v[66:67]
	ds_read_b128 v[66:69], v232 offset:1776
	s_waitcnt vmcnt(40)
	v_mul_f64 v[4:5], v[58:59], v[178:179]
	s_waitcnt vmcnt(38)
	v_fmac_f64_e32 v[4:5], v[60:61], v[180:181]
	v_add_f64 v[2:3], v[2:3], v[4:5]
	s_waitcnt vmcnt(37) lgkmcnt(1)
	v_mul_f64 v[4:5], v[62:63], v[168:169]
	s_waitcnt vmcnt(36)
	v_fmac_f64_e32 v[4:5], v[64:65], v[170:171]
	v_add_f64 v[2:3], v[2:3], v[4:5]
	v_mul_f64 v[4:5], v[236:237], v[100:101]
	v_fma_f64 v[24:25], v[234:235], v[102:103], -v[4:5]
	s_waitcnt vmcnt(34) lgkmcnt(0)
	v_mul_f64 v[4:5], v[66:67], v[182:183]
	s_waitcnt vmcnt(32)
	v_fmac_f64_e32 v[4:5], v[68:69], v[184:185]
	v_add_f64 v[2:3], v[2:3], v[4:5]
	v_mul_f64 v[4:5], v[240:241], v[104:105]
	v_fma_f64 v[106:107], v[238:239], v[106:107], -v[4:5]
	ds_read_b128 v[234:237], v232 offset:1808
	s_waitcnt vmcnt(29)
	v_mul_f64 v[4:5], v[70:71], v[188:189]
	s_waitcnt vmcnt(28)
	v_fmac_f64_e32 v[4:5], v[72:73], v[190:191]
	v_add_f64 v[86:87], v[2:3], v[4:5]
	ds_read_b128 v[2:5], v232 offset:1824
	s_waitcnt vmcnt(25) lgkmcnt(1)
	v_mul_f64 v[28:29], v[234:235], v[192:193]
	s_waitcnt vmcnt(23)
	v_fmac_f64_e32 v[28:29], v[236:237], v[26:27]
	v_add_f64 v[28:29], v[86:87], v[28:29]
	v_add_f64 v[8:9], v[8:9], v[198:199]
	s_waitcnt vmcnt(22) lgkmcnt(0)
	v_mul_f64 v[86:87], v[2:3], v[186:187]
	s_waitcnt vmcnt(20)
	v_fmac_f64_e32 v[86:87], v[4:5], v[196:197]
	v_add_f64 v[28:29], v[28:29], v[86:87]
	s_waitcnt vmcnt(18)
	v_mul_f64 v[86:87], v[82:83], v[194:195]
	s_waitcnt vmcnt(16)
	v_fmac_f64_e32 v[86:87], v[84:85], v[200:201]
	v_add_f64 v[28:29], v[28:29], v[86:87]
	ds_read_b128 v[86:89], v232 offset:1872
	s_waitcnt vmcnt(13)
	v_mul_f64 v[98:99], v[90:91], v[204:205]
	s_waitcnt vmcnt(12)
	v_fmac_f64_e32 v[98:99], v[92:93], v[206:207]
	v_add_f64 v[28:29], v[28:29], v[98:99]
	v_add_f64 v[8:9], v[8:9], v[230:231]
	s_waitcnt vmcnt(9) lgkmcnt(0)
	v_mul_f64 v[98:99], v[86:87], v[210:211]
	s_waitcnt vmcnt(7)
	v_fmac_f64_e32 v[98:99], v[88:89], v[212:213]
	v_add_f64 v[28:29], v[28:29], v[98:99]
	s_waitcnt vmcnt(5)
	v_mul_f64 v[98:99], v[94:95], v[202:203]
	s_waitcnt vmcnt(4)
	v_fmac_f64_e32 v[98:99], v[96:97], v[80:81]
	v_add_f64 v[28:29], v[28:29], v[98:99]
	ds_read_b128 v[98:101], v232 offset:1904
	buffer_load_dword v218, off, s[0:3], 0 offset:952
	buffer_load_dword v219, off, s[0:3], 0 offset:956
	;; [unrolled: 1-line block ×4, first 2 shown]
	v_add_f64 v[6:7], v[8:9], v[6:7]
	v_add_f64 v[6:7], v[6:7], v[24:25]
	;; [unrolled: 1-line block ×3, first 2 shown]
	s_waitcnt vmcnt(6) lgkmcnt(0)
	v_mul_f64 v[102:103], v[98:99], v[214:215]
	s_waitcnt vmcnt(4)
	v_fmac_f64_e32 v[102:103], v[100:101], v[216:217]
	v_add_f64 v[28:29], v[28:29], v[102:103]
	ds_read_b128 v[102:105], v232 offset:1920
	buffer_load_dword v223, off, s[0:3], 0 offset:972
	buffer_load_dword v222, off, s[0:3], 0 offset:968
	buffer_load_dword v225, off, s[0:3], 0 offset:964
	buffer_load_dword v224, off, s[0:3], 0 offset:960
	ds_read_b128 v[238:241], v232 offset:1936
	buffer_load_dword v226, off, s[0:3], 0 offset:984
	buffer_load_dword v227, off, s[0:3], 0 offset:988
	;; [unrolled: 1-line block ×4, first 2 shown]
	v_add_f64 v[254:255], v[6:7], v[0:1]
	v_accvgpr_read_b32 v6, a188
	v_accvgpr_read_b32 v7, a189
	;; [unrolled: 1-line block ×3, first 2 shown]
	v_add_f64 v[0:1], v[254:255], v[250:251]
	v_mul_f64 v[6:7], v[144:145], v[6:7]
	v_accvgpr_read_b32 v9, a191
	v_add_f64 v[0:1], v[0:1], v[252:253]
	v_fma_f64 v[6:7], v[142:143], v[8:9], -v[6:7]
	v_add_f64 v[0:1], v[0:1], v[6:7]
	v_accvgpr_read_b32 v6, a192
	v_accvgpr_read_b32 v7, a193
	v_accvgpr_read_b32 v8, a194
	v_mul_f64 v[6:7], v[140:141], v[6:7]
	v_accvgpr_read_b32 v9, a195
	v_fma_f64 v[6:7], v[138:139], v[8:9], -v[6:7]
	v_add_f64 v[0:1], v[0:1], v[6:7]
	v_accvgpr_read_b32 v6, a196
	v_accvgpr_read_b32 v7, a197
	v_accvgpr_read_b32 v8, a198
	v_mul_f64 v[6:7], v[136:137], v[6:7]
	v_accvgpr_read_b32 v9, a199
	v_fma_f64 v[6:7], v[134:135], v[8:9], -v[6:7]
	v_add_f64 v[0:1], v[0:1], v[6:7]
	v_accvgpr_read_b32 v6, a200
	v_accvgpr_read_b32 v7, a201
	v_accvgpr_read_b32 v8, a202
	v_mul_f64 v[6:7], v[132:133], v[6:7]
	v_accvgpr_read_b32 v9, a203
	v_fma_f64 v[6:7], v[130:131], v[8:9], -v[6:7]
	v_add_f64 v[0:1], v[0:1], v[6:7]
	v_mul_f64 v[6:7], v[128:129], v[146:147]
	v_fma_f64 v[6:7], v[126:127], v[148:149], -v[6:7]
	v_add_f64 v[0:1], v[0:1], v[6:7]
	v_accvgpr_read_b32 v6, a204
	v_accvgpr_read_b32 v7, a205
	v_accvgpr_read_b32 v8, a206
	v_mul_f64 v[6:7], v[124:125], v[6:7]
	v_accvgpr_read_b32 v9, a207
	v_fma_f64 v[6:7], v[122:123], v[8:9], -v[6:7]
	v_add_f64 v[0:1], v[0:1], v[6:7]
	v_mul_f64 v[6:7], v[120:121], v[150:151]
	v_fma_f64 v[6:7], v[118:119], v[152:153], -v[6:7]
	v_add_f64 v[0:1], v[0:1], v[6:7]
	v_accvgpr_read_b32 v6, a208
	v_accvgpr_read_b32 v7, a209
	v_accvgpr_read_b32 v8, a210
	v_mul_f64 v[6:7], v[32:33], v[6:7]
	v_accvgpr_read_b32 v9, a211
	;; [unrolled: 10-line block ×3, first 2 shown]
	v_fma_f64 v[6:7], v[42:43], v[8:9], -v[6:7]
	v_add_f64 v[0:1], v[0:1], v[6:7]
	v_mul_f64 v[6:7], v[40:41], v[162:163]
	v_fma_f64 v[6:7], v[38:39], v[164:165], -v[6:7]
	v_add_f64 v[0:1], v[0:1], v[6:7]
	v_mul_f64 v[6:7], v[48:49], v[158:159]
	v_fma_f64 v[6:7], v[46:47], v[166:167], -v[6:7]
	v_add_f64 v[0:1], v[0:1], v[6:7]
	s_waitcnt vmcnt(10) lgkmcnt(1)
	v_mul_f64 v[110:111], v[102:103], v[218:219]
	v_mul_f64 v[6:7], v[52:53], v[174:175]
	s_waitcnt vmcnt(8)
	v_fmac_f64_e32 v[110:111], v[104:105], v[220:221]
	v_add_f64 v[28:29], v[28:29], v[110:111]
	v_fma_f64 v[6:7], v[50:51], v[176:177], -v[6:7]
	v_add_f64 v[0:1], v[0:1], v[6:7]
	v_mul_f64 v[6:7], v[56:57], v[160:161]
	v_fma_f64 v[6:7], v[54:55], v[172:173], -v[6:7]
	s_waitcnt vmcnt(6) lgkmcnt(0)
	v_mul_f64 v[110:111], v[238:239], v[222:223]
	v_add_f64 v[0:1], v[0:1], v[6:7]
	s_waitcnt vmcnt(4)
	v_fmac_f64_e32 v[110:111], v[240:241], v[224:225]
	v_add_f64 v[28:29], v[28:29], v[110:111]
	ds_read_b128 v[110:113], v232 offset:1952
	buffer_load_dword v243, off, s[0:3], 0 offset:1004
	buffer_load_dword v242, off, s[0:3], 0 offset:1000
	;; [unrolled: 1-line block ×4, first 2 shown]
	v_mul_f64 v[6:7], v[60:61], v[178:179]
	v_fma_f64 v[6:7], v[58:59], v[180:181], -v[6:7]
	v_add_f64 v[0:1], v[0:1], v[6:7]
	s_waitcnt vmcnt(6) lgkmcnt(0)
	v_mul_f64 v[114:115], v[110:111], v[226:227]
	s_waitcnt vmcnt(4)
	v_fmac_f64_e32 v[114:115], v[112:113], v[228:229]
	v_add_f64 v[28:29], v[28:29], v[114:115]
	ds_read_b128 v[114:117], v232 offset:1968
	buffer_load_dword v248, off, s[0:3], 0 offset:192
	buffer_load_dword v249, off, s[0:3], 0 offset:196
	;; [unrolled: 1-line block ×4, first 2 shown]
	v_mul_f64 v[6:7], v[64:65], v[168:169]
	v_fma_f64 v[6:7], v[62:63], v[170:171], -v[6:7]
	v_add_f64 v[0:1], v[0:1], v[6:7]
	v_mul_f64 v[6:7], v[68:69], v[182:183]
	v_fma_f64 v[6:7], v[66:67], v[184:185], -v[6:7]
	v_add_f64 v[0:1], v[0:1], v[6:7]
	;; [unrolled: 3-line block ×3, first 2 shown]
	v_mul_f64 v[6:7], v[236:237], v[192:193]
	v_fma_f64 v[6:7], v[234:235], v[26:27], -v[6:7]
	v_mul_f64 v[4:5], v[4:5], v[186:187]
	v_add_f64 v[0:1], v[0:1], v[6:7]
	v_fma_f64 v[2:3], v[2:3], v[196:197], -v[4:5]
	v_add_f64 v[0:1], v[0:1], v[2:3]
	v_mul_f64 v[2:3], v[84:85], v[194:195]
	v_fma_f64 v[2:3], v[82:83], v[200:201], -v[2:3]
	v_add_f64 v[0:1], v[0:1], v[2:3]
	v_mul_f64 v[2:3], v[92:93], v[204:205]
	;; [unrolled: 3-line block ×8, first 2 shown]
	v_fma_f64 v[2:3], v[110:111], v[228:229], -v[2:3]
	v_add_f64 v[0:1], v[0:1], v[2:3]
	s_waitcnt vmcnt(6) lgkmcnt(0)
	v_mul_f64 v[232:233], v[114:115], v[242:243]
	v_mul_f64 v[2:3], v[116:117], v[242:243]
	s_waitcnt vmcnt(4)
	v_fmac_f64_e32 v[232:233], v[116:117], v[244:245]
	v_add_f64 v[232:233], v[28:29], v[232:233]
	v_fma_f64 v[2:3], v[114:115], v[244:245], -v[2:3]
	v_add_f64 v[0:1], v[0:1], v[2:3]
	s_waitcnt vmcnt(2)
	v_add_f64 v[0:1], v[248:249], -v[0:1]
	s_waitcnt vmcnt(0)
	v_add_f64 v[2:3], v[246:247], -v[232:233]
	v_accvgpr_read_b32 v233, a185
	v_cmp_lt_u32_e32 vcc, 10, v233
	buffer_store_dword v1, off, s[0:3], 0 offset:196
	buffer_store_dword v0, off, s[0:3], 0 offset:192
	;; [unrolled: 1-line block ×4, first 2 shown]
	s_and_saveexec_b64 s[4:5], vcc
	s_cbranch_execz .LBB61_377
; %bb.376:
	v_accvgpr_read_b32 v3, a175
	buffer_load_dword v0, v3, s[0:3], 0 offen
	buffer_load_dword v1, v3, s[0:3], 0 offen offset:4
	buffer_load_dword v2, v3, s[0:3], 0 offen offset:8
	s_nop 0
	buffer_load_dword v3, v3, s[0:3], 0 offen offset:12
	v_mov_b32_e32 v4, 0
	v_accvgpr_read_b32 v5, a186
	buffer_store_dword v4, off, s[0:3], 0 offset:176
	buffer_store_dword v4, off, s[0:3], 0 offset:180
	;; [unrolled: 1-line block ×4, first 2 shown]
	s_waitcnt vmcnt(4)
	ds_write_b128 v5, v[0:3]
.LBB61_377:
	s_or_b64 exec, exec, s[4:5]
	s_waitcnt lgkmcnt(0)
	; wave barrier
	s_waitcnt lgkmcnt(0)
	buffer_load_dword v30, off, s[0:3], 0 offset:192
	buffer_load_dword v31, off, s[0:3], 0 offset:196
	;; [unrolled: 1-line block ×36, first 2 shown]
	v_mov_b32_e32 v232, 0
	buffer_load_dword v67, off, s[0:3], 0 offset:364
	buffer_load_dword v66, off, s[0:3], 0 offset:360
	;; [unrolled: 1-line block ×18, first 2 shown]
	ds_read_b128 v[114:117], v232 offset:1168
	ds_read_b128 v[156:159], v232 offset:1184
	;; [unrolled: 1-line block ×9, first 2 shown]
	v_cmp_lt_u32_e32 vcc, 9, v233
	s_waitcnt vmcnt(50) lgkmcnt(8)
	v_mul_f64 v[0:1], v[114:115], v[32:33]
	v_fmac_f64_e32 v[0:1], v[116:117], v[30:31]
	v_add_f64 v[0:1], v[0:1], 0
	v_mul_f64 v[32:33], v[116:117], v[32:33]
	s_waitcnt vmcnt(46) lgkmcnt(7)
	v_mul_f64 v[2:3], v[156:157], v[38:39]
	v_fmac_f64_e32 v[2:3], v[158:159], v[36:37]
	v_add_f64 v[0:1], v[0:1], v[2:3]
	buffer_load_dword v109, off, s[0:3], 0 offset:420
	buffer_load_dword v108, off, s[0:3], 0 offset:416
	;; [unrolled: 1-line block ×32, first 2 shown]
	s_waitcnt vmcnt(62) lgkmcnt(6)
	v_mul_f64 v[4:5], v[166:167], v[34:35]
	s_waitcnt lgkmcnt(4)
	v_mul_f64 v[8:9], v[174:175], v[40:41]
	v_fmac_f64_e32 v[8:9], v[176:177], v[42:43]
	v_mul_f64 v[38:39], v[158:159], v[38:39]
	v_mul_f64 v[6:7], v[170:171], v[44:45]
	v_fma_f64 v[210:211], v[156:157], v[36:37], -v[38:39]
	s_waitcnt lgkmcnt(2)
	v_mul_f64 v[12:13], v[182:183], v[48:49]
	v_mul_f64 v[34:35], v[168:169], v[34:35]
	v_fmac_f64_e32 v[12:13], v[184:185], v[50:51]
	v_mul_f64 v[10:11], v[178:179], v[56:57]
	s_waitcnt lgkmcnt(1)
	v_mul_f64 v[14:15], v[186:187], v[52:53]
	s_waitcnt vmcnt(60)
	v_fmac_f64_e32 v[4:5], v[168:169], v[62:63]
	v_add_f64 v[0:1], v[0:1], v[4:5]
	s_waitcnt vmcnt(58)
	v_fmac_f64_e32 v[6:7], v[172:173], v[60:61]
	v_add_f64 v[0:1], v[0:1], v[6:7]
	v_add_f64 v[0:1], v[0:1], v[8:9]
	s_waitcnt vmcnt(56)
	v_fmac_f64_e32 v[10:11], v[180:181], v[58:59]
	v_add_f64 v[0:1], v[0:1], v[10:11]
	;; [unrolled: 4-line block ×3, first 2 shown]
	s_waitcnt vmcnt(0)
	v_pk_mov_b32 v[4:5], v[2:3], v[2:3] op_sel:[0,1]
	buffer_load_dword v3, off, s[0:3], 0 offset:548
	buffer_load_dword v2, off, s[0:3], 0 offset:544
	v_accvgpr_write_b32 a189, v5
	v_accvgpr_write_b32 a188, v4
	s_waitcnt vmcnt(0)
	v_pk_mov_b32 v[8:9], v[2:3], v[2:3] op_sel:[0,1]
	buffer_load_dword v95, off, s[0:3], 0 offset:540
	buffer_load_dword v94, off, s[0:3], 0 offset:536
	;; [unrolled: 1-line block ×6, first 2 shown]
	v_accvgpr_write_b32 a191, v9
	v_accvgpr_write_b32 a190, v8
	s_waitcnt vmcnt(0)
	v_pk_mov_b32 v[12:13], v[2:3], v[2:3] op_sel:[0,1]
	buffer_load_dword v3, off, s[0:3], 0 offset:580
	buffer_load_dword v2, off, s[0:3], 0 offset:576
	v_accvgpr_write_b32 a197, v13
	v_accvgpr_write_b32 a196, v12
	s_waitcnt vmcnt(0)
	v_pk_mov_b32 v[16:17], v[2:3], v[2:3] op_sel:[0,1]
	buffer_load_dword v3, off, s[0:3], 0 offset:572
	buffer_load_dword v2, off, s[0:3], 0 offset:568
	;; [unrolled: 6-line block ×11, first 2 shown]
	ds_read_b128 v[194:197], v232 offset:1312
	ds_read_b128 v[198:201], v232 offset:1328
	;; [unrolled: 1-line block ×8, first 2 shown]
	buffer_load_dword v147, off, s[0:3], 0 offset:684
	buffer_load_dword v149, off, s[0:3], 0 offset:668
	;; [unrolled: 1-line block ×8, first 2 shown]
	ds_read_b128 v[234:237], v232 offset:1440
	ds_read_b128 v[238:241], v232 offset:1456
	;; [unrolled: 1-line block ×10, first 2 shown]
	s_waitcnt lgkmcnt(5)
	v_mul_f64 v[6:7], v[250:251], v[94:95]
	v_fmac_f64_e32 v[6:7], v[252:253], v[96:97]
	s_waitcnt lgkmcnt(4)
	v_mul_f64 v[10:11], v[118:119], v[4:5]
	s_waitcnt lgkmcnt(3)
	v_mul_f64 v[14:15], v[122:123], v[18:19]
	v_fmac_f64_e32 v[10:11], v[120:121], v[8:9]
	v_fmac_f64_e32 v[14:15], v[124:125], v[26:27]
	s_waitcnt lgkmcnt(1)
	v_mul_f64 v[26:27], v[130:131], v[138:139]
	v_mul_f64 v[18:19], v[126:127], v[12:13]
	v_fmac_f64_e32 v[26:27], v[132:133], v[140:141]
	ds_read_b128 v[138:141], v232 offset:1600
	v_fmac_f64_e32 v[18:19], v[128:129], v[16:17]
	v_accvgpr_write_b32 a209, v143
	v_accvgpr_write_b32 a208, v142
	v_mul_f64 v[4:5], v[180:181], v[56:57]
	v_mul_f64 v[94:95], v[252:253], v[94:95]
	v_fma_f64 v[250:251], v[250:251], v[96:97], -v[94:95]
	s_waitcnt vmcnt(8)
	v_pk_mov_b32 v[144:145], v[2:3], v[2:3] op_sel:[0,1]
	v_mul_f64 v[2:3], v[190:191], v[46:47]
	v_fmac_f64_e32 v[2:3], v[192:193], v[64:65]
	v_add_f64 v[0:1], v[0:1], v[2:3]
	v_mul_f64 v[2:3], v[194:195], v[70:71]
	v_fmac_f64_e32 v[2:3], v[196:197], v[72:73]
	v_add_f64 v[0:1], v[0:1], v[2:3]
	;; [unrolled: 3-line block ×13, first 2 shown]
	v_add_f64 v[0:1], v[0:1], v[6:7]
	v_add_f64 v[0:1], v[0:1], v[10:11]
	;; [unrolled: 1-line block ×5, first 2 shown]
	s_waitcnt lgkmcnt(1)
	v_mul_f64 v[26:27], v[134:135], v[20:21]
	v_fmac_f64_e32 v[26:27], v[136:137], v[22:23]
	v_add_f64 v[0:1], v[0:1], v[26:27]
	s_waitcnt lgkmcnt(0)
	v_mul_f64 v[26:27], v[138:139], v[142:143]
	v_accvgpr_write_b32 a211, v145
	v_fmac_f64_e32 v[26:27], v[140:141], v[144:145]
	v_accvgpr_write_b32 a210, v144
	ds_read_b128 v[142:145], v232 offset:1616
	v_add_f64 v[0:1], v[0:1], v[26:27]
	v_fma_f64 v[26:27], v[114:115], v[30:31], -v[32:33]
	ds_read_b128 v[30:33], v232 offset:1632
	buffer_load_dword v155, off, s[0:3], 0 offset:716
	buffer_load_dword v154, off, s[0:3], 0 offset:712
	;; [unrolled: 1-line block ×8, first 2 shown]
	s_waitcnt lgkmcnt(1)
	v_mul_f64 v[114:115], v[142:143], v[24:25]
	v_fmac_f64_e32 v[114:115], v[144:145], v[28:29]
	v_add_f64 v[0:1], v[0:1], v[114:115]
	v_fma_f64 v[114:115], v[166:167], v[62:63], -v[34:35]
	buffer_load_dword v158, off, s[0:3], 0 offset:744
	buffer_load_dword v163, off, s[0:3], 0 offset:732
	;; [unrolled: 1-line block ×5, first 2 shown]
	v_mul_f64 v[34:35], v[172:173], v[44:45]
	v_fma_f64 v[116:117], v[170:171], v[60:61], -v[34:35]
	ds_read_b128 v[34:37], v232 offset:1648
	s_waitcnt vmcnt(18) lgkmcnt(1)
	v_mul_f64 v[38:39], v[30:31], v[148:149]
	s_waitcnt vmcnt(16)
	v_fmac_f64_e32 v[38:39], v[32:33], v[152:153]
	buffer_load_dword v168, off, s[0:3], 0 offset:736
	buffer_load_dword v159, off, s[0:3], 0 offset:748
	;; [unrolled: 1-line block ×3, first 2 shown]
	v_add_f64 v[0:1], v[0:1], v[38:39]
	s_waitcnt vmcnt(18) lgkmcnt(0)
	v_mul_f64 v[38:39], v[34:35], v[146:147]
	s_waitcnt vmcnt(16)
	v_fmac_f64_e32 v[38:39], v[36:37], v[150:151]
	v_add_f64 v[60:61], v[0:1], v[38:39]
	v_mul_f64 v[0:1], v[176:177], v[40:41]
	v_fma_f64 v[24:25], v[174:175], v[42:43], -v[0:1]
	buffer_load_dword v171, off, s[0:3], 0 offset:780
	buffer_load_dword v173, off, s[0:3], 0 offset:764
	;; [unrolled: 1-line block ×8, first 2 shown]
	v_fma_f64 v[22:23], v[178:179], v[58:59], -v[4:5]
	ds_read_b128 v[38:41], v232 offset:1664
	buffer_load_dword v179, off, s[0:3], 0 offset:796
	buffer_load_dword v178, off, s[0:3], 0 offset:792
	;; [unrolled: 1-line block ×4, first 2 shown]
	v_mul_f64 v[4:5], v[184:185], v[48:49]
	v_fma_f64 v[20:21], v[182:183], v[50:51], -v[4:5]
	v_mul_f64 v[4:5], v[188:189], v[52:53]
	v_fma_f64 v[18:19], v[186:187], v[54:55], -v[4:5]
	buffer_load_dword v183, off, s[0:3], 0 offset:812
	buffer_load_dword v182, off, s[0:3], 0 offset:808
	;; [unrolled: 1-line block ×8, first 2 shown]
	v_mul_f64 v[4:5], v[192:193], v[46:47]
	v_fma_f64 v[16:17], v[190:191], v[64:65], -v[4:5]
	buffer_load_dword v190, off, s[0:3], 0 offset:840
	buffer_load_dword v192, off, s[0:3], 0 offset:832
	;; [unrolled: 1-line block ×4, first 2 shown]
	v_mul_f64 v[4:5], v[196:197], v[70:71]
	v_fma_f64 v[14:15], v[194:195], v[72:73], -v[4:5]
	v_mul_f64 v[4:5], v[200:201], v[66:67]
	buffer_load_dword v195, off, s[0:3], 0 offset:860
	buffer_load_dword v194, off, s[0:3], 0 offset:856
	;; [unrolled: 1-line block ×4, first 2 shown]
	v_fma_f64 v[12:13], v[198:199], v[68:69], -v[4:5]
	v_mul_f64 v[4:5], v[204:205], v[100:101]
	v_fma_f64 v[100:101], v[202:203], v[104:105], -v[4:5]
	buffer_load_dword v201, off, s[0:3], 0 offset:876
	buffer_load_dword v200, off, s[0:3], 0 offset:872
	;; [unrolled: 1-line block ×4, first 2 shown]
	v_mul_f64 v[4:5], v[208:209], v[92:93]
	v_fma_f64 v[10:11], v[206:207], v[76:77], -v[4:5]
	buffer_load_dword v199, off, s[0:3], 0 offset:908
	buffer_load_dword v205, off, s[0:3], 0 offset:892
	;; [unrolled: 1-line block ×12, first 2 shown]
	ds_read_b128 v[42:45], v232 offset:1680
	v_mul_f64 v[46:47], v[216:217], v[230:231]
	v_fma_f64 v[254:255], v[214:215], v[254:255], -v[46:47]
	ds_read_b128 v[46:49], v232 offset:1696
	v_mul_f64 v[54:55], v[220:221], v[74:75]
	v_fma_f64 v[230:231], v[218:219], v[108:109], -v[54:55]
	ds_read_b128 v[54:57], v232 offset:1728
	v_mul_f64 v[58:59], v[224:225], v[110:111]
	v_fma_f64 v[8:9], v[222:223], v[112:113], -v[58:59]
	v_mul_f64 v[66:67], v[228:229], v[90:91]
	v_fma_f64 v[6:7], v[226:227], v[98:99], -v[66:67]
	ds_read_b128 v[66:69], v232 offset:1776
	v_mul_f64 v[70:71], v[236:237], v[102:103]
	v_fma_f64 v[4:5], v[234:235], v[106:107], -v[70:71]
	v_mul_f64 v[78:79], v[240:241], v[78:79]
	v_fma_f64 v[2:3], v[238:239], v[80:81], -v[78:79]
	v_mul_f64 v[82:83], v[244:245], v[82:83]
	ds_read_b128 v[70:73], v232 offset:1792
	v_fma_f64 v[0:1], v[242:243], v[84:85], -v[82:83]
	ds_read_b128 v[82:85], v232 offset:1840
	v_mul_f64 v[86:87], v[248:249], v[86:87]
	v_fma_f64 v[246:247], v[246:247], v[88:89], -v[86:87]
	ds_read_b128 v[86:89], v232 offset:1856
	buffer_load_dword v214, off, s[0:3], 0 offset:936
	v_add_f64 v[26:27], v[26:27], 0
	v_add_f64 v[26:27], v[26:27], v[210:211]
	;; [unrolled: 1-line block ×4, first 2 shown]
	ds_read_b128 v[78:81], v232 offset:1824
	v_add_f64 v[24:25], v[26:27], v[24:25]
	v_add_f64 v[22:23], v[24:25], v[22:23]
	;; [unrolled: 1-line block ×6, first 2 shown]
	s_waitcnt vmcnt(55) lgkmcnt(8)
	v_mul_f64 v[50:51], v[38:39], v[160:161]
	s_waitcnt lgkmcnt(7)
	v_mul_f64 v[52:53], v[42:43], v[154:155]
	s_waitcnt vmcnt(53)
	v_fmac_f64_e32 v[50:51], v[40:41], v[164:165]
	v_add_f64 v[50:51], v[60:61], v[50:51]
	v_fmac_f64_e32 v[52:53], v[44:45], v[156:157]
	v_add_f64 v[50:51], v[50:51], v[52:53]
	s_waitcnt vmcnt(50) lgkmcnt(6)
	v_mul_f64 v[52:53], v[46:47], v[162:163]
	ds_read_b128 v[58:61], v232 offset:1744
	s_waitcnt vmcnt(48)
	v_fmac_f64_e32 v[52:53], v[48:49], v[166:167]
	v_add_f64 v[62:63], v[50:51], v[52:53]
	ds_read_b128 v[50:53], v232 offset:1712
	ds_read_b128 v[94:97], v232 offset:1888
	v_add_f64 v[12:13], v[14:15], v[12:13]
	v_add_f64 v[12:13], v[12:13], v[100:101]
	;; [unrolled: 1-line block ×3, first 2 shown]
	s_waitcnt vmcnt(46) lgkmcnt(1)
	v_mul_f64 v[64:65], v[50:51], v[158:159]
	s_waitcnt vmcnt(45)
	v_fmac_f64_e32 v[64:65], v[52:53], v[168:169]
	v_add_f64 v[62:63], v[62:63], v[64:65]
	s_waitcnt vmcnt(42)
	v_mul_f64 v[64:65], v[54:55], v[172:173]
	s_waitcnt vmcnt(40)
	v_fmac_f64_e32 v[64:65], v[56:57], v[176:177]
	v_add_f64 v[62:63], v[62:63], v[64:65]
	s_waitcnt vmcnt(39)
	v_mul_f64 v[64:65], v[58:59], v[170:171]
	s_waitcnt vmcnt(37)
	v_fmac_f64_e32 v[64:65], v[60:61], v[174:175]
	v_add_f64 v[74:75], v[62:63], v[64:65]
	ds_read_b128 v[62:65], v232 offset:1760
	v_add_f64 v[10:11], v[10:11], v[254:255]
	v_add_f64 v[10:11], v[10:11], v[230:231]
	;; [unrolled: 1-line block ×4, first 2 shown]
	s_waitcnt vmcnt(35) lgkmcnt(0)
	v_mul_f64 v[76:77], v[62:63], v[178:179]
	s_waitcnt vmcnt(33)
	v_fmac_f64_e32 v[76:77], v[64:65], v[180:181]
	v_add_f64 v[74:75], v[74:75], v[76:77]
	s_waitcnt vmcnt(31)
	v_mul_f64 v[76:77], v[66:67], v[182:183]
	s_waitcnt vmcnt(29)
	v_fmac_f64_e32 v[76:77], v[68:69], v[186:187]
	v_add_f64 v[74:75], v[74:75], v[76:77]
	s_waitcnt vmcnt(27)
	v_mul_f64 v[76:77], v[70:71], v[184:185]
	s_waitcnt vmcnt(25)
	v_fmac_f64_e32 v[76:77], v[72:73], v[188:189]
	v_add_f64 v[90:91], v[74:75], v[76:77]
	ds_read_b128 v[74:77], v232 offset:1808
	s_waitcnt vmcnt(10)
	v_mul_f64 v[102:103], v[86:87], v[204:205]
	s_waitcnt vmcnt(8)
	v_fmac_f64_e32 v[102:103], v[88:89], v[28:29]
	v_add_f64 v[4:5], v[6:7], v[4:5]
	v_add_f64 v[2:3], v[4:5], v[2:3]
	s_waitcnt lgkmcnt(0)
	v_mul_f64 v[92:93], v[74:75], v[190:191]
	v_fmac_f64_e32 v[92:93], v[76:77], v[192:193]
	v_add_f64 v[90:91], v[90:91], v[92:93]
	v_mul_f64 v[92:93], v[78:79], v[194:195]
	v_fmac_f64_e32 v[92:93], v[80:81], v[196:197]
	v_add_f64 v[90:91], v[90:91], v[92:93]
	v_mul_f64 v[92:93], v[82:83], v[200:201]
	v_fmac_f64_e32 v[92:93], v[84:85], v[202:203]
	v_add_f64 v[98:99], v[90:91], v[92:93]
	ds_read_b128 v[90:93], v232 offset:1872
	buffer_load_dword v216, off, s[0:3], 0 offset:928
	buffer_load_dword v215, off, s[0:3], 0 offset:940
	;; [unrolled: 1-line block ×3, first 2 shown]
	ds_read_b128 v[238:241], v232 offset:1904
	buffer_load_dword v219, off, s[0:3], 0 offset:956
	buffer_load_dword v218, off, s[0:3], 0 offset:952
	;; [unrolled: 1-line block ×4, first 2 shown]
	v_add_f64 v[98:99], v[98:99], v[102:103]
	s_waitcnt vmcnt(14) lgkmcnt(1)
	v_mul_f64 v[102:103], v[90:91], v[198:199]
	s_waitcnt vmcnt(12)
	v_fmac_f64_e32 v[102:103], v[92:93], v[208:209]
	v_add_f64 v[98:99], v[98:99], v[102:103]
	s_waitcnt vmcnt(10)
	v_mul_f64 v[102:103], v[94:95], v[206:207]
	s_waitcnt vmcnt(8)
	v_fmac_f64_e32 v[102:103], v[96:97], v[212:213]
	v_add_f64 v[98:99], v[98:99], v[102:103]
	v_add_f64 v[0:1], v[2:3], v[0:1]
	;; [unrolled: 1-line block ×3, first 2 shown]
	v_accvgpr_read_b32 v2, a188
	v_accvgpr_read_b32 v3, a189
	;; [unrolled: 1-line block ×3, first 2 shown]
	v_mul_f64 v[2:3], v[120:121], v[2:3]
	v_accvgpr_read_b32 v5, a191
	v_add_f64 v[0:1], v[252:253], v[250:251]
	v_fma_f64 v[2:3], v[118:119], v[4:5], -v[2:3]
	v_add_f64 v[0:1], v[0:1], v[2:3]
	v_accvgpr_read_b32 v2, a192
	v_accvgpr_read_b32 v3, a193
	v_accvgpr_read_b32 v4, a194
	v_mul_f64 v[2:3], v[124:125], v[2:3]
	v_accvgpr_read_b32 v5, a195
	v_fma_f64 v[2:3], v[122:123], v[4:5], -v[2:3]
	v_add_f64 v[0:1], v[0:1], v[2:3]
	v_accvgpr_read_b32 v2, a196
	v_accvgpr_read_b32 v3, a197
	v_accvgpr_read_b32 v4, a198
	v_mul_f64 v[2:3], v[128:129], v[2:3]
	v_accvgpr_read_b32 v5, a199
	;; [unrolled: 7-line block ×6, first 2 shown]
	v_fma_f64 v[2:3], v[142:143], v[4:5], -v[2:3]
	v_add_f64 v[0:1], v[0:1], v[2:3]
	v_mul_f64 v[2:3], v[32:33], v[148:149]
	v_fma_f64 v[2:3], v[30:31], v[152:153], -v[2:3]
	v_add_f64 v[0:1], v[0:1], v[2:3]
	v_mul_f64 v[2:3], v[36:37], v[146:147]
	;; [unrolled: 3-line block ×6, first 2 shown]
	v_fma_f64 v[2:3], v[50:51], v[168:169], -v[2:3]
	s_waitcnt vmcnt(5) lgkmcnt(0)
	v_mul_f64 v[102:103], v[238:239], v[214:215]
	s_waitcnt vmcnt(4)
	v_fmac_f64_e32 v[102:103], v[240:241], v[216:217]
	v_add_f64 v[98:99], v[98:99], v[102:103]
	ds_read_b128 v[102:105], v232 offset:1920
	buffer_load_dword v222, off, s[0:3], 0 offset:968
	buffer_load_dword v223, off, s[0:3], 0 offset:972
	;; [unrolled: 1-line block ×4, first 2 shown]
	v_add_f64 v[0:1], v[0:1], v[2:3]
	v_mul_f64 v[2:3], v[56:57], v[172:173]
	v_fma_f64 v[2:3], v[54:55], v[176:177], -v[2:3]
	s_waitcnt vmcnt(6) lgkmcnt(0)
	v_mul_f64 v[106:107], v[102:103], v[218:219]
	s_waitcnt vmcnt(4)
	v_fmac_f64_e32 v[106:107], v[104:105], v[220:221]
	v_add_f64 v[98:99], v[98:99], v[106:107]
	ds_read_b128 v[106:109], v232 offset:1936
	buffer_load_dword v227, off, s[0:3], 0 offset:988
	buffer_load_dword v226, off, s[0:3], 0 offset:984
	;; [unrolled: 1-line block ×4, first 2 shown]
	v_add_f64 v[0:1], v[0:1], v[2:3]
	v_mul_f64 v[2:3], v[60:61], v[170:171]
	v_fma_f64 v[2:3], v[58:59], v[174:175], -v[2:3]
	v_add_f64 v[0:1], v[0:1], v[2:3]
	v_mul_f64 v[2:3], v[64:65], v[178:179]
	v_fma_f64 v[2:3], v[62:63], v[180:181], -v[2:3]
	;; [unrolled: 3-line block ×12, first 2 shown]
	v_add_f64 v[0:1], v[0:1], v[2:3]
	s_waitcnt vmcnt(6) lgkmcnt(0)
	v_mul_f64 v[110:111], v[106:107], v[222:223]
	v_mul_f64 v[2:3], v[108:109], v[222:223]
	s_waitcnt vmcnt(4)
	v_fmac_f64_e32 v[110:111], v[108:109], v[224:225]
	v_add_f64 v[98:99], v[98:99], v[110:111]
	ds_read_b128 v[110:113], v232 offset:1952
	buffer_load_dword v242, off, s[0:3], 0 offset:1000
	buffer_load_dword v243, off, s[0:3], 0 offset:1004
	;; [unrolled: 1-line block ×4, first 2 shown]
	v_fma_f64 v[2:3], v[106:107], v[224:225], -v[2:3]
	v_add_f64 v[0:1], v[0:1], v[2:3]
	s_waitcnt vmcnt(6) lgkmcnt(0)
	v_mul_f64 v[234:235], v[110:111], v[226:227]
	s_waitcnt vmcnt(4)
	v_fmac_f64_e32 v[234:235], v[112:113], v[228:229]
	v_add_f64 v[98:99], v[98:99], v[234:235]
	ds_read_b128 v[234:237], v232 offset:1968
	v_mul_f64 v[2:3], v[112:113], v[226:227]
	v_fma_f64 v[2:3], v[110:111], v[228:229], -v[2:3]
	v_add_f64 v[0:1], v[0:1], v[2:3]
	s_waitcnt vmcnt(2) lgkmcnt(0)
	v_mul_f64 v[248:249], v[234:235], v[242:243]
	v_mul_f64 v[2:3], v[236:237], v[242:243]
	s_waitcnt vmcnt(0)
	v_fmac_f64_e32 v[248:249], v[236:237], v[244:245]
	v_add_f64 v[98:99], v[98:99], v[248:249]
	buffer_load_dword v248, off, s[0:3], 0 offset:176
	buffer_load_dword v249, off, s[0:3], 0 offset:180
	;; [unrolled: 1-line block ×4, first 2 shown]
	v_fma_f64 v[2:3], v[234:235], v[244:245], -v[2:3]
	v_add_f64 v[0:1], v[0:1], v[2:3]
	s_waitcnt vmcnt(2)
	v_add_f64 v[0:1], v[248:249], -v[0:1]
	s_waitcnt vmcnt(0)
	v_add_f64 v[2:3], v[246:247], -v[98:99]
	buffer_store_dword v1, off, s[0:3], 0 offset:180
	buffer_store_dword v0, off, s[0:3], 0 offset:176
	buffer_store_dword v3, off, s[0:3], 0 offset:188
	buffer_store_dword v2, off, s[0:3], 0 offset:184
	s_and_saveexec_b64 s[4:5], vcc
	s_cbranch_execz .LBB61_379
; %bb.378:
	v_accvgpr_read_b32 v3, a176
	buffer_load_dword v0, v3, s[0:3], 0 offen
	buffer_load_dword v1, v3, s[0:3], 0 offen offset:4
	buffer_load_dword v2, v3, s[0:3], 0 offen offset:8
	s_nop 0
	buffer_load_dword v3, v3, s[0:3], 0 offen offset:12
	v_accvgpr_read_b32 v4, a186
	buffer_store_dword v232, off, s[0:3], 0 offset:160
	buffer_store_dword v232, off, s[0:3], 0 offset:164
	;; [unrolled: 1-line block ×4, first 2 shown]
	s_waitcnt vmcnt(4)
	ds_write_b128 v4, v[0:3]
.LBB61_379:
	s_or_b64 exec, exec, s[4:5]
	s_waitcnt lgkmcnt(0)
	; wave barrier
	s_waitcnt lgkmcnt(0)
	buffer_load_dword v22, off, s[0:3], 0 offset:176
	buffer_load_dword v23, off, s[0:3], 0 offset:180
	;; [unrolled: 1-line block ×36, first 2 shown]
	ds_read_b128 v[18:21], v232 offset:1152
	ds_read_b128 v[26:29], v232 offset:1168
	;; [unrolled: 1-line block ×9, first 2 shown]
	buffer_load_dword v91, off, s[0:3], 0 offset:348
	buffer_load_dword v90, off, s[0:3], 0 offset:344
	;; [unrolled: 1-line block ×19, first 2 shown]
	s_waitcnt vmcnt(51) lgkmcnt(8)
	v_mul_f64 v[0:1], v[18:19], v[24:25]
	v_fmac_f64_e32 v[0:1], v[20:21], v[22:23]
	v_add_f64 v[0:1], v[0:1], 0
	v_mul_f64 v[20:21], v[20:21], v[24:25]
	s_waitcnt vmcnt(47) lgkmcnt(7)
	v_mul_f64 v[2:3], v[26:27], v[62:63]
	v_fmac_f64_e32 v[2:3], v[28:29], v[60:61]
	s_waitcnt vmcnt(45) lgkmcnt(6)
	v_mul_f64 v[4:5], v[54:55], v[156:157]
	v_add_f64 v[0:1], v[0:1], v[2:3]
	s_waitcnt vmcnt(43) lgkmcnt(4)
	v_mul_f64 v[8:9], v[34:35], v[64:65]
	v_mul_f64 v[28:29], v[28:29], v[62:63]
	s_waitcnt vmcnt(41)
	v_fmac_f64_e32 v[8:9], v[36:37], v[66:67]
	v_fma_f64 v[24:25], v[18:19], v[22:23], -v[20:21]
	s_waitcnt vmcnt(39)
	v_mul_f64 v[6:7], v[30:31], v[68:69]
	v_mul_f64 v[36:37], v[36:37], v[64:65]
	s_waitcnt vmcnt(37) lgkmcnt(2)
	v_mul_f64 v[12:13], v[50:51], v[74:75]
	v_fma_f64 v[62:63], v[34:35], v[66:67], -v[36:37]
	s_waitcnt vmcnt(35)
	v_fmac_f64_e32 v[12:13], v[52:53], v[76:77]
	v_mul_f64 v[52:53], v[52:53], v[74:75]
	s_waitcnt vmcnt(33)
	v_mul_f64 v[10:11], v[38:39], v[80:81]
	v_add_f64 v[24:25], v[24:25], 0
	s_waitcnt vmcnt(31) lgkmcnt(1)
	v_mul_f64 v[14:15], v[46:47], v[72:73]
	s_waitcnt vmcnt(29)
	v_fmac_f64_e32 v[4:5], v[56:57], v[86:87]
	v_add_f64 v[0:1], v[0:1], v[4:5]
	s_waitcnt vmcnt(27)
	v_fmac_f64_e32 v[6:7], v[32:33], v[84:85]
	v_add_f64 v[0:1], v[0:1], v[6:7]
	;; [unrolled: 3-line block ×3, first 2 shown]
	v_add_f64 v[0:1], v[0:1], v[10:11]
	v_add_f64 v[0:1], v[0:1], v[12:13]
	buffer_load_dword v104, off, s[0:3], 0 offset:400
	buffer_load_dword v13, off, s[0:3], 0 offset:396
	;; [unrolled: 1-line block ×39, first 2 shown]
	s_waitcnt vmcnt(62)
	v_fmac_f64_e32 v[14:15], v[48:49], v[78:79]
	v_add_f64 v[0:1], v[0:1], v[14:15]
	v_mul_f64 v[32:33], v[32:33], v[68:69]
	v_mul_f64 v[40:41], v[40:41], v[80:81]
	v_mul_f64 v[48:49], v[48:49], v[72:73]
	v_fma_f64 v[186:187], v[46:47], v[78:79], -v[48:49]
	s_waitcnt vmcnt(0)
	v_pk_mov_b32 v[122:123], v[2:3], v[2:3] op_sel:[0,1]
	buffer_load_dword v3, off, s[0:3], 0 offset:564
	buffer_load_dword v2, off, s[0:3], 0 offset:560
	v_accvgpr_write_b32 a193, v123
	v_accvgpr_write_b32 a192, v122
	s_waitcnt vmcnt(0)
	v_pk_mov_b32 v[124:125], v[2:3], v[2:3] op_sel:[0,1]
	buffer_load_dword v3, off, s[0:3], 0 offset:556
	buffer_load_dword v2, off, s[0:3], 0 offset:552
	v_accvgpr_write_b32 a195, v125
	v_accvgpr_write_b32 a194, v124
	;; [unrolled: 6-line block ×10, first 2 shown]
	s_waitcnt vmcnt(0)
	v_pk_mov_b32 v[172:173], v[2:3], v[2:3] op_sel:[0,1]
	buffer_load_dword v3, off, s[0:3], 0 offset:612
	buffer_load_dword v2, off, s[0:3], 0 offset:608
	ds_read_b128 v[182:185], v232 offset:1296
	ds_read_b128 v[194:197], v232 offset:1312
	;; [unrolled: 1-line block ×9, first 2 shown]
	buffer_load_dword v5, off, s[0:3], 0 offset:652
	buffer_load_dword v4, off, s[0:3], 0 offset:648
	;; [unrolled: 1-line block ×4, first 2 shown]
	ds_read_b128 v[250:253], v232 offset:1440
	buffer_load_dword v133, off, s[0:3], 0 offset:668
	buffer_load_dword v132, off, s[0:3], 0 offset:664
	;; [unrolled: 1-line block ×8, first 2 shown]
	ds_read_b128 v[118:121], v232 offset:1456
	ds_read_b128 v[138:141], v232 offset:1520
	;; [unrolled: 1-line block ×3, first 2 shown]
	v_accvgpr_write_b32 a205, v173
	v_accvgpr_write_b32 a204, v172
	s_waitcnt lgkmcnt(7)
	v_mul_f64 v[46:47], v[236:237], v[102:103]
	s_waitcnt lgkmcnt(4)
	v_mul_f64 v[68:69], v[248:249], v[222:223]
	s_waitcnt vmcnt(12)
	v_pk_mov_b32 v[174:175], v[2:3], v[2:3] op_sel:[0,1]
	v_mul_f64 v[2:3], v[42:43], v[70:71]
	v_fmac_f64_e32 v[2:3], v[44:45], v[88:89]
	v_add_f64 v[0:1], v[0:1], v[2:3]
	v_mul_f64 v[2:3], v[182:183], v[94:95]
	v_fmac_f64_e32 v[2:3], v[184:185], v[98:99]
	v_add_f64 v[0:1], v[0:1], v[2:3]
	;; [unrolled: 3-line block ×10, first 2 shown]
	s_waitcnt lgkmcnt(3)
	v_mul_f64 v[2:3], v[250:251], v[114:115]
	v_fmac_f64_e32 v[2:3], v[252:253], v[116:117]
	s_waitcnt vmcnt(10)
	v_pk_mov_b32 v[176:177], v[4:5], v[4:5] op_sel:[0,1]
	v_add_f64 v[4:5], v[0:1], v[2:3]
	ds_read_b128 v[0:3], v232 offset:1472
	s_waitcnt lgkmcnt(3)
	v_mul_f64 v[6:7], v[118:119], v[214:215]
	v_fmac_f64_e32 v[6:7], v[120:121], v[216:217]
	v_add_f64 v[8:9], v[4:5], v[6:7]
	ds_read_b128 v[4:7], v232 offset:1488
	s_waitcnt lgkmcnt(1)
	v_mul_f64 v[10:11], v[0:1], v[106:107]
	v_fmac_f64_e32 v[10:11], v[2:3], v[110:111]
	v_add_f64 v[14:15], v[8:9], v[10:11]
	ds_read_b128 v[8:11], v232 offset:1504
	s_waitcnt lgkmcnt(1)
	v_mul_f64 v[16:17], v[4:5], v[108:109]
	v_fmac_f64_e32 v[16:17], v[6:7], v[112:113]
	v_add_f64 v[14:15], v[14:15], v[16:17]
	buffer_load_dword v155, off, s[0:3], 0 offset:700
	buffer_load_dword v154, off, s[0:3], 0 offset:696
	s_waitcnt lgkmcnt(0)
	v_mul_f64 v[16:17], v[8:9], v[96:97]
	ds_read_b128 v[146:149], v232 offset:1552
	ds_read_b128 v[142:145], v232 offset:1568
	v_fmac_f64_e32 v[16:17], v[10:11], v[100:101]
	v_add_f64 v[14:15], v[14:15], v[16:17]
	v_mul_f64 v[16:17], v[138:139], v[126:127]
	v_fmac_f64_e32 v[16:17], v[140:141], v[128:129]
	v_add_f64 v[14:15], v[14:15], v[16:17]
	v_mul_f64 v[16:17], v[134:135], v[122:123]
	ds_read_b128 v[126:129], v232 offset:1584
	v_fmac_f64_e32 v[16:17], v[136:137], v[124:125]
	ds_read_b128 v[122:125], v232 offset:1600
	s_waitcnt lgkmcnt(3)
	v_mul_f64 v[160:161], v[146:147], v[168:169]
	v_add_f64 v[158:159], v[14:15], v[16:17]
	v_fmac_f64_e32 v[160:161], v[148:149], v[170:171]
	v_add_f64 v[16:17], v[158:159], v[160:161]
	s_waitcnt lgkmcnt(2)
	v_mul_f64 v[22:23], v[142:143], v[130:131]
	v_fma_f64 v[158:159], v[26:27], v[60:61], -v[28:29]
	ds_read_b128 v[26:29], v232 offset:1616
	v_fmac_f64_e32 v[22:23], v[144:145], v[162:163]
	v_add_f64 v[16:17], v[16:17], v[22:23]
	s_waitcnt lgkmcnt(2)
	v_mul_f64 v[22:23], v[126:127], v[172:173]
	v_fmac_f64_e32 v[22:23], v[128:129], v[174:175]
	s_waitcnt lgkmcnt(1)
	v_mul_f64 v[60:61], v[122:123], v[164:165]
	v_add_f64 v[16:17], v[16:17], v[22:23]
	v_fmac_f64_e32 v[60:61], v[124:125], v[166:167]
	v_add_f64 v[60:61], v[16:17], v[60:61]
	v_mul_f64 v[16:17], v[56:57], v[156:157]
	v_fma_f64 v[56:57], v[30:31], v[84:85], -v[32:33]
	s_waitcnt lgkmcnt(0)
	v_mul_f64 v[30:31], v[26:27], v[176:177]
	s_waitcnt vmcnt(10)
	v_fmac_f64_e32 v[30:31], v[28:29], v[254:255]
	buffer_load_dword v161, off, s[0:3], 0 offset:692
	buffer_load_dword v160, off, s[0:3], 0 offset:688
	;; [unrolled: 1-line block ×9, first 2 shown]
	v_add_f64 v[60:61], v[60:61], v[30:31]
	ds_read_b128 v[30:33], v232 offset:1632
	ds_read_b128 v[34:37], v232 offset:1648
	buffer_load_dword v131, off, s[0:3], 0 offset:724
	v_accvgpr_write_b32 a207, v175
	v_accvgpr_write_b32 a206, v174
	s_waitcnt vmcnt(18) lgkmcnt(1)
	v_mul_f64 v[64:65], v[30:31], v[132:133]
	s_waitcnt vmcnt(16)
	v_fmac_f64_e32 v[64:65], v[32:33], v[230:231]
	v_add_f64 v[60:61], v[60:61], v[64:65]
	v_fma_f64 v[64:65], v[38:39], v[82:83], -v[40:41]
	ds_read_b128 v[38:41], v232 offset:1664
	buffer_load_dword v167, off, s[0:3], 0 offset:748
	buffer_load_dword v166, off, s[0:3], 0 offset:744
	;; [unrolled: 1-line block ×8, first 2 shown]
	v_accvgpr_write_b32 a213, v177
	v_accvgpr_write_b32 a212, v176
	buffer_load_dword v171, off, s[0:3], 0 offset:796
	buffer_load_dword v170, off, s[0:3], 0 offset:792
	;; [unrolled: 1-line block ×8, first 2 shown]
	v_mul_f64 v[44:45], v[44:45], v[70:71]
	v_fma_f64 v[22:23], v[42:43], v[88:89], -v[44:45]
	v_mul_f64 v[42:43], v[184:185], v[94:95]
	v_fma_f64 v[94:95], v[182:183], v[98:99], -v[42:43]
	buffer_load_dword v183, off, s[0:3], 0 offset:812
	buffer_load_dword v182, off, s[0:3], 0 offset:808
	;; [unrolled: 1-line block ×8, first 2 shown]
	v_mul_f64 v[42:43], v[196:197], v[90:91]
	v_fma_f64 v[98:99], v[194:195], v[92:93], -v[42:43]
	v_mul_f64 v[42:43], v[200:201], v[190:191]
	v_fma_f64 v[18:19], v[198:199], v[192:193], -v[42:43]
	buffer_load_dword v191, off, s[0:3], 0 offset:860
	buffer_load_dword v193, off, s[0:3], 0 offset:844
	;; [unrolled: 1-line block ×12, first 2 shown]
	v_mul_f64 v[42:43], v[208:209], v[202:203]
	v_mul_f64 v[12:13], v[212:213], v[12:13]
	v_fma_f64 v[54:55], v[54:55], v[86:87], -v[16:17]
	v_fma_f64 v[16:17], v[206:207], v[204:205], -v[42:43]
	;; [unrolled: 1-line block ×3, first 2 shown]
	buffer_load_dword v205, off, s[0:3], 0 offset:892
	buffer_load_dword v204, off, s[0:3], 0 offset:888
	;; [unrolled: 1-line block ×12, first 2 shown]
	ds_read_b128 v[42:45], v232 offset:1680
	v_fma_f64 v[12:13], v[234:235], v[104:105], -v[46:47]
	ds_read_b128 v[46:49], v232 offset:1696
	s_waitcnt vmcnt(62) lgkmcnt(3)
	v_mul_f64 v[66:67], v[34:35], v[150:151]
	v_fma_f64 v[86:87], v[50:51], v[76:77], -v[52:53]
	v_mul_f64 v[50:51], v[240:241], v[226:227]
	s_waitcnt vmcnt(60)
	v_fmac_f64_e32 v[66:67], v[36:37], v[152:153]
	v_fma_f64 v[226:227], v[238:239], v[228:229], -v[50:51]
	ds_read_b128 v[50:53], v232 offset:1712
	ds_read_b128 v[234:237], v232 offset:1728
	v_add_f64 v[60:61], v[60:61], v[66:67]
	ds_read_b128 v[238:241], v232 offset:1760
	v_fma_f64 v[246:247], v[246:247], v[224:225], -v[68:69]
	s_waitcnt vmcnt(58) lgkmcnt(5)
	v_mul_f64 v[20:21], v[38:39], v[154:155]
	v_mul_f64 v[70:71], v[252:253], v[114:115]
	v_fma_f64 v[248:249], v[250:251], v[116:117], -v[70:71]
	v_mul_f64 v[2:3], v[2:3], v[106:107]
	ds_read_b128 v[70:73], v232 offset:1792
	ds_read_b128 v[82:85], v232 offset:1840
	;; [unrolled: 1-line block ×3, first 2 shown]
	v_fma_f64 v[0:1], v[0:1], v[110:111], -v[2:3]
	v_mul_f64 v[6:7], v[6:7], v[108:109]
	v_fma_f64 v[250:251], v[4:5], v[112:113], -v[6:7]
	v_mul_f64 v[6:7], v[10:11], v[96:97]
	v_fma_f64 v[100:101], v[8:9], v[100:101], -v[6:7]
	v_add_f64 v[24:25], v[24:25], v[158:159]
	v_add_f64 v[24:25], v[24:25], v[54:55]
	;; [unrolled: 1-line block ×11, first 2 shown]
	ds_read_b128 v[6:9], v232 offset:1888
	v_add_f64 v[16:17], v[18:19], v[16:17]
	v_add_f64 v[14:15], v[16:17], v[14:15]
	;; [unrolled: 1-line block ×4, first 2 shown]
	v_accvgpr_read_b32 v14, a190
	v_accvgpr_read_b32 v15, a191
	s_waitcnt vmcnt(56)
	v_fmac_f64_e32 v[20:21], v[40:41], v[160:161]
	s_waitcnt vmcnt(52) lgkmcnt(8)
	v_mul_f64 v[58:59], v[42:43], v[162:163]
	v_add_f64 v[20:21], v[60:61], v[20:21]
	s_waitcnt vmcnt(50)
	v_fmac_f64_e32 v[58:59], v[44:45], v[164:165]
	v_add_f64 v[20:21], v[20:21], v[58:59]
	s_waitcnt vmcnt(49) lgkmcnt(7)
	v_mul_f64 v[58:59], v[46:47], v[156:157]
	s_waitcnt vmcnt(48)
	v_fmac_f64_e32 v[58:59], v[48:49], v[130:131]
	v_add_f64 v[20:21], v[20:21], v[58:59]
	s_waitcnt vmcnt(46) lgkmcnt(6)
	v_mul_f64 v[58:59], v[50:51], v[166:167]
	s_waitcnt vmcnt(42) lgkmcnt(5)
	v_mul_f64 v[66:67], v[234:235], v[172:173]
	v_fmac_f64_e32 v[58:59], v[52:53], v[168:169]
	v_add_f64 v[20:21], v[20:21], v[58:59]
	v_mul_f64 v[58:59], v[244:245], v[218:219]
	v_fma_f64 v[218:219], v[242:243], v[220:221], -v[58:59]
	ds_read_b128 v[58:61], v232 offset:1744
	s_waitcnt vmcnt(40)
	v_fmac_f64_e32 v[66:67], v[236:237], v[174:175]
	v_add_f64 v[20:21], v[20:21], v[66:67]
	v_add_f64 v[12:13], v[12:13], v[218:219]
	s_waitcnt vmcnt(25) lgkmcnt(4)
	v_mul_f64 v[78:79], v[70:71], v[184:185]
	s_waitcnt lgkmcnt(0)
	v_mul_f64 v[66:67], v[58:59], v[178:179]
	v_fmac_f64_e32 v[66:67], v[60:61], v[180:181]
	v_add_f64 v[20:21], v[20:21], v[66:67]
	v_mul_f64 v[66:67], v[238:239], v[170:171]
	v_fmac_f64_e32 v[66:67], v[240:241], v[176:177]
	v_add_f64 v[20:21], v[20:21], v[66:67]
	ds_read_b128 v[66:69], v232 offset:1776
	s_waitcnt vmcnt(24)
	v_fmac_f64_e32 v[78:79], v[72:73], v[88:89]
	s_waitcnt vmcnt(10)
	v_mul_f64 v[10:11], v[90:91], v[204:205]
	s_waitcnt vmcnt(8)
	v_fmac_f64_e32 v[10:11], v[92:93], v[206:207]
	v_add_f64 v[12:13], v[12:13], v[246:247]
	s_waitcnt lgkmcnt(0)
	v_mul_f64 v[74:75], v[66:67], v[182:183]
	v_fmac_f64_e32 v[74:75], v[68:69], v[188:189]
	v_add_f64 v[20:21], v[20:21], v[74:75]
	v_mul_f64 v[74:75], v[120:121], v[214:215]
	v_fma_f64 v[252:253], v[118:119], v[216:217], -v[74:75]
	ds_read_b128 v[74:77], v232 offset:1808
	v_add_f64 v[20:21], v[20:21], v[78:79]
	ds_read_b128 v[78:81], v232 offset:1824
	v_add_f64 v[12:13], v[12:13], v[248:249]
	v_add_f64 v[12:13], v[12:13], v[252:253]
	s_waitcnt lgkmcnt(1)
	v_mul_f64 v[2:3], v[74:75], v[192:193]
	v_fmac_f64_e32 v[2:3], v[76:77], v[198:199]
	v_add_f64 v[2:3], v[20:21], v[2:3]
	s_waitcnt lgkmcnt(0)
	v_mul_f64 v[20:21], v[78:79], v[190:191]
	v_fmac_f64_e32 v[20:21], v[80:81], v[196:197]
	v_add_f64 v[2:3], v[2:3], v[20:21]
	v_mul_f64 v[20:21], v[82:83], v[194:195]
	v_fmac_f64_e32 v[20:21], v[84:85], v[200:201]
	v_add_f64 v[20:21], v[2:3], v[20:21]
	ds_read_b128 v[2:5], v232 offset:1872
	buffer_load_dword v215, off, s[0:3], 0 offset:940
	buffer_load_dword v214, off, s[0:3], 0 offset:936
	buffer_load_dword v217, off, s[0:3], 0 offset:932
	buffer_load_dword v216, off, s[0:3], 0 offset:928
	ds_read_b128 v[118:121], v232 offset:1904
	buffer_load_dword v96, off, s[0:3], 0 offset:952
	buffer_load_dword v97, off, s[0:3], 0 offset:956
	buffer_load_dword v220, off, s[0:3], 0 offset:944
	buffer_load_dword v221, off, s[0:3], 0 offset:948
	ds_read_b128 v[102:105], v232 offset:1920
	buffer_load_dword v223, off, s[0:3], 0 offset:972
	buffer_load_dword v222, off, s[0:3], 0 offset:968
	buffer_load_dword v225, off, s[0:3], 0 offset:964
	buffer_load_dword v224, off, s[0:3], 0 offset:960
	v_add_f64 v[10:11], v[20:21], v[10:11]
	s_waitcnt vmcnt(17) lgkmcnt(2)
	v_mul_f64 v[20:21], v[2:3], v[210:211]
	s_waitcnt vmcnt(15)
	v_fmac_f64_e32 v[20:21], v[4:5], v[212:213]
	v_add_f64 v[10:11], v[10:11], v[20:21]
	s_waitcnt vmcnt(13)
	v_mul_f64 v[20:21], v[6:7], v[202:203]
	s_waitcnt vmcnt(12)
	v_fmac_f64_e32 v[20:21], v[8:9], v[208:209]
	ds_read_b128 v[106:109], v232 offset:1936
	v_add_f64 v[10:11], v[10:11], v[20:21]
	v_add_f64 v[0:1], v[12:13], v[0:1]
	v_accvgpr_read_b32 v12, a188
	v_accvgpr_read_b32 v13, a189
	v_add_f64 v[0:1], v[0:1], v[250:251]
	v_mul_f64 v[12:13], v[140:141], v[12:13]
	v_add_f64 v[0:1], v[0:1], v[100:101]
	v_fma_f64 v[12:13], v[138:139], v[14:15], -v[12:13]
	v_add_f64 v[0:1], v[0:1], v[12:13]
	v_accvgpr_read_b32 v12, a192
	v_accvgpr_read_b32 v13, a193
	v_accvgpr_read_b32 v14, a194
	v_mul_f64 v[12:13], v[136:137], v[12:13]
	v_accvgpr_read_b32 v15, a195
	v_fma_f64 v[12:13], v[134:135], v[14:15], -v[12:13]
	v_add_f64 v[0:1], v[0:1], v[12:13]
	v_accvgpr_read_b32 v12, a196
	v_accvgpr_read_b32 v13, a197
	v_accvgpr_read_b32 v14, a198
	v_mul_f64 v[12:13], v[148:149], v[12:13]
	v_accvgpr_read_b32 v15, a199
	;; [unrolled: 7-line block ×5, first 2 shown]
	v_fma_f64 v[12:13], v[122:123], v[14:15], -v[12:13]
	v_add_f64 v[0:1], v[0:1], v[12:13]
	v_accvgpr_read_b32 v12, a212
	v_accvgpr_read_b32 v13, a213
	v_mul_f64 v[12:13], v[28:29], v[12:13]
	v_fma_f64 v[12:13], v[26:27], v[254:255], -v[12:13]
	v_add_f64 v[0:1], v[0:1], v[12:13]
	v_mul_f64 v[12:13], v[32:33], v[132:133]
	v_fma_f64 v[12:13], v[30:31], v[230:231], -v[12:13]
	v_add_f64 v[0:1], v[0:1], v[12:13]
	;; [unrolled: 3-line block ×6, first 2 shown]
	v_mul_f64 v[12:13], v[52:53], v[166:167]
	v_fma_f64 v[12:13], v[50:51], v[168:169], -v[12:13]
	s_waitcnt vmcnt(10) lgkmcnt(2)
	v_mul_f64 v[20:21], v[118:119], v[214:215]
	v_add_f64 v[0:1], v[0:1], v[12:13]
	s_waitcnt vmcnt(8)
	v_fmac_f64_e32 v[20:21], v[120:121], v[216:217]
	v_add_f64 v[10:11], v[10:11], v[20:21]
	s_waitcnt vmcnt(6) lgkmcnt(1)
	v_mul_f64 v[20:21], v[102:103], v[96:97]
	s_waitcnt vmcnt(4)
	v_fmac_f64_e32 v[20:21], v[104:105], v[220:221]
	v_add_f64 v[10:11], v[10:11], v[20:21]
	s_waitcnt vmcnt(2) lgkmcnt(0)
	v_mul_f64 v[20:21], v[106:107], v[222:223]
	s_waitcnt vmcnt(0)
	v_fmac_f64_e32 v[20:21], v[108:109], v[224:225]
	v_add_f64 v[10:11], v[10:11], v[20:21]
	buffer_load_dword v20, off, s[0:3], 0 offset:984
	buffer_load_dword v21, off, s[0:3], 0 offset:988
	;; [unrolled: 1-line block ×4, first 2 shown]
	ds_read_b128 v[110:113], v232 offset:1952
	buffer_load_dword v243, off, s[0:3], 0 offset:1004
	buffer_load_dword v242, off, s[0:3], 0 offset:1000
	;; [unrolled: 1-line block ×4, first 2 shown]
	v_mul_f64 v[12:13], v[236:237], v[172:173]
	v_fma_f64 v[12:13], v[234:235], v[174:175], -v[12:13]
	v_add_f64 v[0:1], v[0:1], v[12:13]
	v_mul_f64 v[12:13], v[60:61], v[178:179]
	v_fma_f64 v[12:13], v[58:59], v[180:181], -v[12:13]
	v_add_f64 v[0:1], v[0:1], v[12:13]
	;; [unrolled: 3-line block ×8, first 2 shown]
	v_mul_f64 v[12:13], v[92:93], v[204:205]
	v_fma_f64 v[12:13], v[90:91], v[206:207], -v[12:13]
	v_mul_f64 v[4:5], v[4:5], v[210:211]
	v_add_f64 v[0:1], v[0:1], v[12:13]
	v_fma_f64 v[2:3], v[2:3], v[212:213], -v[4:5]
	v_add_f64 v[0:1], v[0:1], v[2:3]
	v_mul_f64 v[2:3], v[8:9], v[202:203]
	v_fma_f64 v[2:3], v[6:7], v[208:209], -v[2:3]
	v_add_f64 v[0:1], v[0:1], v[2:3]
	v_mul_f64 v[2:3], v[120:121], v[214:215]
	;; [unrolled: 3-line block ×4, first 2 shown]
	v_fma_f64 v[2:3], v[106:107], v[224:225], -v[2:3]
	v_add_f64 v[0:1], v[0:1], v[2:3]
	v_accvgpr_read_b32 v33, a185
	v_cmp_lt_u32_e32 vcc, 8, v33
	s_waitcnt vmcnt(6) lgkmcnt(0)
	v_mul_f64 v[114:115], v[110:111], v[20:21]
	v_mul_f64 v[2:3], v[112:113], v[20:21]
	s_waitcnt vmcnt(4)
	v_fmac_f64_e32 v[114:115], v[112:113], v[228:229]
	v_add_f64 v[10:11], v[10:11], v[114:115]
	ds_read_b128 v[114:117], v232 offset:1968
	buffer_load_dword v248, off, s[0:3], 0 offset:160
	buffer_load_dword v249, off, s[0:3], 0 offset:164
	;; [unrolled: 1-line block ×4, first 2 shown]
	v_fma_f64 v[2:3], v[110:111], v[228:229], -v[2:3]
	v_add_f64 v[0:1], v[0:1], v[2:3]
	s_waitcnt vmcnt(6) lgkmcnt(0)
	v_mul_f64 v[2:3], v[116:117], v[242:243]
	v_mul_f64 v[232:233], v[114:115], v[242:243]
	s_waitcnt vmcnt(4)
	v_fma_f64 v[2:3], v[114:115], v[244:245], -v[2:3]
	v_fmac_f64_e32 v[232:233], v[116:117], v[244:245]
	v_add_f64 v[0:1], v[0:1], v[2:3]
	v_add_f64 v[10:11], v[10:11], v[232:233]
	s_waitcnt vmcnt(2)
	v_add_f64 v[0:1], v[248:249], -v[0:1]
	s_waitcnt vmcnt(0)
	v_add_f64 v[2:3], v[246:247], -v[10:11]
	buffer_store_dword v1, off, s[0:3], 0 offset:164
	buffer_store_dword v0, off, s[0:3], 0 offset:160
	;; [unrolled: 1-line block ×4, first 2 shown]
	s_and_saveexec_b64 s[4:5], vcc
	s_cbranch_execz .LBB61_381
; %bb.380:
	v_accvgpr_read_b32 v3, a177
	buffer_load_dword v0, v3, s[0:3], 0 offen
	buffer_load_dword v1, v3, s[0:3], 0 offen offset:4
	buffer_load_dword v2, v3, s[0:3], 0 offen offset:8
	s_nop 0
	buffer_load_dword v3, v3, s[0:3], 0 offen offset:12
	v_mov_b32_e32 v4, 0
	v_accvgpr_read_b32 v5, a186
	buffer_store_dword v4, off, s[0:3], 0 offset:144
	buffer_store_dword v4, off, s[0:3], 0 offset:148
	buffer_store_dword v4, off, s[0:3], 0 offset:152
	buffer_store_dword v4, off, s[0:3], 0 offset:156
	s_waitcnt vmcnt(4)
	ds_write_b128 v5, v[0:3]
.LBB61_381:
	s_or_b64 exec, exec, s[4:5]
	s_waitcnt lgkmcnt(0)
	; wave barrier
	s_waitcnt lgkmcnt(0)
	buffer_load_dword v130, off, s[0:3], 0 offset:160
	buffer_load_dword v131, off, s[0:3], 0 offset:164
	;; [unrolled: 1-line block ×36, first 2 shown]
	v_mov_b32_e32 v32, 0
	buffer_load_dword v55, off, s[0:3], 0 offset:332
	buffer_load_dword v54, off, s[0:3], 0 offset:328
	;; [unrolled: 1-line block ×18, first 2 shown]
	ds_read_b128 v[22:25], v32 offset:1136
	ds_read_b128 v[110:113], v32 offset:1152
	;; [unrolled: 1-line block ×9, first 2 shown]
	v_cmp_lt_u32_e32 vcc, 7, v33
	s_waitcnt vmcnt(50) lgkmcnt(8)
	v_mul_f64 v[0:1], v[22:23], v[16:17]
	v_fmac_f64_e32 v[0:1], v[24:25], v[130:131]
	v_add_f64 v[0:1], v[0:1], 0
	v_mul_f64 v[16:17], v[24:25], v[16:17]
	s_waitcnt vmcnt(46) lgkmcnt(7)
	v_mul_f64 v[2:3], v[110:111], v[20:21]
	v_fmac_f64_e32 v[2:3], v[112:113], v[142:143]
	v_add_f64 v[0:1], v[0:1], v[2:3]
	buffer_load_dword v109, off, s[0:3], 0 offset:388
	buffer_load_dword v108, off, s[0:3], 0 offset:384
	;; [unrolled: 1-line block ×40, first 2 shown]
	s_waitcnt vmcnt(62) lgkmcnt(6)
	v_mul_f64 v[4:5], v[114:115], v[26:27]
	s_waitcnt lgkmcnt(4)
	v_mul_f64 v[8:9], v[164:165], v[30:31]
	v_fmac_f64_e32 v[8:9], v[166:167], v[134:135]
	v_fma_f64 v[252:253], v[22:23], v[130:131], -v[16:17]
	v_mul_f64 v[6:7], v[160:161], v[28:29]
	v_mul_f64 v[26:27], v[116:117], v[26:27]
	s_waitcnt lgkmcnt(2)
	v_mul_f64 v[12:13], v[172:173], v[44:45]
	v_mul_f64 v[20:21], v[112:113], v[20:21]
	v_fmac_f64_e32 v[12:13], v[174:175], v[46:47]
	v_fma_f64 v[254:255], v[110:111], v[142:143], -v[20:21]
	v_mul_f64 v[10:11], v[168:169], v[34:35]
	v_mul_f64 v[34:35], v[170:171], v[34:35]
	s_waitcnt lgkmcnt(1)
	v_mul_f64 v[138:139], v[176:177], v[42:43]
	v_mul_f64 v[30:31], v[166:167], v[30:31]
	v_fmac_f64_e32 v[4:5], v[116:117], v[40:41]
	v_add_f64 v[0:1], v[0:1], v[4:5]
	v_fmac_f64_e32 v[6:7], v[162:163], v[38:39]
	v_add_f64 v[0:1], v[0:1], v[6:7]
	v_add_f64 v[0:1], v[0:1], v[8:9]
	v_fmac_f64_e32 v[10:11], v[170:171], v[36:37]
	v_add_f64 v[0:1], v[0:1], v[10:11]
	;; [unrolled: 3-line block ×3, first 2 shown]
	v_fma_f64 v[250:251], v[114:115], v[40:41], -v[26:27]
	v_fma_f64 v[112:113], v[168:169], v[36:37], -v[34:35]
	;; [unrolled: 1-line block ×3, first 2 shown]
	v_mul_f64 v[44:45], v[174:175], v[44:45]
	v_mul_f64 v[42:43], v[178:179], v[42:43]
	v_fma_f64 v[114:115], v[172:173], v[46:47], -v[44:45]
	v_fma_f64 v[116:117], v[176:177], v[50:51], -v[42:43]
	s_waitcnt vmcnt(58) lgkmcnt(0)
	v_mul_f64 v[42:43], v[182:183], v[48:49]
	s_waitcnt vmcnt(0)
	v_pk_mov_b32 v[4:5], v[2:3], v[2:3] op_sel:[0,1]
	buffer_load_dword v3, off, s[0:3], 0 offset:548
	buffer_load_dword v2, off, s[0:3], 0 offset:544
	v_accvgpr_write_b32 a197, v5
	v_accvgpr_write_b32 a196, v4
	s_waitcnt vmcnt(0)
	v_pk_mov_b32 v[6:7], v[2:3], v[2:3] op_sel:[0,1]
	buffer_load_dword v91, off, s[0:3], 0 offset:540
	buffer_load_dword v90, off, s[0:3], 0 offset:536
	;; [unrolled: 1-line block ×6, first 2 shown]
	v_accvgpr_write_b32 a199, v7
	v_accvgpr_write_b32 a198, v6
	s_waitcnt vmcnt(0)
	v_pk_mov_b32 v[8:9], v[2:3], v[2:3] op_sel:[0,1]
	buffer_load_dword v3, off, s[0:3], 0 offset:580
	buffer_load_dword v2, off, s[0:3], 0 offset:576
	v_accvgpr_write_b32 a209, v9
	v_accvgpr_write_b32 a208, v8
	s_waitcnt vmcnt(0)
	v_pk_mov_b32 v[12:13], v[2:3], v[2:3] op_sel:[0,1]
	buffer_load_dword v3, off, s[0:3], 0 offset:572
	buffer_load_dword v2, off, s[0:3], 0 offset:568
	;; [unrolled: 6-line block ×7, first 2 shown]
	ds_read_b128 v[184:187], v32 offset:1280
	ds_read_b128 v[188:191], v32 offset:1296
	;; [unrolled: 1-line block ×9, first 2 shown]
	buffer_load_dword v19, off, s[0:3], 0 offset:636
	buffer_load_dword v18, off, s[0:3], 0 offset:632
	;; [unrolled: 1-line block ×4, first 2 shown]
	ds_read_b128 v[222:225], v32 offset:1424
	buffer_load_dword v151, off, s[0:3], 0 offset:652
	buffer_load_dword v150, off, s[0:3], 0 offset:648
	;; [unrolled: 1-line block ×12, first 2 shown]
	ds_read_b128 v[226:229], v32 offset:1440
	ds_read_b128 v[234:237], v32 offset:1456
	;; [unrolled: 1-line block ×7, first 2 shown]
	v_accvgpr_write_b32 a213, v127
	v_accvgpr_write_b32 a212, v126
	s_waitcnt lgkmcnt(2)
	v_mul_f64 v[10:11], v[246:247], v[90:91]
	v_fmac_f64_e32 v[10:11], v[248:249], v[92:93]
	s_waitcnt lgkmcnt(1)
	v_accvgpr_write_b32 a191, v139
	v_accvgpr_write_b32 a190, v138
	;; [unrolled: 1-line block ×4, first 2 shown]
	v_mul_f64 v[16:17], v[206:207], v[62:63]
	v_fma_f64 v[16:17], v[204:205], v[108:109], -v[16:17]
	v_mul_f64 v[50:51], v[216:217], v[84:85]
	ds_read_b128 v[154:157], v32 offset:1584
	s_waitcnt lgkmcnt(0)
	v_mul_f64 v[26:27], v[154:155], v[118:119]
	v_fmac_f64_e32 v[26:27], v[156:157], v[120:121]
	s_waitcnt vmcnt(16)
	v_pk_mov_b32 v[128:129], v[2:3], v[2:3] op_sel:[0,1]
	v_mul_f64 v[2:3], v[180:181], v[48:49]
	v_fmac_f64_e32 v[2:3], v[182:183], v[52:53]
	v_add_f64 v[0:1], v[0:1], v[2:3]
	v_mul_f64 v[2:3], v[184:185], v[58:59]
	v_fmac_f64_e32 v[2:3], v[186:187], v[60:61]
	v_add_f64 v[0:1], v[0:1], v[2:3]
	;; [unrolled: 3-line block ×15, first 2 shown]
	v_add_f64 v[0:1], v[0:1], v[10:11]
	v_mul_f64 v[10:11], v[136:137], v[4:5]
	ds_read_b128 v[2:5], v32 offset:1552
	v_fmac_f64_e32 v[10:11], v[138:139], v[6:7]
	v_add_f64 v[0:1], v[0:1], v[10:11]
	v_mul_f64 v[10:11], v[144:145], v[122:123]
	v_accvgpr_write_b32 a195, v147
	v_fmac_f64_e32 v[10:11], v[146:147], v[124:125]
	v_accvgpr_write_b32 a194, v146
	v_accvgpr_write_b32 a193, v145
	;; [unrolled: 1-line block ×3, first 2 shown]
	ds_read_b128 v[144:147], v32 offset:1568
	s_waitcnt lgkmcnt(1)
	v_mul_f64 v[22:23], v[2:3], v[8:9]
	v_add_f64 v[0:1], v[0:1], v[10:11]
	v_fmac_f64_e32 v[22:23], v[4:5], v[12:13]
	v_add_f64 v[0:1], v[0:1], v[22:23]
	s_waitcnt lgkmcnt(0)
	v_mul_f64 v[22:23], v[144:145], v[126:127]
	v_fmac_f64_e32 v[22:23], v[146:147], v[128:129]
	v_add_f64 v[0:1], v[0:1], v[22:23]
	ds_read_b128 v[136:139], v32 offset:1600
	buffer_load_dword v131, off, s[0:3], 0 offset:700
	buffer_load_dword v130, off, s[0:3], 0 offset:696
	v_add_f64 v[0:1], v[0:1], v[26:27]
	v_mul_f64 v[26:27], v[162:163], v[28:29]
	buffer_load_dword v142, off, s[0:3], 0 offset:712
	buffer_load_dword v232, off, s[0:3], 0 offset:704
	v_fma_f64 v[40:41], v[160:161], v[38:39], -v[26:27]
	buffer_load_dword v161, off, s[0:3], 0 offset:692
	buffer_load_dword v160, off, s[0:3], 0 offset:688
	;; [unrolled: 1-line block ×4, first 2 shown]
	v_accvgpr_write_b32 a215, v129
	v_accvgpr_write_b32 a214, v128
	ds_read_b128 v[126:129], v32 offset:1616
	ds_read_b128 v[122:125], v32 offset:1632
	;; [unrolled: 1-line block ×4, first 2 shown]
	buffer_load_dword v163, off, s[0:3], 0 offset:732
	buffer_load_dword v162, off, s[0:3], 0 offset:728
	;; [unrolled: 1-line block ×17, first 2 shown]
	v_fma_f64 v[28:29], v[180:181], v[52:53], -v[42:43]
	v_mul_f64 v[42:43], v[186:187], v[58:59]
	v_fma_f64 v[24:25], v[184:185], v[60:61], -v[42:43]
	buffer_load_dword v183, off, s[0:3], 0 offset:796
	buffer_load_dword v182, off, s[0:3], 0 offset:792
	;; [unrolled: 1-line block ×7, first 2 shown]
	v_mul_f64 v[42:43], v[190:191], v[54:55]
	v_fma_f64 v[22:23], v[188:189], v[56:57], -v[42:43]
	buffer_load_dword v187, off, s[0:3], 0 offset:828
	buffer_load_dword v186, off, s[0:3], 0 offset:824
	;; [unrolled: 1-line block ×4, first 2 shown]
	v_mul_f64 v[42:43], v[194:195], v[96:97]
	s_waitcnt vmcnt(50)
	v_accvgpr_write_b32 a221, v19
	v_fma_f64 v[20:21], v[192:193], v[98:99], -v[42:43]
	v_mul_f64 v[42:43], v[198:199], v[64:65]
	s_waitcnt lgkmcnt(4)
	v_mul_f64 v[26:27], v[136:137], v[18:19]
	v_accvgpr_write_b32 a220, v18
	v_fma_f64 v[18:19], v[196:197], v[66:67], -v[42:43]
	buffer_load_dword v191, off, s[0:3], 0 offset:844
	buffer_load_dword v190, off, s[0:3], 0 offset:840
	;; [unrolled: 1-line block ×8, first 2 shown]
	s_waitcnt vmcnt(56)
	v_accvgpr_write_b32 a223, v15
	v_mul_f64 v[42:43], v[202:203], v[208:209]
	v_fmac_f64_e32 v[26:27], v[138:139], v[14:15]
	v_accvgpr_write_b32 a222, v14
	v_fma_f64 v[14:15], v[200:201], v[230:231], -v[42:43]
	buffer_load_dword v201, off, s[0:3], 0 offset:876
	buffer_load_dword v200, off, s[0:3], 0 offset:872
	;; [unrolled: 1-line block ×12, first 2 shown]
	s_waitcnt vmcnt(62) lgkmcnt(3)
	v_mul_f64 v[38:39], v[126:127], v[150:151]
	v_add_f64 v[0:1], v[0:1], v[26:27]
	v_fmac_f64_e32 v[38:39], v[128:129], v[152:153]
	v_add_f64 v[0:1], v[0:1], v[38:39]
	s_waitcnt vmcnt(61) lgkmcnt(2)
	v_mul_f64 v[38:39], v[122:123], v[148:149]
	ds_read_b128 v[42:45], v32 offset:1680
	s_waitcnt vmcnt(59)
	v_fmac_f64_e32 v[38:39], v[124:125], v[132:133]
	v_add_f64 v[0:1], v[0:1], v[38:39]
	s_waitcnt vmcnt(58) lgkmcnt(2)
	v_mul_f64 v[38:39], v[118:119], v[140:141]
	s_waitcnt vmcnt(56)
	v_fmac_f64_e32 v[38:39], v[120:121], v[158:159]
	v_add_f64 v[0:1], v[0:1], v[38:39]
	v_mul_f64 v[48:49], v[212:213], v[104:105]
	v_fma_f64 v[12:13], v[210:211], v[106:107], -v[48:49]
	buffer_load_dword v211, off, s[0:3], 0 offset:924
	buffer_load_dword v210, off, s[0:3], 0 offset:920
	;; [unrolled: 1-line block ×4, first 2 shown]
	v_fma_f64 v[10:11], v[214:215], v[94:95], -v[50:51]
	ds_read_b128 v[50:53], v32 offset:1712
	v_mul_f64 v[62:63], v[224:225], v[68:69]
	v_fma_f64 v[6:7], v[222:223], v[70:71], -v[62:63]
	ds_read_b128 v[62:65], v32 offset:1760
	v_accvgpr_write_b32 a207, v5
	v_accvgpr_write_b32 a206, v4
	v_accvgpr_write_b32 a205, v3
	v_accvgpr_write_b32 a204, v2
	v_mul_f64 v[78:79], v[240:241], v[78:79]
	v_fma_f64 v[2:3], v[238:239], v[80:81], -v[78:79]
	ds_read_b128 v[78:81], v32 offset:1824
	s_waitcnt vmcnt(58) lgkmcnt(4)
	v_mul_f64 v[46:47], v[34:35], v[130:131]
	s_waitcnt vmcnt(54)
	v_fmac_f64_e32 v[46:47], v[36:37], v[160:161]
	v_add_f64 v[0:1], v[0:1], v[46:47]
	s_waitcnt vmcnt(53) lgkmcnt(3)
	v_mul_f64 v[46:47], v[42:43], v[142:143]
	s_waitcnt vmcnt(52)
	v_fmac_f64_e32 v[46:47], v[44:45], v[232:233]
	v_add_f64 v[0:1], v[0:1], v[46:47]
	ds_read_b128 v[46:49], v32 offset:1696
	s_waitcnt vmcnt(46) lgkmcnt(3)
	v_mul_f64 v[58:59], v[50:51], v[166:167]
	s_waitcnt lgkmcnt(0)
	v_mul_f64 v[54:55], v[46:47], v[162:163]
	v_fmac_f64_e32 v[54:55], v[48:49], v[168:169]
	v_add_f64 v[0:1], v[0:1], v[54:55]
	v_mul_f64 v[54:55], v[220:221], v[100:101]
	v_fma_f64 v[8:9], v[218:219], v[102:103], -v[54:55]
	ds_read_b128 v[54:57], v32 offset:1728
	s_waitcnt vmcnt(44)
	v_fmac_f64_e32 v[58:59], v[52:53], v[170:171]
	v_add_f64 v[0:1], v[0:1], v[58:59]
	ds_read_b128 v[58:61], v32 offset:1744
	s_waitcnt vmcnt(41) lgkmcnt(1)
	v_mul_f64 v[66:67], v[54:55], v[174:175]
	s_waitcnt vmcnt(39)
	v_fmac_f64_e32 v[66:67], v[56:57], v[178:179]
	v_add_f64 v[0:1], v[0:1], v[66:67]
	v_mul_f64 v[66:67], v[228:229], v[72:73]
	v_fma_f64 v[4:5], v[226:227], v[82:83], -v[66:67]
	ds_read_b128 v[66:69], v32 offset:1776
	s_waitcnt vmcnt(38) lgkmcnt(1)
	v_mul_f64 v[70:71], v[58:59], v[164:165]
	s_waitcnt vmcnt(36)
	v_fmac_f64_e32 v[70:71], v[60:61], v[176:177]
	s_waitcnt vmcnt(33)
	v_mul_f64 v[26:27], v[62:63], v[182:183]
	v_add_f64 v[0:1], v[0:1], v[70:71]
	s_waitcnt vmcnt(31)
	v_fmac_f64_e32 v[26:27], v[64:65], v[184:185]
	v_add_f64 v[0:1], v[0:1], v[26:27]
	s_waitcnt vmcnt(29) lgkmcnt(0)
	v_mul_f64 v[26:27], v[66:67], v[172:173]
	s_waitcnt vmcnt(28)
	v_fmac_f64_e32 v[26:27], v[68:69], v[180:181]
	v_add_f64 v[0:1], v[0:1], v[26:27]
	ds_read_b128 v[70:73], v32 offset:1792
	v_mul_f64 v[26:27], v[236:237], v[74:75]
	v_fma_f64 v[26:27], v[234:235], v[76:77], -v[26:27]
	ds_read_b128 v[74:77], v32 offset:1808
	s_waitcnt vmcnt(26) lgkmcnt(1)
	v_mul_f64 v[82:83], v[70:71], v[186:187]
	s_waitcnt vmcnt(24)
	v_fmac_f64_e32 v[82:83], v[72:73], v[188:189]
	v_add_f64 v[0:1], v[0:1], v[82:83]
	s_waitcnt vmcnt(22) lgkmcnt(0)
	v_mul_f64 v[38:39], v[74:75], v[190:191]
	s_waitcnt vmcnt(20)
	v_fmac_f64_e32 v[38:39], v[76:77], v[194:195]
	v_add_f64 v[0:1], v[0:1], v[38:39]
	ds_read_b128 v[82:85], v32 offset:1840
	s_waitcnt vmcnt(18)
	v_mul_f64 v[38:39], v[78:79], v[192:193]
	s_waitcnt vmcnt(16)
	v_fmac_f64_e32 v[38:39], v[80:81], v[196:197]
	v_add_f64 v[38:39], v[0:1], v[38:39]
	v_mul_f64 v[0:1], v[244:245], v[86:87]
	v_fma_f64 v[230:231], v[242:243], v[88:89], -v[0:1]
	ds_read_b128 v[86:89], v32 offset:1856
	v_mul_f64 v[0:1], v[248:249], v[90:91]
	v_fma_f64 v[0:1], v[246:247], v[92:93], -v[0:1]
	ds_read_b128 v[90:93], v32 offset:1872
	s_waitcnt vmcnt(14) lgkmcnt(2)
	v_mul_f64 v[94:95], v[82:83], v[200:201]
	s_waitcnt vmcnt(12)
	v_fmac_f64_e32 v[94:95], v[84:85], v[202:203]
	v_add_f64 v[38:39], v[38:39], v[94:95]
	s_waitcnt vmcnt(9) lgkmcnt(1)
	v_mul_f64 v[94:95], v[86:87], v[206:207]
	s_waitcnt vmcnt(7)
	v_fmac_f64_e32 v[94:95], v[88:89], v[208:209]
	v_add_f64 v[38:39], v[38:39], v[94:95]
	;; [unrolled: 5-line block ×3, first 2 shown]
	ds_read_b128 v[94:97], v32 offset:1888
	buffer_load_dword v214, off, s[0:3], 0 offset:936
	buffer_load_dword v215, off, s[0:3], 0 offset:940
	buffer_load_dword v216, off, s[0:3], 0 offset:928
	buffer_load_dword v217, off, s[0:3], 0 offset:932
	s_waitcnt vmcnt(6) lgkmcnt(0)
	v_mul_f64 v[98:99], v[94:95], v[210:211]
	s_waitcnt vmcnt(4)
	v_fmac_f64_e32 v[98:99], v[96:97], v[212:213]
	v_add_f64 v[38:39], v[38:39], v[98:99]
	ds_read_b128 v[98:101], v32 offset:1904
	buffer_load_dword v219, off, s[0:3], 0 offset:956
	buffer_load_dword v218, off, s[0:3], 0 offset:952
	buffer_load_dword v221, off, s[0:3], 0 offset:948
	buffer_load_dword v220, off, s[0:3], 0 offset:944
	s_waitcnt vmcnt(6) lgkmcnt(0)
	v_mul_f64 v[102:103], v[98:99], v[214:215]
	s_waitcnt vmcnt(4)
	v_fmac_f64_e32 v[102:103], v[100:101], v[216:217]
	v_add_f64 v[38:39], v[38:39], v[102:103]
	;; [unrolled: 10-line block ×3, first 2 shown]
	ds_read_b128 v[106:109], v32 offset:1936
	s_waitcnt vmcnt(2) lgkmcnt(0)
	v_mul_f64 v[226:227], v[106:107], v[222:223]
	s_waitcnt vmcnt(0)
	v_fmac_f64_e32 v[226:227], v[108:109], v[224:225]
	v_add_f64 v[38:39], v[38:39], v[226:227]
	buffer_load_dword v227, off, s[0:3], 0 offset:988
	buffer_load_dword v226, off, s[0:3], 0 offset:984
	;; [unrolled: 1-line block ×4, first 2 shown]
	ds_read_b128 v[234:237], v32 offset:1952
	buffer_load_dword v242, off, s[0:3], 0 offset:1000
	buffer_load_dword v243, off, s[0:3], 0 offset:1004
	;; [unrolled: 1-line block ×4, first 2 shown]
	s_waitcnt vmcnt(6) lgkmcnt(0)
	v_mul_f64 v[238:239], v[234:235], v[226:227]
	s_waitcnt vmcnt(4)
	v_fmac_f64_e32 v[238:239], v[236:237], v[228:229]
	v_add_f64 v[38:39], v[38:39], v[238:239]
	ds_read_b128 v[238:241], v32 offset:1968
	buffer_load_dword v248, off, s[0:3], 0 offset:144
	buffer_load_dword v249, off, s[0:3], 0 offset:148
	s_waitcnt vmcnt(4) lgkmcnt(0)
	v_mul_f64 v[246:247], v[238:239], v[242:243]
	s_waitcnt vmcnt(2)
	v_fmac_f64_e32 v[246:247], v[240:241], v[244:245]
	v_add_f64 v[38:39], v[38:39], v[246:247]
	v_add_f64 v[246:247], v[252:253], 0
	;; [unrolled: 1-line block ×19, first 2 shown]
	buffer_load_dword v246, off, s[0:3], 0 offset:152
	buffer_load_dword v247, off, s[0:3], 0 offset:156
	v_add_f64 v[6:7], v[8:9], v[6:7]
	v_add_f64 v[4:5], v[6:7], v[4:5]
	;; [unrolled: 1-line block ×5, first 2 shown]
	v_accvgpr_read_b32 v4, a188
	v_accvgpr_read_b32 v2, a196
	v_accvgpr_read_b32 v6, a190
	v_accvgpr_read_b32 v7, a191
	v_accvgpr_read_b32 v3, a197
	v_mul_f64 v[2:3], v[6:7], v[2:3]
	v_accvgpr_read_b32 v6, a198
	v_accvgpr_read_b32 v5, a189
	;; [unrolled: 1-line block ×3, first 2 shown]
	v_add_f64 v[0:1], v[252:253], v[0:1]
	v_fma_f64 v[2:3], v[4:5], v[6:7], -v[2:3]
	v_add_f64 v[0:1], v[0:1], v[2:3]
	v_accvgpr_read_b32 v4, a192
	v_accvgpr_read_b32 v2, a200
	;; [unrolled: 1-line block ×5, first 2 shown]
	v_mul_f64 v[2:3], v[6:7], v[2:3]
	v_accvgpr_read_b32 v6, a202
	v_accvgpr_read_b32 v5, a193
	;; [unrolled: 1-line block ×3, first 2 shown]
	v_fma_f64 v[2:3], v[4:5], v[6:7], -v[2:3]
	v_add_f64 v[0:1], v[0:1], v[2:3]
	v_accvgpr_read_b32 v4, a204
	v_accvgpr_read_b32 v2, a208
	;; [unrolled: 1-line block ×5, first 2 shown]
	v_mul_f64 v[2:3], v[6:7], v[2:3]
	v_accvgpr_read_b32 v6, a210
	v_accvgpr_read_b32 v5, a205
	;; [unrolled: 1-line block ×3, first 2 shown]
	v_fma_f64 v[2:3], v[4:5], v[6:7], -v[2:3]
	v_add_f64 v[0:1], v[0:1], v[2:3]
	v_accvgpr_read_b32 v2, a212
	v_accvgpr_read_b32 v3, a213
	v_accvgpr_read_b32 v4, a214
	v_mul_f64 v[2:3], v[146:147], v[2:3]
	v_accvgpr_read_b32 v5, a215
	v_fma_f64 v[2:3], v[144:145], v[4:5], -v[2:3]
	v_add_f64 v[0:1], v[0:1], v[2:3]
	v_accvgpr_read_b32 v2, a216
	v_accvgpr_read_b32 v3, a217
	v_accvgpr_read_b32 v4, a218
	v_mul_f64 v[2:3], v[156:157], v[2:3]
	v_accvgpr_read_b32 v5, a219
	;; [unrolled: 7-line block ×3, first 2 shown]
	v_fma_f64 v[2:3], v[136:137], v[4:5], -v[2:3]
	v_add_f64 v[0:1], v[0:1], v[2:3]
	v_mul_f64 v[2:3], v[128:129], v[150:151]
	v_fma_f64 v[2:3], v[126:127], v[152:153], -v[2:3]
	v_add_f64 v[0:1], v[0:1], v[2:3]
	v_mul_f64 v[2:3], v[124:125], v[148:149]
	;; [unrolled: 3-line block ×23, first 2 shown]
	v_fma_f64 v[2:3], v[238:239], v[244:245], -v[2:3]
	v_add_f64 v[0:1], v[0:1], v[2:3]
	s_waitcnt vmcnt(2)
	v_add_f64 v[0:1], v[248:249], -v[0:1]
	s_waitcnt vmcnt(0)
	v_add_f64 v[2:3], v[246:247], -v[38:39]
	buffer_store_dword v1, off, s[0:3], 0 offset:148
	buffer_store_dword v0, off, s[0:3], 0 offset:144
	;; [unrolled: 1-line block ×4, first 2 shown]
	s_and_saveexec_b64 s[4:5], vcc
	s_cbranch_execz .LBB61_383
; %bb.382:
	v_accvgpr_read_b32 v3, a178
	buffer_load_dword v0, v3, s[0:3], 0 offen
	buffer_load_dword v1, v3, s[0:3], 0 offen offset:4
	buffer_load_dword v2, v3, s[0:3], 0 offen offset:8
	s_nop 0
	buffer_load_dword v3, v3, s[0:3], 0 offen offset:12
	v_accvgpr_read_b32 v4, a186
	buffer_store_dword v32, off, s[0:3], 0 offset:128
	buffer_store_dword v32, off, s[0:3], 0 offset:132
	;; [unrolled: 1-line block ×4, first 2 shown]
	s_waitcnt vmcnt(4)
	ds_write_b128 v4, v[0:3]
.LBB61_383:
	s_or_b64 exec, exec, s[4:5]
	s_waitcnt lgkmcnt(0)
	; wave barrier
	s_waitcnt lgkmcnt(0)
	buffer_load_dword v128, off, s[0:3], 0 offset:144
	buffer_load_dword v129, off, s[0:3], 0 offset:148
	;; [unrolled: 1-line block ×42, first 2 shown]
	ds_read_b128 v[14:17], v32 offset:1120
	ds_read_b128 v[26:29], v32 offset:1136
	;; [unrolled: 1-line block ×10, first 2 shown]
	buffer_load_dword v105, off, s[0:3], 0 offset:292
	buffer_load_dword v104, off, s[0:3], 0 offset:288
	ds_read_b128 v[42:45], v32 offset:1280
	buffer_load_dword v65, off, s[0:3], 0 offset:348
	buffer_load_dword v64, off, s[0:3], 0 offset:344
	;; [unrolled: 1-line block ×6, first 2 shown]
	s_waitcnt vmcnt(46) lgkmcnt(10)
	v_mul_f64 v[2:3], v[14:15], v[8:9]
	v_fmac_f64_e32 v[2:3], v[16:17], v[128:129]
	v_add_f64 v[2:3], v[2:3], 0
	v_mul_f64 v[8:9], v[16:17], v[8:9]
	s_waitcnt vmcnt(42) lgkmcnt(9)
	v_mul_f64 v[4:5], v[26:27], v[12:13]
	v_fmac_f64_e32 v[4:5], v[28:29], v[138:139]
	s_waitcnt vmcnt(40) lgkmcnt(8)
	v_mul_f64 v[66:67], v[106:107], v[18:19]
	v_add_f64 v[2:3], v[2:3], v[4:5]
	s_waitcnt vmcnt(38) lgkmcnt(6)
	v_mul_f64 v[72:73], v[114:115], v[30:31]
	v_fma_f64 v[128:129], v[14:15], v[128:129], -v[8:9]
	s_waitcnt vmcnt(36)
	v_fmac_f64_e32 v[72:73], v[116:117], v[148:149]
	v_mul_f64 v[12:13], v[28:29], v[12:13]
	s_waitcnt vmcnt(34)
	v_mul_f64 v[68:69], v[110:111], v[22:23]
	v_mul_f64 v[18:19], v[108:109], v[18:19]
	s_waitcnt vmcnt(32) lgkmcnt(4)
	v_mul_f64 v[76:77], v[162:163], v[38:39]
	v_mul_f64 v[22:23], v[112:113], v[22:23]
	s_waitcnt vmcnt(30)
	v_fmac_f64_e32 v[76:77], v[164:165], v[40:41]
	v_mul_f64 v[30:31], v[116:117], v[30:31]
	s_waitcnt vmcnt(28)
	v_mul_f64 v[74:75], v[154:155], v[34:35]
	v_mul_f64 v[34:35], v[156:157], v[34:35]
	s_waitcnt vmcnt(26) lgkmcnt(2)
	v_mul_f64 v[80:81], v[170:171], v[52:53]
	v_mul_f64 v[52:53], v[172:173], v[52:53]
	s_waitcnt vmcnt(23)
	v_mul_f64 v[78:79], v[166:167], v[56:57]
	s_waitcnt vmcnt(21) lgkmcnt(1)
	v_mul_f64 v[142:143], v[46:47], v[50:51]
	s_waitcnt vmcnt(19)
	v_fmac_f64_e32 v[66:67], v[108:109], v[178:179]
	v_add_f64 v[2:3], v[2:3], v[66:67]
	s_waitcnt vmcnt(17)
	v_fmac_f64_e32 v[68:69], v[112:113], v[24:25]
	v_add_f64 v[2:3], v[2:3], v[68:69]
	;; [unrolled: 3-line block ×3, first 2 shown]
	v_add_f64 v[2:3], v[2:3], v[74:75]
	s_waitcnt vmcnt(13)
	v_fmac_f64_e32 v[78:79], v[168:169], v[58:59]
	v_add_f64 v[2:3], v[2:3], v[76:77]
	s_waitcnt vmcnt(12)
	v_fmac_f64_e32 v[80:81], v[172:173], v[54:55]
	v_add_f64 v[2:3], v[2:3], v[78:79]
	v_add_f64 v[2:3], v[2:3], v[80:81]
	buffer_load_dword v185, off, s[0:3], 0 offset:324
	buffer_load_dword v184, off, s[0:3], 0 offset:320
	;; [unrolled: 1-line block ×52, first 2 shown]
	s_waitcnt vmcnt(58)
	v_fmac_f64_e32 v[142:143], v[48:49], v[104:105]
	v_add_f64 v[2:3], v[2:3], v[142:143]
	v_fma_f64 v[178:179], v[106:107], v[178:179], -v[18:19]
	v_fma_f64 v[106:107], v[110:111], v[24:25], -v[22:23]
	;; [unrolled: 1-line block ×4, first 2 shown]
	s_waitcnt vmcnt(0)
	v_pk_mov_b32 v[120:121], v[4:5], v[4:5] op_sel:[0,1]
	buffer_load_dword v5, off, s[0:3], 0 offset:564
	buffer_load_dword v4, off, s[0:3], 0 offset:560
	v_accvgpr_write_b32 a195, v121
	v_accvgpr_write_b32 a194, v120
	s_waitcnt vmcnt(0)
	v_pk_mov_b32 v[122:123], v[4:5], v[4:5] op_sel:[0,1]
	buffer_load_dword v5, off, s[0:3], 0 offset:556
	buffer_load_dword v4, off, s[0:3], 0 offset:552
	v_accvgpr_write_b32 a197, v123
	v_accvgpr_write_b32 a196, v122
	;; [unrolled: 6-line block ×10, first 2 shown]
	s_waitcnt vmcnt(0)
	v_pk_mov_b32 v[182:183], v[4:5], v[4:5] op_sel:[0,1]
	buffer_load_dword v5, off, s[0:3], 0 offset:612
	buffer_load_dword v4, off, s[0:3], 0 offset:608
	ds_read_b128 v[174:177], v32 offset:1296
	ds_read_b128 v[190:193], v32 offset:1312
	;; [unrolled: 1-line block ×7, first 2 shown]
	buffer_load_dword v11, off, s[0:3], 0 offset:652
	buffer_load_dword v10, off, s[0:3], 0 offset:648
	;; [unrolled: 1-line block ×4, first 2 shown]
	ds_read_b128 v[218:221], v32 offset:1408
	v_accvgpr_write_b32 a211, v183
	v_accvgpr_write_b32 a210, v182
	s_waitcnt vmcnt(4)
	v_pk_mov_b32 v[186:187], v[4:5], v[4:5] op_sel:[0,1]
	s_waitcnt lgkmcnt(8)
	v_mul_f64 v[4:5], v[42:43], v[60:61]
	v_fmac_f64_e32 v[4:5], v[44:45], v[62:63]
	v_add_f64 v[2:3], v[2:3], v[4:5]
	s_waitcnt lgkmcnt(7)
	v_mul_f64 v[4:5], v[174:175], v[0:1]
	v_fmac_f64_e32 v[4:5], v[176:177], v[184:185]
	v_add_f64 v[2:3], v[2:3], v[4:5]
	s_waitcnt lgkmcnt(6)
	v_mul_f64 v[4:5], v[190:191], v[64:65]
	s_waitcnt vmcnt(0)
	v_pk_mov_b32 v[188:189], v[118:119], v[118:119] op_sel:[0,1]
	buffer_load_dword v118, off, s[0:3], 0 offset:664
	buffer_load_dword v119, off, s[0:3], 0 offset:668
	;; [unrolled: 1-line block ×4, first 2 shown]
	ds_read_b128 v[222:225], v32 offset:1424
	ds_read_b128 v[226:229], v32 offset:1440
	;; [unrolled: 1-line block ×4, first 2 shown]
	buffer_load_dword v21, off, s[0:3], 0 offset:684
	buffer_load_dword v20, off, s[0:3], 0 offset:680
	buffer_load_dword v233, off, s[0:3], 0 offset:676
	buffer_load_dword v232, off, s[0:3], 0 offset:672
	v_fmac_f64_e32 v[4:5], v[192:193], v[70:71]
	v_add_f64 v[2:3], v[2:3], v[4:5]
	s_waitcnt lgkmcnt(9)
	v_mul_f64 v[4:5], v[194:195], v[230:231]
	v_fmac_f64_e32 v[4:5], v[196:197], v[250:251]
	v_add_f64 v[2:3], v[2:3], v[4:5]
	s_waitcnt lgkmcnt(8)
	v_mul_f64 v[4:5], v[198:199], v[206:207]
	;; [unrolled: 4-line block ×8, first 2 shown]
	v_fmac_f64_e32 v[4:5], v[228:229], v[68:69]
	ds_read_b128 v[242:245], v32 offset:1488
	ds_read_b128 v[246:249], v32 offset:1504
	v_add_f64 v[2:3], v[2:3], v[4:5]
	s_waitcnt lgkmcnt(3)
	v_mul_f64 v[4:5], v[234:235], v[72:73]
	v_fmac_f64_e32 v[4:5], v[236:237], v[74:75]
	v_add_f64 v[2:3], v[2:3], v[4:5]
	s_waitcnt lgkmcnt(2)
	v_mul_f64 v[4:5], v[238:239], v[78:79]
	v_fmac_f64_e32 v[4:5], v[240:241], v[80:81]
	ds_read_b128 v[134:137], v32 offset:1520
	ds_read_b128 v[150:153], v32 offset:1536
	v_add_f64 v[2:3], v[2:3], v[4:5]
	s_waitcnt lgkmcnt(3)
	v_mul_f64 v[4:5], v[242:243], v[82:83]
	v_fmac_f64_e32 v[4:5], v[244:245], v[84:85]
	v_add_f64 v[2:3], v[2:3], v[4:5]
	s_waitcnt lgkmcnt(2)
	v_mul_f64 v[4:5], v[246:247], v[90:91]
	v_fmac_f64_e32 v[4:5], v[248:249], v[92:93]
	v_add_f64 v[158:159], v[2:3], v[4:5]
	s_waitcnt lgkmcnt(1)
	v_mul_f64 v[4:5], v[134:135], v[130:131]
	v_accvgpr_write_b32 a191, v137
	v_fmac_f64_e32 v[4:5], v[136:137], v[132:133]
	v_accvgpr_write_b32 a190, v136
	v_accvgpr_write_b32 a189, v135
	;; [unrolled: 1-line block ×3, first 2 shown]
	ds_read_b128 v[134:137], v32 offset:1552
	ds_read_b128 v[130:133], v32 offset:1568
	s_waitcnt lgkmcnt(2)
	v_mul_f64 v[14:15], v[150:151], v[120:121]
	v_add_f64 v[4:5], v[158:159], v[4:5]
	v_fma_f64 v[158:159], v[26:27], v[138:139], -v[12:13]
	v_fmac_f64_e32 v[14:15], v[152:153], v[122:123]
	s_waitcnt lgkmcnt(1)
	v_mul_f64 v[26:27], v[134:135], v[144:145]
	ds_read_b128 v[138:141], v32 offset:1584
	ds_read_b128 v[142:145], v32 offset:1600
	v_add_f64 v[4:5], v[4:5], v[14:15]
	v_fmac_f64_e32 v[26:27], v[136:137], v[146:147]
	v_add_f64 v[4:5], v[4:5], v[26:27]
	s_waitcnt lgkmcnt(2)
	v_mul_f64 v[26:27], v[130:131], v[124:125]
	v_fmac_f64_e32 v[26:27], v[132:133], v[126:127]
	ds_read_b128 v[124:127], v32 offset:1616
	ds_read_b128 v[120:123], v32 offset:1632
	v_add_f64 v[4:5], v[4:5], v[26:27]
	s_waitcnt lgkmcnt(3)
	v_mul_f64 v[26:27], v[138:139], v[182:183]
	v_fmac_f64_e32 v[26:27], v[140:141], v[186:187]
	v_add_f64 v[4:5], v[4:5], v[26:27]
	s_waitcnt lgkmcnt(2)
	v_mul_f64 v[26:27], v[142:143], v[160:161]
	v_fmac_f64_e32 v[26:27], v[144:145], v[180:181]
	s_waitcnt lgkmcnt(1)
	v_mul_f64 v[110:111], v[124:125], v[10:11]
	v_add_f64 v[4:5], v[4:5], v[26:27]
	v_fmac_f64_e32 v[110:111], v[126:127], v[188:189]
	s_waitcnt vmcnt(6) lgkmcnt(0)
	v_mul_f64 v[112:113], v[120:121], v[118:119]
	v_add_f64 v[4:5], v[4:5], v[110:111]
	v_fma_f64 v[110:111], v[154:155], v[36:37], -v[34:35]
	ds_read_b128 v[34:37], v32 offset:1648
	buffer_load_dword v155, off, s[0:3], 0 offset:700
	buffer_load_dword v154, off, s[0:3], 0 offset:696
	s_waitcnt vmcnt(6)
	v_fmac_f64_e32 v[112:113], v[122:123], v[6:7]
	v_add_f64 v[112:113], v[4:5], v[112:113]
	buffer_load_dword v161, off, s[0:3], 0 offset:692
	buffer_load_dword v160, off, s[0:3], 0 offset:688
	v_mul_f64 v[4:5], v[164:165], v[38:39]
	v_fma_f64 v[180:181], v[162:163], v[40:41], -v[4:5]
	buffer_load_dword v156, off, s[0:3], 0 offset:728
	buffer_load_dword v30, off, s[0:3], 0 offset:720
	;; [unrolled: 1-line block ×8, first 2 shown]
	v_mul_f64 v[38:39], v[168:169], v[56:57]
	v_fma_f64 v[22:23], v[166:167], v[58:59], -v[38:39]
	ds_read_b128 v[38:41], v32 offset:1664
	buffer_load_dword v167, off, s[0:3], 0 offset:748
	buffer_load_dword v166, off, s[0:3], 0 offset:744
	;; [unrolled: 1-line block ×8, first 2 shown]
	s_waitcnt vmcnt(22) lgkmcnt(1)
	v_mul_f64 v[8:9], v[34:35], v[20:21]
	s_waitcnt vmcnt(20)
	v_fmac_f64_e32 v[8:9], v[36:37], v[232:233]
	v_add_f64 v[8:9], v[112:113], v[8:9]
	v_mul_f64 v[14:15], v[176:177], v[0:1]
	buffer_load_dword v177, off, s[0:3], 0 offset:780
	buffer_load_dword v176, off, s[0:3], 0 offset:776
	;; [unrolled: 1-line block ×8, first 2 shown]
	v_accvgpr_write_b32 a213, v187
	v_accvgpr_write_b32 a215, v189
	;; [unrolled: 1-line block ×4, first 2 shown]
	v_fma_f64 v[14:15], v[174:175], v[184:185], -v[14:15]
	buffer_load_dword v174, off, s[0:3], 0 offset:824
	buffer_load_dword v187, off, s[0:3], 0 offset:812
	;; [unrolled: 1-line block ×8, first 2 shown]
	v_mul_f64 v[12:13], v[48:49], v[50:51]
	v_mul_f64 v[44:45], v[44:45], v[60:61]
	v_accvgpr_write_b32 a217, v11
	v_fma_f64 v[16:17], v[46:47], v[104:105], -v[12:13]
	v_fma_f64 v[12:13], v[42:43], v[62:63], -v[44:45]
	v_mul_f64 v[42:43], v[192:193], v[64:65]
	v_accvgpr_write_b32 a216, v10
	v_fma_f64 v[10:11], v[190:191], v[70:71], -v[42:43]
	buffer_load_dword v191, off, s[0:3], 0 offset:844
	buffer_load_dword v190, off, s[0:3], 0 offset:840
	;; [unrolled: 1-line block ×4, first 2 shown]
	v_accvgpr_write_b32 a223, v21
	v_mul_f64 v[42:43], v[200:201], v[206:207]
	v_accvgpr_write_b32 a222, v20
	v_mul_f64 v[20:21], v[196:197], v[230:231]
	v_fma_f64 v[230:231], v[198:199], v[208:209], -v[42:43]
	buffer_load_dword v196, off, s[0:3], 0 offset:856
	buffer_load_dword v198, off, s[0:3], 0 offset:848
	buffer_load_dword v197, off, s[0:3], 0 offset:860
	buffer_load_dword v199, off, s[0:3], 0 offset:852
	v_mul_f64 v[42:43], v[204:205], v[252:253]
	v_fma_f64 v[20:21], v[194:195], v[250:251], -v[20:21]
	v_fma_f64 v[254:255], v[202:203], v[254:255], -v[42:43]
	buffer_load_dword v195, off, s[0:3], 0 offset:892
	buffer_load_dword v201, off, s[0:3], 0 offset:876
	;; [unrolled: 1-line block ×12, first 2 shown]
	v_accvgpr_write_b32 a221, v7
	ds_read_b128 v[42:45], v32 offset:1680
	v_mul_f64 v[46:47], v[212:213], v[96:97]
	v_accvgpr_write_b32 a220, v6
	v_fma_f64 v[6:7], v[210:211], v[98:99], -v[46:47]
	v_mul_f64 v[46:47], v[216:217], v[100:101]
	buffer_load_dword v210, off, s[0:3], 0 offset:920
	buffer_load_dword v212, off, s[0:3], 0 offset:912
	;; [unrolled: 1-line block ×4, first 2 shown]
	v_fma_f64 v[250:251], v[214:215], v[102:103], -v[46:47]
	ds_read_b128 v[46:49], v32 offset:1696
	ds_read_b128 v[50:53], v32 offset:1712
	;; [unrolled: 1-line block ×5, first 2 shown]
	v_mul_f64 v[70:71], v[236:237], v[72:73]
	v_fma_f64 v[0:1], v[234:235], v[74:75], -v[70:71]
	ds_read_b128 v[70:73], v32 offset:1792
	v_mul_f64 v[90:91], v[248:249], v[90:91]
	v_fma_f64 v[252:253], v[246:247], v[92:93], -v[90:91]
	v_accvgpr_write_b32 a219, v119
	v_accvgpr_write_b32 a218, v118
	v_add_f64 v[118:119], v[128:129], 0
	v_add_f64 v[118:119], v[118:119], v[158:159]
	;; [unrolled: 1-line block ×17, first 2 shown]
	s_waitcnt vmcnt(58) lgkmcnt(7)
	v_mul_f64 v[24:25], v[38:39], v[154:155]
	ds_read_b128 v[90:93], v32 offset:1872
	v_add_f64 v[6:7], v[6:7], v[250:251]
	s_waitcnt vmcnt(56)
	v_fmac_f64_e32 v[24:25], v[40:41], v[160:161]
	v_add_f64 v[8:9], v[8:9], v[24:25]
	v_accvgpr_write_b32 a224, v232
	s_waitcnt vmcnt(52) lgkmcnt(7)
	v_mul_f64 v[24:25], v[42:43], v[162:163]
	s_waitcnt vmcnt(50)
	v_fmac_f64_e32 v[24:25], v[44:45], v[164:165]
	v_add_f64 v[8:9], v[8:9], v[24:25]
	s_waitcnt vmcnt(49) lgkmcnt(6)
	v_mul_f64 v[24:25], v[46:47], v[156:157]
	s_waitcnt vmcnt(48)
	v_fmac_f64_e32 v[24:25], v[48:49], v[30:31]
	v_add_f64 v[8:9], v[8:9], v[24:25]
	v_mul_f64 v[24:25], v[220:221], v[76:77]
	ds_read_b128 v[74:77], v32 offset:1808
	v_fma_f64 v[4:5], v[218:219], v[86:87], -v[24:25]
	s_waitcnt vmcnt(46) lgkmcnt(6)
	v_mul_f64 v[24:25], v[50:51], v[166:167]
	s_waitcnt vmcnt(44)
	v_fmac_f64_e32 v[24:25], v[52:53], v[170:171]
	v_add_f64 v[8:9], v[8:9], v[24:25]
	v_mul_f64 v[24:25], v[224:225], v[88:89]
	v_fma_f64 v[2:3], v[222:223], v[94:95], -v[24:25]
	s_waitcnt vmcnt(41) lgkmcnt(5)
	v_mul_f64 v[24:25], v[54:55], v[168:169]
	s_waitcnt vmcnt(40)
	v_fmac_f64_e32 v[24:25], v[56:57], v[172:173]
	v_add_f64 v[8:9], v[8:9], v[24:25]
	v_mul_f64 v[24:25], v[228:229], v[66:67]
	v_fma_f64 v[28:29], v[226:227], v[68:69], -v[24:25]
	ds_read_b128 v[66:69], v32 offset:1776
	s_waitcnt vmcnt(38) lgkmcnt(5)
	v_mul_f64 v[24:25], v[58:59], v[176:177]
	s_waitcnt vmcnt(36)
	v_fmac_f64_e32 v[24:25], v[60:61], v[112:113]
	v_add_f64 v[8:9], v[8:9], v[24:25]
	s_waitcnt vmcnt(34) lgkmcnt(4)
	v_mul_f64 v[24:25], v[62:63], v[26:27]
	s_waitcnt vmcnt(32)
	v_fmac_f64_e32 v[24:25], v[64:65], v[182:183]
	v_add_f64 v[8:9], v[8:9], v[24:25]
	;; [unrolled: 5-line block ×3, first 2 shown]
	s_waitcnt vmcnt(25)
	v_mul_f64 v[24:25], v[70:71], v[174:175]
	s_waitcnt vmcnt(24)
	v_fmac_f64_e32 v[24:25], v[72:73], v[184:185]
	v_add_f64 v[8:9], v[8:9], v[24:25]
	v_mul_f64 v[24:25], v[240:241], v[78:79]
	v_fma_f64 v[146:147], v[238:239], v[80:81], -v[24:25]
	ds_read_b128 v[78:81], v32 offset:1824
	s_waitcnt vmcnt(22)
	v_mul_f64 v[24:25], v[74:75], v[190:191]
	s_waitcnt vmcnt(20)
	v_fmac_f64_e32 v[24:25], v[76:77], v[192:193]
	v_add_f64 v[8:9], v[8:9], v[24:25]
	v_mul_f64 v[24:25], v[244:245], v[82:83]
	v_fma_f64 v[24:25], v[242:243], v[84:85], -v[24:25]
	ds_read_b128 v[82:85], v32 offset:1840
	s_waitcnt vmcnt(17) lgkmcnt(1)
	v_mul_f64 v[86:87], v[78:79], v[196:197]
	s_waitcnt vmcnt(16)
	v_fmac_f64_e32 v[86:87], v[80:81], v[198:199]
	v_add_f64 v[8:9], v[8:9], v[86:87]
	ds_read_b128 v[86:89], v32 offset:1856
	s_waitcnt vmcnt(13) lgkmcnt(1)
	v_mul_f64 v[94:95], v[82:83], v[200:201]
	s_waitcnt vmcnt(11)
	v_fmac_f64_e32 v[94:95], v[84:85], v[206:207]
	v_add_f64 v[8:9], v[8:9], v[94:95]
	v_add_f64 v[4:5], v[6:7], v[4:5]
	s_waitcnt vmcnt(10) lgkmcnt(0)
	v_mul_f64 v[94:95], v[86:87], v[194:195]
	s_waitcnt vmcnt(8)
	v_fmac_f64_e32 v[94:95], v[88:89], v[204:205]
	v_add_f64 v[8:9], v[8:9], v[94:95]
	s_waitcnt vmcnt(6)
	v_mul_f64 v[94:95], v[90:91], v[202:203]
	s_waitcnt vmcnt(4)
	v_fmac_f64_e32 v[94:95], v[92:93], v[208:209]
	v_add_f64 v[8:9], v[8:9], v[94:95]
	ds_read_b128 v[94:97], v32 offset:1888
	buffer_load_dword v215, off, s[0:3], 0 offset:940
	buffer_load_dword v214, off, s[0:3], 0 offset:936
	;; [unrolled: 1-line block ×4, first 2 shown]
	v_add_f64 v[2:3], v[4:5], v[2:3]
	v_add_f64 v[2:3], v[2:3], v[28:29]
	;; [unrolled: 1-line block ×3, first 2 shown]
	s_waitcnt vmcnt(5) lgkmcnt(0)
	v_mul_f64 v[98:99], v[94:95], v[210:211]
	s_waitcnt vmcnt(4)
	v_fmac_f64_e32 v[98:99], v[96:97], v[212:213]
	v_add_f64 v[8:9], v[8:9], v[98:99]
	ds_read_b128 v[98:101], v32 offset:1904
	buffer_load_dword v218, off, s[0:3], 0 offset:952
	buffer_load_dword v219, off, s[0:3], 0 offset:956
	;; [unrolled: 1-line block ×4, first 2 shown]
	v_accvgpr_read_b32 v4, a188
	v_accvgpr_read_b32 v2, a226
	;; [unrolled: 1-line block ×5, first 2 shown]
	v_add_f64 v[254:255], v[0:1], v[146:147]
	v_mul_f64 v[2:3], v[6:7], v[2:3]
	v_accvgpr_read_b32 v6, a192
	v_add_f64 v[0:1], v[254:255], v[24:25]
	v_accvgpr_read_b32 v5, a189
	v_accvgpr_read_b32 v7, a193
	v_add_f64 v[0:1], v[0:1], v[252:253]
	v_fma_f64 v[2:3], v[4:5], v[6:7], -v[2:3]
	v_add_f64 v[0:1], v[0:1], v[2:3]
	v_accvgpr_read_b32 v2, a194
	v_accvgpr_read_b32 v3, a195
	v_accvgpr_read_b32 v4, a196
	v_mul_f64 v[2:3], v[152:153], v[2:3]
	v_accvgpr_read_b32 v5, a197
	v_fma_f64 v[2:3], v[150:151], v[4:5], -v[2:3]
	v_add_f64 v[0:1], v[0:1], v[2:3]
	v_accvgpr_read_b32 v2, a198
	v_accvgpr_read_b32 v3, a199
	v_accvgpr_read_b32 v4, a200
	v_mul_f64 v[2:3], v[136:137], v[2:3]
	v_accvgpr_read_b32 v5, a201
	;; [unrolled: 7-line block ×7, first 2 shown]
	v_fma_f64 v[2:3], v[120:121], v[4:5], -v[2:3]
	v_add_f64 v[0:1], v[0:1], v[2:3]
	v_accvgpr_read_b32 v2, a222
	v_accvgpr_write_b32 a225, v233
	v_accvgpr_read_b32 v3, a223
	v_accvgpr_read_b32 v4, a224
	v_mul_f64 v[2:3], v[36:37], v[2:3]
	v_accvgpr_read_b32 v5, a225
	s_waitcnt vmcnt(6) lgkmcnt(0)
	v_mul_f64 v[102:103], v[98:99], v[214:215]
	v_fma_f64 v[2:3], v[34:35], v[4:5], -v[2:3]
	s_waitcnt vmcnt(4)
	v_fmac_f64_e32 v[102:103], v[100:101], v[216:217]
	v_add_f64 v[8:9], v[8:9], v[102:103]
	ds_read_b128 v[102:105], v32 offset:1920
	buffer_load_dword v223, off, s[0:3], 0 offset:972
	buffer_load_dword v222, off, s[0:3], 0 offset:968
	;; [unrolled: 1-line block ×4, first 2 shown]
	ds_read_b128 v[234:237], v32 offset:1936
	buffer_load_dword v226, off, s[0:3], 0 offset:984
	buffer_load_dword v227, off, s[0:3], 0 offset:988
	;; [unrolled: 1-line block ×4, first 2 shown]
	ds_read_b128 v[238:241], v32 offset:1952
	s_waitcnt vmcnt(10) lgkmcnt(2)
	v_mul_f64 v[114:115], v[102:103], v[218:219]
	s_waitcnt vmcnt(8)
	v_fmac_f64_e32 v[114:115], v[104:105], v[220:221]
	v_add_f64 v[8:9], v[8:9], v[114:115]
	buffer_load_dword v243, off, s[0:3], 0 offset:1004
	buffer_load_dword v242, off, s[0:3], 0 offset:1000
	;; [unrolled: 1-line block ×4, first 2 shown]
	v_add_f64 v[0:1], v[0:1], v[2:3]
	v_mul_f64 v[2:3], v[40:41], v[154:155]
	v_fma_f64 v[2:3], v[38:39], v[160:161], -v[2:3]
	v_add_f64 v[0:1], v[0:1], v[2:3]
	v_mul_f64 v[2:3], v[44:45], v[162:163]
	v_fma_f64 v[2:3], v[42:43], v[164:165], -v[2:3]
	;; [unrolled: 3-line block ×17, first 2 shown]
	v_add_f64 v[0:1], v[0:1], v[2:3]
	s_waitcnt vmcnt(10) lgkmcnt(1)
	v_mul_f64 v[114:115], v[234:235], v[222:223]
	v_mul_f64 v[2:3], v[236:237], v[222:223]
	s_waitcnt vmcnt(8)
	v_fmac_f64_e32 v[114:115], v[236:237], v[224:225]
	v_add_f64 v[8:9], v[8:9], v[114:115]
	s_waitcnt vmcnt(6) lgkmcnt(0)
	v_mul_f64 v[114:115], v[238:239], v[226:227]
	s_waitcnt vmcnt(4)
	v_fmac_f64_e32 v[114:115], v[240:241], v[228:229]
	v_add_f64 v[8:9], v[8:9], v[114:115]
	ds_read_b128 v[114:117], v32 offset:1968
	buffer_load_dword v248, off, s[0:3], 0 offset:128
	buffer_load_dword v249, off, s[0:3], 0 offset:132
	buffer_load_dword v246, off, s[0:3], 0 offset:136
	buffer_load_dword v247, off, s[0:3], 0 offset:140
	v_fma_f64 v[2:3], v[234:235], v[224:225], -v[2:3]
	v_add_f64 v[0:1], v[0:1], v[2:3]
	v_mul_f64 v[2:3], v[240:241], v[226:227]
	v_fma_f64 v[2:3], v[238:239], v[228:229], -v[2:3]
	v_add_f64 v[0:1], v[0:1], v[2:3]
	s_waitcnt vmcnt(6) lgkmcnt(0)
	v_mul_f64 v[2:3], v[116:117], v[242:243]
	v_mul_f64 v[232:233], v[114:115], v[242:243]
	s_waitcnt vmcnt(4)
	v_fma_f64 v[2:3], v[114:115], v[244:245], -v[2:3]
	v_fmac_f64_e32 v[232:233], v[116:117], v[244:245]
	v_add_f64 v[0:1], v[0:1], v[2:3]
	v_add_f64 v[8:9], v[8:9], v[232:233]
	s_waitcnt vmcnt(2)
	v_add_f64 v[0:1], v[248:249], -v[0:1]
	s_waitcnt vmcnt(0)
	v_add_f64 v[2:3], v[246:247], -v[8:9]
	buffer_store_dword v1, off, s[0:3], 0 offset:132
	buffer_store_dword v0, off, s[0:3], 0 offset:128
	;; [unrolled: 1-line block ×4, first 2 shown]
	v_accvgpr_read_b32 v0, a185
	v_cmp_lt_u32_e32 vcc, 6, v0
	s_and_saveexec_b64 s[4:5], vcc
	s_cbranch_execz .LBB61_385
; %bb.384:
	v_accvgpr_read_b32 v3, a179
	buffer_load_dword v0, v3, s[0:3], 0 offen
	buffer_load_dword v1, v3, s[0:3], 0 offen offset:4
	buffer_load_dword v2, v3, s[0:3], 0 offen offset:8
	s_nop 0
	buffer_load_dword v3, v3, s[0:3], 0 offen offset:12
	v_mov_b32_e32 v4, 0
	v_accvgpr_read_b32 v5, a186
	buffer_store_dword v4, off, s[0:3], 0 offset:112
	buffer_store_dword v4, off, s[0:3], 0 offset:116
	;; [unrolled: 1-line block ×4, first 2 shown]
	s_waitcnt vmcnt(4)
	ds_write_b128 v5, v[0:3]
.LBB61_385:
	s_or_b64 exec, exec, s[4:5]
	s_waitcnt lgkmcnt(0)
	; wave barrier
	s_waitcnt lgkmcnt(0)
	buffer_load_dword v2, off, s[0:3], 0 offset:128
	buffer_load_dword v3, off, s[0:3], 0 offset:132
	;; [unrolled: 1-line block ×42, first 2 shown]
	v_mov_b32_e32 v92, 0
	buffer_load_dword v83, off, s[0:3], 0 offset:276
	buffer_load_dword v82, off, s[0:3], 0 offset:272
	;; [unrolled: 1-line block ×7, first 2 shown]
	ds_read_b128 v[10:13], v92 offset:1104
	ds_read_b128 v[22:25], v92 offset:1120
	ds_read_b128 v[98:101], v92 offset:1136
	ds_read_b128 v[102:105], v92 offset:1152
	ds_read_b128 v[106:109], v92 offset:1168
	ds_read_b128 v[110:113], v92 offset:1184
	ds_read_b128 v[114:117], v92 offset:1200
	ds_read_b128 v[160:163], v92 offset:1216
	ds_read_b128 v[164:167], v92 offset:1232
	ds_read_b128 v[170:173], v92 offset:1248
	ds_read_b128 v[174:177], v92 offset:1264
	s_waitcnt vmcnt(45) lgkmcnt(10)
	v_mul_f64 v[0:1], v[10:11], v[4:5]
	v_fmac_f64_e32 v[0:1], v[12:13], v[2:3]
	v_add_f64 v[0:1], v[0:1], 0
	v_mul_f64 v[4:5], v[12:13], v[4:5]
	s_waitcnt vmcnt(41) lgkmcnt(9)
	v_mul_f64 v[56:57], v[22:23], v[8:9]
	v_fmac_f64_e32 v[56:57], v[24:25], v[136:137]
	s_waitcnt vmcnt(39) lgkmcnt(8)
	v_mul_f64 v[58:59], v[98:99], v[14:15]
	v_add_f64 v[0:1], v[0:1], v[56:57]
	s_waitcnt vmcnt(37) lgkmcnt(6)
	v_mul_f64 v[62:63], v[106:107], v[26:27]
	v_mul_f64 v[14:15], v[100:101], v[14:15]
	s_waitcnt vmcnt(35)
	v_fmac_f64_e32 v[62:63], v[108:109], v[28:29]
	v_mul_f64 v[26:27], v[108:109], v[26:27]
	s_waitcnt vmcnt(33)
	v_mul_f64 v[60:61], v[102:103], v[18:19]
	v_mul_f64 v[18:19], v[104:105], v[18:19]
	s_waitcnt vmcnt(31) lgkmcnt(4)
	v_mul_f64 v[66:67], v[114:115], v[34:35]
	v_mul_f64 v[34:35], v[116:117], v[34:35]
	s_waitcnt vmcnt(29)
	v_fmac_f64_e32 v[66:67], v[116:117], v[36:37]
	s_waitcnt vmcnt(27)
	v_mul_f64 v[64:65], v[110:111], v[30:31]
	s_waitcnt vmcnt(25) lgkmcnt(2)
	v_mul_f64 v[70:71], v[164:165], v[38:39]
	s_waitcnt vmcnt(22)
	v_mul_f64 v[68:69], v[160:161], v[44:45]
	s_waitcnt vmcnt(20) lgkmcnt(1)
	v_mul_f64 v[138:139], v[170:171], v[42:43]
	s_waitcnt vmcnt(18)
	v_fmac_f64_e32 v[58:59], v[100:101], v[16:17]
	v_add_f64 v[0:1], v[0:1], v[58:59]
	s_waitcnt vmcnt(16)
	v_fmac_f64_e32 v[60:61], v[104:105], v[20:21]
	v_add_f64 v[0:1], v[0:1], v[60:61]
	;; [unrolled: 3-line block ×3, first 2 shown]
	v_add_f64 v[0:1], v[0:1], v[64:65]
	s_waitcnt vmcnt(12)
	v_fmac_f64_e32 v[68:69], v[162:163], v[46:47]
	v_add_f64 v[0:1], v[0:1], v[66:67]
	s_waitcnt vmcnt(11)
	v_fmac_f64_e32 v[70:71], v[166:167], v[40:41]
	v_add_f64 v[0:1], v[0:1], v[68:69]
	v_add_f64 v[0:1], v[0:1], v[70:71]
	buffer_load_dword v72, off, s[0:3], 0 offset:312
	buffer_load_dword v199, off, s[0:3], 0 offset:308
	;; [unrolled: 1-line block ×53, first 2 shown]
	s_waitcnt vmcnt(58)
	v_fmac_f64_e32 v[138:139], v[172:173], v[82:83]
	v_add_f64 v[0:1], v[0:1], v[138:139]
	s_waitcnt lgkmcnt(0)
	v_mul_f64 v[138:139], v[174:175], v[236:237]
	v_fmac_f64_e32 v[138:139], v[176:177], v[50:51]
	v_add_f64 v[0:1], v[0:1], v[138:139]
	v_fma_f64 v[100:101], v[106:107], v[28:29], -v[26:27]
	s_waitcnt vmcnt(0)
	v_pk_mov_b32 v[122:123], v[90:91], v[90:91] op_sel:[0,1]
	buffer_load_dword v91, off, s[0:3], 0 offset:548
	buffer_load_dword v90, off, s[0:3], 0 offset:544
	v_accvgpr_write_b32 a193, v123
	v_accvgpr_write_b32 a192, v122
	s_waitcnt vmcnt(0)
	v_pk_mov_b32 v[124:125], v[90:91], v[90:91] op_sel:[0,1]
	buffer_load_dword v91, off, s[0:3], 0 offset:540
	buffer_load_dword v90, off, s[0:3], 0 offset:536
	;; [unrolled: 1-line block ×6, first 2 shown]
	v_accvgpr_write_b32 a195, v125
	v_accvgpr_write_b32 a194, v124
	s_waitcnt vmcnt(0)
	v_pk_mov_b32 v[126:127], v[118:119], v[118:119] op_sel:[0,1]
	buffer_load_dword v119, off, s[0:3], 0 offset:580
	buffer_load_dword v118, off, s[0:3], 0 offset:576
	v_accvgpr_write_b32 a209, v127
	v_accvgpr_write_b32 a208, v126
	s_waitcnt vmcnt(0)
	v_pk_mov_b32 v[128:129], v[118:119], v[118:119] op_sel:[0,1]
	buffer_load_dword v119, off, s[0:3], 0 offset:572
	buffer_load_dword v118, off, s[0:3], 0 offset:568
	;; [unrolled: 6-line block ×7, first 2 shown]
	ds_read_b128 v[178:181], v92 offset:1280
	ds_read_b128 v[182:185], v92 offset:1296
	;; [unrolled: 1-line block ×7, first 2 shown]
	s_waitcnt lgkmcnt(6)
	v_mul_f64 v[138:139], v[178:179], v[72:73]
	v_fmac_f64_e32 v[138:139], v[180:181], v[198:199]
	v_add_f64 v[0:1], v[0:1], v[138:139]
	s_waitcnt lgkmcnt(5)
	v_mul_f64 v[138:139], v[182:183], v[54:55]
	v_fmac_f64_e32 v[138:139], v[184:185], v[52:53]
	v_add_f64 v[0:1], v[0:1], v[138:139]
	;; [unrolled: 4-line block ×4, first 2 shown]
	s_waitcnt lgkmcnt(2)
	v_mul_f64 v[138:139], v[194:195], v[252:253]
	v_fmac_f64_e32 v[138:139], v[196:197], v[254:255]
	s_waitcnt lgkmcnt(1)
	v_mul_f64 v[142:143], v[204:205], v[250:251]
	v_add_f64 v[0:1], v[0:1], v[138:139]
	v_fmac_f64_e32 v[142:143], v[206:207], v[96:97]
	s_waitcnt lgkmcnt(0)
	v_mul_f64 v[144:145], v[210:211], v[84:85]
	v_add_f64 v[0:1], v[0:1], v[142:143]
	v_fmac_f64_e32 v[144:145], v[212:213], v[94:95]
	v_add_f64 v[0:1], v[0:1], v[144:145]
	v_fma_f64 v[138:139], v[10:11], v[2:3], -v[4:5]
	v_accvgpr_write_b32 a217, v153
	v_accvgpr_write_b32 a216, v152
	s_waitcnt vmcnt(0)
	v_pk_mov_b32 v[154:155], v[118:119], v[118:119] op_sel:[0,1]
	buffer_load_dword v119, off, s[0:3], 0 offset:636
	buffer_load_dword v118, off, s[0:3], 0 offset:632
	v_accvgpr_write_b32 a219, v155
	v_accvgpr_write_b32 a218, v154
	s_waitcnt vmcnt(0)
	v_pk_mov_b32 v[156:157], v[118:119], v[118:119] op_sel:[0,1]
	buffer_load_dword v119, off, s[0:3], 0 offset:628
	buffer_load_dword v118, off, s[0:3], 0 offset:624
	ds_read_b128 v[214:217], v92 offset:1392
	v_accvgpr_write_b32 a221, v157
	v_accvgpr_write_b32 a220, v156
	s_waitcnt lgkmcnt(0)
	v_mul_f64 v[146:147], v[214:215], v[56:57]
	v_fmac_f64_e32 v[146:147], v[216:217], v[58:59]
	v_add_f64 v[0:1], v[0:1], v[146:147]
	s_waitcnt vmcnt(0)
	v_pk_mov_b32 v[158:159], v[118:119], v[118:119] op_sel:[0,1]
	buffer_load_dword v118, off, s[0:3], 0 offset:648
	buffer_load_dword v119, off, s[0:3], 0 offset:652
	v_accvgpr_write_b32 a223, v159
	v_accvgpr_write_b32 a222, v158
	s_waitcnt vmcnt(0)
	v_pk_mov_b32 v[168:169], v[118:119], v[118:119] op_sel:[0,1]
	buffer_load_dword v118, off, s[0:3], 0 offset:640
	buffer_load_dword v119, off, s[0:3], 0 offset:644
	ds_read_b128 v[218:221], v92 offset:1408
	ds_read_b128 v[222:225], v92 offset:1424
	;; [unrolled: 1-line block ×4, first 2 shown]
	buffer_load_dword v7, off, s[0:3], 0 offset:668
	buffer_load_dword v6, off, s[0:3], 0 offset:664
	;; [unrolled: 1-line block ×4, first 2 shown]
	s_waitcnt lgkmcnt(3)
	v_mul_f64 v[146:147], v[218:219], v[60:61]
	v_fmac_f64_e32 v[146:147], v[220:221], v[70:71]
	v_add_f64 v[0:1], v[0:1], v[146:147]
	s_waitcnt lgkmcnt(2)
	v_mul_f64 v[146:147], v[222:223], v[62:63]
	ds_read_b128 v[238:241], v92 offset:1472
	ds_read_b128 v[242:245], v92 offset:1488
	v_fmac_f64_e32 v[146:147], v[224:225], v[64:65]
	s_waitcnt lgkmcnt(3)
	v_mul_f64 v[150:151], v[226:227], v[66:67]
	v_add_f64 v[0:1], v[0:1], v[146:147]
	v_fmac_f64_e32 v[150:151], v[228:229], v[68:69]
	v_add_f64 v[0:1], v[0:1], v[150:151]
	s_waitcnt lgkmcnt(2)
	v_mul_f64 v[150:151], v[230:231], v[74:75]
	ds_read_b128 v[246:249], v92 offset:1504
	ds_read_b128 v[10:13], v92 offset:1520
	v_fmac_f64_e32 v[150:151], v[232:233], v[76:77]
	v_add_f64 v[0:1], v[0:1], v[150:151]
	s_waitcnt lgkmcnt(3)
	v_mul_f64 v[150:151], v[238:239], v[78:79]
	v_fmac_f64_e32 v[150:151], v[240:241], v[80:81]
	v_add_f64 v[0:1], v[0:1], v[150:151]
	s_waitcnt lgkmcnt(2)
	v_mul_f64 v[150:151], v[242:243], v[86:87]
	v_fmac_f64_e32 v[150:151], v[244:245], v[88:89]
	s_waitcnt lgkmcnt(1)
	v_mul_f64 v[4:5], v[246:247], v[90:91]
	v_add_f64 v[0:1], v[0:1], v[150:151]
	v_fmac_f64_e32 v[4:5], v[248:249], v[48:49]
	v_add_f64 v[0:1], v[0:1], v[4:5]
	v_mul_f64 v[4:5], v[24:25], v[8:9]
	v_fma_f64 v[136:137], v[22:23], v[136:137], -v[4:5]
	ds_read_b128 v[22:25], v92 offset:1536
	s_waitcnt lgkmcnt(1)
	v_pk_mov_b32 v[2:3], v[10:11], v[10:11] op_sel:[0,1]
	v_pk_mov_b32 v[4:5], v[12:13], v[12:13] op_sel:[0,1]
	v_mul_f64 v[10:11], v[2:3], v[122:123]
	v_fmac_f64_e32 v[10:11], v[4:5], v[124:125]
	v_add_f64 v[0:1], v[0:1], v[10:11]
	ds_read_b128 v[8:11], v92 offset:1552
	v_accvgpr_write_b32 a191, v5
	v_accvgpr_write_b32 a190, v4
	;; [unrolled: 1-line block ×4, first 2 shown]
	s_waitcnt lgkmcnt(1)
	v_pk_mov_b32 v[2:3], v[22:23], v[22:23] op_sel:[0,1]
	ds_read_b128 v[144:147], v92 offset:1568
	ds_read_b128 v[140:143], v92 offset:1584
	v_pk_mov_b32 v[4:5], v[24:25], v[24:25] op_sel:[0,1]
	v_mul_f64 v[22:23], v[2:3], v[132:133]
	v_fmac_f64_e32 v[22:23], v[4:5], v[134:135]
	v_add_f64 v[0:1], v[0:1], v[22:23]
	s_waitcnt lgkmcnt(2)
	v_mul_f64 v[22:23], v[8:9], v[126:127]
	v_fmac_f64_e32 v[22:23], v[10:11], v[128:129]
	v_add_f64 v[0:1], v[0:1], v[22:23]
	s_waitcnt lgkmcnt(1)
	v_mul_f64 v[22:23], v[144:145], v[152:153]
	v_fmac_f64_e32 v[22:23], v[146:147], v[154:155]
	ds_read_b128 v[132:135], v92 offset:1600
	v_add_f64 v[0:1], v[0:1], v[22:23]
	s_waitcnt lgkmcnt(1)
	v_mul_f64 v[22:23], v[140:141], v[130:131]
	ds_read_b128 v[128:131], v92 offset:1616
	ds_read_b128 v[124:127], v92 offset:1632
	buffer_load_dword v123, off, s[0:3], 0 offset:684
	buffer_load_dword v122, off, s[0:3], 0 offset:680
	v_fma_f64 v[150:151], v[98:99], v[16:17], -v[14:15]
	v_accvgpr_write_b32 a207, v11
	v_fma_f64 v[98:99], v[102:103], v[20:21], -v[18:19]
	v_fmac_f64_e32 v[22:23], v[142:143], v[148:149]
	s_waitcnt lgkmcnt(2)
	v_mul_f64 v[102:103], v[132:133], v[156:157]
	buffer_load_dword v157, off, s[0:3], 0 offset:676
	buffer_load_dword v156, off, s[0:3], 0 offset:672
	v_accvgpr_write_b32 a206, v10
	v_accvgpr_write_b32 a205, v9
	;; [unrolled: 1-line block ×3, first 2 shown]
	v_add_f64 v[0:1], v[0:1], v[22:23]
	v_fmac_f64_e32 v[102:103], v[134:135], v[158:159]
	s_waitcnt lgkmcnt(1)
	v_mul_f64 v[8:9], v[128:129], v[168:169]
	buffer_load_dword v152, off, s[0:3], 0 offset:712
	buffer_load_dword v154, off, s[0:3], 0 offset:704
	;; [unrolled: 1-line block ×4, first 2 shown]
	v_add_f64 v[102:103], v[0:1], v[102:103]
	v_accvgpr_write_b32 a225, v169
	v_accvgpr_write_b32 a224, v168
	v_mul_f64 v[10:11], v[172:173], v[42:43]
	v_fma_f64 v[18:19], v[170:171], v[82:83], -v[10:11]
	s_waitcnt vmcnt(12)
	v_fmac_f64_e32 v[8:9], v[130:131], v[118:119]
	v_add_f64 v[8:9], v[102:103], v[8:9]
	v_fma_f64 v[102:103], v[114:115], v[36:37], -v[34:35]
	v_mul_f64 v[34:35], v[162:163], v[44:45]
	v_fma_f64 v[104:105], v[160:161], v[46:47], -v[34:35]
	buffer_load_dword v163, off, s[0:3], 0 offset:692
	buffer_load_dword v162, off, s[0:3], 0 offset:688
	;; [unrolled: 1-line block ×4, first 2 shown]
	v_mul_f64 v[34:35], v[166:167], v[38:39]
	v_fma_f64 v[24:25], v[164:165], v[40:41], -v[34:35]
	buffer_load_dword v160, off, s[0:3], 0 offset:744
	buffer_load_dword v165, off, s[0:3], 0 offset:732
	;; [unrolled: 1-line block ×8, first 2 shown]
	v_mul_f64 v[34:35], v[176:177], v[236:237]
	v_fma_f64 v[14:15], v[174:175], v[50:51], -v[34:35]
	v_mul_f64 v[16:17], v[180:181], v[72:73]
	buffer_load_dword v171, off, s[0:3], 0 offset:780
	buffer_load_dword v175, off, s[0:3], 0 offset:764
	;; [unrolled: 1-line block ×6, first 2 shown]
	v_fma_f64 v[16:17], v[178:179], v[198:199], -v[16:17]
	buffer_load_dword v179, off, s[0:3], 0 offset:772
	buffer_load_dword v178, off, s[0:3], 0 offset:768
	v_mul_f64 v[34:35], v[184:185], v[54:55]
	v_fma_f64 v[198:199], v[182:183], v[52:53], -v[34:35]
	buffer_load_dword v172, off, s[0:3], 0 offset:808
	buffer_load_dword v183, off, s[0:3], 0 offset:796
	;; [unrolled: 1-line block ×8, first 2 shown]
	v_mul_f64 v[42:43], v[188:189], v[208:209]
	ds_read_b128 v[38:41], v92 offset:1648
	ds_read_b128 v[34:37], v92 offset:1664
	v_fma_f64 v[12:13], v[186:187], v[234:235], -v[42:43]
	buffer_load_dword v187, off, s[0:3], 0 offset:828
	buffer_load_dword v186, off, s[0:3], 0 offset:824
	;; [unrolled: 1-line block ×4, first 2 shown]
	v_mul_f64 v[42:43], v[192:193], v[200:201]
	v_fma_f64 v[10:11], v[190:191], v[202:203], -v[42:43]
	buffer_load_dword v190, off, s[0:3], 0 offset:840
	buffer_load_dword v192, off, s[0:3], 0 offset:832
	;; [unrolled: 1-line block ×4, first 2 shown]
	v_mul_f64 v[22:23], v[196:197], v[252:253]
	v_fma_f64 v[22:23], v[194:195], v[254:255], -v[22:23]
	buffer_load_dword v197, off, s[0:3], 0 offset:860
	buffer_load_dword v196, off, s[0:3], 0 offset:856
	;; [unrolled: 1-line block ×8, first 2 shown]
	v_mul_f64 v[42:43], v[206:207], v[250:251]
	v_fma_f64 v[252:253], v[204:205], v[96:97], -v[42:43]
	buffer_load_dword v194, off, s[0:3], 0 offset:904
	buffer_load_dword v207, off, s[0:3], 0 offset:892
	;; [unrolled: 1-line block ×8, first 2 shown]
	s_waitcnt vmcnt(62) lgkmcnt(2)
	v_mul_f64 v[44:45], v[124:125], v[6:7]
	s_waitcnt vmcnt(60)
	v_fmac_f64_e32 v[44:45], v[126:127], v[120:121]
	v_mul_f64 v[42:43], v[212:213], v[84:85]
	v_mul_f64 v[0:1], v[112:113], v[30:31]
	v_add_f64 v[8:9], v[8:9], v[44:45]
	v_fma_f64 v[250:251], v[210:211], v[94:95], -v[42:43]
	ds_read_b128 v[42:45], v92 offset:1680
	v_fma_f64 v[26:27], v[110:111], v[32:33], -v[0:1]
	ds_read_b128 v[30:33], v92 offset:1696
	v_accvgpr_write_b32 a231, v7
	v_mul_f64 v[50:51], v[216:217], v[56:57]
	v_accvgpr_write_b32 a230, v6
	v_fma_f64 v[6:7], v[214:215], v[58:59], -v[50:51]
	ds_read_b128 v[50:53], v92 offset:1712
	ds_read_b128 v[54:57], v92 offset:1728
	v_accvgpr_write_b32 a199, v5
	v_mul_f64 v[62:63], v[224:225], v[62:63]
	v_accvgpr_write_b32 a198, v4
	v_accvgpr_write_b32 a197, v3
	;; [unrolled: 1-line block ×3, first 2 shown]
	v_fma_f64 v[4:5], v[222:223], v[64:65], -v[62:63]
	v_mul_f64 v[66:67], v[228:229], v[66:67]
	v_fma_f64 v[210:211], v[226:227], v[68:69], -v[66:67]
	ds_read_b128 v[66:69], v92 offset:1776
	ds_read_b128 v[82:85], v92 offset:1840
	v_accvgpr_write_b32 a229, v121
	v_accvgpr_write_b32 a227, v119
	;; [unrolled: 1-line block ×3, first 2 shown]
	s_waitcnt vmcnt(58) lgkmcnt(7)
	v_mul_f64 v[46:47], v[38:39], v[122:123]
	v_add_f64 v[120:121], v[138:139], 0
	v_accvgpr_write_b32 a226, v118
	v_add_f64 v[118:119], v[120:121], v[136:137]
	v_add_f64 v[118:119], v[118:119], v[150:151]
	ds_read_b128 v[62:65], v92 offset:1760
	s_waitcnt vmcnt(56)
	v_fmac_f64_e32 v[46:47], v[40:41], v[156:157]
	v_add_f64 v[8:9], v[8:9], v[46:47]
	v_add_f64 v[98:99], v[118:119], v[98:99]
	;; [unrolled: 1-line block ×6, first 2 shown]
	s_waitcnt vmcnt(52) lgkmcnt(7)
	v_mul_f64 v[46:47], v[34:35], v[158:159]
	v_add_f64 v[24:25], v[26:27], v[24:25]
	v_add_f64 v[18:19], v[24:25], v[18:19]
	;; [unrolled: 1-line block ×8, first 2 shown]
	s_waitcnt vmcnt(50)
	v_fmac_f64_e32 v[46:47], v[36:37], v[162:163]
	v_add_f64 v[8:9], v[8:9], v[46:47]
	s_waitcnt vmcnt(49) lgkmcnt(6)
	v_mul_f64 v[46:47], v[42:43], v[152:153]
	s_waitcnt vmcnt(48)
	v_fmac_f64_e32 v[46:47], v[44:45], v[154:155]
	s_waitcnt vmcnt(45) lgkmcnt(5)
	v_mul_f64 v[20:21], v[30:31], v[164:165]
	v_add_f64 v[8:9], v[8:9], v[46:47]
	s_waitcnt vmcnt(43)
	v_fmac_f64_e32 v[20:21], v[32:33], v[168:169]
	s_waitcnt vmcnt(41) lgkmcnt(4)
	v_mul_f64 v[58:59], v[50:51], v[160:161]
	v_add_f64 v[8:9], v[8:9], v[20:21]
	s_waitcnt vmcnt(40)
	v_fmac_f64_e32 v[58:59], v[52:53], v[166:167]
	v_mul_f64 v[20:21], v[220:221], v[60:61]
	v_add_f64 v[8:9], v[8:9], v[58:59]
	ds_read_b128 v[58:61], v92 offset:1744
	s_waitcnt vmcnt(37) lgkmcnt(4)
	v_mul_f64 v[28:29], v[54:55], v[174:175]
	s_waitcnt vmcnt(35)
	v_fmac_f64_e32 v[28:29], v[56:57], v[176:177]
	v_add_f64 v[8:9], v[8:9], v[28:29]
	v_fma_f64 v[20:21], v[218:219], v[70:71], -v[20:21]
	s_waitcnt vmcnt(34) lgkmcnt(0)
	v_mul_f64 v[28:29], v[58:59], v[170:171]
	s_waitcnt vmcnt(32)
	v_fmac_f64_e32 v[28:29], v[60:61], v[178:179]
	v_add_f64 v[8:9], v[8:9], v[28:29]
	s_waitcnt vmcnt(29)
	v_mul_f64 v[28:29], v[62:63], v[182:183]
	ds_read_b128 v[70:73], v92 offset:1792
	s_waitcnt vmcnt(27)
	v_fmac_f64_e32 v[28:29], v[64:65], v[184:185]
	v_add_f64 v[8:9], v[8:9], v[28:29]
	s_waitcnt vmcnt(25)
	v_mul_f64 v[28:29], v[66:67], v[172:173]
	s_waitcnt vmcnt(24)
	v_fmac_f64_e32 v[28:29], v[68:69], v[180:181]
	v_add_f64 v[8:9], v[8:9], v[28:29]
	v_mul_f64 v[28:29], v[232:233], v[74:75]
	v_fma_f64 v[2:3], v[230:231], v[76:77], -v[28:29]
	s_waitcnt vmcnt(22) lgkmcnt(0)
	v_mul_f64 v[28:29], v[70:71], v[186:187]
	ds_read_b128 v[74:77], v92 offset:1808
	s_waitcnt vmcnt(20)
	v_fmac_f64_e32 v[28:29], v[72:73], v[188:189]
	v_add_f64 v[8:9], v[8:9], v[28:29]
	v_mul_f64 v[28:29], v[240:241], v[78:79]
	v_fma_f64 v[0:1], v[238:239], v[80:81], -v[28:29]
	ds_read_b128 v[78:81], v92 offset:1824
	s_waitcnt vmcnt(17) lgkmcnt(1)
	v_mul_f64 v[28:29], v[74:75], v[190:191]
	s_waitcnt vmcnt(16)
	v_fmac_f64_e32 v[28:29], v[76:77], v[192:193]
	v_add_f64 v[8:9], v[8:9], v[28:29]
	v_mul_f64 v[28:29], v[244:245], v[86:87]
	v_fma_f64 v[148:149], v[242:243], v[88:89], -v[28:29]
	s_waitcnt vmcnt(14) lgkmcnt(0)
	v_mul_f64 v[28:29], v[78:79], v[196:197]
	s_waitcnt vmcnt(12)
	v_fmac_f64_e32 v[28:29], v[80:81], v[200:201]
	ds_read_b128 v[86:89], v92 offset:1856
	v_add_f64 v[28:29], v[8:9], v[28:29]
	v_mul_f64 v[8:9], v[248:249], v[90:91]
	v_fma_f64 v[8:9], v[246:247], v[48:49], -v[8:9]
	ds_read_b128 v[46:49], v92 offset:1872
	s_waitcnt vmcnt(10)
	v_mul_f64 v[94:95], v[82:83], v[254:255]
	s_waitcnt vmcnt(8)
	v_fmac_f64_e32 v[94:95], v[84:85], v[202:203]
	v_add_f64 v[28:29], v[28:29], v[94:95]
	s_waitcnt vmcnt(5) lgkmcnt(1)
	v_mul_f64 v[94:95], v[86:87], v[206:207]
	s_waitcnt vmcnt(3)
	v_fmac_f64_e32 v[94:95], v[88:89], v[208:209]
	v_add_f64 v[28:29], v[28:29], v[94:95]
	s_waitcnt vmcnt(1) lgkmcnt(0)
	v_mul_f64 v[94:95], v[46:47], v[194:195]
	s_waitcnt vmcnt(0)
	v_fmac_f64_e32 v[94:95], v[48:49], v[204:205]
	v_add_f64 v[106:107], v[28:29], v[94:95]
	buffer_load_dword v29, off, s[0:3], 0 offset:924
	buffer_load_dword v28, off, s[0:3], 0 offset:920
	buffer_load_dword v213, off, s[0:3], 0 offset:916
	buffer_load_dword v212, off, s[0:3], 0 offset:912
	ds_read_b128 v[94:97], v92 offset:1888
	buffer_load_dword v214, off, s[0:3], 0 offset:936
	buffer_load_dword v215, off, s[0:3], 0 offset:940
	buffer_load_dword v216, off, s[0:3], 0 offset:928
	buffer_load_dword v217, off, s[0:3], 0 offset:932
	ds_read_b128 v[232:235], v92 offset:1904
	;; [unrolled: 5-line block ×3, first 2 shown]
	buffer_load_dword v222, off, s[0:3], 0 offset:968
	buffer_load_dword v223, off, s[0:3], 0 offset:972
	;; [unrolled: 1-line block ×4, first 2 shown]
	v_add_f64 v[10:11], v[10:11], v[252:253]
	v_add_f64 v[10:11], v[10:11], v[250:251]
	;; [unrolled: 1-line block ×8, first 2 shown]
	v_accvgpr_read_b32 v4, a188
	v_accvgpr_read_b32 v2, a192
	;; [unrolled: 1-line block ×5, first 2 shown]
	v_mul_f64 v[2:3], v[6:7], v[2:3]
	v_accvgpr_read_b32 v6, a194
	v_add_f64 v[252:253], v[0:1], v[148:149]
	v_accvgpr_read_b32 v5, a189
	v_accvgpr_read_b32 v7, a195
	v_add_f64 v[0:1], v[252:253], v[8:9]
	v_fma_f64 v[2:3], v[4:5], v[6:7], -v[2:3]
	v_add_f64 v[0:1], v[0:1], v[2:3]
	v_accvgpr_read_b32 v4, a196
	v_accvgpr_read_b32 v2, a200
	;; [unrolled: 1-line block ×5, first 2 shown]
	v_mul_f64 v[2:3], v[6:7], v[2:3]
	v_accvgpr_read_b32 v6, a202
	v_accvgpr_read_b32 v5, a197
	;; [unrolled: 1-line block ×3, first 2 shown]
	v_fma_f64 v[2:3], v[4:5], v[6:7], -v[2:3]
	v_add_f64 v[0:1], v[0:1], v[2:3]
	v_accvgpr_read_b32 v4, a204
	v_accvgpr_read_b32 v2, a208
	;; [unrolled: 1-line block ×5, first 2 shown]
	v_mul_f64 v[2:3], v[6:7], v[2:3]
	v_accvgpr_read_b32 v6, a210
	v_accvgpr_read_b32 v5, a205
	;; [unrolled: 1-line block ×3, first 2 shown]
	v_fma_f64 v[2:3], v[4:5], v[6:7], -v[2:3]
	v_add_f64 v[0:1], v[0:1], v[2:3]
	v_accvgpr_read_b32 v2, a216
	v_accvgpr_read_b32 v3, a217
	v_accvgpr_read_b32 v4, a218
	v_mul_f64 v[2:3], v[146:147], v[2:3]
	v_accvgpr_read_b32 v5, a219
	v_fma_f64 v[2:3], v[144:145], v[4:5], -v[2:3]
	v_add_f64 v[0:1], v[0:1], v[2:3]
	v_accvgpr_read_b32 v2, a212
	v_accvgpr_read_b32 v3, a213
	v_accvgpr_read_b32 v4, a214
	v_mul_f64 v[2:3], v[142:143], v[2:3]
	v_accvgpr_read_b32 v5, a215
	;; [unrolled: 7-line block ×4, first 2 shown]
	v_fma_f64 v[2:3], v[128:129], v[4:5], -v[2:3]
	v_add_f64 v[0:1], v[0:1], v[2:3]
	s_waitcnt vmcnt(14) lgkmcnt(2)
	v_mul_f64 v[108:109], v[94:95], v[28:29]
	v_accvgpr_read_b32 v2, a230
	s_waitcnt vmcnt(12)
	v_fmac_f64_e32 v[108:109], v[96:97], v[212:213]
	v_add_f64 v[106:107], v[106:107], v[108:109]
	s_waitcnt vmcnt(10) lgkmcnt(1)
	v_mul_f64 v[108:109], v[232:233], v[214:215]
	s_waitcnt vmcnt(8)
	v_fmac_f64_e32 v[108:109], v[234:235], v[216:217]
	v_add_f64 v[106:107], v[106:107], v[108:109]
	s_waitcnt vmcnt(6) lgkmcnt(0)
	v_mul_f64 v[108:109], v[238:239], v[218:219]
	s_waitcnt vmcnt(4)
	v_fmac_f64_e32 v[108:109], v[240:241], v[220:221]
	v_add_f64 v[110:111], v[106:107], v[108:109]
	ds_read_b128 v[106:109], v92 offset:1936
	buffer_load_dword v227, off, s[0:3], 0 offset:988
	buffer_load_dword v226, off, s[0:3], 0 offset:984
	;; [unrolled: 1-line block ×4, first 2 shown]
	v_accvgpr_read_b32 v3, a231
	v_accvgpr_read_b32 v4, a228
	v_mul_f64 v[2:3], v[126:127], v[2:3]
	s_waitcnt vmcnt(6) lgkmcnt(0)
	v_mul_f64 v[112:113], v[106:107], v[222:223]
	s_waitcnt vmcnt(4)
	v_fmac_f64_e32 v[112:113], v[108:109], v[224:225]
	v_add_f64 v[114:115], v[110:111], v[112:113]
	ds_read_b128 v[110:113], v92 offset:1952
	buffer_load_dword v242, off, s[0:3], 0 offset:1000
	buffer_load_dword v243, off, s[0:3], 0 offset:1004
	buffer_load_dword v244, off, s[0:3], 0 offset:992
	buffer_load_dword v245, off, s[0:3], 0 offset:996
	v_accvgpr_read_b32 v5, a229
	v_fma_f64 v[2:3], v[124:125], v[4:5], -v[2:3]
	v_add_f64 v[0:1], v[0:1], v[2:3]
	v_mul_f64 v[2:3], v[40:41], v[122:123]
	v_fma_f64 v[2:3], v[38:39], v[156:157], -v[2:3]
	v_add_f64 v[0:1], v[0:1], v[2:3]
	v_mul_f64 v[2:3], v[36:37], v[158:159]
	;; [unrolled: 3-line block ×19, first 2 shown]
	v_fma_f64 v[2:3], v[106:107], v[224:225], -v[2:3]
	v_add_f64 v[0:1], v[0:1], v[2:3]
	s_waitcnt vmcnt(6) lgkmcnt(0)
	v_mul_f64 v[116:117], v[110:111], v[226:227]
	v_mul_f64 v[2:3], v[112:113], v[226:227]
	s_waitcnt vmcnt(4)
	v_fmac_f64_e32 v[116:117], v[112:113], v[228:229]
	v_add_f64 v[230:231], v[114:115], v[116:117]
	ds_read_b128 v[114:117], v92 offset:1968
	buffer_load_dword v248, off, s[0:3], 0 offset:112
	buffer_load_dword v249, off, s[0:3], 0 offset:116
	v_fma_f64 v[2:3], v[110:111], v[228:229], -v[2:3]
	v_add_f64 v[0:1], v[0:1], v[2:3]
	s_waitcnt vmcnt(4) lgkmcnt(0)
	v_mul_f64 v[246:247], v[114:115], v[242:243]
	s_waitcnt vmcnt(2)
	v_fmac_f64_e32 v[246:247], v[116:117], v[244:245]
	v_add_f64 v[230:231], v[230:231], v[246:247]
	buffer_load_dword v246, off, s[0:3], 0 offset:120
	buffer_load_dword v247, off, s[0:3], 0 offset:124
	v_mul_f64 v[2:3], v[116:117], v[242:243]
	v_fma_f64 v[2:3], v[114:115], v[244:245], -v[2:3]
	v_add_f64 v[0:1], v[0:1], v[2:3]
	s_waitcnt vmcnt(2)
	v_add_f64 v[0:1], v[248:249], -v[0:1]
	s_waitcnt vmcnt(0)
	v_add_f64 v[2:3], v[246:247], -v[230:231]
	buffer_store_dword v1, off, s[0:3], 0 offset:116
	buffer_store_dword v0, off, s[0:3], 0 offset:112
	;; [unrolled: 1-line block ×4, first 2 shown]
	v_accvgpr_read_b32 v0, a185
	v_cmp_lt_u32_e32 vcc, 5, v0
	s_and_saveexec_b64 s[4:5], vcc
	s_cbranch_execz .LBB61_387
; %bb.386:
	v_accvgpr_read_b32 v3, a180
	buffer_load_dword v0, v3, s[0:3], 0 offen
	buffer_load_dword v1, v3, s[0:3], 0 offen offset:4
	buffer_load_dword v2, v3, s[0:3], 0 offen offset:8
	s_nop 0
	buffer_load_dword v3, v3, s[0:3], 0 offen offset:12
	v_accvgpr_read_b32 v4, a186
	buffer_store_dword v92, off, s[0:3], 0 offset:96
	buffer_store_dword v92, off, s[0:3], 0 offset:100
	buffer_store_dword v92, off, s[0:3], 0 offset:104
	buffer_store_dword v92, off, s[0:3], 0 offset:108
	s_waitcnt vmcnt(4)
	ds_write_b128 v4, v[0:3]
.LBB61_387:
	s_or_b64 exec, exec, s[4:5]
	s_waitcnt lgkmcnt(0)
	; wave barrier
	s_waitcnt lgkmcnt(0)
	buffer_load_dword v4, off, s[0:3], 0 offset:112
	buffer_load_dword v5, off, s[0:3], 0 offset:116
	;; [unrolled: 1-line block ×42, first 2 shown]
	ds_read_b128 v[102:105], v92 offset:1088
	ds_read_b128 v[106:109], v92 offset:1104
	;; [unrolled: 1-line block ×10, first 2 shown]
	buffer_load_dword v1, off, s[0:3], 0 offset:260
	buffer_load_dword v0, off, s[0:3], 0 offset:256
	ds_read_b128 v[38:41], v92 offset:1248
	buffer_load_dword v87, off, s[0:3], 0 offset:316
	buffer_load_dword v86, off, s[0:3], 0 offset:312
	;; [unrolled: 1-line block ×6, first 2 shown]
	s_waitcnt vmcnt(46) lgkmcnt(10)
	v_mul_f64 v[56:57], v[102:103], v[10:11]
	v_fmac_f64_e32 v[56:57], v[104:105], v[4:5]
	v_add_f64 v[56:57], v[56:57], 0
	v_mul_f64 v[10:11], v[104:105], v[10:11]
	s_waitcnt vmcnt(42) lgkmcnt(9)
	v_mul_f64 v[58:59], v[106:107], v[8:9]
	v_fmac_f64_e32 v[58:59], v[108:109], v[2:3]
	s_waitcnt vmcnt(40) lgkmcnt(8)
	v_mul_f64 v[62:63], v[110:111], v[6:7]
	v_add_f64 v[56:57], v[56:57], v[58:59]
	s_waitcnt vmcnt(38) lgkmcnt(6)
	v_mul_f64 v[66:67], v[150:151], v[14:15]
	v_fma_f64 v[232:233], v[102:103], v[4:5], -v[10:11]
	s_waitcnt vmcnt(36)
	v_fmac_f64_e32 v[66:67], v[152:153], v[144:145]
	v_mul_f64 v[8:9], v[108:109], v[8:9]
	s_waitcnt vmcnt(34)
	v_mul_f64 v[64:65], v[114:115], v[142:143]
	v_fma_f64 v[234:235], v[106:107], v[2:3], -v[8:9]
	s_waitcnt vmcnt(32) lgkmcnt(4)
	v_mul_f64 v[70:71], v[158:159], v[26:27]
	v_mul_f64 v[6:7], v[112:113], v[6:7]
	s_waitcnt vmcnt(30)
	v_fmac_f64_e32 v[70:71], v[160:161], v[28:29]
	v_mul_f64 v[10:11], v[116:117], v[142:143]
	s_waitcnt vmcnt(28)
	v_mul_f64 v[68:69], v[154:155], v[146:147]
	v_mul_f64 v[14:15], v[152:153], v[14:15]
	s_waitcnt vmcnt(26) lgkmcnt(2)
	v_mul_f64 v[74:75], v[42:43], v[46:47]
	v_mul_f64 v[26:27], v[160:161], v[26:27]
	s_waitcnt vmcnt(23)
	v_mul_f64 v[72:73], v[162:163], v[30:31]
	v_mul_f64 v[30:31], v[164:165], v[30:31]
	s_waitcnt vmcnt(21) lgkmcnt(1)
	v_mul_f64 v[134:135], v[34:35], v[50:51]
	s_waitcnt vmcnt(19)
	v_fmac_f64_e32 v[62:63], v[112:113], v[24:25]
	v_add_f64 v[56:57], v[56:57], v[62:63]
	s_waitcnt vmcnt(17)
	v_fmac_f64_e32 v[64:65], v[116:117], v[22:23]
	v_add_f64 v[56:57], v[56:57], v[64:65]
	;; [unrolled: 3-line block ×3, first 2 shown]
	v_add_f64 v[56:57], v[56:57], v[68:69]
	s_waitcnt vmcnt(13)
	v_fmac_f64_e32 v[72:73], v[164:165], v[32:33]
	v_add_f64 v[56:57], v[56:57], v[70:71]
	s_waitcnt vmcnt(12)
	v_fmac_f64_e32 v[74:75], v[44:45], v[18:19]
	v_add_f64 v[56:57], v[56:57], v[72:73]
	v_add_f64 v[136:137], v[56:57], v[74:75]
	buffer_load_dword v175, off, s[0:3], 0 offset:292
	buffer_load_dword v174, off, s[0:3], 0 offset:288
	;; [unrolled: 1-line block ×60, first 2 shown]
	s_waitcnt vmcnt(62)
	v_fmac_f64_e32 v[134:135], v[36:37], v[0:1]
	v_add_f64 v[134:135], v[136:137], v[134:135]
	s_waitcnt lgkmcnt(0)
	v_mul_f64 v[136:137], v[38:39], v[52:53]
	v_fmac_f64_e32 v[136:137], v[40:41], v[54:55]
	v_add_f64 v[134:135], v[134:135], v[136:137]
	v_fma_f64 v[254:255], v[110:111], v[24:25], -v[6:7]
	v_fma_f64 v[252:253], v[114:115], v[22:23], -v[10:11]
	;; [unrolled: 1-line block ×3, first 2 shown]
	v_mul_f64 v[44:45], v[44:45], v[46:47]
	s_waitcnt vmcnt(0)
	v_pk_mov_b32 v[120:121], v[118:119], v[118:119] op_sel:[0,1]
	buffer_load_dword v119, off, s[0:3], 0 offset:564
	buffer_load_dword v118, off, s[0:3], 0 offset:560
	v_accvgpr_write_b32 a205, v121
	v_accvgpr_write_b32 a204, v120
	s_waitcnt vmcnt(0)
	v_pk_mov_b32 v[122:123], v[118:119], v[118:119] op_sel:[0,1]
	buffer_load_dword v119, off, s[0:3], 0 offset:556
	buffer_load_dword v118, off, s[0:3], 0 offset:552
	v_accvgpr_write_b32 a207, v123
	v_accvgpr_write_b32 a206, v122
	;; [unrolled: 6-line block ×6, first 2 shown]
	s_waitcnt vmcnt(0)
	v_pk_mov_b32 v[176:177], v[118:119], v[118:119] op_sel:[0,1]
	buffer_load_dword v119, off, s[0:3], 0 offset:580
	buffer_load_dword v118, off, s[0:3], 0 offset:576
	ds_read_b128 v[170:173], v92 offset:1264
	ds_read_b128 v[178:181], v92 offset:1280
	;; [unrolled: 1-line block ×6, first 2 shown]
	s_waitcnt lgkmcnt(5)
	v_mul_f64 v[136:137], v[170:171], v[98:99]
	v_fmac_f64_e32 v[136:137], v[172:173], v[174:175]
	v_add_f64 v[134:135], v[134:135], v[136:137]
	s_waitcnt lgkmcnt(4)
	v_mul_f64 v[136:137], v[178:179], v[86:87]
	v_fmac_f64_e32 v[136:137], v[180:181], v[60:61]
	v_add_f64 v[134:135], v[134:135], v[136:137]
	;; [unrolled: 4-line block ×3, first 2 shown]
	s_waitcnt lgkmcnt(2)
	v_mul_f64 v[136:137], v[186:187], v[198:199]
	v_fmac_f64_e32 v[136:137], v[188:189], v[204:205]
	ds_read_b128 v[200:203], v92 offset:1360
	ds_read_b128 v[210:213], v92 offset:1376
	v_add_f64 v[134:135], v[134:135], v[136:137]
	s_waitcnt lgkmcnt(3)
	v_mul_f64 v[136:137], v[190:191], v[230:231]
	v_fmac_f64_e32 v[136:137], v[192:193], v[246:247]
	v_add_f64 v[134:135], v[134:135], v[136:137]
	s_waitcnt lgkmcnt(2)
	v_mul_f64 v[136:137], v[194:195], v[96:97]
	v_fmac_f64_e32 v[136:137], v[196:197], v[100:101]
	;; [unrolled: 4-line block ×3, first 2 shown]
	ds_read_b128 v[214:217], v92 offset:1392
	v_add_f64 v[134:135], v[134:135], v[136:137]
	s_waitcnt lgkmcnt(1)
	v_mul_f64 v[136:137], v[210:211], v[74:75]
	v_fmac_f64_e32 v[136:137], v[212:213], v[76:77]
	buffer_load_dword v13, off, s[0:3], 0 offset:620
	buffer_load_dword v12, off, s[0:3], 0 offset:616
	;; [unrolled: 1-line block ×4, first 2 shown]
	v_add_f64 v[138:139], v[134:135], v[136:137]
	ds_read_b128 v[218:221], v92 offset:1408
	buffer_load_dword v236, off, s[0:3], 0 offset:632
	buffer_load_dword v136, off, s[0:3], 0 offset:624
	;; [unrolled: 1-line block ×4, first 2 shown]
	s_waitcnt lgkmcnt(1)
	v_mul_f64 v[140:141], v[214:215], v[88:89]
	v_fmac_f64_e32 v[140:141], v[216:217], v[94:95]
	v_add_f64 v[166:167], v[138:139], v[140:141]
	ds_read_b128 v[222:225], v92 offset:1424
	buffer_load_dword v135, off, s[0:3], 0 offset:668
	buffer_load_dword v49, off, s[0:3], 0 offset:652
	;; [unrolled: 1-line block ×8, first 2 shown]
	ds_read_b128 v[226:229], v92 offset:1440
	ds_read_b128 v[238:241], v92 offset:1456
	s_waitcnt lgkmcnt(3)
	v_mul_f64 v[168:169], v[218:219], v[56:57]
	v_fmac_f64_e32 v[168:169], v[220:221], v[58:59]
	v_add_f64 v[166:167], v[166:167], v[168:169]
	s_waitcnt lgkmcnt(2)
	v_mul_f64 v[168:169], v[222:223], v[62:63]
	ds_read_b128 v[242:245], v92 offset:1472
	ds_read_b128 v[102:105], v92 offset:1488
	v_fmac_f64_e32 v[168:169], v[224:225], v[64:65]
	v_add_f64 v[166:167], v[166:167], v[168:169]
	s_waitcnt lgkmcnt(3)
	v_mul_f64 v[168:169], v[226:227], v[66:67]
	v_fmac_f64_e32 v[168:169], v[228:229], v[68:69]
	v_add_f64 v[166:167], v[166:167], v[168:169]
	s_waitcnt lgkmcnt(2)
	v_mul_f64 v[168:169], v[238:239], v[70:71]
	ds_read_b128 v[106:109], v92 offset:1504
	ds_read_b128 v[6:9], v92 offset:1536
	v_fmac_f64_e32 v[168:169], v[240:241], v[72:73]
	s_waitcnt lgkmcnt(3)
	v_mul_f64 v[4:5], v[242:243], v[78:79]
	v_add_f64 v[166:167], v[166:167], v[168:169]
	v_fmac_f64_e32 v[4:5], v[244:245], v[80:81]
	v_add_f64 v[2:3], v[166:167], v[4:5]
	s_waitcnt lgkmcnt(2)
	v_mul_f64 v[4:5], v[102:103], v[82:83]
	v_fmac_f64_e32 v[4:5], v[104:105], v[84:85]
	v_add_f64 v[2:3], v[2:3], v[4:5]
	s_waitcnt lgkmcnt(1)
	v_mul_f64 v[4:5], v[106:107], v[90:91]
	v_fmac_f64_e32 v[4:5], v[108:109], v[16:17]
	v_add_f64 v[166:167], v[2:3], v[4:5]
	ds_read_b128 v[2:5], v92 offset:1520
	s_waitcnt lgkmcnt(1)
	v_accvgpr_write_b32 a199, v9
	v_accvgpr_write_b32 a198, v8
	v_accvgpr_write_b32 a197, v7
	v_accvgpr_write_b32 a196, v6
	s_waitcnt lgkmcnt(0)
	v_mul_f64 v[24:25], v[2:3], v[128:129]
	v_accvgpr_write_b32 a191, v5
	v_fmac_f64_e32 v[24:25], v[4:5], v[130:131]
	v_accvgpr_write_b32 a190, v4
	v_accvgpr_write_b32 a189, v3
	;; [unrolled: 1-line block ×3, first 2 shown]
	ds_read_b128 v[2:5], v92 offset:1552
	v_add_f64 v[22:23], v[166:167], v[24:25]
	v_mul_f64 v[24:25], v[6:7], v[120:121]
	v_fmac_f64_e32 v[24:25], v[8:9], v[122:123]
	ds_read_b128 v[6:9], v92 offset:1568
	v_add_f64 v[22:23], v[22:23], v[24:25]
	s_waitcnt lgkmcnt(1)
	v_mul_f64 v[24:25], v[2:3], v[176:177]
	v_accvgpr_write_b32 a203, v5
	s_waitcnt vmcnt(16)
	v_accvgpr_write_b32 a211, v119
	v_fmac_f64_e32 v[24:25], v[4:5], v[118:119]
	v_accvgpr_write_b32 a202, v4
	v_accvgpr_write_b32 a201, v3
	;; [unrolled: 1-line block ×4, first 2 shown]
	v_fma_f64 v[118:119], v[150:151], v[144:145], -v[14:15]
	buffer_load_dword v141, off, s[0:3], 0 offset:684
	buffer_load_dword v140, off, s[0:3], 0 offset:680
	;; [unrolled: 1-line block ×4, first 2 shown]
	v_mul_f64 v[4:5], v[156:157], v[146:147]
	ds_read_b128 v[150:153], v92 offset:1584
	v_fma_f64 v[116:117], v[154:155], v[148:149], -v[4:5]
	ds_read_b128 v[146:149], v92 offset:1600
	v_add_f64 v[22:23], v[22:23], v[24:25]
	s_waitcnt lgkmcnt(2)
	v_mul_f64 v[24:25], v[6:7], v[124:125]
	ds_read_b128 v[142:145], v92 offset:1616
	ds_read_b128 v[128:131], v92 offset:1632
	v_fmac_f64_e32 v[24:25], v[8:9], v[126:127]
	v_add_f64 v[22:23], v[22:23], v[24:25]
	buffer_load_dword v154, off, s[0:3], 0 offset:696
	buffer_load_dword v158, off, s[0:3], 0 offset:688
	;; [unrolled: 1-line block ×4, first 2 shown]
	v_fma_f64 v[156:157], v[162:163], v[32:33], -v[30:31]
	v_accvgpr_write_b32 a215, v9
	v_accvgpr_write_b32 a214, v8
	s_waitcnt vmcnt(22) lgkmcnt(3)
	v_mul_f64 v[24:25], v[150:151], v[12:13]
	v_accvgpr_write_b32 a213, v7
	s_waitcnt vmcnt(20)
	v_fmac_f64_e32 v[24:25], v[152:153], v[132:133]
	v_add_f64 v[110:111], v[22:23], v[24:25]
	s_waitcnt vmcnt(17) lgkmcnt(2)
	v_mul_f64 v[114:115], v[146:147], v[236:237]
	s_waitcnt vmcnt(16)
	v_fmac_f64_e32 v[114:115], v[148:149], v[136:137]
	v_add_f64 v[110:111], v[110:111], v[114:115]
	s_waitcnt vmcnt(13) lgkmcnt(1)
	v_mul_f64 v[114:115], v[142:143], v[48:49]
	;; [unrolled: 5-line block ×3, first 2 shown]
	s_waitcnt vmcnt(8)
	v_fmac_f64_e32 v[114:115], v[130:131], v[138:139]
	v_add_f64 v[114:115], v[110:111], v[114:115]
	buffer_load_dword v110, off, s[0:3], 0 offset:728
	buffer_load_dword v163, off, s[0:3], 0 offset:716
	;; [unrolled: 1-line block ×8, first 2 shown]
	v_accvgpr_write_b32 a212, v6
	v_mul_f64 v[8:9], v[36:37], v[50:51]
	v_fma_f64 v[26:27], v[34:35], v[0:1], -v[8:9]
	v_mul_f64 v[0:1], v[40:41], v[52:53]
	v_fma_f64 v[22:23], v[38:39], v[54:55], -v[0:1]
	;; [unrolled: 2-line block ×3, first 2 shown]
	ds_read_b128 v[124:127], v92 offset:1648
	buffer_load_dword v167, off, s[0:3], 0 offset:748
	buffer_load_dword v166, off, s[0:3], 0 offset:744
	;; [unrolled: 1-line block ×4, first 2 shown]
	v_fma_f64 v[18:19], v[170:171], v[174:175], -v[38:39]
	buffer_load_dword v171, off, s[0:3], 0 offset:764
	buffer_load_dword v170, off, s[0:3], 0 offset:760
	v_accvgpr_write_b32 a209, v177
	v_accvgpr_write_b32 a208, v176
	buffer_load_dword v175, off, s[0:3], 0 offset:756
	buffer_load_dword v174, off, s[0:3], 0 offset:752
	buffer_load_dword v173, off, s[0:3], 0 offset:780
	buffer_load_dword v172, off, s[0:3], 0 offset:776
	buffer_load_dword v177, off, s[0:3], 0 offset:772
	buffer_load_dword v176, off, s[0:3], 0 offset:768
	v_accvgpr_write_b32 a221, v13
	v_accvgpr_write_b32 a220, v12
	v_mul_f64 v[12:13], v[180:181], v[86:87]
	v_fma_f64 v[44:45], v[178:179], v[60:61], -v[12:13]
	buffer_load_dword v178, off, s[0:3], 0 offset:792
	v_mul_f64 v[38:39], v[184:185], v[206:207]
	v_fma_f64 v[14:15], v[182:183], v[208:209], -v[38:39]
	buffer_load_dword v182, off, s[0:3], 0 offset:784
	buffer_load_dword v179, off, s[0:3], 0 offset:796
	;; [unrolled: 1-line block ×3, first 2 shown]
	v_mul_f64 v[38:39], v[188:189], v[198:199]
	v_fma_f64 v[12:13], v[186:187], v[204:205], -v[38:39]
	buffer_load_dword v180, off, s[0:3], 0 offset:824
	buffer_load_dword v187, off, s[0:3], 0 offset:812
	;; [unrolled: 1-line block ×8, first 2 shown]
	v_mul_f64 v[40:41], v[192:193], v[230:231]
	v_fma_f64 v[10:11], v[190:191], v[246:247], -v[40:41]
	buffer_load_dword v191, off, s[0:3], 0 offset:844
	buffer_load_dword v190, off, s[0:3], 0 offset:840
	buffer_load_dword v193, off, s[0:3], 0 offset:836
	buffer_load_dword v192, off, s[0:3], 0 offset:832
	v_mul_f64 v[40:41], v[196:197], v[96:97]
	buffer_load_dword v197, off, s[0:3], 0 offset:860
	buffer_load_dword v196, off, s[0:3], 0 offset:856
	;; [unrolled: 1-line block ×4, first 2 shown]
	v_accvgpr_write_b32 a231, v21
	v_accvgpr_write_b32 a230, v20
	v_mul_f64 v[20:21], v[202:203], v[248:249]
	v_fma_f64 v[8:9], v[194:195], v[100:101], -v[40:41]
	v_fma_f64 v[20:21], v[200:201], v[250:251], -v[20:21]
	buffer_load_dword v194, off, s[0:3], 0 offset:888
	buffer_load_dword v203, off, s[0:3], 0 offset:876
	;; [unrolled: 1-line block ×12, first 2 shown]
	ds_read_b128 v[120:123], v92 offset:1664
	v_accvgpr_write_b32 a223, v133
	v_accvgpr_write_b32 a227, v137
	;; [unrolled: 1-line block ×4, first 2 shown]
	v_pk_mov_b32 v[136:137], v[134:135], v[134:135] op_sel:[0,1]
	ds_read_b128 v[132:135], v92 offset:1680
	v_mul_f64 v[54:55], v[220:221], v[56:57]
	v_fma_f64 v[4:5], v[218:219], v[58:59], -v[54:55]
	ds_read_b128 v[54:57], v92 offset:1728
	v_mul_f64 v[42:43], v[212:213], v[74:75]
	s_waitcnt vmcnt(58) lgkmcnt(3)
	v_mul_f64 v[38:39], v[124:125], v[140:141]
	v_mul_f64 v[58:59], v[224:225], v[62:63]
	s_waitcnt vmcnt(56)
	v_fmac_f64_e32 v[38:39], v[126:127], v[2:3]
	v_add_f64 v[50:51], v[114:115], v[38:39]
	ds_read_b128 v[38:41], v92 offset:1696
	v_fma_f64 v[114:115], v[222:223], v[64:65], -v[58:59]
	ds_read_b128 v[58:61], v92 offset:1744
	v_accvgpr_write_b32 a229, v49
	v_mul_f64 v[66:67], v[228:229], v[66:67]
	v_accvgpr_write_b32 a228, v48
	v_pk_mov_b32 v[48:49], v[2:3], v[2:3] op_sel:[0,1]
	v_fma_f64 v[2:3], v[226:227], v[68:69], -v[66:67]
	ds_read_b128 v[66:69], v92 offset:1776
	s_waitcnt vmcnt(53) lgkmcnt(5)
	v_mul_f64 v[52:53], v[120:121], v[154:155]
	s_waitcnt vmcnt(52)
	v_fmac_f64_e32 v[52:53], v[122:123], v[158:159]
	v_add_f64 v[50:51], v[50:51], v[52:53]
	v_mul_f64 v[70:71], v[240:241], v[70:71]
	v_fma_f64 v[230:231], v[238:239], v[72:73], -v[70:71]
	ds_read_b128 v[70:73], v92 offset:1792
	v_fma_f64 v[250:251], v[210:211], v[76:77], -v[42:43]
	v_mul_f64 v[46:47], v[216:217], v[88:89]
	ds_read_b128 v[86:89], v92 offset:1856
	ds_read_b128 v[34:37], v92 offset:1872
	v_fma_f64 v[6:7], v[214:215], v[94:95], -v[46:47]
	v_accvgpr_write_b32 a224, v236
	v_accvgpr_write_b32 a225, v237
	s_waitcnt vmcnt(49) lgkmcnt(7)
	v_mul_f64 v[52:53], v[132:133], v[162:163]
	s_waitcnt vmcnt(47)
	v_fmac_f64_e32 v[52:53], v[134:135], v[164:165]
	v_add_f64 v[50:51], v[50:51], v[52:53]
	s_waitcnt vmcnt(45) lgkmcnt(5)
	v_mul_f64 v[52:53], v[38:39], v[110:111]
	s_waitcnt vmcnt(44)
	v_fmac_f64_e32 v[52:53], v[40:41], v[160:161]
	v_add_f64 v[74:75], v[50:51], v[52:53]
	ds_read_b128 v[50:53], v92 offset:1712
	s_waitcnt vmcnt(42) lgkmcnt(0)
	v_mul_f64 v[24:25], v[50:51], v[166:167]
	s_waitcnt vmcnt(40)
	v_fmac_f64_e32 v[24:25], v[52:53], v[168:169]
	v_add_f64 v[24:25], v[74:75], v[24:25]
	s_waitcnt vmcnt(38)
	v_mul_f64 v[62:63], v[54:55], v[170:171]
	s_waitcnt vmcnt(36)
	v_fmac_f64_e32 v[62:63], v[56:57], v[174:175]
	v_add_f64 v[24:25], v[24:25], v[62:63]
	s_waitcnt vmcnt(34)
	v_mul_f64 v[62:63], v[58:59], v[172:173]
	s_waitcnt vmcnt(32)
	v_fmac_f64_e32 v[62:63], v[60:61], v[176:177]
	v_add_f64 v[24:25], v[24:25], v[62:63]
	ds_read_b128 v[62:65], v92 offset:1760
	ds_read_b128 v[74:77], v92 offset:1808
	s_waitcnt vmcnt(29) lgkmcnt(1)
	v_mul_f64 v[28:29], v[62:63], v[178:179]
	s_waitcnt vmcnt(28)
	v_fmac_f64_e32 v[28:29], v[64:65], v[182:183]
	v_add_f64 v[24:25], v[24:25], v[28:29]
	s_waitcnt vmcnt(25)
	v_mul_f64 v[28:29], v[66:67], v[186:187]
	s_waitcnt vmcnt(23)
	v_fmac_f64_e32 v[28:29], v[68:69], v[188:189]
	v_add_f64 v[24:25], v[24:25], v[28:29]
	s_waitcnt vmcnt(21)
	v_mul_f64 v[28:29], v[70:71], v[180:181]
	s_waitcnt vmcnt(20)
	v_fmac_f64_e32 v[28:29], v[72:73], v[184:185]
	v_add_f64 v[28:29], v[24:25], v[28:29]
	v_mul_f64 v[24:25], v[244:245], v[78:79]
	v_fma_f64 v[0:1], v[242:243], v[80:81], -v[24:25]
	ds_read_b128 v[78:81], v92 offset:1824
	v_mul_f64 v[24:25], v[104:105], v[82:83]
	v_fma_f64 v[24:25], v[102:103], v[84:85], -v[24:25]
	ds_read_b128 v[82:85], v92 offset:1840
	s_waitcnt vmcnt(18) lgkmcnt(2)
	v_mul_f64 v[32:33], v[74:75], v[190:191]
	s_waitcnt vmcnt(16)
	v_fmac_f64_e32 v[32:33], v[76:77], v[192:193]
	v_add_f64 v[28:29], v[28:29], v[32:33]
	s_waitcnt vmcnt(14) lgkmcnt(1)
	v_mul_f64 v[32:33], v[78:79], v[196:197]
	buffer_load_dword v210, off, s[0:3], 0 offset:920
	buffer_load_dword v211, off, s[0:3], 0 offset:924
	;; [unrolled: 1-line block ×4, first 2 shown]
	s_waitcnt vmcnt(16)
	v_fmac_f64_e32 v[32:33], v[80:81], v[198:199]
	s_waitcnt vmcnt(13) lgkmcnt(0)
	v_mul_f64 v[94:95], v[82:83], v[202:203]
	v_add_f64 v[32:33], v[28:29], v[32:33]
	s_waitcnt vmcnt(11)
	v_fmac_f64_e32 v[94:95], v[84:85], v[206:207]
	v_add_f64 v[32:33], v[32:33], v[94:95]
	s_waitcnt vmcnt(9)
	v_mul_f64 v[94:95], v[86:87], v[194:195]
	s_waitcnt vmcnt(8)
	v_fmac_f64_e32 v[94:95], v[88:89], v[200:201]
	v_add_f64 v[32:33], v[32:33], v[94:95]
	s_waitcnt vmcnt(6)
	v_mul_f64 v[94:95], v[34:35], v[204:205]
	s_waitcnt vmcnt(4)
	v_fmac_f64_e32 v[94:95], v[36:37], v[208:209]
	v_add_f64 v[32:33], v[32:33], v[94:95]
	ds_read_b128 v[94:97], v92 offset:1888
	buffer_load_dword v215, off, s[0:3], 0 offset:940
	buffer_load_dword v214, off, s[0:3], 0 offset:936
	;; [unrolled: 1-line block ×4, first 2 shown]
	v_mul_f64 v[28:29], v[108:109], v[90:91]
	v_fma_f64 v[28:29], v[106:107], v[16:17], -v[28:29]
	s_waitcnt vmcnt(6) lgkmcnt(0)
	v_mul_f64 v[98:99], v[94:95], v[210:211]
	s_waitcnt vmcnt(4)
	v_fmac_f64_e32 v[98:99], v[96:97], v[212:213]
	v_add_f64 v[32:33], v[32:33], v[98:99]
	ds_read_b128 v[98:101], v92 offset:1904
	buffer_load_dword v218, off, s[0:3], 0 offset:952
	buffer_load_dword v219, off, s[0:3], 0 offset:956
	;; [unrolled: 1-line block ×4, first 2 shown]
	s_waitcnt vmcnt(6) lgkmcnt(0)
	v_mul_f64 v[102:103], v[98:99], v[214:215]
	s_waitcnt vmcnt(4)
	v_fmac_f64_e32 v[102:103], v[100:101], v[216:217]
	v_add_f64 v[32:33], v[32:33], v[102:103]
	ds_read_b128 v[102:105], v92 offset:1920
	buffer_load_dword v223, off, s[0:3], 0 offset:972
	buffer_load_dword v222, off, s[0:3], 0 offset:968
	;; [unrolled: 1-line block ×4, first 2 shown]
	s_waitcnt vmcnt(6) lgkmcnt(0)
	v_mul_f64 v[106:107], v[102:103], v[218:219]
	s_waitcnt vmcnt(4)
	v_fmac_f64_e32 v[106:107], v[104:105], v[220:221]
	v_add_f64 v[32:33], v[32:33], v[106:107]
	ds_read_b128 v[106:109], v92 offset:1936
	s_waitcnt vmcnt(2) lgkmcnt(0)
	v_mul_f64 v[226:227], v[106:107], v[222:223]
	s_waitcnt vmcnt(0)
	v_fmac_f64_e32 v[226:227], v[108:109], v[224:225]
	v_add_f64 v[32:33], v[32:33], v[226:227]
	buffer_load_dword v226, off, s[0:3], 0 offset:984
	buffer_load_dword v227, off, s[0:3], 0 offset:988
	;; [unrolled: 1-line block ×4, first 2 shown]
	ds_read_b128 v[238:241], v92 offset:1952
	s_waitcnt vmcnt(2) lgkmcnt(0)
	v_mul_f64 v[242:243], v[238:239], v[226:227]
	s_waitcnt vmcnt(0)
	v_fmac_f64_e32 v[242:243], v[240:241], v[228:229]
	v_add_f64 v[32:33], v[32:33], v[242:243]
	buffer_load_dword v243, off, s[0:3], 0 offset:1004
	buffer_load_dword v242, off, s[0:3], 0 offset:1000
	;; [unrolled: 1-line block ×4, first 2 shown]
	ds_read_b128 v[246:249], v92 offset:1968
	s_waitcnt vmcnt(2) lgkmcnt(0)
	v_mul_f64 v[236:237], v[246:247], v[242:243]
	s_waitcnt vmcnt(0)
	v_fmac_f64_e32 v[236:237], v[248:249], v[244:245]
	v_add_f64 v[236:237], v[32:33], v[236:237]
	v_add_f64 v[32:33], v[232:233], 0
	;; [unrolled: 1-line block ×26, first 2 shown]
	buffer_load_dword v250, off, s[0:3], 0 offset:96
	buffer_load_dword v251, off, s[0:3], 0 offset:100
	;; [unrolled: 1-line block ×4, first 2 shown]
	v_accvgpr_read_b32 v6, a188
	v_accvgpr_read_b32 v4, a192
	;; [unrolled: 1-line block ×5, first 2 shown]
	v_mul_f64 v[4:5], v[8:9], v[4:5]
	v_accvgpr_read_b32 v8, a194
	v_add_f64 v[2:3], v[254:255], v[24:25]
	v_accvgpr_read_b32 v7, a189
	v_accvgpr_read_b32 v9, a195
	v_add_f64 v[2:3], v[2:3], v[28:29]
	v_fma_f64 v[4:5], v[6:7], v[8:9], -v[4:5]
	v_add_f64 v[2:3], v[2:3], v[4:5]
	v_accvgpr_read_b32 v6, a196
	v_accvgpr_read_b32 v4, a204
	v_accvgpr_read_b32 v8, a198
	v_accvgpr_read_b32 v9, a199
	v_accvgpr_read_b32 v5, a205
	v_mul_f64 v[4:5], v[8:9], v[4:5]
	v_accvgpr_read_b32 v8, a206
	v_accvgpr_read_b32 v7, a197
	v_accvgpr_read_b32 v9, a207
	v_fma_f64 v[4:5], v[6:7], v[8:9], -v[4:5]
	v_add_f64 v[2:3], v[2:3], v[4:5]
	v_accvgpr_read_b32 v6, a200
	v_accvgpr_read_b32 v4, a208
	v_accvgpr_read_b32 v8, a202
	v_accvgpr_read_b32 v9, a203
	v_accvgpr_read_b32 v5, a209
	v_mul_f64 v[4:5], v[8:9], v[4:5]
	v_accvgpr_read_b32 v8, a210
	v_accvgpr_read_b32 v7, a201
	v_accvgpr_read_b32 v9, a211
	;; [unrolled: 11-line block ×3, first 2 shown]
	v_fma_f64 v[4:5], v[6:7], v[8:9], -v[4:5]
	v_add_f64 v[2:3], v[2:3], v[4:5]
	v_accvgpr_read_b32 v4, a220
	v_accvgpr_read_b32 v5, a221
	v_accvgpr_read_b32 v6, a222
	v_mul_f64 v[4:5], v[152:153], v[4:5]
	v_accvgpr_read_b32 v7, a223
	v_fma_f64 v[4:5], v[150:151], v[6:7], -v[4:5]
	v_add_f64 v[2:3], v[2:3], v[4:5]
	v_accvgpr_read_b32 v4, a224
	v_accvgpr_read_b32 v5, a225
	v_accvgpr_read_b32 v6, a226
	v_mul_f64 v[4:5], v[148:149], v[4:5]
	v_accvgpr_read_b32 v7, a227
	;; [unrolled: 7-line block ×3, first 2 shown]
	v_fma_f64 v[4:5], v[142:143], v[6:7], -v[4:5]
	v_add_f64 v[2:3], v[2:3], v[4:5]
	v_mul_f64 v[4:5], v[130:131], v[136:137]
	v_fma_f64 v[4:5], v[128:129], v[138:139], -v[4:5]
	v_add_f64 v[2:3], v[2:3], v[4:5]
	v_mul_f64 v[4:5], v[126:127], v[140:141]
	;; [unrolled: 3-line block ×22, first 2 shown]
	v_fma_f64 v[4:5], v[246:247], v[244:245], -v[4:5]
	v_add_f64 v[2:3], v[2:3], v[4:5]
	s_waitcnt vmcnt(2)
	v_add_f64 v[2:3], v[250:251], -v[2:3]
	s_waitcnt vmcnt(0)
	v_add_f64 v[0:1], v[0:1], -v[236:237]
	buffer_store_dword v3, off, s[0:3], 0 offset:100
	buffer_store_dword v2, off, s[0:3], 0 offset:96
	buffer_store_dword v1, off, s[0:3], 0 offset:108
	buffer_store_dword v0, off, s[0:3], 0 offset:104
	v_accvgpr_read_b32 v0, a185
	v_cmp_lt_u32_e32 vcc, 4, v0
	s_and_saveexec_b64 s[4:5], vcc
	s_cbranch_execz .LBB61_389
; %bb.388:
	v_accvgpr_read_b32 v3, a181
	buffer_load_dword v0, v3, s[0:3], 0 offen
	buffer_load_dword v1, v3, s[0:3], 0 offen offset:4
	buffer_load_dword v2, v3, s[0:3], 0 offen offset:8
	s_nop 0
	buffer_load_dword v3, v3, s[0:3], 0 offen offset:12
	v_mov_b32_e32 v4, 0
	v_accvgpr_read_b32 v5, a186
	buffer_store_dword v4, off, s[0:3], 0 offset:80
	buffer_store_dword v4, off, s[0:3], 0 offset:84
	;; [unrolled: 1-line block ×4, first 2 shown]
	s_waitcnt vmcnt(4)
	ds_write_b128 v5, v[0:3]
.LBB61_389:
	s_or_b64 exec, exec, s[4:5]
	s_waitcnt lgkmcnt(0)
	; wave barrier
	s_waitcnt lgkmcnt(0)
	buffer_load_dword v6, off, s[0:3], 0 offset:96
	buffer_load_dword v7, off, s[0:3], 0 offset:100
	;; [unrolled: 1-line block ×42, first 2 shown]
	v_mov_b32_e32 v234, 0
	buffer_load_dword v91, off, s[0:3], 0 offset:244
	buffer_load_dword v90, off, s[0:3], 0 offset:240
	;; [unrolled: 1-line block ×7, first 2 shown]
	ds_read_b128 v[104:107], v234 offset:1072
	ds_read_b128 v[108:111], v234 offset:1088
	;; [unrolled: 1-line block ×11, first 2 shown]
	s_waitcnt vmcnt(45) lgkmcnt(10)
	v_mul_f64 v[0:1], v[104:105], v[10:11]
	v_fmac_f64_e32 v[0:1], v[106:107], v[6:7]
	v_add_f64 v[0:1], v[0:1], 0
	v_mul_f64 v[10:11], v[106:107], v[10:11]
	s_waitcnt vmcnt(41) lgkmcnt(9)
	v_mul_f64 v[52:53], v[108:109], v[8:9]
	v_fmac_f64_e32 v[52:53], v[110:111], v[4:5]
	s_waitcnt vmcnt(39) lgkmcnt(8)
	v_mul_f64 v[54:55], v[112:113], v[2:3]
	v_add_f64 v[0:1], v[0:1], v[52:53]
	s_waitcnt vmcnt(37) lgkmcnt(6)
	v_mul_f64 v[58:59], v[154:155], v[136:137]
	v_fma_f64 v[6:7], v[104:105], v[6:7], -v[10:11]
	s_waitcnt vmcnt(35)
	v_fmac_f64_e32 v[58:59], v[156:157], v[14:15]
	v_mul_f64 v[8:9], v[110:111], v[8:9]
	s_waitcnt vmcnt(33)
	v_mul_f64 v[56:57], v[150:151], v[138:139]
	v_fma_f64 v[4:5], v[108:109], v[4:5], -v[8:9]
	s_waitcnt vmcnt(31) lgkmcnt(4)
	v_mul_f64 v[62:63], v[162:163], v[22:23]
	v_accvgpr_write_b32 a223, v7
	s_waitcnt vmcnt(29)
	v_fmac_f64_e32 v[62:63], v[164:165], v[24:25]
	v_mul_f64 v[2:3], v[114:115], v[2:3]
	s_waitcnt vmcnt(27)
	v_mul_f64 v[60:61], v[158:159], v[18:19]
	v_accvgpr_write_b32 a222, v6
	s_waitcnt vmcnt(25) lgkmcnt(2)
	v_mul_f64 v[66:67], v[170:171], v[30:31]
	v_accvgpr_write_b32 a225, v5
	v_accvgpr_write_b32 a224, v4
	s_waitcnt vmcnt(22)
	v_mul_f64 v[64:65], v[166:167], v[26:27]
	v_mul_f64 v[26:27], v[168:169], v[26:27]
	s_waitcnt vmcnt(20) lgkmcnt(1)
	v_mul_f64 v[116:117], v[174:175], v[38:39]
	v_mul_f64 v[30:31], v[172:173], v[30:31]
	s_waitcnt vmcnt(18)
	v_fmac_f64_e32 v[54:55], v[114:115], v[44:45]
	v_add_f64 v[0:1], v[0:1], v[54:55]
	s_waitcnt vmcnt(16)
	v_fmac_f64_e32 v[56:57], v[152:153], v[40:41]
	v_add_f64 v[0:1], v[0:1], v[56:57]
	;; [unrolled: 3-line block ×3, first 2 shown]
	v_add_f64 v[0:1], v[0:1], v[60:61]
	s_waitcnt vmcnt(12)
	v_fmac_f64_e32 v[64:65], v[168:169], v[28:29]
	v_add_f64 v[0:1], v[0:1], v[62:63]
	s_waitcnt vmcnt(11)
	v_fmac_f64_e32 v[66:67], v[172:173], v[32:33]
	v_add_f64 v[0:1], v[0:1], v[64:65]
	v_add_f64 v[0:1], v[0:1], v[66:67]
	buffer_load_dword v68, off, s[0:3], 0 offset:280
	buffer_load_dword v243, off, s[0:3], 0 offset:276
	;; [unrolled: 1-line block ×61, first 2 shown]
	s_waitcnt vmcnt(62)
	v_fmac_f64_e32 v[116:117], v[176:177], v[90:91]
	v_add_f64 v[0:1], v[0:1], v[116:117]
	s_waitcnt lgkmcnt(0)
	v_mul_f64 v[116:117], v[34:35], v[42:43]
	v_fmac_f64_e32 v[116:117], v[36:37], v[46:47]
	v_add_f64 v[0:1], v[0:1], v[116:117]
	v_fma_f64 v[232:233], v[112:113], v[44:45], -v[2:3]
	v_mul_f64 v[2:3], v[152:153], v[138:139]
	v_fma_f64 v[132:133], v[150:151], v[40:41], -v[2:3]
	v_mul_f64 v[36:37], v[36:37], v[42:43]
	v_mul_f64 v[38:39], v[176:177], v[38:39]
	s_waitcnt vmcnt(0)
	v_pk_mov_b32 v[118:119], v[86:87], v[86:87] op_sel:[0,1]
	buffer_load_dword v87, off, s[0:3], 0 offset:548
	buffer_load_dword v86, off, s[0:3], 0 offset:544
	v_accvgpr_write_b32 a193, v119
	v_accvgpr_write_b32 a192, v118
	s_waitcnt vmcnt(0)
	v_pk_mov_b32 v[124:125], v[86:87], v[86:87] op_sel:[0,1]
	buffer_load_dword v87, off, s[0:3], 0 offset:540
	buffer_load_dword v86, off, s[0:3], 0 offset:536
	;; [unrolled: 1-line block ×6, first 2 shown]
	v_accvgpr_write_b32 a195, v125
	v_accvgpr_write_b32 a194, v124
	s_waitcnt vmcnt(0)
	v_pk_mov_b32 v[126:127], v[120:121], v[120:121] op_sel:[0,1]
	buffer_load_dword v121, off, s[0:3], 0 offset:580
	buffer_load_dword v120, off, s[0:3], 0 offset:576
	v_accvgpr_write_b32 a205, v127
	v_accvgpr_write_b32 a204, v126
	s_waitcnt vmcnt(0)
	v_pk_mov_b32 v[128:129], v[120:121], v[120:121] op_sel:[0,1]
	buffer_load_dword v121, off, s[0:3], 0 offset:572
	buffer_load_dword v120, off, s[0:3], 0 offset:568
	;; [unrolled: 6-line block ×3, first 2 shown]
	ds_read_b128 v[178:181], v234 offset:1248
	ds_read_b128 v[182:185], v234 offset:1264
	;; [unrolled: 1-line block ×10, first 2 shown]
	s_waitcnt lgkmcnt(9)
	v_mul_f64 v[116:117], v[178:179], v[68:69]
	v_fmac_f64_e32 v[116:117], v[180:181], v[242:243]
	v_add_f64 v[0:1], v[0:1], v[116:117]
	s_waitcnt lgkmcnt(8)
	v_mul_f64 v[116:117], v[182:183], v[48:49]
	v_fmac_f64_e32 v[116:117], v[184:185], v[50:51]
	v_add_f64 v[0:1], v[0:1], v[116:117]
	;; [unrolled: 4-line block ×10, first 2 shown]
	v_accvgpr_write_b32 a201, v131
	v_accvgpr_write_b32 a200, v130
	s_waitcnt vmcnt(0)
	v_pk_mov_b32 v[134:135], v[120:121], v[120:121] op_sel:[0,1]
	buffer_load_dword v121, off, s[0:3], 0 offset:604
	buffer_load_dword v120, off, s[0:3], 0 offset:600
	v_accvgpr_write_b32 a203, v135
	v_accvgpr_write_b32 a202, v134
	s_waitcnt vmcnt(0)
	v_pk_mov_b32 v[142:143], v[120:121], v[120:121] op_sel:[0,1]
	buffer_load_dword v121, off, s[0:3], 0 offset:596
	buffer_load_dword v120, off, s[0:3], 0 offset:592
	ds_read_b128 v[218:221], v234 offset:1408
	v_accvgpr_write_b32 a209, v143
	v_accvgpr_write_b32 a208, v142
	s_waitcnt lgkmcnt(0)
	v_mul_f64 v[116:117], v[218:219], v[56:57]
	v_fmac_f64_e32 v[116:117], v[220:221], v[66:67]
	v_add_f64 v[0:1], v[0:1], v[116:117]
	s_waitcnt vmcnt(0)
	v_pk_mov_b32 v[144:145], v[120:121], v[120:121] op_sel:[0,1]
	buffer_load_dword v120, off, s[0:3], 0 offset:616
	buffer_load_dword v122, off, s[0:3], 0 offset:608
	;; [unrolled: 1-line block ×4, first 2 shown]
	ds_read_b128 v[222:225], v234 offset:1424
	v_accvgpr_write_b32 a211, v145
	v_accvgpr_write_b32 a210, v144
	s_waitcnt lgkmcnt(0)
	v_mul_f64 v[116:117], v[222:223], v[58:59]
	v_fmac_f64_e32 v[116:117], v[224:225], v[60:61]
	v_add_f64 v[0:1], v[0:1], v[116:117]
	v_fma_f64 v[116:117], v[166:167], v[28:29], -v[26:27]
	v_fma_f64 v[26:27], v[170:171], v[32:33], -v[30:31]
	v_mul_f64 v[58:59], v[224:225], v[58:59]
	s_waitcnt vmcnt(1)
	v_pk_mov_b32 v[146:147], v[120:121], v[120:121] op_sel:[0,1]
	buffer_load_dword v13, off, s[0:3], 0 offset:652
	buffer_load_dword v17, off, s[0:3], 0 offset:636
	;; [unrolled: 1-line block ×12, first 2 shown]
	ds_read_b128 v[226:229], v234 offset:1440
	ds_read_b128 v[104:107], v234 offset:1456
	;; [unrolled: 1-line block ×6, first 2 shown]
	s_waitcnt lgkmcnt(5)
	v_mul_f64 v[6:7], v[226:227], v[62:63]
	v_fmac_f64_e32 v[6:7], v[228:229], v[64:65]
	s_waitcnt lgkmcnt(4)
	v_mul_f64 v[4:5], v[104:105], v[70:71]
	v_add_f64 v[0:1], v[0:1], v[6:7]
	v_fmac_f64_e32 v[4:5], v[106:107], v[72:73]
	v_add_f64 v[0:1], v[0:1], v[4:5]
	s_waitcnt lgkmcnt(3)
	v_mul_f64 v[4:5], v[108:109], v[74:75]
	v_fmac_f64_e32 v[4:5], v[110:111], v[76:77]
	s_waitcnt lgkmcnt(2)
	v_mul_f64 v[6:7], v[236:237], v[82:83]
	v_add_f64 v[0:1], v[0:1], v[4:5]
	v_fmac_f64_e32 v[6:7], v[238:239], v[84:85]
	s_waitcnt lgkmcnt(1)
	v_mul_f64 v[4:5], v[112:113], v[86:87]
	v_add_f64 v[0:1], v[0:1], v[6:7]
	v_fmac_f64_e32 v[4:5], v[114:115], v[88:89]
	s_waitcnt lgkmcnt(0)
	v_accvgpr_write_b32 a191, v11
	v_add_f64 v[0:1], v[0:1], v[4:5]
	v_mul_f64 v[4:5], v[8:9], v[118:119]
	v_accvgpr_write_b32 a190, v10
	v_accvgpr_write_b32 a189, v9
	v_accvgpr_write_b32 a188, v8
	ds_read_b128 v[6:9], v234 offset:1536
	v_fmac_f64_e32 v[4:5], v[10:11], v[124:125]
	v_add_f64 v[0:1], v[0:1], v[4:5]
	v_mul_f64 v[4:5], v[156:157], v[136:137]
	s_waitcnt vmcnt(12)
	v_pk_mov_b32 v[148:149], v[122:123], v[122:123] op_sel:[0,1]
	v_fma_f64 v[122:123], v[154:155], v[14:15], -v[4:5]
	v_mul_f64 v[14:15], v[160:161], v[18:19]
	v_fma_f64 v[150:151], v[158:159], v[140:141], -v[14:15]
	ds_read_b128 v[138:141], v234 offset:1568
	s_waitcnt lgkmcnt(1)
	v_mul_f64 v[40:41], v[6:7], v[130:131]
	v_fmac_f64_e32 v[40:41], v[8:9], v[134:135]
	ds_read_b128 v[134:137], v234 offset:1552
	v_add_f64 v[0:1], v[0:1], v[40:41]
	v_accvgpr_write_b32 a213, v147
	v_accvgpr_write_b32 a215, v149
	;; [unrolled: 1-line block ×3, first 2 shown]
	s_waitcnt lgkmcnt(0)
	v_mul_f64 v[18:19], v[134:135], v[126:127]
	v_fmac_f64_e32 v[18:19], v[136:137], v[128:129]
	ds_read_b128 v[128:131], v234 offset:1584
	v_add_f64 v[0:1], v[0:1], v[18:19]
	v_mul_f64 v[18:19], v[138:139], v[142:143]
	v_fmac_f64_e32 v[18:19], v[140:141], v[144:145]
	v_add_f64 v[40:41], v[0:1], v[18:19]
	v_mul_f64 v[0:1], v[164:165], v[22:23]
	buffer_load_dword v142, off, s[0:3], 0 offset:680
	buffer_load_dword v143, off, s[0:3], 0 offset:684
	s_waitcnt lgkmcnt(0)
	v_mul_f64 v[22:23], v[128:129], v[146:147]
	v_fmac_f64_e32 v[22:23], v[130:131], v[148:149]
	v_accvgpr_write_b32 a214, v148
	ds_read_b128 v[146:149], v234 offset:1600
	buffer_load_dword v152, off, s[0:3], 0 offset:672
	buffer_load_dword v153, off, s[0:3], 0 offset:676
	ds_read_b128 v[124:127], v234 offset:1616
	ds_read_b128 v[30:33], v234 offset:1632
	buffer_load_dword v155, off, s[0:3], 0 offset:700
	buffer_load_dword v154, off, s[0:3], 0 offset:696
	;; [unrolled: 1-line block ×8, first 2 shown]
	v_fma_f64 v[118:119], v[162:163], v[24:25], -v[0:1]
	buffer_load_dword v163, off, s[0:3], 0 offset:748
	buffer_load_dword v165, off, s[0:3], 0 offset:732
	buffer_load_dword v164, off, s[0:3], 0 offset:728
	buffer_load_dword v171, off, s[0:3], 0 offset:724
	buffer_load_dword v170, off, s[0:3], 0 offset:720
	buffer_load_dword v162, off, s[0:3], 0 offset:744
	buffer_load_dword v169, off, s[0:3], 0 offset:740
	buffer_load_dword v168, off, s[0:3], 0 offset:736
	v_add_f64 v[40:41], v[40:41], v[22:23]
	v_fma_f64 v[24:25], v[174:175], v[90:91], -v[38:39]
	v_mul_f64 v[38:39], v[184:185], v[48:49]
	v_fma_f64 v[182:183], v[182:183], v[50:51], -v[38:39]
	v_mul_f64 v[38:39], v[188:189], v[246:247]
	v_fma_f64 v[248:249], v[186:187], v[248:249], -v[38:39]
	v_mul_f64 v[38:39], v[192:193], v[244:245]
	v_fma_f64 v[18:19], v[190:191], v[102:103], -v[38:39]
	s_waitcnt vmcnt(29) lgkmcnt(2)
	v_mul_f64 v[44:45], v[146:147], v[16:17]
	v_accvgpr_write_b32 a217, v17
	s_waitcnt vmcnt(27)
	v_fmac_f64_e32 v[44:45], v[148:149], v[120:121]
	v_add_f64 v[40:41], v[40:41], v[44:45]
	s_waitcnt vmcnt(26) lgkmcnt(1)
	v_mul_f64 v[44:45], v[124:125], v[12:13]
	s_waitcnt vmcnt(24)
	v_fmac_f64_e32 v[44:45], v[126:127], v[240:241]
	v_add_f64 v[40:41], v[40:41], v[44:45]
	s_waitcnt vmcnt(22)
	v_accvgpr_write_b32 a221, v21
	s_waitcnt lgkmcnt(0)
	v_mul_f64 v[44:45], v[30:31], v[20:21]
	v_accvgpr_write_b32 a220, v20
	v_fma_f64 v[20:21], v[34:35], v[46:47], -v[36:37]
	v_mul_f64 v[34:35], v[180:181], v[68:69]
	v_fma_f64 v[242:243], v[178:179], v[242:243], -v[34:35]
	ds_read_b128 v[34:37], v234 offset:1648
	buffer_load_dword v166, off, s[0:3], 0 offset:776
	buffer_load_dword v173, off, s[0:3], 0 offset:764
	;; [unrolled: 1-line block ×16, first 2 shown]
	v_mul_f64 v[38:39], v[196:197], v[252:253]
	v_accvgpr_write_b32 a216, v16
	v_fma_f64 v[16:17], v[194:195], v[254:255], -v[38:39]
	buffer_load_dword v255, off, s[0:3], 0 offset:844
	buffer_load_dword v189, off, s[0:3], 0 offset:828
	;; [unrolled: 1-line block ×8, first 2 shown]
	s_waitcnt vmcnt(44)
	v_fmac_f64_e32 v[44:45], v[32:33], v[230:231]
	v_mul_f64 v[38:39], v[200:201], v[250:251]
	v_add_f64 v[44:45], v[40:41], v[44:45]
	v_fma_f64 v[250:251], v[198:199], v[100:101], -v[38:39]
	ds_read_b128 v[38:41], v234 offset:1664
	buffer_load_dword v195, off, s[0:3], 0 offset:860
	buffer_load_dword v194, off, s[0:3], 0 offset:856
	;; [unrolled: 1-line block ×4, first 2 shown]
	v_mul_f64 v[46:47], v[204:205], v[96:97]
	v_fma_f64 v[14:15], v[202:203], v[98:99], -v[46:47]
	buffer_load_dword v198, off, s[0:3], 0 offset:872
	buffer_load_dword v200, off, s[0:3], 0 offset:864
	;; [unrolled: 1-line block ×8, first 2 shown]
	v_accvgpr_write_b32 a219, v13
	v_mul_f64 v[46:47], v[208:209], v[80:81]
	v_accvgpr_write_b32 a218, v12
	v_fma_f64 v[12:13], v[206:207], v[94:95], -v[46:47]
	buffer_load_dword v206, off, s[0:3], 0 offset:904
	buffer_load_dword v208, off, s[0:3], 0 offset:896
	;; [unrolled: 1-line block ×4, first 2 shown]
	v_accvgpr_write_b32 a199, v9
	v_mul_f64 v[46:47], v[216:217], v[52:53]
	v_accvgpr_write_b32 a198, v8
	v_accvgpr_write_b32 a197, v7
	;; [unrolled: 1-line block ×3, first 2 shown]
	v_fma_f64 v[8:9], v[214:215], v[54:55], -v[46:47]
	ds_read_b128 v[46:49], v234 offset:1696
	v_mul_f64 v[50:51], v[220:221], v[56:57]
	v_fma_f64 v[6:7], v[218:219], v[66:67], -v[50:51]
	ds_read_b128 v[50:53], v234 offset:1712
	v_fma_f64 v[4:5], v[222:223], v[60:61], -v[58:59]
	ds_read_b128 v[58:61], v234 offset:1744
	v_mul_f64 v[62:63], v[228:229], v[62:63]
	v_fma_f64 v[252:253], v[226:227], v[64:65], -v[62:63]
	ds_read_b128 v[62:65], v234 offset:1760
	v_mul_f64 v[70:71], v[106:107], v[70:71]
	v_fma_f64 v[2:3], v[104:105], v[72:73], -v[70:71]
	v_mul_f64 v[74:75], v[110:111], v[74:75]
	v_fma_f64 v[144:145], v[108:109], v[76:77], -v[74:75]
	ds_read_b128 v[74:77], v234 offset:1808
	ds_read_b128 v[70:73], v234 offset:1792
	s_waitcnt vmcnt(58) lgkmcnt(7)
	v_mul_f64 v[42:43], v[34:35], v[142:143]
	s_waitcnt vmcnt(56)
	v_fmac_f64_e32 v[42:43], v[36:37], v[152:153]
	v_add_f64 v[42:43], v[44:45], v[42:43]
	v_mul_f64 v[44:45], v[212:213], v[78:79]
	v_fma_f64 v[10:11], v[210:211], v[92:93], -v[44:45]
	s_waitcnt vmcnt(54) lgkmcnt(6)
	v_mul_f64 v[44:45], v[38:39], v[154:155]
	s_waitcnt vmcnt(52)
	v_fmac_f64_e32 v[44:45], v[40:41], v[156:157]
	v_add_f64 v[68:69], v[42:43], v[44:45]
	ds_read_b128 v[42:45], v234 offset:1680
	s_waitcnt vmcnt(45) lgkmcnt(6)
	v_mul_f64 v[56:57], v[46:47], v[164:165]
	s_waitcnt vmcnt(43)
	v_fmac_f64_e32 v[56:57], v[48:49], v[170:171]
	s_waitcnt lgkmcnt(0)
	v_mul_f64 v[54:55], v[42:43], v[158:159]
	v_fmac_f64_e32 v[54:55], v[44:45], v[160:161]
	v_add_f64 v[54:55], v[68:69], v[54:55]
	v_add_f64 v[54:55], v[54:55], v[56:57]
	s_waitcnt vmcnt(42)
	v_mul_f64 v[56:57], v[50:51], v[162:163]
	s_waitcnt vmcnt(40)
	v_fmac_f64_e32 v[56:57], v[52:53], v[168:169]
	v_add_f64 v[66:67], v[54:55], v[56:57]
	ds_read_b128 v[54:57], v234 offset:1728
	s_waitcnt vmcnt(37) lgkmcnt(0)
	v_mul_f64 v[22:23], v[54:55], v[172:173]
	s_waitcnt vmcnt(35)
	v_fmac_f64_e32 v[22:23], v[56:57], v[174:175]
	v_add_f64 v[22:23], v[66:67], v[22:23]
	s_waitcnt vmcnt(33)
	v_mul_f64 v[66:67], v[58:59], v[166:167]
	s_waitcnt vmcnt(32)
	v_fmac_f64_e32 v[66:67], v[60:61], v[176:177]
	v_add_f64 v[22:23], v[22:23], v[66:67]
	s_waitcnt vmcnt(30)
	v_mul_f64 v[66:67], v[62:63], v[178:179]
	s_waitcnt vmcnt(28)
	v_fmac_f64_e32 v[66:67], v[64:65], v[180:181]
	v_add_f64 v[22:23], v[22:23], v[66:67]
	ds_read_b128 v[66:69], v234 offset:1776
	s_waitcnt vmcnt(25) lgkmcnt(0)
	v_mul_f64 v[78:79], v[66:67], v[184:185]
	s_waitcnt vmcnt(24)
	v_fmac_f64_e32 v[78:79], v[68:69], v[186:187]
	v_add_f64 v[22:23], v[22:23], v[78:79]
	s_waitcnt vmcnt(21)
	v_mul_f64 v[78:79], v[70:71], v[188:189]
	s_waitcnt vmcnt(19)
	v_fmac_f64_e32 v[78:79], v[72:73], v[192:193]
	v_add_f64 v[22:23], v[22:23], v[78:79]
	s_waitcnt vmcnt(18)
	v_mul_f64 v[78:79], v[74:75], v[254:255]
	s_waitcnt vmcnt(16)
	v_fmac_f64_e32 v[78:79], v[76:77], v[190:191]
	v_add_f64 v[90:91], v[22:23], v[78:79]
	ds_read_b128 v[78:81], v234 offset:1824
	v_mul_f64 v[22:23], v[238:239], v[82:83]
	v_fma_f64 v[0:1], v[236:237], v[84:85], -v[22:23]
	ds_read_b128 v[82:85], v234 offset:1840
	v_mul_f64 v[22:23], v[114:115], v[86:87]
	v_fma_f64 v[22:23], v[112:113], v[88:89], -v[22:23]
	ds_read_b128 v[86:89], v234 offset:1856
	s_waitcnt vmcnt(14) lgkmcnt(2)
	v_mul_f64 v[28:29], v[78:79], v[194:195]
	s_waitcnt vmcnt(12)
	v_fmac_f64_e32 v[28:29], v[80:81], v[196:197]
	v_add_f64 v[28:29], v[90:91], v[28:29]
	s_waitcnt vmcnt(9) lgkmcnt(1)
	v_mul_f64 v[90:91], v[82:83], v[198:199]
	s_waitcnt vmcnt(8)
	v_fmac_f64_e32 v[90:91], v[84:85], v[200:201]
	v_add_f64 v[28:29], v[28:29], v[90:91]
	;; [unrolled: 5-line block ×3, first 2 shown]
	ds_read_b128 v[90:93], v234 offset:1872
	buffer_load_dword v211, off, s[0:3], 0 offset:924
	buffer_load_dword v210, off, s[0:3], 0 offset:920
	buffer_load_dword v213, off, s[0:3], 0 offset:916
	buffer_load_dword v212, off, s[0:3], 0 offset:912
	s_waitcnt vmcnt(5) lgkmcnt(0)
	v_mul_f64 v[94:95], v[90:91], v[206:207]
	s_waitcnt vmcnt(4)
	v_fmac_f64_e32 v[94:95], v[92:93], v[208:209]
	v_add_f64 v[28:29], v[28:29], v[94:95]
	ds_read_b128 v[94:97], v234 offset:1888
	buffer_load_dword v214, off, s[0:3], 0 offset:936
	buffer_load_dword v215, off, s[0:3], 0 offset:940
	buffer_load_dword v216, off, s[0:3], 0 offset:928
	buffer_load_dword v217, off, s[0:3], 0 offset:932
	s_waitcnt vmcnt(6) lgkmcnt(0)
	v_mul_f64 v[98:99], v[94:95], v[210:211]
	s_waitcnt vmcnt(4)
	v_fmac_f64_e32 v[98:99], v[96:97], v[212:213]
	v_add_f64 v[28:29], v[28:29], v[98:99]
	;; [unrolled: 10-line block ×5, first 2 shown]
	ds_read_b128 v[110:113], v234 offset:1952
	buffer_load_dword v244, off, s[0:3], 0 offset:1000
	buffer_load_dword v245, off, s[0:3], 0 offset:1004
	;; [unrolled: 1-line block ×4, first 2 shown]
	ds_read_b128 v[236:239], v234 offset:1968
	s_waitcnt vmcnt(6) lgkmcnt(1)
	v_mul_f64 v[114:115], v[110:111], v[226:227]
	s_waitcnt vmcnt(4)
	v_fmac_f64_e32 v[114:115], v[112:113], v[228:229]
	v_add_f64 v[28:29], v[28:29], v[114:115]
	s_waitcnt vmcnt(2) lgkmcnt(0)
	v_mul_f64 v[114:115], v[236:237], v[244:245]
	s_waitcnt vmcnt(0)
	v_fmac_f64_e32 v[114:115], v[238:239], v[246:247]
	v_add_f64 v[28:29], v[28:29], v[114:115]
	v_accvgpr_write_b32 a227, v29
	v_accvgpr_write_b32 a226, v28
	v_accvgpr_read_b32 v28, a222
	v_accvgpr_read_b32 v29, a223
	;; [unrolled: 1-line block ×3, first 2 shown]
	v_add_f64 v[28:29], v[28:29], 0
	v_accvgpr_read_b32 v115, a225
	v_add_f64 v[28:29], v[28:29], v[114:115]
	v_add_f64 v[28:29], v[28:29], v[232:233]
	;; [unrolled: 1-line block ×23, first 2 shown]
	buffer_load_dword v250, off, s[0:3], 0 offset:80
	buffer_load_dword v251, off, s[0:3], 0 offset:84
	v_add_f64 v[2:3], v[4:5], v[2:3]
	buffer_load_dword v248, off, s[0:3], 0 offset:88
	buffer_load_dword v249, off, s[0:3], 0 offset:92
	v_add_f64 v[2:3], v[2:3], v[144:145]
	v_add_f64 v[0:1], v[2:3], v[0:1]
	v_accvgpr_read_b32 v4, a188
	v_accvgpr_read_b32 v2, a192
	;; [unrolled: 1-line block ×5, first 2 shown]
	v_mul_f64 v[2:3], v[6:7], v[2:3]
	v_accvgpr_read_b32 v6, a194
	v_accvgpr_read_b32 v5, a189
	;; [unrolled: 1-line block ×3, first 2 shown]
	v_add_f64 v[0:1], v[0:1], v[22:23]
	v_fma_f64 v[2:3], v[4:5], v[6:7], -v[2:3]
	v_add_f64 v[0:1], v[0:1], v[2:3]
	v_accvgpr_read_b32 v4, a196
	v_accvgpr_read_b32 v2, a200
	;; [unrolled: 1-line block ×5, first 2 shown]
	v_mul_f64 v[2:3], v[6:7], v[2:3]
	v_accvgpr_read_b32 v6, a202
	v_accvgpr_read_b32 v5, a197
	;; [unrolled: 1-line block ×3, first 2 shown]
	v_fma_f64 v[2:3], v[4:5], v[6:7], -v[2:3]
	v_add_f64 v[0:1], v[0:1], v[2:3]
	v_accvgpr_read_b32 v2, a204
	v_accvgpr_read_b32 v3, a205
	v_accvgpr_read_b32 v4, a206
	v_mul_f64 v[2:3], v[136:137], v[2:3]
	v_accvgpr_read_b32 v5, a207
	v_fma_f64 v[2:3], v[134:135], v[4:5], -v[2:3]
	v_add_f64 v[0:1], v[0:1], v[2:3]
	v_accvgpr_read_b32 v2, a208
	v_accvgpr_read_b32 v3, a209
	v_accvgpr_read_b32 v4, a210
	v_mul_f64 v[2:3], v[140:141], v[2:3]
	v_accvgpr_read_b32 v5, a211
	;; [unrolled: 7-line block ×3, first 2 shown]
	v_fma_f64 v[2:3], v[128:129], v[4:5], -v[2:3]
	v_add_f64 v[0:1], v[0:1], v[2:3]
	v_accvgpr_read_b32 v2, a216
	v_accvgpr_read_b32 v3, a217
	v_mul_f64 v[2:3], v[148:149], v[2:3]
	v_fma_f64 v[2:3], v[146:147], v[120:121], -v[2:3]
	v_add_f64 v[0:1], v[0:1], v[2:3]
	v_accvgpr_read_b32 v2, a218
	v_accvgpr_read_b32 v3, a219
	v_mul_f64 v[2:3], v[126:127], v[2:3]
	;; [unrolled: 5-line block ×3, first 2 shown]
	v_fma_f64 v[2:3], v[30:31], v[230:231], -v[2:3]
	v_add_f64 v[0:1], v[0:1], v[2:3]
	v_mul_f64 v[2:3], v[36:37], v[142:143]
	v_fma_f64 v[2:3], v[34:35], v[152:153], -v[2:3]
	v_add_f64 v[0:1], v[0:1], v[2:3]
	v_mul_f64 v[2:3], v[40:41], v[154:155]
	;; [unrolled: 3-line block ×21, first 2 shown]
	v_fma_f64 v[2:3], v[236:237], v[246:247], -v[2:3]
	v_add_f64 v[0:1], v[0:1], v[2:3]
	v_accvgpr_read_b32 v2, a226
	s_waitcnt vmcnt(2)
	v_add_f64 v[0:1], v[250:251], -v[0:1]
	v_accvgpr_read_b32 v3, a227
	s_waitcnt vmcnt(0)
	v_add_f64 v[2:3], v[248:249], -v[2:3]
	buffer_store_dword v1, off, s[0:3], 0 offset:84
	buffer_store_dword v0, off, s[0:3], 0 offset:80
	;; [unrolled: 1-line block ×4, first 2 shown]
	v_accvgpr_read_b32 v0, a185
	v_cmp_lt_u32_e32 vcc, 3, v0
	s_and_saveexec_b64 s[4:5], vcc
	s_cbranch_execz .LBB61_391
; %bb.390:
	v_accvgpr_read_b32 v3, a182
	buffer_load_dword v0, v3, s[0:3], 0 offen
	buffer_load_dword v1, v3, s[0:3], 0 offen offset:4
	buffer_load_dword v2, v3, s[0:3], 0 offen offset:8
	s_nop 0
	buffer_load_dword v3, v3, s[0:3], 0 offen offset:12
	v_accvgpr_read_b32 v4, a186
	buffer_store_dword v234, off, s[0:3], 0 offset:64
	buffer_store_dword v234, off, s[0:3], 0 offset:68
	;; [unrolled: 1-line block ×4, first 2 shown]
	s_waitcnt vmcnt(4)
	ds_write_b128 v4, v[0:3]
.LBB61_391:
	s_or_b64 exec, exec, s[4:5]
	s_waitcnt lgkmcnt(0)
	; wave barrier
	s_waitcnt lgkmcnt(0)
	buffer_load_dword v6, off, s[0:3], 0 offset:80
	buffer_load_dword v7, off, s[0:3], 0 offset:84
	;; [unrolled: 1-line block ×42, first 2 shown]
	ds_read_b128 v[104:107], v234 offset:1056
	ds_read_b128 v[108:111], v234 offset:1072
	;; [unrolled: 1-line block ×10, first 2 shown]
	buffer_load_dword v99, off, s[0:3], 0 offset:228
	buffer_load_dword v98, off, s[0:3], 0 offset:224
	ds_read_b128 v[38:41], v234 offset:1216
	buffer_load_dword v85, off, s[0:3], 0 offset:284
	buffer_load_dword v84, off, s[0:3], 0 offset:280
	;; [unrolled: 1-line block ×6, first 2 shown]
	s_waitcnt vmcnt(46) lgkmcnt(10)
	v_mul_f64 v[0:1], v[104:105], v[10:11]
	v_fmac_f64_e32 v[0:1], v[106:107], v[6:7]
	v_add_f64 v[0:1], v[0:1], 0
	v_mul_f64 v[10:11], v[106:107], v[10:11]
	s_waitcnt vmcnt(42) lgkmcnt(9)
	v_mul_f64 v[52:53], v[108:109], v[8:9]
	v_fmac_f64_e32 v[52:53], v[110:111], v[222:223]
	s_waitcnt vmcnt(40) lgkmcnt(8)
	v_mul_f64 v[54:55], v[112:113], v[144:145]
	v_add_f64 v[0:1], v[0:1], v[52:53]
	s_waitcnt vmcnt(38) lgkmcnt(6)
	v_mul_f64 v[58:59], v[150:151], v[238:239]
	v_fma_f64 v[6:7], v[104:105], v[6:7], -v[10:11]
	s_waitcnt vmcnt(36)
	v_fmac_f64_e32 v[58:59], v[152:153], v[14:15]
	v_mul_f64 v[8:9], v[110:111], v[8:9]
	s_waitcnt vmcnt(34)
	v_mul_f64 v[56:57], v[146:147], v[16:17]
	v_accvgpr_write_b32 a227, v7
	s_waitcnt vmcnt(32) lgkmcnt(4)
	v_mul_f64 v[62:63], v[158:159], v[18:19]
	v_accvgpr_write_b32 a226, v6
	s_waitcnt vmcnt(30)
	v_fmac_f64_e32 v[62:63], v[160:161], v[20:21]
	s_waitcnt vmcnt(28)
	v_mul_f64 v[60:61], v[154:155], v[22:23]
	v_mul_f64 v[10:11], v[156:157], v[22:23]
	s_waitcnt vmcnt(26) lgkmcnt(2)
	v_mul_f64 v[66:67], v[166:167], v[26:27]
	v_mul_f64 v[26:27], v[168:169], v[26:27]
	s_waitcnt vmcnt(23)
	v_mul_f64 v[64:65], v[162:163], v[24:25]
	s_waitcnt vmcnt(21) lgkmcnt(1)
	v_mul_f64 v[116:117], v[30:31], v[34:35]
	s_waitcnt vmcnt(19)
	v_fmac_f64_e32 v[54:55], v[114:115], v[46:47]
	v_add_f64 v[0:1], v[0:1], v[54:55]
	s_waitcnt vmcnt(17)
	v_fmac_f64_e32 v[56:57], v[148:149], v[44:45]
	v_add_f64 v[0:1], v[0:1], v[56:57]
	;; [unrolled: 3-line block ×3, first 2 shown]
	v_add_f64 v[0:1], v[0:1], v[60:61]
	s_waitcnt vmcnt(13)
	v_fmac_f64_e32 v[64:65], v[164:165], v[36:37]
	v_add_f64 v[0:1], v[0:1], v[62:63]
	s_waitcnt vmcnt(12)
	v_fmac_f64_e32 v[66:67], v[168:169], v[28:29]
	v_add_f64 v[0:1], v[0:1], v[64:65]
	v_add_f64 v[118:119], v[0:1], v[66:67]
	buffer_load_dword v243, off, s[0:3], 0 offset:260
	buffer_load_dword v242, off, s[0:3], 0 offset:256
	;; [unrolled: 1-line block ×68, first 2 shown]
	s_waitcnt vmcnt(62)
	v_fmac_f64_e32 v[116:117], v[32:33], v[98:99]
	v_add_f64 v[116:117], v[118:119], v[116:117]
	s_waitcnt lgkmcnt(0)
	v_mul_f64 v[118:119], v[38:39], v[48:49]
	v_fmac_f64_e32 v[118:119], v[40:41], v[50:51]
	v_add_f64 v[116:117], v[116:117], v[118:119]
	v_mul_f64 v[32:33], v[32:33], v[34:35]
	s_waitcnt vmcnt(0)
	v_pk_mov_b32 v[124:125], v[122:123], v[122:123] op_sel:[0,1]
	buffer_load_dword v123, off, s[0:3], 0 offset:564
	buffer_load_dword v122, off, s[0:3], 0 offset:560
	;; [unrolled: 1-line block ×4, first 2 shown]
	v_accvgpr_write_b32 a201, v125
	v_accvgpr_write_b32 a200, v124
	s_waitcnt vmcnt(2)
	v_accvgpr_write_b32 a203, v123
	v_accvgpr_write_b32 a202, v122
	s_waitcnt vmcnt(0)
	v_pk_mov_b32 v[130:131], v[128:129], v[128:129] op_sel:[0,1]
	buffer_load_dword v129, off, s[0:3], 0 offset:548
	buffer_load_dword v128, off, s[0:3], 0 offset:544
	ds_read_b128 v[170:173], v234 offset:1232
	ds_read_b128 v[174:177], v234 offset:1248
	;; [unrolled: 1-line block ×6, first 2 shown]
	s_waitcnt lgkmcnt(5)
	v_mul_f64 v[118:119], v[170:171], v[96:97]
	v_fmac_f64_e32 v[118:119], v[172:173], v[242:243]
	v_add_f64 v[116:117], v[116:117], v[118:119]
	s_waitcnt lgkmcnt(4)
	v_mul_f64 v[118:119], v[174:175], v[84:85]
	v_fmac_f64_e32 v[118:119], v[176:177], v[90:91]
	v_add_f64 v[116:117], v[116:117], v[118:119]
	;; [unrolled: 4-line block ×3, first 2 shown]
	s_waitcnt lgkmcnt(2)
	v_mul_f64 v[118:119], v[182:183], v[244:245]
	v_fmac_f64_e32 v[118:119], v[184:185], v[246:247]
	ds_read_b128 v[194:197], v234 offset:1328
	ds_read_b128 v[198:201], v234 offset:1344
	v_add_f64 v[116:117], v[116:117], v[118:119]
	s_waitcnt lgkmcnt(3)
	v_mul_f64 v[118:119], v[186:187], v[126:127]
	v_fmac_f64_e32 v[118:119], v[188:189], v[0:1]
	v_add_f64 v[116:117], v[116:117], v[118:119]
	s_waitcnt lgkmcnt(2)
	v_mul_f64 v[118:119], v[190:191], v[252:253]
	v_fmac_f64_e32 v[118:119], v[192:193], v[254:255]
	ds_read_b128 v[202:205], v234 offset:1360
	ds_read_b128 v[206:209], v234 offset:1376
	v_add_f64 v[116:117], v[116:117], v[118:119]
	s_waitcnt lgkmcnt(3)
	v_mul_f64 v[118:119], v[194:195], v[2:3]
	v_fmac_f64_e32 v[118:119], v[196:197], v[232:233]
	v_add_f64 v[116:117], v[116:117], v[118:119]
	s_waitcnt lgkmcnt(2)
	v_mul_f64 v[118:119], v[198:199], v[92:93]
	v_fmac_f64_e32 v[118:119], v[200:201], v[94:95]
	;; [unrolled: 4-line block ×3, first 2 shown]
	v_add_f64 v[116:117], v[116:117], v[118:119]
	ds_read_b128 v[210:213], v234 offset:1392
	buffer_load_dword v118, off, s[0:3], 0 offset:600
	buffer_load_dword v133, off, s[0:3], 0 offset:588
	;; [unrolled: 1-line block ×3, first 2 shown]
	v_accvgpr_write_b32 a193, v131
	v_accvgpr_write_b32 a192, v130
	v_mul_f64 v[2:3], v[196:197], v[2:3]
	s_waitcnt vmcnt(3)
	v_accvgpr_write_b32 a195, v129
	v_accvgpr_write_b32 a194, v128
	s_waitcnt vmcnt(0)
	v_pk_mov_b32 v[134:135], v[132:133], v[132:133] op_sel:[0,1]
	buffer_load_dword v133, off, s[0:3], 0 offset:580
	buffer_load_dword v132, off, s[0:3], 0 offset:576
	v_accvgpr_write_b32 a209, v135
	v_accvgpr_write_b32 a208, v134
	s_waitcnt vmcnt(0)
	v_pk_mov_b32 v[140:141], v[132:133], v[132:133] op_sel:[0,1]
	buffer_load_dword v132, off, s[0:3], 0 offset:592
	buffer_load_dword v119, off, s[0:3], 0 offset:604
	;; [unrolled: 1-line block ×3, first 2 shown]
	ds_read_b128 v[214:217], v234 offset:1408
	v_accvgpr_write_b32 a215, v141
	v_accvgpr_write_b32 a214, v140
	s_waitcnt vmcnt(1)
	v_pk_mov_b32 v[136:137], v[118:119], v[118:119] op_sel:[0,1]
	s_waitcnt vmcnt(0)
	v_pk_mov_b32 v[138:139], v[132:133], v[132:133] op_sel:[0,1]
	buffer_load_dword v133, off, s[0:3], 0 offset:636
	buffer_load_dword v121, off, s[0:3], 0 offset:620
	buffer_load_dword v120, off, s[0:3], 0 offset:616
	buffer_load_dword v143, off, s[0:3], 0 offset:612
	buffer_load_dword v142, off, s[0:3], 0 offset:608
	buffer_load_dword v132, off, s[0:3], 0 offset:632
	s_waitcnt lgkmcnt(2)
	v_mul_f64 v[118:119], v[206:207], v[60:61]
	v_fmac_f64_e32 v[118:119], v[208:209], v[70:71]
	v_add_f64 v[116:117], v[116:117], v[118:119]
	s_waitcnt lgkmcnt(1)
	v_mul_f64 v[118:119], v[210:211], v[72:73]
	v_fmac_f64_e32 v[118:119], v[212:213], v[82:83]
	v_add_f64 v[116:117], v[116:117], v[118:119]
	;; [unrolled: 4-line block ×3, first 2 shown]
	v_fma_f64 v[118:119], v[108:109], v[222:223], -v[8:9]
	v_accvgpr_write_b32 a213, v139
	v_accvgpr_write_b32 a211, v137
	v_accvgpr_write_b32 a212, v138
	v_accvgpr_write_b32 a210, v136
	s_waitcnt vmcnt(3)
	v_accvgpr_write_b32 a217, v121
	v_accvgpr_write_b32 a216, v120
	s_waitcnt vmcnt(1)
	v_accvgpr_write_b32 a219, v143
	s_waitcnt vmcnt(0)
	v_pk_mov_b32 v[240:241], v[132:133], v[132:133] op_sel:[0,1]
	buffer_load_dword v13, off, s[0:3], 0 offset:628
	buffer_load_dword v12, off, s[0:3], 0 offset:624
	;; [unrolled: 1-line block ×6, first 2 shown]
	ds_read_b128 v[218:221], v234 offset:1424
	ds_read_b128 v[104:107], v234 offset:1440
	ds_read_b128 v[108:111], v234 offset:1456
	ds_read_b128 v[222:225], v234 offset:1472
	ds_read_b128 v[226:229], v234 offset:1504
	s_waitcnt lgkmcnt(4)
	v_mul_f64 v[6:7], v[218:219], v[56:57]
	v_fmac_f64_e32 v[6:7], v[220:221], v[58:59]
	s_waitcnt lgkmcnt(3)
	v_mul_f64 v[8:9], v[104:105], v[62:63]
	v_add_f64 v[6:7], v[116:117], v[6:7]
	v_fmac_f64_e32 v[8:9], v[106:107], v[64:65]
	v_add_f64 v[6:7], v[6:7], v[8:9]
	s_waitcnt lgkmcnt(2)
	v_mul_f64 v[8:9], v[108:109], v[66:67]
	v_fmac_f64_e32 v[8:9], v[110:111], v[68:69]
	v_add_f64 v[6:7], v[6:7], v[8:9]
	v_mul_f64 v[8:9], v[114:115], v[144:145]
	v_fma_f64 v[230:231], v[112:113], v[46:47], -v[8:9]
	ds_read_b128 v[112:115], v234 offset:1488
	s_waitcnt lgkmcnt(2)
	v_mul_f64 v[8:9], v[222:223], v[74:75]
	v_fmac_f64_e32 v[8:9], v[224:225], v[76:77]
	v_add_f64 v[6:7], v[6:7], v[8:9]
	v_mul_f64 v[8:9], v[148:149], v[16:17]
	v_fma_f64 v[236:237], v[146:147], v[44:45], -v[8:9]
	s_waitcnt lgkmcnt(0)
	v_mul_f64 v[8:9], v[112:113], v[78:79]
	v_fmac_f64_e32 v[8:9], v[114:115], v[80:81]
	v_add_f64 v[6:7], v[6:7], v[8:9]
	v_mul_f64 v[8:9], v[152:153], v[238:239]
	ds_read_b128 v[44:47], v234 offset:1520
	v_fma_f64 v[238:239], v[150:151], v[14:15], -v[8:9]
	buffer_load_dword v8, off, s[0:3], 0 offset:664
	buffer_load_dword v9, off, s[0:3], 0 offset:668
	ds_read_b128 v[144:147], v234 offset:1568
	v_mul_f64 v[14:15], v[160:161], v[18:19]
	s_waitcnt lgkmcnt(1)
	v_accvgpr_write_b32 a191, v47
	v_accvgpr_write_b32 a190, v46
	;; [unrolled: 1-line block ×4, first 2 shown]
	v_fma_f64 v[148:149], v[158:159], v[20:21], -v[14:15]
	v_fma_f64 v[116:117], v[154:155], v[42:43], -v[10:11]
	v_fma_f64 v[42:43], v[166:167], v[28:29], -v[26:27]
	v_fma_f64 v[28:29], v[30:31], v[98:99], -v[32:33]
	v_mul_f64 v[32:33], v[114:115], v[78:79]
	v_fma_f64 v[114:115], v[112:113], v[80:81], -v[32:33]
	v_accvgpr_write_b32 a218, v142
	s_waitcnt vmcnt(6)
	v_accvgpr_write_b32 a223, v13
	v_accvgpr_write_b32 a222, v12
	s_waitcnt vmcnt(4)
	v_accvgpr_write_b32 a221, v5
	;; [unrolled: 3-line block ×3, first 2 shown]
	v_accvgpr_write_b32 a224, v132
	s_waitcnt vmcnt(0)
	v_pk_mov_b32 v[16:17], v[8:9], v[8:9] op_sel:[0,1]
	v_mul_f64 v[8:9], v[226:227], v[86:87]
	v_fmac_f64_e32 v[8:9], v[228:229], v[88:89]
	v_add_f64 v[6:7], v[6:7], v[8:9]
	v_mul_f64 v[8:9], v[44:45], v[130:131]
	v_fmac_f64_e32 v[8:9], v[46:47], v[128:129]
	v_add_f64 v[44:45], v[6:7], v[8:9]
	ds_read_b128 v[6:9], v234 offset:1536
	ds_read_b128 v[128:131], v234 offset:1552
	s_waitcnt lgkmcnt(1)
	v_mul_f64 v[22:23], v[6:7], v[124:125]
	v_fmac_f64_e32 v[22:23], v[8:9], v[122:123]
	s_waitcnt lgkmcnt(0)
	v_mul_f64 v[20:21], v[128:129], v[134:135]
	v_add_f64 v[18:19], v[44:45], v[22:23]
	v_fmac_f64_e32 v[20:21], v[130:131], v[140:141]
	v_add_f64 v[18:19], v[18:19], v[20:21]
	v_mul_f64 v[20:21], v[144:145], v[136:137]
	v_fmac_f64_e32 v[20:21], v[146:147], v[138:139]
	ds_read_b128 v[138:141], v234 offset:1584
	buffer_load_dword v124, off, s[0:3], 0 offset:656
	buffer_load_dword v125, off, s[0:3], 0 offset:660
	ds_read_b128 v[134:137], v234 offset:1600
	v_accvgpr_write_b32 a207, v131
	v_accvgpr_write_b32 a206, v130
	;; [unrolled: 1-line block ×4, first 2 shown]
	ds_read_b128 v[128:131], v234 offset:1616
	v_accvgpr_write_b32 a199, v9
	v_accvgpr_write_b32 a198, v8
	;; [unrolled: 1-line block ×4, first 2 shown]
	v_mul_f64 v[22:23], v[164:165], v[24:25]
	s_waitcnt lgkmcnt(2)
	v_mul_f64 v[8:9], v[138:139], v[120:121]
	v_add_f64 v[46:47], v[18:19], v[20:21]
	v_fma_f64 v[44:45], v[162:163], v[36:37], -v[22:23]
	v_fmac_f64_e32 v[8:9], v[140:141], v[142:143]
	s_waitcnt lgkmcnt(1)
	v_mul_f64 v[36:37], v[134:135], v[240:241]
	v_add_f64 v[8:9], v[46:47], v[8:9]
	v_fmac_f64_e32 v[36:37], v[136:137], v[12:13]
	v_add_f64 v[8:9], v[8:9], v[36:37]
	s_waitcnt lgkmcnt(0)
	v_mul_f64 v[36:37], v[128:129], v[4:5]
	v_fmac_f64_e32 v[36:37], v[130:131], v[132:133]
	v_add_f64 v[8:9], v[8:9], v[36:37]
	ds_read_b128 v[34:37], v234 offset:1632
	ds_read_b128 v[120:123], v234 offset:1648
	buffer_load_dword v150, off, s[0:3], 0 offset:696
	buffer_load_dword v155, off, s[0:3], 0 offset:684
	;; [unrolled: 1-line block ×17, first 2 shown]
	v_mul_f64 v[12:13], v[40:41], v[48:49]
	v_fma_f64 v[22:23], v[38:39], v[50:51], -v[12:13]
	v_mul_f64 v[38:39], v[172:173], v[96:97]
	v_fma_f64 v[242:243], v[170:171], v[242:243], -v[38:39]
	buffer_load_dword v162, off, s[0:3], 0 offset:752
	buffer_load_dword v171, off, s[0:3], 0 offset:748
	;; [unrolled: 1-line block ×7, first 2 shown]
	v_mul_f64 v[38:39], v[176:177], v[84:85]
	v_mul_f64 v[40:41], v[188:189], v[126:127]
	buffer_load_dword v127, off, s[0:3], 0 offset:780
	buffer_load_dword v126, off, s[0:3], 0 offset:776
	;; [unrolled: 1-line block ×4, first 2 shown]
	v_fma_f64 v[174:175], v[174:175], v[90:91], -v[38:39]
	v_mul_f64 v[38:39], v[180:181], v[248:249]
	v_fma_f64 v[250:251], v[178:179], v[250:251], -v[38:39]
	v_mul_f64 v[38:39], v[184:185], v[244:245]
	buffer_load_dword v180, off, s[0:3], 0 offset:792
	v_fma_f64 v[248:249], v[182:183], v[246:247], -v[38:39]
	buffer_load_dword v182, off, s[0:3], 0 offset:784
	buffer_load_dword v181, off, s[0:3], 0 offset:796
	;; [unrolled: 1-line block ×3, first 2 shown]
	v_fma_f64 v[18:19], v[186:187], v[0:1], -v[40:41]
	v_mul_f64 v[40:41], v[192:193], v[252:253]
	v_fma_f64 v[14:15], v[190:191], v[254:255], -v[40:41]
	buffer_load_dword v179, off, s[0:3], 0 offset:828
	buffer_load_dword v185, off, s[0:3], 0 offset:812
	;; [unrolled: 1-line block ×12, first 2 shown]
	s_waitcnt lgkmcnt(1)
	v_mul_f64 v[38:39], v[34:35], v[16:17]
	v_pk_mov_b32 v[132:133], v[16:17], v[16:17] op_sel:[0,1]
	v_fma_f64 v[16:17], v[194:195], v[232:233], -v[2:3]
	v_mul_f64 v[2:3], v[200:201], v[92:93]
	v_fma_f64 v[12:13], v[198:199], v[94:95], -v[2:3]
	v_mul_f64 v[2:3], v[204:205], v[100:101]
	v_fma_f64 v[20:21], v[202:203], v[102:103], -v[2:3]
	buffer_load_dword v196, off, s[0:3], 0 offset:856
	buffer_load_dword v198, off, s[0:3], 0 offset:848
	;; [unrolled: 1-line block ×12, first 2 shown]
	v_pk_mov_b32 v[142:143], v[240:241], v[240:241] op_sel:[0,1]
	s_waitcnt vmcnt(56)
	v_fmac_f64_e32 v[38:39], v[36:37], v[124:125]
	v_add_f64 v[2:3], v[8:9], v[38:39]
	v_mul_f64 v[8:9], v[208:209], v[60:61]
	v_fma_f64 v[10:11], v[206:207], v[70:71], -v[8:9]
	buffer_load_dword v207, off, s[0:3], 0 offset:908
	buffer_load_dword v206, off, s[0:3], 0 offset:904
	;; [unrolled: 1-line block ×4, first 2 shown]
	ds_read_b128 v[38:41], v234 offset:1664
	ds_read_b128 v[252:255], v234 offset:1680
	;; [unrolled: 1-line block ×4, first 2 shown]
	s_waitcnt vmcnt(57) lgkmcnt(4)
	v_mul_f64 v[46:47], v[120:121], v[154:155]
	s_waitcnt vmcnt(53) lgkmcnt(3)
	v_mul_f64 v[24:25], v[38:39], v[150:151]
	v_fmac_f64_e32 v[46:47], v[122:123], v[156:157]
	v_add_f64 v[2:3], v[2:3], v[46:47]
	s_waitcnt vmcnt(52)
	v_fmac_f64_e32 v[24:25], v[40:41], v[158:159]
	v_mul_f64 v[46:47], v[212:213], v[72:73]
	v_add_f64 v[2:3], v[2:3], v[24:25]
	v_mul_f64 v[24:25], v[216:217], v[52:53]
	v_fma_f64 v[8:9], v[210:211], v[82:83], -v[46:47]
	ds_read_b128 v[46:49], v234 offset:1696
	ds_read_b128 v[50:53], v234 offset:1712
	v_fma_f64 v[24:25], v[214:215], v[54:55], -v[24:25]
	s_waitcnt vmcnt(48) lgkmcnt(4)
	v_mul_f64 v[54:55], v[252:253], v[166:167]
	s_waitcnt vmcnt(46)
	v_fmac_f64_e32 v[54:55], v[254:255], v[168:169]
	v_add_f64 v[2:3], v[2:3], v[54:55]
	v_mul_f64 v[54:55], v[220:221], v[56:57]
	v_fma_f64 v[6:7], v[218:219], v[58:59], -v[54:55]
	ds_read_b128 v[54:57], v234 offset:1728
	s_waitcnt lgkmcnt(2)
	v_mul_f64 v[60:61], v[46:47], v[152:153]
	s_waitcnt vmcnt(44)
	v_fmac_f64_e32 v[60:61], v[48:49], v[164:165]
	s_waitcnt vmcnt(40) lgkmcnt(1)
	v_mul_f64 v[26:27], v[50:51], v[170:171]
	v_add_f64 v[2:3], v[2:3], v[60:61]
	ds_read_b128 v[58:61], v234 offset:1744
	s_waitcnt vmcnt(38)
	v_fmac_f64_e32 v[26:27], v[52:53], v[172:173]
	v_add_f64 v[2:3], v[2:3], v[26:27]
	s_waitcnt vmcnt(37) lgkmcnt(1)
	v_mul_f64 v[26:27], v[54:55], v[160:161]
	s_waitcnt vmcnt(36)
	v_fmac_f64_e32 v[26:27], v[56:57], v[162:163]
	v_add_f64 v[2:3], v[2:3], v[26:27]
	v_mul_f64 v[26:27], v[106:107], v[62:63]
	v_fma_f64 v[232:233], v[104:105], v[64:65], -v[26:27]
	ds_read_b128 v[62:65], v234 offset:1760
	s_waitcnt vmcnt(34) lgkmcnt(1)
	v_mul_f64 v[26:27], v[58:59], v[126:127]
	s_waitcnt vmcnt(32)
	v_fmac_f64_e32 v[26:27], v[60:61], v[176:177]
	v_add_f64 v[2:3], v[2:3], v[26:27]
	v_mul_f64 v[26:27], v[110:111], v[66:67]
	v_fma_f64 v[4:5], v[108:109], v[68:69], -v[26:27]
	ds_read_b128 v[66:69], v234 offset:1776
	s_waitcnt vmcnt(29) lgkmcnt(1)
	v_mul_f64 v[26:27], v[62:63], v[180:181]
	s_waitcnt vmcnt(28)
	v_fmac_f64_e32 v[26:27], v[64:65], v[182:183]
	ds_read_b128 v[70:73], v234 offset:1792
	v_add_f64 v[2:3], v[2:3], v[26:27]
	v_mul_f64 v[26:27], v[224:225], v[74:75]
	v_fma_f64 v[26:27], v[222:223], v[76:77], -v[26:27]
	ds_read_b128 v[74:77], v234 offset:1808
	s_waitcnt vmcnt(25) lgkmcnt(2)
	v_mul_f64 v[30:31], v[66:67], v[184:185]
	s_waitcnt vmcnt(23)
	v_fmac_f64_e32 v[30:31], v[68:69], v[190:191]
	v_add_f64 v[2:3], v[2:3], v[30:31]
	s_waitcnt vmcnt(22) lgkmcnt(1)
	v_mul_f64 v[30:31], v[70:71], v[178:179]
	s_waitcnt vmcnt(20)
	v_fmac_f64_e32 v[30:31], v[72:73], v[188:189]
	v_add_f64 v[2:3], v[2:3], v[30:31]
	;; [unrolled: 5-line block ×3, first 2 shown]
	v_mul_f64 v[2:3], v[228:229], v[86:87]
	ds_read_b128 v[82:85], v234 offset:1824
	v_fma_f64 v[2:3], v[226:227], v[88:89], -v[2:3]
	ds_read_b128 v[86:89], v234 offset:1856
	buffer_load_dword v210, off, s[0:3], 0 offset:920
	buffer_load_dword v211, off, s[0:3], 0 offset:924
	buffer_load_dword v212, off, s[0:3], 0 offset:912
	buffer_load_dword v213, off, s[0:3], 0 offset:916
	ds_read_b128 v[94:97], v234 offset:1888
	buffer_load_dword v215, off, s[0:3], 0 offset:940
	buffer_load_dword v214, off, s[0:3], 0 offset:936
	buffer_load_dword v217, off, s[0:3], 0 offset:932
	buffer_load_dword v216, off, s[0:3], 0 offset:928
	;; [unrolled: 5-line block ×6, first 2 shown]
	s_waitcnt vmcnt(37) lgkmcnt(6)
	v_mul_f64 v[32:33], v[82:83], v[196:197]
	s_waitcnt vmcnt(36)
	v_fmac_f64_e32 v[32:33], v[84:85], v[198:199]
	v_add_f64 v[30:31], v[30:31], v[32:33]
	s_waitcnt vmcnt(33)
	v_mul_f64 v[32:33], v[78:79], v[202:203]
	s_waitcnt vmcnt(31)
	v_fmac_f64_e32 v[32:33], v[80:81], v[204:205]
	v_add_f64 v[30:31], v[30:31], v[32:33]
	s_waitcnt vmcnt(29) lgkmcnt(5)
	v_mul_f64 v[32:33], v[86:87], v[194:195]
	s_waitcnt vmcnt(28)
	v_fmac_f64_e32 v[32:33], v[88:89], v[200:201]
	v_add_f64 v[30:31], v[30:31], v[32:33]
	s_waitcnt vmcnt(26)
	v_mul_f64 v[32:33], v[90:91], v[206:207]
	s_waitcnt vmcnt(24)
	v_fmac_f64_e32 v[32:33], v[92:93], v[208:209]
	v_add_f64 v[30:31], v[30:31], v[32:33]
	s_waitcnt vmcnt(22) lgkmcnt(4)
	v_mul_f64 v[32:33], v[94:95], v[210:211]
	s_waitcnt vmcnt(20)
	v_fmac_f64_e32 v[32:33], v[96:97], v[212:213]
	v_add_f64 v[30:31], v[30:31], v[32:33]
	s_waitcnt vmcnt(18) lgkmcnt(3)
	;; [unrolled: 5-line block ×5, first 2 shown]
	v_mul_f64 v[32:33], v[110:111], v[226:227]
	s_waitcnt vmcnt(4)
	v_fmac_f64_e32 v[32:33], v[112:113], v[228:229]
	v_add_f64 v[0:1], v[30:31], v[32:33]
	ds_read_b128 v[30:33], v234 offset:1968
	s_waitcnt vmcnt(2) lgkmcnt(0)
	v_mul_f64 v[240:241], v[30:31], v[244:245]
	s_waitcnt vmcnt(0)
	v_fmac_f64_e32 v[240:241], v[32:33], v[246:247]
	v_add_f64 v[240:241], v[0:1], v[240:241]
	v_accvgpr_read_b32 v0, a226
	v_accvgpr_read_b32 v1, a227
	v_add_f64 v[0:1], v[0:1], 0
	v_add_f64 v[0:1], v[0:1], v[118:119]
	;; [unrolled: 1-line block ×27, first 2 shown]
	buffer_load_dword v0, off, s[0:3], 0 offset:64
	buffer_load_dword v1, off, s[0:3], 0 offset:68
	;; [unrolled: 1-line block ×4, first 2 shown]
	v_add_f64 v[4:5], v[230:231], v[114:115]
	v_add_f64 v[2:3], v[4:5], v[2:3]
	v_accvgpr_read_b32 v6, a188
	v_accvgpr_read_b32 v4, a192
	v_accvgpr_read_b32 v8, a190
	v_accvgpr_read_b32 v9, a191
	v_accvgpr_read_b32 v5, a193
	v_mul_f64 v[4:5], v[8:9], v[4:5]
	v_accvgpr_read_b32 v8, a194
	v_accvgpr_read_b32 v7, a189
	v_accvgpr_read_b32 v9, a195
	v_fma_f64 v[4:5], v[6:7], v[8:9], -v[4:5]
	v_add_f64 v[2:3], v[2:3], v[4:5]
	v_accvgpr_read_b32 v6, a196
	v_accvgpr_read_b32 v4, a200
	v_accvgpr_read_b32 v8, a198
	v_accvgpr_read_b32 v9, a199
	v_accvgpr_read_b32 v5, a201
	v_mul_f64 v[4:5], v[8:9], v[4:5]
	v_accvgpr_read_b32 v8, a202
	v_accvgpr_read_b32 v7, a197
	v_accvgpr_read_b32 v9, a203
	v_fma_f64 v[4:5], v[6:7], v[8:9], -v[4:5]
	;; [unrolled: 11-line block ×3, first 2 shown]
	v_add_f64 v[2:3], v[2:3], v[4:5]
	v_accvgpr_read_b32 v4, a210
	v_accvgpr_read_b32 v5, a211
	;; [unrolled: 1-line block ×3, first 2 shown]
	v_mul_f64 v[4:5], v[146:147], v[4:5]
	v_accvgpr_read_b32 v7, a213
	v_fma_f64 v[4:5], v[144:145], v[6:7], -v[4:5]
	v_add_f64 v[2:3], v[2:3], v[4:5]
	v_accvgpr_read_b32 v4, a216
	v_accvgpr_read_b32 v5, a217
	;; [unrolled: 1-line block ×3, first 2 shown]
	v_mul_f64 v[4:5], v[140:141], v[4:5]
	v_accvgpr_read_b32 v7, a219
	v_fma_f64 v[4:5], v[138:139], v[6:7], -v[4:5]
	v_accvgpr_read_b32 v6, a222
	v_add_f64 v[2:3], v[2:3], v[4:5]
	v_mul_f64 v[4:5], v[136:137], v[142:143]
	v_accvgpr_read_b32 v7, a223
	v_fma_f64 v[4:5], v[134:135], v[6:7], -v[4:5]
	v_add_f64 v[2:3], v[2:3], v[4:5]
	v_accvgpr_read_b32 v4, a220
	v_accvgpr_read_b32 v5, a221
	;; [unrolled: 1-line block ×3, first 2 shown]
	v_mul_f64 v[4:5], v[130:131], v[4:5]
	v_accvgpr_read_b32 v7, a225
	v_fma_f64 v[4:5], v[128:129], v[6:7], -v[4:5]
	v_add_f64 v[2:3], v[2:3], v[4:5]
	v_mul_f64 v[4:5], v[36:37], v[132:133]
	v_fma_f64 v[4:5], v[34:35], v[124:125], -v[4:5]
	v_add_f64 v[2:3], v[2:3], v[4:5]
	v_mul_f64 v[4:5], v[122:123], v[154:155]
	;; [unrolled: 3-line block ×22, first 2 shown]
	v_fma_f64 v[4:5], v[30:31], v[246:247], -v[4:5]
	v_add_f64 v[2:3], v[2:3], v[4:5]
	s_waitcnt vmcnt(2)
	v_add_f64 v[0:1], v[0:1], -v[2:3]
	s_waitcnt vmcnt(0)
	v_add_f64 v[2:3], v[250:251], -v[240:241]
	buffer_store_dword v1, off, s[0:3], 0 offset:68
	buffer_store_dword v0, off, s[0:3], 0 offset:64
	;; [unrolled: 1-line block ×4, first 2 shown]
	v_accvgpr_read_b32 v0, a185
	v_cmp_lt_u32_e32 vcc, 2, v0
	s_and_saveexec_b64 s[4:5], vcc
	s_cbranch_execz .LBB61_393
; %bb.392:
	v_accvgpr_read_b32 v3, a183
	buffer_load_dword v0, v3, s[0:3], 0 offen
	buffer_load_dword v1, v3, s[0:3], 0 offen offset:4
	buffer_load_dword v2, v3, s[0:3], 0 offen offset:8
	s_nop 0
	buffer_load_dword v3, v3, s[0:3], 0 offen offset:12
	v_mov_b32_e32 v4, 0
	v_accvgpr_read_b32 v5, a186
	buffer_store_dword v4, off, s[0:3], 0 offset:48
	buffer_store_dword v4, off, s[0:3], 0 offset:52
	;; [unrolled: 1-line block ×4, first 2 shown]
	s_waitcnt vmcnt(4)
	ds_write_b128 v5, v[0:3]
.LBB61_393:
	s_or_b64 exec, exec, s[4:5]
	s_waitcnt lgkmcnt(0)
	; wave barrier
	s_waitcnt lgkmcnt(0)
	buffer_load_dword v4, off, s[0:3], 0 offset:64
	buffer_load_dword v5, off, s[0:3], 0 offset:68
	buffer_load_dword v10, off, s[0:3], 0 offset:72
	buffer_load_dword v11, off, s[0:3], 0 offset:76
	buffer_load_dword v2, off, s[0:3], 0 offset:80
	buffer_load_dword v3, off, s[0:3], 0 offset:84
	buffer_load_dword v6, off, s[0:3], 0 offset:88
	buffer_load_dword v7, off, s[0:3], 0 offset:92
	buffer_load_dword v8, off, s[0:3], 0 offset:104
	buffer_load_dword v9, off, s[0:3], 0 offset:108
	buffer_load_dword v1, off, s[0:3], 0 offset:140
	buffer_load_dword v0, off, s[0:3], 0 offset:136
	buffer_load_dword v15, off, s[0:3], 0 offset:132
	buffer_load_dword v14, off, s[0:3], 0 offset:128
	buffer_load_dword v17, off, s[0:3], 0 offset:124
	buffer_load_dword v16, off, s[0:3], 0 offset:120
	buffer_load_dword v253, off, s[0:3], 0 offset:172
	buffer_load_dword v252, off, s[0:3], 0 offset:168
	buffer_load_dword v251, off, s[0:3], 0 offset:164
	buffer_load_dword v250, off, s[0:3], 0 offset:160
	buffer_load_dword v29, off, s[0:3], 0 offset:156
	buffer_load_dword v28, off, s[0:3], 0 offset:152
	buffer_load_dword v241, off, s[0:3], 0 offset:188
	buffer_load_dword v240, off, s[0:3], 0 offset:184
	buffer_load_dword v232, off, s[0:3], 0 offset:96
	buffer_load_dword v233, off, s[0:3], 0 offset:100
	buffer_load_dword v33, off, s[0:3], 0 offset:116
	buffer_load_dword v32, off, s[0:3], 0 offset:112
	buffer_load_dword v31, off, s[0:3], 0 offset:148
	buffer_load_dword v30, off, s[0:3], 0 offset:144
	buffer_load_dword v23, off, s[0:3], 0 offset:180
	buffer_load_dword v22, off, s[0:3], 0 offset:176
	buffer_load_dword v238, off, s[0:3], 0 offset:200
	buffer_load_dword v36, off, s[0:3], 0 offset:192
	buffer_load_dword v37, off, s[0:3], 0 offset:196
	buffer_load_dword v239, off, s[0:3], 0 offset:204
	buffer_load_dword v39, off, s[0:3], 0 offset:236
	buffer_load_dword v38, off, s[0:3], 0 offset:232
	buffer_load_dword v41, off, s[0:3], 0 offset:228
	buffer_load_dword v40, off, s[0:3], 0 offset:224
	buffer_load_dword v43, off, s[0:3], 0 offset:220
	buffer_load_dword v42, off, s[0:3], 0 offset:216
	buffer_load_dword v45, off, s[0:3], 0 offset:212
	buffer_load_dword v44, off, s[0:3], 0 offset:208
	buffer_load_dword v53, off, s[0:3], 0 offset:268
	buffer_load_dword v52, off, s[0:3], 0 offset:264
	buffer_load_dword v55, off, s[0:3], 0 offset:260
	buffer_load_dword v54, off, s[0:3], 0 offset:256
	buffer_load_dword v87, off, s[0:3], 0 offset:252
	buffer_load_dword v86, off, s[0:3], 0 offset:248
	buffer_load_dword v89, off, s[0:3], 0 offset:244
	buffer_load_dword v88, off, s[0:3], 0 offset:240
	buffer_load_dword v49, off, s[0:3], 0 offset:300
	buffer_load_dword v48, off, s[0:3], 0 offset:296
	v_mov_b32_e32 v236, 0
	ds_read_b128 v[138:141], v236 offset:1040
	ds_read_b128 v[142:145], v236 offset:1056
	;; [unrolled: 1-line block ×9, first 2 shown]
	s_waitcnt vmcnt(38) lgkmcnt(5)
	v_mul_f64 v[56:57], v[150:151], v[16:17]
	s_waitcnt vmcnt(36) lgkmcnt(2)
	v_mul_f64 v[62:63], v[162:163], v[252:253]
	s_waitcnt vmcnt(34)
	v_fmac_f64_e32 v[62:63], v[164:165], v[250:251]
	s_waitcnt vmcnt(32)
	v_mul_f64 v[60:61], v[158:159], v[28:29]
	v_mul_f64 v[28:29], v[160:161], v[28:29]
	s_waitcnt vmcnt(30) lgkmcnt(1)
	v_mul_f64 v[100:101], v[166:167], v[240:241]
	s_waitcnt vmcnt(26)
	v_fmac_f64_e32 v[56:57], v[152:153], v[32:33]
	s_waitcnt vmcnt(24)
	v_fmac_f64_e32 v[60:61], v[160:161], v[30:31]
	v_mul_f64 v[46:47], v[142:143], v[6:7]
	v_fmac_f64_e32 v[46:47], v[144:145], v[2:3]
	v_mul_f64 v[50:51], v[146:147], v[8:9]
	v_fmac_f64_e32 v[50:51], v[148:149], v[232:233]
	v_pk_mov_b32 v[18:19], v[0:1], v[0:1] op_sel:[0,1]
	v_mul_f64 v[0:1], v[138:139], v[10:11]
	v_fmac_f64_e32 v[0:1], v[140:141], v[4:5]
	v_add_f64 v[0:1], v[0:1], 0
	v_add_f64 v[0:1], v[0:1], v[46:47]
	v_mul_f64 v[58:59], v[154:155], v[18:19]
	v_add_f64 v[0:1], v[0:1], v[50:51]
	v_fmac_f64_e32 v[58:59], v[156:157], v[14:15]
	v_add_f64 v[0:1], v[0:1], v[56:57]
	v_add_f64 v[0:1], v[0:1], v[58:59]
	;; [unrolled: 1-line block ×4, first 2 shown]
	buffer_load_dword v111, off, s[0:3], 0 offset:292
	buffer_load_dword v110, off, s[0:3], 0 offset:288
	;; [unrolled: 1-line block ×62, first 2 shown]
	ds_read_b128 v[174:177], v236 offset:1184
	ds_read_b128 v[178:181], v236 offset:1200
	s_waitcnt vmcnt(62)
	v_fmac_f64_e32 v[100:101], v[168:169], v[22:23]
	v_add_f64 v[0:1], v[0:1], v[100:101]
	s_waitcnt lgkmcnt(2)
	v_mul_f64 v[100:101], v[170:171], v[238:239]
	v_fmac_f64_e32 v[100:101], v[172:173], v[36:37]
	ds_read_b128 v[182:185], v236 offset:1216
	ds_read_b128 v[186:189], v236 offset:1232
	v_add_f64 v[0:1], v[0:1], v[100:101]
	s_waitcnt lgkmcnt(3)
	v_mul_f64 v[100:101], v[174:175], v[42:43]
	v_fmac_f64_e32 v[100:101], v[176:177], v[44:45]
	v_add_f64 v[0:1], v[0:1], v[100:101]
	s_waitcnt lgkmcnt(2)
	v_mul_f64 v[100:101], v[178:179], v[38:39]
	v_fmac_f64_e32 v[100:101], v[180:181], v[40:41]
	ds_read_b128 v[190:193], v236 offset:1248
	ds_read_b128 v[194:197], v236 offset:1264
	v_add_f64 v[0:1], v[0:1], v[100:101]
	s_waitcnt lgkmcnt(3)
	v_mul_f64 v[100:101], v[182:183], v[86:87]
	v_fmac_f64_e32 v[100:101], v[184:185], v[88:89]
	v_add_f64 v[0:1], v[0:1], v[100:101]
	s_waitcnt lgkmcnt(2)
	v_mul_f64 v[100:101], v[186:187], v[52:53]
	v_fmac_f64_e32 v[100:101], v[188:189], v[54:55]
	ds_read_b128 v[198:201], v236 offset:1280
	ds_read_b128 v[202:205], v236 offset:1296
	v_add_f64 v[0:1], v[0:1], v[100:101]
	s_waitcnt vmcnt(58) lgkmcnt(3)
	v_mul_f64 v[100:101], v[190:191], v[242:243]
	s_waitcnt vmcnt(56)
	v_fmac_f64_e32 v[100:101], v[192:193], v[244:245]
	v_add_f64 v[0:1], v[0:1], v[100:101]
	s_waitcnt lgkmcnt(2)
	v_mul_f64 v[100:101], v[194:195], v[48:49]
	v_fmac_f64_e32 v[100:101], v[196:197], v[110:111]
	ds_read_b128 v[206:209], v236 offset:1312
	ds_read_b128 v[210:213], v236 offset:1328
	v_add_f64 v[0:1], v[0:1], v[100:101]
	s_waitcnt vmcnt(50) lgkmcnt(3)
	v_mul_f64 v[100:101], v[198:199], v[234:235]
	s_waitcnt vmcnt(48)
	;; [unrolled: 11-line block ×3, first 2 shown]
	v_fmac_f64_e32 v[100:101], v[208:209], v[112:113]
	v_add_f64 v[0:1], v[0:1], v[100:101]
	s_waitcnt lgkmcnt(2)
	v_mul_f64 v[100:101], v[210:211], v[92:93]
	v_fmac_f64_e32 v[100:101], v[212:213], v[96:97]
	v_add_f64 v[0:1], v[0:1], v[100:101]
	s_waitcnt vmcnt(34) lgkmcnt(1)
	v_mul_f64 v[100:101], v[214:215], v[102:103]
	s_waitcnt vmcnt(32)
	v_fmac_f64_e32 v[100:101], v[216:217], v[106:107]
	v_add_f64 v[0:1], v[0:1], v[100:101]
	buffer_load_dword v117, off, s[0:3], 0 offset:556
	buffer_load_dword v101, off, s[0:3], 0 offset:540
	;; [unrolled: 1-line block ×6, first 2 shown]
	v_mul_f64 v[10:11], v[140:141], v[10:11]
	v_fma_f64 v[4:5], v[138:139], v[4:5], -v[10:11]
	v_accvgpr_write_b32 a231, v5
	v_accvgpr_write_b32 a230, v4
	;; [unrolled: 1-line block ×4, first 2 shown]
	s_waitcnt vmcnt(0)
	v_pk_mov_b32 v[124:125], v[116:117], v[116:117] op_sel:[0,1]
	buffer_load_dword v117, off, s[0:3], 0 offset:548
	buffer_load_dword v116, off, s[0:3], 0 offset:544
	ds_read_b128 v[222:225], v236 offset:1376
	v_accvgpr_write_b32 a193, v125
	v_accvgpr_write_b32 a192, v124
	s_waitcnt vmcnt(0)
	v_pk_mov_b32 v[126:127], v[116:117], v[116:117] op_sel:[0,1]
	s_waitcnt lgkmcnt(1)
	v_mul_f64 v[116:117], v[218:219], v[90:91]
	v_fmac_f64_e32 v[116:117], v[220:221], v[84:85]
	v_add_f64 v[0:1], v[0:1], v[116:117]
	buffer_load_dword v117, off, s[0:3], 0 offset:572
	buffer_load_dword v116, off, s[0:3], 0 offset:568
	v_accvgpr_write_b32 a195, v127
	v_accvgpr_write_b32 a194, v126
	s_waitcnt vmcnt(0)
	v_pk_mov_b32 v[128:129], v[116:117], v[116:117] op_sel:[0,1]
	buffer_load_dword v117, off, s[0:3], 0 offset:564
	buffer_load_dword v116, off, s[0:3], 0 offset:560
	ds_read_b128 v[226:229], v236 offset:1392
	v_accvgpr_write_b32 a201, v129
	v_accvgpr_write_b32 a200, v128
	s_waitcnt vmcnt(0)
	v_pk_mov_b32 v[130:131], v[116:117], v[116:117] op_sel:[0,1]
	buffer_load_dword v117, off, s[0:3], 0 offset:588
	buffer_load_dword v116, off, s[0:3], 0 offset:584
	v_accvgpr_write_b32 a203, v131
	v_accvgpr_write_b32 a202, v130
	s_waitcnt vmcnt(0)
	v_pk_mov_b32 v[132:133], v[116:117], v[116:117] op_sel:[0,1]
	buffer_load_dword v117, off, s[0:3], 0 offset:580
	buffer_load_dword v116, off, s[0:3], 0 offset:576
	;; [unrolled: 6-line block ×3, first 2 shown]
	buffer_load_dword v13, off, s[0:3], 0 offset:596
	buffer_load_dword v12, off, s[0:3], 0 offset:592
	ds_read_b128 v[246:249], v236 offset:1408
	buffer_load_dword v34, off, s[0:3], 0 offset:616
	buffer_load_dword v118, off, s[0:3], 0 offset:608
	;; [unrolled: 1-line block ×4, first 2 shown]
	ds_read_b128 v[24:27], v236 offset:1424
	ds_read_b128 v[120:123], v236 offset:1440
	v_accvgpr_write_b32 a217, v137
	v_accvgpr_write_b32 a216, v136
	s_waitcnt lgkmcnt(1)
	v_mul_f64 v[4:5], v[24:25], v[58:59]
	v_fmac_f64_e32 v[4:5], v[26:27], v[60:61]
	v_mul_f64 v[58:59], v[26:27], v[58:59]
	s_waitcnt vmcnt(6)
	v_pk_mov_b32 v[134:135], v[116:117], v[116:117] op_sel:[0,1]
	v_mul_f64 v[116:117], v[222:223], v[68:69]
	v_fmac_f64_e32 v[116:117], v[224:225], v[82:83]
	v_add_f64 v[0:1], v[0:1], v[116:117]
	v_mul_f64 v[116:117], v[226:227], v[46:47]
	v_fmac_f64_e32 v[116:117], v[228:229], v[50:51]
	v_add_f64 v[0:1], v[0:1], v[116:117]
	;; [unrolled: 3-line block ×3, first 2 shown]
	v_add_f64 v[4:5], v[0:1], v[4:5]
	v_mul_f64 v[0:1], v[144:145], v[6:7]
	v_fma_f64 v[142:143], v[142:143], v[2:3], -v[0:1]
	v_mul_f64 v[0:1], v[148:149], v[8:9]
	v_fma_f64 v[116:117], v[146:147], v[232:233], -v[0:1]
	buffer_load_dword v255, off, s[0:3], 0 offset:652
	buffer_load_dword v231, off, s[0:3], 0 offset:636
	;; [unrolled: 1-line block ×8, first 2 shown]
	ds_read_b128 v[18:21], v236 offset:1456
	ds_read_b128 v[138:141], v236 offset:1472
	s_waitcnt lgkmcnt(2)
	v_mul_f64 v[6:7], v[120:121], v[62:63]
	v_fmac_f64_e32 v[6:7], v[122:123], v[64:65]
	v_add_f64 v[4:5], v[4:5], v[6:7]
	s_waitcnt lgkmcnt(1)
	v_mul_f64 v[6:7], v[18:19], v[70:71]
	v_fmac_f64_e32 v[6:7], v[20:21], v[72:73]
	v_mul_f64 v[8:9], v[152:153], v[16:17]
	v_add_f64 v[4:5], v[4:5], v[6:7]
	s_waitcnt lgkmcnt(0)
	v_mul_f64 v[6:7], v[138:139], v[74:75]
	v_fma_f64 v[232:233], v[150:151], v[32:33], -v[8:9]
	v_fmac_f64_e32 v[6:7], v[140:141], v[76:77]
	v_accvgpr_read_b32 v8, a188
	v_add_f64 v[16:17], v[4:5], v[6:7]
	ds_read_b128 v[4:7], v236 offset:1488
	v_accvgpr_read_b32 v9, a189
	v_mul_f64 v[8:9], v[156:157], v[8:9]
	v_fma_f64 v[146:147], v[154:155], v[14:15], -v[8:9]
	ds_read_b128 v[8:11], v236 offset:1504
	v_fma_f64 v[144:145], v[158:159], v[30:31], -v[28:29]
	ds_read_b128 v[28:31], v236 offset:1520
	ds_read_b128 v[148:151], v236 offset:1552
	s_waitcnt lgkmcnt(3)
	v_mul_f64 v[14:15], v[4:5], v[78:79]
	v_fmac_f64_e32 v[14:15], v[6:7], v[80:81]
	v_add_f64 v[14:15], v[16:17], v[14:15]
	s_waitcnt lgkmcnt(2)
	v_mul_f64 v[16:17], v[8:9], v[100:101]
	v_fmac_f64_e32 v[16:17], v[10:11], v[104:105]
	v_add_f64 v[14:15], v[14:15], v[16:17]
	s_waitcnt lgkmcnt(1)
	v_mul_f64 v[16:17], v[28:29], v[124:125]
	v_fmac_f64_e32 v[16:17], v[30:31], v[126:127]
	ds_read_b128 v[124:127], v236 offset:1536
	v_accvgpr_write_b32 a191, v31
	v_accvgpr_write_b32 a190, v30
	;; [unrolled: 1-line block ×4, first 2 shown]
	v_add_f64 v[28:29], v[14:15], v[16:17]
	v_mul_f64 v[14:15], v[164:165], v[252:253]
	v_fma_f64 v[32:33], v[162:163], v[250:251], -v[14:15]
	ds_read_b128 v[250:253], v236 offset:1600
	s_waitcnt lgkmcnt(1)
	v_mul_f64 v[14:15], v[124:125], v[128:129]
	v_accvgpr_write_b32 a199, v127
	v_fmac_f64_e32 v[14:15], v[126:127], v[130:131]
	v_accvgpr_write_b32 a198, v126
	v_accvgpr_write_b32 a197, v125
	;; [unrolled: 1-line block ×3, first 2 shown]
	ds_read_b128 v[124:127], v236 offset:1568
	v_mul_f64 v[16:17], v[168:169], v[240:241]
	v_fma_f64 v[30:31], v[166:167], v[22:23], -v[16:17]
	v_mul_f64 v[16:17], v[148:149], v[132:133]
	v_add_f64 v[14:15], v[28:29], v[14:15]
	v_fmac_f64_e32 v[16:17], v[150:151], v[136:137]
	v_accvgpr_write_b32 a207, v151
	v_add_f64 v[14:15], v[14:15], v[16:17]
	s_waitcnt lgkmcnt(0)
	v_mul_f64 v[16:17], v[124:125], v[134:135]
	v_accvgpr_write_b32 a215, v135
	s_waitcnt vmcnt(12)
	v_accvgpr_write_b32 a219, v13
	v_accvgpr_write_b32 a206, v150
	;; [unrolled: 1-line block ×5, first 2 shown]
	v_fmac_f64_e32 v[16:17], v[126:127], v[12:13]
	v_accvgpr_write_b32 a218, v12
	ds_read_b128 v[134:137], v236 offset:1584
	buffer_load_dword v13, off, s[0:3], 0 offset:684
	buffer_load_dword v12, off, s[0:3], 0 offset:680
	;; [unrolled: 1-line block ×13, first 2 shown]
	ds_read_b128 v[128:131], v236 offset:1616
	buffer_load_dword v132, off, s[0:3], 0 offset:704
	buffer_load_dword v151, off, s[0:3], 0 offset:716
	;; [unrolled: 1-line block ×3, first 2 shown]
	v_accvgpr_write_b32 a211, v127
	v_accvgpr_write_b32 a210, v126
	;; [unrolled: 1-line block ×4, first 2 shown]
	buffer_load_dword v125, off, s[0:3], 0 offset:748
	buffer_load_dword v165, off, s[0:3], 0 offset:732
	;; [unrolled: 1-line block ×8, first 2 shown]
	v_add_f64 v[14:15], v[14:15], v[16:17]
	v_mul_f64 v[16:17], v[172:173], v[238:239]
	s_waitcnt vmcnt(33)
	v_accvgpr_write_b32 a221, v35
	v_fma_f64 v[170:171], v[170:171], v[36:37], -v[16:17]
	s_waitcnt lgkmcnt(1)
	v_mul_f64 v[16:17], v[134:135], v[34:35]
	v_accvgpr_write_b32 a220, v34
	ds_read_b128 v[160:163], v236 offset:1632
	v_mul_f64 v[34:35], v[200:201], v[234:235]
	buffer_load_dword v235, off, s[0:3], 0 offset:764
	buffer_load_dword v234, off, s[0:3], 0 offset:760
	buffer_load_dword v173, off, s[0:3], 0 offset:756
	buffer_load_dword v172, off, s[0:3], 0 offset:752
	s_waitcnt vmcnt(36)
	v_fmac_f64_e32 v[16:17], v[136:137], v[118:119]
	v_add_f64 v[14:15], v[14:15], v[16:17]
	v_mul_f64 v[16:17], v[176:177], v[42:43]
	v_fma_f64 v[238:239], v[174:175], v[44:45], -v[16:17]
	v_mul_f64 v[16:17], v[180:181], v[38:39]
	v_fma_f64 v[240:241], v[178:179], v[40:41], -v[16:17]
	buffer_load_dword v175, off, s[0:3], 0 offset:780
	buffer_load_dword v174, off, s[0:3], 0 offset:776
	;; [unrolled: 1-line block ×8, first 2 shown]
	v_mul_f64 v[16:17], v[184:185], v[86:87]
	v_fma_f64 v[86:87], v[182:183], v[88:89], -v[16:17]
	s_waitcnt vmcnt(41)
	v_mul_f64 v[16:17], v[250:251], v[230:231]
	s_waitcnt vmcnt(39)
	v_fmac_f64_e32 v[16:17], v[252:253], v[2:3]
	v_mul_f64 v[22:23], v[196:197], v[48:49]
	v_add_f64 v[14:15], v[14:15], v[16:17]
	s_waitcnt vmcnt(38) lgkmcnt(1)
	v_mul_f64 v[16:17], v[128:129], v[254:255]
	v_fma_f64 v[22:23], v[194:195], v[110:111], -v[22:23]
	v_fma_f64 v[110:111], v[198:199], v[114:115], -v[34:35]
	v_mul_f64 v[34:35], v[204:205], v[94:95]
	s_waitcnt vmcnt(36)
	v_fmac_f64_e32 v[16:17], v[130:131], v[0:1]
	v_fma_f64 v[184:185], v[202:203], v[98:99], -v[34:35]
	buffer_load_dword v182, off, s[0:3], 0 offset:808
	v_mul_f64 v[34:35], v[208:209], v[108:109]
	v_add_f64 v[42:43], v[14:15], v[16:17]
	v_mul_f64 v[14:15], v[188:189], v[52:53]
	v_fma_f64 v[202:203], v[206:207], v[112:113], -v[34:35]
	buffer_load_dword v112, off, s[0:3], 0 offset:800
	buffer_load_dword v183, off, s[0:3], 0 offset:812
	;; [unrolled: 1-line block ×3, first 2 shown]
	v_fma_f64 v[88:89], v[186:187], v[54:55], -v[14:15]
	buffer_load_dword v187, off, s[0:3], 0 offset:828
	buffer_load_dword v186, off, s[0:3], 0 offset:824
	;; [unrolled: 1-line block ×4, first 2 shown]
	v_mul_f64 v[14:15], v[192:193], v[242:243]
	buffer_load_dword v193, off, s[0:3], 0 offset:844
	buffer_load_dword v192, off, s[0:3], 0 offset:840
	;; [unrolled: 1-line block ×4, first 2 shown]
	v_mul_f64 v[34:35], v[212:213], v[92:93]
	v_fma_f64 v[204:205], v[210:211], v[96:97], -v[34:35]
	v_mul_f64 v[34:35], v[216:217], v[102:103]
	v_fma_f64 v[92:93], v[214:215], v[106:107], -v[34:35]
	;; [unrolled: 2-line block ×3, first 2 shown]
	v_fma_f64 v[90:91], v[218:219], v[84:85], -v[34:35]
	buffer_load_dword v191, off, s[0:3], 0 offset:876
	buffer_load_dword v197, off, s[0:3], 0 offset:860
	;; [unrolled: 1-line block ×12, first 2 shown]
	ds_read_b128 v[34:37], v236 offset:1648
	v_mul_f64 v[38:39], v[224:225], v[68:69]
	v_fma_f64 v[82:83], v[222:223], v[82:83], -v[38:39]
	ds_read_b128 v[38:41], v236 offset:1664
	v_mul_f64 v[46:47], v[228:229], v[46:47]
	v_fma_f64 v[84:85], v[226:227], v[50:51], -v[46:47]
	;; [unrolled: 3-line block ×3, first 2 shown]
	ds_read_b128 v[50:53], v236 offset:1712
	v_fma_f64 v[14:15], v[24:25], v[60:61], -v[58:59]
	ds_read_b128 v[58:61], v236 offset:1744
	v_mul_f64 v[62:63], v[122:123], v[62:63]
	v_fma_f64 v[126:127], v[120:121], v[64:65], -v[62:63]
	ds_read_b128 v[62:65], v236 offset:1760
	v_accvgpr_write_b32 a229, v3
	v_accvgpr_write_b32 a224, v230
	v_accvgpr_write_b32 a228, v2
	v_mul_f64 v[2:3], v[20:21], v[70:71]
	v_accvgpr_write_b32 a225, v231
	v_mul_f64 v[26:27], v[140:141], v[74:75]
	v_fma_f64 v[248:249], v[138:139], v[76:77], -v[26:27]
	s_waitcnt vmcnt(54) lgkmcnt(6)
	v_mul_f64 v[44:45], v[160:161], v[152:153]
	v_pk_mov_b32 v[230:231], v[12:13], v[12:13] op_sel:[0,1]
	s_waitcnt vmcnt(52)
	v_fmac_f64_e32 v[44:45], v[162:163], v[156:157]
	v_add_f64 v[42:43], v[42:43], v[44:45]
	s_waitcnt lgkmcnt(5)
	v_mul_f64 v[44:45], v[34:35], v[12:13]
	v_fmac_f64_e32 v[44:45], v[36:37], v[148:149]
	v_add_f64 v[42:43], v[42:43], v[44:45]
	s_waitcnt vmcnt(49) lgkmcnt(4)
	v_mul_f64 v[44:45], v[38:39], v[154:155]
	s_waitcnt vmcnt(47)
	v_fmac_f64_e32 v[44:45], v[40:41], v[158:159]
	v_add_f64 v[54:55], v[42:43], v[44:45]
	ds_read_b128 v[42:45], v236 offset:1680
	s_waitcnt vmcnt(41) lgkmcnt(4)
	v_mul_f64 v[56:57], v[46:47], v[164:165]
	s_waitcnt vmcnt(39)
	v_fmac_f64_e32 v[56:57], v[48:49], v[168:169]
	v_fma_f64 v[12:13], v[18:19], v[72:73], -v[2:3]
	ds_read_b128 v[70:73], v236 offset:1792
	s_waitcnt lgkmcnt(1)
	v_mul_f64 v[68:69], v[42:43], v[150:151]
	v_fmac_f64_e32 v[68:69], v[44:45], v[132:133]
	v_add_f64 v[54:55], v[54:55], v[68:69]
	v_add_f64 v[54:55], v[54:55], v[56:57]
	s_waitcnt vmcnt(38)
	v_mul_f64 v[56:57], v[50:51], v[124:125]
	s_waitcnt vmcnt(36)
	v_fmac_f64_e32 v[56:57], v[52:53], v[166:167]
	v_add_f64 v[66:67], v[54:55], v[56:57]
	ds_read_b128 v[54:57], v236 offset:1728
	ds_read_b128 v[74:77], v236 offset:1808
	v_accvgpr_write_b32 a227, v1
	v_mul_f64 v[6:7], v[6:7], v[78:79]
	v_accvgpr_write_b32 a226, v0
	s_waitcnt vmcnt(34) lgkmcnt(1)
	v_mul_f64 v[68:69], v[54:55], v[234:235]
	s_waitcnt vmcnt(32)
	v_fmac_f64_e32 v[68:69], v[56:57], v[172:173]
	v_add_f64 v[66:67], v[66:67], v[68:69]
	s_waitcnt vmcnt(30)
	v_mul_f64 v[68:69], v[58:59], v[174:175]
	s_waitcnt vmcnt(28)
	v_fmac_f64_e32 v[68:69], v[60:61], v[178:179]
	v_add_f64 v[66:67], v[66:67], v[68:69]
	s_waitcnt vmcnt(26)
	v_mul_f64 v[68:69], v[62:63], v[176:177]
	s_waitcnt vmcnt(24)
	v_fmac_f64_e32 v[68:69], v[64:65], v[180:181]
	v_add_f64 v[94:95], v[66:67], v[68:69]
	ds_read_b128 v[66:69], v236 offset:1776
	v_fma_f64 v[0:1], v[4:5], v[80:81], -v[6:7]
	ds_read_b128 v[78:81], v236 offset:1824
	v_accvgpr_write_b32 a223, v119
	v_accvgpr_write_b32 a222, v118
	buffer_load_dword v118, off, s[0:3], 0 offset:904
	ds_read_b128 v[138:141], v236 offset:1840
	s_waitcnt vmcnt(22) lgkmcnt(2)
	v_mul_f64 v[2:3], v[66:67], v[182:183]
	s_waitcnt vmcnt(21)
	v_fmac_f64_e32 v[2:3], v[68:69], v[112:113]
	s_waitcnt vmcnt(19)
	v_mul_f64 v[26:27], v[70:71], v[186:187]
	v_add_f64 v[2:3], v[94:95], v[2:3]
	s_waitcnt vmcnt(17)
	v_fmac_f64_e32 v[26:27], v[72:73], v[188:189]
	s_waitcnt vmcnt(15)
	v_mul_f64 v[4:5], v[74:75], v[192:193]
	v_add_f64 v[2:3], v[2:3], v[26:27]
	ds_read_b128 v[26:29], v236 offset:1856
	s_waitcnt vmcnt(13)
	v_fmac_f64_e32 v[4:5], v[76:77], v[194:195]
	v_add_f64 v[4:5], v[2:3], v[4:5]
	v_mul_f64 v[2:3], v[10:11], v[100:101]
	v_fma_f64 v[24:25], v[8:9], v[104:105], -v[2:3]
	buffer_load_dword v8, off, s[0:3], 0 offset:896
	buffer_load_dword v119, off, s[0:3], 0 offset:908
	buffer_load_dword v9, off, s[0:3], 0 offset:900
	ds_read_b128 v[120:123], v236 offset:1872
	buffer_load_dword v207, off, s[0:3], 0 offset:924
	buffer_load_dword v206, off, s[0:3], 0 offset:920
	buffer_load_dword v209, off, s[0:3], 0 offset:916
	buffer_load_dword v208, off, s[0:3], 0 offset:912
	ds_read_b128 v[94:97], v236 offset:1888
	buffer_load_dword v210, off, s[0:3], 0 offset:936
	;; [unrolled: 5-line block ×4, first 2 shown]
	buffer_load_dword v219, off, s[0:3], 0 offset:972
	buffer_load_dword v220, off, s[0:3], 0 offset:960
	;; [unrolled: 1-line block ×3, first 2 shown]
	s_waitcnt vmcnt(29) lgkmcnt(6)
	v_mul_f64 v[6:7], v[78:79], v[196:197]
	s_waitcnt vmcnt(27)
	v_fmac_f64_e32 v[6:7], v[80:81], v[244:245]
	v_add_f64 v[4:5], v[4:5], v[6:7]
	s_waitcnt vmcnt(26) lgkmcnt(5)
	v_mul_f64 v[6:7], v[138:139], v[190:191]
	s_waitcnt vmcnt(24)
	v_fmac_f64_e32 v[6:7], v[140:141], v[242:243]
	v_add_f64 v[4:5], v[4:5], v[6:7]
	;; [unrolled: 5-line block ×3, first 2 shown]
	ds_read_b128 v[106:109], v236 offset:1936
	buffer_load_dword v223, off, s[0:3], 0 offset:988
	buffer_load_dword v222, off, s[0:3], 0 offset:984
	;; [unrolled: 1-line block ×4, first 2 shown]
	s_waitcnt vmcnt(21) lgkmcnt(4)
	v_mul_f64 v[6:7], v[120:121], v[118:119]
	s_waitcnt vmcnt(20)
	v_fmac_f64_e32 v[6:7], v[122:123], v[8:9]
	v_add_f64 v[4:5], v[4:5], v[6:7]
	s_waitcnt vmcnt(18) lgkmcnt(3)
	v_mul_f64 v[6:7], v[94:95], v[206:207]
	s_waitcnt vmcnt(16)
	v_fmac_f64_e32 v[6:7], v[96:97], v[208:209]
	v_add_f64 v[4:5], v[4:5], v[6:7]
	;; [unrolled: 5-line block ×5, first 2 shown]
	ds_read_b128 v[4:7], v236 offset:1952
	buffer_load_dword v228, off, s[0:3], 0 offset:1000
	buffer_load_dword v229, off, s[0:3], 0 offset:1004
	buffer_load_dword v246, off, s[0:3], 0 offset:992
	buffer_load_dword v247, off, s[0:3], 0 offset:996
	ds_read_b128 v[18:21], v236 offset:1968
	s_waitcnt vmcnt(6) lgkmcnt(1)
	v_mul_f64 v[114:115], v[4:5], v[222:223]
	s_waitcnt vmcnt(4)
	v_fmac_f64_e32 v[114:115], v[6:7], v[224:225]
	v_add_f64 v[10:11], v[10:11], v[114:115]
	s_waitcnt vmcnt(2) lgkmcnt(0)
	v_mul_f64 v[2:3], v[18:19], v[228:229]
	s_waitcnt vmcnt(0)
	v_fmac_f64_e32 v[2:3], v[20:21], v[246:247]
	v_add_f64 v[10:11], v[10:11], v[2:3]
	v_accvgpr_read_b32 v2, a230
	v_accvgpr_read_b32 v3, a231
	v_add_f64 v[2:3], v[2:3], 0
	v_add_f64 v[2:3], v[2:3], v[142:143]
	v_add_f64 v[2:3], v[2:3], v[116:117]
	v_add_f64 v[2:3], v[2:3], v[232:233]
	v_add_f64 v[2:3], v[2:3], v[146:147]
	v_add_f64 v[2:3], v[2:3], v[144:145]
	v_add_f64 v[2:3], v[2:3], v[32:33]
	v_add_f64 v[2:3], v[2:3], v[30:31]
	v_add_f64 v[2:3], v[2:3], v[170:171]
	v_add_f64 v[2:3], v[2:3], v[238:239]
	v_add_f64 v[2:3], v[2:3], v[240:241]
	v_add_f64 v[2:3], v[2:3], v[86:87]
	v_add_f64 v[2:3], v[2:3], v[88:89]
	v_add_f64 v[2:3], v[2:3], v[16:17]
	v_add_f64 v[2:3], v[2:3], v[22:23]
	v_add_f64 v[2:3], v[2:3], v[110:111]
	v_add_f64 v[2:3], v[2:3], v[184:185]
	v_add_f64 v[2:3], v[2:3], v[202:203]
	v_add_f64 v[2:3], v[2:3], v[204:205]
	v_add_f64 v[2:3], v[2:3], v[92:93]
	v_add_f64 v[2:3], v[2:3], v[90:91]
	v_add_f64 v[2:3], v[2:3], v[82:83]
	v_add_f64 v[2:3], v[2:3], v[84:85]
	v_add_f64 v[2:3], v[2:3], v[226:227]
	v_add_f64 v[2:3], v[2:3], v[14:15]
	v_add_f64 v[2:3], v[2:3], v[126:127]
	buffer_load_dword v14, off, s[0:3], 0 offset:48
	buffer_load_dword v15, off, s[0:3], 0 offset:52
	v_add_f64 v[2:3], v[2:3], v[12:13]
	buffer_load_dword v12, off, s[0:3], 0 offset:56
	buffer_load_dword v13, off, s[0:3], 0 offset:60
	v_add_f64 v[2:3], v[2:3], v[248:249]
	v_add_f64 v[0:1], v[2:3], v[0:1]
	;; [unrolled: 1-line block ×3, first 2 shown]
	v_accvgpr_read_b32 v22, a188
	v_accvgpr_read_b32 v2, a192
	v_accvgpr_read_b32 v24, a190
	v_accvgpr_read_b32 v25, a191
	v_accvgpr_read_b32 v3, a193
	v_accvgpr_read_b32 v16, a194
	v_accvgpr_read_b32 v23, a189
	v_mul_f64 v[2:3], v[24:25], v[2:3]
	v_accvgpr_read_b32 v17, a195
	v_fma_f64 v[2:3], v[22:23], v[16:17], -v[2:3]
	v_add_f64 v[0:1], v[0:1], v[2:3]
	v_accvgpr_read_b32 v22, a196
	v_accvgpr_read_b32 v2, a200
	v_accvgpr_read_b32 v24, a198
	v_accvgpr_read_b32 v25, a199
	v_accvgpr_read_b32 v3, a201
	v_accvgpr_read_b32 v16, a202
	v_accvgpr_read_b32 v23, a197
	v_mul_f64 v[2:3], v[24:25], v[2:3]
	v_accvgpr_read_b32 v17, a203
	v_fma_f64 v[2:3], v[22:23], v[16:17], -v[2:3]
	v_add_f64 v[0:1], v[0:1], v[2:3]
	;; [unrolled: 11-line block ×4, first 2 shown]
	v_accvgpr_read_b32 v2, a220
	v_accvgpr_read_b32 v3, a221
	;; [unrolled: 1-line block ×3, first 2 shown]
	v_mul_f64 v[2:3], v[136:137], v[2:3]
	v_accvgpr_read_b32 v17, a223
	v_fma_f64 v[2:3], v[134:135], v[16:17], -v[2:3]
	v_add_f64 v[0:1], v[0:1], v[2:3]
	v_accvgpr_read_b32 v2, a224
	v_accvgpr_read_b32 v3, a225
	;; [unrolled: 1-line block ×3, first 2 shown]
	v_mul_f64 v[2:3], v[252:253], v[2:3]
	v_accvgpr_read_b32 v17, a229
	v_fma_f64 v[2:3], v[250:251], v[16:17], -v[2:3]
	v_accvgpr_read_b32 v16, a226
	v_add_f64 v[0:1], v[0:1], v[2:3]
	v_mul_f64 v[2:3], v[130:131], v[254:255]
	v_accvgpr_read_b32 v17, a227
	v_fma_f64 v[2:3], v[128:129], v[16:17], -v[2:3]
	v_add_f64 v[0:1], v[0:1], v[2:3]
	v_mul_f64 v[2:3], v[162:163], v[152:153]
	v_fma_f64 v[2:3], v[160:161], v[156:157], -v[2:3]
	v_add_f64 v[0:1], v[0:1], v[2:3]
	v_mul_f64 v[2:3], v[36:37], v[230:231]
	;; [unrolled: 3-line block ×22, first 2 shown]
	v_fma_f64 v[2:3], v[18:19], v[246:247], -v[2:3]
	v_add_f64 v[0:1], v[0:1], v[2:3]
	s_waitcnt vmcnt(2)
	v_add_f64 v[0:1], v[14:15], -v[0:1]
	s_waitcnt vmcnt(0)
	v_add_f64 v[2:3], v[12:13], -v[10:11]
	buffer_store_dword v1, off, s[0:3], 0 offset:52
	buffer_store_dword v0, off, s[0:3], 0 offset:48
	buffer_store_dword v3, off, s[0:3], 0 offset:60
	buffer_store_dword v2, off, s[0:3], 0 offset:56
	v_accvgpr_read_b32 v0, a185
	v_cmp_lt_u32_e32 vcc, 1, v0
	s_and_saveexec_b64 s[4:5], vcc
	s_cbranch_execz .LBB61_395
; %bb.394:
	v_accvgpr_read_b32 v3, a184
	buffer_load_dword v0, v3, s[0:3], 0 offen
	buffer_load_dword v1, v3, s[0:3], 0 offen offset:4
	buffer_load_dword v2, v3, s[0:3], 0 offen offset:8
	s_nop 0
	buffer_load_dword v3, v3, s[0:3], 0 offen offset:12
	v_accvgpr_read_b32 v4, a186
	buffer_store_dword v236, off, s[0:3], 0 offset:32
	buffer_store_dword v236, off, s[0:3], 0 offset:36
	;; [unrolled: 1-line block ×4, first 2 shown]
	s_waitcnt vmcnt(4)
	ds_write_b128 v4, v[0:3]
.LBB61_395:
	s_or_b64 exec, exec, s[4:5]
	s_waitcnt lgkmcnt(0)
	; wave barrier
	s_waitcnt lgkmcnt(0)
	buffer_load_dword v140, off, s[0:3], 0 offset:48
	buffer_load_dword v141, off, s[0:3], 0 offset:52
	;; [unrolled: 1-line block ×36, first 2 shown]
	ds_read_b128 v[34:37], v236 offset:1024
	ds_read_b128 v[30:33], v236 offset:1040
	;; [unrolled: 1-line block ×9, first 2 shown]
	buffer_load_dword v83, off, s[0:3], 0 offset:220
	buffer_load_dword v82, off, s[0:3], 0 offset:216
	;; [unrolled: 1-line block ×19, first 2 shown]
	s_waitcnt vmcnt(51) lgkmcnt(8)
	v_mul_f64 v[2:3], v[34:35], v[0:1]
	v_fmac_f64_e32 v[2:3], v[36:37], v[140:141]
	v_add_f64 v[2:3], v[2:3], 0
	v_mul_f64 v[0:1], v[36:37], v[0:1]
	s_waitcnt vmcnt(47) lgkmcnt(7)
	v_mul_f64 v[4:5], v[30:31], v[138:139]
	v_fmac_f64_e32 v[4:5], v[32:33], v[64:65]
	s_waitcnt vmcnt(45) lgkmcnt(6)
	v_mul_f64 v[6:7], v[26:27], v[66:67]
	v_add_f64 v[2:3], v[2:3], v[4:5]
	s_waitcnt vmcnt(43) lgkmcnt(4)
	v_mul_f64 v[38:39], v[18:19], v[234:235]
	v_fma_f64 v[0:1], v[34:35], v[140:141], -v[0:1]
	s_waitcnt vmcnt(41)
	v_fmac_f64_e32 v[38:39], v[20:21], v[230:231]
	v_accvgpr_write_b32 a239, v1
	s_waitcnt vmcnt(39)
	v_mul_f64 v[8:9], v[22:23], v[232:233]
	v_accvgpr_write_b32 a238, v0
	s_waitcnt vmcnt(37) lgkmcnt(2)
	v_mul_f64 v[42:43], v[60:61], v[238:239]
	s_waitcnt vmcnt(35)
	v_fmac_f64_e32 v[42:43], v[62:63], v[226:227]
	s_waitcnt vmcnt(33)
	v_mul_f64 v[40:41], v[14:15], v[48:49]
	s_waitcnt vmcnt(31) lgkmcnt(1)
	v_mul_f64 v[44:45], v[242:243], v[12:13]
	s_waitcnt vmcnt(29)
	v_fmac_f64_e32 v[6:7], v[28:29], v[70:71]
	v_add_f64 v[2:3], v[2:3], v[6:7]
	s_waitcnt vmcnt(27)
	v_fmac_f64_e32 v[8:9], v[24:25], v[68:69]
	v_add_f64 v[2:3], v[2:3], v[8:9]
	buffer_load_dword v112, off, s[0:3], 0 offset:272
	buffer_load_dword v9, off, s[0:3], 0 offset:268
	;; [unrolled: 1-line block ×61, first 2 shown]
	ds_read_b128 v[134:137], v236 offset:1168
	ds_read_b128 v[150:153], v236 offset:1184
	s_waitcnt vmcnt(62)
	v_fmac_f64_e32 v[40:41], v[16:17], v[50:51]
	v_add_f64 v[2:3], v[2:3], v[38:39]
	v_add_f64 v[2:3], v[2:3], v[40:41]
	v_fmac_f64_e32 v[44:45], v[244:245], v[54:55]
	v_add_f64 v[2:3], v[2:3], v[42:43]
	s_waitcnt lgkmcnt(2)
	v_mul_f64 v[4:5], v[126:127], v[252:253]
	v_add_f64 v[2:3], v[2:3], v[44:45]
	v_fmac_f64_e32 v[4:5], v[128:129], v[250:251]
	ds_read_b128 v[176:179], v236 offset:1200
	ds_read_b128 v[184:187], v236 offset:1216
	v_add_f64 v[2:3], v[2:3], v[4:5]
	s_waitcnt lgkmcnt(3)
	v_mul_f64 v[4:5], v[134:135], v[94:95]
	v_fmac_f64_e32 v[4:5], v[136:137], v[96:97]
	v_add_f64 v[2:3], v[2:3], v[4:5]
	s_waitcnt lgkmcnt(2)
	v_mul_f64 v[4:5], v[150:151], v[82:83]
	v_fmac_f64_e32 v[4:5], v[152:153], v[84:85]
	ds_read_b128 v[188:191], v236 offset:1232
	ds_read_b128 v[200:203], v236 offset:1248
	v_add_f64 v[2:3], v[2:3], v[4:5]
	s_waitcnt lgkmcnt(3)
	v_mul_f64 v[4:5], v[176:177], v[142:143]
	v_fmac_f64_e32 v[4:5], v[178:179], v[148:149]
	v_add_f64 v[2:3], v[2:3], v[4:5]
	s_waitcnt lgkmcnt(2)
	v_mul_f64 v[4:5], v[184:185], v[144:145]
	v_fmac_f64_e32 v[4:5], v[186:187], v[146:147]
	ds_read_b128 v[204:207], v236 offset:1264
	ds_read_b128 v[208:211], v236 offset:1280
	v_add_f64 v[2:3], v[2:3], v[4:5]
	s_waitcnt vmcnt(58) lgkmcnt(3)
	v_mul_f64 v[4:5], v[188:189], v[8:9]
	s_waitcnt vmcnt(56)
	v_fmac_f64_e32 v[4:5], v[190:191], v[240:241]
	v_add_f64 v[2:3], v[2:3], v[4:5]
	s_waitcnt lgkmcnt(2)
	v_mul_f64 v[4:5], v[200:201], v[110:111]
	v_fmac_f64_e32 v[4:5], v[202:203], v[112:113]
	ds_read_b128 v[212:215], v236 offset:1296
	ds_read_b128 v[216:219], v236 offset:1312
	v_add_f64 v[2:3], v[2:3], v[4:5]
	s_waitcnt vmcnt(50) lgkmcnt(3)
	v_mul_f64 v[4:5], v[204:205], v[154:155]
	s_waitcnt vmcnt(48)
	;; [unrolled: 11-line block ×3, first 2 shown]
	v_fmac_f64_e32 v[4:5], v[214:215], v[166:167]
	v_add_f64 v[2:3], v[2:3], v[4:5]
	s_waitcnt lgkmcnt(2)
	v_mul_f64 v[4:5], v[216:217], v[168:169]
	v_fmac_f64_e32 v[4:5], v[218:219], v[170:171]
	ds_read_b128 v[38:41], v236 offset:1360
	v_add_f64 v[2:3], v[2:3], v[4:5]
	s_waitcnt vmcnt(34) lgkmcnt(2)
	v_mul_f64 v[4:5], v[220:221], v[172:173]
	s_waitcnt vmcnt(32)
	v_fmac_f64_e32 v[4:5], v[222:223], v[174:175]
	buffer_load_dword v193, off, s[0:3], 0 offset:524
	buffer_load_dword v192, off, s[0:3], 0 offset:520
	;; [unrolled: 1-line block ×4, first 2 shown]
	ds_read_b128 v[42:45], v236 offset:1376
	v_add_f64 v[2:3], v[2:3], v[4:5]
	s_waitcnt lgkmcnt(2)
	v_mul_f64 v[4:5], v[118:119], v[114:115]
	v_fmac_f64_e32 v[4:5], v[120:121], v[116:117]
	v_add_f64 v[2:3], v[2:3], v[4:5]
	s_waitcnt vmcnt(30) lgkmcnt(1)
	v_mul_f64 v[4:5], v[38:39], v[180:181]
	s_waitcnt vmcnt(28)
	v_fmac_f64_e32 v[4:5], v[40:41], v[182:183]
	v_add_f64 v[2:3], v[2:3], v[4:5]
	s_waitcnt lgkmcnt(0)
	v_mul_f64 v[4:5], v[42:43], v[46:47]
	v_fmac_f64_e32 v[4:5], v[44:45], v[52:53]
	buffer_load_dword v197, off, s[0:3], 0 offset:540
	buffer_load_dword v196, off, s[0:3], 0 offset:536
	ds_read_b128 v[102:105], v236 offset:1392
	buffer_load_dword v199, off, s[0:3], 0 offset:532
	buffer_load_dword v198, off, s[0:3], 0 offset:528
	v_add_f64 v[2:3], v[2:3], v[4:5]
	ds_read_b128 v[72:75], v236 offset:1408
	buffer_load_dword v5, off, s[0:3], 0 offset:556
	buffer_load_dword v4, off, s[0:3], 0 offset:552
	v_mul_f64 v[8:9], v[190:191], v[8:9]
	s_waitcnt vmcnt(0)
	v_pk_mov_b32 v[224:225], v[4:5], v[4:5] op_sel:[0,1]
	buffer_load_dword v5, off, s[0:3], 0 offset:548
	buffer_load_dword v4, off, s[0:3], 0 offset:544
	;; [unrolled: 1-line block ×4, first 2 shown]
	v_accvgpr_write_b32 a192, v224
	v_accvgpr_write_b32 a193, v225
	s_waitcnt vmcnt(2)
	v_pk_mov_b32 v[246:247], v[4:5], v[4:5] op_sel:[0,1]
	s_waitcnt lgkmcnt(1)
	v_mul_f64 v[4:5], v[102:103], v[106:107]
	v_fmac_f64_e32 v[4:5], v[104:105], v[108:109]
	s_waitcnt vmcnt(0)
	v_pk_mov_b32 v[248:249], v[6:7], v[6:7] op_sel:[0,1]
	buffer_load_dword v133, off, s[0:3], 0 offset:564
	buffer_load_dword v132, off, s[0:3], 0 offset:560
	;; [unrolled: 1-line block ×6, first 2 shown]
	v_add_f64 v[2:3], v[2:3], v[4:5]
	buffer_load_dword v0, off, s[0:3], 0 offset:600
	buffer_load_dword v4, off, s[0:3], 0 offset:592
	buffer_load_dword v1, off, s[0:3], 0 offset:604
	ds_read_b128 v[56:59], v236 offset:1424
	buffer_load_dword v5, off, s[0:3], 0 offset:596
	v_accvgpr_write_b32 a194, v246
	v_accvgpr_write_b32 a195, v247
	;; [unrolled: 1-line block ×4, first 2 shown]
	s_waitcnt vmcnt(8)
	v_accvgpr_write_b32 a209, v133
	v_accvgpr_write_b32 a208, v132
	s_waitcnt vmcnt(6)
	v_accvgpr_write_b32 a207, v131
	v_accvgpr_write_b32 a206, v130
	;; [unrolled: 3-line block ×3, first 2 shown]
	s_waitcnt vmcnt(1)
	v_pk_mov_b32 v[34:35], v[0:1], v[0:1] op_sel:[0,1]
	s_waitcnt lgkmcnt(1)
	v_mul_f64 v[0:1], v[72:73], v[90:91]
	v_fmac_f64_e32 v[0:1], v[74:75], v[92:93]
	v_add_f64 v[0:1], v[2:3], v[0:1]
	v_mul_f64 v[2:3], v[32:33], v[138:139]
	ds_read_b128 v[138:141], v236 offset:1440
	v_fma_f64 v[2:3], v[30:31], v[64:65], -v[2:3]
	v_accvgpr_write_b32 a241, v3
	v_accvgpr_write_b32 a240, v2
	s_waitcnt lgkmcnt(1)
	v_mul_f64 v[2:3], v[56:57], v[98:99]
	v_fmac_f64_e32 v[2:3], v[58:59], v[100:101]
	v_add_f64 v[0:1], v[0:1], v[2:3]
	v_mul_f64 v[2:3], v[28:29], v[66:67]
	v_fma_f64 v[228:229], v[26:27], v[70:71], -v[2:3]
	buffer_load_dword v3, off, s[0:3], 0 offset:620
	buffer_load_dword v2, off, s[0:3], 0 offset:616
	s_waitcnt vmcnt(2)
	v_pk_mov_b32 v[36:37], v[4:5], v[4:5] op_sel:[0,1]
	v_mul_f64 v[4:5], v[24:25], v[232:233]
	v_fma_f64 v[232:233], v[22:23], v[68:69], -v[4:5]
	v_mul_f64 v[4:5], v[16:17], v[48:49]
	v_mul_f64 v[16:17], v[62:63], v[238:239]
	v_fma_f64 v[238:239], v[60:61], v[226:227], -v[16:17]
	v_accvgpr_write_b32 a219, v37
	v_accvgpr_write_b32 a218, v36
	;; [unrolled: 1-line block ×4, first 2 shown]
	s_waitcnt vmcnt(0)
	v_pk_mov_b32 v[26:27], v[2:3], v[2:3] op_sel:[0,1]
	buffer_load_dword v3, off, s[0:3], 0 offset:612
	buffer_load_dword v2, off, s[0:3], 0 offset:608
	ds_read_b128 v[64:67], v236 offset:1456
	buffer_load_dword v123, off, s[0:3], 0 offset:636
	buffer_load_dword v122, off, s[0:3], 0 offset:632
	;; [unrolled: 1-line block ×8, first 2 shown]
	ds_read_b128 v[68:71], v236 offset:1472
	v_accvgpr_write_b32 a221, v27
	v_accvgpr_write_b32 a220, v26
	s_waitcnt vmcnt(6)
	v_accvgpr_write_b32 a225, v123
	v_pk_mov_b32 v[30:31], v[2:3], v[2:3] op_sel:[0,1]
	s_waitcnt lgkmcnt(2)
	v_mul_f64 v[2:3], v[138:139], v[78:79]
	v_fmac_f64_e32 v[2:3], v[140:141], v[80:81]
	v_add_f64 v[0:1], v[0:1], v[2:3]
	v_mul_f64 v[2:3], v[20:21], v[234:235]
	v_fma_f64 v[234:235], v[18:19], v[230:231], -v[2:3]
	v_fma_f64 v[230:231], v[14:15], v[50:51], -v[4:5]
	ds_read_b128 v[48:51], v236 offset:1488
	s_waitcnt lgkmcnt(2)
	v_mul_f64 v[2:3], v[64:65], v[86:87]
	v_fmac_f64_e32 v[2:3], v[66:67], v[88:89]
	v_add_f64 v[0:1], v[0:1], v[2:3]
	s_waitcnt lgkmcnt(1)
	v_mul_f64 v[2:3], v[68:69], v[158:159]
	v_fmac_f64_e32 v[2:3], v[70:71], v[76:77]
	v_add_f64 v[0:1], v[0:1], v[2:3]
	;; [unrolled: 4-line block ×3, first 2 shown]
	ds_read_b128 v[0:3], v236 offset:1504
	buffer_load_dword v5, off, s[0:3], 0 offset:668
	buffer_load_dword v4, off, s[0:3], 0 offset:664
	ds_read_b128 v[18:21], v236 offset:1520
	ds_read_b128 v[22:25], v236 offset:1536
	s_waitcnt vmcnt(6)
	v_accvgpr_write_b32 a227, v125
	s_waitcnt lgkmcnt(2)
	v_mul_f64 v[16:17], v[0:1], v[196:197]
	v_fmac_f64_e32 v[16:17], v[2:3], v[198:199]
	v_add_f64 v[14:15], v[14:15], v[16:17]
	v_mul_f64 v[16:17], v[244:245], v[12:13]
	v_fma_f64 v[244:245], v[242:243], v[54:55], -v[16:17]
	s_waitcnt lgkmcnt(1)
	v_mul_f64 v[16:17], v[18:19], v[224:225]
	v_accvgpr_write_b32 a191, v21
	v_fmac_f64_e32 v[16:17], v[20:21], v[246:247]
	v_accvgpr_write_b32 a190, v20
	v_accvgpr_write_b32 a189, v19
	;; [unrolled: 1-line block ×3, first 2 shown]
	ds_read_b128 v[18:21], v236 offset:1552
	v_mul_f64 v[12:13], v[128:129], v[252:253]
	v_fma_f64 v[226:227], v[126:127], v[250:251], -v[12:13]
	ds_read_b128 v[250:253], v236 offset:1584
	v_add_f64 v[12:13], v[14:15], v[16:17]
	s_waitcnt lgkmcnt(2)
	v_mul_f64 v[14:15], v[22:23], v[248:249]
	v_fmac_f64_e32 v[14:15], v[24:25], v[132:133]
	v_add_f64 v[12:13], v[12:13], v[14:15]
	s_waitcnt lgkmcnt(1)
	v_mul_f64 v[14:15], v[18:19], v[130:131]
	v_fmac_f64_e32 v[14:15], v[20:21], v[6:7]
	v_add_f64 v[12:13], v[12:13], v[14:15]
	ds_read_b128 v[14:17], v236 offset:1568
	v_accvgpr_write_b32 a199, v25
	v_accvgpr_write_b32 a198, v24
	;; [unrolled: 1-line block ×4, first 2 shown]
	s_waitcnt lgkmcnt(0)
	v_mul_f64 v[22:23], v[14:15], v[34:35]
	v_fmac_f64_e32 v[22:23], v[16:17], v[36:37]
	v_accvgpr_write_b32 a215, v17
	v_add_f64 v[22:23], v[12:13], v[22:23]
	v_mul_f64 v[12:13], v[152:153], v[82:83]
	v_accvgpr_write_b32 a214, v16
	v_accvgpr_write_b32 a213, v15
	v_accvgpr_write_b32 a212, v14
	buffer_load_dword v225, off, s[0:3], 0 offset:660
	buffer_load_dword v224, off, s[0:3], 0 offset:656
	v_fma_f64 v[150:151], v[150:151], v[84:85], -v[12:13]
	buffer_load_dword v6, off, s[0:3], 0 offset:696
	buffer_load_dword v12, off, s[0:3], 0 offset:688
	;; [unrolled: 1-line block ×4, first 2 shown]
	v_accvgpr_write_b32 a203, v21
	v_accvgpr_write_b32 a202, v20
	;; [unrolled: 1-line block ×4, first 2 shown]
	v_mul_f64 v[18:19], v[136:137], v[94:95]
	buffer_load_dword v137, off, s[0:3], 0 offset:676
	buffer_load_dword v136, off, s[0:3], 0 offset:672
	buffer_load_dword v7, off, s[0:3], 0 offset:700
	ds_read_b128 v[130:133], v236 offset:1600
	ds_read_b128 v[126:129], v236 offset:1616
	buffer_load_dword v13, off, s[0:3], 0 offset:692
	v_mul_f64 v[24:25], v[178:179], v[142:143]
	v_fma_f64 v[148:149], v[176:177], v[148:149], -v[24:25]
	s_waitcnt lgkmcnt(1)
	v_mul_f64 v[32:33], v[130:131], v[122:123]
	v_mul_f64 v[24:25], v[250:251], v[26:27]
	;; [unrolled: 1-line block ×3, first 2 shown]
	v_accvgpr_write_b32 a224, v122
	v_fmac_f64_e32 v[32:33], v[132:133], v[124:125]
	v_accvgpr_write_b32 a226, v124
	ds_read_b128 v[122:125], v236 offset:1632
	buffer_load_dword v243, off, s[0:3], 0 offset:716
	buffer_load_dword v242, off, s[0:3], 0 offset:712
	;; [unrolled: 1-line block ×4, first 2 shown]
	v_fma_f64 v[82:83], v[184:185], v[146:147], -v[26:27]
	buffer_load_dword v147, off, s[0:3], 0 offset:732
	buffer_load_dword v146, off, s[0:3], 0 offset:728
	;; [unrolled: 1-line block ×4, first 2 shown]
	v_mul_f64 v[36:37], v[206:207], v[154:155]
	v_fma_f64 v[84:85], v[188:189], v[240:241], -v[8:9]
	v_fma_f64 v[94:95], v[204:205], v[156:157], -v[36:37]
	buffer_load_dword v241, off, s[0:3], 0 offset:764
	buffer_load_dword v240, off, s[0:3], 0 offset:760
	;; [unrolled: 1-line block ×8, first 2 shown]
	v_fmac_f64_e32 v[24:25], v[252:253], v[30:31]
	v_accvgpr_write_b32 a223, v31
	v_accvgpr_write_b32 a222, v30
	v_add_f64 v[30:31], v[22:23], v[24:25]
	s_waitcnt vmcnt(30) lgkmcnt(1)
	v_mul_f64 v[8:9], v[126:127], v[10:11]
	v_add_f64 v[34:35], v[30:31], v[32:33]
	s_waitcnt vmcnt(28)
	v_fmac_f64_e32 v[8:9], v[128:129], v[28:29]
	v_add_f64 v[34:35], v[34:35], v[8:9]
	v_mul_f64 v[8:9], v[202:203], v[110:111]
	v_mul_f64 v[36:37], v[210:211], v[160:161]
	;; [unrolled: 1-line block ×3, first 2 shown]
	v_fma_f64 v[134:135], v[134:135], v[96:97], -v[18:19]
	v_fma_f64 v[22:23], v[200:201], v[112:113], -v[8:9]
	;; [unrolled: 1-line block ×4, first 2 shown]
	buffer_load_dword v161, off, s[0:3], 0 offset:780
	buffer_load_dword v160, off, s[0:3], 0 offset:776
	;; [unrolled: 1-line block ×8, first 2 shown]
	v_mul_f64 v[54:55], v[218:219], v[168:169]
	v_fma_f64 v[216:217], v[216:217], v[170:171], -v[54:55]
	v_mul_f64 v[54:55], v[222:223], v[172:173]
	v_fma_f64 v[20:21], v[220:221], v[174:175], -v[54:55]
	buffer_load_dword v169, off, s[0:3], 0 offset:828
	buffer_load_dword v171, off, s[0:3], 0 offset:812
	buffer_load_dword v170, off, s[0:3], 0 offset:808
	buffer_load_dword v177, off, s[0:3], 0 offset:804
	buffer_load_dword v176, off, s[0:3], 0 offset:800
	buffer_load_dword v168, off, s[0:3], 0 offset:824
	buffer_load_dword v175, off, s[0:3], 0 offset:820
	buffer_load_dword v174, off, s[0:3], 0 offset:816
	buffer_load_dword v173, off, s[0:3], 0 offset:844
	buffer_load_dword v172, off, s[0:3], 0 offset:840
	buffer_load_dword v179, off, s[0:3], 0 offset:836
	buffer_load_dword v178, off, s[0:3], 0 offset:832
	v_mul_f64 v[16:17], v[40:41], v[180:181]
	v_fma_f64 v[16:17], v[38:39], v[182:183], -v[16:17]
	buffer_load_dword v183, off, s[0:3], 0 offset:860
	buffer_load_dword v182, off, s[0:3], 0 offset:856
	;; [unrolled: 1-line block ×12, first 2 shown]
	ds_read_b128 v[142:145], v236 offset:1648
	v_mul_f64 v[38:39], v[44:45], v[46:47]
	s_waitcnt vmcnt(58) lgkmcnt(1)
	v_mul_f64 v[36:37], v[122:123], v[4:5]
	v_mul_f64 v[54:55], v[120:121], v[114:115]
	ds_read_b128 v[30:33], v236 offset:1696
	v_fma_f64 v[18:19], v[118:119], v[116:117], -v[54:55]
	v_accvgpr_write_b32 a229, v11
	v_accvgpr_write_b32 a228, v10
	;; [unrolled: 1-line block ×6, first 2 shown]
	ds_read_b128 v[118:121], v236 offset:1792
	v_mul_f64 v[2:3], v[2:3], v[196:197]
	s_waitcnt vmcnt(56)
	v_fmac_f64_e32 v[36:37], v[124:125], v[224:225]
	v_add_f64 v[54:55], v[34:35], v[36:37]
	s_waitcnt vmcnt(52)
	v_pk_mov_b32 v[62:63], v[14:15], v[14:15] op_sel:[0,1]
	v_fma_f64 v[14:15], v[42:43], v[52:53], -v[38:39]
	ds_read_b128 v[38:41], v236 offset:1664
	v_mul_f64 v[42:43], v[104:105], v[106:107]
	s_waitcnt lgkmcnt(3)
	v_mul_f64 v[60:61], v[142:143], v[62:63]
	s_waitcnt vmcnt(50)
	v_fmac_f64_e32 v[60:61], v[144:145], v[136:137]
	ds_read_b128 v[34:37], v236 offset:1712
	v_add_f64 v[24:25], v[54:55], v[60:61]
	s_waitcnt vmcnt(49) lgkmcnt(1)
	v_mul_f64 v[46:47], v[38:39], v[6:7]
	s_waitcnt vmcnt(48)
	v_pk_mov_b32 v[254:255], v[12:13], v[12:13] op_sel:[0,1]
	v_fma_f64 v[12:13], v[102:103], v[108:109], -v[42:43]
	ds_read_b128 v[42:45], v236 offset:1680
	v_mul_f64 v[54:55], v[58:59], v[98:99]
	v_fmac_f64_e32 v[46:47], v[40:41], v[254:255]
	v_fma_f64 v[10:11], v[56:57], v[100:101], -v[54:55]
	ds_read_b128 v[54:57], v236 offset:1728
	v_add_f64 v[24:25], v[24:25], v[46:47]
	s_waitcnt vmcnt(46) lgkmcnt(1)
	v_mul_f64 v[46:47], v[42:43], v[242:243]
	v_accvgpr_write_b32 a235, v63
	s_waitcnt vmcnt(44)
	v_fmac_f64_e32 v[46:47], v[44:45], v[246:247]
	s_waitcnt vmcnt(42)
	v_mul_f64 v[60:61], v[30:31], v[146:147]
	v_add_f64 v[24:25], v[24:25], v[46:47]
	s_waitcnt vmcnt(40)
	v_fmac_f64_e32 v[60:61], v[32:33], v[152:153]
	s_waitcnt vmcnt(36)
	v_mul_f64 v[26:27], v[34:35], v[156:157]
	v_add_f64 v[24:25], v[24:25], v[60:61]
	s_waitcnt vmcnt(34)
	v_fmac_f64_e32 v[26:27], v[36:37], v[248:249]
	v_add_f64 v[24:25], v[24:25], v[26:27]
	s_waitcnt lgkmcnt(0)
	v_mul_f64 v[26:27], v[54:55], v[240:241]
	s_waitcnt vmcnt(32)
	v_fmac_f64_e32 v[26:27], v[56:57], v[154:155]
	ds_read_b128 v[58:61], v236 offset:1744
	v_add_f64 v[24:25], v[24:25], v[26:27]
	v_mul_f64 v[26:27], v[140:141], v[78:79]
	v_fma_f64 v[26:27], v[138:139], v[80:81], -v[26:27]
	ds_read_b128 v[138:141], v236 offset:1760
	v_accvgpr_write_b32 a234, v62
	s_waitcnt vmcnt(30) lgkmcnt(1)
	v_mul_f64 v[62:63], v[58:59], v[160:161]
	v_pk_mov_b32 v[28:29], v[6:7], v[6:7] op_sel:[0,1]
	s_waitcnt vmcnt(28)
	v_fmac_f64_e32 v[62:63], v[60:61], v[166:167]
	v_add_f64 v[24:25], v[24:25], v[62:63]
	v_mul_f64 v[62:63], v[66:67], v[86:87]
	s_waitcnt vmcnt(25) lgkmcnt(0)
	v_mul_f64 v[66:67], v[138:139], v[162:163]
	v_fma_f64 v[8:9], v[64:65], v[88:89], -v[62:63]
	ds_read_b128 v[62:65], v236 offset:1776
	s_waitcnt vmcnt(24)
	v_fmac_f64_e32 v[66:67], v[140:141], v[164:165]
	v_add_f64 v[24:25], v[24:25], v[66:67]
	v_mul_f64 v[66:67], v[70:71], v[158:159]
	v_mul_f64 v[6:7], v[50:51], v[192:193]
	;; [unrolled: 1-line block ×3, first 2 shown]
	v_fma_f64 v[70:71], v[68:69], v[76:77], -v[66:67]
	ds_read_b128 v[74:77], v236 offset:1808
	v_fma_f64 v[46:47], v[48:49], v[194:195], -v[6:7]
	ds_read_b128 v[4:7], v236 offset:1824
	ds_read_b128 v[78:81], v236 offset:1840
	;; [unrolled: 1-line block ×3, first 2 shown]
	buffer_load_dword v193, off, s[0:3], 0 offset:908
	buffer_load_dword v192, off, s[0:3], 0 offset:904
	;; [unrolled: 1-line block ×4, first 2 shown]
	s_waitcnt vmcnt(25) lgkmcnt(4)
	v_mul_f64 v[66:67], v[62:63], v[170:171]
	s_waitcnt vmcnt(23)
	v_fmac_f64_e32 v[66:67], v[64:65], v[176:177]
	v_add_f64 v[24:25], v[24:25], v[66:67]
	s_waitcnt vmcnt(22)
	v_mul_f64 v[66:67], v[118:119], v[168:169]
	s_waitcnt vmcnt(20)
	v_fmac_f64_e32 v[66:67], v[120:121], v[174:175]
	v_fma_f64 v[222:223], v[72:73], v[92:93], -v[52:53]
	v_add_f64 v[66:67], v[24:25], v[66:67]
	v_fma_f64 v[24:25], v[0:1], v[198:199], -v[2:3]
	ds_read_b128 v[90:93], v236 offset:1872
	buffer_load_dword v196, off, s[0:3], 0 offset:920
	buffer_load_dword v197, off, s[0:3], 0 offset:924
	;; [unrolled: 1-line block ×4, first 2 shown]
	s_waitcnt vmcnt(22) lgkmcnt(4)
	v_mul_f64 v[68:69], v[74:75], v[172:173]
	s_waitcnt vmcnt(20)
	v_fmac_f64_e32 v[68:69], v[76:77], v[178:179]
	s_waitcnt vmcnt(18) lgkmcnt(3)
	v_mul_f64 v[2:3], v[4:5], v[182:183]
	v_add_f64 v[66:67], v[66:67], v[68:69]
	s_waitcnt vmcnt(16)
	v_fmac_f64_e32 v[2:3], v[6:7], v[184:185]
	v_add_f64 v[2:3], v[66:67], v[2:3]
	s_waitcnt vmcnt(13) lgkmcnt(2)
	v_mul_f64 v[66:67], v[78:79], v[188:189]
	s_waitcnt vmcnt(11)
	v_fmac_f64_e32 v[66:67], v[80:81], v[190:191]
	v_add_f64 v[2:3], v[2:3], v[66:67]
	s_waitcnt vmcnt(9) lgkmcnt(1)
	v_mul_f64 v[66:67], v[86:87], v[180:181]
	s_waitcnt vmcnt(8)
	v_fmac_f64_e32 v[66:67], v[88:89], v[186:187]
	v_add_f64 v[2:3], v[2:3], v[66:67]
	v_accvgpr_write_b32 a236, v254
	v_accvgpr_write_b32 a237, v255
	v_accvgpr_read_b32 v48, a240
	v_accvgpr_read_b32 v49, a241
	v_mul_f64 v[6:7], v[6:7], v[182:183]
	v_fma_f64 v[4:5], v[4:5], v[184:185], -v[6:7]
	s_waitcnt vmcnt(6) lgkmcnt(0)
	v_mul_f64 v[66:67], v[90:91], v[192:193]
	s_waitcnt vmcnt(4)
	v_fmac_f64_e32 v[66:67], v[92:93], v[194:195]
	v_add_f64 v[2:3], v[2:3], v[66:67]
	ds_read_b128 v[66:69], v236 offset:1888
	s_waitcnt vmcnt(2) lgkmcnt(0)
	v_mul_f64 v[98:99], v[66:67], v[196:197]
	s_waitcnt vmcnt(0)
	v_fmac_f64_e32 v[98:99], v[68:69], v[198:199]
	v_add_f64 v[102:103], v[2:3], v[98:99]
	buffer_load_dword v3, off, s[0:3], 0 offset:940
	buffer_load_dword v2, off, s[0:3], 0 offset:936
	;; [unrolled: 1-line block ×4, first 2 shown]
	ds_read_b128 v[98:101], v236 offset:1904
	buffer_load_dword v204, off, s[0:3], 0 offset:952
	buffer_load_dword v205, off, s[0:3], 0 offset:956
	;; [unrolled: 1-line block ×4, first 2 shown]
	s_waitcnt vmcnt(6) lgkmcnt(0)
	v_mul_f64 v[104:105], v[98:99], v[2:3]
	v_mul_f64 v[2:3], v[100:101], v[2:3]
	s_waitcnt vmcnt(4)
	v_fmac_f64_e32 v[104:105], v[100:101], v[202:203]
	v_add_f64 v[106:107], v[102:103], v[104:105]
	ds_read_b128 v[102:105], v236 offset:1920
	buffer_load_dword v209, off, s[0:3], 0 offset:972
	buffer_load_dword v208, off, s[0:3], 0 offset:968
	buffer_load_dword v211, off, s[0:3], 0 offset:964
	buffer_load_dword v210, off, s[0:3], 0 offset:960
	v_fma_f64 v[2:3], v[98:99], v[202:203], -v[2:3]
	s_waitcnt vmcnt(6) lgkmcnt(0)
	v_mul_f64 v[108:109], v[102:103], v[204:205]
	s_waitcnt vmcnt(4)
	v_fmac_f64_e32 v[108:109], v[104:105], v[206:207]
	v_add_f64 v[110:111], v[106:107], v[108:109]
	ds_read_b128 v[106:109], v236 offset:1936
	buffer_load_dword v212, off, s[0:3], 0 offset:984
	buffer_load_dword v213, off, s[0:3], 0 offset:988
	;; [unrolled: 1-line block ×4, first 2 shown]
	s_waitcnt vmcnt(6) lgkmcnt(0)
	v_mul_f64 v[112:113], v[106:107], v[208:209]
	s_waitcnt vmcnt(4)
	v_fmac_f64_e32 v[112:113], v[108:109], v[210:211]
	v_add_f64 v[114:115], v[110:111], v[112:113]
	ds_read_b128 v[110:113], v236 offset:1952
	buffer_load_dword v219, off, s[0:3], 0 offset:1004
	buffer_load_dword v218, off, s[0:3], 0 offset:1000
	;; [unrolled: 1-line block ×4, first 2 shown]
	s_waitcnt vmcnt(6) lgkmcnt(0)
	v_mul_f64 v[116:117], v[110:111], v[212:213]
	s_waitcnt vmcnt(4)
	v_fmac_f64_e32 v[116:117], v[112:113], v[214:215]
	v_add_f64 v[0:1], v[114:115], v[116:117]
	ds_read_b128 v[114:117], v236 offset:1968
	s_waitcnt vmcnt(2) lgkmcnt(0)
	v_mul_f64 v[254:255], v[114:115], v[218:219]
	s_waitcnt vmcnt(0)
	v_fmac_f64_e32 v[254:255], v[116:117], v[220:221]
	v_add_f64 v[254:255], v[0:1], v[254:255]
	v_accvgpr_read_b32 v0, a238
	v_accvgpr_read_b32 v1, a239
	v_add_f64 v[0:1], v[0:1], 0
	v_add_f64 v[0:1], v[0:1], v[48:49]
	;; [unrolled: 1-line block ×28, first 2 shown]
	buffer_load_dword v228, off, s[0:3], 0 offset:32
	buffer_load_dword v229, off, s[0:3], 0 offset:36
	;; [unrolled: 1-line block ×4, first 2 shown]
	v_accvgpr_read_b32 v10, a188
	v_accvgpr_read_b32 v8, a192
	;; [unrolled: 1-line block ×5, first 2 shown]
	v_add_f64 v[230:231], v[0:1], v[70:71]
	v_mul_f64 v[8:9], v[12:13], v[8:9]
	v_accvgpr_read_b32 v12, a194
	v_add_f64 v[0:1], v[230:231], v[46:47]
	v_accvgpr_read_b32 v11, a189
	v_accvgpr_read_b32 v13, a195
	v_add_f64 v[0:1], v[0:1], v[24:25]
	v_fma_f64 v[8:9], v[10:11], v[12:13], -v[8:9]
	v_add_f64 v[0:1], v[0:1], v[8:9]
	v_accvgpr_read_b32 v10, a196
	v_accvgpr_read_b32 v8, a204
	v_accvgpr_read_b32 v12, a198
	v_accvgpr_read_b32 v13, a199
	v_accvgpr_read_b32 v9, a205
	v_mul_f64 v[8:9], v[12:13], v[8:9]
	v_accvgpr_read_b32 v12, a208
	v_accvgpr_read_b32 v11, a197
	v_accvgpr_read_b32 v13, a209
	v_fma_f64 v[8:9], v[10:11], v[12:13], -v[8:9]
	v_add_f64 v[0:1], v[0:1], v[8:9]
	v_accvgpr_read_b32 v10, a200
	v_accvgpr_read_b32 v8, a206
	v_accvgpr_read_b32 v12, a202
	v_accvgpr_read_b32 v13, a203
	v_accvgpr_read_b32 v9, a207
	v_mul_f64 v[8:9], v[12:13], v[8:9]
	v_accvgpr_read_b32 v12, a210
	v_accvgpr_read_b32 v11, a201
	v_accvgpr_read_b32 v13, a211
	v_fma_f64 v[8:9], v[10:11], v[12:13], -v[8:9]
	v_add_f64 v[0:1], v[0:1], v[8:9]
	v_accvgpr_read_b32 v10, a212
	v_accvgpr_read_b32 v8, a216
	v_accvgpr_read_b32 v12, a214
	v_accvgpr_read_b32 v13, a215
	v_accvgpr_read_b32 v9, a217
	v_mul_f64 v[8:9], v[12:13], v[8:9]
	v_accvgpr_read_b32 v12, a218
	v_accvgpr_read_b32 v11, a213
	v_accvgpr_read_b32 v13, a219
	v_fma_f64 v[8:9], v[10:11], v[12:13], -v[8:9]
	v_add_f64 v[0:1], v[0:1], v[8:9]
	v_accvgpr_read_b32 v8, a220
	v_accvgpr_read_b32 v9, a221
	v_accvgpr_read_b32 v10, a222
	v_mul_f64 v[8:9], v[252:253], v[8:9]
	v_accvgpr_read_b32 v11, a223
	v_fma_f64 v[8:9], v[250:251], v[10:11], -v[8:9]
	v_add_f64 v[0:1], v[0:1], v[8:9]
	v_accvgpr_read_b32 v8, a224
	v_accvgpr_read_b32 v9, a225
	v_accvgpr_read_b32 v10, a226
	v_mul_f64 v[8:9], v[132:133], v[8:9]
	v_accvgpr_read_b32 v11, a227
	;; [unrolled: 7-line block ×3, first 2 shown]
	v_fma_f64 v[8:9], v[126:127], v[10:11], -v[8:9]
	v_add_f64 v[0:1], v[0:1], v[8:9]
	v_accvgpr_read_b32 v8, a232
	v_accvgpr_read_b32 v9, a233
	v_mul_f64 v[8:9], v[124:125], v[8:9]
	v_fma_f64 v[8:9], v[122:123], v[224:225], -v[8:9]
	v_add_f64 v[0:1], v[0:1], v[8:9]
	v_accvgpr_read_b32 v8, a234
	v_accvgpr_read_b32 v9, a235
	v_mul_f64 v[8:9], v[144:145], v[8:9]
	v_fma_f64 v[8:9], v[142:143], v[136:137], -v[8:9]
	v_accvgpr_read_b32 v10, a236
	v_add_f64 v[0:1], v[0:1], v[8:9]
	v_mul_f64 v[8:9], v[40:41], v[28:29]
	v_accvgpr_read_b32 v11, a237
	v_fma_f64 v[8:9], v[38:39], v[10:11], -v[8:9]
	v_add_f64 v[0:1], v[0:1], v[8:9]
	v_mul_f64 v[8:9], v[44:45], v[242:243]
	v_fma_f64 v[8:9], v[42:43], v[246:247], -v[8:9]
	v_add_f64 v[0:1], v[0:1], v[8:9]
	v_mul_f64 v[8:9], v[32:33], v[146:147]
	;; [unrolled: 3-line block ×9, first 2 shown]
	v_fma_f64 v[8:9], v[74:75], v[178:179], -v[8:9]
	v_add_f64 v[0:1], v[0:1], v[8:9]
	v_add_f64 v[0:1], v[0:1], v[4:5]
	v_mul_f64 v[4:5], v[80:81], v[188:189]
	v_fma_f64 v[4:5], v[78:79], v[190:191], -v[4:5]
	v_add_f64 v[0:1], v[0:1], v[4:5]
	v_mul_f64 v[4:5], v[88:89], v[180:181]
	v_fma_f64 v[4:5], v[86:87], v[186:187], -v[4:5]
	;; [unrolled: 3-line block ×4, first 2 shown]
	v_add_f64 v[0:1], v[0:1], v[4:5]
	v_add_f64 v[0:1], v[0:1], v[2:3]
	v_mul_f64 v[2:3], v[104:105], v[204:205]
	v_fma_f64 v[2:3], v[102:103], v[206:207], -v[2:3]
	v_add_f64 v[0:1], v[0:1], v[2:3]
	v_mul_f64 v[2:3], v[108:109], v[208:209]
	v_fma_f64 v[2:3], v[106:107], v[210:211], -v[2:3]
	;; [unrolled: 3-line block ×4, first 2 shown]
	v_add_f64 v[0:1], v[0:1], v[2:3]
	s_waitcnt vmcnt(2)
	v_add_f64 v[0:1], v[228:229], -v[0:1]
	s_waitcnt vmcnt(0)
	v_add_f64 v[2:3], v[226:227], -v[254:255]
	buffer_store_dword v1, off, s[0:3], 0 offset:36
	buffer_store_dword v0, off, s[0:3], 0 offset:32
	;; [unrolled: 1-line block ×4, first 2 shown]
	v_accvgpr_read_b32 v0, a185
	v_cmp_ne_u32_e32 vcc, 0, v0
	s_and_saveexec_b64 s[4:5], vcc
	s_cbranch_execz .LBB61_397
; %bb.396:
	buffer_load_dword v0, off, s[0:3], 0 offset:16
	buffer_load_dword v1, off, s[0:3], 0 offset:20
	;; [unrolled: 1-line block ×4, first 2 shown]
	v_mov_b32_e32 v4, 0
	v_accvgpr_read_b32 v5, a186
	buffer_store_dword v4, off, s[0:3], 0 offset:16
	buffer_store_dword v4, off, s[0:3], 0 offset:20
	;; [unrolled: 1-line block ×4, first 2 shown]
	s_waitcnt vmcnt(4)
	ds_write_b128 v5, v[0:3]
.LBB61_397:
	s_or_b64 exec, exec, s[4:5]
	s_waitcnt lgkmcnt(0)
	; wave barrier
	s_waitcnt lgkmcnt(0)
	buffer_load_dword v2, off, s[0:3], 0 offset:32
	buffer_load_dword v3, off, s[0:3], 0 offset:36
	;; [unrolled: 1-line block ×36, first 2 shown]
	v_mov_b32_e32 v214, 0
	buffer_load_dword v37, off, s[0:3], 0 offset:204
	buffer_load_dword v36, off, s[0:3], 0 offset:200
	;; [unrolled: 1-line block ×18, first 2 shown]
	ds_read_b128 v[118:121], v214 offset:1008
	ds_read_b128 v[122:125], v214 offset:1024
	;; [unrolled: 1-line block ×9, first 2 shown]
	buffer_load_dword v139, off, s[0:3], 0 offset:260
	buffer_load_dword v138, off, s[0:3], 0 offset:256
	;; [unrolled: 1-line block ×62, first 2 shown]
	ds_read_b128 v[166:169], v214 offset:1152
	ds_read_b128 v[170:173], v214 offset:1168
	;; [unrolled: 1-line block ×14, first 2 shown]
	s_and_b64 vcc, exec, s[22:23]
	s_waitcnt vmcnt(62) lgkmcnt(14)
	v_mul_f64 v[6:7], v[118:119], v[0:1]
	v_fmac_f64_e32 v[6:7], v[120:121], v[2:3]
	v_add_f64 v[6:7], v[6:7], 0
	v_mul_f64 v[0:1], v[120:121], v[0:1]
	v_mul_f64 v[10:11], v[122:123], v[42:43]
	v_fmac_f64_e32 v[10:11], v[124:125], v[40:41]
	v_mul_f64 v[12:13], v[126:127], v[4:5]
	v_add_f64 v[6:7], v[6:7], v[10:11]
	v_mul_f64 v[16:17], v[44:45], v[232:233]
	v_fma_f64 v[0:1], v[118:119], v[2:3], -v[0:1]
	v_fmac_f64_e32 v[16:17], v[46:47], v[234:235]
	v_accvgpr_write_b32 a239, v1
	v_mul_f64 v[14:15], v[130:131], v[230:231]
	v_accvgpr_write_b32 a238, v0
	v_mul_f64 v[20:21], v[154:155], v[236:237]
	v_fmac_f64_e32 v[20:21], v[156:157], v[242:243]
	v_mul_f64 v[18:19], v[150:151], v[8:9]
	v_mul_f64 v[8:9], v[152:153], v[8:9]
	;; [unrolled: 1-line block ×3, first 2 shown]
	v_fmac_f64_e32 v[12:13], v[128:129], v[228:229]
	v_add_f64 v[6:7], v[6:7], v[12:13]
	v_fmac_f64_e32 v[14:15], v[132:133], v[30:31]
	v_add_f64 v[6:7], v[6:7], v[14:15]
	;; [unrolled: 2-line block ×3, first 2 shown]
	v_add_f64 v[6:7], v[6:7], v[18:19]
	v_fmac_f64_e32 v[22:23], v[160:161], v[244:245]
	v_add_f64 v[6:7], v[6:7], v[20:21]
	v_add_f64 v[6:7], v[6:7], v[22:23]
	ds_read_b128 v[20:23], v214 offset:1360
	buffer_load_dword v101, off, s[0:3], 0 offset:524
	buffer_load_dword v115, off, s[0:3], 0 offset:508
	;; [unrolled: 1-line block ×8, first 2 shown]
	ds_read_b128 v[32:35], v214 offset:1392
	buffer_load_dword v109, off, s[0:3], 0 offset:540
	buffer_load_dword v108, off, s[0:3], 0 offset:536
	;; [unrolled: 1-line block ×6, first 2 shown]
	v_mul_f64 v[10:11], v[162:163], v[224:225]
	v_fmac_f64_e32 v[10:11], v[164:165], v[240:241]
	v_add_f64 v[6:7], v[6:7], v[10:11]
	s_waitcnt lgkmcnt(14)
	v_mul_f64 v[10:11], v[166:167], v[246:247]
	v_fmac_f64_e32 v[10:11], v[168:169], v[116:117]
	v_add_f64 v[6:7], v[6:7], v[10:11]
	v_mul_f64 v[10:11], v[170:171], v[36:37]
	v_fmac_f64_e32 v[10:11], v[172:173], v[38:39]
	v_add_f64 v[6:7], v[6:7], v[10:11]
	s_waitcnt lgkmcnt(13)
	v_mul_f64 v[10:11], v[174:175], v[92:93]
	v_fmac_f64_e32 v[10:11], v[176:177], v[94:95]
	v_add_f64 v[6:7], v[6:7], v[10:11]
	s_waitcnt lgkmcnt(12)
	v_mul_f64 v[10:11], v[178:179], v[72:73]
	v_fmac_f64_e32 v[10:11], v[180:181], v[78:79]
	v_add_f64 v[6:7], v[6:7], v[10:11]
	s_waitcnt vmcnt(62) lgkmcnt(11)
	v_mul_f64 v[10:11], v[182:183], v[140:141]
	v_fmac_f64_e32 v[10:11], v[184:185], v[144:145]
	v_add_f64 v[6:7], v[6:7], v[10:11]
	s_waitcnt lgkmcnt(10)
	v_mul_f64 v[10:11], v[186:187], v[56:57]
	v_fmac_f64_e32 v[10:11], v[188:189], v[138:139]
	v_add_f64 v[6:7], v[6:7], v[10:11]
	s_waitcnt lgkmcnt(9)
	;; [unrolled: 4-line block ×3, first 2 shown]
	v_mul_f64 v[10:11], v[196:197], v[96:97]
	v_fmac_f64_e32 v[10:11], v[198:199], v[98:99]
	v_add_f64 v[6:7], v[6:7], v[10:11]
	s_waitcnt vmcnt(56) lgkmcnt(7)
	v_mul_f64 v[10:11], v[200:201], v[104:105]
	s_waitcnt vmcnt(54)
	v_fmac_f64_e32 v[10:11], v[202:203], v[106:107]
	v_add_f64 v[6:7], v[6:7], v[10:11]
	s_waitcnt lgkmcnt(6)
	v_mul_f64 v[10:11], v[204:205], v[82:83]
	v_fmac_f64_e32 v[10:11], v[206:207], v[86:87]
	v_add_f64 v[6:7], v[6:7], v[10:11]
	s_waitcnt vmcnt(48) lgkmcnt(5)
	v_mul_f64 v[10:11], v[208:209], v[102:103]
	s_waitcnt vmcnt(46)
	v_fmac_f64_e32 v[10:11], v[210:211], v[90:91]
	v_add_f64 v[6:7], v[6:7], v[10:11]
	s_waitcnt lgkmcnt(4)
	v_mul_f64 v[10:11], v[216:217], v[76:77]
	v_fmac_f64_e32 v[10:11], v[218:219], v[80:81]
	v_add_f64 v[6:7], v[6:7], v[10:11]
	s_waitcnt vmcnt(40) lgkmcnt(3)
	v_mul_f64 v[10:11], v[220:221], v[84:85]
	s_waitcnt vmcnt(38)
	v_fmac_f64_e32 v[10:11], v[222:223], v[88:89]
	v_add_f64 v[6:7], v[6:7], v[10:11]
	s_waitcnt lgkmcnt(1)
	v_mul_f64 v[10:11], v[20:21], v[74:75]
	v_fmac_f64_e32 v[10:11], v[22:23], v[70:71]
	v_add_f64 v[6:7], v[6:7], v[10:11]
	s_waitcnt vmcnt(32)
	v_mul_f64 v[10:11], v[24:25], v[58:59]
	s_waitcnt vmcnt(30)
	v_fmac_f64_e32 v[10:11], v[26:27], v[68:69]
	v_add_f64 v[6:7], v[6:7], v[10:11]
	v_mul_f64 v[120:121], v[164:165], v[224:225]
	v_fma_f64 v[240:241], v[162:163], v[240:241], -v[120:121]
	v_mul_f64 v[120:121], v[168:169], v[246:247]
	v_fma_f64 v[116:117], v[166:167], v[116:117], -v[120:121]
	v_mul_f64 v[56:57], v[188:189], v[56:57]
	v_fma_f64 v[56:57], v[186:187], v[138:139], -v[56:57]
	v_mul_f64 v[82:83], v[206:207], v[82:83]
	v_mul_f64 v[84:85], v[222:223], v[84:85]
	v_fma_f64 v[84:85], v[220:221], v[88:89], -v[84:85]
	v_mul_f64 v[76:77], v[218:219], v[76:77]
	v_fma_f64 v[80:81], v[216:217], v[80:81], -v[76:77]
	v_mul_f64 v[22:23], v[22:23], v[74:75]
	v_mul_f64 v[26:27], v[26:27], v[58:59]
	v_fma_f64 v[58:59], v[24:25], v[68:69], -v[26:27]
	v_fma_f64 v[20:21], v[20:21], v[70:71], -v[22:23]
	v_accvgpr_read_b32 v26, a238
	v_accvgpr_read_b32 v27, a239
	s_waitcnt vmcnt(0)
	v_pk_mov_b32 v[248:249], v[12:13], v[12:13] op_sel:[0,1]
	buffer_load_dword v13, off, s[0:3], 0 offset:548
	buffer_load_dword v12, off, s[0:3], 0 offset:544
	v_accvgpr_write_b32 a190, v248
	v_accvgpr_write_b32 a191, v249
	s_waitcnt vmcnt(0)
	v_pk_mov_b32 v[252:253], v[12:13], v[12:13] op_sel:[0,1]
	buffer_load_dword v13, off, s[0:3], 0 offset:572
	buffer_load_dword v12, off, s[0:3], 0 offset:568
	;; [unrolled: 1-line block ×8, first 2 shown]
	ds_read_b128 v[16:19], v214 offset:1408
	v_accvgpr_write_b32 a194, v252
	v_accvgpr_write_b32 a195, v253
	s_waitcnt vmcnt(6)
	v_pk_mov_b32 v[250:251], v[12:13], v[12:13] op_sel:[0,1]
	s_waitcnt vmcnt(4)
	v_pk_mov_b32 v[254:255], v[10:11], v[10:11] op_sel:[0,1]
	;; [unrolled: 2-line block ×3, first 2 shown]
	s_waitcnt lgkmcnt(1)
	v_mul_f64 v[0:1], v[32:33], v[52:53]
	v_fmac_f64_e32 v[0:1], v[34:35], v[54:55]
	v_add_f64 v[6:7], v[6:7], v[0:1]
	v_mul_f64 v[0:1], v[124:125], v[42:43]
	v_fma_f64 v[0:1], v[122:123], v[40:41], -v[0:1]
	v_accvgpr_write_b32 a241, v1
	buffer_load_dword v11, off, s[0:3], 0 offset:604
	buffer_load_dword v10, off, s[0:3], 0 offset:600
	;; [unrolled: 1-line block ×4, first 2 shown]
	v_accvgpr_write_b32 a240, v0
	v_mul_f64 v[0:1], v[128:129], v[4:5]
	buffer_load_dword v5, off, s[0:3], 0 offset:620
	buffer_load_dword v4, off, s[0:3], 0 offset:616
	v_fma_f64 v[228:229], v[126:127], v[228:229], -v[0:1]
	v_mul_f64 v[12:13], v[132:133], v[230:231]
	v_fma_f64 v[230:231], v[130:131], v[30:31], -v[12:13]
	v_mul_f64 v[12:13], v[156:157], v[236:237]
	v_fma_f64 v[236:237], v[154:155], v[242:243], -v[12:13]
	v_accvgpr_write_b32 a200, v254
	v_accvgpr_write_b32 a201, v255
	s_waitcnt vmcnt(6)
	v_accvgpr_write_b32 a208, v212
	v_accvgpr_write_b32 a209, v213
	;; [unrolled: 1-line block ×6, first 2 shown]
	v_mul_f64 v[34:35], v[34:35], v[52:53]
	s_waitcnt vmcnt(4)
	v_pk_mov_b32 v[124:125], v[10:11], v[10:11] op_sel:[0,1]
	v_mul_f64 v[10:11], v[46:47], v[232:233]
	v_fma_f64 v[232:233], v[44:45], v[234:235], -v[10:11]
	v_fma_f64 v[234:235], v[150:151], v[28:29], -v[8:9]
	s_waitcnt vmcnt(0)
	v_pk_mov_b32 v[122:123], v[4:5], v[4:5] op_sel:[0,1]
	buffer_load_dword v5, off, s[0:3], 0 offset:612
	buffer_load_dword v4, off, s[0:3], 0 offset:608
	v_accvgpr_write_b32 a215, v125
	v_accvgpr_write_b32 a214, v124
	;; [unrolled: 1-line block ×6, first 2 shown]
	s_waitcnt vmcnt(0)
	v_pk_mov_b32 v[126:127], v[4:5], v[4:5] op_sel:[0,1]
	buffer_load_dword v5, off, s[0:3], 0 offset:652
	buffer_load_dword v135, off, s[0:3], 0 offset:636
	buffer_load_dword v134, off, s[0:3], 0 offset:632
	buffer_load_dword v1, off, s[0:3], 0 offset:628
	buffer_load_dword v0, off, s[0:3], 0 offset:624
	buffer_load_dword v4, off, s[0:3], 0 offset:648
	v_accvgpr_write_b32 a221, v127
	v_accvgpr_write_b32 a220, v126
	s_waitcnt vmcnt(3)
	v_accvgpr_write_b32 a229, v135
	v_accvgpr_write_b32 a228, v134
	s_waitcnt vmcnt(1)
	v_accvgpr_write_b32 a233, v1
	s_waitcnt vmcnt(0)
	v_pk_mov_b32 v[132:133], v[4:5], v[4:5] op_sel:[0,1]
	buffer_load_dword v5, off, s[0:3], 0 offset:644
	buffer_load_dword v4, off, s[0:3], 0 offset:640
	ds_read_b128 v[40:43], v214 offset:1424
	ds_read_b128 v[44:47], v214 offset:1440
	;; [unrolled: 1-line block ×6, first 2 shown]
	v_accvgpr_write_b32 a227, v133
	v_accvgpr_write_b32 a226, v132
	;; [unrolled: 1-line block ×3, first 2 shown]
	s_waitcnt lgkmcnt(1)
	v_accvgpr_write_b32 a189, v131
	v_accvgpr_write_b32 a188, v130
	v_accvgpr_write_b32 a187, v129
	v_accvgpr_write_b32 a186, v128
	s_waitcnt lgkmcnt(0)
	v_accvgpr_write_b32 a199, v157
	v_accvgpr_write_b32 a198, v156
	;; [unrolled: 1-line block ×4, first 2 shown]
	ds_read_b128 v[8:11], v214 offset:1472
	s_waitcnt vmcnt(0)
	v_pk_mov_b32 v[136:137], v[4:5], v[4:5] op_sel:[0,1]
	v_mul_f64 v[4:5], v[16:17], v[48:49]
	v_fmac_f64_e32 v[4:5], v[18:19], v[50:51]
	v_add_f64 v[4:5], v[6:7], v[4:5]
	v_mul_f64 v[6:7], v[40:41], v[64:65]
	v_fmac_f64_e32 v[6:7], v[42:43], v[66:67]
	v_add_f64 v[4:5], v[4:5], v[6:7]
	;; [unrolled: 3-line block ×3, first 2 shown]
	ds_read_b128 v[4:7], v214 offset:1456
	v_accvgpr_write_b32 a231, v137
	v_accvgpr_write_b32 a230, v136
	v_mul_f64 v[18:19], v[18:19], v[48:49]
	s_waitcnt lgkmcnt(0)
	v_mul_f64 v[28:29], v[4:5], v[146:147]
	v_fmac_f64_e32 v[28:29], v[6:7], v[226:227]
	v_add_f64 v[28:29], v[30:31], v[28:29]
	v_mul_f64 v[30:31], v[8:9], v[114:115]
	v_fmac_f64_e32 v[30:31], v[10:11], v[190:191]
	v_add_f64 v[28:29], v[28:29], v[30:31]
	;; [unrolled: 3-line block ×3, first 2 shown]
	v_mul_f64 v[30:31], v[160:161], v[238:239]
	v_fma_f64 v[238:239], v[158:159], v[244:245], -v[30:31]
	v_mul_f64 v[30:31], v[150:151], v[108:109]
	v_fmac_f64_e32 v[30:31], v[152:153], v[112:113]
	v_add_f64 v[28:29], v[28:29], v[30:31]
	v_mul_f64 v[30:31], v[128:129], v[248:249]
	v_fmac_f64_e32 v[30:31], v[130:131], v[252:253]
	v_add_f64 v[28:29], v[28:29], v[30:31]
	v_mul_f64 v[30:31], v[154:155], v[250:251]
	ds_read_b128 v[128:131], v214 offset:1552
	v_fmac_f64_e32 v[30:31], v[156:157], v[254:255]
	buffer_load_dword v255, off, s[0:3], 0 offset:668
	buffer_load_dword v254, off, s[0:3], 0 offset:664
	v_add_f64 v[28:29], v[28:29], v[30:31]
	v_mul_f64 v[6:7], v[6:7], v[146:147]
	s_waitcnt lgkmcnt(0)
	v_mul_f64 v[30:31], v[128:129], v[118:119]
	v_fmac_f64_e32 v[30:31], v[130:131], v[212:213]
	v_accvgpr_write_b32 a205, v131
	v_accvgpr_write_b32 a204, v130
	;; [unrolled: 1-line block ×4, first 2 shown]
	v_add_f64 v[28:29], v[28:29], v[30:31]
	ds_read_b128 v[128:131], v214 offset:1568
	v_mul_f64 v[30:31], v[172:173], v[36:37]
	v_fma_f64 v[30:31], v[170:171], v[38:39], -v[30:31]
	v_mul_f64 v[38:39], v[176:177], v[92:93]
	v_fma_f64 v[250:251], v[174:175], v[94:95], -v[38:39]
	s_waitcnt lgkmcnt(0)
	v_accvgpr_write_b32 a213, v131
	v_accvgpr_write_b32 a212, v130
	;; [unrolled: 1-line block ×4, first 2 shown]
	v_fma_f64 v[170:171], v[204:205], v[86:87], -v[82:83]
	v_mul_f64 v[82:83], v[210:211], v[102:103]
	v_fma_f64 v[82:83], v[208:209], v[90:91], -v[82:83]
	s_waitcnt vmcnt(0)
	v_pk_mov_b32 v[120:121], v[254:255], v[254:255] op_sel:[0,1]
	buffer_load_dword v254, off, s[0:3], 0 offset:680
	buffer_load_dword v37, off, s[0:3], 0 offset:660
	;; [unrolled: 1-line block ×3, first 2 shown]
	ds_read_b128 v[92:95], v214 offset:1616
	v_accvgpr_write_b32 a235, v121
	v_accvgpr_write_b32 a234, v120
	ds_read_b128 v[246:249], v214 offset:1600
	s_waitcnt lgkmcnt(1)
	v_accvgpr_write_b32 a225, v95
	v_accvgpr_write_b32 a224, v94
	;; [unrolled: 1-line block ×4, first 2 shown]
	s_waitcnt vmcnt(0)
	v_pk_mov_b32 v[212:213], v[36:37], v[36:37] op_sel:[0,1]
	v_mul_f64 v[36:37], v[128:129], v[124:125]
	v_fmac_f64_e32 v[36:37], v[130:131], v[2:3]
	ds_read_b128 v[128:131], v214 offset:1584
	v_add_f64 v[28:29], v[28:29], v[36:37]
	v_mul_f64 v[36:37], v[180:181], v[72:73]
	v_mul_f64 v[72:73], v[184:185], v[140:141]
	v_fma_f64 v[36:37], v[178:179], v[78:79], -v[36:37]
	s_waitcnt lgkmcnt(0)
	v_mul_f64 v[38:39], v[128:129], v[122:123]
	v_fmac_f64_e32 v[38:39], v[130:131], v[126:127]
	buffer_load_dword v126, off, s[0:3], 0 offset:672
	buffer_load_dword v255, off, s[0:3], 0 offset:684
	buffer_load_dword v127, off, s[0:3], 0 offset:676
	v_add_f64 v[28:29], v[28:29], v[38:39]
	v_mul_f64 v[38:39], v[246:247], v[134:135]
	v_fmac_f64_e32 v[38:39], v[248:249], v[0:1]
	v_add_f64 v[28:29], v[28:29], v[38:39]
	v_mul_f64 v[38:39], v[92:93], v[132:133]
	v_fmac_f64_e32 v[38:39], v[94:95], v[136:137]
	v_add_f64 v[38:39], v[28:29], v[38:39]
	v_fma_f64 v[28:29], v[182:183], v[144:145], -v[72:73]
	buffer_load_dword v125, off, s[0:3], 0 offset:716
	buffer_load_dword v243, off, s[0:3], 0 offset:700
	;; [unrolled: 1-line block ×8, first 2 shown]
	v_mul_f64 v[72:73], v[194:195], v[142:143]
	ds_read_b128 v[138:141], v214 offset:1632
	v_fma_f64 v[72:73], v[192:193], v[148:149], -v[72:73]
	buffer_load_dword v143, off, s[0:3], 0 offset:748
	buffer_load_dword v149, off, s[0:3], 0 offset:732
	;; [unrolled: 1-line block ×24, first 2 shown]
	s_waitcnt lgkmcnt(0)
	v_mul_f64 v[86:87], v[138:139], v[120:121]
	buffer_load_dword v121, off, s[0:3], 0 offset:828
	buffer_load_dword v120, off, s[0:3], 0 offset:824
	;; [unrolled: 1-line block ×20, first 2 shown]
	ds_read_b128 v[220:223], v214 offset:1648
	ds_read_b128 v[74:77], v214 offset:1664
	v_fmac_f64_e32 v[86:87], v[140:141], v[212:213]
	ds_read_b128 v[180:183], v214 offset:1680
	ds_read_b128 v[22:25], v214 offset:1696
	v_add_f64 v[38:39], v[38:39], v[86:87]
	v_fma_f64 v[86:87], v[32:33], v[54:55], -v[34:35]
	v_mul_f64 v[2:3], v[42:43], v[64:65]
	v_fma_f64 v[134:135], v[40:41], v[66:67], -v[2:3]
	ds_read_b128 v[64:67], v214 offset:1776
	v_fma_f64 v[42:43], v[4:5], v[226:227], -v[6:7]
	ds_read_b128 v[4:7], v214 offset:1808
	v_mul_f64 v[78:79], v[198:199], v[96:97]
	v_fma_f64 v[174:175], v[196:197], v[98:99], -v[78:79]
	v_mul_f64 v[78:79], v[202:203], v[104:105]
	v_fma_f64 v[78:79], v[200:201], v[106:107], -v[78:79]
	v_accvgpr_write_b32 a237, v213
	v_accvgpr_write_b32 a236, v212
	ds_read_b128 v[52:55], v214 offset:1728
	s_waitcnt vmcnt(53) lgkmcnt(6)
	v_mul_f64 v[68:69], v[220:221], v[254:255]
	s_waitcnt vmcnt(52)
	v_fmac_f64_e32 v[68:69], v[222:223], v[126:127]
	v_add_f64 v[32:33], v[38:39], v[68:69]
	v_fma_f64 v[38:39], v[16:17], v[50:51], -v[18:19]
	ds_read_b128 v[48:51], v214 offset:1712
	s_waitcnt vmcnt(49) lgkmcnt(6)
	v_mul_f64 v[34:35], v[74:75], v[242:243]
	ds_read_b128 v[68:71], v214 offset:1792
	s_waitcnt vmcnt(47)
	v_fmac_f64_e32 v[34:35], v[76:77], v[252:253]
	v_add_f64 v[32:33], v[32:33], v[34:35]
	s_waitcnt vmcnt(46) lgkmcnt(6)
	v_mul_f64 v[34:35], v[180:181], v[124:125]
	s_waitcnt vmcnt(44)
	v_fmac_f64_e32 v[34:35], v[182:183], v[144:145]
	s_waitcnt vmcnt(41) lgkmcnt(5)
	v_mul_f64 v[16:17], v[22:23], v[148:149]
	v_add_f64 v[32:33], v[32:33], v[34:35]
	s_waitcnt vmcnt(39)
	v_fmac_f64_e32 v[16:17], v[24:25], v[244:245]
	s_waitcnt vmcnt(38) lgkmcnt(1)
	v_mul_f64 v[2:3], v[48:49], v[142:143]
	v_add_f64 v[0:1], v[32:33], v[16:17]
	s_waitcnt vmcnt(36)
	v_fmac_f64_e32 v[2:3], v[50:51], v[154:155]
	v_add_f64 v[0:1], v[0:1], v[2:3]
	s_waitcnt vmcnt(34)
	v_mul_f64 v[2:3], v[52:53], v[122:123]
	s_waitcnt vmcnt(32)
	v_fmac_f64_e32 v[2:3], v[54:55], v[156:157]
	ds_read_b128 v[16:19], v214 offset:1744
	v_add_f64 v[0:1], v[0:1], v[2:3]
	v_mul_f64 v[2:3], v[46:47], v[60:61]
	v_fma_f64 v[40:41], v[44:45], v[62:63], -v[2:3]
	ds_read_b128 v[60:63], v214 offset:1760
	s_waitcnt vmcnt(29) lgkmcnt(1)
	v_mul_f64 v[2:3], v[16:17], v[158:159]
	s_waitcnt vmcnt(28)
	v_fmac_f64_e32 v[2:3], v[18:19], v[160:161]
	v_add_f64 v[0:1], v[0:1], v[2:3]
	s_waitcnt vmcnt(25) lgkmcnt(0)
	v_mul_f64 v[2:3], v[60:61], v[164:165]
	s_waitcnt vmcnt(23)
	v_fmac_f64_e32 v[2:3], v[62:63], v[168:169]
	v_add_f64 v[0:1], v[0:1], v[2:3]
	s_waitcnt vmcnt(22)
	v_mul_f64 v[2:3], v[64:65], v[162:163]
	s_waitcnt vmcnt(20)
	v_fmac_f64_e32 v[2:3], v[66:67], v[166:167]
	v_add_f64 v[0:1], v[0:1], v[2:3]
	v_mul_f64 v[2:3], v[10:11], v[114:115]
	v_fma_f64 v[2:3], v[8:9], v[190:191], -v[2:3]
	s_waitcnt vmcnt(18)
	v_mul_f64 v[8:9], v[68:69], v[120:121]
	s_waitcnt vmcnt(16)
	v_fmac_f64_e32 v[8:9], v[70:71], v[172:173]
	v_add_f64 v[32:33], v[0:1], v[8:9]
	v_mul_f64 v[0:1], v[14:15], v[100:101]
	v_fma_f64 v[0:1], v[12:13], v[110:111], -v[0:1]
	ds_read_b128 v[8:11], v214 offset:1824
	s_waitcnt vmcnt(14)
	v_mul_f64 v[12:13], v[4:5], v[176:177]
	s_waitcnt vmcnt(12)
	v_fmac_f64_e32 v[12:13], v[6:7], v[178:179]
	v_add_f64 v[88:89], v[32:33], v[12:13]
	v_mul_f64 v[32:33], v[152:153], v[108:109]
	ds_read_b128 v[12:15], v214 offset:1840
	v_fma_f64 v[150:151], v[150:151], v[112:113], -v[32:33]
	ds_read_b128 v[32:35], v214 offset:1856
	buffer_load_dword v190, off, s[0:3], 0 offset:904
	buffer_load_dword v191, off, s[0:3], 0 offset:908
	;; [unrolled: 1-line block ×4, first 2 shown]
	s_waitcnt vmcnt(13) lgkmcnt(2)
	v_mul_f64 v[90:91], v[8:9], v[136:137]
	s_waitcnt vmcnt(11)
	v_fmac_f64_e32 v[90:91], v[10:11], v[186:187]
	v_add_f64 v[88:89], v[88:89], v[90:91]
	s_waitcnt vmcnt(9) lgkmcnt(1)
	v_mul_f64 v[90:91], v[12:13], v[118:119]
	s_waitcnt vmcnt(8)
	v_fmac_f64_e32 v[90:91], v[14:15], v[132:133]
	v_add_f64 v[88:89], v[88:89], v[90:91]
	;; [unrolled: 5-line block ×3, first 2 shown]
	ds_read_b128 v[88:91], v214 offset:1872
	buffer_load_dword v195, off, s[0:3], 0 offset:924
	buffer_load_dword v194, off, s[0:3], 0 offset:920
	buffer_load_dword v197, off, s[0:3], 0 offset:916
	buffer_load_dword v196, off, s[0:3], 0 offset:912
	s_waitcnt vmcnt(6) lgkmcnt(0)
	v_mul_f64 v[94:95], v[88:89], v[190:191]
	s_waitcnt vmcnt(4)
	v_fmac_f64_e32 v[94:95], v[90:91], v[192:193]
	v_add_f64 v[96:97], v[92:93], v[94:95]
	ds_read_b128 v[92:95], v214 offset:1888
	buffer_load_dword v198, off, s[0:3], 0 offset:936
	buffer_load_dword v199, off, s[0:3], 0 offset:940
	buffer_load_dword v200, off, s[0:3], 0 offset:928
	buffer_load_dword v201, off, s[0:3], 0 offset:932
	s_waitcnt vmcnt(6) lgkmcnt(0)
	v_mul_f64 v[98:99], v[92:93], v[194:195]
	s_waitcnt vmcnt(4)
	v_fmac_f64_e32 v[98:99], v[94:95], v[196:197]
	v_add_f64 v[100:101], v[96:97], v[98:99]
	ds_read_b128 v[96:99], v214 offset:1904
	buffer_load_dword v203, off, s[0:3], 0 offset:956
	buffer_load_dword v202, off, s[0:3], 0 offset:952
	buffer_load_dword v205, off, s[0:3], 0 offset:948
	buffer_load_dword v204, off, s[0:3], 0 offset:944
	s_waitcnt vmcnt(6) lgkmcnt(0)
	v_mul_f64 v[102:103], v[96:97], v[198:199]
	s_waitcnt vmcnt(4)
	v_fmac_f64_e32 v[102:103], v[98:99], v[200:201]
	v_add_f64 v[104:105], v[100:101], v[102:103]
	ds_read_b128 v[100:103], v214 offset:1920
	buffer_load_dword v206, off, s[0:3], 0 offset:968
	buffer_load_dword v207, off, s[0:3], 0 offset:972
	buffer_load_dword v208, off, s[0:3], 0 offset:960
	buffer_load_dword v209, off, s[0:3], 0 offset:964
	s_waitcnt vmcnt(6) lgkmcnt(0)
	v_mul_f64 v[106:107], v[100:101], v[202:203]
	s_waitcnt vmcnt(4)
	v_fmac_f64_e32 v[106:107], v[102:103], v[204:205]
	v_add_f64 v[108:109], v[104:105], v[106:107]
	ds_read_b128 v[104:107], v214 offset:1936
	buffer_load_dword v211, off, s[0:3], 0 offset:988
	buffer_load_dword v210, off, s[0:3], 0 offset:984
	buffer_load_dword v213, off, s[0:3], 0 offset:980
	buffer_load_dword v212, off, s[0:3], 0 offset:976
	s_waitcnt vmcnt(6) lgkmcnt(0)
	v_mul_f64 v[110:111], v[104:105], v[206:207]
	s_waitcnt vmcnt(4)
	v_fmac_f64_e32 v[110:111], v[106:107], v[208:209]
	v_add_f64 v[112:113], v[108:109], v[110:111]
	ds_read_b128 v[108:111], v214 offset:1952
	buffer_load_dword v216, off, s[0:3], 0 offset:1000
	buffer_load_dword v217, off, s[0:3], 0 offset:1004
	buffer_load_dword v218, off, s[0:3], 0 offset:992
	buffer_load_dword v219, off, s[0:3], 0 offset:996
	s_waitcnt vmcnt(6) lgkmcnt(0)
	v_mul_f64 v[114:115], v[108:109], v[210:211]
	s_waitcnt vmcnt(4)
	v_fmac_f64_e32 v[114:115], v[110:111], v[212:213]
	v_add_f64 v[152:153], v[112:113], v[114:115]
	ds_read_b128 v[112:115], v214 offset:1968
	buffer_load_dword v226, off, s[0:3], 0 offset:16
	buffer_load_dword v227, off, s[0:3], 0 offset:20
	buffer_load_dword v224, off, s[0:3], 0 offset:24
	buffer_load_dword v225, off, s[0:3], 0 offset:28
	s_waitcnt vmcnt(6) lgkmcnt(0)
	v_mul_f64 v[214:215], v[112:113], v[216:217]
	s_waitcnt vmcnt(4)
	v_fmac_f64_e32 v[214:215], v[114:115], v[218:219]
	v_add_f64 v[214:215], v[152:153], v[214:215]
	v_add_f64 v[152:153], v[26:27], 0
	v_accvgpr_read_b32 v26, a240
	v_accvgpr_read_b32 v27, a241
	v_add_f64 v[152:153], v[152:153], v[26:27]
	v_add_f64 v[152:153], v[152:153], v[228:229]
	;; [unrolled: 1-line block ×29, first 2 shown]
	v_accvgpr_read_b32 v26, a186
	v_accvgpr_read_b32 v2, a190
	;; [unrolled: 1-line block ×6, first 2 shown]
	v_add_f64 v[0:1], v[228:229], v[0:1]
	v_accvgpr_read_b32 v27, a187
	v_mul_f64 v[2:3], v[28:29], v[2:3]
	v_accvgpr_read_b32 v21, a195
	v_add_f64 v[0:1], v[0:1], v[150:151]
	v_fma_f64 v[2:3], v[26:27], v[20:21], -v[2:3]
	v_add_f64 v[0:1], v[0:1], v[2:3]
	v_accvgpr_read_b32 v2, a192
	v_accvgpr_read_b32 v26, a196
	v_accvgpr_read_b32 v3, a193
	v_accvgpr_read_b32 v28, a198
	v_accvgpr_read_b32 v29, a199
	v_accvgpr_read_b32 v20, a200
	v_accvgpr_read_b32 v27, a197
	v_mul_f64 v[2:3], v[28:29], v[2:3]
	v_accvgpr_read_b32 v21, a201
	v_fma_f64 v[2:3], v[26:27], v[20:21], -v[2:3]
	v_add_f64 v[0:1], v[0:1], v[2:3]
	v_accvgpr_read_b32 v26, a202
	v_accvgpr_read_b32 v2, a206
	v_accvgpr_read_b32 v28, a204
	v_accvgpr_read_b32 v29, a205
	v_accvgpr_read_b32 v3, a207
	v_accvgpr_read_b32 v20, a208
	v_accvgpr_read_b32 v27, a203
	v_mul_f64 v[2:3], v[28:29], v[2:3]
	v_accvgpr_read_b32 v21, a209
	;; [unrolled: 11-line block ×3, first 2 shown]
	v_fma_f64 v[2:3], v[26:27], v[20:21], -v[2:3]
	v_add_f64 v[0:1], v[0:1], v[2:3]
	v_accvgpr_read_b32 v2, a218
	v_accvgpr_read_b32 v3, a219
	;; [unrolled: 1-line block ×3, first 2 shown]
	v_mul_f64 v[2:3], v[130:131], v[2:3]
	v_accvgpr_read_b32 v21, a221
	v_fma_f64 v[2:3], v[128:129], v[20:21], -v[2:3]
	v_add_f64 v[0:1], v[0:1], v[2:3]
	v_accvgpr_read_b32 v2, a228
	v_accvgpr_read_b32 v3, a229
	v_accvgpr_read_b32 v20, a232
	v_mul_f64 v[2:3], v[248:249], v[2:3]
	v_accvgpr_read_b32 v21, a233
	v_fma_f64 v[2:3], v[246:247], v[20:21], -v[2:3]
	v_add_f64 v[0:1], v[0:1], v[2:3]
	v_accvgpr_read_b32 v26, a222
	v_accvgpr_read_b32 v2, a226
	;; [unrolled: 1-line block ×7, first 2 shown]
	v_mul_f64 v[2:3], v[28:29], v[2:3]
	v_accvgpr_read_b32 v21, a231
	v_fma_f64 v[2:3], v[26:27], v[20:21], -v[2:3]
	v_add_f64 v[0:1], v[0:1], v[2:3]
	v_accvgpr_read_b32 v2, a234
	v_accvgpr_read_b32 v3, a235
	;; [unrolled: 1-line block ×3, first 2 shown]
	v_mul_f64 v[2:3], v[140:141], v[2:3]
	v_accvgpr_read_b32 v21, a237
	v_fma_f64 v[2:3], v[138:139], v[20:21], -v[2:3]
	v_add_f64 v[0:1], v[0:1], v[2:3]
	v_mul_f64 v[2:3], v[222:223], v[254:255]
	v_fma_f64 v[2:3], v[220:221], v[126:127], -v[2:3]
	v_add_f64 v[0:1], v[0:1], v[2:3]
	v_mul_f64 v[2:3], v[76:77], v[242:243]
	;; [unrolled: 3-line block ×21, first 2 shown]
	v_fma_f64 v[2:3], v[112:113], v[218:219], -v[2:3]
	v_add_f64 v[0:1], v[0:1], v[2:3]
	s_waitcnt vmcnt(2)
	v_add_f64 v[0:1], v[226:227], -v[0:1]
	s_waitcnt vmcnt(0)
	v_add_f64 v[2:3], v[224:225], -v[214:215]
	buffer_store_dword v1, off, s[0:3], 0 offset:20
	buffer_store_dword v0, off, s[0:3], 0 offset:16
	buffer_store_dword v3, off, s[0:3], 0 offset:28
	buffer_store_dword v2, off, s[0:3], 0 offset:24
	s_cbranch_vccz .LBB61_521
; %bb.398:
	v_pk_mov_b32 v[0:1], s[20:21], s[20:21] op_sel:[0,1]
	flat_load_dword v0, v[0:1] offset:240
	s_waitcnt vmcnt(0) lgkmcnt(0)
	v_add_u32_e32 v0, -1, v0
	v_cmp_ne_u32_e32 vcc, 60, v0
	s_and_saveexec_b64 s[4:5], vcc
	s_cbranch_execz .LBB61_400
; %bb.399:
	v_mov_b32_e32 v1, 16
	v_accvgpr_read_b32 v9, a125
	v_lshl_add_u32 v0, v0, 4, v1
	buffer_load_dword v1, v9, s[0:3], 0 offen offset:4
	buffer_load_dword v2, v9, s[0:3], 0 offen offset:8
	buffer_load_dword v3, v9, s[0:3], 0 offen offset:12
	buffer_load_dword v4, v0, s[0:3], 0 offen
	buffer_load_dword v5, v0, s[0:3], 0 offen offset:4
	buffer_load_dword v6, v0, s[0:3], 0 offen offset:8
	buffer_load_dword v7, v0, s[0:3], 0 offen offset:12
	buffer_load_dword v8, v9, s[0:3], 0 offen
	s_waitcnt vmcnt(4)
	buffer_store_dword v4, v9, s[0:3], 0 offen
	s_waitcnt vmcnt(4)
	buffer_store_dword v5, v9, s[0:3], 0 offen offset:4
	s_waitcnt vmcnt(4)
	buffer_store_dword v6, v9, s[0:3], 0 offen offset:8
	s_waitcnt vmcnt(4)
	buffer_store_dword v7, v9, s[0:3], 0 offen offset:12
	buffer_store_dword v3, v0, s[0:3], 0 offen offset:12
	buffer_store_dword v2, v0, s[0:3], 0 offen offset:8
	buffer_store_dword v1, v0, s[0:3], 0 offen offset:4
	s_waitcnt vmcnt(7)
	buffer_store_dword v8, v0, s[0:3], 0 offen
.LBB61_400:
	s_or_b64 exec, exec, s[4:5]
	v_pk_mov_b32 v[0:1], s[20:21], s[20:21] op_sel:[0,1]
	flat_load_dword v0, v[0:1] offset:236
	s_waitcnt vmcnt(0) lgkmcnt(0)
	v_add_u32_e32 v0, -1, v0
	v_cmp_ne_u32_e32 vcc, 59, v0
	s_and_saveexec_b64 s[4:5], vcc
	s_cbranch_execz .LBB61_402
; %bb.401:
	v_mov_b32_e32 v1, 16
	v_accvgpr_read_b32 v9, a126
	v_lshl_add_u32 v0, v0, 4, v1
	buffer_load_dword v1, v9, s[0:3], 0 offen offset:4
	buffer_load_dword v2, v9, s[0:3], 0 offen offset:8
	buffer_load_dword v3, v9, s[0:3], 0 offen offset:12
	buffer_load_dword v4, v0, s[0:3], 0 offen
	buffer_load_dword v5, v0, s[0:3], 0 offen offset:4
	buffer_load_dword v6, v0, s[0:3], 0 offen offset:8
	buffer_load_dword v7, v0, s[0:3], 0 offen offset:12
	buffer_load_dword v8, v9, s[0:3], 0 offen
	s_waitcnt vmcnt(4)
	buffer_store_dword v4, v9, s[0:3], 0 offen
	s_waitcnt vmcnt(4)
	buffer_store_dword v5, v9, s[0:3], 0 offen offset:4
	s_waitcnt vmcnt(4)
	buffer_store_dword v6, v9, s[0:3], 0 offen offset:8
	s_waitcnt vmcnt(4)
	buffer_store_dword v7, v9, s[0:3], 0 offen offset:12
	buffer_store_dword v3, v0, s[0:3], 0 offen offset:12
	buffer_store_dword v2, v0, s[0:3], 0 offen offset:8
	buffer_store_dword v1, v0, s[0:3], 0 offen offset:4
	s_waitcnt vmcnt(7)
	buffer_store_dword v8, v0, s[0:3], 0 offen
.LBB61_402:
	s_or_b64 exec, exec, s[4:5]
	;; [unrolled: 34-line block ×60, first 2 shown]
	v_pk_mov_b32 v[0:1], s[20:21], s[20:21] op_sel:[0,1]
	flat_load_dword v0, v[0:1]
	s_waitcnt vmcnt(0) lgkmcnt(0)
	v_add_u32_e32 v0, -1, v0
	v_cmp_ne_u32_e32 vcc, 0, v0
	s_and_saveexec_b64 s[4:5], vcc
	s_cbranch_execz .LBB61_520
; %bb.519:
	v_mov_b32_e32 v1, 16
	v_lshl_add_u32 v0, v0, 4, v1
	buffer_load_dword v1, v0, s[0:3], 0 offen
	buffer_load_dword v2, v0, s[0:3], 0 offen offset:4
	buffer_load_dword v3, v0, s[0:3], 0 offen offset:8
	;; [unrolled: 1-line block ×3, first 2 shown]
	buffer_load_dword v5, off, s[0:3], 0 offset:28
	buffer_load_dword v6, off, s[0:3], 0 offset:24
	;; [unrolled: 1-line block ×4, first 2 shown]
	s_waitcnt vmcnt(7)
	buffer_store_dword v1, off, s[0:3], 0 offset:16
	s_waitcnt vmcnt(7)
	buffer_store_dword v2, off, s[0:3], 0 offset:20
	;; [unrolled: 2-line block ×4, first 2 shown]
	s_waitcnt vmcnt(7)
	buffer_store_dword v5, v0, s[0:3], 0 offen offset:12
	s_waitcnt vmcnt(7)
	buffer_store_dword v6, v0, s[0:3], 0 offen offset:8
	;; [unrolled: 2-line block ×3, first 2 shown]
	s_waitcnt vmcnt(7)
	buffer_store_dword v8, v0, s[0:3], 0 offen
.LBB61_520:
	s_or_b64 exec, exec, s[4:5]
.LBB61_521:
	buffer_load_dword v0, off, s[0:3], 0 offset:16
	buffer_load_dword v1, off, s[0:3], 0 offset:20
	;; [unrolled: 1-line block ×4, first 2 shown]
	v_accvgpr_read_b32 v4, a122
	v_accvgpr_read_b32 v5, a123
	s_waitcnt vmcnt(0)
	global_store_dwordx4 v[4:5], v[0:3], off
	s_nop 0
	v_accvgpr_read_b32 v3, a184
	buffer_load_dword v0, v3, s[0:3], 0 offen
	buffer_load_dword v1, v3, s[0:3], 0 offen offset:4
	buffer_load_dword v2, v3, s[0:3], 0 offen offset:8
	s_nop 0
	buffer_load_dword v3, v3, s[0:3], 0 offen offset:12
	v_accvgpr_read_b32 v4, a120
	v_accvgpr_read_b32 v5, a121
	s_waitcnt vmcnt(0)
	global_store_dwordx4 v[4:5], v[0:3], off
	s_nop 0
	v_accvgpr_read_b32 v3, a183
	buffer_load_dword v0, v3, s[0:3], 0 offen
	buffer_load_dword v1, v3, s[0:3], 0 offen offset:4
	buffer_load_dword v2, v3, s[0:3], 0 offen offset:8
	s_nop 0
	buffer_load_dword v3, v3, s[0:3], 0 offen offset:12
	;; [unrolled: 11-line block ×20, first 2 shown]
	v_accvgpr_read_b32 v4, a30
	v_accvgpr_read_b32 v5, a31
	s_waitcnt vmcnt(0)
	global_store_dwordx4 v[4:5], v[0:3], off
	v_accvgpr_read_b32 v4, a164
	buffer_load_dword v0, v4, s[0:3], 0 offen
	buffer_load_dword v1, v4, s[0:3], 0 offen offset:4
	buffer_load_dword v2, v4, s[0:3], 0 offen offset:8
	buffer_load_dword v3, v4, s[0:3], 0 offen offset:12
	v_accvgpr_read_b32 v4, a118
	v_accvgpr_read_b32 v5, a119
	s_waitcnt vmcnt(0)
	global_store_dwordx4 v[4:5], v[0:3], off
	v_accvgpr_read_b32 v4, a163
	buffer_load_dword v0, v4, s[0:3], 0 offen
	buffer_load_dword v1, v4, s[0:3], 0 offen offset:4
	buffer_load_dword v2, v4, s[0:3], 0 offen offset:8
	buffer_load_dword v3, v4, s[0:3], 0 offen offset:12
	;; [unrolled: 9-line block ×41, first 2 shown]
	v_accvgpr_read_b32 v5, a1
	v_accvgpr_read_b32 v4, a0
	s_waitcnt vmcnt(0)
	global_store_dwordx4 v[4:5], v[0:3], off
	s_endpgm
	.section	.rodata,"a",@progbits
	.p2align	6, 0x0
	.amdhsa_kernel _ZN9rocsolver6v33100L18getri_kernel_smallILi62E19rocblas_complex_numIdEPS3_EEvT1_iilPiilS6_bb
		.amdhsa_group_segment_fixed_size 1992
		.amdhsa_private_segment_fixed_size 1024
		.amdhsa_kernarg_size 60
		.amdhsa_user_sgpr_count 8
		.amdhsa_user_sgpr_private_segment_buffer 1
		.amdhsa_user_sgpr_dispatch_ptr 0
		.amdhsa_user_sgpr_queue_ptr 0
		.amdhsa_user_sgpr_kernarg_segment_ptr 1
		.amdhsa_user_sgpr_dispatch_id 0
		.amdhsa_user_sgpr_flat_scratch_init 1
		.amdhsa_user_sgpr_kernarg_preload_length 0
		.amdhsa_user_sgpr_kernarg_preload_offset 0
		.amdhsa_user_sgpr_private_segment_size 0
		.amdhsa_uses_dynamic_stack 0
		.amdhsa_system_sgpr_private_segment_wavefront_offset 1
		.amdhsa_system_sgpr_workgroup_id_x 1
		.amdhsa_system_sgpr_workgroup_id_y 0
		.amdhsa_system_sgpr_workgroup_id_z 0
		.amdhsa_system_sgpr_workgroup_info 0
		.amdhsa_system_vgpr_workitem_id 0
		.amdhsa_next_free_vgpr 498
		.amdhsa_next_free_sgpr 30
		.amdhsa_accum_offset 256
		.amdhsa_reserve_vcc 1
		.amdhsa_reserve_flat_scratch 1
		.amdhsa_float_round_mode_32 0
		.amdhsa_float_round_mode_16_64 0
		.amdhsa_float_denorm_mode_32 3
		.amdhsa_float_denorm_mode_16_64 3
		.amdhsa_dx10_clamp 1
		.amdhsa_ieee_mode 1
		.amdhsa_fp16_overflow 0
		.amdhsa_tg_split 0
		.amdhsa_exception_fp_ieee_invalid_op 0
		.amdhsa_exception_fp_denorm_src 0
		.amdhsa_exception_fp_ieee_div_zero 0
		.amdhsa_exception_fp_ieee_overflow 0
		.amdhsa_exception_fp_ieee_underflow 0
		.amdhsa_exception_fp_ieee_inexact 0
		.amdhsa_exception_int_div_zero 0
	.end_amdhsa_kernel
	.section	.text._ZN9rocsolver6v33100L18getri_kernel_smallILi62E19rocblas_complex_numIdEPS3_EEvT1_iilPiilS6_bb,"axG",@progbits,_ZN9rocsolver6v33100L18getri_kernel_smallILi62E19rocblas_complex_numIdEPS3_EEvT1_iilPiilS6_bb,comdat
.Lfunc_end61:
	.size	_ZN9rocsolver6v33100L18getri_kernel_smallILi62E19rocblas_complex_numIdEPS3_EEvT1_iilPiilS6_bb, .Lfunc_end61-_ZN9rocsolver6v33100L18getri_kernel_smallILi62E19rocblas_complex_numIdEPS3_EEvT1_iilPiilS6_bb
                                        ; -- End function
	.section	.AMDGPU.csdata,"",@progbits
; Kernel info:
; codeLenInByte = 239352
; NumSgprs: 36
; NumVgprs: 256
; NumAgprs: 242
; TotalNumVgprs: 498
; ScratchSize: 1024
; MemoryBound: 0
; FloatMode: 240
; IeeeMode: 1
; LDSByteSize: 1992 bytes/workgroup (compile time only)
; SGPRBlocks: 4
; VGPRBlocks: 62
; NumSGPRsForWavesPerEU: 36
; NumVGPRsForWavesPerEU: 498
; AccumOffset: 256
; Occupancy: 1
; WaveLimiterHint : 1
; COMPUTE_PGM_RSRC2:SCRATCH_EN: 1
; COMPUTE_PGM_RSRC2:USER_SGPR: 8
; COMPUTE_PGM_RSRC2:TRAP_HANDLER: 0
; COMPUTE_PGM_RSRC2:TGID_X_EN: 1
; COMPUTE_PGM_RSRC2:TGID_Y_EN: 0
; COMPUTE_PGM_RSRC2:TGID_Z_EN: 0
; COMPUTE_PGM_RSRC2:TIDIG_COMP_CNT: 0
; COMPUTE_PGM_RSRC3_GFX90A:ACCUM_OFFSET: 63
; COMPUTE_PGM_RSRC3_GFX90A:TG_SPLIT: 0
	.section	.text._ZN9rocsolver6v33100L18getri_kernel_smallILi63E19rocblas_complex_numIdEPS3_EEvT1_iilPiilS6_bb,"axG",@progbits,_ZN9rocsolver6v33100L18getri_kernel_smallILi63E19rocblas_complex_numIdEPS3_EEvT1_iilPiilS6_bb,comdat
	.globl	_ZN9rocsolver6v33100L18getri_kernel_smallILi63E19rocblas_complex_numIdEPS3_EEvT1_iilPiilS6_bb ; -- Begin function _ZN9rocsolver6v33100L18getri_kernel_smallILi63E19rocblas_complex_numIdEPS3_EEvT1_iilPiilS6_bb
	.p2align	8
	.type	_ZN9rocsolver6v33100L18getri_kernel_smallILi63E19rocblas_complex_numIdEPS3_EEvT1_iilPiilS6_bb,@function
_ZN9rocsolver6v33100L18getri_kernel_smallILi63E19rocblas_complex_numIdEPS3_EEvT1_iilPiilS6_bb: ; @_ZN9rocsolver6v33100L18getri_kernel_smallILi63E19rocblas_complex_numIdEPS3_EEvT1_iilPiilS6_bb
; %bb.0:
	s_add_u32 flat_scratch_lo, s6, s9
	s_addc_u32 flat_scratch_hi, s7, 0
	s_add_u32 s0, s0, s9
	v_mov_b32_e32 v254, v0
	s_addc_u32 s1, s1, 0
	v_cmp_gt_u32_e32 vcc, 63, v254
	s_and_saveexec_b64 s[6:7], vcc
	s_cbranch_execz .LBB62_278
; %bb.1:
	s_load_dword s10, s[4:5], 0x38
	s_load_dwordx4 s[16:19], s[4:5], 0x10
	s_load_dwordx4 s[12:15], s[4:5], 0x28
                                        ; implicit-def: $sgpr20_sgpr21
	s_waitcnt lgkmcnt(0)
	s_bitcmp1_b32 s10, 8
	s_cselect_b64 s[22:23], -1, 0
	s_ashr_i32 s9, s8, 31
	s_bfe_u32 s6, s10, 0x10008
	s_cmp_eq_u32 s6, 0
	s_cbranch_scc1 .LBB62_3
; %bb.2:
	s_load_dword s6, s[4:5], 0x20
	s_mul_i32 s7, s8, s13
	s_mul_hi_u32 s11, s8, s12
	s_mul_i32 s13, s9, s12
	s_add_i32 s11, s11, s7
	s_add_i32 s13, s11, s13
	s_mul_i32 s12, s8, s12
	s_waitcnt lgkmcnt(0)
	s_ashr_i32 s7, s6, 31
	s_lshl_b64 s[12:13], s[12:13], 2
	s_add_u32 s11, s18, s12
	s_addc_u32 s12, s19, s13
	s_lshl_b64 s[6:7], s[6:7], 2
	s_add_u32 s20, s11, s6
	s_addc_u32 s21, s12, s7
.LBB62_3:
	s_load_dwordx4 s[4:7], s[4:5], 0x0
	s_mul_i32 s11, s8, s17
	s_mul_hi_u32 s12, s8, s16
	s_add_i32 s11, s12, s11
	v_lshlrev_b32_e32 v1, 4, v254
	s_waitcnt lgkmcnt(0)
	s_ashr_i32 s13, s6, 31
	s_mov_b32 s12, s6
	s_mul_i32 s6, s9, s16
	s_add_i32 s17, s11, s6
	s_mul_i32 s16, s8, s16
	s_lshl_b64 s[16:17], s[16:17], 4
	s_add_u32 s6, s4, s16
	s_addc_u32 s11, s5, s17
	s_lshl_b64 s[4:5], s[12:13], 4
	s_add_u32 s4, s6, s4
	s_addc_u32 s5, s11, s5
	v_mov_b32_e32 v0, s5
	v_add_co_u32_e32 v2, vcc, s4, v1
	s_ashr_i32 s13, s7, 31
	s_mov_b32 s12, s7
	s_add_i32 s6, s7, s7
	v_addc_co_u32_e32 v3, vcc, 0, v0, vcc
	s_lshl_b64 s[12:13], s[12:13], 4
	v_add_u32_e32 v10, s6, v254
	v_mov_b32_e32 v0, s13
	v_add_co_u32_e32 v4, vcc, s12, v2
	v_accvgpr_write_b32 a0, v2
	v_ashrrev_i32_e32 v11, 31, v10
	global_load_dwordx4 v[6:9], v1, s[4:5]
	v_accvgpr_write_b32 a1, v3
	v_addc_co_u32_e32 v5, vcc, v3, v0, vcc
	v_lshlrev_b64 v[2:3], 4, v[10:11]
	v_add_u32_e32 v10, s7, v10
	v_mov_b32_e32 v0, s5
	v_add_co_u32_e32 v2, vcc, s4, v2
	v_ashrrev_i32_e32 v11, 31, v10
	v_addc_co_u32_e32 v3, vcc, v0, v3, vcc
	v_add_u32_e32 v12, s7, v10
	v_lshlrev_b64 v[10:11], 4, v[10:11]
	v_ashrrev_i32_e32 v13, 31, v12
	v_add_co_u32_e32 v30, vcc, s4, v10
	global_load_dwordx4 v[26:29], v[4:5], off
	v_addc_co_u32_e32 v31, vcc, v0, v11, vcc
	v_lshlrev_b64 v[10:11], 4, v[12:13]
	v_mov_b32_e32 v16, s5
	v_add_co_u32_e32 v10, vcc, s4, v10
	v_addc_co_u32_e32 v11, vcc, v16, v11, vcc
	v_accvgpr_write_b32 a2, v4
	v_accvgpr_write_b32 a5, v3
	;; [unrolled: 1-line block ×5, first 2 shown]
	v_add_u32_e32 v14, s7, v12
	v_accvgpr_write_b32 a20, v10
	global_load_dwordx4 v[10:13], v[10:11], off
	v_ashrrev_i32_e32 v15, 31, v14
	global_load_dwordx4 v[2:5], v[2:3], off
	v_add_u32_e32 v18, s7, v14
	v_lshlrev_b64 v[20:21], 4, v[14:15]
	global_load_dwordx4 v[14:17], v[30:31], off
	v_mov_b32_e32 v23, s5
	v_ashrrev_i32_e32 v19, 31, v18
	v_add_co_u32_e32 v20, vcc, s4, v20
	v_add_u32_e32 v22, s7, v18
	v_addc_co_u32_e32 v21, vcc, v23, v21, vcc
	v_lshlrev_b64 v[18:19], 4, v[18:19]
	v_mov_b32_e32 v24, s5
	v_accvgpr_write_b32 a22, v30
	v_ashrrev_i32_e32 v23, 31, v22
	v_add_co_u32_e32 v18, vcc, s4, v18
	v_accvgpr_write_b32 a23, v31
	v_add_u32_e32 v34, s7, v22
	v_addc_co_u32_e32 v19, vcc, v24, v19, vcc
	v_lshlrev_b64 v[30:31], 4, v[22:23]
	global_load_dwordx4 v[22:25], v[20:21], off
	v_accvgpr_write_b32 a12, v20
	v_accvgpr_write_b32 a14, v18
	;; [unrolled: 1-line block ×4, first 2 shown]
	global_load_dwordx4 v[18:21], v[18:19], off
	v_mov_b32_e32 v32, s5
	v_add_co_u32_e32 v30, vcc, s4, v30
	v_ashrrev_i32_e32 v35, 31, v34
	v_addc_co_u32_e32 v31, vcc, v32, v31, vcc
	s_waitcnt vmcnt(6)
	buffer_store_dword v9, off, s[0:3], 0 offset:28
	buffer_store_dword v8, off, s[0:3], 0 offset:24
	;; [unrolled: 1-line block ×4, first 2 shown]
	s_waitcnt vmcnt(9)
	buffer_store_dword v29, off, s[0:3], 0 offset:44
	buffer_store_dword v28, off, s[0:3], 0 offset:40
	;; [unrolled: 1-line block ×4, first 2 shown]
	s_waitcnt vmcnt(11)
	buffer_store_dword v5, off, s[0:3], 0 offset:60
	v_lshlrev_b64 v[6:7], 4, v[34:35]
	v_add_co_u32_e32 v6, vcc, s4, v6
	global_load_dwordx4 v[26:29], v[30:31], off
	v_addc_co_u32_e32 v7, vcc, v0, v7, vcc
	v_accvgpr_write_b32 a6, v30
	v_accvgpr_write_b32 a9, v7
	;; [unrolled: 1-line block ×4, first 2 shown]
	global_load_dwordx4 v[30:33], v[6:7], off
	v_add_u32_e32 v6, s7, v34
	v_ashrrev_i32_e32 v7, 31, v6
	v_lshlrev_b64 v[8:9], 4, v[6:7]
	v_add_co_u32_e32 v34, vcc, s4, v8
	v_addc_co_u32_e32 v35, vcc, v0, v9, vcc
	v_add_u32_e32 v6, s7, v6
	v_accvgpr_write_b32 a10, v34
	v_ashrrev_i32_e32 v7, 31, v6
	v_accvgpr_write_b32 a11, v35
	global_load_dwordx4 v[34:37], v[34:35], off
	v_lshlrev_b64 v[8:9], 4, v[6:7]
	v_add_co_u32_e32 v8, vcc, s4, v8
	v_addc_co_u32_e32 v9, vcc, v0, v9, vcc
	v_add_u32_e32 v6, s7, v6
	v_accvgpr_write_b32 a17, v9
	global_load_dwordx4 v[38:41], v[8:9], off
	v_ashrrev_i32_e32 v7, 31, v6
	v_accvgpr_write_b32 a16, v8
	v_lshlrev_b64 v[8:9], 4, v[6:7]
	v_add_co_u32_e32 v42, vcc, s4, v8
	v_addc_co_u32_e32 v43, vcc, v0, v9, vcc
	v_add_u32_e32 v6, s7, v6
	v_accvgpr_write_b32 a18, v42
	v_ashrrev_i32_e32 v7, 31, v6
	v_accvgpr_write_b32 a19, v43
	global_load_dwordx4 v[42:45], v[42:43], off
	v_lshlrev_b64 v[8:9], 4, v[6:7]
	v_add_co_u32_e32 v8, vcc, s4, v8
	v_addc_co_u32_e32 v9, vcc, v0, v9, vcc
	global_load_dwordx4 v[46:49], v[8:9], off
	v_add_u32_e32 v6, s7, v6
	v_accvgpr_write_b32 a25, v9
	v_ashrrev_i32_e32 v7, 31, v6
	v_accvgpr_write_b32 a24, v8
	v_lshlrev_b64 v[8:9], 4, v[6:7]
	v_add_co_u32_e32 v50, vcc, s4, v8
	v_addc_co_u32_e32 v51, vcc, v0, v9, vcc
	v_add_u32_e32 v6, s7, v6
	v_accvgpr_write_b32 a26, v50
	v_ashrrev_i32_e32 v7, 31, v6
	v_accvgpr_write_b32 a27, v51
	global_load_dwordx4 v[50:53], v[50:51], off
	v_lshlrev_b64 v[8:9], 4, v[6:7]
	v_add_co_u32_e32 v8, vcc, s4, v8
	v_addc_co_u32_e32 v9, vcc, v0, v9, vcc
	global_load_dwordx4 v[54:57], v[8:9], off
	v_add_u32_e32 v6, s7, v6
	v_accvgpr_write_b32 a29, v9
	;; [unrolled: 16-line block ×5, first 2 shown]
	v_ashrrev_i32_e32 v7, 31, v6
	v_accvgpr_write_b32 a40, v8
	v_lshlrev_b64 v[8:9], 4, v[6:7]
	v_add_co_u32_e32 v8, vcc, s4, v8
	v_add_u32_e32 v86, s7, v6
	v_addc_co_u32_e32 v9, vcc, v0, v9, vcc
	v_ashrrev_i32_e32 v87, 31, v86
	global_load_dwordx4 v[82:85], v[8:9], off
	v_lshlrev_b64 v[6:7], 4, v[86:87]
	v_add_co_u32_e32 v6, vcc, s4, v6
	v_addc_co_u32_e32 v7, vcc, v0, v7, vcc
	v_accvgpr_write_b32 a43, v9
	v_accvgpr_write_b32 a45, v7
	;; [unrolled: 1-line block ×4, first 2 shown]
	global_load_dwordx4 v[6:9], v[6:7], off
	s_nop 0
	buffer_store_dword v4, off, s[0:3], 0 offset:56
	buffer_store_dword v3, off, s[0:3], 0 offset:52
	;; [unrolled: 1-line block ×3, first 2 shown]
	s_waitcnt vmcnt(30)
	buffer_store_dword v17, off, s[0:3], 0 offset:76
	buffer_store_dword v16, off, s[0:3], 0 offset:72
	buffer_store_dword v15, off, s[0:3], 0 offset:68
	buffer_store_dword v14, off, s[0:3], 0 offset:64
	buffer_store_dword v13, off, s[0:3], 0 offset:92
	buffer_store_dword v12, off, s[0:3], 0 offset:88
	buffer_store_dword v11, off, s[0:3], 0 offset:84
	buffer_store_dword v10, off, s[0:3], 0 offset:80
	s_waitcnt vmcnt(37)
	buffer_store_dword v25, off, s[0:3], 0 offset:108
	buffer_store_dword v24, off, s[0:3], 0 offset:104
	buffer_store_dword v23, off, s[0:3], 0 offset:100
	buffer_store_dword v22, off, s[0:3], 0 offset:96
	s_waitcnt vmcnt(40)
	buffer_store_dword v21, off, s[0:3], 0 offset:124
	buffer_store_dword v20, off, s[0:3], 0 offset:120
	buffer_store_dword v19, off, s[0:3], 0 offset:116
	buffer_store_dword v18, off, s[0:3], 0 offset:112
	;; [unrolled: 5-line block ×13, first 2 shown]
	buffer_store_dword v73, off, s[0:3], 0 offset:316
	buffer_store_dword v72, off, s[0:3], 0 offset:312
	;; [unrolled: 1-line block ×8, first 2 shown]
	s_waitcnt vmcnt(62)
	buffer_store_dword v81, off, s[0:3], 0 offset:348
	buffer_store_dword v80, off, s[0:3], 0 offset:344
	;; [unrolled: 1-line block ×9, first 2 shown]
	v_add_u32_e32 v2, s7, v86
	v_ashrrev_i32_e32 v3, 31, v2
	v_lshlrev_b64 v[4:5], 4, v[2:3]
	v_add_co_u32_e32 v10, vcc, s4, v4
	v_addc_co_u32_e32 v11, vcc, v0, v5, vcc
	v_add_u32_e32 v2, s7, v2
	v_ashrrev_i32_e32 v3, 31, v2
	v_accvgpr_write_b32 a47, v11
	v_lshlrev_b64 v[4:5], 4, v[2:3]
	v_accvgpr_write_b32 a46, v10
	global_load_dwordx4 v[10:13], v[10:11], off
	v_add_co_u32_e32 v4, vcc, s4, v4
	v_addc_co_u32_e32 v5, vcc, v0, v5, vcc
	v_add_u32_e32 v2, s7, v2
	v_accvgpr_write_b32 a49, v5
	v_ashrrev_i32_e32 v3, 31, v2
	v_accvgpr_write_b32 a48, v4
	global_load_dwordx4 v[14:17], v[4:5], off
	v_lshlrev_b64 v[4:5], 4, v[2:3]
	v_add_co_u32_e32 v18, vcc, s4, v4
	v_addc_co_u32_e32 v19, vcc, v0, v5, vcc
	v_add_u32_e32 v2, s7, v2
	v_ashrrev_i32_e32 v3, 31, v2
	v_accvgpr_write_b32 a51, v19
	v_lshlrev_b64 v[4:5], 4, v[2:3]
	v_accvgpr_write_b32 a50, v18
	global_load_dwordx4 v[18:21], v[18:19], off
	v_add_co_u32_e32 v4, vcc, s4, v4
	v_addc_co_u32_e32 v5, vcc, v0, v5, vcc
	global_load_dwordx4 v[22:25], v[4:5], off
	v_add_u32_e32 v2, s7, v2
	v_accvgpr_write_b32 a53, v5
	v_ashrrev_i32_e32 v3, 31, v2
	v_accvgpr_write_b32 a52, v4
	v_lshlrev_b64 v[4:5], 4, v[2:3]
	v_add_co_u32_e32 v26, vcc, s4, v4
	v_addc_co_u32_e32 v27, vcc, v0, v5, vcc
	v_add_u32_e32 v2, s7, v2
	v_ashrrev_i32_e32 v3, 31, v2
	v_accvgpr_write_b32 a55, v27
	v_lshlrev_b64 v[4:5], 4, v[2:3]
	v_accvgpr_write_b32 a54, v26
	global_load_dwordx4 v[26:29], v[26:27], off
	v_add_co_u32_e32 v4, vcc, s4, v4
	v_addc_co_u32_e32 v5, vcc, v0, v5, vcc
	global_load_dwordx4 v[30:33], v[4:5], off
	v_add_u32_e32 v2, s7, v2
	v_accvgpr_write_b32 a57, v5
	v_ashrrev_i32_e32 v3, 31, v2
	v_accvgpr_write_b32 a56, v4
	v_lshlrev_b64 v[4:5], 4, v[2:3]
	v_add_co_u32_e32 v34, vcc, s4, v4
	v_addc_co_u32_e32 v35, vcc, v0, v5, vcc
	v_add_u32_e32 v2, s7, v2
	v_ashrrev_i32_e32 v3, 31, v2
	v_accvgpr_write_b32 a59, v35
	v_lshlrev_b64 v[4:5], 4, v[2:3]
	v_accvgpr_write_b32 a58, v34
	global_load_dwordx4 v[34:37], v[34:35], off
	v_add_co_u32_e32 v4, vcc, s4, v4
	v_addc_co_u32_e32 v5, vcc, v0, v5, vcc
	global_load_dwordx4 v[38:41], v[4:5], off
	v_add_u32_e32 v2, s7, v2
	v_accvgpr_write_b32 a61, v5
	v_ashrrev_i32_e32 v3, 31, v2
	v_accvgpr_write_b32 a60, v4
	v_lshlrev_b64 v[4:5], 4, v[2:3]
	v_add_co_u32_e32 v42, vcc, s4, v4
	v_addc_co_u32_e32 v43, vcc, v0, v5, vcc
	v_add_u32_e32 v2, s7, v2
	v_ashrrev_i32_e32 v3, 31, v2
	v_accvgpr_write_b32 a63, v43
	v_lshlrev_b64 v[4:5], 4, v[2:3]
	v_accvgpr_write_b32 a62, v42
	global_load_dwordx4 v[42:45], v[42:43], off
	v_add_co_u32_e32 v4, vcc, s4, v4
	v_addc_co_u32_e32 v5, vcc, v0, v5, vcc
	global_load_dwordx4 v[46:49], v[4:5], off
	v_add_u32_e32 v2, s7, v2
	v_accvgpr_write_b32 a65, v5
	v_ashrrev_i32_e32 v3, 31, v2
	v_accvgpr_write_b32 a64, v4
	v_lshlrev_b64 v[4:5], 4, v[2:3]
	v_add_co_u32_e32 v50, vcc, s4, v4
	v_addc_co_u32_e32 v51, vcc, v0, v5, vcc
	v_add_u32_e32 v2, s7, v2
	v_ashrrev_i32_e32 v3, 31, v2
	v_accvgpr_write_b32 a67, v51
	v_lshlrev_b64 v[4:5], 4, v[2:3]
	v_accvgpr_write_b32 a66, v50
	global_load_dwordx4 v[50:53], v[50:51], off
	v_add_co_u32_e32 v4, vcc, s4, v4
	v_addc_co_u32_e32 v5, vcc, v0, v5, vcc
	global_load_dwordx4 v[54:57], v[4:5], off
	v_add_u32_e32 v2, s7, v2
	v_accvgpr_write_b32 a69, v5
	v_ashrrev_i32_e32 v3, 31, v2
	v_accvgpr_write_b32 a68, v4
	v_lshlrev_b64 v[4:5], 4, v[2:3]
	v_add_co_u32_e32 v58, vcc, s4, v4
	v_addc_co_u32_e32 v59, vcc, v0, v5, vcc
	v_add_u32_e32 v2, s7, v2
	v_ashrrev_i32_e32 v3, 31, v2
	v_accvgpr_write_b32 a71, v59
	v_lshlrev_b64 v[4:5], 4, v[2:3]
	v_accvgpr_write_b32 a70, v58
	global_load_dwordx4 v[58:61], v[58:59], off
	v_add_co_u32_e32 v4, vcc, s4, v4
	v_addc_co_u32_e32 v5, vcc, v0, v5, vcc
	global_load_dwordx4 v[62:65], v[4:5], off
	v_add_u32_e32 v2, s7, v2
	v_accvgpr_write_b32 a73, v5
	v_ashrrev_i32_e32 v3, 31, v2
	v_accvgpr_write_b32 a72, v4
	v_lshlrev_b64 v[4:5], 4, v[2:3]
	v_add_co_u32_e32 v66, vcc, s4, v4
	v_addc_co_u32_e32 v67, vcc, v0, v5, vcc
	v_add_u32_e32 v2, s7, v2
	v_ashrrev_i32_e32 v3, 31, v2
	v_accvgpr_write_b32 a75, v67
	v_lshlrev_b64 v[4:5], 4, v[2:3]
	v_accvgpr_write_b32 a74, v66
	global_load_dwordx4 v[66:69], v[66:67], off
	v_add_co_u32_e32 v4, vcc, s4, v4
	v_addc_co_u32_e32 v5, vcc, v0, v5, vcc
	global_load_dwordx4 v[70:73], v[4:5], off
	v_add_u32_e32 v2, s7, v2
	v_accvgpr_write_b32 a77, v5
	v_ashrrev_i32_e32 v3, 31, v2
	v_accvgpr_write_b32 a76, v4
	v_lshlrev_b64 v[4:5], 4, v[2:3]
	v_add_co_u32_e32 v74, vcc, s4, v4
	v_addc_co_u32_e32 v75, vcc, v0, v5, vcc
	v_add_u32_e32 v2, s7, v2
	v_accvgpr_write_b32 a79, v75
	v_ashrrev_i32_e32 v3, 31, v2
	v_accvgpr_write_b32 a78, v74
	global_load_dwordx4 v[74:77], v[74:75], off
	v_lshlrev_b64 v[4:5], 4, v[2:3]
	v_add_co_u32_e32 v4, vcc, s4, v4
	v_addc_co_u32_e32 v5, vcc, v0, v5, vcc
	global_load_dwordx4 v[78:81], v[4:5], off
	v_add_u32_e32 v2, s7, v2
	v_accvgpr_write_b32 a81, v5
	v_ashrrev_i32_e32 v3, 31, v2
	v_accvgpr_write_b32 a80, v4
	v_lshlrev_b64 v[4:5], 4, v[2:3]
	v_add_co_u32_e32 v4, vcc, s4, v4
	v_add_u32_e32 v86, s7, v2
	v_addc_co_u32_e32 v5, vcc, v0, v5, vcc
	v_ashrrev_i32_e32 v87, 31, v86
	v_lshlrev_b64 v[2:3], 4, v[86:87]
	global_load_dwordx4 v[82:85], v[4:5], off
	v_add_co_u32_e32 v2, vcc, s4, v2
	v_addc_co_u32_e32 v3, vcc, v0, v3, vcc
	v_accvgpr_write_b32 a83, v5
	v_accvgpr_write_b32 a87, v3
	;; [unrolled: 1-line block ×4, first 2 shown]
	global_load_dwordx4 v[2:5], v[2:3], off
	s_nop 0
	buffer_store_dword v8, off, s[0:3], 0 offset:376
	buffer_store_dword v7, off, s[0:3], 0 offset:372
	buffer_store_dword v6, off, s[0:3], 0 offset:368
	s_waitcnt vmcnt(22)
	buffer_store_dword v13, off, s[0:3], 0 offset:396
	buffer_store_dword v12, off, s[0:3], 0 offset:392
	buffer_store_dword v11, off, s[0:3], 0 offset:388
	buffer_store_dword v10, off, s[0:3], 0 offset:384
	s_waitcnt vmcnt(25)
	buffer_store_dword v17, off, s[0:3], 0 offset:412
	;; [unrolled: 5-line block ×15, first 2 shown]
	buffer_store_dword v68, off, s[0:3], 0 offset:616
	buffer_store_dword v67, off, s[0:3], 0 offset:612
	;; [unrolled: 1-line block ×11, first 2 shown]
	s_waitcnt vmcnt(62)
	buffer_store_dword v81, off, s[0:3], 0 offset:668
	buffer_store_dword v80, off, s[0:3], 0 offset:664
	;; [unrolled: 1-line block ×9, first 2 shown]
	v_add_u32_e32 v6, s7, v86
	v_ashrrev_i32_e32 v7, 31, v6
	v_lshlrev_b64 v[8:9], 4, v[6:7]
	v_add_u32_e32 v14, s7, v6
	v_add_co_u32_e32 v8, vcc, s4, v8
	v_ashrrev_i32_e32 v15, 31, v14
	v_addc_co_u32_e32 v9, vcc, v0, v9, vcc
	v_lshlrev_b64 v[6:7], 4, v[14:15]
	v_add_co_u32_e32 v10, vcc, s4, v6
	v_accvgpr_write_b32 a89, v9
	v_addc_co_u32_e32 v11, vcc, v0, v7, vcc
	v_accvgpr_write_b32 a88, v8
	global_load_dwordx4 v[6:9], v[8:9], off
	v_add_u32_e32 v14, s7, v14
	v_accvgpr_write_b32 a91, v11
	v_ashrrev_i32_e32 v15, 31, v14
	v_accvgpr_write_b32 a90, v10
	global_load_dwordx4 v[10:13], v[10:11], off
	v_lshlrev_b64 v[16:17], 4, v[14:15]
	v_add_u32_e32 v22, s7, v14
	v_add_co_u32_e32 v16, vcc, s4, v16
	v_ashrrev_i32_e32 v23, 31, v22
	v_addc_co_u32_e32 v17, vcc, v0, v17, vcc
	v_lshlrev_b64 v[14:15], 4, v[22:23]
	v_add_co_u32_e32 v18, vcc, s4, v14
	v_accvgpr_write_b32 a93, v17
	v_addc_co_u32_e32 v19, vcc, v0, v15, vcc
	v_accvgpr_write_b32 a92, v16
	global_load_dwordx4 v[14:17], v[16:17], off
	v_add_u32_e32 v22, s7, v22
	v_accvgpr_write_b32 a95, v19
	v_ashrrev_i32_e32 v23, 31, v22
	v_accvgpr_write_b32 a94, v18
	global_load_dwordx4 v[18:21], v[18:19], off
	;; [unrolled: 16-line block ×9, first 2 shown]
	v_lshlrev_b64 v[80:81], 4, v[78:79]
	v_add_co_u32_e32 v80, vcc, s4, v80
	v_addc_co_u32_e32 v81, vcc, v0, v81, vcc
	v_add_u32_e32 v78, s7, v78
	v_ashrrev_i32_e32 v79, 31, v78
	v_accvgpr_write_b32 a125, v81
	v_lshlrev_b64 v[82:83], 4, v[78:79]
	v_accvgpr_write_b32 a124, v80
	global_load_dwordx4 v[78:81], v[80:81], off
	v_add_co_u32_e32 v82, vcc, s4, v82
	v_addc_co_u32_e32 v83, vcc, v0, v83, vcc
	v_accvgpr_write_b32 a85, v83
	v_accvgpr_write_b32 a84, v82
	global_load_dwordx4 v[82:85], v[82:83], off
	v_mov_b32_e32 v0, 16
	buffer_store_dword v4, off, s[0:3], 0 offset:696
	buffer_store_dword v3, off, s[0:3], 0 offset:692
	buffer_store_dword v2, off, s[0:3], 0 offset:688
	s_waitcnt vmcnt(22)
	buffer_store_dword v9, off, s[0:3], 0 offset:716
	buffer_store_dword v8, off, s[0:3], 0 offset:712
	buffer_store_dword v7, off, s[0:3], 0 offset:708
	buffer_store_dword v6, off, s[0:3], 0 offset:704
	s_waitcnt vmcnt(25)
	buffer_store_dword v13, off, s[0:3], 0 offset:732
	;; [unrolled: 5-line block ×15, first 2 shown]
	buffer_store_dword v64, off, s[0:3], 0 offset:936
	buffer_store_dword v63, off, s[0:3], 0 offset:932
	buffer_store_dword v62, off, s[0:3], 0 offset:928
	buffer_store_dword v69, off, s[0:3], 0 offset:956
	buffer_store_dword v68, off, s[0:3], 0 offset:952
	buffer_store_dword v67, off, s[0:3], 0 offset:948
	buffer_store_dword v66, off, s[0:3], 0 offset:944
	buffer_store_dword v73, off, s[0:3], 0 offset:972
	buffer_store_dword v72, off, s[0:3], 0 offset:968
	buffer_store_dword v71, off, s[0:3], 0 offset:964
	buffer_store_dword v70, off, s[0:3], 0 offset:960
	s_waitcnt vmcnt(62)
	buffer_store_dword v77, off, s[0:3], 0 offset:988
	buffer_store_dword v76, off, s[0:3], 0 offset:984
	;; [unrolled: 1-line block ×12, first 2 shown]
	v_add_u32_e32 v2, 16, v0
	v_accvgpr_write_b32 a187, v2
	v_add_u32_e32 v2, 32, v0
	v_accvgpr_write_b32 a186, v2
	;; [unrolled: 2-line block ×60, first 2 shown]
	v_add_u32_e32 v2, 0x3d0, v0
	v_add_u32_e32 v0, 0x3e0, v0
	s_bitcmp0_b32 s10, 0
	v_accvgpr_write_b32 a127, v2
	v_accvgpr_write_b32 a126, v0
	s_mov_b64 s[6:7], -1
	s_cbranch_scc1 .LBB62_276
; %bb.4:
	v_cmp_eq_u32_e64 s[4:5], 0, v254
	s_and_saveexec_b64 s[6:7], s[4:5]
	s_cbranch_execz .LBB62_6
; %bb.5:
	v_mov_b32_e32 v0, 0
	ds_write_b32 v0, v0 offset:2016
.LBB62_6:
	s_or_b64 exec, exec, s[6:7]
	v_mov_b32_e32 v0, 16
	v_lshl_add_u32 v12, v254, 4, v0
	s_waitcnt lgkmcnt(0)
	; wave barrier
	s_waitcnt lgkmcnt(0)
	buffer_load_dword v2, v12, s[0:3], 0 offen
	buffer_load_dword v3, v12, s[0:3], 0 offen offset:4
	buffer_load_dword v4, v12, s[0:3], 0 offen offset:8
	;; [unrolled: 1-line block ×3, first 2 shown]
	s_waitcnt vmcnt(2)
	v_cmp_eq_f64_e32 vcc, 0, v[2:3]
	s_waitcnt vmcnt(0)
	v_cmp_eq_f64_e64 s[6:7], 0, v[4:5]
	s_and_b64 s[6:7], vcc, s[6:7]
	s_and_saveexec_b64 s[10:11], s[6:7]
	s_cbranch_execz .LBB62_10
; %bb.7:
	v_mov_b32_e32 v2, 0
	ds_read_b32 v0, v2 offset:2016
	v_add_u32_e32 v3, 1, v254
	s_waitcnt lgkmcnt(0)
	v_readfirstlane_b32 s6, v0
	s_cmp_eq_u32 s6, 0
	s_cselect_b64 s[12:13], -1, 0
	v_cmp_gt_i32_e32 vcc, s6, v3
	s_or_b64 s[12:13], s[12:13], vcc
	s_and_b64 exec, exec, s[12:13]
	s_cbranch_execz .LBB62_10
; %bb.8:
	s_mov_b64 s[12:13], 0
	v_mov_b32_e32 v4, s6
.LBB62_9:                               ; =>This Inner Loop Header: Depth=1
	ds_cmpst_rtn_b32 v4, v2, v4, v3 offset:2016
	s_waitcnt lgkmcnt(0)
	v_cmp_ne_u32_e32 vcc, 0, v4
	v_cmp_le_i32_e64 s[6:7], v4, v3
	s_and_b64 s[6:7], vcc, s[6:7]
	s_and_b64 s[6:7], exec, s[6:7]
	s_or_b64 s[12:13], s[6:7], s[12:13]
	s_andn2_b64 exec, exec, s[12:13]
	s_cbranch_execnz .LBB62_9
.LBB62_10:
	s_or_b64 exec, exec, s[10:11]
	v_mov_b32_e32 v3, 0
	s_waitcnt lgkmcnt(0)
	; wave barrier
	ds_read_b32 v2, v3 offset:2016
	s_and_saveexec_b64 s[6:7], s[4:5]
	s_cbranch_execz .LBB62_12
; %bb.11:
	s_lshl_b64 s[10:11], s[8:9], 2
	s_add_u32 s10, s14, s10
	s_addc_u32 s11, s15, s11
	s_waitcnt lgkmcnt(0)
	global_store_dword v3, v2, s[10:11]
.LBB62_12:
	s_or_b64 exec, exec, s[6:7]
	s_waitcnt lgkmcnt(0)
	v_cmp_ne_u32_e32 vcc, 0, v2
	s_mov_b64 s[6:7], 0
	s_cbranch_vccnz .LBB62_276
; %bb.13:
	buffer_load_dword v7, v12, s[0:3], 0 offen offset:4
	buffer_load_dword v6, v12, s[0:3], 0 offen
	buffer_load_dword v9, v12, s[0:3], 0 offen offset:12
	buffer_load_dword v8, v12, s[0:3], 0 offen offset:8
                                        ; implicit-def: $vgpr10_vgpr11
	s_waitcnt vmcnt(3)
	v_xor_b32_e32 v0, 0x80000000, v7
	s_waitcnt vmcnt(2)
	v_cmp_gt_f64_e32 vcc, 0, v[6:7]
	s_waitcnt vmcnt(1)
	v_xor_b32_e32 v4, 0x80000000, v9
	v_cndmask_b32_e32 v3, v7, v0, vcc
	s_waitcnt vmcnt(0)
	v_cmp_gt_f64_e32 vcc, 0, v[8:9]
	v_mov_b32_e32 v2, v6
	v_cndmask_b32_e32 v5, v9, v4, vcc
	v_mov_b32_e32 v4, v8
	v_cmp_ngt_f64_e32 vcc, v[2:3], v[4:5]
                                        ; implicit-def: $vgpr4_vgpr5
	s_and_saveexec_b64 s[6:7], vcc
	s_xor_b64 s[6:7], exec, s[6:7]
	s_cbranch_execz .LBB62_15
; %bb.14:
	v_div_scale_f64 v[2:3], s[10:11], v[8:9], v[8:9], v[6:7]
	v_rcp_f64_e32 v[4:5], v[2:3]
	v_div_scale_f64 v[10:11], vcc, v[6:7], v[8:9], v[6:7]
	v_fma_f64 v[14:15], -v[2:3], v[4:5], 1.0
	v_fmac_f64_e32 v[4:5], v[4:5], v[14:15]
	v_fma_f64 v[14:15], -v[2:3], v[4:5], 1.0
	v_fmac_f64_e32 v[4:5], v[4:5], v[14:15]
	v_mul_f64 v[14:15], v[10:11], v[4:5]
	v_fma_f64 v[2:3], -v[2:3], v[14:15], v[10:11]
	v_div_fmas_f64 v[2:3], v[2:3], v[4:5], v[14:15]
	v_div_fixup_f64 v[2:3], v[2:3], v[8:9], v[6:7]
	v_fmac_f64_e32 v[8:9], v[6:7], v[2:3]
	v_div_scale_f64 v[4:5], s[10:11], v[8:9], v[8:9], 1.0
	v_rcp_f64_e32 v[6:7], v[4:5]
	v_fma_f64 v[10:11], -v[4:5], v[6:7], 1.0
	v_fmac_f64_e32 v[6:7], v[6:7], v[10:11]
	v_fma_f64 v[10:11], -v[4:5], v[6:7], 1.0
	v_fmac_f64_e32 v[6:7], v[6:7], v[10:11]
	v_div_scale_f64 v[10:11], vcc, 1.0, v[8:9], 1.0
	v_mul_f64 v[14:15], v[10:11], v[6:7]
	v_fma_f64 v[4:5], -v[4:5], v[14:15], v[10:11]
	s_nop 1
	v_div_fmas_f64 v[4:5], v[4:5], v[6:7], v[14:15]
	v_div_fixup_f64 v[4:5], v[4:5], v[8:9], 1.0
	v_mul_f64 v[10:11], v[2:3], v[4:5]
	v_xor_b32_e32 v5, 0x80000000, v5
	v_xor_b32_e32 v3, 0x80000000, v11
	v_mov_b32_e32 v2, v10
                                        ; implicit-def: $vgpr6_vgpr7
                                        ; implicit-def: $vgpr8_vgpr9
.LBB62_15:
	s_andn2_saveexec_b64 s[6:7], s[6:7]
	s_cbranch_execz .LBB62_17
; %bb.16:
	v_div_scale_f64 v[2:3], s[10:11], v[6:7], v[6:7], v[8:9]
	v_rcp_f64_e32 v[4:5], v[2:3]
	v_div_scale_f64 v[10:11], vcc, v[8:9], v[6:7], v[8:9]
	v_fma_f64 v[14:15], -v[2:3], v[4:5], 1.0
	v_fmac_f64_e32 v[4:5], v[4:5], v[14:15]
	v_fma_f64 v[14:15], -v[2:3], v[4:5], 1.0
	v_fmac_f64_e32 v[4:5], v[4:5], v[14:15]
	v_mul_f64 v[14:15], v[10:11], v[4:5]
	v_fma_f64 v[2:3], -v[2:3], v[14:15], v[10:11]
	v_div_fmas_f64 v[2:3], v[2:3], v[4:5], v[14:15]
	v_div_fixup_f64 v[4:5], v[2:3], v[6:7], v[8:9]
	v_fmac_f64_e32 v[6:7], v[8:9], v[4:5]
	v_div_scale_f64 v[2:3], s[10:11], v[6:7], v[6:7], 1.0
	v_rcp_f64_e32 v[8:9], v[2:3]
	v_fma_f64 v[10:11], -v[2:3], v[8:9], 1.0
	v_fmac_f64_e32 v[8:9], v[8:9], v[10:11]
	v_fma_f64 v[10:11], -v[2:3], v[8:9], 1.0
	v_fmac_f64_e32 v[8:9], v[8:9], v[10:11]
	v_div_scale_f64 v[10:11], vcc, 1.0, v[6:7], 1.0
	v_mul_f64 v[14:15], v[10:11], v[8:9]
	v_fma_f64 v[2:3], -v[2:3], v[14:15], v[10:11]
	s_nop 1
	v_div_fmas_f64 v[2:3], v[2:3], v[8:9], v[14:15]
	v_div_fixup_f64 v[10:11], v[2:3], v[6:7], 1.0
	v_xor_b32_e32 v3, 0x80000000, v11
	v_mov_b32_e32 v2, v10
	v_mul_f64 v[4:5], v[4:5], -v[10:11]
.LBB62_17:
	s_or_b64 exec, exec, s[6:7]
	buffer_store_dword v11, v12, s[0:3], 0 offen offset:4
	buffer_store_dword v10, v12, s[0:3], 0 offen
	buffer_store_dword v5, v12, s[0:3], 0 offen offset:12
	buffer_store_dword v4, v12, s[0:3], 0 offen offset:8
	v_accvgpr_read_b32 v0, a187
	buffer_load_dword v11, v0, s[0:3], 0 offen offset:12
	buffer_load_dword v10, v0, s[0:3], 0 offen offset:8
	;; [unrolled: 1-line block ×3, first 2 shown]
	buffer_load_dword v8, v0, s[0:3], 0 offen
	v_xor_b32_e32 v5, 0x80000000, v5
	v_add_u32_e32 v6, 0x3f0, v1
	ds_write_b128 v1, v[2:5]
	s_waitcnt vmcnt(0)
	ds_write_b128 v1, v[8:11] offset:1008
	s_waitcnt lgkmcnt(0)
	; wave barrier
	s_waitcnt lgkmcnt(0)
	s_and_saveexec_b64 s[6:7], s[4:5]
	s_cbranch_execz .LBB62_19
; %bb.18:
	buffer_load_dword v14, v12, s[0:3], 0 offen offset:8
	buffer_load_dword v15, v12, s[0:3], 0 offen offset:12
	buffer_load_dword v16, v12, s[0:3], 0 offen
	buffer_load_dword v17, v12, s[0:3], 0 offen offset:4
	ds_read_b128 v[2:5], v6
	v_mov_b32_e32 v0, 0
	ds_read_b128 v[8:11], v0 offset:16
	s_waitcnt vmcnt(2) lgkmcnt(1)
	v_mul_f64 v[18:19], v[4:5], v[14:15]
	v_mul_f64 v[14:15], v[2:3], v[14:15]
	s_waitcnt vmcnt(0)
	v_fmac_f64_e32 v[14:15], v[4:5], v[16:17]
	v_fma_f64 v[2:3], v[2:3], v[16:17], -v[18:19]
	v_add_f64 v[4:5], v[14:15], 0
	v_add_f64 v[2:3], v[2:3], 0
	s_waitcnt lgkmcnt(0)
	v_mul_f64 v[14:15], v[4:5], v[10:11]
	v_mul_f64 v[10:11], v[2:3], v[10:11]
	v_fma_f64 v[2:3], v[2:3], v[8:9], -v[14:15]
	v_fmac_f64_e32 v[10:11], v[4:5], v[8:9]
	buffer_store_dword v2, off, s[0:3], 0 offset:32
	buffer_store_dword v3, off, s[0:3], 0 offset:36
	;; [unrolled: 1-line block ×4, first 2 shown]
.LBB62_19:
	s_or_b64 exec, exec, s[6:7]
	v_accvgpr_read_b32 v0, a186
	s_waitcnt lgkmcnt(0)
	; wave barrier
	buffer_load_dword v2, v0, s[0:3], 0 offen
	buffer_load_dword v3, v0, s[0:3], 0 offen offset:4
	buffer_load_dword v4, v0, s[0:3], 0 offen offset:8
	;; [unrolled: 1-line block ×3, first 2 shown]
	v_cmp_gt_u32_e32 vcc, 2, v254
	s_waitcnt vmcnt(0)
	ds_write_b128 v6, v[2:5]
	s_waitcnt lgkmcnt(0)
	; wave barrier
	s_waitcnt lgkmcnt(0)
	s_and_saveexec_b64 s[6:7], vcc
	s_cbranch_execz .LBB62_23
; %bb.20:
	buffer_load_dword v8, v12, s[0:3], 0 offen offset:8
	buffer_load_dword v9, v12, s[0:3], 0 offen offset:12
	buffer_load_dword v10, v12, s[0:3], 0 offen
	buffer_load_dword v11, v12, s[0:3], 0 offen offset:4
	ds_read_b128 v[2:5], v6
	s_waitcnt vmcnt(2) lgkmcnt(0)
	v_mul_f64 v[14:15], v[4:5], v[8:9]
	v_mul_f64 v[8:9], v[2:3], v[8:9]
	s_waitcnt vmcnt(0)
	v_fma_f64 v[2:3], v[2:3], v[10:11], -v[14:15]
	v_fmac_f64_e32 v[8:9], v[4:5], v[10:11]
	v_add_f64 v[4:5], v[2:3], 0
	v_add_f64 v[2:3], v[8:9], 0
	s_and_saveexec_b64 s[10:11], s[4:5]
	s_cbranch_execz .LBB62_22
; %bb.21:
	buffer_load_dword v14, off, s[0:3], 0 offset:40
	buffer_load_dword v15, off, s[0:3], 0 offset:44
	;; [unrolled: 1-line block ×4, first 2 shown]
	v_mov_b32_e32 v0, 0
	ds_read_b128 v[8:11], v0 offset:1024
	s_waitcnt vmcnt(2) lgkmcnt(0)
	v_mul_f64 v[18:19], v[8:9], v[14:15]
	v_mul_f64 v[14:15], v[10:11], v[14:15]
	s_waitcnt vmcnt(0)
	v_fmac_f64_e32 v[18:19], v[10:11], v[16:17]
	v_fma_f64 v[8:9], v[8:9], v[16:17], -v[14:15]
	v_add_f64 v[2:3], v[2:3], v[18:19]
	v_add_f64 v[4:5], v[4:5], v[8:9]
.LBB62_22:
	s_or_b64 exec, exec, s[10:11]
	v_mov_b32_e32 v0, 0
	ds_read_b128 v[8:11], v0 offset:32
	s_waitcnt lgkmcnt(0)
	v_mul_f64 v[14:15], v[2:3], v[10:11]
	v_mul_f64 v[10:11], v[4:5], v[10:11]
	v_fma_f64 v[4:5], v[4:5], v[8:9], -v[14:15]
	v_fmac_f64_e32 v[10:11], v[2:3], v[8:9]
	buffer_store_dword v5, off, s[0:3], 0 offset:52
	buffer_store_dword v4, off, s[0:3], 0 offset:48
	;; [unrolled: 1-line block ×4, first 2 shown]
.LBB62_23:
	s_or_b64 exec, exec, s[6:7]
	v_accvgpr_read_b32 v0, a185
	s_waitcnt lgkmcnt(0)
	; wave barrier
	buffer_load_dword v2, v0, s[0:3], 0 offen
	buffer_load_dword v3, v0, s[0:3], 0 offen offset:4
	buffer_load_dword v4, v0, s[0:3], 0 offen offset:8
	;; [unrolled: 1-line block ×3, first 2 shown]
	v_cmp_gt_u32_e64 s[6:7], 3, v254
	v_add_u32_e32 v7, -1, v254
	s_waitcnt vmcnt(0)
	ds_write_b128 v6, v[2:5]
	s_waitcnt lgkmcnt(0)
	; wave barrier
	s_waitcnt lgkmcnt(0)
	s_and_saveexec_b64 s[10:11], s[6:7]
	s_cbranch_execz .LBB62_27
; %bb.24:
	v_pk_mov_b32 v[2:3], 0, 0
	v_add_u32_e32 v8, -1, v254
	v_add_u32_e32 v9, 0x3f0, v1
	v_add_u32_e32 v10, 16, v1
	s_mov_b64 s[12:13], 0
	v_pk_mov_b32 v[4:5], v[2:3], v[2:3] op_sel:[0,1]
.LBB62_25:                              ; =>This Inner Loop Header: Depth=1
	buffer_load_dword v18, v10, s[0:3], 0 offen offset:8
	buffer_load_dword v19, v10, s[0:3], 0 offen offset:12
	buffer_load_dword v20, v10, s[0:3], 0 offen
	buffer_load_dword v21, v10, s[0:3], 0 offen offset:4
	ds_read_b128 v[14:17], v9
	v_add_u32_e32 v8, 1, v8
	v_cmp_lt_u32_e64 s[6:7], 1, v8
	v_add_u32_e32 v9, 16, v9
	v_add_u32_e32 v10, 16, v10
	s_or_b64 s[12:13], s[6:7], s[12:13]
	s_waitcnt vmcnt(2) lgkmcnt(0)
	v_mul_f64 v[22:23], v[16:17], v[18:19]
	v_mul_f64 v[18:19], v[14:15], v[18:19]
	s_waitcnt vmcnt(0)
	v_fma_f64 v[14:15], v[14:15], v[20:21], -v[22:23]
	v_fmac_f64_e32 v[18:19], v[16:17], v[20:21]
	v_add_f64 v[4:5], v[4:5], v[14:15]
	v_add_f64 v[2:3], v[2:3], v[18:19]
	s_andn2_b64 exec, exec, s[12:13]
	s_cbranch_execnz .LBB62_25
; %bb.26:
	s_or_b64 exec, exec, s[12:13]
	v_mov_b32_e32 v0, 0
	ds_read_b128 v[8:11], v0 offset:48
	s_waitcnt lgkmcnt(0)
	v_mul_f64 v[14:15], v[2:3], v[10:11]
	v_mul_f64 v[10:11], v[4:5], v[10:11]
	v_fma_f64 v[4:5], v[4:5], v[8:9], -v[14:15]
	v_fmac_f64_e32 v[10:11], v[2:3], v[8:9]
	buffer_store_dword v5, off, s[0:3], 0 offset:68
	buffer_store_dword v4, off, s[0:3], 0 offset:64
	buffer_store_dword v11, off, s[0:3], 0 offset:76
	buffer_store_dword v10, off, s[0:3], 0 offset:72
.LBB62_27:
	s_or_b64 exec, exec, s[10:11]
	v_accvgpr_read_b32 v0, a184
	s_waitcnt lgkmcnt(0)
	; wave barrier
	buffer_load_dword v2, v0, s[0:3], 0 offen
	buffer_load_dword v3, v0, s[0:3], 0 offen offset:4
	buffer_load_dword v4, v0, s[0:3], 0 offen offset:8
	buffer_load_dword v5, v0, s[0:3], 0 offen offset:12
	v_cmp_gt_u32_e64 s[6:7], 4, v254
	s_waitcnt vmcnt(0)
	ds_write_b128 v6, v[2:5]
	s_waitcnt lgkmcnt(0)
	; wave barrier
	s_waitcnt lgkmcnt(0)
	s_and_saveexec_b64 s[12:13], s[6:7]
	s_cbranch_execz .LBB62_31
; %bb.28:
	v_pk_mov_b32 v[2:3], 0, 0
	v_add_u32_e32 v8, -1, v254
	v_add_u32_e32 v9, 0x3f0, v1
	v_add_u32_e32 v10, 16, v1
	s_mov_b64 s[16:17], 0
	v_pk_mov_b32 v[4:5], v[2:3], v[2:3] op_sel:[0,1]
.LBB62_29:                              ; =>This Inner Loop Header: Depth=1
	buffer_load_dword v18, v10, s[0:3], 0 offen offset:8
	buffer_load_dword v19, v10, s[0:3], 0 offen offset:12
	buffer_load_dword v20, v10, s[0:3], 0 offen
	buffer_load_dword v21, v10, s[0:3], 0 offen offset:4
	ds_read_b128 v[14:17], v9
	v_add_u32_e32 v8, 1, v8
	v_cmp_lt_u32_e64 s[10:11], 2, v8
	v_add_u32_e32 v9, 16, v9
	v_add_u32_e32 v10, 16, v10
	s_or_b64 s[16:17], s[10:11], s[16:17]
	s_waitcnt vmcnt(2) lgkmcnt(0)
	v_mul_f64 v[22:23], v[16:17], v[18:19]
	v_mul_f64 v[18:19], v[14:15], v[18:19]
	s_waitcnt vmcnt(0)
	v_fma_f64 v[14:15], v[14:15], v[20:21], -v[22:23]
	v_fmac_f64_e32 v[18:19], v[16:17], v[20:21]
	v_add_f64 v[4:5], v[4:5], v[14:15]
	v_add_f64 v[2:3], v[2:3], v[18:19]
	s_andn2_b64 exec, exec, s[16:17]
	s_cbranch_execnz .LBB62_29
; %bb.30:
	s_or_b64 exec, exec, s[16:17]
	v_mov_b32_e32 v0, 0
	ds_read_b128 v[8:11], v0 offset:64
	s_waitcnt lgkmcnt(0)
	v_mul_f64 v[14:15], v[2:3], v[10:11]
	v_mul_f64 v[10:11], v[4:5], v[10:11]
	v_fma_f64 v[4:5], v[4:5], v[8:9], -v[14:15]
	v_fmac_f64_e32 v[10:11], v[2:3], v[8:9]
	buffer_store_dword v5, off, s[0:3], 0 offset:84
	buffer_store_dword v4, off, s[0:3], 0 offset:80
	buffer_store_dword v11, off, s[0:3], 0 offset:92
	buffer_store_dword v10, off, s[0:3], 0 offset:88
.LBB62_31:
	s_or_b64 exec, exec, s[12:13]
	v_accvgpr_read_b32 v0, a183
	s_waitcnt lgkmcnt(0)
	; wave barrier
	buffer_load_dword v2, v0, s[0:3], 0 offen
	buffer_load_dword v3, v0, s[0:3], 0 offen offset:4
	buffer_load_dword v4, v0, s[0:3], 0 offen offset:8
	buffer_load_dword v5, v0, s[0:3], 0 offen offset:12
	v_cmp_gt_u32_e64 s[10:11], 5, v254
	;; [unrolled: 58-line block ×5, first 2 shown]
	s_waitcnt vmcnt(0)
	ds_write_b128 v6, v[2:5]
	s_waitcnt lgkmcnt(0)
	; wave barrier
	s_waitcnt lgkmcnt(0)
	s_and_saveexec_b64 s[16:17], s[12:13]
	s_cbranch_execz .LBB62_59
; %bb.44:
	buffer_load_dword v8, v12, s[0:3], 0 offen offset:8
	buffer_load_dword v9, v12, s[0:3], 0 offen offset:12
	buffer_load_dword v10, v12, s[0:3], 0 offen
	buffer_load_dword v11, v12, s[0:3], 0 offen offset:4
	ds_read_b128 v[2:5], v6
	v_cmp_ne_u32_e64 s[12:13], 7, v254
	s_waitcnt vmcnt(2) lgkmcnt(0)
	v_mul_f64 v[14:15], v[4:5], v[8:9]
	v_mul_f64 v[8:9], v[2:3], v[8:9]
	s_waitcnt vmcnt(0)
	v_fma_f64 v[2:3], v[2:3], v[10:11], -v[14:15]
	v_fmac_f64_e32 v[8:9], v[4:5], v[10:11]
	v_add_f64 v[4:5], v[2:3], 0
	v_add_f64 v[2:3], v[8:9], 0
	s_and_saveexec_b64 s[18:19], s[12:13]
	s_cbranch_execz .LBB62_58
; %bb.45:
	buffer_load_dword v14, v12, s[0:3], 0 offen offset:24
	buffer_load_dword v15, v12, s[0:3], 0 offen offset:28
	;; [unrolled: 1-line block ×4, first 2 shown]
	ds_read_b128 v[8:11], v6 offset:16
	s_waitcnt vmcnt(2) lgkmcnt(0)
	v_mul_f64 v[18:19], v[10:11], v[14:15]
	v_mul_f64 v[14:15], v[8:9], v[14:15]
	s_waitcnt vmcnt(0)
	v_fma_f64 v[8:9], v[8:9], v[16:17], -v[18:19]
	v_fmac_f64_e32 v[14:15], v[10:11], v[16:17]
	v_add_f64 v[4:5], v[4:5], v[8:9]
	v_add_f64 v[2:3], v[2:3], v[14:15]
	s_and_saveexec_b64 s[12:13], s[10:11]
	s_cbranch_execz .LBB62_57
; %bb.46:
	buffer_load_dword v14, v12, s[0:3], 0 offen offset:40
	buffer_load_dword v15, v12, s[0:3], 0 offen offset:44
	;; [unrolled: 1-line block ×4, first 2 shown]
	ds_read_b128 v[8:11], v6 offset:32
	v_cmp_ne_u32_e64 s[10:11], 5, v254
	s_waitcnt vmcnt(2) lgkmcnt(0)
	v_mul_f64 v[18:19], v[10:11], v[14:15]
	v_mul_f64 v[14:15], v[8:9], v[14:15]
	s_waitcnt vmcnt(0)
	v_fma_f64 v[8:9], v[8:9], v[16:17], -v[18:19]
	v_fmac_f64_e32 v[14:15], v[10:11], v[16:17]
	v_add_f64 v[4:5], v[4:5], v[8:9]
	v_add_f64 v[2:3], v[2:3], v[14:15]
	s_and_saveexec_b64 s[24:25], s[10:11]
	s_cbranch_execz .LBB62_56
; %bb.47:
	buffer_load_dword v14, v12, s[0:3], 0 offen offset:56
	buffer_load_dword v15, v12, s[0:3], 0 offen offset:60
	buffer_load_dword v16, v12, s[0:3], 0 offen offset:48
	buffer_load_dword v17, v12, s[0:3], 0 offen offset:52
	ds_read_b128 v[8:11], v6 offset:48
	s_waitcnt vmcnt(2) lgkmcnt(0)
	v_mul_f64 v[18:19], v[10:11], v[14:15]
	v_mul_f64 v[14:15], v[8:9], v[14:15]
	s_waitcnt vmcnt(0)
	v_fma_f64 v[8:9], v[8:9], v[16:17], -v[18:19]
	v_fmac_f64_e32 v[14:15], v[10:11], v[16:17]
	v_add_f64 v[4:5], v[4:5], v[8:9]
	v_add_f64 v[2:3], v[2:3], v[14:15]
	s_and_saveexec_b64 s[10:11], s[6:7]
	s_cbranch_execz .LBB62_55
; %bb.48:
	buffer_load_dword v14, v12, s[0:3], 0 offen offset:72
	buffer_load_dword v15, v12, s[0:3], 0 offen offset:76
	;; [unrolled: 1-line block ×4, first 2 shown]
	ds_read_b128 v[8:11], v6 offset:64
	v_cmp_ne_u32_e64 s[6:7], 3, v254
	s_waitcnt vmcnt(2) lgkmcnt(0)
	v_mul_f64 v[18:19], v[10:11], v[14:15]
	v_mul_f64 v[14:15], v[8:9], v[14:15]
	s_waitcnt vmcnt(0)
	v_fma_f64 v[8:9], v[8:9], v[16:17], -v[18:19]
	v_fmac_f64_e32 v[14:15], v[10:11], v[16:17]
	v_add_f64 v[4:5], v[4:5], v[8:9]
	v_add_f64 v[2:3], v[2:3], v[14:15]
	s_and_saveexec_b64 s[26:27], s[6:7]
	s_cbranch_execz .LBB62_54
; %bb.49:
	buffer_load_dword v14, v12, s[0:3], 0 offen offset:88
	buffer_load_dword v15, v12, s[0:3], 0 offen offset:92
	;; [unrolled: 1-line block ×4, first 2 shown]
	ds_read_b128 v[8:11], v6 offset:80
	s_waitcnt vmcnt(2) lgkmcnt(0)
	v_mul_f64 v[18:19], v[10:11], v[14:15]
	v_mul_f64 v[14:15], v[8:9], v[14:15]
	s_waitcnt vmcnt(0)
	v_fma_f64 v[8:9], v[8:9], v[16:17], -v[18:19]
	v_fmac_f64_e32 v[14:15], v[10:11], v[16:17]
	v_add_f64 v[4:5], v[4:5], v[8:9]
	v_add_f64 v[2:3], v[2:3], v[14:15]
	s_and_saveexec_b64 s[6:7], vcc
	s_cbranch_execz .LBB62_53
; %bb.50:
	buffer_load_dword v14, v12, s[0:3], 0 offen offset:104
	buffer_load_dword v15, v12, s[0:3], 0 offen offset:108
	;; [unrolled: 1-line block ×4, first 2 shown]
	ds_read_b128 v[8:11], v6 offset:96
	s_waitcnt vmcnt(2) lgkmcnt(0)
	v_mul_f64 v[18:19], v[10:11], v[14:15]
	v_mul_f64 v[14:15], v[8:9], v[14:15]
	s_waitcnt vmcnt(0)
	v_fma_f64 v[8:9], v[8:9], v[16:17], -v[18:19]
	v_fmac_f64_e32 v[14:15], v[10:11], v[16:17]
	v_add_f64 v[4:5], v[4:5], v[8:9]
	v_add_f64 v[2:3], v[2:3], v[14:15]
	s_and_saveexec_b64 s[28:29], s[4:5]
	s_cbranch_execz .LBB62_52
; %bb.51:
	buffer_load_dword v14, v12, s[0:3], 0 offen offset:120
	buffer_load_dword v15, v12, s[0:3], 0 offen offset:124
	;; [unrolled: 1-line block ×4, first 2 shown]
	ds_read_b128 v[8:11], v6 offset:112
	s_waitcnt vmcnt(2) lgkmcnt(0)
	v_mul_f64 v[12:13], v[10:11], v[14:15]
	v_mul_f64 v[14:15], v[8:9], v[14:15]
	s_waitcnt vmcnt(0)
	v_fma_f64 v[8:9], v[8:9], v[16:17], -v[12:13]
	v_fmac_f64_e32 v[14:15], v[10:11], v[16:17]
	v_add_f64 v[4:5], v[4:5], v[8:9]
	v_add_f64 v[2:3], v[2:3], v[14:15]
.LBB62_52:
	s_or_b64 exec, exec, s[28:29]
.LBB62_53:
	s_or_b64 exec, exec, s[6:7]
.LBB62_54:
	s_or_b64 exec, exec, s[26:27]
.LBB62_55:
	s_or_b64 exec, exec, s[10:11]
.LBB62_56:
	s_or_b64 exec, exec, s[24:25]
.LBB62_57:
	s_or_b64 exec, exec, s[12:13]
.LBB62_58:
	s_or_b64 exec, exec, s[18:19]
	v_mov_b32_e32 v0, 0
	ds_read_b128 v[8:11], v0 offset:128
	s_waitcnt lgkmcnt(0)
	v_mul_f64 v[12:13], v[2:3], v[10:11]
	v_mul_f64 v[10:11], v[4:5], v[10:11]
	v_fma_f64 v[4:5], v[4:5], v[8:9], -v[12:13]
	v_fmac_f64_e32 v[10:11], v[2:3], v[8:9]
	buffer_store_dword v5, off, s[0:3], 0 offset:148
	buffer_store_dword v4, off, s[0:3], 0 offset:144
	;; [unrolled: 1-line block ×4, first 2 shown]
.LBB62_59:
	s_or_b64 exec, exec, s[16:17]
	v_accvgpr_read_b32 v0, a179
	s_waitcnt lgkmcnt(0)
	; wave barrier
	buffer_load_dword v2, v0, s[0:3], 0 offen
	buffer_load_dword v3, v0, s[0:3], 0 offen offset:4
	buffer_load_dword v4, v0, s[0:3], 0 offen offset:8
	buffer_load_dword v5, v0, s[0:3], 0 offen offset:12
	v_cmp_gt_u32_e32 vcc, 9, v254
	s_waitcnt vmcnt(0)
	ds_write_b128 v6, v[2:5]
	s_waitcnt lgkmcnt(0)
	; wave barrier
	s_waitcnt lgkmcnt(0)
	s_and_saveexec_b64 s[4:5], vcc
	s_cbranch_execz .LBB62_63
; %bb.60:
	v_pk_mov_b32 v[2:3], 0, 0
	v_add_u32_e32 v8, -1, v254
	v_add_u32_e32 v9, 0x3f0, v1
	v_add_u32_e32 v10, 16, v1
	s_mov_b64 s[6:7], 0
	v_pk_mov_b32 v[4:5], v[2:3], v[2:3] op_sel:[0,1]
.LBB62_61:                              ; =>This Inner Loop Header: Depth=1
	buffer_load_dword v16, v10, s[0:3], 0 offen offset:8
	buffer_load_dword v17, v10, s[0:3], 0 offen offset:12
	buffer_load_dword v18, v10, s[0:3], 0 offen
	buffer_load_dword v19, v10, s[0:3], 0 offen offset:4
	ds_read_b128 v[12:15], v9
	v_add_u32_e32 v8, 1, v8
	v_cmp_lt_u32_e32 vcc, 7, v8
	v_add_u32_e32 v9, 16, v9
	v_add_u32_e32 v10, 16, v10
	s_or_b64 s[6:7], vcc, s[6:7]
	s_waitcnt vmcnt(2) lgkmcnt(0)
	v_mul_f64 v[20:21], v[14:15], v[16:17]
	v_mul_f64 v[16:17], v[12:13], v[16:17]
	s_waitcnt vmcnt(0)
	v_fma_f64 v[12:13], v[12:13], v[18:19], -v[20:21]
	v_fmac_f64_e32 v[16:17], v[14:15], v[18:19]
	v_add_f64 v[4:5], v[4:5], v[12:13]
	v_add_f64 v[2:3], v[2:3], v[16:17]
	s_andn2_b64 exec, exec, s[6:7]
	s_cbranch_execnz .LBB62_61
; %bb.62:
	s_or_b64 exec, exec, s[6:7]
	v_mov_b32_e32 v0, 0
	ds_read_b128 v[8:11], v0 offset:144
	s_waitcnt lgkmcnt(0)
	v_mul_f64 v[12:13], v[2:3], v[10:11]
	v_mul_f64 v[10:11], v[4:5], v[10:11]
	v_fma_f64 v[4:5], v[4:5], v[8:9], -v[12:13]
	v_fmac_f64_e32 v[10:11], v[2:3], v[8:9]
	buffer_store_dword v5, off, s[0:3], 0 offset:164
	buffer_store_dword v4, off, s[0:3], 0 offset:160
	buffer_store_dword v11, off, s[0:3], 0 offset:172
	buffer_store_dword v10, off, s[0:3], 0 offset:168
.LBB62_63:
	s_or_b64 exec, exec, s[4:5]
	v_accvgpr_read_b32 v0, a178
	s_waitcnt lgkmcnt(0)
	; wave barrier
	buffer_load_dword v2, v0, s[0:3], 0 offen
	buffer_load_dword v3, v0, s[0:3], 0 offen offset:4
	buffer_load_dword v4, v0, s[0:3], 0 offen offset:8
	buffer_load_dword v5, v0, s[0:3], 0 offen offset:12
	v_cmp_gt_u32_e32 vcc, 10, v254
	s_waitcnt vmcnt(0)
	ds_write_b128 v6, v[2:5]
	s_waitcnt lgkmcnt(0)
	; wave barrier
	s_waitcnt lgkmcnt(0)
	s_and_saveexec_b64 s[4:5], vcc
	s_cbranch_execz .LBB62_67
; %bb.64:
	v_pk_mov_b32 v[2:3], 0, 0
	v_add_u32_e32 v8, -1, v254
	v_add_u32_e32 v9, 0x3f0, v1
	v_add_u32_e32 v10, 16, v1
	s_mov_b64 s[6:7], 0
	v_pk_mov_b32 v[4:5], v[2:3], v[2:3] op_sel:[0,1]
.LBB62_65:                              ; =>This Inner Loop Header: Depth=1
	buffer_load_dword v16, v10, s[0:3], 0 offen offset:8
	buffer_load_dword v17, v10, s[0:3], 0 offen offset:12
	buffer_load_dword v18, v10, s[0:3], 0 offen
	buffer_load_dword v19, v10, s[0:3], 0 offen offset:4
	ds_read_b128 v[12:15], v9
	v_add_u32_e32 v8, 1, v8
	v_cmp_lt_u32_e32 vcc, 8, v8
	v_add_u32_e32 v9, 16, v9
	v_add_u32_e32 v10, 16, v10
	s_or_b64 s[6:7], vcc, s[6:7]
	s_waitcnt vmcnt(2) lgkmcnt(0)
	v_mul_f64 v[20:21], v[14:15], v[16:17]
	v_mul_f64 v[16:17], v[12:13], v[16:17]
	s_waitcnt vmcnt(0)
	v_fma_f64 v[12:13], v[12:13], v[18:19], -v[20:21]
	v_fmac_f64_e32 v[16:17], v[14:15], v[18:19]
	v_add_f64 v[4:5], v[4:5], v[12:13]
	v_add_f64 v[2:3], v[2:3], v[16:17]
	s_andn2_b64 exec, exec, s[6:7]
	s_cbranch_execnz .LBB62_65
; %bb.66:
	s_or_b64 exec, exec, s[6:7]
	v_mov_b32_e32 v0, 0
	ds_read_b128 v[8:11], v0 offset:160
	s_waitcnt lgkmcnt(0)
	v_mul_f64 v[12:13], v[2:3], v[10:11]
	v_mul_f64 v[10:11], v[4:5], v[10:11]
	v_fma_f64 v[4:5], v[4:5], v[8:9], -v[12:13]
	v_fmac_f64_e32 v[10:11], v[2:3], v[8:9]
	buffer_store_dword v5, off, s[0:3], 0 offset:180
	buffer_store_dword v4, off, s[0:3], 0 offset:176
	buffer_store_dword v11, off, s[0:3], 0 offset:188
	buffer_store_dword v10, off, s[0:3], 0 offset:184
.LBB62_67:
	;; [unrolled: 58-line block ×10, first 2 shown]
	s_or_b64 exec, exec, s[4:5]
	v_accvgpr_read_b32 v0, a169
	s_waitcnt lgkmcnt(0)
	; wave barrier
	buffer_load_dword v2, v0, s[0:3], 0 offen
	buffer_load_dword v3, v0, s[0:3], 0 offen offset:4
	buffer_load_dword v4, v0, s[0:3], 0 offen offset:8
	buffer_load_dword v5, v0, s[0:3], 0 offen offset:12
	v_cmp_gt_u32_e32 vcc, 19, v254
	s_waitcnt vmcnt(0)
	ds_write_b128 v6, v[2:5]
	s_waitcnt lgkmcnt(0)
	; wave barrier
	s_waitcnt lgkmcnt(0)
	s_and_saveexec_b64 s[4:5], vcc
	s_cbranch_execz .LBB62_103
; %bb.100:
	v_pk_mov_b32 v[2:3], 0, 0
	v_add_u32_e32 v8, -1, v254
	v_add_u32_e32 v9, 0x3f0, v1
	v_add_u32_e32 v10, 16, v1
	s_mov_b64 s[6:7], 0
	v_pk_mov_b32 v[4:5], v[2:3], v[2:3] op_sel:[0,1]
.LBB62_101:                             ; =>This Inner Loop Header: Depth=1
	buffer_load_dword v16, v10, s[0:3], 0 offen offset:8
	buffer_load_dword v17, v10, s[0:3], 0 offen offset:12
	buffer_load_dword v18, v10, s[0:3], 0 offen
	buffer_load_dword v19, v10, s[0:3], 0 offen offset:4
	ds_read_b128 v[12:15], v9
	v_add_u32_e32 v8, 1, v8
	v_cmp_lt_u32_e32 vcc, 17, v8
	v_add_u32_e32 v9, 16, v9
	v_add_u32_e32 v10, 16, v10
	s_or_b64 s[6:7], vcc, s[6:7]
	s_waitcnt vmcnt(2) lgkmcnt(0)
	v_mul_f64 v[20:21], v[14:15], v[16:17]
	v_mul_f64 v[16:17], v[12:13], v[16:17]
	s_waitcnt vmcnt(0)
	v_fma_f64 v[12:13], v[12:13], v[18:19], -v[20:21]
	v_fmac_f64_e32 v[16:17], v[14:15], v[18:19]
	v_add_f64 v[4:5], v[4:5], v[12:13]
	v_add_f64 v[2:3], v[2:3], v[16:17]
	s_andn2_b64 exec, exec, s[6:7]
	s_cbranch_execnz .LBB62_101
; %bb.102:
	s_or_b64 exec, exec, s[6:7]
	v_mov_b32_e32 v0, 0
	ds_read_b128 v[8:11], v0 offset:304
	s_waitcnt lgkmcnt(0)
	v_mul_f64 v[12:13], v[2:3], v[10:11]
	v_mul_f64 v[10:11], v[4:5], v[10:11]
	v_fma_f64 v[4:5], v[4:5], v[8:9], -v[12:13]
	v_fmac_f64_e32 v[10:11], v[2:3], v[8:9]
	buffer_store_dword v5, off, s[0:3], 0 offset:324
	buffer_store_dword v4, off, s[0:3], 0 offset:320
	buffer_store_dword v11, off, s[0:3], 0 offset:332
	buffer_store_dword v10, off, s[0:3], 0 offset:328
.LBB62_103:
	s_or_b64 exec, exec, s[4:5]
	v_accvgpr_read_b32 v0, a168
	s_waitcnt lgkmcnt(0)
	; wave barrier
	buffer_load_dword v2, v0, s[0:3], 0 offen
	buffer_load_dword v3, v0, s[0:3], 0 offen offset:4
	buffer_load_dword v4, v0, s[0:3], 0 offen offset:8
	buffer_load_dword v5, v0, s[0:3], 0 offen offset:12
	v_cmp_gt_u32_e32 vcc, 20, v254
	s_waitcnt vmcnt(0)
	ds_write_b128 v6, v[2:5]
	s_waitcnt lgkmcnt(0)
	; wave barrier
	s_waitcnt lgkmcnt(0)
	s_and_saveexec_b64 s[4:5], vcc
	s_cbranch_execz .LBB62_107
; %bb.104:
	v_pk_mov_b32 v[2:3], 0, 0
	v_add_u32_e32 v8, -1, v254
	v_add_u32_e32 v9, 0x3f0, v1
	v_add_u32_e32 v10, 16, v1
	s_mov_b64 s[6:7], 0
	v_pk_mov_b32 v[4:5], v[2:3], v[2:3] op_sel:[0,1]
.LBB62_105:                             ; =>This Inner Loop Header: Depth=1
	buffer_load_dword v16, v10, s[0:3], 0 offen offset:8
	buffer_load_dword v17, v10, s[0:3], 0 offen offset:12
	buffer_load_dword v18, v10, s[0:3], 0 offen
	buffer_load_dword v19, v10, s[0:3], 0 offen offset:4
	ds_read_b128 v[12:15], v9
	v_add_u32_e32 v8, 1, v8
	v_cmp_lt_u32_e32 vcc, 18, v8
	v_add_u32_e32 v9, 16, v9
	v_add_u32_e32 v10, 16, v10
	s_or_b64 s[6:7], vcc, s[6:7]
	s_waitcnt vmcnt(2) lgkmcnt(0)
	v_mul_f64 v[20:21], v[14:15], v[16:17]
	v_mul_f64 v[16:17], v[12:13], v[16:17]
	s_waitcnt vmcnt(0)
	v_fma_f64 v[12:13], v[12:13], v[18:19], -v[20:21]
	v_fmac_f64_e32 v[16:17], v[14:15], v[18:19]
	v_add_f64 v[4:5], v[4:5], v[12:13]
	v_add_f64 v[2:3], v[2:3], v[16:17]
	s_andn2_b64 exec, exec, s[6:7]
	s_cbranch_execnz .LBB62_105
; %bb.106:
	s_or_b64 exec, exec, s[6:7]
	v_mov_b32_e32 v0, 0
	ds_read_b128 v[8:11], v0 offset:320
	s_waitcnt lgkmcnt(0)
	v_mul_f64 v[12:13], v[2:3], v[10:11]
	v_mul_f64 v[10:11], v[4:5], v[10:11]
	v_fma_f64 v[4:5], v[4:5], v[8:9], -v[12:13]
	v_fmac_f64_e32 v[10:11], v[2:3], v[8:9]
	buffer_store_dword v5, off, s[0:3], 0 offset:340
	buffer_store_dword v4, off, s[0:3], 0 offset:336
	buffer_store_dword v11, off, s[0:3], 0 offset:348
	buffer_store_dword v10, off, s[0:3], 0 offset:344
.LBB62_107:
	;; [unrolled: 58-line block ×43, first 2 shown]
	s_or_b64 exec, exec, s[4:5]
	v_accvgpr_read_b32 v0, a126
	s_waitcnt lgkmcnt(0)
	; wave barrier
	buffer_load_dword v2, v0, s[0:3], 0 offen
	buffer_load_dword v3, v0, s[0:3], 0 offen offset:4
	buffer_load_dword v4, v0, s[0:3], 0 offen offset:8
	;; [unrolled: 1-line block ×3, first 2 shown]
	v_cmp_ne_u32_e32 vcc, 62, v254
	s_waitcnt vmcnt(0)
	ds_write_b128 v6, v[2:5]
	s_waitcnt lgkmcnt(0)
	; wave barrier
	s_waitcnt lgkmcnt(0)
	s_and_saveexec_b64 s[4:5], vcc
	s_cbranch_execz .LBB62_275
; %bb.272:
	v_pk_mov_b32 v[2:3], 0, 0
	v_add_u32_e32 v6, 0x3f0, v1
	v_add_u32_e32 v1, 16, v1
	s_mov_b64 s[6:7], 0
	v_pk_mov_b32 v[4:5], v[2:3], v[2:3] op_sel:[0,1]
.LBB62_273:                             ; =>This Inner Loop Header: Depth=1
	buffer_load_dword v12, v1, s[0:3], 0 offen offset:8
	buffer_load_dword v13, v1, s[0:3], 0 offen offset:12
	buffer_load_dword v14, v1, s[0:3], 0 offen
	buffer_load_dword v15, v1, s[0:3], 0 offen offset:4
	ds_read_b128 v[8:11], v6
	v_add_u32_e32 v7, 1, v7
	v_cmp_lt_u32_e32 vcc, 60, v7
	v_add_u32_e32 v6, 16, v6
	v_add_u32_e32 v1, 16, v1
	s_or_b64 s[6:7], vcc, s[6:7]
	s_waitcnt vmcnt(2) lgkmcnt(0)
	v_mul_f64 v[16:17], v[10:11], v[12:13]
	v_mul_f64 v[12:13], v[8:9], v[12:13]
	s_waitcnt vmcnt(0)
	v_fma_f64 v[8:9], v[8:9], v[14:15], -v[16:17]
	v_fmac_f64_e32 v[12:13], v[10:11], v[14:15]
	v_add_f64 v[4:5], v[4:5], v[8:9]
	v_add_f64 v[2:3], v[2:3], v[12:13]
	s_andn2_b64 exec, exec, s[6:7]
	s_cbranch_execnz .LBB62_273
; %bb.274:
	s_or_b64 exec, exec, s[6:7]
	v_mov_b32_e32 v0, 0
	ds_read_b128 v[6:9], v0 offset:992
	s_waitcnt lgkmcnt(0)
	v_mul_f64 v[0:1], v[2:3], v[8:9]
	v_mul_f64 v[8:9], v[4:5], v[8:9]
	v_fma_f64 v[0:1], v[4:5], v[6:7], -v[0:1]
	v_fmac_f64_e32 v[8:9], v[2:3], v[6:7]
	buffer_store_dword v1, off, s[0:3], 0 offset:1012
	buffer_store_dword v0, off, s[0:3], 0 offset:1008
	;; [unrolled: 1-line block ×4, first 2 shown]
.LBB62_275:
	s_or_b64 exec, exec, s[4:5]
	s_mov_b64 s[6:7], -1
	s_waitcnt lgkmcnt(0)
	; wave barrier
.LBB62_276:
	s_and_b64 vcc, exec, s[6:7]
	s_cbranch_vccz .LBB62_278
; %bb.277:
	s_lshl_b64 s[4:5], s[8:9], 2
	s_add_u32 s4, s14, s4
	s_addc_u32 s5, s15, s5
	v_mov_b32_e32 v0, 0
	global_load_dword v0, v0, s[4:5]
	s_waitcnt vmcnt(0)
	v_cmp_ne_u32_e32 vcc, 0, v0
	s_cbranch_vccz .LBB62_279
.LBB62_278:
	s_endpgm
.LBB62_279:
	v_mov_b32_e32 v0, 0x3f0
	v_lshl_add_u32 v0, v254, 4, v0
	v_accvgpr_write_b32 a189, v0
	v_cmp_eq_u32_e32 vcc, 62, v254
	s_and_saveexec_b64 s[4:5], vcc
	s_cbranch_execz .LBB62_281
; %bb.280:
	v_accvgpr_read_b32 v0, a127
	buffer_load_dword v2, v0, s[0:3], 0 offen
	buffer_load_dword v3, v0, s[0:3], 0 offen offset:4
	buffer_load_dword v4, v0, s[0:3], 0 offen offset:8
	;; [unrolled: 1-line block ×3, first 2 shown]
	v_mov_b32_e32 v0, 0
	v_accvgpr_read_b32 v1, a189
	buffer_store_dword v0, off, s[0:3], 0 offset:992
	buffer_store_dword v0, off, s[0:3], 0 offset:996
	buffer_store_dword v0, off, s[0:3], 0 offset:1000
	buffer_store_dword v0, off, s[0:3], 0 offset:1004
	s_waitcnt vmcnt(4)
	ds_write_b128 v1, v[2:5]
.LBB62_281:
	s_or_b64 exec, exec, s[4:5]
	s_waitcnt lgkmcnt(0)
	; wave barrier
	s_waitcnt lgkmcnt(0)
	buffer_load_dword v6, off, s[0:3], 0 offset:1016
	buffer_load_dword v7, off, s[0:3], 0 offset:1020
	;; [unrolled: 1-line block ×8, first 2 shown]
	v_mov_b32_e32 v1, 0
	ds_read_b128 v[2:5], v1 offset:2000
	v_cmp_lt_u32_e32 vcc, 60, v254
	s_waitcnt vmcnt(6) lgkmcnt(0)
	v_mul_f64 v[14:15], v[2:3], v[6:7]
	v_mul_f64 v[6:7], v[4:5], v[6:7]
	s_waitcnt vmcnt(4)
	v_fma_f64 v[2:3], v[2:3], v[8:9], -v[6:7]
	v_fmac_f64_e32 v[14:15], v[4:5], v[8:9]
	v_add_f64 v[2:3], v[2:3], 0
	v_add_f64 v[4:5], v[14:15], 0
	s_waitcnt vmcnt(2)
	v_add_f64 v[2:3], v[10:11], -v[2:3]
	s_waitcnt vmcnt(0)
	v_add_f64 v[4:5], v[12:13], -v[4:5]
	buffer_store_dword v2, off, s[0:3], 0 offset:992
	buffer_store_dword v3, off, s[0:3], 0 offset:996
	;; [unrolled: 1-line block ×4, first 2 shown]
	s_and_saveexec_b64 s[4:5], vcc
	s_cbranch_execz .LBB62_283
; %bb.282:
	v_accvgpr_read_b32 v0, a128
	buffer_load_dword v2, v0, s[0:3], 0 offen
	buffer_load_dword v3, v0, s[0:3], 0 offen offset:4
	buffer_load_dword v4, v0, s[0:3], 0 offen offset:8
	;; [unrolled: 1-line block ×3, first 2 shown]
	v_accvgpr_read_b32 v0, a189
	buffer_store_dword v1, off, s[0:3], 0 offset:976
	buffer_store_dword v1, off, s[0:3], 0 offset:980
	;; [unrolled: 1-line block ×4, first 2 shown]
	s_waitcnt vmcnt(4)
	ds_write_b128 v0, v[2:5]
.LBB62_283:
	s_or_b64 exec, exec, s[4:5]
	s_waitcnt lgkmcnt(0)
	; wave barrier
	s_waitcnt lgkmcnt(0)
	buffer_load_dword v10, off, s[0:3], 0 offset:1000
	buffer_load_dword v11, off, s[0:3], 0 offset:1004
	buffer_load_dword v12, off, s[0:3], 0 offset:1016
	buffer_load_dword v13, off, s[0:3], 0 offset:1020
	buffer_load_dword v14, off, s[0:3], 0 offset:992
	buffer_load_dword v15, off, s[0:3], 0 offset:996
	buffer_load_dword v16, off, s[0:3], 0 offset:1008
	buffer_load_dword v17, off, s[0:3], 0 offset:1012
	buffer_load_dword v18, off, s[0:3], 0 offset:976
	buffer_load_dword v19, off, s[0:3], 0 offset:980
	buffer_load_dword v20, off, s[0:3], 0 offset:984
	buffer_load_dword v21, off, s[0:3], 0 offset:988
	ds_read_b128 v[2:5], v1 offset:1984
	ds_read_b128 v[6:9], v1 offset:2000
	v_cmp_lt_u32_e32 vcc, 59, v254
	s_waitcnt vmcnt(10) lgkmcnt(1)
	v_mul_f64 v[0:1], v[2:3], v[10:11]
	v_mul_f64 v[10:11], v[4:5], v[10:11]
	s_waitcnt vmcnt(8) lgkmcnt(0)
	v_mul_f64 v[22:23], v[6:7], v[12:13]
	v_mul_f64 v[12:13], v[8:9], v[12:13]
	s_waitcnt vmcnt(6)
	v_fma_f64 v[2:3], v[2:3], v[14:15], -v[10:11]
	v_fmac_f64_e32 v[0:1], v[4:5], v[14:15]
	s_waitcnt vmcnt(4)
	v_fma_f64 v[4:5], v[6:7], v[16:17], -v[12:13]
	v_add_f64 v[2:3], v[2:3], 0
	v_fmac_f64_e32 v[22:23], v[8:9], v[16:17]
	v_add_f64 v[0:1], v[0:1], 0
	v_add_f64 v[2:3], v[2:3], v[4:5]
	;; [unrolled: 1-line block ×3, first 2 shown]
	s_waitcnt vmcnt(2)
	v_add_f64 v[2:3], v[18:19], -v[2:3]
	s_waitcnt vmcnt(0)
	v_add_f64 v[0:1], v[20:21], -v[0:1]
	buffer_store_dword v2, off, s[0:3], 0 offset:976
	buffer_store_dword v3, off, s[0:3], 0 offset:980
	buffer_store_dword v0, off, s[0:3], 0 offset:984
	buffer_store_dword v1, off, s[0:3], 0 offset:988
	s_and_saveexec_b64 s[4:5], vcc
	s_cbranch_execz .LBB62_285
; %bb.284:
	v_accvgpr_read_b32 v0, a129
	buffer_load_dword v2, v0, s[0:3], 0 offen
	buffer_load_dword v3, v0, s[0:3], 0 offen offset:4
	buffer_load_dword v4, v0, s[0:3], 0 offen offset:8
	;; [unrolled: 1-line block ×3, first 2 shown]
	v_mov_b32_e32 v0, 0
	v_accvgpr_read_b32 v1, a189
	buffer_store_dword v0, off, s[0:3], 0 offset:960
	buffer_store_dword v0, off, s[0:3], 0 offset:964
	;; [unrolled: 1-line block ×4, first 2 shown]
	s_waitcnt vmcnt(4)
	ds_write_b128 v1, v[2:5]
.LBB62_285:
	s_or_b64 exec, exec, s[4:5]
	s_waitcnt lgkmcnt(0)
	; wave barrier
	s_waitcnt lgkmcnt(0)
	buffer_load_dword v14, off, s[0:3], 0 offset:984
	buffer_load_dword v15, off, s[0:3], 0 offset:988
	;; [unrolled: 1-line block ×16, first 2 shown]
	v_mov_b32_e32 v1, 0
	ds_read_b128 v[2:5], v1 offset:1968
	ds_read_b128 v[6:9], v1 offset:1984
	;; [unrolled: 1-line block ×3, first 2 shown]
	v_cmp_lt_u32_e32 vcc, 58, v254
	s_waitcnt vmcnt(14) lgkmcnt(2)
	v_mul_f64 v[30:31], v[2:3], v[14:15]
	v_mul_f64 v[14:15], v[4:5], v[14:15]
	s_waitcnt vmcnt(12) lgkmcnt(1)
	v_mul_f64 v[32:33], v[6:7], v[16:17]
	v_mul_f64 v[16:17], v[8:9], v[16:17]
	;; [unrolled: 3-line block ×3, first 2 shown]
	s_waitcnt vmcnt(8)
	v_fma_f64 v[2:3], v[2:3], v[20:21], -v[14:15]
	v_fmac_f64_e32 v[30:31], v[4:5], v[20:21]
	s_waitcnt vmcnt(6)
	v_fma_f64 v[4:5], v[6:7], v[22:23], -v[16:17]
	v_add_f64 v[2:3], v[2:3], 0
	v_fmac_f64_e32 v[32:33], v[8:9], v[22:23]
	s_waitcnt vmcnt(4)
	v_fma_f64 v[6:7], v[10:11], v[24:25], -v[18:19]
	v_add_f64 v[8:9], v[30:31], 0
	v_add_f64 v[2:3], v[2:3], v[4:5]
	v_fmac_f64_e32 v[34:35], v[12:13], v[24:25]
	v_add_f64 v[8:9], v[8:9], v[32:33]
	v_add_f64 v[2:3], v[2:3], v[6:7]
	;; [unrolled: 1-line block ×3, first 2 shown]
	s_waitcnt vmcnt(2)
	v_add_f64 v[2:3], v[26:27], -v[2:3]
	s_waitcnt vmcnt(0)
	v_add_f64 v[4:5], v[28:29], -v[4:5]
	buffer_store_dword v2, off, s[0:3], 0 offset:960
	buffer_store_dword v3, off, s[0:3], 0 offset:964
	;; [unrolled: 1-line block ×4, first 2 shown]
	s_and_saveexec_b64 s[4:5], vcc
	s_cbranch_execz .LBB62_287
; %bb.286:
	v_accvgpr_read_b32 v0, a130
	buffer_load_dword v2, v0, s[0:3], 0 offen
	buffer_load_dword v3, v0, s[0:3], 0 offen offset:4
	buffer_load_dword v4, v0, s[0:3], 0 offen offset:8
	;; [unrolled: 1-line block ×3, first 2 shown]
	v_accvgpr_read_b32 v0, a189
	buffer_store_dword v1, off, s[0:3], 0 offset:944
	buffer_store_dword v1, off, s[0:3], 0 offset:948
	;; [unrolled: 1-line block ×4, first 2 shown]
	s_waitcnt vmcnt(4)
	ds_write_b128 v0, v[2:5]
.LBB62_287:
	s_or_b64 exec, exec, s[4:5]
	s_waitcnt lgkmcnt(0)
	; wave barrier
	s_waitcnt lgkmcnt(0)
	buffer_load_dword v18, off, s[0:3], 0 offset:968
	buffer_load_dword v19, off, s[0:3], 0 offset:972
	;; [unrolled: 1-line block ×20, first 2 shown]
	ds_read_b128 v[2:5], v1 offset:1952
	ds_read_b128 v[6:9], v1 offset:1968
	;; [unrolled: 1-line block ×4, first 2 shown]
	v_cmp_lt_u32_e32 vcc, 57, v254
	s_waitcnt vmcnt(18) lgkmcnt(3)
	v_mul_f64 v[0:1], v[2:3], v[18:19]
	v_mul_f64 v[18:19], v[4:5], v[18:19]
	s_waitcnt vmcnt(16) lgkmcnt(2)
	v_mul_f64 v[38:39], v[6:7], v[20:21]
	v_mul_f64 v[20:21], v[8:9], v[20:21]
	;; [unrolled: 3-line block ×4, first 2 shown]
	s_waitcnt vmcnt(10)
	v_fma_f64 v[2:3], v[2:3], v[26:27], -v[18:19]
	v_fmac_f64_e32 v[0:1], v[4:5], v[26:27]
	s_waitcnt vmcnt(8)
	v_fma_f64 v[4:5], v[6:7], v[28:29], -v[20:21]
	v_add_f64 v[2:3], v[2:3], 0
	v_fmac_f64_e32 v[38:39], v[8:9], v[28:29]
	s_waitcnt vmcnt(6)
	v_fma_f64 v[6:7], v[10:11], v[30:31], -v[22:23]
	v_add_f64 v[0:1], v[0:1], 0
	v_add_f64 v[2:3], v[2:3], v[4:5]
	v_fmac_f64_e32 v[40:41], v[12:13], v[30:31]
	s_waitcnt vmcnt(4)
	v_fma_f64 v[8:9], v[14:15], v[32:33], -v[24:25]
	v_add_f64 v[0:1], v[0:1], v[38:39]
	v_add_f64 v[2:3], v[2:3], v[6:7]
	v_fmac_f64_e32 v[42:43], v[16:17], v[32:33]
	v_add_f64 v[0:1], v[0:1], v[40:41]
	v_add_f64 v[2:3], v[2:3], v[8:9]
	;; [unrolled: 1-line block ×3, first 2 shown]
	s_waitcnt vmcnt(2)
	v_add_f64 v[2:3], v[34:35], -v[2:3]
	s_waitcnt vmcnt(0)
	v_add_f64 v[0:1], v[36:37], -v[0:1]
	buffer_store_dword v2, off, s[0:3], 0 offset:944
	buffer_store_dword v3, off, s[0:3], 0 offset:948
	;; [unrolled: 1-line block ×4, first 2 shown]
	s_and_saveexec_b64 s[4:5], vcc
	s_cbranch_execz .LBB62_289
; %bb.288:
	v_accvgpr_read_b32 v0, a131
	buffer_load_dword v2, v0, s[0:3], 0 offen
	buffer_load_dword v3, v0, s[0:3], 0 offen offset:4
	buffer_load_dword v4, v0, s[0:3], 0 offen offset:8
	;; [unrolled: 1-line block ×3, first 2 shown]
	v_mov_b32_e32 v0, 0
	v_accvgpr_read_b32 v1, a189
	buffer_store_dword v0, off, s[0:3], 0 offset:928
	buffer_store_dword v0, off, s[0:3], 0 offset:932
	;; [unrolled: 1-line block ×4, first 2 shown]
	s_waitcnt vmcnt(4)
	ds_write_b128 v1, v[2:5]
.LBB62_289:
	s_or_b64 exec, exec, s[4:5]
	s_waitcnt lgkmcnt(0)
	; wave barrier
	s_waitcnt lgkmcnt(0)
	buffer_load_dword v22, off, s[0:3], 0 offset:952
	buffer_load_dword v23, off, s[0:3], 0 offset:956
	;; [unrolled: 1-line block ×24, first 2 shown]
	v_mov_b32_e32 v1, 0
	ds_read_b128 v[2:5], v1 offset:1936
	ds_read_b128 v[6:9], v1 offset:1952
	;; [unrolled: 1-line block ×5, first 2 shown]
	v_cmp_lt_u32_e32 vcc, 56, v254
	s_waitcnt vmcnt(22) lgkmcnt(4)
	v_mul_f64 v[46:47], v[2:3], v[22:23]
	v_mul_f64 v[22:23], v[4:5], v[22:23]
	s_waitcnt vmcnt(20) lgkmcnt(3)
	v_mul_f64 v[48:49], v[6:7], v[24:25]
	v_mul_f64 v[24:25], v[8:9], v[24:25]
	;; [unrolled: 3-line block ×4, first 2 shown]
	s_waitcnt vmcnt(13) lgkmcnt(0)
	v_mul_f64 v[54:55], v[18:19], v[28:29]
	s_waitcnt vmcnt(11)
	v_fma_f64 v[2:3], v[2:3], v[34:35], -v[22:23]
	v_fmac_f64_e32 v[46:47], v[4:5], v[34:35]
	s_waitcnt vmcnt(9)
	v_fma_f64 v[4:5], v[6:7], v[36:37], -v[24:25]
	v_add_f64 v[2:3], v[2:3], 0
	v_fmac_f64_e32 v[48:49], v[8:9], v[36:37]
	s_waitcnt vmcnt(7)
	v_fmac_f64_e32 v[50:51], v[12:13], v[38:39]
	v_fma_f64 v[6:7], v[10:11], v[38:39], -v[26:27]
	v_add_f64 v[12:13], v[46:47], 0
	v_add_f64 v[2:3], v[2:3], v[4:5]
	v_mul_f64 v[28:29], v[20:21], v[28:29]
	s_waitcnt vmcnt(5)
	v_fma_f64 v[8:9], v[14:15], v[40:41], -v[32:33]
	v_add_f64 v[12:13], v[12:13], v[48:49]
	v_add_f64 v[2:3], v[2:3], v[6:7]
	v_fmac_f64_e32 v[52:53], v[16:17], v[40:41]
	s_waitcnt vmcnt(4)
	v_fma_f64 v[10:11], v[18:19], v[30:31], -v[28:29]
	v_add_f64 v[4:5], v[12:13], v[50:51]
	v_add_f64 v[2:3], v[2:3], v[8:9]
	v_fmac_f64_e32 v[54:55], v[20:21], v[30:31]
	v_add_f64 v[4:5], v[4:5], v[52:53]
	v_add_f64 v[2:3], v[2:3], v[10:11]
	;; [unrolled: 1-line block ×3, first 2 shown]
	s_waitcnt vmcnt(2)
	v_add_f64 v[2:3], v[42:43], -v[2:3]
	s_waitcnt vmcnt(0)
	v_add_f64 v[4:5], v[44:45], -v[4:5]
	buffer_store_dword v3, off, s[0:3], 0 offset:932
	buffer_store_dword v2, off, s[0:3], 0 offset:928
	;; [unrolled: 1-line block ×4, first 2 shown]
	s_and_saveexec_b64 s[4:5], vcc
	s_cbranch_execz .LBB62_291
; %bb.290:
	v_accvgpr_read_b32 v0, a132
	buffer_load_dword v2, v0, s[0:3], 0 offen
	buffer_load_dword v3, v0, s[0:3], 0 offen offset:4
	buffer_load_dword v4, v0, s[0:3], 0 offen offset:8
	;; [unrolled: 1-line block ×3, first 2 shown]
	v_accvgpr_read_b32 v0, a189
	buffer_store_dword v1, off, s[0:3], 0 offset:912
	buffer_store_dword v1, off, s[0:3], 0 offset:916
	;; [unrolled: 1-line block ×4, first 2 shown]
	s_waitcnt vmcnt(4)
	ds_write_b128 v0, v[2:5]
.LBB62_291:
	s_or_b64 exec, exec, s[4:5]
	s_waitcnt lgkmcnt(0)
	; wave barrier
	s_waitcnt lgkmcnt(0)
	buffer_load_dword v26, off, s[0:3], 0 offset:936
	buffer_load_dword v27, off, s[0:3], 0 offset:940
	;; [unrolled: 1-line block ×28, first 2 shown]
	ds_read_b128 v[2:5], v1 offset:1920
	ds_read_b128 v[6:9], v1 offset:1936
	ds_read_b128 v[10:13], v1 offset:1952
	ds_read_b128 v[14:17], v1 offset:1968
	ds_read_b128 v[18:21], v1 offset:1984
	ds_read_b128 v[22:25], v1 offset:2000
	v_cmp_lt_u32_e32 vcc, 55, v254
	s_waitcnt vmcnt(26) lgkmcnt(5)
	v_mul_f64 v[0:1], v[2:3], v[26:27]
	v_mul_f64 v[26:27], v[4:5], v[26:27]
	s_waitcnt vmcnt(24) lgkmcnt(4)
	v_mul_f64 v[54:55], v[6:7], v[28:29]
	v_mul_f64 v[28:29], v[8:9], v[28:29]
	;; [unrolled: 3-line block ×4, first 2 shown]
	s_waitcnt vmcnt(17)
	v_mul_f64 v[58:59], v[14:15], v[36:37]
	v_mul_f64 v[36:37], v[16:17], v[36:37]
	s_waitcnt vmcnt(15) lgkmcnt(0)
	v_mul_f64 v[62:63], v[22:23], v[38:39]
	v_mul_f64 v[38:39], v[24:25], v[38:39]
	s_waitcnt vmcnt(14)
	v_fmac_f64_e32 v[60:61], v[20:21], v[34:35]
	s_waitcnt vmcnt(12)
	v_fma_f64 v[2:3], v[2:3], v[40:41], -v[26:27]
	v_fmac_f64_e32 v[0:1], v[4:5], v[40:41]
	s_waitcnt vmcnt(10)
	v_fma_f64 v[4:5], v[6:7], v[42:43], -v[28:29]
	v_add_f64 v[2:3], v[2:3], 0
	v_fmac_f64_e32 v[54:55], v[8:9], v[42:43]
	s_waitcnt vmcnt(8)
	v_fma_f64 v[6:7], v[10:11], v[44:45], -v[30:31]
	v_add_f64 v[0:1], v[0:1], 0
	v_add_f64 v[2:3], v[2:3], v[4:5]
	v_fmac_f64_e32 v[56:57], v[12:13], v[44:45]
	s_waitcnt vmcnt(6)
	v_fma_f64 v[8:9], v[14:15], v[46:47], -v[36:37]
	v_add_f64 v[0:1], v[0:1], v[54:55]
	v_add_f64 v[2:3], v[2:3], v[6:7]
	v_fmac_f64_e32 v[58:59], v[16:17], v[46:47]
	v_fma_f64 v[10:11], v[18:19], v[34:35], -v[32:33]
	v_add_f64 v[0:1], v[0:1], v[56:57]
	v_add_f64 v[2:3], v[2:3], v[8:9]
	s_waitcnt vmcnt(4)
	v_fma_f64 v[12:13], v[22:23], v[48:49], -v[38:39]
	v_add_f64 v[0:1], v[0:1], v[58:59]
	v_add_f64 v[2:3], v[2:3], v[10:11]
	v_fmac_f64_e32 v[62:63], v[24:25], v[48:49]
	v_add_f64 v[0:1], v[0:1], v[60:61]
	v_add_f64 v[2:3], v[2:3], v[12:13]
	v_add_f64 v[0:1], v[0:1], v[62:63]
	s_waitcnt vmcnt(2)
	v_add_f64 v[2:3], v[50:51], -v[2:3]
	s_waitcnt vmcnt(0)
	v_add_f64 v[0:1], v[52:53], -v[0:1]
	buffer_store_dword v3, off, s[0:3], 0 offset:916
	buffer_store_dword v2, off, s[0:3], 0 offset:912
	;; [unrolled: 1-line block ×4, first 2 shown]
	s_and_saveexec_b64 s[4:5], vcc
	s_cbranch_execz .LBB62_293
; %bb.292:
	v_accvgpr_read_b32 v0, a133
	buffer_load_dword v2, v0, s[0:3], 0 offen
	buffer_load_dword v3, v0, s[0:3], 0 offen offset:4
	buffer_load_dword v4, v0, s[0:3], 0 offen offset:8
	;; [unrolled: 1-line block ×3, first 2 shown]
	v_mov_b32_e32 v0, 0
	v_accvgpr_read_b32 v1, a189
	buffer_store_dword v0, off, s[0:3], 0 offset:896
	buffer_store_dword v0, off, s[0:3], 0 offset:900
	;; [unrolled: 1-line block ×4, first 2 shown]
	s_waitcnt vmcnt(4)
	ds_write_b128 v1, v[2:5]
.LBB62_293:
	s_or_b64 exec, exec, s[4:5]
	v_mov_b32_e32 v1, 0
	s_waitcnt lgkmcnt(0)
	; wave barrier
	s_waitcnt lgkmcnt(0)
	ds_read_b128 v[14:17], v1 offset:1904
	ds_read_b128 v[10:13], v1 offset:1920
	;; [unrolled: 1-line block ×4, first 2 shown]
	buffer_load_dword v28, off, s[0:3], 0 offset:896
	buffer_load_dword v29, off, s[0:3], 0 offset:900
	;; [unrolled: 1-line block ×20, first 2 shown]
	v_cmp_lt_u32_e32 vcc, 54, v254
	s_waitcnt vmcnt(12) lgkmcnt(3)
	v_mul_f64 v[18:19], v[14:15], v[36:37]
	v_fmac_f64_e32 v[18:19], v[16:17], v[30:31]
	v_add_f64 v[18:19], v[18:19], 0
	v_mul_f64 v[16:17], v[16:17], v[36:37]
	s_waitcnt vmcnt(8) lgkmcnt(2)
	v_mul_f64 v[20:21], v[10:11], v[38:39]
	v_fmac_f64_e32 v[20:21], v[12:13], v[32:33]
	v_add_f64 v[18:19], v[18:19], v[20:21]
	v_fma_f64 v[14:15], v[14:15], v[30:31], -v[16:17]
	s_waitcnt vmcnt(4) lgkmcnt(1)
	v_mul_f64 v[20:21], v[6:7], v[42:43]
	v_fmac_f64_e32 v[20:21], v[8:9], v[34:35]
	v_add_f64 v[18:19], v[18:19], v[20:21]
	s_waitcnt vmcnt(0) lgkmcnt(0)
	v_mul_f64 v[20:21], v[2:3], v[46:47]
	v_fmac_f64_e32 v[20:21], v[4:5], v[44:45]
	v_add_f64 v[22:23], v[18:19], v[20:21]
	ds_read_b128 v[18:21], v1 offset:1968
	buffer_load_dword v41, off, s[0:3], 0 offset:980
	buffer_load_dword v40, off, s[0:3], 0 offset:976
	;; [unrolled: 1-line block ×4, first 2 shown]
	ds_read_b128 v[50:53], v1 offset:1984
	buffer_load_dword v57, off, s[0:3], 0 offset:996
	buffer_load_dword v56, off, s[0:3], 0 offset:992
	;; [unrolled: 1-line block ×4, first 2 shown]
	v_mul_f64 v[12:13], v[12:13], v[38:39]
	v_add_f64 v[14:15], v[14:15], 0
	v_fma_f64 v[10:11], v[10:11], v[32:33], -v[12:13]
	v_mul_f64 v[8:9], v[8:9], v[42:43]
	v_add_f64 v[10:11], v[14:15], v[10:11]
	v_fma_f64 v[6:7], v[6:7], v[34:35], -v[8:9]
	;; [unrolled: 3-line block ×3, first 2 shown]
	v_add_f64 v[2:3], v[6:7], v[2:3]
	s_waitcnt vmcnt(4) lgkmcnt(1)
	v_mul_f64 v[24:25], v[18:19], v[54:55]
	v_fmac_f64_e32 v[24:25], v[20:21], v[40:41]
	v_add_f64 v[22:23], v[22:23], v[24:25]
	s_waitcnt vmcnt(0) lgkmcnt(0)
	v_mul_f64 v[24:25], v[50:51], v[58:59]
	v_fmac_f64_e32 v[24:25], v[52:53], v[56:57]
	v_add_f64 v[60:61], v[22:23], v[24:25]
	ds_read_b128 v[22:25], v1 offset:2000
	buffer_load_dword v49, off, s[0:3], 0 offset:1012
	buffer_load_dword v48, off, s[0:3], 0 offset:1008
	;; [unrolled: 1-line block ×4, first 2 shown]
	v_mul_f64 v[4:5], v[20:21], v[54:55]
	v_fma_f64 v[4:5], v[18:19], v[40:41], -v[4:5]
	v_add_f64 v[2:3], v[2:3], v[4:5]
	v_mul_f64 v[4:5], v[52:53], v[58:59]
	v_fma_f64 v[4:5], v[50:51], v[56:57], -v[4:5]
	v_add_f64 v[2:3], v[2:3], v[4:5]
	s_waitcnt vmcnt(0) lgkmcnt(0)
	v_mul_f64 v[4:5], v[24:25], v[62:63]
	v_mul_f64 v[64:65], v[22:23], v[62:63]
	v_fma_f64 v[4:5], v[22:23], v[48:49], -v[4:5]
	v_fmac_f64_e32 v[64:65], v[24:25], v[48:49]
	v_add_f64 v[2:3], v[2:3], v[4:5]
	v_add_f64 v[60:61], v[60:61], v[64:65]
	v_add_f64 v[2:3], v[28:29], -v[2:3]
	v_add_f64 v[4:5], v[26:27], -v[60:61]
	buffer_store_dword v3, off, s[0:3], 0 offset:900
	buffer_store_dword v2, off, s[0:3], 0 offset:896
	;; [unrolled: 1-line block ×4, first 2 shown]
	s_and_saveexec_b64 s[4:5], vcc
	s_cbranch_execz .LBB62_295
; %bb.294:
	v_accvgpr_read_b32 v0, a134
	buffer_load_dword v2, v0, s[0:3], 0 offen
	buffer_load_dword v3, v0, s[0:3], 0 offen offset:4
	buffer_load_dword v4, v0, s[0:3], 0 offen offset:8
	;; [unrolled: 1-line block ×3, first 2 shown]
	v_accvgpr_read_b32 v0, a189
	buffer_store_dword v1, off, s[0:3], 0 offset:880
	buffer_store_dword v1, off, s[0:3], 0 offset:884
	;; [unrolled: 1-line block ×4, first 2 shown]
	s_waitcnt vmcnt(4)
	ds_write_b128 v0, v[2:5]
.LBB62_295:
	s_or_b64 exec, exec, s[4:5]
	s_waitcnt lgkmcnt(0)
	; wave barrier
	s_waitcnt lgkmcnt(0)
	ds_read_b128 v[14:17], v1 offset:1888
	ds_read_b128 v[10:13], v1 offset:1904
	;; [unrolled: 1-line block ×4, first 2 shown]
	buffer_load_dword v36, off, s[0:3], 0 offset:880
	buffer_load_dword v37, off, s[0:3], 0 offset:884
	;; [unrolled: 1-line block ×20, first 2 shown]
	v_cmp_lt_u32_e32 vcc, 53, v254
	s_waitcnt vmcnt(12) lgkmcnt(3)
	v_mul_f64 v[18:19], v[14:15], v[44:45]
	v_fmac_f64_e32 v[18:19], v[16:17], v[38:39]
	v_add_f64 v[18:19], v[18:19], 0
	v_mul_f64 v[16:17], v[16:17], v[44:45]
	s_waitcnt vmcnt(8) lgkmcnt(2)
	v_mul_f64 v[20:21], v[10:11], v[46:47]
	v_fmac_f64_e32 v[20:21], v[12:13], v[40:41]
	v_add_f64 v[18:19], v[18:19], v[20:21]
	v_fma_f64 v[14:15], v[14:15], v[38:39], -v[16:17]
	s_waitcnt vmcnt(4) lgkmcnt(1)
	v_mul_f64 v[20:21], v[6:7], v[50:51]
	v_fmac_f64_e32 v[20:21], v[8:9], v[42:43]
	v_add_f64 v[18:19], v[18:19], v[20:21]
	s_waitcnt vmcnt(0) lgkmcnt(0)
	v_mul_f64 v[20:21], v[2:3], v[54:55]
	v_fmac_f64_e32 v[20:21], v[4:5], v[52:53]
	v_add_f64 v[22:23], v[18:19], v[20:21]
	ds_read_b128 v[18:21], v1 offset:1952
	buffer_load_dword v49, off, s[0:3], 0 offset:964
	buffer_load_dword v48, off, s[0:3], 0 offset:960
	;; [unrolled: 1-line block ×4, first 2 shown]
	ds_read_b128 v[30:33], v1 offset:1968
	buffer_load_dword v61, off, s[0:3], 0 offset:980
	buffer_load_dword v60, off, s[0:3], 0 offset:976
	;; [unrolled: 1-line block ×4, first 2 shown]
	v_mul_f64 v[12:13], v[12:13], v[46:47]
	v_add_f64 v[14:15], v[14:15], 0
	v_fma_f64 v[10:11], v[10:11], v[40:41], -v[12:13]
	v_mul_f64 v[8:9], v[8:9], v[50:51]
	v_add_f64 v[10:11], v[14:15], v[10:11]
	v_fma_f64 v[6:7], v[6:7], v[42:43], -v[8:9]
	;; [unrolled: 3-line block ×3, first 2 shown]
	v_add_f64 v[2:3], v[6:7], v[2:3]
	s_waitcnt vmcnt(4) lgkmcnt(1)
	v_mul_f64 v[24:25], v[18:19], v[64:65]
	v_fmac_f64_e32 v[24:25], v[20:21], v[48:49]
	v_add_f64 v[22:23], v[22:23], v[24:25]
	s_waitcnt vmcnt(0) lgkmcnt(0)
	v_mul_f64 v[24:25], v[30:31], v[62:63]
	v_fmac_f64_e32 v[24:25], v[32:33], v[60:61]
	v_add_f64 v[26:27], v[22:23], v[24:25]
	ds_read_b128 v[22:25], v1 offset:1984
	buffer_load_dword v57, off, s[0:3], 0 offset:996
	buffer_load_dword v56, off, s[0:3], 0 offset:992
	;; [unrolled: 1-line block ×4, first 2 shown]
	v_mul_f64 v[4:5], v[20:21], v[64:65]
	v_fma_f64 v[4:5], v[18:19], v[48:49], -v[4:5]
	v_add_f64 v[2:3], v[2:3], v[4:5]
	v_mul_f64 v[4:5], v[32:33], v[62:63]
	v_fma_f64 v[4:5], v[30:31], v[60:61], -v[4:5]
	v_add_f64 v[2:3], v[2:3], v[4:5]
	s_waitcnt vmcnt(0) lgkmcnt(0)
	v_mul_f64 v[28:29], v[22:23], v[66:67]
	v_fmac_f64_e32 v[28:29], v[24:25], v[56:57]
	v_add_f64 v[68:69], v[26:27], v[28:29]
	ds_read_b128 v[26:29], v1 offset:2000
	buffer_load_dword v59, off, s[0:3], 0 offset:1012
	buffer_load_dword v58, off, s[0:3], 0 offset:1008
	;; [unrolled: 1-line block ×4, first 2 shown]
	v_mul_f64 v[4:5], v[24:25], v[66:67]
	v_fma_f64 v[4:5], v[22:23], v[56:57], -v[4:5]
	v_add_f64 v[2:3], v[2:3], v[4:5]
	s_waitcnt vmcnt(0) lgkmcnt(0)
	v_mul_f64 v[70:71], v[26:27], v[0:1]
	v_mul_f64 v[0:1], v[28:29], v[0:1]
	v_fma_f64 v[0:1], v[26:27], v[58:59], -v[0:1]
	v_fmac_f64_e32 v[70:71], v[28:29], v[58:59]
	v_add_f64 v[0:1], v[2:3], v[0:1]
	v_add_f64 v[68:69], v[68:69], v[70:71]
	v_add_f64 v[0:1], v[36:37], -v[0:1]
	v_add_f64 v[2:3], v[34:35], -v[68:69]
	buffer_store_dword v1, off, s[0:3], 0 offset:884
	buffer_store_dword v0, off, s[0:3], 0 offset:880
	buffer_store_dword v3, off, s[0:3], 0 offset:892
	buffer_store_dword v2, off, s[0:3], 0 offset:888
	s_and_saveexec_b64 s[4:5], vcc
	s_cbranch_execz .LBB62_297
; %bb.296:
	v_accvgpr_read_b32 v0, a135
	buffer_load_dword v2, v0, s[0:3], 0 offen
	buffer_load_dword v3, v0, s[0:3], 0 offen offset:4
	buffer_load_dword v4, v0, s[0:3], 0 offen offset:8
	;; [unrolled: 1-line block ×3, first 2 shown]
	v_mov_b32_e32 v0, 0
	v_accvgpr_read_b32 v1, a189
	buffer_store_dword v0, off, s[0:3], 0 offset:864
	buffer_store_dword v0, off, s[0:3], 0 offset:868
	;; [unrolled: 1-line block ×4, first 2 shown]
	s_waitcnt vmcnt(4)
	ds_write_b128 v1, v[2:5]
.LBB62_297:
	s_or_b64 exec, exec, s[4:5]
	v_mov_b32_e32 v1, 0
	s_waitcnt lgkmcnt(0)
	; wave barrier
	s_waitcnt lgkmcnt(0)
	ds_read_b128 v[18:21], v1 offset:1872
	ds_read_b128 v[14:17], v1 offset:1888
	;; [unrolled: 1-line block ×4, first 2 shown]
	buffer_load_dword v40, off, s[0:3], 0 offset:864
	buffer_load_dword v41, off, s[0:3], 0 offset:868
	;; [unrolled: 1-line block ×20, first 2 shown]
	v_cmp_lt_u32_e32 vcc, 52, v254
	s_waitcnt vmcnt(12) lgkmcnt(3)
	v_mul_f64 v[6:7], v[18:19], v[56:57]
	v_fmac_f64_e32 v[6:7], v[20:21], v[44:45]
	v_add_f64 v[6:7], v[6:7], 0
	v_mul_f64 v[20:21], v[20:21], v[56:57]
	s_waitcnt vmcnt(8) lgkmcnt(2)
	v_mul_f64 v[8:9], v[14:15], v[54:55]
	v_fmac_f64_e32 v[8:9], v[16:17], v[50:51]
	v_add_f64 v[6:7], v[6:7], v[8:9]
	v_fma_f64 v[18:19], v[18:19], v[44:45], -v[20:21]
	s_waitcnt vmcnt(4) lgkmcnt(1)
	v_mul_f64 v[8:9], v[10:11], v[52:53]
	v_fmac_f64_e32 v[8:9], v[12:13], v[48:49]
	v_add_f64 v[6:7], v[6:7], v[8:9]
	s_waitcnt vmcnt(0) lgkmcnt(0)
	v_mul_f64 v[8:9], v[2:3], v[58:59]
	v_fmac_f64_e32 v[8:9], v[4:5], v[46:47]
	v_add_f64 v[22:23], v[6:7], v[8:9]
	ds_read_b128 v[6:9], v1 offset:1936
	buffer_load_dword v43, off, s[0:3], 0 offset:948
	buffer_load_dword v42, off, s[0:3], 0 offset:944
	;; [unrolled: 1-line block ×4, first 2 shown]
	v_mul_f64 v[16:17], v[16:17], v[54:55]
	v_add_f64 v[18:19], v[18:19], 0
	v_fma_f64 v[14:15], v[14:15], v[50:51], -v[16:17]
	v_mul_f64 v[12:13], v[12:13], v[52:53]
	v_add_f64 v[14:15], v[18:19], v[14:15]
	v_fma_f64 v[10:11], v[10:11], v[48:49], -v[12:13]
	;; [unrolled: 3-line block ×3, first 2 shown]
	v_add_f64 v[2:3], v[10:11], v[2:3]
	s_waitcnt vmcnt(0) lgkmcnt(0)
	v_mul_f64 v[24:25], v[6:7], v[60:61]
	v_fmac_f64_e32 v[24:25], v[8:9], v[42:43]
	v_add_f64 v[26:27], v[22:23], v[24:25]
	ds_read_b128 v[22:25], v1 offset:1952
	buffer_load_dword v63, off, s[0:3], 0 offset:964
	buffer_load_dword v62, off, s[0:3], 0 offset:960
	buffer_load_dword v65, off, s[0:3], 0 offset:972
	buffer_load_dword v64, off, s[0:3], 0 offset:968
	v_mul_f64 v[4:5], v[8:9], v[60:61]
	v_fma_f64 v[4:5], v[6:7], v[42:43], -v[4:5]
	v_add_f64 v[2:3], v[2:3], v[4:5]
	s_waitcnt vmcnt(0) lgkmcnt(0)
	v_mul_f64 v[28:29], v[22:23], v[64:65]
	v_fmac_f64_e32 v[28:29], v[24:25], v[62:63]
	v_add_f64 v[30:31], v[26:27], v[28:29]
	ds_read_b128 v[26:29], v1 offset:1968
	buffer_load_dword v67, off, s[0:3], 0 offset:980
	buffer_load_dword v66, off, s[0:3], 0 offset:976
	buffer_load_dword v69, off, s[0:3], 0 offset:988
	buffer_load_dword v68, off, s[0:3], 0 offset:984
	v_mul_f64 v[4:5], v[24:25], v[64:65]
	v_fma_f64 v[4:5], v[22:23], v[62:63], -v[4:5]
	;; [unrolled: 12-line block ×4, first 2 shown]
	v_add_f64 v[2:3], v[2:3], v[4:5]
	s_waitcnt vmcnt(0) lgkmcnt(0)
	v_mul_f64 v[4:5], v[36:37], v[76:77]
	v_mul_f64 v[80:81], v[34:35], v[76:77]
	v_fma_f64 v[4:5], v[34:35], v[74:75], -v[4:5]
	v_fmac_f64_e32 v[80:81], v[36:37], v[74:75]
	v_add_f64 v[2:3], v[2:3], v[4:5]
	v_add_f64 v[78:79], v[78:79], v[80:81]
	v_add_f64 v[2:3], v[40:41], -v[2:3]
	v_add_f64 v[4:5], v[38:39], -v[78:79]
	buffer_store_dword v3, off, s[0:3], 0 offset:868
	buffer_store_dword v2, off, s[0:3], 0 offset:864
	;; [unrolled: 1-line block ×4, first 2 shown]
	s_and_saveexec_b64 s[4:5], vcc
	s_cbranch_execz .LBB62_299
; %bb.298:
	v_accvgpr_read_b32 v0, a136
	buffer_load_dword v2, v0, s[0:3], 0 offen
	buffer_load_dword v3, v0, s[0:3], 0 offen offset:4
	buffer_load_dword v4, v0, s[0:3], 0 offen offset:8
	;; [unrolled: 1-line block ×3, first 2 shown]
	v_accvgpr_read_b32 v0, a189
	buffer_store_dword v1, off, s[0:3], 0 offset:848
	buffer_store_dword v1, off, s[0:3], 0 offset:852
	;; [unrolled: 1-line block ×4, first 2 shown]
	s_waitcnt vmcnt(4)
	ds_write_b128 v0, v[2:5]
.LBB62_299:
	s_or_b64 exec, exec, s[4:5]
	s_waitcnt lgkmcnt(0)
	; wave barrier
	s_waitcnt lgkmcnt(0)
	ds_read_b128 v[18:21], v1 offset:1856
	ds_read_b128 v[10:13], v1 offset:1872
	;; [unrolled: 1-line block ×4, first 2 shown]
	buffer_load_dword v44, off, s[0:3], 0 offset:848
	buffer_load_dword v45, off, s[0:3], 0 offset:852
	;; [unrolled: 1-line block ×20, first 2 shown]
	v_cmp_lt_u32_e32 vcc, 51, v254
	s_waitcnt vmcnt(12) lgkmcnt(3)
	v_mul_f64 v[14:15], v[18:19], v[62:63]
	v_fmac_f64_e32 v[14:15], v[20:21], v[58:59]
	v_add_f64 v[14:15], v[14:15], 0
	v_mul_f64 v[20:21], v[20:21], v[62:63]
	s_waitcnt vmcnt(8) lgkmcnt(2)
	v_mul_f64 v[16:17], v[10:11], v[60:61]
	v_fmac_f64_e32 v[16:17], v[12:13], v[56:57]
	v_add_f64 v[14:15], v[14:15], v[16:17]
	v_fma_f64 v[18:19], v[18:19], v[58:59], -v[20:21]
	s_waitcnt vmcnt(4) lgkmcnt(1)
	v_mul_f64 v[16:17], v[6:7], v[48:49]
	v_fmac_f64_e32 v[16:17], v[8:9], v[46:47]
	v_add_f64 v[14:15], v[14:15], v[16:17]
	s_waitcnt vmcnt(0) lgkmcnt(0)
	v_mul_f64 v[16:17], v[2:3], v[52:53]
	v_fmac_f64_e32 v[16:17], v[4:5], v[50:51]
	v_add_f64 v[22:23], v[14:15], v[16:17]
	ds_read_b128 v[14:17], v1 offset:1920
	buffer_load_dword v55, off, s[0:3], 0 offset:932
	buffer_load_dword v54, off, s[0:3], 0 offset:928
	;; [unrolled: 1-line block ×4, first 2 shown]
	v_mul_f64 v[12:13], v[12:13], v[60:61]
	v_add_f64 v[18:19], v[18:19], 0
	v_fma_f64 v[10:11], v[10:11], v[56:57], -v[12:13]
	v_mul_f64 v[8:9], v[8:9], v[48:49]
	v_add_f64 v[10:11], v[18:19], v[10:11]
	v_fma_f64 v[6:7], v[6:7], v[46:47], -v[8:9]
	;; [unrolled: 3-line block ×3, first 2 shown]
	v_add_f64 v[2:3], v[6:7], v[2:3]
	s_waitcnt vmcnt(0) lgkmcnt(0)
	v_mul_f64 v[24:25], v[14:15], v[64:65]
	v_fmac_f64_e32 v[24:25], v[16:17], v[54:55]
	v_add_f64 v[26:27], v[22:23], v[24:25]
	ds_read_b128 v[22:25], v1 offset:1936
	buffer_load_dword v67, off, s[0:3], 0 offset:948
	buffer_load_dword v66, off, s[0:3], 0 offset:944
	buffer_load_dword v69, off, s[0:3], 0 offset:956
	buffer_load_dword v68, off, s[0:3], 0 offset:952
	v_mul_f64 v[4:5], v[16:17], v[64:65]
	v_fma_f64 v[4:5], v[14:15], v[54:55], -v[4:5]
	v_add_f64 v[2:3], v[2:3], v[4:5]
	s_waitcnt vmcnt(0) lgkmcnt(0)
	v_mul_f64 v[28:29], v[22:23], v[68:69]
	v_fmac_f64_e32 v[28:29], v[24:25], v[66:67]
	v_add_f64 v[30:31], v[26:27], v[28:29]
	ds_read_b128 v[26:29], v1 offset:1952
	buffer_load_dword v71, off, s[0:3], 0 offset:964
	buffer_load_dword v70, off, s[0:3], 0 offset:960
	buffer_load_dword v73, off, s[0:3], 0 offset:972
	buffer_load_dword v72, off, s[0:3], 0 offset:968
	v_mul_f64 v[4:5], v[24:25], v[68:69]
	v_fma_f64 v[4:5], v[22:23], v[66:67], -v[4:5]
	;; [unrolled: 12-line block ×5, first 2 shown]
	v_add_f64 v[2:3], v[2:3], v[4:5]
	s_waitcnt vmcnt(0) lgkmcnt(0)
	v_mul_f64 v[86:87], v[38:39], v[0:1]
	v_mul_f64 v[0:1], v[40:41], v[0:1]
	v_fma_f64 v[0:1], v[38:39], v[82:83], -v[0:1]
	v_fmac_f64_e32 v[86:87], v[40:41], v[82:83]
	v_add_f64 v[0:1], v[2:3], v[0:1]
	v_add_f64 v[84:85], v[84:85], v[86:87]
	v_add_f64 v[0:1], v[44:45], -v[0:1]
	v_add_f64 v[2:3], v[42:43], -v[84:85]
	buffer_store_dword v1, off, s[0:3], 0 offset:852
	buffer_store_dword v0, off, s[0:3], 0 offset:848
	;; [unrolled: 1-line block ×4, first 2 shown]
	s_and_saveexec_b64 s[4:5], vcc
	s_cbranch_execz .LBB62_301
; %bb.300:
	v_accvgpr_read_b32 v0, a137
	buffer_load_dword v2, v0, s[0:3], 0 offen
	buffer_load_dword v3, v0, s[0:3], 0 offen offset:4
	buffer_load_dword v4, v0, s[0:3], 0 offen offset:8
	buffer_load_dword v5, v0, s[0:3], 0 offen offset:12
	v_mov_b32_e32 v0, 0
	v_accvgpr_read_b32 v1, a189
	buffer_store_dword v0, off, s[0:3], 0 offset:832
	buffer_store_dword v0, off, s[0:3], 0 offset:836
	;; [unrolled: 1-line block ×4, first 2 shown]
	s_waitcnt vmcnt(4)
	ds_write_b128 v1, v[2:5]
.LBB62_301:
	s_or_b64 exec, exec, s[4:5]
	v_mov_b32_e32 v1, 0
	s_waitcnt lgkmcnt(0)
	; wave barrier
	s_waitcnt lgkmcnt(0)
	ds_read_b128 v[14:17], v1 offset:1840
	ds_read_b128 v[10:13], v1 offset:1856
	;; [unrolled: 1-line block ×4, first 2 shown]
	buffer_load_dword v48, off, s[0:3], 0 offset:832
	buffer_load_dword v49, off, s[0:3], 0 offset:836
	buffer_load_dword v46, off, s[0:3], 0 offset:840
	buffer_load_dword v47, off, s[0:3], 0 offset:844
	buffer_load_dword v50, off, s[0:3], 0 offset:848
	buffer_load_dword v51, off, s[0:3], 0 offset:852
	buffer_load_dword v56, off, s[0:3], 0 offset:856
	buffer_load_dword v57, off, s[0:3], 0 offset:860
	buffer_load_dword v52, off, s[0:3], 0 offset:864
	buffer_load_dword v53, off, s[0:3], 0 offset:868
	buffer_load_dword v58, off, s[0:3], 0 offset:872
	buffer_load_dword v59, off, s[0:3], 0 offset:876
	buffer_load_dword v54, off, s[0:3], 0 offset:880
	buffer_load_dword v55, off, s[0:3], 0 offset:884
	buffer_load_dword v60, off, s[0:3], 0 offset:888
	buffer_load_dword v61, off, s[0:3], 0 offset:892
	buffer_load_dword v63, off, s[0:3], 0 offset:900
	buffer_load_dword v62, off, s[0:3], 0 offset:896
	buffer_load_dword v65, off, s[0:3], 0 offset:908
	buffer_load_dword v64, off, s[0:3], 0 offset:904
	v_cmp_lt_u32_e32 vcc, 50, v254
	s_waitcnt vmcnt(12) lgkmcnt(3)
	v_mul_f64 v[18:19], v[14:15], v[56:57]
	v_fmac_f64_e32 v[18:19], v[16:17], v[50:51]
	v_add_f64 v[18:19], v[18:19], 0
	v_mul_f64 v[16:17], v[16:17], v[56:57]
	s_waitcnt vmcnt(8) lgkmcnt(2)
	v_mul_f64 v[20:21], v[10:11], v[58:59]
	v_fmac_f64_e32 v[20:21], v[12:13], v[52:53]
	v_add_f64 v[18:19], v[18:19], v[20:21]
	v_fma_f64 v[14:15], v[14:15], v[50:51], -v[16:17]
	s_waitcnt vmcnt(4) lgkmcnt(1)
	v_mul_f64 v[20:21], v[6:7], v[60:61]
	v_fmac_f64_e32 v[20:21], v[8:9], v[54:55]
	v_add_f64 v[18:19], v[18:19], v[20:21]
	s_waitcnt vmcnt(0) lgkmcnt(0)
	v_mul_f64 v[20:21], v[2:3], v[64:65]
	v_fmac_f64_e32 v[20:21], v[4:5], v[62:63]
	v_add_f64 v[22:23], v[18:19], v[20:21]
	ds_read_b128 v[18:21], v1 offset:1904
	buffer_load_dword v67, off, s[0:3], 0 offset:916
	buffer_load_dword v66, off, s[0:3], 0 offset:912
	;; [unrolled: 1-line block ×4, first 2 shown]
	v_mul_f64 v[12:13], v[12:13], v[58:59]
	v_add_f64 v[14:15], v[14:15], 0
	v_fma_f64 v[10:11], v[10:11], v[52:53], -v[12:13]
	v_mul_f64 v[8:9], v[8:9], v[60:61]
	v_add_f64 v[10:11], v[14:15], v[10:11]
	v_fma_f64 v[6:7], v[6:7], v[54:55], -v[8:9]
	v_mul_f64 v[4:5], v[4:5], v[64:65]
	v_add_f64 v[6:7], v[10:11], v[6:7]
	v_fma_f64 v[2:3], v[2:3], v[62:63], -v[4:5]
	v_add_f64 v[2:3], v[6:7], v[2:3]
	s_waitcnt vmcnt(0) lgkmcnt(0)
	v_mul_f64 v[24:25], v[18:19], v[68:69]
	v_fmac_f64_e32 v[24:25], v[20:21], v[66:67]
	v_add_f64 v[26:27], v[22:23], v[24:25]
	ds_read_b128 v[22:25], v1 offset:1920
	buffer_load_dword v71, off, s[0:3], 0 offset:932
	buffer_load_dword v70, off, s[0:3], 0 offset:928
	buffer_load_dword v73, off, s[0:3], 0 offset:940
	buffer_load_dword v72, off, s[0:3], 0 offset:936
	v_mul_f64 v[4:5], v[20:21], v[68:69]
	v_fma_f64 v[4:5], v[18:19], v[66:67], -v[4:5]
	v_add_f64 v[2:3], v[2:3], v[4:5]
	s_waitcnt vmcnt(0) lgkmcnt(0)
	v_mul_f64 v[28:29], v[22:23], v[72:73]
	v_fmac_f64_e32 v[28:29], v[24:25], v[70:71]
	v_add_f64 v[30:31], v[26:27], v[28:29]
	ds_read_b128 v[26:29], v1 offset:1936
	buffer_load_dword v75, off, s[0:3], 0 offset:948
	buffer_load_dword v74, off, s[0:3], 0 offset:944
	buffer_load_dword v77, off, s[0:3], 0 offset:956
	buffer_load_dword v76, off, s[0:3], 0 offset:952
	v_mul_f64 v[4:5], v[24:25], v[72:73]
	v_fma_f64 v[4:5], v[22:23], v[70:71], -v[4:5]
	;; [unrolled: 12-line block ×6, first 2 shown]
	v_add_f64 v[2:3], v[2:3], v[4:5]
	s_waitcnt vmcnt(0) lgkmcnt(0)
	v_mul_f64 v[4:5], v[44:45], v[92:93]
	v_mul_f64 v[96:97], v[42:43], v[92:93]
	v_fma_f64 v[4:5], v[42:43], v[90:91], -v[4:5]
	v_fmac_f64_e32 v[96:97], v[44:45], v[90:91]
	v_add_f64 v[2:3], v[2:3], v[4:5]
	v_add_f64 v[94:95], v[94:95], v[96:97]
	v_add_f64 v[2:3], v[48:49], -v[2:3]
	v_add_f64 v[4:5], v[46:47], -v[94:95]
	buffer_store_dword v3, off, s[0:3], 0 offset:836
	buffer_store_dword v2, off, s[0:3], 0 offset:832
	;; [unrolled: 1-line block ×4, first 2 shown]
	s_and_saveexec_b64 s[4:5], vcc
	s_cbranch_execz .LBB62_303
; %bb.302:
	v_accvgpr_read_b32 v0, a138
	buffer_load_dword v2, v0, s[0:3], 0 offen
	buffer_load_dword v3, v0, s[0:3], 0 offen offset:4
	buffer_load_dword v4, v0, s[0:3], 0 offen offset:8
	;; [unrolled: 1-line block ×3, first 2 shown]
	v_accvgpr_read_b32 v0, a189
	buffer_store_dword v1, off, s[0:3], 0 offset:816
	buffer_store_dword v1, off, s[0:3], 0 offset:820
	;; [unrolled: 1-line block ×4, first 2 shown]
	s_waitcnt vmcnt(4)
	ds_write_b128 v0, v[2:5]
.LBB62_303:
	s_or_b64 exec, exec, s[4:5]
	s_waitcnt lgkmcnt(0)
	; wave barrier
	s_waitcnt lgkmcnt(0)
	ds_read_b128 v[14:17], v1 offset:1824
	ds_read_b128 v[10:13], v1 offset:1840
	;; [unrolled: 1-line block ×4, first 2 shown]
	buffer_load_dword v48, off, s[0:3], 0 offset:816
	buffer_load_dword v49, off, s[0:3], 0 offset:820
	;; [unrolled: 1-line block ×20, first 2 shown]
	v_cmp_lt_u32_e32 vcc, 49, v254
	s_waitcnt vmcnt(12) lgkmcnt(3)
	v_mul_f64 v[18:19], v[14:15], v[56:57]
	v_fmac_f64_e32 v[18:19], v[16:17], v[50:51]
	v_add_f64 v[18:19], v[18:19], 0
	v_mul_f64 v[16:17], v[16:17], v[56:57]
	s_waitcnt vmcnt(8) lgkmcnt(2)
	v_mul_f64 v[20:21], v[10:11], v[58:59]
	v_fmac_f64_e32 v[20:21], v[12:13], v[52:53]
	v_add_f64 v[18:19], v[18:19], v[20:21]
	v_fma_f64 v[14:15], v[14:15], v[50:51], -v[16:17]
	s_waitcnt vmcnt(4) lgkmcnt(1)
	v_mul_f64 v[20:21], v[6:7], v[60:61]
	v_fmac_f64_e32 v[20:21], v[8:9], v[54:55]
	v_add_f64 v[18:19], v[18:19], v[20:21]
	s_waitcnt vmcnt(0) lgkmcnt(0)
	v_mul_f64 v[20:21], v[2:3], v[64:65]
	v_fmac_f64_e32 v[20:21], v[4:5], v[62:63]
	v_add_f64 v[22:23], v[18:19], v[20:21]
	ds_read_b128 v[18:21], v1 offset:1888
	buffer_load_dword v67, off, s[0:3], 0 offset:900
	buffer_load_dword v66, off, s[0:3], 0 offset:896
	;; [unrolled: 1-line block ×4, first 2 shown]
	v_mul_f64 v[12:13], v[12:13], v[58:59]
	v_add_f64 v[14:15], v[14:15], 0
	v_fma_f64 v[10:11], v[10:11], v[52:53], -v[12:13]
	v_mul_f64 v[8:9], v[8:9], v[60:61]
	v_add_f64 v[10:11], v[14:15], v[10:11]
	v_fma_f64 v[6:7], v[6:7], v[54:55], -v[8:9]
	;; [unrolled: 3-line block ×3, first 2 shown]
	v_add_f64 v[2:3], v[6:7], v[2:3]
	s_waitcnt vmcnt(0) lgkmcnt(0)
	v_mul_f64 v[24:25], v[18:19], v[68:69]
	v_fmac_f64_e32 v[24:25], v[20:21], v[66:67]
	v_add_f64 v[26:27], v[22:23], v[24:25]
	ds_read_b128 v[22:25], v1 offset:1904
	buffer_load_dword v71, off, s[0:3], 0 offset:916
	buffer_load_dword v70, off, s[0:3], 0 offset:912
	buffer_load_dword v73, off, s[0:3], 0 offset:924
	buffer_load_dword v72, off, s[0:3], 0 offset:920
	v_mul_f64 v[4:5], v[20:21], v[68:69]
	v_fma_f64 v[4:5], v[18:19], v[66:67], -v[4:5]
	v_add_f64 v[2:3], v[2:3], v[4:5]
	s_waitcnt vmcnt(0) lgkmcnt(0)
	v_mul_f64 v[28:29], v[22:23], v[72:73]
	v_fmac_f64_e32 v[28:29], v[24:25], v[70:71]
	v_add_f64 v[30:31], v[26:27], v[28:29]
	ds_read_b128 v[26:29], v1 offset:1920
	buffer_load_dword v75, off, s[0:3], 0 offset:932
	buffer_load_dword v74, off, s[0:3], 0 offset:928
	buffer_load_dword v77, off, s[0:3], 0 offset:940
	buffer_load_dword v76, off, s[0:3], 0 offset:936
	v_mul_f64 v[4:5], v[24:25], v[72:73]
	v_fma_f64 v[4:5], v[22:23], v[70:71], -v[4:5]
	v_add_f64 v[2:3], v[2:3], v[4:5]
	s_waitcnt vmcnt(0) lgkmcnt(0)
	v_mul_f64 v[32:33], v[26:27], v[76:77]
	v_fmac_f64_e32 v[32:33], v[28:29], v[74:75]
	v_add_f64 v[34:35], v[30:31], v[32:33]
	ds_read_b128 v[30:33], v1 offset:1936
	buffer_load_dword v79, off, s[0:3], 0 offset:948
	buffer_load_dword v78, off, s[0:3], 0 offset:944
	buffer_load_dword v81, off, s[0:3], 0 offset:956
	buffer_load_dword v80, off, s[0:3], 0 offset:952
	v_mul_f64 v[4:5], v[28:29], v[76:77]
	v_fma_f64 v[4:5], v[26:27], v[74:75], -v[4:5]
	v_add_f64 v[2:3], v[2:3], v[4:5]
	s_waitcnt vmcnt(0) lgkmcnt(0)
	v_mul_f64 v[36:37], v[30:31], v[80:81]
	v_fmac_f64_e32 v[36:37], v[32:33], v[78:79]
	v_add_f64 v[38:39], v[34:35], v[36:37]
	ds_read_b128 v[34:37], v1 offset:1952
	buffer_load_dword v83, off, s[0:3], 0 offset:964
	buffer_load_dword v82, off, s[0:3], 0 offset:960
	buffer_load_dword v85, off, s[0:3], 0 offset:972
	buffer_load_dword v84, off, s[0:3], 0 offset:968
	v_mul_f64 v[4:5], v[32:33], v[80:81]
	v_fma_f64 v[4:5], v[30:31], v[78:79], -v[4:5]
	v_add_f64 v[2:3], v[2:3], v[4:5]
	s_waitcnt vmcnt(0) lgkmcnt(0)
	v_mul_f64 v[40:41], v[34:35], v[84:85]
	v_fmac_f64_e32 v[40:41], v[36:37], v[82:83]
	v_add_f64 v[42:43], v[38:39], v[40:41]
	ds_read_b128 v[38:41], v1 offset:1968
	buffer_load_dword v87, off, s[0:3], 0 offset:980
	buffer_load_dword v86, off, s[0:3], 0 offset:976
	buffer_load_dword v89, off, s[0:3], 0 offset:988
	buffer_load_dword v88, off, s[0:3], 0 offset:984
	v_mul_f64 v[4:5], v[36:37], v[84:85]
	v_fma_f64 v[4:5], v[34:35], v[82:83], -v[4:5]
	v_add_f64 v[2:3], v[2:3], v[4:5]
	s_waitcnt vmcnt(0) lgkmcnt(0)
	v_mul_f64 v[44:45], v[38:39], v[88:89]
	v_fmac_f64_e32 v[44:45], v[40:41], v[86:87]
	v_add_f64 v[94:95], v[42:43], v[44:45]
	ds_read_b128 v[42:45], v1 offset:1984
	buffer_load_dword v91, off, s[0:3], 0 offset:996
	buffer_load_dword v90, off, s[0:3], 0 offset:992
	buffer_load_dword v93, off, s[0:3], 0 offset:1004
	buffer_load_dword v92, off, s[0:3], 0 offset:1000
	v_mul_f64 v[4:5], v[40:41], v[88:89]
	v_fma_f64 v[4:5], v[38:39], v[86:87], -v[4:5]
	v_add_f64 v[2:3], v[2:3], v[4:5]
	s_waitcnt vmcnt(0) lgkmcnt(0)
	v_mul_f64 v[96:97], v[42:43], v[92:93]
	v_fmac_f64_e32 v[96:97], v[44:45], v[90:91]
	v_add_f64 v[98:99], v[94:95], v[96:97]
	ds_read_b128 v[94:97], v1 offset:2000
	buffer_load_dword v1, off, s[0:3], 0 offset:1012
	buffer_load_dword v0, off, s[0:3], 0 offset:1008
	buffer_load_dword v101, off, s[0:3], 0 offset:1020
	buffer_load_dword v100, off, s[0:3], 0 offset:1016
	v_mul_f64 v[4:5], v[44:45], v[92:93]
	v_fma_f64 v[4:5], v[42:43], v[90:91], -v[4:5]
	v_add_f64 v[2:3], v[2:3], v[4:5]
	s_waitcnt vmcnt(0) lgkmcnt(0)
	v_mul_f64 v[102:103], v[94:95], v[100:101]
	v_mul_f64 v[4:5], v[96:97], v[100:101]
	v_fmac_f64_e32 v[102:103], v[96:97], v[0:1]
	v_fma_f64 v[0:1], v[94:95], v[0:1], -v[4:5]
	v_add_f64 v[0:1], v[2:3], v[0:1]
	v_add_f64 v[98:99], v[98:99], v[102:103]
	v_add_f64 v[0:1], v[48:49], -v[0:1]
	v_add_f64 v[2:3], v[46:47], -v[98:99]
	buffer_store_dword v1, off, s[0:3], 0 offset:820
	buffer_store_dword v0, off, s[0:3], 0 offset:816
	buffer_store_dword v3, off, s[0:3], 0 offset:828
	buffer_store_dword v2, off, s[0:3], 0 offset:824
	s_and_saveexec_b64 s[4:5], vcc
	s_cbranch_execz .LBB62_305
; %bb.304:
	v_accvgpr_read_b32 v0, a139
	buffer_load_dword v2, v0, s[0:3], 0 offen
	buffer_load_dword v3, v0, s[0:3], 0 offen offset:4
	buffer_load_dword v4, v0, s[0:3], 0 offen offset:8
	;; [unrolled: 1-line block ×3, first 2 shown]
	v_mov_b32_e32 v0, 0
	v_accvgpr_read_b32 v1, a189
	buffer_store_dword v0, off, s[0:3], 0 offset:800
	buffer_store_dword v0, off, s[0:3], 0 offset:804
	buffer_store_dword v0, off, s[0:3], 0 offset:808
	buffer_store_dword v0, off, s[0:3], 0 offset:812
	s_waitcnt vmcnt(4)
	ds_write_b128 v1, v[2:5]
.LBB62_305:
	s_or_b64 exec, exec, s[4:5]
	s_waitcnt lgkmcnt(0)
	; wave barrier
	s_waitcnt lgkmcnt(0)
	buffer_load_dword v2, off, s[0:3], 0 offset:816
	buffer_load_dword v3, off, s[0:3], 0 offset:820
	;; [unrolled: 1-line block ×56, first 2 shown]
	v_mov_b32_e32 v1, 0
	ds_read_b128 v[30:33], v1 offset:1808
	ds_read_b128 v[34:37], v1 offset:1824
	;; [unrolled: 1-line block ×9, first 2 shown]
	v_cmp_lt_u32_e32 vcc, 48, v254
	s_waitcnt vmcnt(52) lgkmcnt(8)
	v_mul_f64 v[62:63], v[30:31], v[6:7]
	v_fmac_f64_e32 v[62:63], v[32:33], v[2:3]
	v_mul_f64 v[6:7], v[32:33], v[6:7]
	v_add_f64 v[62:63], v[62:63], 0
	s_waitcnt vmcnt(48) lgkmcnt(7)
	v_mul_f64 v[64:65], v[34:35], v[8:9]
	v_fmac_f64_e32 v[64:65], v[36:37], v[4:5]
	s_waitcnt vmcnt(46) lgkmcnt(6)
	v_mul_f64 v[66:67], v[38:39], v[10:11]
	v_fma_f64 v[2:3], v[30:31], v[2:3], -v[6:7]
	v_mul_f64 v[6:7], v[36:37], v[8:9]
	s_waitcnt vmcnt(44) lgkmcnt(5)
	v_mul_f64 v[68:69], v[42:43], v[12:13]
	v_add_f64 v[62:63], v[62:63], v[64:65]
	v_add_f64 v[2:3], v[2:3], 0
	v_fma_f64 v[4:5], v[34:35], v[4:5], -v[6:7]
	v_add_f64 v[2:3], v[2:3], v[4:5]
	v_mul_f64 v[4:5], v[40:41], v[10:11]
	s_waitcnt vmcnt(37) lgkmcnt(4)
	v_mul_f64 v[70:71], v[46:47], v[20:21]
	s_waitcnt lgkmcnt(3)
	v_mul_f64 v[72:73], v[50:51], v[18:19]
	s_waitcnt vmcnt(35)
	v_fmac_f64_e32 v[70:71], v[48:49], v[22:23]
	s_waitcnt lgkmcnt(2)
	v_mul_f64 v[74:75], v[54:55], v[14:15]
	s_waitcnt vmcnt(33)
	v_fmac_f64_e32 v[66:67], v[40:41], v[28:29]
	v_add_f64 v[62:63], v[62:63], v[66:67]
	s_waitcnt vmcnt(31)
	v_fmac_f64_e32 v[68:69], v[44:45], v[26:27]
	v_add_f64 v[62:63], v[62:63], v[68:69]
	v_fma_f64 v[4:5], v[38:39], v[28:29], -v[4:5]
	s_waitcnt vmcnt(29)
	v_fmac_f64_e32 v[72:73], v[52:53], v[24:25]
	v_add_f64 v[62:63], v[62:63], v[70:71]
	v_add_f64 v[2:3], v[2:3], v[4:5]
	v_mul_f64 v[4:5], v[44:45], v[12:13]
	s_waitcnt vmcnt(28)
	v_fmac_f64_e32 v[74:75], v[56:57], v[16:17]
	v_add_f64 v[62:63], v[62:63], v[72:73]
	v_fma_f64 v[4:5], v[42:43], v[26:27], -v[4:5]
	v_add_f64 v[66:67], v[62:63], v[74:75]
	ds_read_b128 v[62:65], v1 offset:1936
	s_waitcnt vmcnt(24) lgkmcnt(2)
	v_mul_f64 v[68:69], v[58:59], v[86:87]
	v_add_f64 v[2:3], v[2:3], v[4:5]
	v_mul_f64 v[4:5], v[48:49], v[20:21]
	s_waitcnt vmcnt(22)
	v_fmac_f64_e32 v[68:69], v[60:61], v[88:89]
	v_fma_f64 v[4:5], v[46:47], v[22:23], -v[4:5]
	v_add_f64 v[70:71], v[66:67], v[68:69]
	ds_read_b128 v[66:69], v1 offset:1952
	v_add_f64 v[2:3], v[2:3], v[4:5]
	v_mul_f64 v[4:5], v[52:53], v[18:19]
	v_fma_f64 v[4:5], v[50:51], v[24:25], -v[4:5]
	v_add_f64 v[2:3], v[2:3], v[4:5]
	v_mul_f64 v[4:5], v[56:57], v[14:15]
	s_waitcnt vmcnt(21) lgkmcnt(1)
	v_mul_f64 v[72:73], v[62:63], v[82:83]
	v_fma_f64 v[4:5], v[54:55], v[16:17], -v[4:5]
	s_waitcnt vmcnt(20)
	v_fmac_f64_e32 v[72:73], v[64:65], v[84:85]
	v_add_f64 v[2:3], v[2:3], v[4:5]
	v_mul_f64 v[4:5], v[60:61], v[86:87]
	v_add_f64 v[74:75], v[70:71], v[72:73]
	ds_read_b128 v[70:73], v1 offset:1968
	s_waitcnt vmcnt(16) lgkmcnt(1)
	v_mul_f64 v[76:77], v[66:67], v[94:95]
	v_fma_f64 v[4:5], v[58:59], v[88:89], -v[4:5]
	s_waitcnt vmcnt(14)
	v_fmac_f64_e32 v[76:77], v[68:69], v[96:97]
	v_add_f64 v[2:3], v[2:3], v[4:5]
	v_mul_f64 v[4:5], v[64:65], v[82:83]
	v_add_f64 v[110:111], v[74:75], v[76:77]
	ds_read_b128 v[74:77], v1 offset:1984
	v_fma_f64 v[4:5], v[62:63], v[84:85], -v[4:5]
	v_add_f64 v[2:3], v[2:3], v[4:5]
	v_mul_f64 v[4:5], v[68:69], v[94:95]
	v_fma_f64 v[4:5], v[66:67], v[96:97], -v[4:5]
	v_add_f64 v[2:3], v[2:3], v[4:5]
	s_waitcnt vmcnt(13) lgkmcnt(1)
	v_mul_f64 v[4:5], v[72:73], v[90:91]
	v_mul_f64 v[112:113], v[70:71], v[90:91]
	s_waitcnt vmcnt(12)
	v_fma_f64 v[4:5], v[70:71], v[92:93], -v[4:5]
	v_fmac_f64_e32 v[112:113], v[72:73], v[92:93]
	v_add_f64 v[2:3], v[2:3], v[4:5]
	s_waitcnt vmcnt(8) lgkmcnt(0)
	v_mul_f64 v[4:5], v[76:77], v[102:103]
	v_add_f64 v[110:111], v[110:111], v[112:113]
	v_mul_f64 v[112:113], v[74:75], v[102:103]
	s_waitcnt vmcnt(6)
	v_fma_f64 v[4:5], v[74:75], v[104:105], -v[4:5]
	v_fmac_f64_e32 v[112:113], v[76:77], v[104:105]
	v_add_f64 v[2:3], v[2:3], v[4:5]
	s_waitcnt vmcnt(5)
	v_mul_f64 v[4:5], v[80:81], v[98:99]
	v_add_f64 v[110:111], v[110:111], v[112:113]
	v_mul_f64 v[112:113], v[78:79], v[98:99]
	s_waitcnt vmcnt(4)
	v_fma_f64 v[4:5], v[78:79], v[100:101], -v[4:5]
	v_fmac_f64_e32 v[112:113], v[80:81], v[100:101]
	v_add_f64 v[2:3], v[2:3], v[4:5]
	v_add_f64 v[110:111], v[110:111], v[112:113]
	s_waitcnt vmcnt(2)
	v_add_f64 v[2:3], v[106:107], -v[2:3]
	s_waitcnt vmcnt(0)
	v_add_f64 v[4:5], v[108:109], -v[110:111]
	buffer_store_dword v3, off, s[0:3], 0 offset:804
	buffer_store_dword v2, off, s[0:3], 0 offset:800
	;; [unrolled: 1-line block ×4, first 2 shown]
	s_and_saveexec_b64 s[4:5], vcc
	s_cbranch_execz .LBB62_307
; %bb.306:
	v_accvgpr_read_b32 v0, a140
	buffer_load_dword v2, v0, s[0:3], 0 offen
	buffer_load_dword v3, v0, s[0:3], 0 offen offset:4
	buffer_load_dword v4, v0, s[0:3], 0 offen offset:8
	;; [unrolled: 1-line block ×3, first 2 shown]
	v_accvgpr_read_b32 v0, a189
	buffer_store_dword v1, off, s[0:3], 0 offset:784
	buffer_store_dword v1, off, s[0:3], 0 offset:788
	;; [unrolled: 1-line block ×4, first 2 shown]
	s_waitcnt vmcnt(4)
	ds_write_b128 v0, v[2:5]
.LBB62_307:
	s_or_b64 exec, exec, s[4:5]
	s_waitcnt lgkmcnt(0)
	; wave barrier
	s_waitcnt lgkmcnt(0)
	buffer_load_dword v2, off, s[0:3], 0 offset:800
	buffer_load_dword v3, off, s[0:3], 0 offset:804
	;; [unrolled: 1-line block ×60, first 2 shown]
	ds_read_b128 v[30:33], v1 offset:1792
	ds_read_b128 v[34:37], v1 offset:1808
	;; [unrolled: 1-line block ×8, first 2 shown]
	v_cmp_lt_u32_e32 vcc, 47, v254
	ds_read_b128 v[82:85], v1 offset:2000
	s_waitcnt vmcnt(56) lgkmcnt(8)
	v_mul_f64 v[62:63], v[30:31], v[6:7]
	v_fmac_f64_e32 v[62:63], v[32:33], v[2:3]
	v_add_f64 v[62:63], v[62:63], 0
	v_mul_f64 v[6:7], v[32:33], v[6:7]
	s_waitcnt vmcnt(52) lgkmcnt(7)
	v_mul_f64 v[64:65], v[34:35], v[8:9]
	v_fmac_f64_e32 v[64:65], v[36:37], v[4:5]
	s_waitcnt vmcnt(50) lgkmcnt(6)
	v_mul_f64 v[66:67], v[38:39], v[10:11]
	v_add_f64 v[62:63], v[62:63], v[64:65]
	s_waitcnt vmcnt(48) lgkmcnt(4)
	v_mul_f64 v[70:71], v[46:47], v[12:13]
	v_fma_f64 v[2:3], v[30:31], v[2:3], -v[6:7]
	s_waitcnt vmcnt(46)
	v_fmac_f64_e32 v[70:71], v[48:49], v[14:15]
	v_mul_f64 v[6:7], v[36:37], v[8:9]
	s_waitcnt vmcnt(44)
	v_mul_f64 v[68:69], v[42:43], v[16:17]
	v_add_f64 v[2:3], v[2:3], 0
	v_fma_f64 v[4:5], v[34:35], v[4:5], -v[6:7]
	v_add_f64 v[2:3], v[2:3], v[4:5]
	s_waitcnt vmcnt(40) lgkmcnt(3)
	v_mul_f64 v[72:73], v[50:51], v[22:23]
	v_mul_f64 v[4:5], v[40:41], v[10:11]
	s_waitcnt vmcnt(38)
	v_fmac_f64_e32 v[66:67], v[40:41], v[28:29]
	v_add_f64 v[62:63], v[62:63], v[66:67]
	s_waitcnt vmcnt(36)
	v_fmac_f64_e32 v[68:69], v[44:45], v[26:27]
	v_add_f64 v[62:63], v[62:63], v[68:69]
	s_waitcnt vmcnt(34)
	v_fmac_f64_e32 v[72:73], v[52:53], v[24:25]
	v_add_f64 v[62:63], v[62:63], v[70:71]
	s_waitcnt vmcnt(33) lgkmcnt(2)
	v_mul_f64 v[64:65], v[54:55], v[18:19]
	v_add_f64 v[62:63], v[62:63], v[72:73]
	s_waitcnt vmcnt(32)
	v_fmac_f64_e32 v[64:65], v[56:57], v[20:21]
	v_add_f64 v[66:67], v[62:63], v[64:65]
	ds_read_b128 v[62:65], v1 offset:1920
	v_fma_f64 v[4:5], v[38:39], v[28:29], -v[4:5]
	v_add_f64 v[2:3], v[2:3], v[4:5]
	v_mul_f64 v[4:5], v[44:45], v[16:17]
	v_fma_f64 v[4:5], v[42:43], v[26:27], -v[4:5]
	s_waitcnt vmcnt(28) lgkmcnt(2)
	v_mul_f64 v[68:69], v[58:59], v[90:91]
	v_add_f64 v[2:3], v[2:3], v[4:5]
	v_mul_f64 v[4:5], v[48:49], v[12:13]
	s_waitcnt vmcnt(26)
	v_fmac_f64_e32 v[68:69], v[60:61], v[92:93]
	v_fma_f64 v[4:5], v[46:47], v[14:15], -v[4:5]
	v_add_f64 v[70:71], v[66:67], v[68:69]
	ds_read_b128 v[66:69], v1 offset:1936
	s_waitcnt vmcnt(25) lgkmcnt(1)
	v_mul_f64 v[72:73], v[62:63], v[86:87]
	v_add_f64 v[2:3], v[2:3], v[4:5]
	v_mul_f64 v[4:5], v[52:53], v[22:23]
	s_waitcnt vmcnt(24)
	v_fmac_f64_e32 v[72:73], v[64:65], v[88:89]
	v_fma_f64 v[4:5], v[50:51], v[24:25], -v[4:5]
	v_add_f64 v[74:75], v[70:71], v[72:73]
	ds_read_b128 v[70:73], v1 offset:1952
	v_add_f64 v[2:3], v[2:3], v[4:5]
	v_mul_f64 v[4:5], v[56:57], v[18:19]
	v_fma_f64 v[4:5], v[54:55], v[20:21], -v[4:5]
	v_add_f64 v[2:3], v[2:3], v[4:5]
	v_mul_f64 v[4:5], v[60:61], v[90:91]
	s_waitcnt vmcnt(20) lgkmcnt(1)
	v_mul_f64 v[76:77], v[66:67], v[98:99]
	v_fma_f64 v[4:5], v[58:59], v[92:93], -v[4:5]
	s_waitcnt vmcnt(18)
	v_fmac_f64_e32 v[76:77], v[68:69], v[100:101]
	v_add_f64 v[2:3], v[2:3], v[4:5]
	v_mul_f64 v[4:5], v[64:65], v[86:87]
	v_add_f64 v[78:79], v[74:75], v[76:77]
	ds_read_b128 v[74:77], v1 offset:1968
	s_waitcnt vmcnt(17) lgkmcnt(1)
	v_mul_f64 v[80:81], v[70:71], v[94:95]
	v_fma_f64 v[4:5], v[62:63], v[88:89], -v[4:5]
	s_waitcnt vmcnt(16)
	v_fmac_f64_e32 v[80:81], v[72:73], v[96:97]
	v_add_f64 v[2:3], v[2:3], v[4:5]
	v_mul_f64 v[4:5], v[68:69], v[98:99]
	v_add_f64 v[118:119], v[78:79], v[80:81]
	ds_read_b128 v[78:81], v1 offset:1984
	v_fma_f64 v[4:5], v[66:67], v[100:101], -v[4:5]
	v_add_f64 v[2:3], v[2:3], v[4:5]
	v_mul_f64 v[4:5], v[72:73], v[94:95]
	v_fma_f64 v[4:5], v[70:71], v[96:97], -v[4:5]
	v_add_f64 v[2:3], v[2:3], v[4:5]
	s_waitcnt vmcnt(12) lgkmcnt(1)
	v_mul_f64 v[4:5], v[76:77], v[106:107]
	v_mul_f64 v[120:121], v[74:75], v[106:107]
	s_waitcnt vmcnt(10)
	v_fma_f64 v[4:5], v[74:75], v[108:109], -v[4:5]
	v_fmac_f64_e32 v[120:121], v[76:77], v[108:109]
	v_add_f64 v[2:3], v[2:3], v[4:5]
	s_waitcnt vmcnt(9) lgkmcnt(0)
	v_mul_f64 v[4:5], v[80:81], v[102:103]
	v_add_f64 v[0:1], v[118:119], v[120:121]
	v_mul_f64 v[118:119], v[78:79], v[102:103]
	s_waitcnt vmcnt(8)
	v_fma_f64 v[4:5], v[78:79], v[104:105], -v[4:5]
	v_fmac_f64_e32 v[118:119], v[80:81], v[104:105]
	v_add_f64 v[2:3], v[2:3], v[4:5]
	s_waitcnt vmcnt(6)
	v_mul_f64 v[4:5], v[84:85], v[110:111]
	v_add_f64 v[0:1], v[0:1], v[118:119]
	v_mul_f64 v[118:119], v[82:83], v[110:111]
	s_waitcnt vmcnt(4)
	v_fma_f64 v[4:5], v[82:83], v[112:113], -v[4:5]
	v_fmac_f64_e32 v[118:119], v[84:85], v[112:113]
	v_add_f64 v[2:3], v[2:3], v[4:5]
	v_add_f64 v[0:1], v[0:1], v[118:119]
	s_waitcnt vmcnt(2)
	v_add_f64 v[2:3], v[114:115], -v[2:3]
	s_waitcnt vmcnt(0)
	v_add_f64 v[0:1], v[116:117], -v[0:1]
	buffer_store_dword v3, off, s[0:3], 0 offset:788
	buffer_store_dword v2, off, s[0:3], 0 offset:784
	;; [unrolled: 1-line block ×4, first 2 shown]
	s_and_saveexec_b64 s[4:5], vcc
	s_cbranch_execz .LBB62_309
; %bb.308:
	v_accvgpr_read_b32 v0, a141
	buffer_load_dword v2, v0, s[0:3], 0 offen
	buffer_load_dword v3, v0, s[0:3], 0 offen offset:4
	buffer_load_dword v4, v0, s[0:3], 0 offen offset:8
	;; [unrolled: 1-line block ×3, first 2 shown]
	v_mov_b32_e32 v0, 0
	v_accvgpr_read_b32 v1, a189
	buffer_store_dword v0, off, s[0:3], 0 offset:768
	buffer_store_dword v0, off, s[0:3], 0 offset:772
	;; [unrolled: 1-line block ×4, first 2 shown]
	s_waitcnt vmcnt(4)
	ds_write_b128 v1, v[2:5]
.LBB62_309:
	s_or_b64 exec, exec, s[4:5]
	s_waitcnt lgkmcnt(0)
	; wave barrier
	s_waitcnt lgkmcnt(0)
	buffer_load_dword v2, off, s[0:3], 0 offset:784
	buffer_load_dword v3, off, s[0:3], 0 offset:788
	;; [unrolled: 1-line block ×64, first 2 shown]
	v_mov_b32_e32 v1, 0
	ds_read_b128 v[38:41], v1 offset:1776
	ds_read_b128 v[42:45], v1 offset:1792
	;; [unrolled: 1-line block ×7, first 2 shown]
	v_cmp_lt_u32_e32 vcc, 46, v254
	s_waitcnt vmcnt(60) lgkmcnt(6)
	v_mul_f64 v[62:63], v[38:39], v[4:5]
	v_fmac_f64_e32 v[62:63], v[40:41], v[2:3]
	s_waitcnt vmcnt(58) lgkmcnt(5)
	v_mul_f64 v[64:65], v[42:43], v[6:7]
	v_add_f64 v[62:63], v[62:63], 0
	s_waitcnt vmcnt(56) lgkmcnt(4)
	v_mul_f64 v[66:67], v[46:47], v[8:9]
	v_mul_f64 v[4:5], v[40:41], v[4:5]
	s_waitcnt vmcnt(54) lgkmcnt(2)
	v_mul_f64 v[70:71], v[54:55], v[10:11]
	v_fma_f64 v[2:3], v[38:39], v[2:3], -v[4:5]
	v_mul_f64 v[4:5], v[44:45], v[6:7]
	s_waitcnt vmcnt(51)
	v_mul_f64 v[68:69], v[50:51], v[14:15]
	v_add_f64 v[2:3], v[2:3], 0
	s_waitcnt vmcnt(49)
	v_fmac_f64_e32 v[64:65], v[44:45], v[20:21]
	v_add_f64 v[62:63], v[62:63], v[64:65]
	s_waitcnt vmcnt(47)
	v_fmac_f64_e32 v[66:67], v[48:49], v[18:19]
	;; [unrolled: 3-line block ×4, first 2 shown]
	v_add_f64 v[66:67], v[62:63], v[70:71]
	ds_read_b128 v[62:65], v1 offset:1872
	s_waitcnt vmcnt(40) lgkmcnt(2)
	v_mul_f64 v[68:69], v[58:59], v[26:27]
	v_fma_f64 v[4:5], v[42:43], v[20:21], -v[4:5]
	s_waitcnt vmcnt(38)
	v_fmac_f64_e32 v[68:69], v[60:61], v[28:29]
	v_add_f64 v[70:71], v[66:67], v[68:69]
	ds_read_b128 v[66:69], v1 offset:1888
	s_waitcnt vmcnt(37) lgkmcnt(1)
	v_mul_f64 v[72:73], v[62:63], v[22:23]
	s_waitcnt vmcnt(36)
	v_fmac_f64_e32 v[72:73], v[64:65], v[24:25]
	v_add_f64 v[2:3], v[2:3], v[4:5]
	v_mul_f64 v[4:5], v[48:49], v[8:9]
	v_add_f64 v[74:75], v[70:71], v[72:73]
	ds_read_b128 v[70:73], v1 offset:1904
	s_waitcnt vmcnt(32) lgkmcnt(1)
	v_mul_f64 v[76:77], v[66:67], v[34:35]
	v_fma_f64 v[4:5], v[46:47], v[18:19], -v[4:5]
	s_waitcnt vmcnt(30)
	v_fmac_f64_e32 v[76:77], v[68:69], v[36:37]
	v_add_f64 v[2:3], v[2:3], v[4:5]
	v_mul_f64 v[4:5], v[52:53], v[14:15]
	v_add_f64 v[78:79], v[74:75], v[76:77]
	ds_read_b128 v[74:77], v1 offset:1920
	v_fma_f64 v[4:5], v[50:51], v[16:17], -v[4:5]
	v_add_f64 v[2:3], v[2:3], v[4:5]
	v_mul_f64 v[4:5], v[56:57], v[10:11]
	v_fma_f64 v[4:5], v[54:55], v[12:13], -v[4:5]
	s_waitcnt vmcnt(29) lgkmcnt(1)
	v_mul_f64 v[80:81], v[70:71], v[30:31]
	v_add_f64 v[2:3], v[2:3], v[4:5]
	v_mul_f64 v[4:5], v[60:61], v[26:27]
	s_waitcnt vmcnt(28)
	v_fmac_f64_e32 v[80:81], v[72:73], v[32:33]
	v_fma_f64 v[4:5], v[58:59], v[28:29], -v[4:5]
	v_add_f64 v[82:83], v[78:79], v[80:81]
	ds_read_b128 v[78:81], v1 offset:1936
	s_waitcnt vmcnt(24) lgkmcnt(1)
	v_mul_f64 v[84:85], v[74:75], v[102:103]
	v_add_f64 v[2:3], v[2:3], v[4:5]
	v_mul_f64 v[4:5], v[64:65], v[22:23]
	s_waitcnt vmcnt(22)
	v_fmac_f64_e32 v[84:85], v[76:77], v[104:105]
	v_fma_f64 v[4:5], v[62:63], v[24:25], -v[4:5]
	v_add_f64 v[86:87], v[82:83], v[84:85]
	ds_read_b128 v[82:85], v1 offset:1952
	v_add_f64 v[2:3], v[2:3], v[4:5]
	v_mul_f64 v[4:5], v[68:69], v[34:35]
	v_fma_f64 v[4:5], v[66:67], v[36:37], -v[4:5]
	v_add_f64 v[2:3], v[2:3], v[4:5]
	v_mul_f64 v[4:5], v[72:73], v[30:31]
	s_waitcnt vmcnt(21) lgkmcnt(1)
	v_mul_f64 v[88:89], v[78:79], v[98:99]
	v_fma_f64 v[4:5], v[70:71], v[32:33], -v[4:5]
	s_waitcnt vmcnt(20)
	v_fmac_f64_e32 v[88:89], v[80:81], v[100:101]
	v_add_f64 v[2:3], v[2:3], v[4:5]
	v_mul_f64 v[4:5], v[76:77], v[102:103]
	v_add_f64 v[90:91], v[86:87], v[88:89]
	ds_read_b128 v[86:89], v1 offset:1968
	s_waitcnt vmcnt(16) lgkmcnt(1)
	v_mul_f64 v[92:93], v[82:83], v[110:111]
	v_fma_f64 v[4:5], v[74:75], v[104:105], -v[4:5]
	s_waitcnt vmcnt(14)
	v_fmac_f64_e32 v[92:93], v[84:85], v[112:113]
	v_add_f64 v[2:3], v[2:3], v[4:5]
	v_mul_f64 v[4:5], v[80:81], v[98:99]
	v_add_f64 v[126:127], v[90:91], v[92:93]
	ds_read_b128 v[90:93], v1 offset:1984
	v_fma_f64 v[4:5], v[78:79], v[100:101], -v[4:5]
	v_add_f64 v[2:3], v[2:3], v[4:5]
	v_mul_f64 v[4:5], v[84:85], v[110:111]
	v_fma_f64 v[4:5], v[82:83], v[112:113], -v[4:5]
	v_add_f64 v[2:3], v[2:3], v[4:5]
	s_waitcnt vmcnt(13) lgkmcnt(1)
	v_mul_f64 v[4:5], v[88:89], v[106:107]
	v_mul_f64 v[128:129], v[86:87], v[106:107]
	s_waitcnt vmcnt(12)
	v_fma_f64 v[4:5], v[86:87], v[108:109], -v[4:5]
	v_fmac_f64_e32 v[128:129], v[88:89], v[108:109]
	v_add_f64 v[2:3], v[2:3], v[4:5]
	s_waitcnt vmcnt(8) lgkmcnt(0)
	v_mul_f64 v[4:5], v[92:93], v[118:119]
	v_add_f64 v[126:127], v[126:127], v[128:129]
	v_mul_f64 v[128:129], v[90:91], v[118:119]
	s_waitcnt vmcnt(6)
	v_fma_f64 v[4:5], v[90:91], v[120:121], -v[4:5]
	v_fmac_f64_e32 v[128:129], v[92:93], v[120:121]
	v_add_f64 v[2:3], v[2:3], v[4:5]
	s_waitcnt vmcnt(5)
	v_mul_f64 v[4:5], v[96:97], v[114:115]
	v_add_f64 v[126:127], v[126:127], v[128:129]
	v_mul_f64 v[128:129], v[94:95], v[114:115]
	s_waitcnt vmcnt(4)
	v_fma_f64 v[4:5], v[94:95], v[116:117], -v[4:5]
	v_fmac_f64_e32 v[128:129], v[96:97], v[116:117]
	v_add_f64 v[2:3], v[2:3], v[4:5]
	v_add_f64 v[126:127], v[126:127], v[128:129]
	s_waitcnt vmcnt(2)
	v_add_f64 v[2:3], v[122:123], -v[2:3]
	s_waitcnt vmcnt(0)
	v_add_f64 v[4:5], v[124:125], -v[126:127]
	buffer_store_dword v3, off, s[0:3], 0 offset:772
	buffer_store_dword v2, off, s[0:3], 0 offset:768
	;; [unrolled: 1-line block ×4, first 2 shown]
	s_and_saveexec_b64 s[4:5], vcc
	s_cbranch_execz .LBB62_311
; %bb.310:
	v_accvgpr_read_b32 v0, a142
	buffer_load_dword v2, v0, s[0:3], 0 offen
	buffer_load_dword v3, v0, s[0:3], 0 offen offset:4
	buffer_load_dword v4, v0, s[0:3], 0 offen offset:8
	;; [unrolled: 1-line block ×3, first 2 shown]
	v_accvgpr_read_b32 v0, a189
	buffer_store_dword v1, off, s[0:3], 0 offset:752
	buffer_store_dword v1, off, s[0:3], 0 offset:756
	;; [unrolled: 1-line block ×4, first 2 shown]
	s_waitcnt vmcnt(4)
	ds_write_b128 v0, v[2:5]
.LBB62_311:
	s_or_b64 exec, exec, s[4:5]
	s_waitcnt lgkmcnt(0)
	; wave barrier
	s_waitcnt lgkmcnt(0)
	buffer_load_dword v2, off, s[0:3], 0 offset:768
	buffer_load_dword v3, off, s[0:3], 0 offset:772
	;; [unrolled: 1-line block ×64, first 2 shown]
	ds_read_b128 v[46:49], v1 offset:1760
	ds_read_b128 v[50:53], v1 offset:1776
	;; [unrolled: 1-line block ×4, first 2 shown]
	buffer_load_dword v130, off, s[0:3], 0 offset:752
	buffer_load_dword v131, off, s[0:3], 0 offset:756
	;; [unrolled: 1-line block ×4, first 2 shown]
	v_cmp_lt_u32_e32 vcc, 45, v254
	ds_read_b128 v[106:109], v1 offset:2000
	s_waitcnt vmcnt(62) lgkmcnt(4)
	v_mul_f64 v[62:63], v[46:47], v[4:5]
	v_fmac_f64_e32 v[62:63], v[48:49], v[2:3]
	v_add_f64 v[62:63], v[62:63], 0
	s_waitcnt lgkmcnt(2)
	v_mul_f64 v[66:67], v[54:55], v[6:7]
	v_mul_f64 v[4:5], v[48:49], v[4:5]
	v_fma_f64 v[2:3], v[46:47], v[2:3], -v[4:5]
	s_waitcnt vmcnt(58) lgkmcnt(1)
	v_mul_f64 v[68:69], v[58:59], v[12:13]
	v_add_f64 v[2:3], v[2:3], 0
	s_waitcnt vmcnt(56)
	v_mul_f64 v[64:65], v[50:51], v[18:19]
	v_mul_f64 v[4:5], v[52:53], v[18:19]
	s_waitcnt vmcnt(53)
	v_fmac_f64_e32 v[66:67], v[56:57], v[16:17]
	s_waitcnt vmcnt(52)
	v_fmac_f64_e32 v[64:65], v[52:53], v[20:21]
	v_add_f64 v[70:71], v[62:63], v[64:65]
	ds_read_b128 v[62:65], v1 offset:1824
	v_add_f64 v[66:67], v[70:71], v[66:67]
	s_waitcnt vmcnt(50)
	v_fmac_f64_e32 v[68:69], v[60:61], v[14:15]
	v_add_f64 v[70:71], v[66:67], v[68:69]
	ds_read_b128 v[66:69], v1 offset:1840
	s_waitcnt vmcnt(49) lgkmcnt(1)
	v_mul_f64 v[72:73], v[62:63], v[8:9]
	s_waitcnt vmcnt(48)
	v_fmac_f64_e32 v[72:73], v[64:65], v[10:11]
	v_add_f64 v[74:75], v[70:71], v[72:73]
	ds_read_b128 v[70:73], v1 offset:1856
	s_waitcnt vmcnt(44) lgkmcnt(1)
	v_mul_f64 v[76:77], v[66:67], v[26:27]
	;; [unrolled: 6-line block ×3, first 2 shown]
	s_waitcnt vmcnt(40)
	v_fmac_f64_e32 v[80:81], v[72:73], v[24:25]
	v_add_f64 v[82:83], v[78:79], v[80:81]
	ds_read_b128 v[78:81], v1 offset:1888
	v_fma_f64 v[4:5], v[50:51], v[20:21], -v[4:5]
	v_add_f64 v[2:3], v[2:3], v[4:5]
	v_mul_f64 v[4:5], v[56:57], v[6:7]
	s_waitcnt vmcnt(36) lgkmcnt(1)
	v_mul_f64 v[84:85], v[74:75], v[34:35]
	v_fma_f64 v[4:5], v[54:55], v[16:17], -v[4:5]
	s_waitcnt vmcnt(34)
	v_fmac_f64_e32 v[84:85], v[76:77], v[36:37]
	v_add_f64 v[2:3], v[2:3], v[4:5]
	v_mul_f64 v[4:5], v[60:61], v[12:13]
	v_add_f64 v[86:87], v[82:83], v[84:85]
	ds_read_b128 v[82:85], v1 offset:1904
	s_waitcnt vmcnt(33) lgkmcnt(1)
	v_mul_f64 v[88:89], v[78:79], v[30:31]
	v_fma_f64 v[4:5], v[58:59], v[14:15], -v[4:5]
	s_waitcnt vmcnt(32)
	v_fmac_f64_e32 v[88:89], v[80:81], v[32:33]
	v_add_f64 v[2:3], v[2:3], v[4:5]
	v_mul_f64 v[4:5], v[64:65], v[8:9]
	v_add_f64 v[90:91], v[86:87], v[88:89]
	ds_read_b128 v[86:89], v1 offset:1920
	v_fma_f64 v[4:5], v[62:63], v[10:11], -v[4:5]
	v_add_f64 v[2:3], v[2:3], v[4:5]
	v_mul_f64 v[4:5], v[68:69], v[26:27]
	v_fma_f64 v[4:5], v[66:67], v[28:29], -v[4:5]
	s_waitcnt vmcnt(28) lgkmcnt(1)
	v_mul_f64 v[92:93], v[82:83], v[42:43]
	v_add_f64 v[2:3], v[2:3], v[4:5]
	v_mul_f64 v[4:5], v[72:73], v[22:23]
	s_waitcnt vmcnt(26)
	v_fmac_f64_e32 v[92:93], v[84:85], v[44:45]
	v_fma_f64 v[4:5], v[70:71], v[24:25], -v[4:5]
	v_add_f64 v[94:95], v[90:91], v[92:93]
	ds_read_b128 v[90:93], v1 offset:1936
	s_waitcnt vmcnt(25) lgkmcnt(1)
	v_mul_f64 v[96:97], v[86:87], v[38:39]
	v_add_f64 v[2:3], v[2:3], v[4:5]
	v_mul_f64 v[4:5], v[76:77], v[34:35]
	s_waitcnt vmcnt(24)
	v_fmac_f64_e32 v[96:97], v[88:89], v[40:41]
	v_fma_f64 v[4:5], v[74:75], v[36:37], -v[4:5]
	v_add_f64 v[98:99], v[94:95], v[96:97]
	ds_read_b128 v[94:97], v1 offset:1952
	v_add_f64 v[2:3], v[2:3], v[4:5]
	v_mul_f64 v[4:5], v[80:81], v[30:31]
	v_fma_f64 v[4:5], v[78:79], v[32:33], -v[4:5]
	v_add_f64 v[2:3], v[2:3], v[4:5]
	v_mul_f64 v[4:5], v[84:85], v[42:43]
	s_waitcnt vmcnt(20) lgkmcnt(1)
	v_mul_f64 v[100:101], v[90:91], v[114:115]
	v_fma_f64 v[4:5], v[82:83], v[44:45], -v[4:5]
	s_waitcnt vmcnt(18)
	v_fmac_f64_e32 v[100:101], v[92:93], v[116:117]
	v_add_f64 v[2:3], v[2:3], v[4:5]
	v_mul_f64 v[4:5], v[88:89], v[38:39]
	v_add_f64 v[102:103], v[98:99], v[100:101]
	ds_read_b128 v[98:101], v1 offset:1968
	s_waitcnt vmcnt(17) lgkmcnt(1)
	v_mul_f64 v[104:105], v[94:95], v[110:111]
	v_fma_f64 v[4:5], v[86:87], v[40:41], -v[4:5]
	s_waitcnt vmcnt(16)
	v_fmac_f64_e32 v[104:105], v[96:97], v[112:113]
	v_add_f64 v[2:3], v[2:3], v[4:5]
	v_mul_f64 v[4:5], v[92:93], v[114:115]
	v_add_f64 v[134:135], v[102:103], v[104:105]
	ds_read_b128 v[102:105], v1 offset:1984
	v_fma_f64 v[4:5], v[90:91], v[116:117], -v[4:5]
	v_add_f64 v[2:3], v[2:3], v[4:5]
	v_mul_f64 v[4:5], v[96:97], v[110:111]
	v_fma_f64 v[4:5], v[94:95], v[112:113], -v[4:5]
	v_add_f64 v[2:3], v[2:3], v[4:5]
	s_waitcnt vmcnt(12) lgkmcnt(1)
	v_mul_f64 v[4:5], v[100:101], v[122:123]
	v_mul_f64 v[136:137], v[98:99], v[122:123]
	s_waitcnt vmcnt(10)
	v_fma_f64 v[4:5], v[98:99], v[124:125], -v[4:5]
	v_fmac_f64_e32 v[136:137], v[100:101], v[124:125]
	v_add_f64 v[2:3], v[2:3], v[4:5]
	s_waitcnt vmcnt(9) lgkmcnt(0)
	v_mul_f64 v[4:5], v[104:105], v[118:119]
	v_add_f64 v[0:1], v[134:135], v[136:137]
	v_mul_f64 v[134:135], v[102:103], v[118:119]
	s_waitcnt vmcnt(8)
	v_fma_f64 v[4:5], v[102:103], v[120:121], -v[4:5]
	v_fmac_f64_e32 v[134:135], v[104:105], v[120:121]
	v_add_f64 v[2:3], v[2:3], v[4:5]
	s_waitcnt vmcnt(6)
	v_mul_f64 v[4:5], v[108:109], v[126:127]
	v_add_f64 v[0:1], v[0:1], v[134:135]
	v_mul_f64 v[134:135], v[106:107], v[126:127]
	s_waitcnt vmcnt(4)
	v_fma_f64 v[4:5], v[106:107], v[128:129], -v[4:5]
	v_fmac_f64_e32 v[134:135], v[108:109], v[128:129]
	v_add_f64 v[2:3], v[2:3], v[4:5]
	v_add_f64 v[0:1], v[0:1], v[134:135]
	s_waitcnt vmcnt(2)
	v_add_f64 v[2:3], v[130:131], -v[2:3]
	s_waitcnt vmcnt(0)
	v_add_f64 v[0:1], v[132:133], -v[0:1]
	buffer_store_dword v3, off, s[0:3], 0 offset:756
	buffer_store_dword v2, off, s[0:3], 0 offset:752
	;; [unrolled: 1-line block ×4, first 2 shown]
	s_and_saveexec_b64 s[4:5], vcc
	s_cbranch_execz .LBB62_313
; %bb.312:
	v_accvgpr_read_b32 v0, a143
	buffer_load_dword v2, v0, s[0:3], 0 offen
	buffer_load_dword v3, v0, s[0:3], 0 offen offset:4
	buffer_load_dword v4, v0, s[0:3], 0 offen offset:8
	;; [unrolled: 1-line block ×3, first 2 shown]
	v_mov_b32_e32 v0, 0
	v_accvgpr_read_b32 v1, a189
	buffer_store_dword v0, off, s[0:3], 0 offset:736
	buffer_store_dword v0, off, s[0:3], 0 offset:740
	;; [unrolled: 1-line block ×4, first 2 shown]
	s_waitcnt vmcnt(4)
	ds_write_b128 v1, v[2:5]
.LBB62_313:
	s_or_b64 exec, exec, s[4:5]
	s_waitcnt lgkmcnt(0)
	; wave barrier
	s_waitcnt lgkmcnt(0)
	buffer_load_dword v2, off, s[0:3], 0 offset:752
	buffer_load_dword v3, off, s[0:3], 0 offset:756
	;; [unrolled: 1-line block ×68, first 2 shown]
	v_mov_b32_e32 v1, 0
	buffer_load_dword v138, off, s[0:3], 0 offset:736
	buffer_load_dword v139, off, s[0:3], 0 offset:740
	;; [unrolled: 1-line block ×3, first 2 shown]
	ds_read_b128 v[46:49], v1 offset:1744
	ds_read_b128 v[50:53], v1 offset:1760
	buffer_load_dword v141, off, s[0:3], 0 offset:748
	ds_read_b128 v[54:57], v1 offset:1776
	ds_read_b128 v[58:61], v1 offset:1792
	;; [unrolled: 1-line block ×3, first 2 shown]
	v_cmp_lt_u32_e32 vcc, 44, v254
	s_waitcnt vmcnt(62) lgkmcnt(4)
	v_mul_f64 v[62:63], v[46:47], v[6:7]
	v_fmac_f64_e32 v[62:63], v[48:49], v[2:3]
	v_add_f64 v[62:63], v[62:63], 0
	v_mul_f64 v[6:7], v[48:49], v[6:7]
	s_waitcnt lgkmcnt(3)
	v_mul_f64 v[64:65], v[50:51], v[10:11]
	v_fmac_f64_e32 v[64:65], v[52:53], v[4:5]
	v_add_f64 v[62:63], v[62:63], v[64:65]
	v_fma_f64 v[2:3], v[46:47], v[2:3], -v[6:7]
	s_waitcnt vmcnt(60) lgkmcnt(2)
	v_mul_f64 v[64:65], v[54:55], v[12:13]
	v_fmac_f64_e32 v[64:65], v[56:57], v[8:9]
	v_add_f64 v[66:67], v[62:63], v[64:65]
	ds_read_b128 v[62:65], v1 offset:1808
	s_waitcnt vmcnt(56) lgkmcnt(2)
	v_mul_f64 v[68:69], v[58:59], v[18:19]
	v_mul_f64 v[6:7], v[52:53], v[10:11]
	s_waitcnt vmcnt(54)
	v_fmac_f64_e32 v[68:69], v[60:61], v[20:21]
	v_add_f64 v[70:71], v[66:67], v[68:69]
	ds_read_b128 v[66:69], v1 offset:1824
	s_waitcnt vmcnt(53) lgkmcnt(1)
	v_mul_f64 v[72:73], v[62:63], v[14:15]
	s_waitcnt vmcnt(52)
	v_fmac_f64_e32 v[72:73], v[64:65], v[16:17]
	v_add_f64 v[74:75], v[70:71], v[72:73]
	ds_read_b128 v[70:73], v1 offset:1840
	s_waitcnt vmcnt(48) lgkmcnt(1)
	;; [unrolled: 6-line block ×4, first 2 shown]
	v_mul_f64 v[84:85], v[74:75], v[34:35]
	s_waitcnt vmcnt(38)
	v_fmac_f64_e32 v[84:85], v[76:77], v[36:37]
	v_add_f64 v[2:3], v[2:3], 0
	v_fma_f64 v[4:5], v[50:51], v[4:5], -v[6:7]
	v_add_f64 v[86:87], v[82:83], v[84:85]
	ds_read_b128 v[82:85], v1 offset:1888
	v_add_f64 v[2:3], v[2:3], v[4:5]
	v_mul_f64 v[4:5], v[56:57], v[12:13]
	v_fma_f64 v[4:5], v[54:55], v[8:9], -v[4:5]
	v_add_f64 v[2:3], v[2:3], v[4:5]
	v_mul_f64 v[4:5], v[60:61], v[18:19]
	s_waitcnt vmcnt(37) lgkmcnt(1)
	v_mul_f64 v[88:89], v[78:79], v[30:31]
	v_fma_f64 v[4:5], v[58:59], v[20:21], -v[4:5]
	s_waitcnt vmcnt(36)
	v_fmac_f64_e32 v[88:89], v[80:81], v[32:33]
	v_add_f64 v[2:3], v[2:3], v[4:5]
	v_mul_f64 v[4:5], v[64:65], v[14:15]
	v_add_f64 v[90:91], v[86:87], v[88:89]
	ds_read_b128 v[86:89], v1 offset:1904
	s_waitcnt vmcnt(32) lgkmcnt(1)
	v_mul_f64 v[92:93], v[82:83], v[42:43]
	v_fma_f64 v[4:5], v[62:63], v[16:17], -v[4:5]
	s_waitcnt vmcnt(30)
	v_fmac_f64_e32 v[92:93], v[84:85], v[44:45]
	v_add_f64 v[2:3], v[2:3], v[4:5]
	v_mul_f64 v[4:5], v[68:69], v[26:27]
	v_add_f64 v[94:95], v[90:91], v[92:93]
	ds_read_b128 v[90:93], v1 offset:1920
	v_fma_f64 v[4:5], v[66:67], v[28:29], -v[4:5]
	v_add_f64 v[2:3], v[2:3], v[4:5]
	v_mul_f64 v[4:5], v[72:73], v[22:23]
	v_fma_f64 v[4:5], v[70:71], v[24:25], -v[4:5]
	s_waitcnt vmcnt(29) lgkmcnt(1)
	v_mul_f64 v[96:97], v[86:87], v[38:39]
	v_add_f64 v[2:3], v[2:3], v[4:5]
	v_mul_f64 v[4:5], v[76:77], v[34:35]
	s_waitcnt vmcnt(28)
	v_fmac_f64_e32 v[96:97], v[88:89], v[40:41]
	v_fma_f64 v[4:5], v[74:75], v[36:37], -v[4:5]
	v_add_f64 v[98:99], v[94:95], v[96:97]
	ds_read_b128 v[94:97], v1 offset:1936
	s_waitcnt vmcnt(24) lgkmcnt(1)
	v_mul_f64 v[100:101], v[90:91], v[118:119]
	v_add_f64 v[2:3], v[2:3], v[4:5]
	v_mul_f64 v[4:5], v[80:81], v[30:31]
	s_waitcnt vmcnt(22)
	v_fmac_f64_e32 v[100:101], v[92:93], v[120:121]
	v_fma_f64 v[4:5], v[78:79], v[32:33], -v[4:5]
	v_add_f64 v[102:103], v[98:99], v[100:101]
	ds_read_b128 v[98:101], v1 offset:1952
	v_add_f64 v[2:3], v[2:3], v[4:5]
	v_mul_f64 v[4:5], v[84:85], v[42:43]
	v_fma_f64 v[4:5], v[82:83], v[44:45], -v[4:5]
	v_add_f64 v[2:3], v[2:3], v[4:5]
	v_mul_f64 v[4:5], v[88:89], v[38:39]
	s_waitcnt vmcnt(21) lgkmcnt(1)
	v_mul_f64 v[104:105], v[94:95], v[114:115]
	v_fma_f64 v[4:5], v[86:87], v[40:41], -v[4:5]
	s_waitcnt vmcnt(20)
	v_fmac_f64_e32 v[104:105], v[96:97], v[116:117]
	v_add_f64 v[2:3], v[2:3], v[4:5]
	v_mul_f64 v[4:5], v[92:93], v[118:119]
	v_add_f64 v[106:107], v[102:103], v[104:105]
	ds_read_b128 v[102:105], v1 offset:1968
	s_waitcnt vmcnt(16) lgkmcnt(1)
	v_mul_f64 v[108:109], v[98:99], v[126:127]
	v_fma_f64 v[4:5], v[90:91], v[120:121], -v[4:5]
	s_waitcnt vmcnt(14)
	v_fmac_f64_e32 v[108:109], v[100:101], v[128:129]
	v_add_f64 v[2:3], v[2:3], v[4:5]
	v_mul_f64 v[4:5], v[96:97], v[114:115]
	v_add_f64 v[142:143], v[106:107], v[108:109]
	ds_read_b128 v[106:109], v1 offset:1984
	v_fma_f64 v[4:5], v[94:95], v[116:117], -v[4:5]
	v_add_f64 v[2:3], v[2:3], v[4:5]
	v_mul_f64 v[4:5], v[100:101], v[126:127]
	v_fma_f64 v[4:5], v[98:99], v[128:129], -v[4:5]
	v_add_f64 v[2:3], v[2:3], v[4:5]
	s_waitcnt vmcnt(13) lgkmcnt(1)
	v_mul_f64 v[4:5], v[104:105], v[122:123]
	v_mul_f64 v[144:145], v[102:103], v[122:123]
	s_waitcnt vmcnt(12)
	v_fma_f64 v[4:5], v[102:103], v[124:125], -v[4:5]
	v_fmac_f64_e32 v[144:145], v[104:105], v[124:125]
	v_add_f64 v[2:3], v[2:3], v[4:5]
	s_waitcnt vmcnt(8) lgkmcnt(0)
	v_mul_f64 v[4:5], v[108:109], v[134:135]
	v_add_f64 v[142:143], v[142:143], v[144:145]
	v_mul_f64 v[144:145], v[106:107], v[134:135]
	s_waitcnt vmcnt(6)
	v_fma_f64 v[4:5], v[106:107], v[136:137], -v[4:5]
	v_fmac_f64_e32 v[144:145], v[108:109], v[136:137]
	v_add_f64 v[2:3], v[2:3], v[4:5]
	s_waitcnt vmcnt(5)
	v_mul_f64 v[4:5], v[112:113], v[130:131]
	v_add_f64 v[142:143], v[142:143], v[144:145]
	v_mul_f64 v[144:145], v[110:111], v[130:131]
	s_waitcnt vmcnt(4)
	v_fma_f64 v[4:5], v[110:111], v[132:133], -v[4:5]
	v_fmac_f64_e32 v[144:145], v[112:113], v[132:133]
	v_add_f64 v[2:3], v[2:3], v[4:5]
	v_add_f64 v[142:143], v[142:143], v[144:145]
	s_waitcnt vmcnt(2)
	v_add_f64 v[2:3], v[138:139], -v[2:3]
	s_waitcnt vmcnt(0)
	v_add_f64 v[4:5], v[140:141], -v[142:143]
	buffer_store_dword v3, off, s[0:3], 0 offset:740
	buffer_store_dword v2, off, s[0:3], 0 offset:736
	;; [unrolled: 1-line block ×4, first 2 shown]
	s_and_saveexec_b64 s[4:5], vcc
	s_cbranch_execz .LBB62_315
; %bb.314:
	v_accvgpr_read_b32 v0, a144
	buffer_load_dword v2, v0, s[0:3], 0 offen
	buffer_load_dword v3, v0, s[0:3], 0 offen offset:4
	buffer_load_dword v4, v0, s[0:3], 0 offen offset:8
	;; [unrolled: 1-line block ×3, first 2 shown]
	v_accvgpr_read_b32 v0, a189
	buffer_store_dword v1, off, s[0:3], 0 offset:720
	buffer_store_dword v1, off, s[0:3], 0 offset:724
	;; [unrolled: 1-line block ×4, first 2 shown]
	s_waitcnt vmcnt(4)
	ds_write_b128 v0, v[2:5]
.LBB62_315:
	s_or_b64 exec, exec, s[4:5]
	s_waitcnt lgkmcnt(0)
	; wave barrier
	s_waitcnt lgkmcnt(0)
	buffer_load_dword v2, off, s[0:3], 0 offset:736
	buffer_load_dword v3, off, s[0:3], 0 offset:740
	;; [unrolled: 1-line block ×72, first 2 shown]
	ds_read_b128 v[52:55], v1 offset:1728
	buffer_load_dword v146, off, s[0:3], 0 offset:720
	buffer_load_dword v147, off, s[0:3], 0 offset:724
	;; [unrolled: 1-line block ×4, first 2 shown]
	ds_read_b128 v[56:59], v1 offset:1744
	ds_read_b128 v[60:63], v1 offset:1760
	;; [unrolled: 1-line block ×3, first 2 shown]
	v_cmp_lt_u32_e32 vcc, 43, v254
	ds_read_b128 v[120:123], v1 offset:2000
	s_waitcnt vmcnt(62) lgkmcnt(4)
	v_mul_f64 v[68:69], v[52:53], v[8:9]
	v_fmac_f64_e32 v[68:69], v[54:55], v[2:3]
	v_add_f64 v[68:69], v[68:69], 0
	v_mul_f64 v[8:9], v[54:55], v[8:9]
	s_waitcnt lgkmcnt(3)
	v_mul_f64 v[70:71], v[56:57], v[10:11]
	v_fmac_f64_e32 v[70:71], v[58:59], v[4:5]
	v_add_f64 v[68:69], v[68:69], v[70:71]
	v_fma_f64 v[2:3], v[52:53], v[2:3], -v[8:9]
	s_waitcnt lgkmcnt(2)
	v_mul_f64 v[70:71], v[60:61], v[12:13]
	v_fmac_f64_e32 v[70:71], v[62:63], v[6:7]
	v_add_f64 v[72:73], v[68:69], v[70:71]
	ds_read_b128 v[68:71], v1 offset:1792
	s_waitcnt vmcnt(60) lgkmcnt(2)
	v_mul_f64 v[74:75], v[64:65], v[18:19]
	v_mul_f64 v[8:9], v[58:59], v[10:11]
	s_waitcnt vmcnt(58)
	v_fmac_f64_e32 v[74:75], v[66:67], v[20:21]
	v_add_f64 v[76:77], v[72:73], v[74:75]
	ds_read_b128 v[72:75], v1 offset:1808
	s_waitcnt vmcnt(57) lgkmcnt(1)
	v_mul_f64 v[78:79], v[68:69], v[14:15]
	s_waitcnt vmcnt(56)
	v_fmac_f64_e32 v[78:79], v[70:71], v[16:17]
	v_add_f64 v[80:81], v[76:77], v[78:79]
	ds_read_b128 v[76:79], v1 offset:1824
	s_waitcnt vmcnt(52) lgkmcnt(1)
	;; [unrolled: 6-line block ×4, first 2 shown]
	v_mul_f64 v[90:91], v[80:81], v[34:35]
	s_waitcnt vmcnt(42)
	v_fmac_f64_e32 v[90:91], v[82:83], v[36:37]
	v_add_f64 v[2:3], v[2:3], 0
	v_fma_f64 v[4:5], v[56:57], v[4:5], -v[8:9]
	v_add_f64 v[92:93], v[88:89], v[90:91]
	ds_read_b128 v[88:91], v1 offset:1872
	s_waitcnt vmcnt(41) lgkmcnt(1)
	v_mul_f64 v[94:95], v[84:85], v[30:31]
	v_add_f64 v[2:3], v[2:3], v[4:5]
	v_mul_f64 v[4:5], v[62:63], v[12:13]
	s_waitcnt vmcnt(40)
	v_fmac_f64_e32 v[94:95], v[86:87], v[32:33]
	v_fma_f64 v[4:5], v[60:61], v[6:7], -v[4:5]
	v_add_f64 v[96:97], v[92:93], v[94:95]
	ds_read_b128 v[92:95], v1 offset:1888
	v_add_f64 v[2:3], v[2:3], v[4:5]
	v_mul_f64 v[4:5], v[66:67], v[18:19]
	v_fma_f64 v[4:5], v[64:65], v[20:21], -v[4:5]
	v_add_f64 v[2:3], v[2:3], v[4:5]
	v_mul_f64 v[4:5], v[70:71], v[14:15]
	s_waitcnt vmcnt(36) lgkmcnt(1)
	v_mul_f64 v[98:99], v[88:89], v[42:43]
	v_fma_f64 v[4:5], v[68:69], v[16:17], -v[4:5]
	s_waitcnt vmcnt(34)
	v_fmac_f64_e32 v[98:99], v[90:91], v[44:45]
	v_add_f64 v[2:3], v[2:3], v[4:5]
	v_mul_f64 v[4:5], v[74:75], v[26:27]
	v_add_f64 v[100:101], v[96:97], v[98:99]
	ds_read_b128 v[96:99], v1 offset:1904
	s_waitcnt vmcnt(33) lgkmcnt(1)
	v_mul_f64 v[102:103], v[92:93], v[38:39]
	v_fma_f64 v[4:5], v[72:73], v[28:29], -v[4:5]
	s_waitcnt vmcnt(32)
	v_fmac_f64_e32 v[102:103], v[94:95], v[40:41]
	v_add_f64 v[2:3], v[2:3], v[4:5]
	v_mul_f64 v[4:5], v[78:79], v[22:23]
	v_add_f64 v[104:105], v[100:101], v[102:103]
	ds_read_b128 v[100:103], v1 offset:1920
	v_fma_f64 v[4:5], v[76:77], v[24:25], -v[4:5]
	v_add_f64 v[2:3], v[2:3], v[4:5]
	v_mul_f64 v[4:5], v[82:83], v[34:35]
	v_fma_f64 v[4:5], v[80:81], v[36:37], -v[4:5]
	s_waitcnt vmcnt(28) lgkmcnt(1)
	v_mul_f64 v[106:107], v[96:97], v[50:51]
	v_add_f64 v[2:3], v[2:3], v[4:5]
	v_mul_f64 v[4:5], v[86:87], v[30:31]
	s_waitcnt vmcnt(26)
	v_fmac_f64_e32 v[106:107], v[98:99], v[124:125]
	v_fma_f64 v[4:5], v[84:85], v[32:33], -v[4:5]
	v_add_f64 v[108:109], v[104:105], v[106:107]
	ds_read_b128 v[104:107], v1 offset:1936
	s_waitcnt vmcnt(25) lgkmcnt(1)
	v_mul_f64 v[110:111], v[100:101], v[46:47]
	v_add_f64 v[2:3], v[2:3], v[4:5]
	v_mul_f64 v[4:5], v[90:91], v[42:43]
	s_waitcnt vmcnt(24)
	v_fmac_f64_e32 v[110:111], v[102:103], v[48:49]
	v_fma_f64 v[4:5], v[88:89], v[44:45], -v[4:5]
	v_add_f64 v[112:113], v[108:109], v[110:111]
	ds_read_b128 v[108:111], v1 offset:1952
	v_add_f64 v[2:3], v[2:3], v[4:5]
	v_mul_f64 v[4:5], v[94:95], v[38:39]
	v_fma_f64 v[4:5], v[92:93], v[40:41], -v[4:5]
	v_add_f64 v[2:3], v[2:3], v[4:5]
	v_mul_f64 v[4:5], v[98:99], v[50:51]
	s_waitcnt vmcnt(20) lgkmcnt(1)
	v_mul_f64 v[114:115], v[104:105], v[130:131]
	v_fma_f64 v[4:5], v[96:97], v[124:125], -v[4:5]
	s_waitcnt vmcnt(18)
	v_fmac_f64_e32 v[114:115], v[106:107], v[132:133]
	v_add_f64 v[2:3], v[2:3], v[4:5]
	v_mul_f64 v[4:5], v[102:103], v[46:47]
	v_add_f64 v[116:117], v[112:113], v[114:115]
	ds_read_b128 v[112:115], v1 offset:1968
	s_waitcnt vmcnt(17) lgkmcnt(1)
	v_mul_f64 v[118:119], v[108:109], v[126:127]
	v_fma_f64 v[4:5], v[100:101], v[48:49], -v[4:5]
	s_waitcnt vmcnt(16)
	v_fmac_f64_e32 v[118:119], v[110:111], v[128:129]
	v_add_f64 v[2:3], v[2:3], v[4:5]
	v_mul_f64 v[4:5], v[106:107], v[130:131]
	v_add_f64 v[150:151], v[116:117], v[118:119]
	ds_read_b128 v[116:119], v1 offset:1984
	v_fma_f64 v[4:5], v[104:105], v[132:133], -v[4:5]
	v_add_f64 v[2:3], v[2:3], v[4:5]
	v_mul_f64 v[4:5], v[110:111], v[126:127]
	v_fma_f64 v[4:5], v[108:109], v[128:129], -v[4:5]
	v_add_f64 v[2:3], v[2:3], v[4:5]
	s_waitcnt vmcnt(12) lgkmcnt(1)
	v_mul_f64 v[4:5], v[114:115], v[138:139]
	v_mul_f64 v[152:153], v[112:113], v[138:139]
	s_waitcnt vmcnt(10)
	v_fma_f64 v[4:5], v[112:113], v[140:141], -v[4:5]
	v_fmac_f64_e32 v[152:153], v[114:115], v[140:141]
	v_add_f64 v[2:3], v[2:3], v[4:5]
	s_waitcnt vmcnt(9) lgkmcnt(0)
	v_mul_f64 v[4:5], v[118:119], v[134:135]
	v_add_f64 v[0:1], v[150:151], v[152:153]
	v_mul_f64 v[150:151], v[116:117], v[134:135]
	s_waitcnt vmcnt(8)
	v_fma_f64 v[4:5], v[116:117], v[136:137], -v[4:5]
	v_fmac_f64_e32 v[150:151], v[118:119], v[136:137]
	v_add_f64 v[2:3], v[2:3], v[4:5]
	s_waitcnt vmcnt(6)
	v_mul_f64 v[4:5], v[122:123], v[142:143]
	v_add_f64 v[0:1], v[0:1], v[150:151]
	v_mul_f64 v[150:151], v[120:121], v[142:143]
	s_waitcnt vmcnt(4)
	v_fma_f64 v[4:5], v[120:121], v[144:145], -v[4:5]
	v_fmac_f64_e32 v[150:151], v[122:123], v[144:145]
	v_add_f64 v[2:3], v[2:3], v[4:5]
	v_add_f64 v[0:1], v[0:1], v[150:151]
	s_waitcnt vmcnt(2)
	v_add_f64 v[2:3], v[146:147], -v[2:3]
	s_waitcnt vmcnt(0)
	v_add_f64 v[0:1], v[148:149], -v[0:1]
	buffer_store_dword v3, off, s[0:3], 0 offset:724
	buffer_store_dword v2, off, s[0:3], 0 offset:720
	;; [unrolled: 1-line block ×4, first 2 shown]
	s_and_saveexec_b64 s[4:5], vcc
	s_cbranch_execz .LBB62_317
; %bb.316:
	v_accvgpr_read_b32 v0, a145
	buffer_load_dword v2, v0, s[0:3], 0 offen
	buffer_load_dword v3, v0, s[0:3], 0 offen offset:4
	buffer_load_dword v4, v0, s[0:3], 0 offen offset:8
	;; [unrolled: 1-line block ×3, first 2 shown]
	v_mov_b32_e32 v0, 0
	v_accvgpr_read_b32 v1, a189
	buffer_store_dword v0, off, s[0:3], 0 offset:704
	buffer_store_dword v0, off, s[0:3], 0 offset:708
	;; [unrolled: 1-line block ×4, first 2 shown]
	s_waitcnt vmcnt(4)
	ds_write_b128 v1, v[2:5]
.LBB62_317:
	s_or_b64 exec, exec, s[4:5]
	s_waitcnt lgkmcnt(0)
	; wave barrier
	s_waitcnt lgkmcnt(0)
	buffer_load_dword v2, off, s[0:3], 0 offset:720
	buffer_load_dword v3, off, s[0:3], 0 offset:724
	;; [unrolled: 1-line block ×76, first 2 shown]
	v_mov_b32_e32 v1, 0
	ds_read_b128 v[54:57], v1 offset:1712
	buffer_load_dword v154, off, s[0:3], 0 offset:704
	buffer_load_dword v155, off, s[0:3], 0 offset:708
	;; [unrolled: 1-line block ×4, first 2 shown]
	ds_read_b128 v[58:61], v1 offset:1728
	ds_read_b128 v[62:65], v1 offset:1744
	;; [unrolled: 1-line block ×4, first 2 shown]
	v_cmp_lt_u32_e32 vcc, 42, v254
	s_waitcnt vmcnt(62) lgkmcnt(4)
	v_mul_f64 v[70:71], v[54:55], v[8:9]
	v_fmac_f64_e32 v[70:71], v[56:57], v[2:3]
	v_add_f64 v[70:71], v[70:71], 0
	v_mul_f64 v[8:9], v[56:57], v[8:9]
	s_waitcnt lgkmcnt(3)
	v_mul_f64 v[72:73], v[58:59], v[10:11]
	v_fmac_f64_e32 v[72:73], v[60:61], v[4:5]
	v_add_f64 v[70:71], v[70:71], v[72:73]
	v_fma_f64 v[2:3], v[54:55], v[2:3], -v[8:9]
	s_waitcnt lgkmcnt(2)
	v_mul_f64 v[72:73], v[62:63], v[12:13]
	v_fmac_f64_e32 v[72:73], v[64:65], v[6:7]
	v_add_f64 v[74:75], v[70:71], v[72:73]
	ds_read_b128 v[70:73], v1 offset:1776
	s_waitcnt lgkmcnt(2)
	v_mul_f64 v[76:77], v[66:67], v[18:19]
	v_mul_f64 v[8:9], v[60:61], v[10:11]
	v_fmac_f64_e32 v[76:77], v[68:69], v[20:21]
	v_add_f64 v[78:79], v[74:75], v[76:77]
	ds_read_b128 v[74:77], v1 offset:1792
	s_waitcnt vmcnt(61) lgkmcnt(1)
	v_mul_f64 v[80:81], v[70:71], v[14:15]
	s_waitcnt vmcnt(60)
	v_fmac_f64_e32 v[80:81], v[72:73], v[16:17]
	v_add_f64 v[82:83], v[78:79], v[80:81]
	ds_read_b128 v[78:81], v1 offset:1808
	s_waitcnt vmcnt(56) lgkmcnt(1)
	v_mul_f64 v[84:85], v[74:75], v[26:27]
	s_waitcnt vmcnt(54)
	;; [unrolled: 6-line block ×4, first 2 shown]
	v_fmac_f64_e32 v[92:93], v[84:85], v[36:37]
	v_add_f64 v[94:95], v[90:91], v[92:93]
	ds_read_b128 v[90:93], v1 offset:1856
	v_add_f64 v[2:3], v[2:3], 0
	v_fma_f64 v[4:5], v[58:59], v[4:5], -v[8:9]
	s_waitcnt vmcnt(45) lgkmcnt(1)
	v_mul_f64 v[96:97], v[86:87], v[30:31]
	v_add_f64 v[2:3], v[2:3], v[4:5]
	v_mul_f64 v[4:5], v[64:65], v[12:13]
	s_waitcnt vmcnt(44)
	v_fmac_f64_e32 v[96:97], v[88:89], v[32:33]
	v_fma_f64 v[4:5], v[62:63], v[6:7], -v[4:5]
	v_add_f64 v[98:99], v[94:95], v[96:97]
	ds_read_b128 v[94:97], v1 offset:1872
	s_waitcnt vmcnt(40) lgkmcnt(1)
	v_mul_f64 v[100:101], v[90:91], v[42:43]
	v_add_f64 v[2:3], v[2:3], v[4:5]
	v_mul_f64 v[4:5], v[68:69], v[18:19]
	s_waitcnt vmcnt(38)
	v_fmac_f64_e32 v[100:101], v[92:93], v[44:45]
	v_fma_f64 v[4:5], v[66:67], v[20:21], -v[4:5]
	v_add_f64 v[102:103], v[98:99], v[100:101]
	ds_read_b128 v[98:101], v1 offset:1888
	v_add_f64 v[2:3], v[2:3], v[4:5]
	v_mul_f64 v[4:5], v[72:73], v[14:15]
	v_fma_f64 v[4:5], v[70:71], v[16:17], -v[4:5]
	v_add_f64 v[2:3], v[2:3], v[4:5]
	v_mul_f64 v[4:5], v[76:77], v[26:27]
	s_waitcnt vmcnt(37) lgkmcnt(1)
	v_mul_f64 v[104:105], v[94:95], v[38:39]
	v_fma_f64 v[4:5], v[74:75], v[28:29], -v[4:5]
	s_waitcnt vmcnt(36)
	v_fmac_f64_e32 v[104:105], v[96:97], v[40:41]
	v_add_f64 v[2:3], v[2:3], v[4:5]
	v_mul_f64 v[4:5], v[80:81], v[22:23]
	v_add_f64 v[106:107], v[102:103], v[104:105]
	ds_read_b128 v[102:105], v1 offset:1904
	s_waitcnt vmcnt(32) lgkmcnt(1)
	v_mul_f64 v[108:109], v[98:99], v[50:51]
	v_fma_f64 v[4:5], v[78:79], v[24:25], -v[4:5]
	s_waitcnt vmcnt(30)
	v_fmac_f64_e32 v[108:109], v[100:101], v[52:53]
	v_add_f64 v[2:3], v[2:3], v[4:5]
	v_mul_f64 v[4:5], v[84:85], v[34:35]
	v_add_f64 v[110:111], v[106:107], v[108:109]
	ds_read_b128 v[106:109], v1 offset:1920
	v_fma_f64 v[4:5], v[82:83], v[36:37], -v[4:5]
	v_add_f64 v[2:3], v[2:3], v[4:5]
	v_mul_f64 v[4:5], v[88:89], v[30:31]
	v_fma_f64 v[4:5], v[86:87], v[32:33], -v[4:5]
	s_waitcnt vmcnt(29) lgkmcnt(1)
	v_mul_f64 v[112:113], v[102:103], v[46:47]
	v_add_f64 v[2:3], v[2:3], v[4:5]
	v_mul_f64 v[4:5], v[92:93], v[42:43]
	s_waitcnt vmcnt(28)
	v_fmac_f64_e32 v[112:113], v[104:105], v[48:49]
	v_fma_f64 v[4:5], v[90:91], v[44:45], -v[4:5]
	v_add_f64 v[114:115], v[110:111], v[112:113]
	ds_read_b128 v[110:113], v1 offset:1936
	s_waitcnt vmcnt(24) lgkmcnt(1)
	v_mul_f64 v[116:117], v[106:107], v[134:135]
	v_add_f64 v[2:3], v[2:3], v[4:5]
	v_mul_f64 v[4:5], v[96:97], v[38:39]
	s_waitcnt vmcnt(22)
	v_fmac_f64_e32 v[116:117], v[108:109], v[136:137]
	v_fma_f64 v[4:5], v[94:95], v[40:41], -v[4:5]
	v_add_f64 v[118:119], v[114:115], v[116:117]
	ds_read_b128 v[114:117], v1 offset:1952
	v_add_f64 v[2:3], v[2:3], v[4:5]
	v_mul_f64 v[4:5], v[100:101], v[50:51]
	v_fma_f64 v[4:5], v[98:99], v[52:53], -v[4:5]
	v_add_f64 v[2:3], v[2:3], v[4:5]
	v_mul_f64 v[4:5], v[104:105], v[46:47]
	s_waitcnt vmcnt(21) lgkmcnt(1)
	v_mul_f64 v[120:121], v[110:111], v[130:131]
	v_fma_f64 v[4:5], v[102:103], v[48:49], -v[4:5]
	s_waitcnt vmcnt(20)
	v_fmac_f64_e32 v[120:121], v[112:113], v[132:133]
	v_add_f64 v[2:3], v[2:3], v[4:5]
	v_mul_f64 v[4:5], v[108:109], v[134:135]
	v_add_f64 v[122:123], v[118:119], v[120:121]
	ds_read_b128 v[118:121], v1 offset:1968
	s_waitcnt vmcnt(16) lgkmcnt(1)
	v_mul_f64 v[124:125], v[114:115], v[142:143]
	v_fma_f64 v[4:5], v[106:107], v[136:137], -v[4:5]
	s_waitcnt vmcnt(14)
	v_fmac_f64_e32 v[124:125], v[116:117], v[144:145]
	v_add_f64 v[2:3], v[2:3], v[4:5]
	v_mul_f64 v[4:5], v[112:113], v[130:131]
	v_add_f64 v[158:159], v[122:123], v[124:125]
	ds_read_b128 v[122:125], v1 offset:1984
	v_fma_f64 v[4:5], v[110:111], v[132:133], -v[4:5]
	v_add_f64 v[2:3], v[2:3], v[4:5]
	v_mul_f64 v[4:5], v[116:117], v[142:143]
	v_fma_f64 v[4:5], v[114:115], v[144:145], -v[4:5]
	v_add_f64 v[2:3], v[2:3], v[4:5]
	s_waitcnt vmcnt(13) lgkmcnt(1)
	v_mul_f64 v[4:5], v[120:121], v[138:139]
	v_mul_f64 v[160:161], v[118:119], v[138:139]
	s_waitcnt vmcnt(12)
	v_fma_f64 v[4:5], v[118:119], v[140:141], -v[4:5]
	v_fmac_f64_e32 v[160:161], v[120:121], v[140:141]
	v_add_f64 v[2:3], v[2:3], v[4:5]
	s_waitcnt vmcnt(8) lgkmcnt(0)
	v_mul_f64 v[4:5], v[124:125], v[150:151]
	v_add_f64 v[158:159], v[158:159], v[160:161]
	v_mul_f64 v[160:161], v[122:123], v[150:151]
	s_waitcnt vmcnt(6)
	v_fma_f64 v[4:5], v[122:123], v[152:153], -v[4:5]
	v_fmac_f64_e32 v[160:161], v[124:125], v[152:153]
	v_add_f64 v[2:3], v[2:3], v[4:5]
	s_waitcnt vmcnt(5)
	v_mul_f64 v[4:5], v[128:129], v[146:147]
	v_add_f64 v[158:159], v[158:159], v[160:161]
	v_mul_f64 v[160:161], v[126:127], v[146:147]
	s_waitcnt vmcnt(4)
	v_fma_f64 v[4:5], v[126:127], v[148:149], -v[4:5]
	v_fmac_f64_e32 v[160:161], v[128:129], v[148:149]
	v_add_f64 v[2:3], v[2:3], v[4:5]
	v_add_f64 v[158:159], v[158:159], v[160:161]
	s_waitcnt vmcnt(2)
	v_add_f64 v[2:3], v[154:155], -v[2:3]
	s_waitcnt vmcnt(0)
	v_add_f64 v[4:5], v[156:157], -v[158:159]
	buffer_store_dword v3, off, s[0:3], 0 offset:708
	buffer_store_dword v2, off, s[0:3], 0 offset:704
	;; [unrolled: 1-line block ×4, first 2 shown]
	s_and_saveexec_b64 s[4:5], vcc
	s_cbranch_execz .LBB62_319
; %bb.318:
	v_accvgpr_read_b32 v0, a146
	buffer_load_dword v2, v0, s[0:3], 0 offen
	buffer_load_dword v3, v0, s[0:3], 0 offen offset:4
	buffer_load_dword v4, v0, s[0:3], 0 offen offset:8
	;; [unrolled: 1-line block ×3, first 2 shown]
	v_accvgpr_read_b32 v0, a189
	buffer_store_dword v1, off, s[0:3], 0 offset:688
	buffer_store_dword v1, off, s[0:3], 0 offset:692
	;; [unrolled: 1-line block ×4, first 2 shown]
	s_waitcnt vmcnt(4)
	ds_write_b128 v0, v[2:5]
.LBB62_319:
	s_or_b64 exec, exec, s[4:5]
	s_waitcnt lgkmcnt(0)
	; wave barrier
	s_waitcnt lgkmcnt(0)
	buffer_load_dword v2, off, s[0:3], 0 offset:704
	buffer_load_dword v3, off, s[0:3], 0 offset:708
	;; [unrolled: 1-line block ×76, first 2 shown]
	ds_read_b128 v[54:57], v1 offset:1696
	buffer_load_dword v159, off, s[0:3], 0 offset:1020
	buffer_load_dword v158, off, s[0:3], 0 offset:1016
	;; [unrolled: 1-line block ×8, first 2 shown]
	ds_read_b128 v[58:61], v1 offset:1712
	ds_read_b128 v[62:65], v1 offset:1728
	;; [unrolled: 1-line block ×3, first 2 shown]
	v_cmp_lt_u32_e32 vcc, 41, v254
	ds_read_b128 v[130:133], v1 offset:2000
	s_waitcnt vmcnt(62) lgkmcnt(4)
	v_mul_f64 v[70:71], v[54:55], v[8:9]
	v_fmac_f64_e32 v[70:71], v[56:57], v[2:3]
	v_add_f64 v[70:71], v[70:71], 0
	v_mul_f64 v[8:9], v[56:57], v[8:9]
	s_waitcnt lgkmcnt(3)
	v_mul_f64 v[72:73], v[58:59], v[10:11]
	v_fmac_f64_e32 v[72:73], v[60:61], v[4:5]
	v_add_f64 v[70:71], v[70:71], v[72:73]
	v_fma_f64 v[2:3], v[54:55], v[2:3], -v[8:9]
	s_waitcnt lgkmcnt(2)
	v_mul_f64 v[72:73], v[62:63], v[12:13]
	v_fmac_f64_e32 v[72:73], v[64:65], v[6:7]
	v_add_f64 v[74:75], v[70:71], v[72:73]
	ds_read_b128 v[70:73], v1 offset:1760
	v_mul_f64 v[8:9], v[60:61], v[10:11]
	v_add_f64 v[2:3], v[2:3], 0
	s_waitcnt lgkmcnt(2)
	v_mul_f64 v[76:77], v[66:67], v[18:19]
	v_fma_f64 v[4:5], v[58:59], v[4:5], -v[8:9]
	v_fmac_f64_e32 v[76:77], v[68:69], v[20:21]
	v_add_f64 v[78:79], v[74:75], v[76:77]
	ds_read_b128 v[74:77], v1 offset:1776
	s_waitcnt lgkmcnt(1)
	v_mul_f64 v[80:81], v[70:71], v[14:15]
	v_fmac_f64_e32 v[80:81], v[72:73], v[16:17]
	v_add_f64 v[82:83], v[78:79], v[80:81]
	ds_read_b128 v[78:81], v1 offset:1792
	s_waitcnt vmcnt(58) lgkmcnt(1)
	v_mul_f64 v[84:85], v[74:75], v[26:27]
	s_waitcnt vmcnt(56)
	v_fmac_f64_e32 v[84:85], v[76:77], v[28:29]
	v_add_f64 v[86:87], v[82:83], v[84:85]
	ds_read_b128 v[82:85], v1 offset:1808
	s_waitcnt lgkmcnt(1)
	v_mul_f64 v[88:89], v[78:79], v[22:23]
	v_fmac_f64_e32 v[88:89], v[80:81], v[24:25]
	v_add_f64 v[90:91], v[86:87], v[88:89]
	ds_read_b128 v[86:89], v1 offset:1824
	s_waitcnt vmcnt(50) lgkmcnt(1)
	v_mul_f64 v[92:93], v[82:83], v[34:35]
	s_waitcnt vmcnt(48)
	v_fmac_f64_e32 v[92:93], v[84:85], v[36:37]
	v_add_f64 v[94:95], v[90:91], v[92:93]
	ds_read_b128 v[90:93], v1 offset:1840
	s_waitcnt lgkmcnt(1)
	v_mul_f64 v[96:97], v[86:87], v[30:31]
	v_fmac_f64_e32 v[96:97], v[88:89], v[32:33]
	v_add_f64 v[98:99], v[94:95], v[96:97]
	ds_read_b128 v[94:97], v1 offset:1856
	v_add_f64 v[2:3], v[2:3], v[4:5]
	v_mul_f64 v[4:5], v[64:65], v[12:13]
	v_fma_f64 v[4:5], v[62:63], v[6:7], -v[4:5]
	s_waitcnt vmcnt(42) lgkmcnt(1)
	v_mul_f64 v[100:101], v[90:91], v[42:43]
	v_add_f64 v[2:3], v[2:3], v[4:5]
	v_mul_f64 v[4:5], v[68:69], v[18:19]
	s_waitcnt vmcnt(40)
	v_fmac_f64_e32 v[100:101], v[92:93], v[44:45]
	v_fma_f64 v[4:5], v[66:67], v[20:21], -v[4:5]
	v_add_f64 v[102:103], v[98:99], v[100:101]
	ds_read_b128 v[98:101], v1 offset:1872
	s_waitcnt lgkmcnt(1)
	v_mul_f64 v[104:105], v[94:95], v[38:39]
	v_add_f64 v[2:3], v[2:3], v[4:5]
	v_mul_f64 v[4:5], v[72:73], v[14:15]
	v_fmac_f64_e32 v[104:105], v[96:97], v[40:41]
	v_fma_f64 v[4:5], v[70:71], v[16:17], -v[4:5]
	v_add_f64 v[106:107], v[102:103], v[104:105]
	ds_read_b128 v[102:105], v1 offset:1888
	v_add_f64 v[2:3], v[2:3], v[4:5]
	v_mul_f64 v[4:5], v[76:77], v[26:27]
	v_fma_f64 v[4:5], v[74:75], v[28:29], -v[4:5]
	v_add_f64 v[2:3], v[2:3], v[4:5]
	v_mul_f64 v[4:5], v[80:81], v[22:23]
	s_waitcnt vmcnt(34) lgkmcnt(1)
	v_mul_f64 v[108:109], v[98:99], v[50:51]
	v_fma_f64 v[4:5], v[78:79], v[24:25], -v[4:5]
	s_waitcnt vmcnt(32)
	v_fmac_f64_e32 v[108:109], v[100:101], v[52:53]
	v_add_f64 v[2:3], v[2:3], v[4:5]
	v_mul_f64 v[4:5], v[84:85], v[34:35]
	v_add_f64 v[110:111], v[106:107], v[108:109]
	ds_read_b128 v[106:109], v1 offset:1904
	s_waitcnt lgkmcnt(1)
	v_mul_f64 v[112:113], v[102:103], v[46:47]
	v_fma_f64 v[4:5], v[82:83], v[36:37], -v[4:5]
	v_fmac_f64_e32 v[112:113], v[104:105], v[48:49]
	v_add_f64 v[2:3], v[2:3], v[4:5]
	v_mul_f64 v[4:5], v[88:89], v[30:31]
	v_add_f64 v[114:115], v[110:111], v[112:113]
	ds_read_b128 v[110:113], v1 offset:1920
	v_fma_f64 v[4:5], v[86:87], v[32:33], -v[4:5]
	v_add_f64 v[2:3], v[2:3], v[4:5]
	v_mul_f64 v[4:5], v[92:93], v[42:43]
	v_fma_f64 v[4:5], v[90:91], v[44:45], -v[4:5]
	s_waitcnt vmcnt(26) lgkmcnt(1)
	v_mul_f64 v[116:117], v[106:107], v[138:139]
	v_add_f64 v[2:3], v[2:3], v[4:5]
	v_mul_f64 v[4:5], v[96:97], v[38:39]
	s_waitcnt vmcnt(24)
	v_fmac_f64_e32 v[116:117], v[108:109], v[140:141]
	v_fma_f64 v[4:5], v[94:95], v[40:41], -v[4:5]
	v_add_f64 v[118:119], v[114:115], v[116:117]
	ds_read_b128 v[114:117], v1 offset:1936
	s_waitcnt lgkmcnt(1)
	v_mul_f64 v[120:121], v[110:111], v[134:135]
	v_add_f64 v[2:3], v[2:3], v[4:5]
	v_mul_f64 v[4:5], v[100:101], v[50:51]
	v_fmac_f64_e32 v[120:121], v[112:113], v[136:137]
	v_fma_f64 v[4:5], v[98:99], v[52:53], -v[4:5]
	v_add_f64 v[122:123], v[118:119], v[120:121]
	ds_read_b128 v[118:121], v1 offset:1952
	v_add_f64 v[2:3], v[2:3], v[4:5]
	v_mul_f64 v[4:5], v[104:105], v[46:47]
	v_fma_f64 v[4:5], v[102:103], v[48:49], -v[4:5]
	v_add_f64 v[2:3], v[2:3], v[4:5]
	v_mul_f64 v[4:5], v[108:109], v[138:139]
	s_waitcnt vmcnt(18) lgkmcnt(1)
	v_mul_f64 v[124:125], v[114:115], v[146:147]
	v_fma_f64 v[4:5], v[106:107], v[140:141], -v[4:5]
	s_waitcnt vmcnt(16)
	v_fmac_f64_e32 v[124:125], v[116:117], v[148:149]
	v_add_f64 v[2:3], v[2:3], v[4:5]
	v_mul_f64 v[4:5], v[112:113], v[134:135]
	v_add_f64 v[126:127], v[122:123], v[124:125]
	ds_read_b128 v[122:125], v1 offset:1968
	s_waitcnt lgkmcnt(1)
	v_mul_f64 v[128:129], v[118:119], v[142:143]
	v_fma_f64 v[4:5], v[110:111], v[136:137], -v[4:5]
	v_fmac_f64_e32 v[128:129], v[120:121], v[144:145]
	v_add_f64 v[2:3], v[2:3], v[4:5]
	v_mul_f64 v[4:5], v[116:117], v[146:147]
	v_add_f64 v[166:167], v[126:127], v[128:129]
	ds_read_b128 v[126:129], v1 offset:1984
	v_fma_f64 v[4:5], v[114:115], v[148:149], -v[4:5]
	v_add_f64 v[2:3], v[2:3], v[4:5]
	v_mul_f64 v[4:5], v[120:121], v[142:143]
	v_fma_f64 v[4:5], v[118:119], v[144:145], -v[4:5]
	v_add_f64 v[2:3], v[2:3], v[4:5]
	s_waitcnt vmcnt(10) lgkmcnt(1)
	v_mul_f64 v[4:5], v[124:125], v[154:155]
	v_mul_f64 v[168:169], v[122:123], v[154:155]
	s_waitcnt vmcnt(8)
	v_fma_f64 v[4:5], v[122:123], v[156:157], -v[4:5]
	v_fmac_f64_e32 v[168:169], v[124:125], v[156:157]
	v_add_f64 v[2:3], v[2:3], v[4:5]
	s_waitcnt lgkmcnt(0)
	v_mul_f64 v[4:5], v[128:129], v[150:151]
	v_add_f64 v[0:1], v[166:167], v[168:169]
	v_mul_f64 v[166:167], v[126:127], v[150:151]
	v_fma_f64 v[4:5], v[126:127], v[152:153], -v[4:5]
	v_fmac_f64_e32 v[166:167], v[128:129], v[152:153]
	v_add_f64 v[2:3], v[2:3], v[4:5]
	s_waitcnt vmcnt(6)
	v_mul_f64 v[4:5], v[132:133], v[158:159]
	v_add_f64 v[0:1], v[0:1], v[166:167]
	v_mul_f64 v[166:167], v[130:131], v[158:159]
	s_waitcnt vmcnt(4)
	v_fma_f64 v[4:5], v[130:131], v[160:161], -v[4:5]
	v_fmac_f64_e32 v[166:167], v[132:133], v[160:161]
	v_add_f64 v[2:3], v[2:3], v[4:5]
	v_add_f64 v[0:1], v[0:1], v[166:167]
	s_waitcnt vmcnt(2)
	v_add_f64 v[2:3], v[162:163], -v[2:3]
	s_waitcnt vmcnt(0)
	v_add_f64 v[0:1], v[164:165], -v[0:1]
	buffer_store_dword v3, off, s[0:3], 0 offset:692
	buffer_store_dword v2, off, s[0:3], 0 offset:688
	;; [unrolled: 1-line block ×4, first 2 shown]
	s_and_saveexec_b64 s[4:5], vcc
	s_cbranch_execz .LBB62_321
; %bb.320:
	v_accvgpr_read_b32 v0, a147
	buffer_load_dword v2, v0, s[0:3], 0 offen
	buffer_load_dword v3, v0, s[0:3], 0 offen offset:4
	buffer_load_dword v4, v0, s[0:3], 0 offen offset:8
	;; [unrolled: 1-line block ×3, first 2 shown]
	v_mov_b32_e32 v0, 0
	v_accvgpr_read_b32 v1, a189
	buffer_store_dword v0, off, s[0:3], 0 offset:672
	buffer_store_dword v0, off, s[0:3], 0 offset:676
	;; [unrolled: 1-line block ×4, first 2 shown]
	s_waitcnt vmcnt(4)
	ds_write_b128 v1, v[2:5]
.LBB62_321:
	s_or_b64 exec, exec, s[4:5]
	s_waitcnt lgkmcnt(0)
	; wave barrier
	s_waitcnt lgkmcnt(0)
	buffer_load_dword v4, off, s[0:3], 0 offset:672
	buffer_load_dword v5, off, s[0:3], 0 offset:676
	;; [unrolled: 1-line block ×84, first 2 shown]
	v_mov_b32_e32 v1, 0
	ds_read_b128 v[66:69], v1 offset:1680
	buffer_load_dword v171, off, s[0:3], 0 offset:1020
	buffer_load_dword v170, off, s[0:3], 0 offset:1016
	;; [unrolled: 1-line block ×4, first 2 shown]
	ds_read_b128 v[70:73], v1 offset:1696
	ds_read_b128 v[74:77], v1 offset:1712
	ds_read_b128 v[78:81], v1 offset:1728
	ds_read_b128 v[146:149], v1 offset:2000
	v_cmp_lt_u32_e32 vcc, 40, v254
	s_waitcnt vmcnt(62) lgkmcnt(4)
	v_mul_f64 v[82:83], v[66:67], v[12:13]
	v_fmac_f64_e32 v[82:83], v[68:69], v[6:7]
	s_waitcnt lgkmcnt(3)
	v_mul_f64 v[84:85], v[70:71], v[14:15]
	v_add_f64 v[82:83], v[82:83], 0
	v_fmac_f64_e32 v[84:85], v[72:73], v[8:9]
	v_add_f64 v[82:83], v[82:83], v[84:85]
	s_waitcnt lgkmcnt(2)
	v_mul_f64 v[84:85], v[74:75], v[16:17]
	v_fmac_f64_e32 v[84:85], v[76:77], v[10:11]
	v_add_f64 v[86:87], v[82:83], v[84:85]
	ds_read_b128 v[82:85], v1 offset:1744
	v_mul_f64 v[12:13], v[68:69], v[12:13]
	s_waitcnt lgkmcnt(2)
	v_mul_f64 v[88:89], v[78:79], v[22:23]
	v_fma_f64 v[6:7], v[66:67], v[6:7], -v[12:13]
	v_fmac_f64_e32 v[88:89], v[80:81], v[24:25]
	v_add_f64 v[90:91], v[86:87], v[88:89]
	ds_read_b128 v[86:89], v1 offset:1760
	s_waitcnt lgkmcnt(1)
	v_mul_f64 v[92:93], v[82:83], v[18:19]
	v_fmac_f64_e32 v[92:93], v[84:85], v[20:21]
	v_add_f64 v[94:95], v[90:91], v[92:93]
	ds_read_b128 v[90:93], v1 offset:1776
	s_waitcnt vmcnt(58) lgkmcnt(1)
	v_mul_f64 v[96:97], v[86:87], v[30:31]
	s_waitcnt vmcnt(56)
	v_fmac_f64_e32 v[96:97], v[88:89], v[32:33]
	v_add_f64 v[98:99], v[94:95], v[96:97]
	ds_read_b128 v[94:97], v1 offset:1792
	s_waitcnt lgkmcnt(1)
	v_mul_f64 v[100:101], v[90:91], v[26:27]
	v_fmac_f64_e32 v[100:101], v[92:93], v[28:29]
	v_add_f64 v[102:103], v[98:99], v[100:101]
	ds_read_b128 v[98:101], v1 offset:1808
	s_waitcnt vmcnt(50) lgkmcnt(1)
	v_mul_f64 v[104:105], v[94:95], v[38:39]
	s_waitcnt vmcnt(48)
	v_fmac_f64_e32 v[104:105], v[96:97], v[40:41]
	v_add_f64 v[106:107], v[102:103], v[104:105]
	ds_read_b128 v[102:105], v1 offset:1824
	s_waitcnt lgkmcnt(1)
	v_mul_f64 v[108:109], v[98:99], v[34:35]
	v_fmac_f64_e32 v[108:109], v[100:101], v[36:37]
	v_mul_f64 v[12:13], v[72:73], v[14:15]
	v_add_f64 v[110:111], v[106:107], v[108:109]
	ds_read_b128 v[106:109], v1 offset:1840
	s_waitcnt vmcnt(42) lgkmcnt(1)
	v_mul_f64 v[112:113], v[102:103], v[46:47]
	v_add_f64 v[6:7], v[6:7], 0
	v_fma_f64 v[8:9], v[70:71], v[8:9], -v[12:13]
	s_waitcnt vmcnt(40)
	v_fmac_f64_e32 v[112:113], v[104:105], v[48:49]
	v_add_f64 v[6:7], v[6:7], v[8:9]
	v_mul_f64 v[8:9], v[76:77], v[16:17]
	v_add_f64 v[114:115], v[110:111], v[112:113]
	ds_read_b128 v[110:113], v1 offset:1856
	v_fma_f64 v[8:9], v[74:75], v[10:11], -v[8:9]
	v_add_f64 v[6:7], v[6:7], v[8:9]
	v_mul_f64 v[8:9], v[80:81], v[22:23]
	v_fma_f64 v[8:9], v[78:79], v[24:25], -v[8:9]
	s_waitcnt lgkmcnt(1)
	v_mul_f64 v[116:117], v[106:107], v[42:43]
	v_add_f64 v[6:7], v[6:7], v[8:9]
	v_mul_f64 v[8:9], v[84:85], v[18:19]
	v_fmac_f64_e32 v[116:117], v[108:109], v[44:45]
	v_fma_f64 v[8:9], v[82:83], v[20:21], -v[8:9]
	v_add_f64 v[118:119], v[114:115], v[116:117]
	ds_read_b128 v[114:117], v1 offset:1872
	s_waitcnt vmcnt(34) lgkmcnt(1)
	v_mul_f64 v[120:121], v[110:111], v[54:55]
	v_add_f64 v[6:7], v[6:7], v[8:9]
	v_mul_f64 v[8:9], v[88:89], v[30:31]
	s_waitcnt vmcnt(32)
	v_fmac_f64_e32 v[120:121], v[112:113], v[56:57]
	v_fma_f64 v[8:9], v[86:87], v[32:33], -v[8:9]
	v_add_f64 v[122:123], v[118:119], v[120:121]
	ds_read_b128 v[118:121], v1 offset:1888
	v_add_f64 v[6:7], v[6:7], v[8:9]
	v_mul_f64 v[8:9], v[92:93], v[26:27]
	v_fma_f64 v[8:9], v[90:91], v[28:29], -v[8:9]
	v_add_f64 v[6:7], v[6:7], v[8:9]
	v_mul_f64 v[8:9], v[96:97], v[38:39]
	s_waitcnt lgkmcnt(1)
	v_mul_f64 v[124:125], v[114:115], v[50:51]
	v_fma_f64 v[8:9], v[94:95], v[40:41], -v[8:9]
	v_fmac_f64_e32 v[124:125], v[116:117], v[52:53]
	v_add_f64 v[6:7], v[6:7], v[8:9]
	v_mul_f64 v[8:9], v[100:101], v[34:35]
	v_add_f64 v[126:127], v[122:123], v[124:125]
	ds_read_b128 v[122:125], v1 offset:1904
	s_waitcnt vmcnt(26) lgkmcnt(1)
	v_mul_f64 v[128:129], v[118:119], v[62:63]
	v_fma_f64 v[8:9], v[98:99], v[36:37], -v[8:9]
	s_waitcnt vmcnt(24)
	v_fmac_f64_e32 v[128:129], v[120:121], v[64:65]
	v_add_f64 v[6:7], v[6:7], v[8:9]
	v_mul_f64 v[8:9], v[104:105], v[46:47]
	v_add_f64 v[130:131], v[126:127], v[128:129]
	ds_read_b128 v[126:129], v1 offset:1920
	v_fma_f64 v[8:9], v[102:103], v[48:49], -v[8:9]
	v_add_f64 v[6:7], v[6:7], v[8:9]
	v_mul_f64 v[8:9], v[108:109], v[42:43]
	v_fma_f64 v[8:9], v[106:107], v[44:45], -v[8:9]
	s_waitcnt lgkmcnt(1)
	v_mul_f64 v[132:133], v[122:123], v[58:59]
	v_add_f64 v[6:7], v[6:7], v[8:9]
	v_mul_f64 v[8:9], v[112:113], v[54:55]
	v_fmac_f64_e32 v[132:133], v[124:125], v[60:61]
	v_fma_f64 v[8:9], v[110:111], v[56:57], -v[8:9]
	v_add_f64 v[134:135], v[130:131], v[132:133]
	ds_read_b128 v[130:133], v1 offset:1936
	s_waitcnt vmcnt(18) lgkmcnt(1)
	v_mul_f64 v[136:137], v[126:127], v[154:155]
	v_add_f64 v[6:7], v[6:7], v[8:9]
	v_mul_f64 v[8:9], v[116:117], v[50:51]
	s_waitcnt vmcnt(16)
	v_fmac_f64_e32 v[136:137], v[128:129], v[156:157]
	v_fma_f64 v[8:9], v[114:115], v[52:53], -v[8:9]
	v_add_f64 v[138:139], v[134:135], v[136:137]
	ds_read_b128 v[134:137], v1 offset:1952
	v_add_f64 v[6:7], v[6:7], v[8:9]
	v_mul_f64 v[8:9], v[120:121], v[62:63]
	v_fma_f64 v[8:9], v[118:119], v[64:65], -v[8:9]
	v_add_f64 v[6:7], v[6:7], v[8:9]
	v_mul_f64 v[8:9], v[124:125], v[58:59]
	s_waitcnt lgkmcnt(1)
	v_mul_f64 v[140:141], v[130:131], v[150:151]
	v_fma_f64 v[8:9], v[122:123], v[60:61], -v[8:9]
	v_fmac_f64_e32 v[140:141], v[132:133], v[152:153]
	v_add_f64 v[6:7], v[6:7], v[8:9]
	v_mul_f64 v[8:9], v[128:129], v[154:155]
	v_add_f64 v[142:143], v[138:139], v[140:141]
	ds_read_b128 v[138:141], v1 offset:1968
	s_waitcnt vmcnt(10) lgkmcnt(1)
	v_mul_f64 v[144:145], v[134:135], v[162:163]
	v_fma_f64 v[8:9], v[126:127], v[156:157], -v[8:9]
	s_waitcnt vmcnt(8)
	v_fmac_f64_e32 v[144:145], v[136:137], v[164:165]
	v_add_f64 v[6:7], v[6:7], v[8:9]
	v_mul_f64 v[8:9], v[132:133], v[150:151]
	v_add_f64 v[174:175], v[142:143], v[144:145]
	ds_read_b128 v[142:145], v1 offset:1984
	v_fma_f64 v[8:9], v[130:131], v[152:153], -v[8:9]
	v_add_f64 v[6:7], v[6:7], v[8:9]
	v_mul_f64 v[8:9], v[136:137], v[162:163]
	v_fma_f64 v[8:9], v[134:135], v[164:165], -v[8:9]
	v_add_f64 v[6:7], v[6:7], v[8:9]
	s_waitcnt lgkmcnt(1)
	v_mul_f64 v[8:9], v[140:141], v[158:159]
	v_mul_f64 v[176:177], v[138:139], v[158:159]
	v_fma_f64 v[8:9], v[138:139], v[160:161], -v[8:9]
	v_fmac_f64_e32 v[176:177], v[140:141], v[160:161]
	v_add_f64 v[6:7], v[6:7], v[8:9]
	s_waitcnt vmcnt(6) lgkmcnt(0)
	v_mul_f64 v[8:9], v[144:145], v[166:167]
	v_add_f64 v[174:175], v[174:175], v[176:177]
	v_mul_f64 v[176:177], v[142:143], v[166:167]
	s_waitcnt vmcnt(4)
	v_fma_f64 v[8:9], v[142:143], v[168:169], -v[8:9]
	v_fmac_f64_e32 v[176:177], v[144:145], v[168:169]
	v_add_f64 v[6:7], v[6:7], v[8:9]
	s_waitcnt vmcnt(2)
	v_mul_f64 v[8:9], v[148:149], v[170:171]
	v_add_f64 v[174:175], v[174:175], v[176:177]
	v_mul_f64 v[176:177], v[146:147], v[170:171]
	s_waitcnt vmcnt(0)
	v_fma_f64 v[8:9], v[146:147], v[172:173], -v[8:9]
	v_fmac_f64_e32 v[176:177], v[148:149], v[172:173]
	v_add_f64 v[6:7], v[6:7], v[8:9]
	v_add_f64 v[174:175], v[174:175], v[176:177]
	v_add_f64 v[4:5], v[4:5], -v[6:7]
	v_add_f64 v[2:3], v[2:3], -v[174:175]
	buffer_store_dword v5, off, s[0:3], 0 offset:676
	buffer_store_dword v4, off, s[0:3], 0 offset:672
	;; [unrolled: 1-line block ×4, first 2 shown]
	s_and_saveexec_b64 s[4:5], vcc
	s_cbranch_execz .LBB62_323
; %bb.322:
	v_accvgpr_read_b32 v0, a148
	buffer_load_dword v2, v0, s[0:3], 0 offen
	buffer_load_dword v3, v0, s[0:3], 0 offen offset:4
	buffer_load_dword v4, v0, s[0:3], 0 offen offset:8
	;; [unrolled: 1-line block ×3, first 2 shown]
	v_accvgpr_read_b32 v0, a189
	buffer_store_dword v1, off, s[0:3], 0 offset:656
	buffer_store_dword v1, off, s[0:3], 0 offset:660
	;; [unrolled: 1-line block ×4, first 2 shown]
	s_waitcnt vmcnt(4)
	ds_write_b128 v0, v[2:5]
.LBB62_323:
	s_or_b64 exec, exec, s[4:5]
	s_waitcnt lgkmcnt(0)
	; wave barrier
	s_waitcnt lgkmcnt(0)
	ds_read_b128 v[14:17], v1 offset:1664
	ds_read_b128 v[10:13], v1 offset:1680
	;; [unrolled: 1-line block ×4, first 2 shown]
	buffer_load_dword v20, off, s[0:3], 0 offset:656
	buffer_load_dword v21, off, s[0:3], 0 offset:660
	;; [unrolled: 1-line block ×92, first 2 shown]
	s_waitcnt vmcnt(62) lgkmcnt(3)
	v_mul_f64 v[86:87], v[14:15], v[28:29]
	v_fmac_f64_e32 v[86:87], v[16:17], v[22:23]
	s_waitcnt lgkmcnt(2)
	v_mul_f64 v[88:89], v[10:11], v[30:31]
	v_add_f64 v[86:87], v[86:87], 0
	v_fmac_f64_e32 v[88:89], v[12:13], v[24:25]
	v_add_f64 v[86:87], v[86:87], v[88:89]
	s_waitcnt lgkmcnt(1)
	v_mul_f64 v[88:89], v[6:7], v[32:33]
	v_fmac_f64_e32 v[88:89], v[8:9], v[26:27]
	v_add_f64 v[90:91], v[86:87], v[88:89]
	ds_read_b128 v[86:89], v1 offset:1728
	v_mul_f64 v[16:17], v[16:17], v[28:29]
	v_fma_f64 v[14:15], v[14:15], v[22:23], -v[16:17]
	s_waitcnt lgkmcnt(1)
	v_mul_f64 v[92:93], v[2:3], v[38:39]
	v_mul_f64 v[12:13], v[12:13], v[30:31]
	v_fmac_f64_e32 v[92:93], v[4:5], v[40:41]
	v_add_f64 v[94:95], v[90:91], v[92:93]
	ds_read_b128 v[90:93], v1 offset:1744
	s_waitcnt lgkmcnt(1)
	v_mul_f64 v[96:97], v[86:87], v[34:35]
	v_fmac_f64_e32 v[96:97], v[88:89], v[36:37]
	v_add_f64 v[98:99], v[94:95], v[96:97]
	ds_read_b128 v[94:97], v1 offset:1760
	s_waitcnt lgkmcnt(1)
	v_mul_f64 v[100:101], v[90:91], v[46:47]
	s_waitcnt vmcnt(60)
	v_fmac_f64_e32 v[100:101], v[92:93], v[48:49]
	v_add_f64 v[102:103], v[98:99], v[100:101]
	ds_read_b128 v[98:101], v1 offset:1776
	s_waitcnt lgkmcnt(1)
	v_mul_f64 v[104:105], v[94:95], v[42:43]
	v_fmac_f64_e32 v[104:105], v[96:97], v[44:45]
	v_add_f64 v[106:107], v[102:103], v[104:105]
	ds_read_b128 v[102:105], v1 offset:1792
	s_waitcnt vmcnt(54) lgkmcnt(1)
	v_mul_f64 v[108:109], v[98:99], v[54:55]
	s_waitcnt vmcnt(52)
	v_fmac_f64_e32 v[108:109], v[100:101], v[56:57]
	v_add_f64 v[110:111], v[106:107], v[108:109]
	ds_read_b128 v[106:109], v1 offset:1808
	s_waitcnt lgkmcnt(1)
	v_mul_f64 v[112:113], v[102:103], v[50:51]
	v_fmac_f64_e32 v[112:113], v[104:105], v[52:53]
	v_add_f64 v[114:115], v[110:111], v[112:113]
	ds_read_b128 v[110:113], v1 offset:1824
	s_waitcnt vmcnt(46) lgkmcnt(1)
	v_mul_f64 v[116:117], v[106:107], v[62:63]
	s_waitcnt vmcnt(44)
	v_fmac_f64_e32 v[116:117], v[108:109], v[64:65]
	v_add_f64 v[118:119], v[114:115], v[116:117]
	ds_read_b128 v[114:117], v1 offset:1840
	s_waitcnt lgkmcnt(1)
	v_mul_f64 v[120:121], v[110:111], v[58:59]
	v_fmac_f64_e32 v[120:121], v[112:113], v[60:61]
	v_add_f64 v[14:15], v[14:15], 0
	v_fma_f64 v[10:11], v[10:11], v[24:25], -v[12:13]
	v_mul_f64 v[8:9], v[8:9], v[32:33]
	v_add_f64 v[122:123], v[118:119], v[120:121]
	ds_read_b128 v[118:121], v1 offset:1856
	v_add_f64 v[10:11], v[14:15], v[10:11]
	v_fma_f64 v[6:7], v[6:7], v[26:27], -v[8:9]
	v_mul_f64 v[4:5], v[4:5], v[38:39]
	v_add_f64 v[6:7], v[10:11], v[6:7]
	v_fma_f64 v[2:3], v[2:3], v[40:41], -v[4:5]
	v_mul_f64 v[4:5], v[88:89], v[34:35]
	v_add_f64 v[2:3], v[6:7], v[2:3]
	v_fma_f64 v[4:5], v[86:87], v[36:37], -v[4:5]
	s_waitcnt vmcnt(38) lgkmcnt(1)
	v_mul_f64 v[124:125], v[114:115], v[70:71]
	v_add_f64 v[2:3], v[2:3], v[4:5]
	v_mul_f64 v[4:5], v[92:93], v[46:47]
	s_waitcnt vmcnt(36)
	v_fmac_f64_e32 v[124:125], v[116:117], v[72:73]
	v_fma_f64 v[4:5], v[90:91], v[48:49], -v[4:5]
	v_add_f64 v[126:127], v[122:123], v[124:125]
	ds_read_b128 v[122:125], v1 offset:1872
	s_waitcnt lgkmcnt(1)
	v_mul_f64 v[128:129], v[118:119], v[66:67]
	v_add_f64 v[2:3], v[2:3], v[4:5]
	v_mul_f64 v[4:5], v[96:97], v[42:43]
	v_fmac_f64_e32 v[128:129], v[120:121], v[68:69]
	v_fma_f64 v[4:5], v[94:95], v[44:45], -v[4:5]
	v_add_f64 v[130:131], v[126:127], v[128:129]
	ds_read_b128 v[126:129], v1 offset:1888
	v_add_f64 v[2:3], v[2:3], v[4:5]
	v_mul_f64 v[4:5], v[100:101], v[54:55]
	v_fma_f64 v[4:5], v[98:99], v[56:57], -v[4:5]
	v_add_f64 v[2:3], v[2:3], v[4:5]
	v_mul_f64 v[4:5], v[104:105], v[50:51]
	s_waitcnt vmcnt(30) lgkmcnt(1)
	v_mul_f64 v[132:133], v[122:123], v[78:79]
	v_fma_f64 v[4:5], v[102:103], v[52:53], -v[4:5]
	s_waitcnt vmcnt(28)
	v_fmac_f64_e32 v[132:133], v[124:125], v[80:81]
	v_add_f64 v[2:3], v[2:3], v[4:5]
	v_mul_f64 v[4:5], v[108:109], v[62:63]
	v_add_f64 v[134:135], v[130:131], v[132:133]
	ds_read_b128 v[130:133], v1 offset:1904
	s_waitcnt lgkmcnt(1)
	v_mul_f64 v[136:137], v[126:127], v[74:75]
	v_fma_f64 v[4:5], v[106:107], v[64:65], -v[4:5]
	v_fmac_f64_e32 v[136:137], v[128:129], v[76:77]
	v_add_f64 v[2:3], v[2:3], v[4:5]
	v_mul_f64 v[4:5], v[112:113], v[58:59]
	v_add_f64 v[138:139], v[134:135], v[136:137]
	ds_read_b128 v[134:137], v1 offset:1920
	v_fma_f64 v[4:5], v[110:111], v[60:61], -v[4:5]
	v_add_f64 v[2:3], v[2:3], v[4:5]
	v_mul_f64 v[4:5], v[116:117], v[70:71]
	v_fma_f64 v[4:5], v[114:115], v[72:73], -v[4:5]
	s_waitcnt vmcnt(22) lgkmcnt(1)
	v_mul_f64 v[140:141], v[130:131], v[158:159]
	v_add_f64 v[2:3], v[2:3], v[4:5]
	v_mul_f64 v[4:5], v[120:121], v[66:67]
	s_waitcnt vmcnt(20)
	v_fmac_f64_e32 v[140:141], v[132:133], v[160:161]
	v_fma_f64 v[4:5], v[118:119], v[68:69], -v[4:5]
	v_add_f64 v[142:143], v[138:139], v[140:141]
	ds_read_b128 v[138:141], v1 offset:1936
	s_waitcnt lgkmcnt(1)
	v_mul_f64 v[144:145], v[134:135], v[82:83]
	v_add_f64 v[2:3], v[2:3], v[4:5]
	v_mul_f64 v[4:5], v[124:125], v[78:79]
	v_fmac_f64_e32 v[144:145], v[136:137], v[84:85]
	v_fma_f64 v[4:5], v[122:123], v[80:81], -v[4:5]
	v_add_f64 v[146:147], v[142:143], v[144:145]
	ds_read_b128 v[142:145], v1 offset:1952
	v_add_f64 v[2:3], v[2:3], v[4:5]
	v_mul_f64 v[4:5], v[128:129], v[74:75]
	v_fma_f64 v[4:5], v[126:127], v[76:77], -v[4:5]
	v_add_f64 v[2:3], v[2:3], v[4:5]
	v_mul_f64 v[4:5], v[132:133], v[158:159]
	s_waitcnt vmcnt(14) lgkmcnt(1)
	v_mul_f64 v[148:149], v[138:139], v[166:167]
	v_fma_f64 v[4:5], v[130:131], v[160:161], -v[4:5]
	s_waitcnt vmcnt(12)
	v_fmac_f64_e32 v[148:149], v[140:141], v[168:169]
	v_add_f64 v[2:3], v[2:3], v[4:5]
	v_mul_f64 v[4:5], v[136:137], v[82:83]
	v_add_f64 v[150:151], v[146:147], v[148:149]
	ds_read_b128 v[146:149], v1 offset:1968
	s_waitcnt lgkmcnt(1)
	v_mul_f64 v[152:153], v[142:143], v[162:163]
	v_fma_f64 v[4:5], v[134:135], v[84:85], -v[4:5]
	v_fmac_f64_e32 v[152:153], v[144:145], v[164:165]
	v_add_f64 v[2:3], v[2:3], v[4:5]
	v_mul_f64 v[4:5], v[140:141], v[166:167]
	v_add_f64 v[182:183], v[150:151], v[152:153]
	ds_read_b128 v[150:153], v1 offset:1984
	ds_read_b128 v[154:157], v1 offset:2000
	v_fma_f64 v[4:5], v[138:139], v[168:169], -v[4:5]
	v_add_f64 v[2:3], v[2:3], v[4:5]
	v_mul_f64 v[4:5], v[144:145], v[162:163]
	v_fma_f64 v[4:5], v[142:143], v[164:165], -v[4:5]
	v_add_f64 v[2:3], v[2:3], v[4:5]
	s_waitcnt vmcnt(6) lgkmcnt(2)
	v_mul_f64 v[4:5], v[148:149], v[174:175]
	v_mul_f64 v[184:185], v[146:147], v[174:175]
	s_waitcnt vmcnt(4)
	v_fma_f64 v[4:5], v[146:147], v[176:177], -v[4:5]
	v_fmac_f64_e32 v[184:185], v[148:149], v[176:177]
	v_add_f64 v[2:3], v[2:3], v[4:5]
	s_waitcnt lgkmcnt(1)
	v_mul_f64 v[4:5], v[152:153], v[170:171]
	v_add_f64 v[0:1], v[182:183], v[184:185]
	v_mul_f64 v[182:183], v[150:151], v[170:171]
	v_fma_f64 v[4:5], v[150:151], v[172:173], -v[4:5]
	v_fmac_f64_e32 v[182:183], v[152:153], v[172:173]
	v_add_f64 v[2:3], v[2:3], v[4:5]
	s_waitcnt vmcnt(2) lgkmcnt(0)
	v_mul_f64 v[4:5], v[156:157], v[178:179]
	v_add_f64 v[0:1], v[0:1], v[182:183]
	v_mul_f64 v[182:183], v[154:155], v[178:179]
	s_waitcnt vmcnt(0)
	v_fma_f64 v[4:5], v[154:155], v[180:181], -v[4:5]
	v_fmac_f64_e32 v[182:183], v[156:157], v[180:181]
	v_add_f64 v[2:3], v[2:3], v[4:5]
	v_add_f64 v[0:1], v[0:1], v[182:183]
	v_add_f64 v[2:3], v[20:21], -v[2:3]
	v_cmp_lt_u32_e32 vcc, 39, v254
	v_add_f64 v[0:1], v[18:19], -v[0:1]
	buffer_store_dword v3, off, s[0:3], 0 offset:660
	buffer_store_dword v2, off, s[0:3], 0 offset:656
	;; [unrolled: 1-line block ×4, first 2 shown]
	s_and_saveexec_b64 s[4:5], vcc
	s_cbranch_execz .LBB62_325
; %bb.324:
	v_accvgpr_read_b32 v0, a149
	buffer_load_dword v2, v0, s[0:3], 0 offen
	buffer_load_dword v3, v0, s[0:3], 0 offen offset:4
	buffer_load_dword v4, v0, s[0:3], 0 offen offset:8
	;; [unrolled: 1-line block ×3, first 2 shown]
	v_mov_b32_e32 v0, 0
	v_accvgpr_read_b32 v1, a189
	buffer_store_dword v0, off, s[0:3], 0 offset:640
	buffer_store_dword v0, off, s[0:3], 0 offset:644
	;; [unrolled: 1-line block ×4, first 2 shown]
	s_waitcnt vmcnt(4)
	ds_write_b128 v1, v[2:5]
.LBB62_325:
	s_or_b64 exec, exec, s[4:5]
	s_waitcnt lgkmcnt(0)
	; wave barrier
	s_waitcnt lgkmcnt(0)
	buffer_load_dword v9, off, s[0:3], 0 offset:668
	buffer_load_dword v6, off, s[0:3], 0 offset:680
	;; [unrolled: 1-line block ×64, first 2 shown]
	v_mov_b32_e32 v1, 0
	ds_read_b128 v[74:77], v1 offset:1648
	ds_read_b128 v[78:81], v1 offset:1664
	buffer_load_dword v67, off, s[0:3], 0 offset:924
	buffer_load_dword v66, off, s[0:3], 0 offset:920
	;; [unrolled: 1-line block ×8, first 2 shown]
	ds_read_b128 v[82:85], v1 offset:1680
	ds_read_b128 v[86:89], v1 offset:1696
	buffer_load_dword v167, off, s[0:3], 0 offset:956
	buffer_load_dword v166, off, s[0:3], 0 offset:952
	;; [unrolled: 1-line block ×24, first 2 shown]
	ds_read_b128 v[162:165], v1 offset:2000
	v_cmp_lt_u32_e32 vcc, 38, v254
	s_waitcnt vmcnt(62) lgkmcnt(1)
	v_mul_f64 v[96:97], v[86:87], v[22:23]
	v_fmac_f64_e32 v[96:97], v[88:89], v[24:25]
	v_mul_f64 v[92:93], v[78:79], v[6:7]
	v_mul_f64 v[90:91], v[74:75], v[8:9]
	;; [unrolled: 1-line block ×3, first 2 shown]
	v_fmac_f64_e32 v[90:91], v[76:77], v[10:11]
	v_add_f64 v[90:91], v[90:91], 0
	v_fma_f64 v[8:9], v[74:75], v[10:11], -v[8:9]
	v_mul_f64 v[6:7], v[80:81], v[6:7]
	v_add_f64 v[8:9], v[8:9], 0
	v_fmac_f64_e32 v[92:93], v[80:81], v[14:15]
	v_add_f64 v[90:91], v[90:91], v[92:93]
	v_mul_f64 v[92:93], v[82:83], v[16:17]
	v_fmac_f64_e32 v[92:93], v[84:85], v[12:13]
	v_add_f64 v[94:95], v[90:91], v[92:93]
	ds_read_b128 v[90:93], v1 offset:1712
	v_add_f64 v[98:99], v[94:95], v[96:97]
	ds_read_b128 v[94:97], v1 offset:1728
	v_fma_f64 v[6:7], v[78:79], v[14:15], -v[6:7]
	v_add_f64 v[6:7], v[8:9], v[6:7]
	s_waitcnt lgkmcnt(1)
	v_mul_f64 v[100:101], v[90:91], v[18:19]
	v_fmac_f64_e32 v[100:101], v[92:93], v[20:21]
	v_add_f64 v[102:103], v[98:99], v[100:101]
	ds_read_b128 v[98:101], v1 offset:1744
	s_waitcnt lgkmcnt(1)
	v_mul_f64 v[104:105], v[94:95], v[30:31]
	v_fmac_f64_e32 v[104:105], v[96:97], v[32:33]
	v_add_f64 v[106:107], v[102:103], v[104:105]
	ds_read_b128 v[102:105], v1 offset:1760
	;; [unrolled: 5-line block ×3, first 2 shown]
	s_waitcnt vmcnt(58) lgkmcnt(1)
	v_mul_f64 v[112:113], v[102:103], v[38:39]
	s_waitcnt vmcnt(56)
	v_fmac_f64_e32 v[112:113], v[104:105], v[40:41]
	v_add_f64 v[114:115], v[110:111], v[112:113]
	ds_read_b128 v[110:113], v1 offset:1792
	s_waitcnt lgkmcnt(1)
	v_mul_f64 v[116:117], v[106:107], v[34:35]
	v_fmac_f64_e32 v[116:117], v[108:109], v[36:37]
	v_add_f64 v[118:119], v[114:115], v[116:117]
	ds_read_b128 v[114:117], v1 offset:1808
	s_waitcnt vmcnt(50) lgkmcnt(1)
	v_mul_f64 v[120:121], v[110:111], v[46:47]
	s_waitcnt vmcnt(48)
	v_fmac_f64_e32 v[120:121], v[112:113], v[48:49]
	v_add_f64 v[122:123], v[118:119], v[120:121]
	ds_read_b128 v[118:121], v1 offset:1824
	v_mul_f64 v[8:9], v[84:85], v[16:17]
	s_waitcnt lgkmcnt(1)
	v_mul_f64 v[124:125], v[114:115], v[42:43]
	v_fma_f64 v[8:9], v[82:83], v[12:13], -v[8:9]
	v_fmac_f64_e32 v[124:125], v[116:117], v[44:45]
	v_add_f64 v[6:7], v[6:7], v[8:9]
	v_mul_f64 v[8:9], v[88:89], v[22:23]
	v_add_f64 v[126:127], v[122:123], v[124:125]
	ds_read_b128 v[122:125], v1 offset:1840
	s_waitcnt vmcnt(42) lgkmcnt(1)
	v_mul_f64 v[128:129], v[118:119], v[54:55]
	v_fma_f64 v[8:9], v[86:87], v[24:25], -v[8:9]
	s_waitcnt vmcnt(40)
	v_fmac_f64_e32 v[128:129], v[120:121], v[56:57]
	v_add_f64 v[6:7], v[6:7], v[8:9]
	v_mul_f64 v[8:9], v[92:93], v[18:19]
	v_add_f64 v[130:131], v[126:127], v[128:129]
	ds_read_b128 v[126:129], v1 offset:1856
	v_fma_f64 v[8:9], v[90:91], v[20:21], -v[8:9]
	v_add_f64 v[6:7], v[6:7], v[8:9]
	v_mul_f64 v[8:9], v[96:97], v[30:31]
	v_fma_f64 v[8:9], v[94:95], v[32:33], -v[8:9]
	s_waitcnt lgkmcnt(1)
	v_mul_f64 v[132:133], v[122:123], v[50:51]
	v_add_f64 v[6:7], v[6:7], v[8:9]
	v_mul_f64 v[8:9], v[100:101], v[26:27]
	v_fmac_f64_e32 v[132:133], v[124:125], v[52:53]
	v_fma_f64 v[8:9], v[98:99], v[28:29], -v[8:9]
	v_add_f64 v[134:135], v[130:131], v[132:133]
	ds_read_b128 v[130:133], v1 offset:1872
	s_waitcnt vmcnt(34) lgkmcnt(1)
	v_mul_f64 v[136:137], v[126:127], v[62:63]
	v_add_f64 v[6:7], v[6:7], v[8:9]
	v_mul_f64 v[8:9], v[104:105], v[38:39]
	s_waitcnt vmcnt(32)
	v_fmac_f64_e32 v[136:137], v[128:129], v[64:65]
	v_fma_f64 v[8:9], v[102:103], v[40:41], -v[8:9]
	v_add_f64 v[138:139], v[134:135], v[136:137]
	ds_read_b128 v[134:137], v1 offset:1888
	v_add_f64 v[6:7], v[6:7], v[8:9]
	v_mul_f64 v[8:9], v[108:109], v[34:35]
	v_fma_f64 v[8:9], v[106:107], v[36:37], -v[8:9]
	v_add_f64 v[6:7], v[6:7], v[8:9]
	v_mul_f64 v[8:9], v[112:113], v[46:47]
	s_waitcnt lgkmcnt(1)
	v_mul_f64 v[140:141], v[130:131], v[58:59]
	v_fma_f64 v[8:9], v[110:111], v[48:49], -v[8:9]
	v_fmac_f64_e32 v[140:141], v[132:133], v[60:61]
	v_add_f64 v[6:7], v[6:7], v[8:9]
	v_mul_f64 v[8:9], v[116:117], v[42:43]
	v_add_f64 v[142:143], v[138:139], v[140:141]
	ds_read_b128 v[138:141], v1 offset:1904
	s_waitcnt vmcnt(26) lgkmcnt(1)
	v_mul_f64 v[144:145], v[134:135], v[70:71]
	v_fma_f64 v[8:9], v[114:115], v[44:45], -v[8:9]
	s_waitcnt vmcnt(24)
	v_fmac_f64_e32 v[144:145], v[136:137], v[72:73]
	v_add_f64 v[6:7], v[6:7], v[8:9]
	v_mul_f64 v[8:9], v[120:121], v[54:55]
	v_add_f64 v[146:147], v[142:143], v[144:145]
	ds_read_b128 v[142:145], v1 offset:1920
	v_fma_f64 v[8:9], v[118:119], v[56:57], -v[8:9]
	v_add_f64 v[6:7], v[6:7], v[8:9]
	v_mul_f64 v[8:9], v[124:125], v[50:51]
	v_fma_f64 v[8:9], v[122:123], v[52:53], -v[8:9]
	s_waitcnt lgkmcnt(1)
	v_mul_f64 v[148:149], v[138:139], v[66:67]
	v_add_f64 v[6:7], v[6:7], v[8:9]
	v_mul_f64 v[8:9], v[128:129], v[62:63]
	v_fmac_f64_e32 v[148:149], v[140:141], v[68:69]
	v_fma_f64 v[8:9], v[126:127], v[64:65], -v[8:9]
	v_add_f64 v[150:151], v[146:147], v[148:149]
	ds_read_b128 v[146:149], v1 offset:1936
	s_waitcnt vmcnt(18) lgkmcnt(1)
	v_mul_f64 v[152:153], v[142:143], v[170:171]
	v_add_f64 v[6:7], v[6:7], v[8:9]
	v_mul_f64 v[8:9], v[132:133], v[58:59]
	s_waitcnt vmcnt(16)
	v_fmac_f64_e32 v[152:153], v[144:145], v[172:173]
	v_fma_f64 v[8:9], v[130:131], v[60:61], -v[8:9]
	v_add_f64 v[154:155], v[150:151], v[152:153]
	ds_read_b128 v[150:153], v1 offset:1952
	v_add_f64 v[6:7], v[6:7], v[8:9]
	v_mul_f64 v[8:9], v[136:137], v[70:71]
	v_fma_f64 v[8:9], v[134:135], v[72:73], -v[8:9]
	v_add_f64 v[6:7], v[6:7], v[8:9]
	v_mul_f64 v[8:9], v[140:141], v[66:67]
	s_waitcnt lgkmcnt(1)
	v_mul_f64 v[156:157], v[146:147], v[166:167]
	v_fma_f64 v[8:9], v[138:139], v[68:69], -v[8:9]
	v_fmac_f64_e32 v[156:157], v[148:149], v[168:169]
	v_add_f64 v[6:7], v[6:7], v[8:9]
	v_mul_f64 v[8:9], v[144:145], v[170:171]
	v_add_f64 v[158:159], v[154:155], v[156:157]
	ds_read_b128 v[154:157], v1 offset:1968
	s_waitcnt vmcnt(10) lgkmcnt(1)
	v_mul_f64 v[160:161], v[150:151], v[178:179]
	v_fma_f64 v[8:9], v[142:143], v[172:173], -v[8:9]
	s_waitcnt vmcnt(8)
	v_fmac_f64_e32 v[160:161], v[152:153], v[180:181]
	v_add_f64 v[6:7], v[6:7], v[8:9]
	v_mul_f64 v[8:9], v[148:149], v[166:167]
	v_add_f64 v[190:191], v[158:159], v[160:161]
	ds_read_b128 v[158:161], v1 offset:1984
	v_fma_f64 v[8:9], v[146:147], v[168:169], -v[8:9]
	v_add_f64 v[6:7], v[6:7], v[8:9]
	v_mul_f64 v[8:9], v[152:153], v[178:179]
	v_fma_f64 v[8:9], v[150:151], v[180:181], -v[8:9]
	v_add_f64 v[6:7], v[6:7], v[8:9]
	s_waitcnt lgkmcnt(1)
	v_mul_f64 v[8:9], v[156:157], v[174:175]
	v_mul_f64 v[192:193], v[154:155], v[174:175]
	v_fma_f64 v[8:9], v[154:155], v[176:177], -v[8:9]
	v_fmac_f64_e32 v[192:193], v[156:157], v[176:177]
	v_add_f64 v[6:7], v[6:7], v[8:9]
	s_waitcnt vmcnt(2) lgkmcnt(0)
	v_mul_f64 v[8:9], v[160:161], v[186:187]
	v_add_f64 v[190:191], v[190:191], v[192:193]
	v_mul_f64 v[192:193], v[158:159], v[186:187]
	s_waitcnt vmcnt(0)
	v_fma_f64 v[8:9], v[158:159], v[188:189], -v[8:9]
	v_fmac_f64_e32 v[192:193], v[160:161], v[188:189]
	v_add_f64 v[6:7], v[6:7], v[8:9]
	v_mul_f64 v[8:9], v[164:165], v[182:183]
	v_add_f64 v[190:191], v[190:191], v[192:193]
	v_mul_f64 v[192:193], v[162:163], v[182:183]
	v_fma_f64 v[8:9], v[162:163], v[184:185], -v[8:9]
	v_fmac_f64_e32 v[192:193], v[164:165], v[184:185]
	v_add_f64 v[6:7], v[6:7], v[8:9]
	v_add_f64 v[190:191], v[190:191], v[192:193]
	v_add_f64 v[4:5], v[4:5], -v[6:7]
	v_add_f64 v[2:3], v[2:3], -v[190:191]
	buffer_store_dword v5, off, s[0:3], 0 offset:644
	buffer_store_dword v4, off, s[0:3], 0 offset:640
	;; [unrolled: 1-line block ×4, first 2 shown]
	s_and_saveexec_b64 s[4:5], vcc
	s_cbranch_execz .LBB62_327
; %bb.326:
	v_accvgpr_read_b32 v0, a150
	buffer_load_dword v2, v0, s[0:3], 0 offen
	buffer_load_dword v3, v0, s[0:3], 0 offen offset:4
	buffer_load_dword v4, v0, s[0:3], 0 offen offset:8
	;; [unrolled: 1-line block ×3, first 2 shown]
	v_accvgpr_read_b32 v0, a189
	buffer_store_dword v1, off, s[0:3], 0 offset:624
	buffer_store_dword v1, off, s[0:3], 0 offset:628
	buffer_store_dword v1, off, s[0:3], 0 offset:632
	buffer_store_dword v1, off, s[0:3], 0 offset:636
	s_waitcnt vmcnt(4)
	ds_write_b128 v0, v[2:5]
.LBB62_327:
	s_or_b64 exec, exec, s[4:5]
	s_waitcnt lgkmcnt(0)
	; wave barrier
	s_waitcnt lgkmcnt(0)
	buffer_load_dword v22, off, s[0:3], 0 offset:640
	buffer_load_dword v23, off, s[0:3], 0 offset:644
	buffer_load_dword v24, off, s[0:3], 0 offset:648
	buffer_load_dword v25, off, s[0:3], 0 offset:652
	buffer_load_dword v27, off, s[0:3], 0 offset:684
	buffer_load_dword v28, off, s[0:3], 0 offset:656
	buffer_load_dword v32, off, s[0:3], 0 offset:664
	buffer_load_dword v33, off, s[0:3], 0 offset:668
	buffer_load_dword v30, off, s[0:3], 0 offset:672
	buffer_load_dword v26, off, s[0:3], 0 offset:680
	buffer_load_dword v31, off, s[0:3], 0 offset:676
	buffer_load_dword v29, off, s[0:3], 0 offset:660
	buffer_load_dword v20, off, s[0:3], 0 offset:624
	buffer_load_dword v21, off, s[0:3], 0 offset:628
	buffer_load_dword v18, off, s[0:3], 0 offset:632
	buffer_load_dword v19, off, s[0:3], 0 offset:636
	ds_read_b128 v[2:5], v1 offset:1632
	ds_read_b128 v[6:9], v1 offset:1648
	;; [unrolled: 1-line block ×4, first 2 shown]
	buffer_load_dword v35, off, s[0:3], 0 offset:716
	buffer_load_dword v34, off, s[0:3], 0 offset:712
	;; [unrolled: 1-line block ×48, first 2 shown]
	v_cmp_lt_u32_e32 vcc, 37, v254
	s_waitcnt vmcnt(42) lgkmcnt(0)
	v_mul_f64 v[104:105], v[14:15], v[38:39]
	s_waitcnt vmcnt(40)
	v_fmac_f64_e32 v[104:105], v[16:17], v[40:41]
	v_mul_f64 v[82:83], v[2:3], v[24:25]
	v_fmac_f64_e32 v[82:83], v[4:5], v[22:23]
	v_add_f64 v[82:83], v[82:83], 0
	v_mul_f64 v[4:5], v[4:5], v[24:25]
	v_mul_f64 v[84:85], v[6:7], v[32:33]
	v_fma_f64 v[2:3], v[2:3], v[22:23], -v[4:5]
	v_mul_f64 v[98:99], v[10:11], v[26:27]
	v_fmac_f64_e32 v[98:99], v[12:13], v[30:31]
	v_fmac_f64_e32 v[84:85], v[8:9], v[28:29]
	v_add_f64 v[100:101], v[82:83], v[84:85]
	buffer_load_dword v83, off, s[0:3], 0 offset:908
	buffer_load_dword v82, off, s[0:3], 0 offset:904
	;; [unrolled: 1-line block ×32, first 2 shown]
	v_add_f64 v[102:103], v[100:101], v[98:99]
	ds_read_b128 v[98:101], v1 offset:1696
	buffer_load_dword v195, off, s[0:3], 0 offset:1020
	buffer_load_dword v194, off, s[0:3], 0 offset:1016
	;; [unrolled: 1-line block ×4, first 2 shown]
	v_add_f64 v[106:107], v[102:103], v[104:105]
	ds_read_b128 v[102:105], v1 offset:1712
	v_mul_f64 v[4:5], v[8:9], v[32:33]
	s_waitcnt lgkmcnt(1)
	v_mul_f64 v[108:109], v[98:99], v[34:35]
	v_fmac_f64_e32 v[108:109], v[100:101], v[36:37]
	v_add_f64 v[110:111], v[106:107], v[108:109]
	ds_read_b128 v[106:109], v1 offset:1728
	s_waitcnt vmcnt(62) lgkmcnt(1)
	v_mul_f64 v[112:113], v[102:103], v[46:47]
	v_fmac_f64_e32 v[112:113], v[104:105], v[48:49]
	v_add_f64 v[114:115], v[110:111], v[112:113]
	ds_read_b128 v[110:113], v1 offset:1744
	s_waitcnt lgkmcnt(1)
	v_mul_f64 v[116:117], v[106:107], v[42:43]
	v_fmac_f64_e32 v[116:117], v[108:109], v[44:45]
	v_add_f64 v[118:119], v[114:115], v[116:117]
	ds_read_b128 v[114:117], v1 offset:1760
	s_waitcnt lgkmcnt(1)
	v_mul_f64 v[120:121], v[110:111], v[54:55]
	s_waitcnt vmcnt(60)
	v_fmac_f64_e32 v[120:121], v[112:113], v[56:57]
	v_add_f64 v[122:123], v[118:119], v[120:121]
	ds_read_b128 v[118:121], v1 offset:1776
	s_waitcnt lgkmcnt(1)
	v_mul_f64 v[124:125], v[114:115], v[50:51]
	v_fmac_f64_e32 v[124:125], v[116:117], v[52:53]
	v_add_f64 v[126:127], v[122:123], v[124:125]
	ds_read_b128 v[122:125], v1 offset:1792
	s_waitcnt vmcnt(54) lgkmcnt(1)
	v_mul_f64 v[128:129], v[118:119], v[62:63]
	s_waitcnt vmcnt(52)
	v_fmac_f64_e32 v[128:129], v[120:121], v[64:65]
	v_add_f64 v[130:131], v[126:127], v[128:129]
	ds_read_b128 v[126:129], v1 offset:1808
	s_waitcnt lgkmcnt(1)
	v_mul_f64 v[132:133], v[122:123], v[58:59]
	v_fmac_f64_e32 v[132:133], v[124:125], v[60:61]
	v_add_f64 v[2:3], v[2:3], 0
	v_fma_f64 v[4:5], v[6:7], v[28:29], -v[4:5]
	v_add_f64 v[134:135], v[130:131], v[132:133]
	ds_read_b128 v[130:133], v1 offset:1824
	v_add_f64 v[2:3], v[2:3], v[4:5]
	v_mul_f64 v[4:5], v[12:13], v[26:27]
	v_fma_f64 v[4:5], v[10:11], v[30:31], -v[4:5]
	v_add_f64 v[2:3], v[2:3], v[4:5]
	v_mul_f64 v[4:5], v[16:17], v[38:39]
	s_waitcnt vmcnt(46) lgkmcnt(1)
	v_mul_f64 v[136:137], v[126:127], v[70:71]
	v_fma_f64 v[4:5], v[14:15], v[40:41], -v[4:5]
	s_waitcnt vmcnt(44)
	v_fmac_f64_e32 v[136:137], v[128:129], v[72:73]
	v_add_f64 v[2:3], v[2:3], v[4:5]
	v_mul_f64 v[4:5], v[100:101], v[34:35]
	v_add_f64 v[138:139], v[134:135], v[136:137]
	ds_read_b128 v[134:137], v1 offset:1840
	s_waitcnt lgkmcnt(1)
	v_mul_f64 v[140:141], v[130:131], v[66:67]
	v_fma_f64 v[4:5], v[98:99], v[36:37], -v[4:5]
	v_fmac_f64_e32 v[140:141], v[132:133], v[68:69]
	v_add_f64 v[2:3], v[2:3], v[4:5]
	v_mul_f64 v[4:5], v[104:105], v[46:47]
	v_add_f64 v[142:143], v[138:139], v[140:141]
	ds_read_b128 v[138:141], v1 offset:1856
	v_fma_f64 v[4:5], v[102:103], v[48:49], -v[4:5]
	v_add_f64 v[2:3], v[2:3], v[4:5]
	v_mul_f64 v[4:5], v[108:109], v[42:43]
	v_fma_f64 v[4:5], v[106:107], v[44:45], -v[4:5]
	s_waitcnt vmcnt(38) lgkmcnt(1)
	v_mul_f64 v[144:145], v[134:135], v[78:79]
	v_add_f64 v[2:3], v[2:3], v[4:5]
	v_mul_f64 v[4:5], v[112:113], v[54:55]
	s_waitcnt vmcnt(36)
	v_fmac_f64_e32 v[144:145], v[136:137], v[80:81]
	v_fma_f64 v[4:5], v[110:111], v[56:57], -v[4:5]
	v_add_f64 v[146:147], v[142:143], v[144:145]
	ds_read_b128 v[142:145], v1 offset:1872
	s_waitcnt lgkmcnt(1)
	v_mul_f64 v[148:149], v[138:139], v[74:75]
	v_add_f64 v[2:3], v[2:3], v[4:5]
	v_mul_f64 v[4:5], v[116:117], v[50:51]
	v_fmac_f64_e32 v[148:149], v[140:141], v[76:77]
	v_fma_f64 v[4:5], v[114:115], v[52:53], -v[4:5]
	v_add_f64 v[150:151], v[146:147], v[148:149]
	ds_read_b128 v[146:149], v1 offset:1888
	v_add_f64 v[2:3], v[2:3], v[4:5]
	v_mul_f64 v[4:5], v[120:121], v[62:63]
	v_fma_f64 v[4:5], v[118:119], v[64:65], -v[4:5]
	v_add_f64 v[2:3], v[2:3], v[4:5]
	v_mul_f64 v[4:5], v[124:125], v[58:59]
	s_waitcnt vmcnt(30) lgkmcnt(1)
	v_mul_f64 v[152:153], v[142:143], v[86:87]
	v_fma_f64 v[4:5], v[122:123], v[60:61], -v[4:5]
	s_waitcnt vmcnt(28)
	v_fmac_f64_e32 v[152:153], v[144:145], v[88:89]
	v_add_f64 v[2:3], v[2:3], v[4:5]
	v_mul_f64 v[4:5], v[128:129], v[70:71]
	v_add_f64 v[154:155], v[150:151], v[152:153]
	ds_read_b128 v[150:153], v1 offset:1904
	s_waitcnt lgkmcnt(1)
	v_mul_f64 v[156:157], v[146:147], v[82:83]
	v_fma_f64 v[4:5], v[126:127], v[72:73], -v[4:5]
	v_fmac_f64_e32 v[156:157], v[148:149], v[84:85]
	v_add_f64 v[2:3], v[2:3], v[4:5]
	v_mul_f64 v[4:5], v[132:133], v[66:67]
	v_add_f64 v[158:159], v[154:155], v[156:157]
	ds_read_b128 v[154:157], v1 offset:1920
	v_fma_f64 v[4:5], v[130:131], v[68:69], -v[4:5]
	v_add_f64 v[2:3], v[2:3], v[4:5]
	v_mul_f64 v[4:5], v[136:137], v[78:79]
	v_fma_f64 v[4:5], v[134:135], v[80:81], -v[4:5]
	s_waitcnt vmcnt(22) lgkmcnt(1)
	v_mul_f64 v[160:161], v[150:151], v[94:95]
	v_add_f64 v[2:3], v[2:3], v[4:5]
	v_mul_f64 v[4:5], v[140:141], v[74:75]
	s_waitcnt vmcnt(20)
	v_fmac_f64_e32 v[160:161], v[152:153], v[96:97]
	v_fma_f64 v[4:5], v[138:139], v[76:77], -v[4:5]
	v_add_f64 v[162:163], v[158:159], v[160:161]
	ds_read_b128 v[158:161], v1 offset:1936
	s_waitcnt lgkmcnt(1)
	v_mul_f64 v[164:165], v[154:155], v[90:91]
	v_add_f64 v[2:3], v[2:3], v[4:5]
	v_mul_f64 v[4:5], v[144:145], v[86:87]
	v_fmac_f64_e32 v[164:165], v[156:157], v[92:93]
	v_fma_f64 v[4:5], v[142:143], v[88:89], -v[4:5]
	v_add_f64 v[166:167], v[162:163], v[164:165]
	ds_read_b128 v[162:165], v1 offset:1952
	v_add_f64 v[2:3], v[2:3], v[4:5]
	v_mul_f64 v[4:5], v[148:149], v[82:83]
	v_fma_f64 v[4:5], v[146:147], v[84:85], -v[4:5]
	v_add_f64 v[2:3], v[2:3], v[4:5]
	v_mul_f64 v[4:5], v[152:153], v[94:95]
	s_waitcnt vmcnt(14) lgkmcnt(1)
	v_mul_f64 v[168:169], v[158:159], v[182:183]
	v_fma_f64 v[4:5], v[150:151], v[96:97], -v[4:5]
	s_waitcnt vmcnt(12)
	v_fmac_f64_e32 v[168:169], v[160:161], v[184:185]
	v_add_f64 v[2:3], v[2:3], v[4:5]
	v_mul_f64 v[4:5], v[156:157], v[90:91]
	v_add_f64 v[170:171], v[166:167], v[168:169]
	ds_read_b128 v[166:169], v1 offset:1968
	s_waitcnt lgkmcnt(1)
	v_mul_f64 v[172:173], v[162:163], v[178:179]
	v_fma_f64 v[4:5], v[154:155], v[92:93], -v[4:5]
	v_fmac_f64_e32 v[172:173], v[164:165], v[180:181]
	v_add_f64 v[2:3], v[2:3], v[4:5]
	v_mul_f64 v[4:5], v[160:161], v[182:183]
	v_add_f64 v[198:199], v[170:171], v[172:173]
	ds_read_b128 v[170:173], v1 offset:1984
	v_fma_f64 v[4:5], v[158:159], v[184:185], -v[4:5]
	v_add_f64 v[2:3], v[2:3], v[4:5]
	v_mul_f64 v[4:5], v[164:165], v[178:179]
	ds_read_b128 v[174:177], v1 offset:2000
	v_fma_f64 v[4:5], v[162:163], v[180:181], -v[4:5]
	v_add_f64 v[2:3], v[2:3], v[4:5]
	s_waitcnt vmcnt(6) lgkmcnt(2)
	v_mul_f64 v[4:5], v[168:169], v[190:191]
	v_mul_f64 v[200:201], v[166:167], v[190:191]
	s_waitcnt vmcnt(4)
	v_fma_f64 v[4:5], v[166:167], v[192:193], -v[4:5]
	v_fmac_f64_e32 v[200:201], v[168:169], v[192:193]
	v_add_f64 v[2:3], v[2:3], v[4:5]
	s_waitcnt lgkmcnt(1)
	v_mul_f64 v[4:5], v[172:173], v[186:187]
	v_add_f64 v[0:1], v[198:199], v[200:201]
	v_mul_f64 v[198:199], v[170:171], v[186:187]
	v_fma_f64 v[4:5], v[170:171], v[188:189], -v[4:5]
	v_fmac_f64_e32 v[198:199], v[172:173], v[188:189]
	v_add_f64 v[2:3], v[2:3], v[4:5]
	s_waitcnt vmcnt(2) lgkmcnt(0)
	v_mul_f64 v[4:5], v[176:177], v[194:195]
	v_add_f64 v[0:1], v[0:1], v[198:199]
	v_mul_f64 v[198:199], v[174:175], v[194:195]
	s_waitcnt vmcnt(0)
	v_fma_f64 v[4:5], v[174:175], v[196:197], -v[4:5]
	v_fmac_f64_e32 v[198:199], v[176:177], v[196:197]
	v_add_f64 v[2:3], v[2:3], v[4:5]
	v_add_f64 v[0:1], v[0:1], v[198:199]
	v_add_f64 v[2:3], v[20:21], -v[2:3]
	v_add_f64 v[0:1], v[18:19], -v[0:1]
	buffer_store_dword v3, off, s[0:3], 0 offset:628
	buffer_store_dword v2, off, s[0:3], 0 offset:624
	;; [unrolled: 1-line block ×4, first 2 shown]
	s_and_saveexec_b64 s[4:5], vcc
	s_cbranch_execz .LBB62_329
; %bb.328:
	v_accvgpr_read_b32 v0, a151
	buffer_load_dword v2, v0, s[0:3], 0 offen
	buffer_load_dword v3, v0, s[0:3], 0 offen offset:4
	buffer_load_dword v4, v0, s[0:3], 0 offen offset:8
	;; [unrolled: 1-line block ×3, first 2 shown]
	v_mov_b32_e32 v0, 0
	v_accvgpr_read_b32 v1, a189
	buffer_store_dword v0, off, s[0:3], 0 offset:608
	buffer_store_dword v0, off, s[0:3], 0 offset:612
	;; [unrolled: 1-line block ×4, first 2 shown]
	s_waitcnt vmcnt(4)
	ds_write_b128 v1, v[2:5]
.LBB62_329:
	s_or_b64 exec, exec, s[4:5]
	s_waitcnt lgkmcnt(0)
	; wave barrier
	s_waitcnt lgkmcnt(0)
	buffer_load_dword v22, off, s[0:3], 0 offset:624
	buffer_load_dword v23, off, s[0:3], 0 offset:628
	;; [unrolled: 1-line block ×64, first 2 shown]
	v_mov_b32_e32 v1, 0
	ds_read_b128 v[18:21], v1 offset:1616
	ds_read_b128 v[14:17], v1 offset:1632
	;; [unrolled: 1-line block ×5, first 2 shown]
	v_cmp_lt_u32_e32 vcc, 36, v254
	s_waitcnt vmcnt(60) lgkmcnt(4)
	v_mul_f64 v[86:87], v[18:19], v[26:27]
	v_fmac_f64_e32 v[86:87], v[20:21], v[22:23]
	v_add_f64 v[86:87], v[86:87], 0
	v_mul_f64 v[20:21], v[20:21], v[26:27]
	s_waitcnt vmcnt(56) lgkmcnt(3)
	v_mul_f64 v[88:89], v[14:15], v[28:29]
	v_fmac_f64_e32 v[88:89], v[16:17], v[24:25]
	s_waitcnt vmcnt(54) lgkmcnt(2)
	v_mul_f64 v[90:91], v[10:11], v[30:31]
	v_add_f64 v[86:87], v[86:87], v[88:89]
	v_fma_f64 v[18:19], v[18:19], v[22:23], -v[20:21]
	v_mul_f64 v[16:17], v[16:17], v[28:29]
	s_waitcnt vmcnt(50) lgkmcnt(1)
	v_mul_f64 v[102:103], v[6:7], v[40:41]
	v_add_f64 v[18:19], v[18:19], 0
	s_waitcnt vmcnt(48)
	v_fmac_f64_e32 v[90:91], v[12:13], v[44:45]
	v_add_f64 v[104:105], v[86:87], v[90:91]
	buffer_load_dword v87, off, s[0:3], 0 offset:892
	buffer_load_dword v86, off, s[0:3], 0 offset:888
	;; [unrolled: 1-line block ×40, first 2 shown]
	s_waitcnt vmcnt(62)
	v_fmac_f64_e32 v[102:103], v[8:9], v[42:43]
	v_add_f64 v[106:107], v[104:105], v[102:103]
	ds_read_b128 v[102:105], v1 offset:1696
	s_waitcnt lgkmcnt(1)
	v_mul_f64 v[108:109], v[2:3], v[36:37]
	v_fmac_f64_e32 v[108:109], v[4:5], v[38:39]
	v_add_f64 v[110:111], v[106:107], v[108:109]
	ds_read_b128 v[106:109], v1 offset:1712
	s_waitcnt lgkmcnt(1)
	v_mul_f64 v[112:113], v[102:103], v[50:51]
	;; [unrolled: 5-line block ×5, first 2 shown]
	v_fmac_f64_e32 v[124:125], v[116:117], v[56:57]
	v_add_f64 v[126:127], v[122:123], v[124:125]
	ds_read_b128 v[122:125], v1 offset:1776
	s_waitcnt vmcnt(58) lgkmcnt(1)
	v_mul_f64 v[128:129], v[118:119], v[66:67]
	s_waitcnt vmcnt(56)
	v_fmac_f64_e32 v[128:129], v[120:121], v[68:69]
	v_add_f64 v[130:131], v[126:127], v[128:129]
	ds_read_b128 v[126:129], v1 offset:1792
	s_waitcnt lgkmcnt(1)
	v_mul_f64 v[132:133], v[122:123], v[62:63]
	v_fmac_f64_e32 v[132:133], v[124:125], v[64:65]
	v_add_f64 v[134:135], v[130:131], v[132:133]
	ds_read_b128 v[130:133], v1 offset:1808
	s_waitcnt vmcnt(50) lgkmcnt(1)
	v_mul_f64 v[136:137], v[126:127], v[74:75]
	s_waitcnt vmcnt(48)
	v_fmac_f64_e32 v[136:137], v[128:129], v[76:77]
	v_add_f64 v[138:139], v[134:135], v[136:137]
	ds_read_b128 v[134:137], v1 offset:1824
	v_fma_f64 v[14:15], v[14:15], v[24:25], -v[16:17]
	v_mul_f64 v[12:13], v[12:13], v[30:31]
	v_add_f64 v[14:15], v[18:19], v[14:15]
	v_fma_f64 v[10:11], v[10:11], v[44:45], -v[12:13]
	v_mul_f64 v[8:9], v[8:9], v[40:41]
	s_waitcnt lgkmcnt(1)
	v_mul_f64 v[140:141], v[130:131], v[70:71]
	v_add_f64 v[10:11], v[14:15], v[10:11]
	v_fma_f64 v[6:7], v[6:7], v[42:43], -v[8:9]
	v_mul_f64 v[4:5], v[4:5], v[36:37]
	v_fmac_f64_e32 v[140:141], v[132:133], v[72:73]
	v_add_f64 v[6:7], v[10:11], v[6:7]
	v_fma_f64 v[2:3], v[2:3], v[38:39], -v[4:5]
	v_mul_f64 v[4:5], v[104:105], v[50:51]
	v_add_f64 v[142:143], v[138:139], v[140:141]
	ds_read_b128 v[138:141], v1 offset:1840
	s_waitcnt vmcnt(42) lgkmcnt(1)
	v_mul_f64 v[144:145], v[134:135], v[82:83]
	v_add_f64 v[2:3], v[6:7], v[2:3]
	v_fma_f64 v[4:5], v[102:103], v[52:53], -v[4:5]
	s_waitcnt vmcnt(40)
	v_fmac_f64_e32 v[144:145], v[136:137], v[84:85]
	v_add_f64 v[2:3], v[2:3], v[4:5]
	v_mul_f64 v[4:5], v[108:109], v[46:47]
	v_add_f64 v[146:147], v[142:143], v[144:145]
	ds_read_b128 v[142:145], v1 offset:1856
	v_fma_f64 v[4:5], v[106:107], v[48:49], -v[4:5]
	v_add_f64 v[2:3], v[2:3], v[4:5]
	v_mul_f64 v[4:5], v[112:113], v[58:59]
	v_fma_f64 v[4:5], v[110:111], v[60:61], -v[4:5]
	s_waitcnt lgkmcnt(1)
	v_mul_f64 v[148:149], v[138:139], v[78:79]
	v_add_f64 v[2:3], v[2:3], v[4:5]
	v_mul_f64 v[4:5], v[116:117], v[54:55]
	v_fmac_f64_e32 v[148:149], v[140:141], v[80:81]
	v_fma_f64 v[4:5], v[114:115], v[56:57], -v[4:5]
	v_add_f64 v[150:151], v[146:147], v[148:149]
	ds_read_b128 v[146:149], v1 offset:1872
	s_waitcnt vmcnt(34) lgkmcnt(1)
	v_mul_f64 v[152:153], v[142:143], v[90:91]
	v_add_f64 v[2:3], v[2:3], v[4:5]
	v_mul_f64 v[4:5], v[120:121], v[66:67]
	s_waitcnt vmcnt(32)
	v_fmac_f64_e32 v[152:153], v[144:145], v[92:93]
	v_fma_f64 v[4:5], v[118:119], v[68:69], -v[4:5]
	v_add_f64 v[154:155], v[150:151], v[152:153]
	ds_read_b128 v[150:153], v1 offset:1888
	v_add_f64 v[2:3], v[2:3], v[4:5]
	v_mul_f64 v[4:5], v[124:125], v[62:63]
	v_fma_f64 v[4:5], v[122:123], v[64:65], -v[4:5]
	v_add_f64 v[2:3], v[2:3], v[4:5]
	v_mul_f64 v[4:5], v[128:129], v[74:75]
	s_waitcnt lgkmcnt(1)
	v_mul_f64 v[156:157], v[146:147], v[86:87]
	v_fma_f64 v[4:5], v[126:127], v[76:77], -v[4:5]
	v_fmac_f64_e32 v[156:157], v[148:149], v[88:89]
	v_add_f64 v[2:3], v[2:3], v[4:5]
	v_mul_f64 v[4:5], v[132:133], v[70:71]
	v_add_f64 v[158:159], v[154:155], v[156:157]
	ds_read_b128 v[154:157], v1 offset:1904
	s_waitcnt vmcnt(26) lgkmcnt(1)
	v_mul_f64 v[160:161], v[150:151], v[98:99]
	v_fma_f64 v[4:5], v[130:131], v[72:73], -v[4:5]
	s_waitcnt vmcnt(24)
	v_fmac_f64_e32 v[160:161], v[152:153], v[100:101]
	v_add_f64 v[2:3], v[2:3], v[4:5]
	v_mul_f64 v[4:5], v[136:137], v[82:83]
	v_add_f64 v[162:163], v[158:159], v[160:161]
	ds_read_b128 v[158:161], v1 offset:1920
	v_fma_f64 v[4:5], v[134:135], v[84:85], -v[4:5]
	v_add_f64 v[2:3], v[2:3], v[4:5]
	v_mul_f64 v[4:5], v[140:141], v[78:79]
	v_fma_f64 v[4:5], v[138:139], v[80:81], -v[4:5]
	s_waitcnt lgkmcnt(1)
	v_mul_f64 v[164:165], v[154:155], v[94:95]
	v_add_f64 v[2:3], v[2:3], v[4:5]
	v_mul_f64 v[4:5], v[144:145], v[90:91]
	v_fmac_f64_e32 v[164:165], v[156:157], v[96:97]
	v_fma_f64 v[4:5], v[142:143], v[92:93], -v[4:5]
	v_add_f64 v[166:167], v[162:163], v[164:165]
	ds_read_b128 v[162:165], v1 offset:1936
	s_waitcnt vmcnt(18) lgkmcnt(1)
	v_mul_f64 v[168:169], v[158:159], v[186:187]
	v_add_f64 v[2:3], v[2:3], v[4:5]
	v_mul_f64 v[4:5], v[148:149], v[86:87]
	s_waitcnt vmcnt(16)
	v_fmac_f64_e32 v[168:169], v[160:161], v[188:189]
	v_fma_f64 v[4:5], v[146:147], v[88:89], -v[4:5]
	v_add_f64 v[170:171], v[166:167], v[168:169]
	ds_read_b128 v[166:169], v1 offset:1952
	v_add_f64 v[2:3], v[2:3], v[4:5]
	v_mul_f64 v[4:5], v[152:153], v[98:99]
	v_fma_f64 v[4:5], v[150:151], v[100:101], -v[4:5]
	v_add_f64 v[2:3], v[2:3], v[4:5]
	v_mul_f64 v[4:5], v[156:157], v[94:95]
	s_waitcnt lgkmcnt(1)
	v_mul_f64 v[172:173], v[162:163], v[182:183]
	v_fma_f64 v[4:5], v[154:155], v[96:97], -v[4:5]
	v_fmac_f64_e32 v[172:173], v[164:165], v[184:185]
	v_add_f64 v[2:3], v[2:3], v[4:5]
	v_mul_f64 v[4:5], v[160:161], v[186:187]
	v_add_f64 v[174:175], v[170:171], v[172:173]
	ds_read_b128 v[170:173], v1 offset:1968
	s_waitcnt vmcnt(10) lgkmcnt(1)
	v_mul_f64 v[176:177], v[166:167], v[194:195]
	v_fma_f64 v[4:5], v[158:159], v[188:189], -v[4:5]
	s_waitcnt vmcnt(8)
	v_fmac_f64_e32 v[176:177], v[168:169], v[196:197]
	v_add_f64 v[2:3], v[2:3], v[4:5]
	v_mul_f64 v[4:5], v[164:165], v[182:183]
	v_add_f64 v[206:207], v[174:175], v[176:177]
	ds_read_b128 v[174:177], v1 offset:1984
	ds_read_b128 v[178:181], v1 offset:2000
	v_fma_f64 v[4:5], v[162:163], v[184:185], -v[4:5]
	v_add_f64 v[2:3], v[2:3], v[4:5]
	v_mul_f64 v[4:5], v[168:169], v[194:195]
	v_fma_f64 v[4:5], v[166:167], v[196:197], -v[4:5]
	v_add_f64 v[2:3], v[2:3], v[4:5]
	s_waitcnt lgkmcnt(2)
	v_mul_f64 v[4:5], v[172:173], v[190:191]
	v_mul_f64 v[208:209], v[170:171], v[190:191]
	v_fma_f64 v[4:5], v[170:171], v[192:193], -v[4:5]
	v_fmac_f64_e32 v[208:209], v[172:173], v[192:193]
	v_add_f64 v[2:3], v[2:3], v[4:5]
	s_waitcnt vmcnt(2) lgkmcnt(1)
	v_mul_f64 v[4:5], v[176:177], v[202:203]
	v_add_f64 v[206:207], v[206:207], v[208:209]
	v_mul_f64 v[208:209], v[174:175], v[202:203]
	s_waitcnt vmcnt(0)
	v_fma_f64 v[4:5], v[174:175], v[204:205], -v[4:5]
	v_fmac_f64_e32 v[208:209], v[176:177], v[204:205]
	v_add_f64 v[2:3], v[2:3], v[4:5]
	s_waitcnt lgkmcnt(0)
	v_mul_f64 v[4:5], v[180:181], v[198:199]
	v_add_f64 v[206:207], v[206:207], v[208:209]
	v_mul_f64 v[208:209], v[178:179], v[198:199]
	v_fma_f64 v[4:5], v[178:179], v[200:201], -v[4:5]
	v_fmac_f64_e32 v[208:209], v[180:181], v[200:201]
	v_add_f64 v[2:3], v[2:3], v[4:5]
	v_add_f64 v[206:207], v[206:207], v[208:209]
	v_add_f64 v[2:3], v[34:35], -v[2:3]
	v_add_f64 v[4:5], v[32:33], -v[206:207]
	buffer_store_dword v3, off, s[0:3], 0 offset:612
	buffer_store_dword v2, off, s[0:3], 0 offset:608
	;; [unrolled: 1-line block ×4, first 2 shown]
	s_and_saveexec_b64 s[4:5], vcc
	s_cbranch_execz .LBB62_331
; %bb.330:
	v_accvgpr_read_b32 v0, a152
	buffer_load_dword v2, v0, s[0:3], 0 offen
	buffer_load_dword v3, v0, s[0:3], 0 offen offset:4
	buffer_load_dword v4, v0, s[0:3], 0 offen offset:8
	;; [unrolled: 1-line block ×3, first 2 shown]
	v_accvgpr_read_b32 v0, a189
	buffer_store_dword v1, off, s[0:3], 0 offset:592
	buffer_store_dword v1, off, s[0:3], 0 offset:596
	;; [unrolled: 1-line block ×4, first 2 shown]
	s_waitcnt vmcnt(4)
	ds_write_b128 v0, v[2:5]
.LBB62_331:
	s_or_b64 exec, exec, s[4:5]
	s_waitcnt lgkmcnt(0)
	; wave barrier
	s_waitcnt lgkmcnt(0)
	buffer_load_dword v26, off, s[0:3], 0 offset:608
	buffer_load_dword v27, off, s[0:3], 0 offset:612
	;; [unrolled: 1-line block ×24, first 2 shown]
	ds_read_b128 v[22:25], v1 offset:1600
	ds_read_b128 v[18:21], v1 offset:1616
	;; [unrolled: 1-line block ×6, first 2 shown]
	buffer_load_dword v51, off, s[0:3], 0 offset:716
	buffer_load_dword v50, off, s[0:3], 0 offset:712
	;; [unrolled: 1-line block ×40, first 2 shown]
	v_cmp_lt_u32_e32 vcc, 35, v254
	s_waitcnt vmcnt(34) lgkmcnt(0)
	v_mul_f64 v[120:121], v[14:15], v[54:55]
	s_waitcnt vmcnt(32)
	v_fmac_f64_e32 v[120:121], v[16:17], v[56:57]
	v_mul_f64 v[90:91], v[22:23], v[28:29]
	v_fmac_f64_e32 v[90:91], v[24:25], v[26:27]
	v_mul_f64 v[92:93], v[18:19], v[30:31]
	v_add_f64 v[90:91], v[90:91], 0
	v_mul_f64 v[94:95], v[10:11], v[32:33]
	v_mul_f64 v[24:25], v[24:25], v[28:29]
	;; [unrolled: 1-line block ×3, first 2 shown]
	v_fma_f64 v[22:23], v[22:23], v[26:27], -v[24:25]
	v_add_f64 v[22:23], v[22:23], 0
	v_mul_f64 v[96:97], v[6:7], v[42:43]
	v_fmac_f64_e32 v[92:93], v[20:21], v[48:49]
	v_add_f64 v[90:91], v[90:91], v[92:93]
	v_fmac_f64_e32 v[94:95], v[12:13], v[46:47]
	v_add_f64 v[90:91], v[90:91], v[94:95]
	;; [unrolled: 2-line block ×3, first 2 shown]
	buffer_load_dword v91, off, s[0:3], 0 offset:876
	buffer_load_dword v90, off, s[0:3], 0 offset:872
	buffer_load_dword v93, off, s[0:3], 0 offset:868
	buffer_load_dword v92, off, s[0:3], 0 offset:864
	buffer_load_dword v95, off, s[0:3], 0 offset:860
	buffer_load_dword v94, off, s[0:3], 0 offset:856
	buffer_load_dword v97, off, s[0:3], 0 offset:852
	buffer_load_dword v96, off, s[0:3], 0 offset:848
	buffer_load_dword v99, off, s[0:3], 0 offset:908
	buffer_load_dword v98, off, s[0:3], 0 offset:904
	buffer_load_dword v101, off, s[0:3], 0 offset:900
	buffer_load_dword v100, off, s[0:3], 0 offset:896
	buffer_load_dword v103, off, s[0:3], 0 offset:892
	buffer_load_dword v102, off, s[0:3], 0 offset:888
	buffer_load_dword v105, off, s[0:3], 0 offset:884
	buffer_load_dword v104, off, s[0:3], 0 offset:880
	buffer_load_dword v107, off, s[0:3], 0 offset:940
	buffer_load_dword v106, off, s[0:3], 0 offset:936
	buffer_load_dword v109, off, s[0:3], 0 offset:932
	buffer_load_dword v108, off, s[0:3], 0 offset:928
	buffer_load_dword v111, off, s[0:3], 0 offset:924
	buffer_load_dword v110, off, s[0:3], 0 offset:920
	buffer_load_dword v113, off, s[0:3], 0 offset:916
	buffer_load_dword v112, off, s[0:3], 0 offset:912
	buffer_load_dword v195, off, s[0:3], 0 offset:972
	buffer_load_dword v194, off, s[0:3], 0 offset:968
	buffer_load_dword v197, off, s[0:3], 0 offset:964
	buffer_load_dword v196, off, s[0:3], 0 offset:960
	buffer_load_dword v199, off, s[0:3], 0 offset:956
	buffer_load_dword v198, off, s[0:3], 0 offset:952
	buffer_load_dword v201, off, s[0:3], 0 offset:948
	buffer_load_dword v200, off, s[0:3], 0 offset:944
	buffer_load_dword v203, off, s[0:3], 0 offset:1004
	buffer_load_dword v202, off, s[0:3], 0 offset:1000
	buffer_load_dword v205, off, s[0:3], 0 offset:996
	buffer_load_dword v204, off, s[0:3], 0 offset:992
	buffer_load_dword v207, off, s[0:3], 0 offset:988
	buffer_load_dword v206, off, s[0:3], 0 offset:984
	buffer_load_dword v209, off, s[0:3], 0 offset:980
	buffer_load_dword v208, off, s[0:3], 0 offset:976
	v_fmac_f64_e32 v[114:115], v[4:5], v[40:41]
	v_add_f64 v[118:119], v[116:117], v[114:115]
	ds_read_b128 v[114:117], v1 offset:1696
	buffer_load_dword v211, off, s[0:3], 0 offset:1020
	buffer_load_dword v210, off, s[0:3], 0 offset:1016
	;; [unrolled: 1-line block ×4, first 2 shown]
	v_add_f64 v[122:123], v[118:119], v[120:121]
	ds_read_b128 v[118:121], v1 offset:1712
	v_mul_f64 v[20:21], v[20:21], v[30:31]
	s_waitcnt lgkmcnt(1)
	v_mul_f64 v[124:125], v[114:115], v[50:51]
	v_fmac_f64_e32 v[124:125], v[116:117], v[52:53]
	v_add_f64 v[126:127], v[122:123], v[124:125]
	ds_read_b128 v[122:125], v1 offset:1728
	s_waitcnt vmcnt(62) lgkmcnt(1)
	v_mul_f64 v[128:129], v[118:119], v[62:63]
	v_fmac_f64_e32 v[128:129], v[120:121], v[64:65]
	v_add_f64 v[130:131], v[126:127], v[128:129]
	ds_read_b128 v[126:129], v1 offset:1744
	s_waitcnt lgkmcnt(1)
	v_mul_f64 v[132:133], v[122:123], v[58:59]
	v_fmac_f64_e32 v[132:133], v[124:125], v[60:61]
	v_add_f64 v[134:135], v[130:131], v[132:133]
	ds_read_b128 v[130:133], v1 offset:1760
	s_waitcnt lgkmcnt(1)
	v_mul_f64 v[136:137], v[126:127], v[70:71]
	s_waitcnt vmcnt(60)
	v_fmac_f64_e32 v[136:137], v[128:129], v[72:73]
	v_add_f64 v[138:139], v[134:135], v[136:137]
	ds_read_b128 v[134:137], v1 offset:1776
	s_waitcnt lgkmcnt(1)
	v_mul_f64 v[140:141], v[130:131], v[66:67]
	v_fmac_f64_e32 v[140:141], v[132:133], v[68:69]
	v_add_f64 v[142:143], v[138:139], v[140:141]
	ds_read_b128 v[138:141], v1 offset:1792
	s_waitcnt vmcnt(54) lgkmcnt(1)
	v_mul_f64 v[144:145], v[134:135], v[78:79]
	s_waitcnt vmcnt(52)
	v_fmac_f64_e32 v[144:145], v[136:137], v[80:81]
	v_add_f64 v[146:147], v[142:143], v[144:145]
	ds_read_b128 v[142:145], v1 offset:1808
	s_waitcnt lgkmcnt(1)
	v_mul_f64 v[148:149], v[138:139], v[74:75]
	v_fmac_f64_e32 v[148:149], v[140:141], v[76:77]
	v_fma_f64 v[18:19], v[18:19], v[48:49], -v[20:21]
	v_mul_f64 v[12:13], v[12:13], v[32:33]
	v_add_f64 v[150:151], v[146:147], v[148:149]
	ds_read_b128 v[146:149], v1 offset:1824
	v_add_f64 v[18:19], v[22:23], v[18:19]
	v_fma_f64 v[10:11], v[10:11], v[46:47], -v[12:13]
	v_mul_f64 v[8:9], v[8:9], v[42:43]
	v_add_f64 v[10:11], v[18:19], v[10:11]
	v_fma_f64 v[6:7], v[6:7], v[44:45], -v[8:9]
	v_mul_f64 v[4:5], v[4:5], v[38:39]
	;; [unrolled: 3-line block ×3, first 2 shown]
	s_waitcnt vmcnt(46) lgkmcnt(1)
	v_mul_f64 v[152:153], v[142:143], v[86:87]
	v_add_f64 v[2:3], v[6:7], v[2:3]
	v_fma_f64 v[4:5], v[14:15], v[56:57], -v[4:5]
	s_waitcnt vmcnt(44)
	v_fmac_f64_e32 v[152:153], v[144:145], v[88:89]
	v_add_f64 v[2:3], v[2:3], v[4:5]
	v_mul_f64 v[4:5], v[116:117], v[50:51]
	v_add_f64 v[154:155], v[150:151], v[152:153]
	ds_read_b128 v[150:153], v1 offset:1840
	s_waitcnt lgkmcnt(1)
	v_mul_f64 v[156:157], v[146:147], v[82:83]
	v_fma_f64 v[4:5], v[114:115], v[52:53], -v[4:5]
	v_fmac_f64_e32 v[156:157], v[148:149], v[84:85]
	v_add_f64 v[2:3], v[2:3], v[4:5]
	v_mul_f64 v[4:5], v[120:121], v[62:63]
	v_add_f64 v[158:159], v[154:155], v[156:157]
	ds_read_b128 v[154:157], v1 offset:1856
	v_fma_f64 v[4:5], v[118:119], v[64:65], -v[4:5]
	v_add_f64 v[2:3], v[2:3], v[4:5]
	v_mul_f64 v[4:5], v[124:125], v[58:59]
	v_fma_f64 v[4:5], v[122:123], v[60:61], -v[4:5]
	s_waitcnt vmcnt(38) lgkmcnt(1)
	v_mul_f64 v[160:161], v[150:151], v[94:95]
	v_add_f64 v[2:3], v[2:3], v[4:5]
	v_mul_f64 v[4:5], v[128:129], v[70:71]
	s_waitcnt vmcnt(36)
	v_fmac_f64_e32 v[160:161], v[152:153], v[96:97]
	v_fma_f64 v[4:5], v[126:127], v[72:73], -v[4:5]
	v_add_f64 v[162:163], v[158:159], v[160:161]
	ds_read_b128 v[158:161], v1 offset:1872
	s_waitcnt lgkmcnt(1)
	v_mul_f64 v[164:165], v[154:155], v[90:91]
	v_add_f64 v[2:3], v[2:3], v[4:5]
	v_mul_f64 v[4:5], v[132:133], v[66:67]
	v_fmac_f64_e32 v[164:165], v[156:157], v[92:93]
	v_fma_f64 v[4:5], v[130:131], v[68:69], -v[4:5]
	v_add_f64 v[166:167], v[162:163], v[164:165]
	ds_read_b128 v[162:165], v1 offset:1888
	v_add_f64 v[2:3], v[2:3], v[4:5]
	v_mul_f64 v[4:5], v[136:137], v[78:79]
	v_fma_f64 v[4:5], v[134:135], v[80:81], -v[4:5]
	v_add_f64 v[2:3], v[2:3], v[4:5]
	v_mul_f64 v[4:5], v[140:141], v[74:75]
	s_waitcnt vmcnt(30) lgkmcnt(1)
	v_mul_f64 v[168:169], v[158:159], v[102:103]
	v_fma_f64 v[4:5], v[138:139], v[76:77], -v[4:5]
	s_waitcnt vmcnt(28)
	v_fmac_f64_e32 v[168:169], v[160:161], v[104:105]
	v_add_f64 v[2:3], v[2:3], v[4:5]
	v_mul_f64 v[4:5], v[144:145], v[86:87]
	v_add_f64 v[170:171], v[166:167], v[168:169]
	ds_read_b128 v[166:169], v1 offset:1904
	s_waitcnt lgkmcnt(1)
	v_mul_f64 v[172:173], v[162:163], v[98:99]
	v_fma_f64 v[4:5], v[142:143], v[88:89], -v[4:5]
	v_fmac_f64_e32 v[172:173], v[164:165], v[100:101]
	v_add_f64 v[2:3], v[2:3], v[4:5]
	v_mul_f64 v[4:5], v[148:149], v[82:83]
	v_add_f64 v[174:175], v[170:171], v[172:173]
	ds_read_b128 v[170:173], v1 offset:1920
	v_fma_f64 v[4:5], v[146:147], v[84:85], -v[4:5]
	v_add_f64 v[2:3], v[2:3], v[4:5]
	v_mul_f64 v[4:5], v[152:153], v[94:95]
	v_fma_f64 v[4:5], v[150:151], v[96:97], -v[4:5]
	s_waitcnt vmcnt(22) lgkmcnt(1)
	v_mul_f64 v[176:177], v[166:167], v[110:111]
	v_add_f64 v[2:3], v[2:3], v[4:5]
	v_mul_f64 v[4:5], v[156:157], v[90:91]
	s_waitcnt vmcnt(20)
	v_fmac_f64_e32 v[176:177], v[168:169], v[112:113]
	v_fma_f64 v[4:5], v[154:155], v[92:93], -v[4:5]
	v_add_f64 v[178:179], v[174:175], v[176:177]
	ds_read_b128 v[174:177], v1 offset:1936
	s_waitcnt lgkmcnt(1)
	v_mul_f64 v[180:181], v[170:171], v[106:107]
	v_add_f64 v[2:3], v[2:3], v[4:5]
	v_mul_f64 v[4:5], v[160:161], v[102:103]
	v_fmac_f64_e32 v[180:181], v[172:173], v[108:109]
	v_fma_f64 v[4:5], v[158:159], v[104:105], -v[4:5]
	v_add_f64 v[182:183], v[178:179], v[180:181]
	ds_read_b128 v[178:181], v1 offset:1952
	v_add_f64 v[2:3], v[2:3], v[4:5]
	v_mul_f64 v[4:5], v[164:165], v[98:99]
	v_fma_f64 v[4:5], v[162:163], v[100:101], -v[4:5]
	v_add_f64 v[2:3], v[2:3], v[4:5]
	v_mul_f64 v[4:5], v[168:169], v[110:111]
	s_waitcnt vmcnt(14) lgkmcnt(1)
	v_mul_f64 v[184:185], v[174:175], v[198:199]
	v_fma_f64 v[4:5], v[166:167], v[112:113], -v[4:5]
	s_waitcnt vmcnt(12)
	v_fmac_f64_e32 v[184:185], v[176:177], v[200:201]
	v_add_f64 v[2:3], v[2:3], v[4:5]
	v_mul_f64 v[4:5], v[172:173], v[106:107]
	v_add_f64 v[186:187], v[182:183], v[184:185]
	ds_read_b128 v[182:185], v1 offset:1968
	s_waitcnt lgkmcnt(1)
	v_mul_f64 v[188:189], v[178:179], v[194:195]
	v_fma_f64 v[4:5], v[170:171], v[108:109], -v[4:5]
	v_fmac_f64_e32 v[188:189], v[180:181], v[196:197]
	v_add_f64 v[2:3], v[2:3], v[4:5]
	v_mul_f64 v[4:5], v[176:177], v[198:199]
	v_add_f64 v[214:215], v[186:187], v[188:189]
	ds_read_b128 v[186:189], v1 offset:1984
	v_fma_f64 v[4:5], v[174:175], v[200:201], -v[4:5]
	v_add_f64 v[2:3], v[2:3], v[4:5]
	v_mul_f64 v[4:5], v[180:181], v[194:195]
	ds_read_b128 v[190:193], v1 offset:2000
	v_fma_f64 v[4:5], v[178:179], v[196:197], -v[4:5]
	v_add_f64 v[2:3], v[2:3], v[4:5]
	s_waitcnt vmcnt(6) lgkmcnt(2)
	v_mul_f64 v[4:5], v[184:185], v[206:207]
	v_mul_f64 v[216:217], v[182:183], v[206:207]
	s_waitcnt vmcnt(4)
	v_fma_f64 v[4:5], v[182:183], v[208:209], -v[4:5]
	v_fmac_f64_e32 v[216:217], v[184:185], v[208:209]
	v_add_f64 v[2:3], v[2:3], v[4:5]
	s_waitcnt lgkmcnt(1)
	v_mul_f64 v[4:5], v[188:189], v[202:203]
	v_add_f64 v[0:1], v[214:215], v[216:217]
	v_mul_f64 v[214:215], v[186:187], v[202:203]
	v_fma_f64 v[4:5], v[186:187], v[204:205], -v[4:5]
	v_fmac_f64_e32 v[214:215], v[188:189], v[204:205]
	v_add_f64 v[2:3], v[2:3], v[4:5]
	s_waitcnt vmcnt(2) lgkmcnt(0)
	v_mul_f64 v[4:5], v[192:193], v[210:211]
	v_add_f64 v[0:1], v[0:1], v[214:215]
	v_mul_f64 v[214:215], v[190:191], v[210:211]
	s_waitcnt vmcnt(0)
	v_fma_f64 v[4:5], v[190:191], v[212:213], -v[4:5]
	v_fmac_f64_e32 v[214:215], v[192:193], v[212:213]
	v_add_f64 v[2:3], v[2:3], v[4:5]
	v_add_f64 v[0:1], v[0:1], v[214:215]
	v_add_f64 v[2:3], v[36:37], -v[2:3]
	v_add_f64 v[0:1], v[34:35], -v[0:1]
	buffer_store_dword v3, off, s[0:3], 0 offset:596
	buffer_store_dword v2, off, s[0:3], 0 offset:592
	;; [unrolled: 1-line block ×4, first 2 shown]
	s_and_saveexec_b64 s[4:5], vcc
	s_cbranch_execz .LBB62_333
; %bb.332:
	v_accvgpr_read_b32 v0, a153
	buffer_load_dword v2, v0, s[0:3], 0 offen
	buffer_load_dword v3, v0, s[0:3], 0 offen offset:4
	buffer_load_dword v4, v0, s[0:3], 0 offen offset:8
	;; [unrolled: 1-line block ×3, first 2 shown]
	v_mov_b32_e32 v0, 0
	v_accvgpr_read_b32 v1, a189
	buffer_store_dword v0, off, s[0:3], 0 offset:576
	buffer_store_dword v0, off, s[0:3], 0 offset:580
	;; [unrolled: 1-line block ×4, first 2 shown]
	s_waitcnt vmcnt(4)
	ds_write_b128 v1, v[2:5]
.LBB62_333:
	s_or_b64 exec, exec, s[4:5]
	s_waitcnt lgkmcnt(0)
	; wave barrier
	s_waitcnt lgkmcnt(0)
	buffer_load_dword v30, off, s[0:3], 0 offset:592
	buffer_load_dword v31, off, s[0:3], 0 offset:596
	;; [unrolled: 1-line block ×56, first 2 shown]
	v_mov_b32_e32 v1, 0
	ds_read_b128 v[26:29], v1 offset:1584
	ds_read_b128 v[22:25], v1 offset:1600
	;; [unrolled: 1-line block ×7, first 2 shown]
	v_cmp_lt_u32_e32 vcc, 34, v254
	s_waitcnt vmcnt(52) lgkmcnt(6)
	v_mul_f64 v[86:87], v[26:27], v[34:35]
	v_fmac_f64_e32 v[86:87], v[28:29], v[30:31]
	v_add_f64 v[86:87], v[86:87], 0
	v_mul_f64 v[28:29], v[28:29], v[34:35]
	s_waitcnt vmcnt(48) lgkmcnt(5)
	v_mul_f64 v[88:89], v[22:23], v[36:37]
	v_fmac_f64_e32 v[88:89], v[24:25], v[32:33]
	s_waitcnt vmcnt(46) lgkmcnt(4)
	v_mul_f64 v[90:91], v[18:19], v[38:39]
	v_add_f64 v[86:87], v[86:87], v[88:89]
	s_waitcnt vmcnt(44) lgkmcnt(2)
	v_mul_f64 v[94:95], v[10:11], v[40:41]
	v_fma_f64 v[26:27], v[26:27], v[30:31], -v[28:29]
	s_waitcnt vmcnt(42)
	v_fmac_f64_e32 v[94:95], v[12:13], v[42:43]
	v_mul_f64 v[24:25], v[24:25], v[36:37]
	s_waitcnt vmcnt(40)
	v_mul_f64 v[92:93], v[14:15], v[48:49]
	v_add_f64 v[26:27], v[26:27], 0
	v_fma_f64 v[22:23], v[22:23], v[32:33], -v[24:25]
	v_add_f64 v[22:23], v[26:27], v[22:23]
	s_waitcnt vmcnt(36) lgkmcnt(1)
	v_mul_f64 v[110:111], v[6:7], v[54:55]
	v_mul_f64 v[12:13], v[12:13], v[40:41]
	s_waitcnt vmcnt(34)
	v_fmac_f64_e32 v[90:91], v[20:21], v[60:61]
	v_add_f64 v[86:87], v[86:87], v[90:91]
	s_waitcnt vmcnt(32)
	v_fmac_f64_e32 v[92:93], v[16:17], v[58:59]
	v_add_f64 v[86:87], v[86:87], v[92:93]
	v_add_f64 v[116:117], v[86:87], v[94:95]
	buffer_load_dword v87, off, s[0:3], 0 offset:828
	buffer_load_dword v86, off, s[0:3], 0 offset:824
	;; [unrolled: 1-line block ×56, first 2 shown]
	ds_read_b128 v[124:127], v1 offset:1696
	ds_read_b128 v[128:131], v1 offset:1712
	v_mul_f64 v[20:21], v[20:21], v[38:39]
	v_fma_f64 v[18:19], v[18:19], v[60:61], -v[20:21]
	v_mul_f64 v[16:17], v[16:17], v[48:49]
	s_waitcnt vmcnt(62)
	v_fmac_f64_e32 v[110:111], v[8:9], v[56:57]
	v_add_f64 v[18:19], v[22:23], v[18:19]
	v_fma_f64 v[14:15], v[14:15], v[58:59], -v[16:17]
	v_add_f64 v[110:111], v[116:117], v[110:111]
	s_waitcnt lgkmcnt(2)
	v_mul_f64 v[116:117], v[2:3], v[50:51]
	v_add_f64 v[14:15], v[18:19], v[14:15]
	v_fma_f64 v[10:11], v[10:11], v[42:43], -v[12:13]
	v_mul_f64 v[8:9], v[8:9], v[54:55]
	v_fmac_f64_e32 v[116:117], v[4:5], v[52:53]
	ds_read_b128 v[132:135], v1 offset:1728
	ds_read_b128 v[136:139], v1 offset:1744
	v_add_f64 v[10:11], v[14:15], v[10:11]
	v_fma_f64 v[6:7], v[6:7], v[56:57], -v[8:9]
	v_mul_f64 v[4:5], v[4:5], v[50:51]
	v_add_f64 v[6:7], v[10:11], v[6:7]
	v_fma_f64 v[2:3], v[2:3], v[52:53], -v[4:5]
	s_waitcnt lgkmcnt(3)
	v_mul_f64 v[4:5], v[126:127], v[66:67]
	v_add_f64 v[110:111], v[110:111], v[116:117]
	v_mul_f64 v[116:117], v[124:125], v[66:67]
	v_add_f64 v[2:3], v[6:7], v[2:3]
	v_fma_f64 v[4:5], v[124:125], v[68:69], -v[4:5]
	v_fmac_f64_e32 v[116:117], v[126:127], v[68:69]
	v_add_f64 v[2:3], v[2:3], v[4:5]
	s_waitcnt lgkmcnt(2)
	v_mul_f64 v[4:5], v[130:131], v[62:63]
	v_add_f64 v[110:111], v[110:111], v[116:117]
	v_mul_f64 v[116:117], v[128:129], v[62:63]
	ds_read_b128 v[140:143], v1 offset:1760
	ds_read_b128 v[144:147], v1 offset:1776
	v_fma_f64 v[4:5], v[128:129], v[64:65], -v[4:5]
	v_fmac_f64_e32 v[116:117], v[130:131], v[64:65]
	v_add_f64 v[2:3], v[2:3], v[4:5]
	s_waitcnt lgkmcnt(3)
	v_mul_f64 v[4:5], v[134:135], v[74:75]
	v_add_f64 v[110:111], v[110:111], v[116:117]
	v_mul_f64 v[116:117], v[132:133], v[74:75]
	v_fma_f64 v[4:5], v[132:133], v[76:77], -v[4:5]
	v_fmac_f64_e32 v[116:117], v[134:135], v[76:77]
	v_add_f64 v[2:3], v[2:3], v[4:5]
	s_waitcnt lgkmcnt(2)
	v_mul_f64 v[4:5], v[138:139], v[70:71]
	v_add_f64 v[110:111], v[110:111], v[116:117]
	v_mul_f64 v[116:117], v[136:137], v[70:71]
	ds_read_b128 v[148:151], v1 offset:1792
	ds_read_b128 v[152:155], v1 offset:1808
	v_fma_f64 v[4:5], v[136:137], v[72:73], -v[4:5]
	v_fmac_f64_e32 v[116:117], v[138:139], v[72:73]
	v_add_f64 v[2:3], v[2:3], v[4:5]
	s_waitcnt vmcnt(58) lgkmcnt(3)
	v_mul_f64 v[4:5], v[142:143], v[82:83]
	v_add_f64 v[110:111], v[110:111], v[116:117]
	v_mul_f64 v[116:117], v[140:141], v[82:83]
	s_waitcnt vmcnt(56)
	v_fma_f64 v[4:5], v[140:141], v[84:85], -v[4:5]
	v_fmac_f64_e32 v[116:117], v[142:143], v[84:85]
	v_add_f64 v[2:3], v[2:3], v[4:5]
	s_waitcnt lgkmcnt(2)
	v_mul_f64 v[4:5], v[146:147], v[78:79]
	v_add_f64 v[110:111], v[110:111], v[116:117]
	v_mul_f64 v[116:117], v[144:145], v[78:79]
	ds_read_b128 v[156:159], v1 offset:1824
	ds_read_b128 v[160:163], v1 offset:1840
	v_fma_f64 v[4:5], v[144:145], v[80:81], -v[4:5]
	v_fmac_f64_e32 v[116:117], v[146:147], v[80:81]
	v_add_f64 v[2:3], v[2:3], v[4:5]
	s_waitcnt vmcnt(50) lgkmcnt(3)
	v_mul_f64 v[4:5], v[150:151], v[90:91]
	v_add_f64 v[110:111], v[110:111], v[116:117]
	v_mul_f64 v[116:117], v[148:149], v[90:91]
	s_waitcnt vmcnt(48)
	;; [unrolled: 17-line block ×7, first 2 shown]
	v_fma_f64 v[4:5], v[188:189], v[216:217], -v[4:5]
	v_fmac_f64_e32 v[116:117], v[190:191], v[216:217]
	v_add_f64 v[2:3], v[2:3], v[4:5]
	s_waitcnt lgkmcnt(2)
	v_mul_f64 v[4:5], v[194:195], v[210:211]
	v_add_f64 v[110:111], v[110:111], v[116:117]
	v_mul_f64 v[116:117], v[192:193], v[210:211]
	v_fma_f64 v[4:5], v[192:193], v[212:213], -v[4:5]
	v_fmac_f64_e32 v[116:117], v[194:195], v[212:213]
	v_add_f64 v[2:3], v[2:3], v[4:5]
	s_waitcnt vmcnt(2) lgkmcnt(1)
	v_mul_f64 v[4:5], v[198:199], v[222:223]
	v_add_f64 v[110:111], v[110:111], v[116:117]
	v_mul_f64 v[116:117], v[196:197], v[222:223]
	s_waitcnt vmcnt(0)
	v_fma_f64 v[4:5], v[196:197], v[224:225], -v[4:5]
	v_fmac_f64_e32 v[116:117], v[198:199], v[224:225]
	v_add_f64 v[2:3], v[2:3], v[4:5]
	s_waitcnt lgkmcnt(0)
	v_mul_f64 v[4:5], v[202:203], v[218:219]
	v_add_f64 v[110:111], v[110:111], v[116:117]
	v_mul_f64 v[116:117], v[200:201], v[218:219]
	v_fma_f64 v[4:5], v[200:201], v[220:221], -v[4:5]
	v_fmac_f64_e32 v[116:117], v[202:203], v[220:221]
	v_add_f64 v[2:3], v[2:3], v[4:5]
	v_add_f64 v[110:111], v[110:111], v[116:117]
	v_add_f64 v[2:3], v[46:47], -v[2:3]
	v_add_f64 v[4:5], v[44:45], -v[110:111]
	buffer_store_dword v3, off, s[0:3], 0 offset:580
	buffer_store_dword v2, off, s[0:3], 0 offset:576
	buffer_store_dword v5, off, s[0:3], 0 offset:588
	buffer_store_dword v4, off, s[0:3], 0 offset:584
	s_and_saveexec_b64 s[4:5], vcc
	s_cbranch_execz .LBB62_335
; %bb.334:
	v_accvgpr_read_b32 v0, a154
	buffer_load_dword v2, v0, s[0:3], 0 offen
	buffer_load_dword v3, v0, s[0:3], 0 offen offset:4
	buffer_load_dword v4, v0, s[0:3], 0 offen offset:8
	;; [unrolled: 1-line block ×3, first 2 shown]
	v_accvgpr_read_b32 v0, a189
	buffer_store_dword v1, off, s[0:3], 0 offset:560
	buffer_store_dword v1, off, s[0:3], 0 offset:564
	;; [unrolled: 1-line block ×4, first 2 shown]
	s_waitcnt vmcnt(4)
	ds_write_b128 v0, v[2:5]
.LBB62_335:
	s_or_b64 exec, exec, s[4:5]
	s_waitcnt lgkmcnt(0)
	; wave barrier
	s_waitcnt lgkmcnt(0)
	buffer_load_dword v34, off, s[0:3], 0 offset:576
	buffer_load_dword v35, off, s[0:3], 0 offset:580
	;; [unrolled: 1-line block ×32, first 2 shown]
	ds_read_b128 v[30:33], v1 offset:1568
	ds_read_b128 v[26:29], v1 offset:1584
	;; [unrolled: 1-line block ×8, first 2 shown]
	buffer_load_dword v67, off, s[0:3], 0 offset:716
	buffer_load_dword v66, off, s[0:3], 0 offset:712
	buffer_load_dword v69, off, s[0:3], 0 offset:708
	buffer_load_dword v68, off, s[0:3], 0 offset:704
	buffer_load_dword v71, off, s[0:3], 0 offset:700
	buffer_load_dword v70, off, s[0:3], 0 offset:696
	buffer_load_dword v73, off, s[0:3], 0 offset:692
	buffer_load_dword v72, off, s[0:3], 0 offset:688
	buffer_load_dword v75, off, s[0:3], 0 offset:748
	buffer_load_dword v74, off, s[0:3], 0 offset:744
	buffer_load_dword v77, off, s[0:3], 0 offset:740
	buffer_load_dword v76, off, s[0:3], 0 offset:736
	buffer_load_dword v79, off, s[0:3], 0 offset:732
	buffer_load_dword v78, off, s[0:3], 0 offset:728
	buffer_load_dword v81, off, s[0:3], 0 offset:724
	buffer_load_dword v80, off, s[0:3], 0 offset:720
	buffer_load_dword v83, off, s[0:3], 0 offset:780
	buffer_load_dword v82, off, s[0:3], 0 offset:776
	buffer_load_dword v85, off, s[0:3], 0 offset:772
	buffer_load_dword v84, off, s[0:3], 0 offset:768
	buffer_load_dword v87, off, s[0:3], 0 offset:764
	buffer_load_dword v86, off, s[0:3], 0 offset:760
	buffer_load_dword v89, off, s[0:3], 0 offset:756
	buffer_load_dword v88, off, s[0:3], 0 offset:752
	v_cmp_lt_u32_e32 vcc, 33, v254
	s_waitcnt vmcnt(52) lgkmcnt(7)
	v_mul_f64 v[90:91], v[30:31], v[38:39]
	v_fmac_f64_e32 v[90:91], v[32:33], v[34:35]
	v_add_f64 v[90:91], v[90:91], 0
	v_mul_f64 v[32:33], v[32:33], v[38:39]
	s_waitcnt vmcnt(48) lgkmcnt(6)
	v_mul_f64 v[92:93], v[26:27], v[40:41]
	v_fmac_f64_e32 v[92:93], v[28:29], v[36:37]
	s_waitcnt vmcnt(46) lgkmcnt(5)
	v_mul_f64 v[94:95], v[22:23], v[42:43]
	v_add_f64 v[90:91], v[90:91], v[92:93]
	s_waitcnt vmcnt(44) lgkmcnt(4)
	v_mul_f64 v[96:97], v[18:19], v[48:49]
	v_fma_f64 v[30:31], v[30:31], v[34:35], -v[32:33]
	s_waitcnt vmcnt(42) lgkmcnt(1)
	v_mul_f64 v[124:125], v[2:3], v[50:51]
	v_mul_f64 v[28:29], v[28:29], v[40:41]
	s_waitcnt vmcnt(18) lgkmcnt(0)
	v_mul_f64 v[138:139], v[14:15], v[70:71]
	v_mul_f64 v[100:101], v[6:7], v[54:55]
	s_waitcnt vmcnt(16)
	v_fmac_f64_e32 v[138:139], v[16:17], v[72:73]
	v_mul_f64 v[98:99], v[10:11], v[56:57]
	v_add_f64 v[30:31], v[30:31], 0
	v_fmac_f64_e32 v[98:99], v[12:13], v[58:59]
	v_fma_f64 v[26:27], v[26:27], v[36:37], -v[28:29]
	v_fmac_f64_e32 v[94:95], v[24:25], v[64:65]
	v_add_f64 v[90:91], v[90:91], v[94:95]
	v_fmac_f64_e32 v[96:97], v[20:21], v[62:63]
	v_add_f64 v[90:91], v[90:91], v[96:97]
	v_fmac_f64_e32 v[100:101], v[8:9], v[60:61]
	v_add_f64 v[90:91], v[90:91], v[98:99]
	v_add_f64 v[126:127], v[90:91], v[100:101]
	buffer_load_dword v91, off, s[0:3], 0 offset:812
	buffer_load_dword v90, off, s[0:3], 0 offset:808
	buffer_load_dword v93, off, s[0:3], 0 offset:804
	buffer_load_dword v92, off, s[0:3], 0 offset:800
	buffer_load_dword v95, off, s[0:3], 0 offset:796
	buffer_load_dword v94, off, s[0:3], 0 offset:792
	buffer_load_dword v97, off, s[0:3], 0 offset:788
	buffer_load_dword v96, off, s[0:3], 0 offset:784
	buffer_load_dword v99, off, s[0:3], 0 offset:844
	buffer_load_dword v98, off, s[0:3], 0 offset:840
	buffer_load_dword v101, off, s[0:3], 0 offset:836
	buffer_load_dword v100, off, s[0:3], 0 offset:832
	buffer_load_dword v103, off, s[0:3], 0 offset:828
	buffer_load_dword v102, off, s[0:3], 0 offset:824
	buffer_load_dword v105, off, s[0:3], 0 offset:820
	buffer_load_dword v104, off, s[0:3], 0 offset:816
	buffer_load_dword v107, off, s[0:3], 0 offset:876
	buffer_load_dword v106, off, s[0:3], 0 offset:872
	buffer_load_dword v109, off, s[0:3], 0 offset:868
	buffer_load_dword v108, off, s[0:3], 0 offset:864
	buffer_load_dword v111, off, s[0:3], 0 offset:860
	buffer_load_dword v110, off, s[0:3], 0 offset:856
	buffer_load_dword v113, off, s[0:3], 0 offset:852
	buffer_load_dword v112, off, s[0:3], 0 offset:848
	buffer_load_dword v115, off, s[0:3], 0 offset:908
	buffer_load_dword v114, off, s[0:3], 0 offset:904
	buffer_load_dword v117, off, s[0:3], 0 offset:900
	buffer_load_dword v116, off, s[0:3], 0 offset:896
	buffer_load_dword v121, off, s[0:3], 0 offset:892
	buffer_load_dword v120, off, s[0:3], 0 offset:888
	buffer_load_dword v123, off, s[0:3], 0 offset:884
	buffer_load_dword v122, off, s[0:3], 0 offset:880
	buffer_load_dword v129, off, s[0:3], 0 offset:940
	buffer_load_dword v128, off, s[0:3], 0 offset:936
	buffer_load_dword v131, off, s[0:3], 0 offset:932
	buffer_load_dword v130, off, s[0:3], 0 offset:928
	buffer_load_dword v133, off, s[0:3], 0 offset:924
	buffer_load_dword v132, off, s[0:3], 0 offset:920
	buffer_load_dword v135, off, s[0:3], 0 offset:916
	buffer_load_dword v134, off, s[0:3], 0 offset:912
	buffer_load_dword v119, off, s[0:3], 0 offset:972
	buffer_load_dword v118, off, s[0:3], 0 offset:968
	buffer_load_dword v213, off, s[0:3], 0 offset:964
	buffer_load_dword v212, off, s[0:3], 0 offset:960
	buffer_load_dword v215, off, s[0:3], 0 offset:956
	buffer_load_dword v214, off, s[0:3], 0 offset:952
	buffer_load_dword v217, off, s[0:3], 0 offset:948
	buffer_load_dword v216, off, s[0:3], 0 offset:944
	buffer_load_dword v219, off, s[0:3], 0 offset:1004
	buffer_load_dword v218, off, s[0:3], 0 offset:1000
	buffer_load_dword v221, off, s[0:3], 0 offset:996
	buffer_load_dword v220, off, s[0:3], 0 offset:992
	buffer_load_dword v223, off, s[0:3], 0 offset:988
	buffer_load_dword v222, off, s[0:3], 0 offset:984
	buffer_load_dword v225, off, s[0:3], 0 offset:980
	buffer_load_dword v224, off, s[0:3], 0 offset:976
	v_fmac_f64_e32 v[124:125], v[4:5], v[52:53]
	v_add_f64 v[136:137], v[126:127], v[124:125]
	ds_read_b128 v[124:127], v1 offset:1696
	buffer_load_dword v227, off, s[0:3], 0 offset:1020
	buffer_load_dword v226, off, s[0:3], 0 offset:1016
	;; [unrolled: 1-line block ×4, first 2 shown]
	v_add_f64 v[140:141], v[136:137], v[138:139]
	ds_read_b128 v[136:139], v1 offset:1712
	v_mul_f64 v[24:25], v[24:25], v[42:43]
	s_waitcnt lgkmcnt(1)
	v_mul_f64 v[142:143], v[124:125], v[66:67]
	v_fmac_f64_e32 v[142:143], v[126:127], v[68:69]
	v_add_f64 v[144:145], v[140:141], v[142:143]
	ds_read_b128 v[140:143], v1 offset:1728
	s_waitcnt vmcnt(62) lgkmcnt(1)
	v_mul_f64 v[146:147], v[136:137], v[78:79]
	v_fmac_f64_e32 v[146:147], v[138:139], v[80:81]
	v_add_f64 v[148:149], v[144:145], v[146:147]
	ds_read_b128 v[144:147], v1 offset:1744
	s_waitcnt lgkmcnt(1)
	v_mul_f64 v[150:151], v[140:141], v[74:75]
	v_fmac_f64_e32 v[150:151], v[142:143], v[76:77]
	v_add_f64 v[152:153], v[148:149], v[150:151]
	ds_read_b128 v[148:151], v1 offset:1760
	s_waitcnt lgkmcnt(1)
	v_mul_f64 v[154:155], v[144:145], v[86:87]
	s_waitcnt vmcnt(60)
	v_fmac_f64_e32 v[154:155], v[146:147], v[88:89]
	v_add_f64 v[156:157], v[152:153], v[154:155]
	ds_read_b128 v[152:155], v1 offset:1776
	s_waitcnt lgkmcnt(1)
	v_mul_f64 v[158:159], v[148:149], v[82:83]
	v_fmac_f64_e32 v[158:159], v[150:151], v[84:85]
	v_add_f64 v[160:161], v[156:157], v[158:159]
	ds_read_b128 v[156:159], v1 offset:1792
	v_add_f64 v[26:27], v[30:31], v[26:27]
	v_fma_f64 v[22:23], v[22:23], v[64:65], -v[24:25]
	s_waitcnt vmcnt(54) lgkmcnt(1)
	v_mul_f64 v[162:163], v[152:153], v[94:95]
	v_mul_f64 v[20:21], v[20:21], v[48:49]
	s_waitcnt vmcnt(52)
	v_fmac_f64_e32 v[162:163], v[154:155], v[96:97]
	v_add_f64 v[164:165], v[160:161], v[162:163]
	ds_read_b128 v[160:163], v1 offset:1808
	s_waitcnt lgkmcnt(1)
	v_mul_f64 v[166:167], v[156:157], v[90:91]
	v_fmac_f64_e32 v[166:167], v[158:159], v[92:93]
	v_add_f64 v[22:23], v[26:27], v[22:23]
	v_fma_f64 v[18:19], v[18:19], v[62:63], -v[20:21]
	v_mul_f64 v[12:13], v[12:13], v[56:57]
	v_add_f64 v[168:169], v[164:165], v[166:167]
	ds_read_b128 v[164:167], v1 offset:1824
	v_add_f64 v[18:19], v[22:23], v[18:19]
	v_fma_f64 v[10:11], v[10:11], v[58:59], -v[12:13]
	v_mul_f64 v[8:9], v[8:9], v[54:55]
	v_add_f64 v[10:11], v[18:19], v[10:11]
	v_fma_f64 v[6:7], v[6:7], v[60:61], -v[8:9]
	v_mul_f64 v[4:5], v[4:5], v[50:51]
	;; [unrolled: 3-line block ×3, first 2 shown]
	s_waitcnt vmcnt(46) lgkmcnt(1)
	v_mul_f64 v[170:171], v[160:161], v[102:103]
	v_add_f64 v[2:3], v[6:7], v[2:3]
	v_fma_f64 v[4:5], v[14:15], v[72:73], -v[4:5]
	s_waitcnt vmcnt(44)
	v_fmac_f64_e32 v[170:171], v[162:163], v[104:105]
	v_add_f64 v[2:3], v[2:3], v[4:5]
	v_mul_f64 v[4:5], v[126:127], v[66:67]
	v_add_f64 v[172:173], v[168:169], v[170:171]
	ds_read_b128 v[168:171], v1 offset:1840
	s_waitcnt lgkmcnt(1)
	v_mul_f64 v[174:175], v[164:165], v[98:99]
	v_fma_f64 v[4:5], v[124:125], v[68:69], -v[4:5]
	v_fmac_f64_e32 v[174:175], v[166:167], v[100:101]
	v_add_f64 v[2:3], v[2:3], v[4:5]
	v_mul_f64 v[4:5], v[138:139], v[78:79]
	v_add_f64 v[176:177], v[172:173], v[174:175]
	ds_read_b128 v[172:175], v1 offset:1856
	v_fma_f64 v[4:5], v[136:137], v[80:81], -v[4:5]
	v_add_f64 v[2:3], v[2:3], v[4:5]
	v_mul_f64 v[4:5], v[142:143], v[74:75]
	v_fma_f64 v[4:5], v[140:141], v[76:77], -v[4:5]
	s_waitcnt vmcnt(38) lgkmcnt(1)
	v_mul_f64 v[178:179], v[168:169], v[110:111]
	v_add_f64 v[2:3], v[2:3], v[4:5]
	v_mul_f64 v[4:5], v[146:147], v[86:87]
	s_waitcnt vmcnt(36)
	v_fmac_f64_e32 v[178:179], v[170:171], v[112:113]
	v_fma_f64 v[4:5], v[144:145], v[88:89], -v[4:5]
	v_add_f64 v[180:181], v[176:177], v[178:179]
	ds_read_b128 v[176:179], v1 offset:1872
	s_waitcnt lgkmcnt(1)
	v_mul_f64 v[182:183], v[172:173], v[106:107]
	v_add_f64 v[2:3], v[2:3], v[4:5]
	v_mul_f64 v[4:5], v[150:151], v[82:83]
	v_fmac_f64_e32 v[182:183], v[174:175], v[108:109]
	v_fma_f64 v[4:5], v[148:149], v[84:85], -v[4:5]
	v_add_f64 v[184:185], v[180:181], v[182:183]
	ds_read_b128 v[180:183], v1 offset:1888
	v_add_f64 v[2:3], v[2:3], v[4:5]
	v_mul_f64 v[4:5], v[154:155], v[94:95]
	v_fma_f64 v[4:5], v[152:153], v[96:97], -v[4:5]
	v_add_f64 v[2:3], v[2:3], v[4:5]
	v_mul_f64 v[4:5], v[158:159], v[90:91]
	s_waitcnt vmcnt(30) lgkmcnt(1)
	v_mul_f64 v[186:187], v[176:177], v[120:121]
	v_fma_f64 v[4:5], v[156:157], v[92:93], -v[4:5]
	s_waitcnt vmcnt(28)
	v_fmac_f64_e32 v[186:187], v[178:179], v[122:123]
	v_add_f64 v[2:3], v[2:3], v[4:5]
	v_mul_f64 v[4:5], v[162:163], v[102:103]
	v_add_f64 v[188:189], v[184:185], v[186:187]
	ds_read_b128 v[184:187], v1 offset:1904
	s_waitcnt lgkmcnt(1)
	v_mul_f64 v[190:191], v[180:181], v[114:115]
	v_fma_f64 v[4:5], v[160:161], v[104:105], -v[4:5]
	v_fmac_f64_e32 v[190:191], v[182:183], v[116:117]
	v_add_f64 v[2:3], v[2:3], v[4:5]
	v_mul_f64 v[4:5], v[166:167], v[98:99]
	v_add_f64 v[192:193], v[188:189], v[190:191]
	ds_read_b128 v[188:191], v1 offset:1920
	v_fma_f64 v[4:5], v[164:165], v[100:101], -v[4:5]
	v_add_f64 v[2:3], v[2:3], v[4:5]
	v_mul_f64 v[4:5], v[170:171], v[110:111]
	v_fma_f64 v[4:5], v[168:169], v[112:113], -v[4:5]
	s_waitcnt vmcnt(22) lgkmcnt(1)
	v_mul_f64 v[194:195], v[184:185], v[132:133]
	v_add_f64 v[2:3], v[2:3], v[4:5]
	v_mul_f64 v[4:5], v[174:175], v[106:107]
	s_waitcnt vmcnt(20)
	v_fmac_f64_e32 v[194:195], v[186:187], v[134:135]
	v_fma_f64 v[4:5], v[172:173], v[108:109], -v[4:5]
	v_add_f64 v[196:197], v[192:193], v[194:195]
	ds_read_b128 v[192:195], v1 offset:1936
	s_waitcnt lgkmcnt(1)
	v_mul_f64 v[198:199], v[188:189], v[128:129]
	v_add_f64 v[2:3], v[2:3], v[4:5]
	v_mul_f64 v[4:5], v[178:179], v[120:121]
	v_fmac_f64_e32 v[198:199], v[190:191], v[130:131]
	v_fma_f64 v[4:5], v[176:177], v[122:123], -v[4:5]
	v_add_f64 v[200:201], v[196:197], v[198:199]
	ds_read_b128 v[196:199], v1 offset:1952
	v_add_f64 v[2:3], v[2:3], v[4:5]
	v_mul_f64 v[4:5], v[182:183], v[114:115]
	v_fma_f64 v[4:5], v[180:181], v[116:117], -v[4:5]
	v_add_f64 v[2:3], v[2:3], v[4:5]
	v_mul_f64 v[4:5], v[186:187], v[132:133]
	s_waitcnt vmcnt(14) lgkmcnt(1)
	v_mul_f64 v[202:203], v[192:193], v[214:215]
	v_fma_f64 v[4:5], v[184:185], v[134:135], -v[4:5]
	s_waitcnt vmcnt(12)
	v_fmac_f64_e32 v[202:203], v[194:195], v[216:217]
	v_add_f64 v[2:3], v[2:3], v[4:5]
	v_mul_f64 v[4:5], v[190:191], v[128:129]
	v_add_f64 v[204:205], v[200:201], v[202:203]
	ds_read_b128 v[200:203], v1 offset:1968
	s_waitcnt lgkmcnt(1)
	v_mul_f64 v[206:207], v[196:197], v[118:119]
	v_fma_f64 v[4:5], v[188:189], v[130:131], -v[4:5]
	v_fmac_f64_e32 v[206:207], v[198:199], v[212:213]
	v_add_f64 v[2:3], v[2:3], v[4:5]
	v_mul_f64 v[4:5], v[194:195], v[214:215]
	v_add_f64 v[230:231], v[204:205], v[206:207]
	ds_read_b128 v[204:207], v1 offset:1984
	v_fma_f64 v[4:5], v[192:193], v[216:217], -v[4:5]
	v_add_f64 v[2:3], v[2:3], v[4:5]
	v_mul_f64 v[4:5], v[198:199], v[118:119]
	ds_read_b128 v[208:211], v1 offset:2000
	v_fma_f64 v[4:5], v[196:197], v[212:213], -v[4:5]
	v_add_f64 v[2:3], v[2:3], v[4:5]
	s_waitcnt vmcnt(6) lgkmcnt(2)
	v_mul_f64 v[4:5], v[202:203], v[222:223]
	v_mul_f64 v[232:233], v[200:201], v[222:223]
	s_waitcnt vmcnt(4)
	v_fma_f64 v[4:5], v[200:201], v[224:225], -v[4:5]
	v_fmac_f64_e32 v[232:233], v[202:203], v[224:225]
	v_add_f64 v[2:3], v[2:3], v[4:5]
	s_waitcnt lgkmcnt(1)
	v_mul_f64 v[4:5], v[206:207], v[218:219]
	v_add_f64 v[0:1], v[230:231], v[232:233]
	v_mul_f64 v[230:231], v[204:205], v[218:219]
	v_fma_f64 v[4:5], v[204:205], v[220:221], -v[4:5]
	v_fmac_f64_e32 v[230:231], v[206:207], v[220:221]
	v_add_f64 v[2:3], v[2:3], v[4:5]
	s_waitcnt vmcnt(2) lgkmcnt(0)
	v_mul_f64 v[4:5], v[210:211], v[226:227]
	v_add_f64 v[0:1], v[0:1], v[230:231]
	v_mul_f64 v[230:231], v[208:209], v[226:227]
	s_waitcnt vmcnt(0)
	v_fma_f64 v[4:5], v[208:209], v[228:229], -v[4:5]
	v_fmac_f64_e32 v[230:231], v[210:211], v[228:229]
	v_add_f64 v[2:3], v[2:3], v[4:5]
	v_add_f64 v[0:1], v[0:1], v[230:231]
	v_add_f64 v[2:3], v[46:47], -v[2:3]
	v_add_f64 v[0:1], v[44:45], -v[0:1]
	buffer_store_dword v3, off, s[0:3], 0 offset:564
	buffer_store_dword v2, off, s[0:3], 0 offset:560
	;; [unrolled: 1-line block ×4, first 2 shown]
	s_and_saveexec_b64 s[4:5], vcc
	s_cbranch_execz .LBB62_337
; %bb.336:
	v_accvgpr_read_b32 v0, a155
	buffer_load_dword v2, v0, s[0:3], 0 offen
	buffer_load_dword v3, v0, s[0:3], 0 offen offset:4
	buffer_load_dword v4, v0, s[0:3], 0 offen offset:8
	;; [unrolled: 1-line block ×3, first 2 shown]
	v_mov_b32_e32 v0, 0
	v_accvgpr_read_b32 v1, a189
	buffer_store_dword v0, off, s[0:3], 0 offset:544
	buffer_store_dword v0, off, s[0:3], 0 offset:548
	;; [unrolled: 1-line block ×4, first 2 shown]
	s_waitcnt vmcnt(4)
	ds_write_b128 v1, v[2:5]
.LBB62_337:
	s_or_b64 exec, exec, s[4:5]
	s_waitcnt lgkmcnt(0)
	; wave barrier
	s_waitcnt lgkmcnt(0)
	buffer_load_dword v38, off, s[0:3], 0 offset:560
	buffer_load_dword v39, off, s[0:3], 0 offset:564
	;; [unrolled: 1-line block ×48, first 2 shown]
	v_mov_b32_e32 v1, 0
	ds_read_b128 v[34:37], v1 offset:1552
	ds_read_b128 v[30:33], v1 offset:1568
	;; [unrolled: 1-line block ×9, first 2 shown]
	v_cmp_lt_u32_e32 vcc, 32, v254
	s_waitcnt vmcnt(44) lgkmcnt(8)
	v_mul_f64 v[86:87], v[34:35], v[42:43]
	v_fmac_f64_e32 v[86:87], v[36:37], v[38:39]
	v_add_f64 v[86:87], v[86:87], 0
	v_mul_f64 v[36:37], v[36:37], v[42:43]
	s_waitcnt vmcnt(40) lgkmcnt(7)
	v_mul_f64 v[88:89], v[30:31], v[44:45]
	v_fmac_f64_e32 v[88:89], v[32:33], v[40:41]
	s_waitcnt vmcnt(38) lgkmcnt(6)
	v_mul_f64 v[90:91], v[26:27], v[46:47]
	v_add_f64 v[86:87], v[86:87], v[88:89]
	s_waitcnt vmcnt(36) lgkmcnt(4)
	v_mul_f64 v[94:95], v[18:19], v[48:49]
	v_fma_f64 v[34:35], v[34:35], v[38:39], -v[36:37]
	s_waitcnt vmcnt(34)
	v_fmac_f64_e32 v[94:95], v[20:21], v[50:51]
	v_mul_f64 v[32:33], v[32:33], v[44:45]
	s_waitcnt vmcnt(32)
	v_mul_f64 v[92:93], v[22:23], v[52:53]
	v_add_f64 v[34:35], v[34:35], 0
	s_waitcnt vmcnt(30) lgkmcnt(2)
	v_mul_f64 v[98:99], v[10:11], v[54:55]
	v_fma_f64 v[30:31], v[30:31], v[40:41], -v[32:33]
	s_waitcnt vmcnt(28)
	v_fmac_f64_e32 v[98:99], v[12:13], v[56:57]
	v_add_f64 v[30:31], v[34:35], v[30:31]
	s_waitcnt vmcnt(26)
	v_mul_f64 v[96:97], v[14:15], v[58:59]
	v_mul_f64 v[20:21], v[20:21], v[48:49]
	v_fma_f64 v[18:19], v[18:19], v[50:51], -v[20:21]
	v_mul_f64 v[12:13], v[12:13], v[54:55]
	s_waitcnt vmcnt(22) lgkmcnt(1)
	v_mul_f64 v[110:111], v[6:7], v[68:69]
	v_fma_f64 v[10:11], v[10:11], v[56:57], -v[12:13]
	s_waitcnt vmcnt(20)
	v_fmac_f64_e32 v[90:91], v[28:29], v[76:77]
	v_add_f64 v[86:87], v[86:87], v[90:91]
	s_waitcnt vmcnt(18)
	v_fmac_f64_e32 v[92:93], v[24:25], v[74:75]
	v_add_f64 v[86:87], v[86:87], v[92:93]
	s_waitcnt vmcnt(16)
	v_fmac_f64_e32 v[96:97], v[16:17], v[72:73]
	v_add_f64 v[86:87], v[86:87], v[94:95]
	v_add_f64 v[86:87], v[86:87], v[96:97]
	v_add_f64 v[112:113], v[86:87], v[98:99]
	buffer_load_dword v87, off, s[0:3], 0 offset:764
	buffer_load_dword v86, off, s[0:3], 0 offset:760
	;; [unrolled: 1-line block ×72, first 2 shown]
	s_waitcnt vmcnt(62)
	v_fmac_f64_e32 v[110:111], v[8:9], v[70:71]
	v_add_f64 v[142:143], v[112:113], v[110:111]
	ds_read_b128 v[110:113], v1 offset:1696
	s_waitcnt lgkmcnt(1)
	v_mul_f64 v[144:145], v[2:3], v[64:65]
	v_fmac_f64_e32 v[144:145], v[4:5], v[66:67]
	v_add_f64 v[146:147], v[142:143], v[144:145]
	ds_read_b128 v[142:145], v1 offset:1712
	s_waitcnt lgkmcnt(1)
	v_mul_f64 v[148:149], v[110:111], v[82:83]
	;; [unrolled: 5-line block ×5, first 2 shown]
	v_fmac_f64_e32 v[160:161], v[152:153], v[88:89]
	v_add_f64 v[162:163], v[158:159], v[160:161]
	ds_read_b128 v[158:161], v1 offset:1776
	s_waitcnt vmcnt(58) lgkmcnt(1)
	v_mul_f64 v[164:165], v[154:155], v[98:99]
	s_waitcnt vmcnt(56)
	v_fmac_f64_e32 v[164:165], v[156:157], v[100:101]
	v_add_f64 v[166:167], v[162:163], v[164:165]
	ds_read_b128 v[162:165], v1 offset:1792
	s_waitcnt lgkmcnt(1)
	v_mul_f64 v[168:169], v[158:159], v[94:95]
	v_fmac_f64_e32 v[168:169], v[160:161], v[96:97]
	v_mul_f64 v[28:29], v[28:29], v[46:47]
	v_add_f64 v[170:171], v[166:167], v[168:169]
	ds_read_b128 v[166:169], v1 offset:1808
	s_waitcnt vmcnt(50) lgkmcnt(1)
	v_mul_f64 v[172:173], v[162:163], v[106:107]
	v_fma_f64 v[26:27], v[26:27], v[76:77], -v[28:29]
	v_mul_f64 v[24:25], v[24:25], v[52:53]
	s_waitcnt vmcnt(48)
	v_fmac_f64_e32 v[172:173], v[164:165], v[108:109]
	v_add_f64 v[26:27], v[30:31], v[26:27]
	v_fma_f64 v[22:23], v[22:23], v[74:75], -v[24:25]
	v_add_f64 v[174:175], v[170:171], v[172:173]
	ds_read_b128 v[170:173], v1 offset:1824
	v_add_f64 v[22:23], v[26:27], v[22:23]
	v_mul_f64 v[16:17], v[16:17], v[58:59]
	v_add_f64 v[18:19], v[22:23], v[18:19]
	v_fma_f64 v[14:15], v[14:15], v[72:73], -v[16:17]
	v_add_f64 v[14:15], v[18:19], v[14:15]
	v_mul_f64 v[8:9], v[8:9], v[68:69]
	s_waitcnt lgkmcnt(1)
	v_mul_f64 v[176:177], v[166:167], v[102:103]
	v_add_f64 v[10:11], v[14:15], v[10:11]
	v_fma_f64 v[6:7], v[6:7], v[70:71], -v[8:9]
	v_mul_f64 v[4:5], v[4:5], v[64:65]
	v_fmac_f64_e32 v[176:177], v[168:169], v[104:105]
	v_add_f64 v[6:7], v[10:11], v[6:7]
	v_fma_f64 v[2:3], v[2:3], v[66:67], -v[4:5]
	v_mul_f64 v[4:5], v[112:113], v[82:83]
	v_add_f64 v[178:179], v[174:175], v[176:177]
	ds_read_b128 v[174:177], v1 offset:1840
	s_waitcnt vmcnt(42) lgkmcnt(1)
	v_mul_f64 v[180:181], v[170:171], v[120:121]
	v_add_f64 v[2:3], v[6:7], v[2:3]
	v_fma_f64 v[4:5], v[110:111], v[84:85], -v[4:5]
	s_waitcnt vmcnt(40)
	v_fmac_f64_e32 v[180:181], v[172:173], v[122:123]
	v_add_f64 v[2:3], v[2:3], v[4:5]
	v_mul_f64 v[4:5], v[144:145], v[78:79]
	v_add_f64 v[182:183], v[178:179], v[180:181]
	ds_read_b128 v[178:181], v1 offset:1856
	v_fma_f64 v[4:5], v[142:143], v[80:81], -v[4:5]
	v_add_f64 v[2:3], v[2:3], v[4:5]
	v_mul_f64 v[4:5], v[148:149], v[90:91]
	v_fma_f64 v[4:5], v[146:147], v[92:93], -v[4:5]
	s_waitcnt lgkmcnt(1)
	v_mul_f64 v[184:185], v[174:175], v[114:115]
	v_add_f64 v[2:3], v[2:3], v[4:5]
	v_mul_f64 v[4:5], v[152:153], v[86:87]
	v_fmac_f64_e32 v[184:185], v[176:177], v[116:117]
	v_fma_f64 v[4:5], v[150:151], v[88:89], -v[4:5]
	v_add_f64 v[186:187], v[182:183], v[184:185]
	ds_read_b128 v[182:185], v1 offset:1872
	s_waitcnt vmcnt(34) lgkmcnt(1)
	v_mul_f64 v[188:189], v[178:179], v[128:129]
	v_add_f64 v[2:3], v[2:3], v[4:5]
	v_mul_f64 v[4:5], v[156:157], v[98:99]
	s_waitcnt vmcnt(32)
	v_fmac_f64_e32 v[188:189], v[180:181], v[130:131]
	v_fma_f64 v[4:5], v[154:155], v[100:101], -v[4:5]
	v_add_f64 v[190:191], v[186:187], v[188:189]
	ds_read_b128 v[186:189], v1 offset:1888
	v_add_f64 v[2:3], v[2:3], v[4:5]
	v_mul_f64 v[4:5], v[160:161], v[94:95]
	v_fma_f64 v[4:5], v[158:159], v[96:97], -v[4:5]
	v_add_f64 v[2:3], v[2:3], v[4:5]
	v_mul_f64 v[4:5], v[164:165], v[106:107]
	s_waitcnt lgkmcnt(1)
	v_mul_f64 v[192:193], v[182:183], v[124:125]
	v_fma_f64 v[4:5], v[162:163], v[108:109], -v[4:5]
	v_fmac_f64_e32 v[192:193], v[184:185], v[126:127]
	v_add_f64 v[2:3], v[2:3], v[4:5]
	v_mul_f64 v[4:5], v[168:169], v[102:103]
	v_add_f64 v[194:195], v[190:191], v[192:193]
	ds_read_b128 v[190:193], v1 offset:1904
	s_waitcnt vmcnt(26) lgkmcnt(1)
	v_mul_f64 v[196:197], v[186:187], v[136:137]
	v_fma_f64 v[4:5], v[166:167], v[104:105], -v[4:5]
	s_waitcnt vmcnt(24)
	v_fmac_f64_e32 v[196:197], v[188:189], v[138:139]
	v_add_f64 v[2:3], v[2:3], v[4:5]
	v_mul_f64 v[4:5], v[172:173], v[120:121]
	v_add_f64 v[198:199], v[194:195], v[196:197]
	ds_read_b128 v[194:197], v1 offset:1920
	v_fma_f64 v[4:5], v[170:171], v[122:123], -v[4:5]
	v_add_f64 v[2:3], v[2:3], v[4:5]
	v_mul_f64 v[4:5], v[176:177], v[114:115]
	v_fma_f64 v[4:5], v[174:175], v[116:117], -v[4:5]
	s_waitcnt lgkmcnt(1)
	v_mul_f64 v[200:201], v[190:191], v[132:133]
	v_add_f64 v[2:3], v[2:3], v[4:5]
	v_mul_f64 v[4:5], v[180:181], v[128:129]
	v_fmac_f64_e32 v[200:201], v[192:193], v[134:135]
	v_fma_f64 v[4:5], v[178:179], v[130:131], -v[4:5]
	v_add_f64 v[202:203], v[198:199], v[200:201]
	ds_read_b128 v[198:201], v1 offset:1936
	s_waitcnt vmcnt(18) lgkmcnt(1)
	v_mul_f64 v[204:205], v[194:195], v[218:219]
	v_add_f64 v[2:3], v[2:3], v[4:5]
	v_mul_f64 v[4:5], v[184:185], v[124:125]
	s_waitcnt vmcnt(16)
	v_fmac_f64_e32 v[204:205], v[196:197], v[220:221]
	v_fma_f64 v[4:5], v[182:183], v[126:127], -v[4:5]
	v_add_f64 v[206:207], v[202:203], v[204:205]
	ds_read_b128 v[202:205], v1 offset:1952
	v_add_f64 v[2:3], v[2:3], v[4:5]
	v_mul_f64 v[4:5], v[188:189], v[136:137]
	v_fma_f64 v[4:5], v[186:187], v[138:139], -v[4:5]
	v_add_f64 v[2:3], v[2:3], v[4:5]
	v_mul_f64 v[4:5], v[192:193], v[132:133]
	s_waitcnt lgkmcnt(1)
	v_mul_f64 v[208:209], v[198:199], v[118:119]
	v_fma_f64 v[4:5], v[190:191], v[134:135], -v[4:5]
	v_fmac_f64_e32 v[208:209], v[200:201], v[140:141]
	v_add_f64 v[2:3], v[2:3], v[4:5]
	v_mul_f64 v[4:5], v[196:197], v[218:219]
	v_add_f64 v[210:211], v[206:207], v[208:209]
	ds_read_b128 v[206:209], v1 offset:1968
	s_waitcnt vmcnt(10) lgkmcnt(1)
	v_mul_f64 v[212:213], v[202:203], v[226:227]
	v_fma_f64 v[4:5], v[194:195], v[220:221], -v[4:5]
	s_waitcnt vmcnt(8)
	v_fmac_f64_e32 v[212:213], v[204:205], v[228:229]
	v_add_f64 v[2:3], v[2:3], v[4:5]
	v_mul_f64 v[4:5], v[200:201], v[118:119]
	v_add_f64 v[238:239], v[210:211], v[212:213]
	ds_read_b128 v[210:213], v1 offset:1984
	ds_read_b128 v[214:217], v1 offset:2000
	v_fma_f64 v[4:5], v[198:199], v[140:141], -v[4:5]
	v_add_f64 v[2:3], v[2:3], v[4:5]
	v_mul_f64 v[4:5], v[204:205], v[226:227]
	v_fma_f64 v[4:5], v[202:203], v[228:229], -v[4:5]
	v_add_f64 v[2:3], v[2:3], v[4:5]
	s_waitcnt lgkmcnt(2)
	v_mul_f64 v[4:5], v[208:209], v[222:223]
	v_mul_f64 v[240:241], v[206:207], v[222:223]
	v_fma_f64 v[4:5], v[206:207], v[224:225], -v[4:5]
	v_fmac_f64_e32 v[240:241], v[208:209], v[224:225]
	v_add_f64 v[2:3], v[2:3], v[4:5]
	s_waitcnt vmcnt(2) lgkmcnt(1)
	v_mul_f64 v[4:5], v[212:213], v[234:235]
	v_add_f64 v[238:239], v[238:239], v[240:241]
	v_mul_f64 v[240:241], v[210:211], v[234:235]
	s_waitcnt vmcnt(0)
	v_fma_f64 v[4:5], v[210:211], v[236:237], -v[4:5]
	v_fmac_f64_e32 v[240:241], v[212:213], v[236:237]
	v_add_f64 v[2:3], v[2:3], v[4:5]
	s_waitcnt lgkmcnt(0)
	v_mul_f64 v[4:5], v[216:217], v[230:231]
	v_add_f64 v[238:239], v[238:239], v[240:241]
	v_mul_f64 v[240:241], v[214:215], v[230:231]
	v_fma_f64 v[4:5], v[214:215], v[232:233], -v[4:5]
	v_fmac_f64_e32 v[240:241], v[216:217], v[232:233]
	v_add_f64 v[2:3], v[2:3], v[4:5]
	v_add_f64 v[238:239], v[238:239], v[240:241]
	v_add_f64 v[2:3], v[62:63], -v[2:3]
	v_add_f64 v[4:5], v[60:61], -v[238:239]
	buffer_store_dword v3, off, s[0:3], 0 offset:548
	buffer_store_dword v2, off, s[0:3], 0 offset:544
	;; [unrolled: 1-line block ×4, first 2 shown]
	s_and_saveexec_b64 s[4:5], vcc
	s_cbranch_execz .LBB62_339
; %bb.338:
	v_accvgpr_read_b32 v0, a156
	buffer_load_dword v2, v0, s[0:3], 0 offen
	buffer_load_dword v3, v0, s[0:3], 0 offen offset:4
	buffer_load_dword v4, v0, s[0:3], 0 offen offset:8
	;; [unrolled: 1-line block ×3, first 2 shown]
	v_accvgpr_read_b32 v0, a189
	buffer_store_dword v1, off, s[0:3], 0 offset:528
	buffer_store_dword v1, off, s[0:3], 0 offset:532
	buffer_store_dword v1, off, s[0:3], 0 offset:536
	buffer_store_dword v1, off, s[0:3], 0 offset:540
	s_waitcnt vmcnt(4)
	ds_write_b128 v0, v[2:5]
.LBB62_339:
	s_or_b64 exec, exec, s[4:5]
	s_waitcnt lgkmcnt(0)
	; wave barrier
	s_waitcnt lgkmcnt(0)
	buffer_load_dword v48, off, s[0:3], 0 offset:544
	buffer_load_dword v49, off, s[0:3], 0 offset:548
	;; [unrolled: 1-line block ×40, first 2 shown]
	ds_read_b128 v[38:41], v1 offset:1536
	ds_read_b128 v[34:37], v1 offset:1552
	;; [unrolled: 1-line block ×10, first 2 shown]
	buffer_load_dword v83, off, s[0:3], 0 offset:716
	buffer_load_dword v82, off, s[0:3], 0 offset:712
	;; [unrolled: 1-line block ×8, first 2 shown]
	v_cmp_lt_u32_e32 vcc, 31, v254
	s_waitcnt vmcnt(44) lgkmcnt(9)
	v_mul_f64 v[90:91], v[38:39], v[50:51]
	v_fmac_f64_e32 v[90:91], v[40:41], v[48:49]
	v_add_f64 v[90:91], v[90:91], 0
	v_mul_f64 v[40:41], v[40:41], v[50:51]
	s_waitcnt vmcnt(40) lgkmcnt(8)
	v_mul_f64 v[92:93], v[34:35], v[44:45]
	v_fmac_f64_e32 v[92:93], v[36:37], v[42:43]
	s_waitcnt vmcnt(38) lgkmcnt(7)
	v_mul_f64 v[94:95], v[30:31], v[46:47]
	v_add_f64 v[90:91], v[90:91], v[92:93]
	s_waitcnt vmcnt(36) lgkmcnt(5)
	v_mul_f64 v[98:99], v[22:23], v[52:53]
	v_mul_f64 v[36:37], v[36:37], v[44:45]
	s_waitcnt vmcnt(34)
	v_fmac_f64_e32 v[98:99], v[24:25], v[54:55]
	v_fma_f64 v[34:35], v[34:35], v[42:43], -v[36:37]
	s_waitcnt vmcnt(32)
	v_mul_f64 v[96:97], v[26:27], v[56:57]
	v_mul_f64 v[24:25], v[24:25], v[52:53]
	s_waitcnt vmcnt(30) lgkmcnt(4)
	v_mul_f64 v[100:101], v[18:19], v[62:63]
	v_fma_f64 v[22:23], v[22:23], v[54:55], -v[24:25]
	s_waitcnt vmcnt(28) lgkmcnt(1)
	v_mul_f64 v[124:125], v[2:3], v[64:65]
	s_waitcnt vmcnt(25)
	v_mul_f64 v[104:105], v[6:7], v[68:69]
	s_waitcnt vmcnt(23)
	;; [unrolled: 2-line block ×3, first 2 shown]
	v_fmac_f64_e32 v[102:103], v[12:13], v[72:73]
	v_mul_f64 v[12:13], v[12:13], v[70:71]
	s_waitcnt vmcnt(19)
	v_fmac_f64_e32 v[94:95], v[32:33], v[80:81]
	v_add_f64 v[90:91], v[90:91], v[94:95]
	s_waitcnt vmcnt(17)
	v_fmac_f64_e32 v[96:97], v[28:29], v[78:79]
	v_add_f64 v[90:91], v[90:91], v[96:97]
	;; [unrolled: 3-line block ×3, first 2 shown]
	v_add_f64 v[90:91], v[90:91], v[100:101]
	s_waitcnt vmcnt(13)
	v_fmac_f64_e32 v[104:105], v[8:9], v[74:75]
	v_add_f64 v[90:91], v[90:91], v[102:103]
	v_add_f64 v[126:127], v[90:91], v[104:105]
	buffer_load_dword v91, off, s[0:3], 0 offset:748
	buffer_load_dword v90, off, s[0:3], 0 offset:744
	;; [unrolled: 1-line block ×72, first 2 shown]
	s_waitcnt vmcnt(62)
	v_fmac_f64_e32 v[124:125], v[4:5], v[66:67]
	v_add_f64 v[152:153], v[126:127], v[124:125]
	ds_read_b128 v[124:127], v1 offset:1696
	buffer_load_dword v235, off, s[0:3], 0 offset:1020
	buffer_load_dword v234, off, s[0:3], 0 offset:1016
	;; [unrolled: 1-line block ×4, first 2 shown]
	s_waitcnt lgkmcnt(1)
	v_mul_f64 v[154:155], v[14:15], v[86:87]
	v_fmac_f64_e32 v[154:155], v[16:17], v[88:89]
	v_add_f64 v[156:157], v[152:153], v[154:155]
	ds_read_b128 v[152:155], v1 offset:1712
	s_waitcnt lgkmcnt(1)
	v_mul_f64 v[158:159], v[124:125], v[82:83]
	v_fmac_f64_e32 v[158:159], v[126:127], v[84:85]
	v_add_f64 v[160:161], v[156:157], v[158:159]
	ds_read_b128 v[156:159], v1 offset:1728
	v_mul_f64 v[32:33], v[32:33], v[46:47]
	s_waitcnt lgkmcnt(1)
	v_mul_f64 v[162:163], v[152:153], v[94:95]
	v_fma_f64 v[30:31], v[30:31], v[80:81], -v[32:33]
	v_fmac_f64_e32 v[162:163], v[154:155], v[96:97]
	v_add_f64 v[164:165], v[160:161], v[162:163]
	ds_read_b128 v[160:163], v1 offset:1744
	s_waitcnt lgkmcnt(1)
	v_mul_f64 v[166:167], v[156:157], v[90:91]
	v_fmac_f64_e32 v[166:167], v[158:159], v[92:93]
	v_add_f64 v[168:169], v[164:165], v[166:167]
	ds_read_b128 v[164:167], v1 offset:1760
	s_waitcnt vmcnt(62) lgkmcnt(1)
	v_mul_f64 v[170:171], v[160:161], v[102:103]
	s_waitcnt vmcnt(60)
	v_fmac_f64_e32 v[170:171], v[162:163], v[104:105]
	v_add_f64 v[172:173], v[168:169], v[170:171]
	ds_read_b128 v[168:171], v1 offset:1776
	s_waitcnt lgkmcnt(1)
	v_mul_f64 v[174:175], v[164:165], v[98:99]
	v_fmac_f64_e32 v[174:175], v[166:167], v[100:101]
	v_add_f64 v[176:177], v[172:173], v[174:175]
	ds_read_b128 v[172:175], v1 offset:1792
	s_waitcnt vmcnt(54) lgkmcnt(1)
	v_mul_f64 v[178:179], v[168:169], v[110:111]
	s_waitcnt vmcnt(52)
	;; [unrolled: 11-line block ×7, first 2 shown]
	v_fmac_f64_e32 v[218:219], v[210:211], v[224:225]
	v_add_f64 v[238:239], v[216:217], v[218:219]
	ds_read_b128 v[216:219], v1 offset:1968
	s_waitcnt lgkmcnt(1)
	v_mul_f64 v[240:241], v[212:213], v[118:119]
	v_fmac_f64_e32 v[240:241], v[214:215], v[220:221]
	v_add_f64 v[238:239], v[238:239], v[240:241]
	v_fma_f64 v[240:241], v[38:39], v[48:49], -v[40:41]
	ds_read_b128 v[38:41], v1 offset:1984
	ds_read_b128 v[48:51], v1 offset:2000
	s_waitcnt vmcnt(6) lgkmcnt(2)
	v_mul_f64 v[242:243], v[216:217], v[230:231]
	s_waitcnt vmcnt(4)
	v_fmac_f64_e32 v[242:243], v[218:219], v[232:233]
	v_add_f64 v[0:1], v[238:239], v[242:243]
	s_waitcnt lgkmcnt(1)
	v_mul_f64 v[238:239], v[38:39], v[226:227]
	v_fmac_f64_e32 v[238:239], v[40:41], v[228:229]
	v_add_f64 v[0:1], v[0:1], v[238:239]
	s_waitcnt vmcnt(2) lgkmcnt(0)
	v_mul_f64 v[238:239], v[48:49], v[234:235]
	s_waitcnt vmcnt(0)
	v_fmac_f64_e32 v[238:239], v[50:51], v[236:237]
	v_add_f64 v[0:1], v[0:1], v[238:239]
	v_add_f64 v[238:239], v[240:241], 0
	;; [unrolled: 1-line block ×3, first 2 shown]
	v_mul_f64 v[28:29], v[28:29], v[56:57]
	v_add_f64 v[30:31], v[34:35], v[30:31]
	v_fma_f64 v[26:27], v[26:27], v[78:79], -v[28:29]
	v_add_f64 v[26:27], v[30:31], v[26:27]
	v_mul_f64 v[20:21], v[20:21], v[62:63]
	v_add_f64 v[22:23], v[26:27], v[22:23]
	v_fma_f64 v[18:19], v[18:19], v[76:77], -v[20:21]
	v_add_f64 v[18:19], v[22:23], v[18:19]
	v_fma_f64 v[10:11], v[10:11], v[72:73], -v[12:13]
	v_mul_f64 v[8:9], v[8:9], v[68:69]
	v_add_f64 v[10:11], v[18:19], v[10:11]
	v_fma_f64 v[6:7], v[6:7], v[74:75], -v[8:9]
	v_mul_f64 v[4:5], v[4:5], v[64:65]
	;; [unrolled: 3-line block ×3, first 2 shown]
	v_add_f64 v[2:3], v[6:7], v[2:3]
	v_fma_f64 v[4:5], v[14:15], v[88:89], -v[4:5]
	v_add_f64 v[2:3], v[2:3], v[4:5]
	v_mul_f64 v[4:5], v[126:127], v[82:83]
	v_fma_f64 v[4:5], v[124:125], v[84:85], -v[4:5]
	v_add_f64 v[2:3], v[2:3], v[4:5]
	v_mul_f64 v[4:5], v[154:155], v[94:95]
	;; [unrolled: 3-line block ×20, first 2 shown]
	v_fma_f64 v[4:5], v[48:49], v[236:237], -v[4:5]
	v_add_f64 v[2:3], v[2:3], v[4:5]
	v_add_f64 v[2:3], v[60:61], -v[2:3]
	v_add_f64 v[0:1], v[58:59], -v[0:1]
	buffer_store_dword v3, off, s[0:3], 0 offset:532
	buffer_store_dword v2, off, s[0:3], 0 offset:528
	;; [unrolled: 1-line block ×4, first 2 shown]
	s_and_saveexec_b64 s[4:5], vcc
	s_cbranch_execz .LBB62_341
; %bb.340:
	v_accvgpr_read_b32 v0, a157
	buffer_load_dword v2, v0, s[0:3], 0 offen
	buffer_load_dword v3, v0, s[0:3], 0 offen offset:4
	buffer_load_dword v4, v0, s[0:3], 0 offen offset:8
	;; [unrolled: 1-line block ×3, first 2 shown]
	v_mov_b32_e32 v0, 0
	v_accvgpr_read_b32 v1, a189
	buffer_store_dword v0, off, s[0:3], 0 offset:512
	buffer_store_dword v0, off, s[0:3], 0 offset:516
	;; [unrolled: 1-line block ×4, first 2 shown]
	s_waitcnt vmcnt(4)
	ds_write_b128 v1, v[2:5]
.LBB62_341:
	s_or_b64 exec, exec, s[4:5]
	s_waitcnt lgkmcnt(0)
	; wave barrier
	s_waitcnt lgkmcnt(0)
	buffer_load_dword v106, off, s[0:3], 0 offset:528
	buffer_load_dword v107, off, s[0:3], 0 offset:532
	;; [unrolled: 1-line block ×49, first 2 shown]
	v_mov_b32_e32 v1, 0
	ds_read_b128 v[110:113], v1 offset:1520
	ds_read_b128 v[236:239], v1 offset:1536
	;; [unrolled: 1-line block ×10, first 2 shown]
	buffer_load_dword v160, off, s[0:3], 0 offset:720
	buffer_load_dword v175, off, s[0:3], 0 offset:716
	;; [unrolled: 1-line block ×69, first 2 shown]
	v_accvgpr_write_b32 a188, v254
	v_cmp_lt_u32_e32 vcc, 30, v254
	s_waitcnt vmcnt(62) lgkmcnt(9)
	v_mul_f64 v[34:35], v[110:111], v[108:109]
	v_fmac_f64_e32 v[34:35], v[112:113], v[106:107]
	v_add_f64 v[34:35], v[34:35], 0
	v_mul_f64 v[108:109], v[112:113], v[108:109]
	s_waitcnt lgkmcnt(8)
	v_mul_f64 v[36:37], v[236:237], v[116:117]
	v_fmac_f64_e32 v[36:37], v[238:239], v[114:115]
	s_waitcnt lgkmcnt(7)
	v_mul_f64 v[38:39], v[30:31], v[120:121]
	v_add_f64 v[34:35], v[34:35], v[36:37]
	s_waitcnt lgkmcnt(5)
	v_mul_f64 v[42:43], v[22:23], v[122:123]
	v_mul_f64 v[116:117], v[238:239], v[116:117]
	v_fmac_f64_e32 v[42:43], v[24:25], v[124:125]
	v_fma_f64 v[248:249], v[110:111], v[106:107], -v[108:109]
	v_mul_f64 v[40:41], v[26:27], v[126:127]
	v_fma_f64 v[250:251], v[236:237], v[114:115], -v[116:117]
	s_waitcnt lgkmcnt(3)
	v_mul_f64 v[46:47], v[14:15], v[128:129]
	v_mul_f64 v[24:25], v[24:25], v[122:123]
	v_fmac_f64_e32 v[46:47], v[16:17], v[130:131]
	v_fma_f64 v[22:23], v[22:23], v[124:125], -v[24:25]
	v_mul_f64 v[44:45], v[18:19], v[132:133]
	v_mul_f64 v[16:17], v[16:17], v[128:129]
	s_waitcnt lgkmcnt(1)
	v_mul_f64 v[50:51], v[6:7], v[134:135]
	v_fma_f64 v[14:15], v[14:15], v[130:131], -v[16:17]
	v_fmac_f64_e32 v[50:51], v[8:9], v[136:137]
	v_mul_f64 v[8:9], v[8:9], v[134:135]
	v_mul_f64 v[48:49], v[10:11], v[142:143]
	v_fma_f64 v[6:7], v[6:7], v[136:137], -v[8:9]
	s_waitcnt lgkmcnt(0)
	v_mul_f64 v[52:53], v[2:3], v[138:139]
	v_fmac_f64_e32 v[38:39], v[32:33], v[154:155]
	v_add_f64 v[34:35], v[34:35], v[38:39]
	v_fmac_f64_e32 v[40:41], v[28:29], v[152:153]
	v_add_f64 v[34:35], v[34:35], v[40:41]
	;; [unrolled: 2-line block ×3, first 2 shown]
	v_add_f64 v[34:35], v[34:35], v[44:45]
	v_fmac_f64_e32 v[48:49], v[12:13], v[148:149]
	v_add_f64 v[34:35], v[34:35], v[46:47]
	v_add_f64 v[34:35], v[34:35], v[48:49]
	v_fmac_f64_e32 v[52:53], v[4:5], v[146:147]
	v_add_f64 v[34:35], v[34:35], v[50:51]
	v_add_f64 v[42:43], v[34:35], v[52:53]
	ds_read_b128 v[38:41], v1 offset:1680
	ds_read_b128 v[34:37], v1 offset:1696
	buffer_load_dword v223, off, s[0:3], 0 offset:1020
	buffer_load_dword v222, off, s[0:3], 0 offset:1016
	;; [unrolled: 1-line block ×8, first 2 shown]
	ds_read_b128 v[110:113], v1 offset:1968
	ds_read_b128 v[106:109], v1 offset:1984
	s_waitcnt lgkmcnt(3)
	v_mul_f64 v[44:45], v[38:39], v[144:145]
	v_fmac_f64_e32 v[44:45], v[40:41], v[156:157]
	v_add_f64 v[46:47], v[42:43], v[44:45]
	ds_read_b128 v[42:45], v1 offset:1712
	s_waitcnt lgkmcnt(3)
	v_mul_f64 v[48:49], v[34:35], v[174:175]
	v_fmac_f64_e32 v[48:49], v[36:37], v[178:179]
	v_add_f64 v[50:51], v[46:47], v[48:49]
	;; [unrolled: 5-line block ×3, first 2 shown]
	ds_read_b128 v[50:53], v1 offset:1744
	s_waitcnt vmcnt(62) lgkmcnt(1)
	v_mul_f64 v[56:57], v[46:47], v[182:183]
	v_fmac_f64_e32 v[56:57], v[48:49], v[186:187]
	v_add_f64 v[58:59], v[54:55], v[56:57]
	ds_read_b128 v[54:57], v1 offset:1760
	s_waitcnt lgkmcnt(1)
	v_mul_f64 v[60:61], v[50:51], v[162:163]
	v_fmac_f64_e32 v[60:61], v[52:53], v[164:165]
	v_add_f64 v[62:63], v[58:59], v[60:61]
	ds_read_b128 v[58:61], v1 offset:1776
	s_waitcnt vmcnt(58) lgkmcnt(1)
	v_mul_f64 v[64:65], v[54:55], v[190:191]
	s_waitcnt vmcnt(56)
	v_fmac_f64_e32 v[64:65], v[56:57], v[194:195]
	v_add_f64 v[66:67], v[62:63], v[64:65]
	ds_read_b128 v[62:65], v1 offset:1792
	s_waitcnt lgkmcnt(1)
	v_mul_f64 v[68:69], v[58:59], v[166:167]
	v_fmac_f64_e32 v[68:69], v[60:61], v[168:169]
	v_add_f64 v[70:71], v[66:67], v[68:69]
	ds_read_b128 v[66:69], v1 offset:1808
	s_waitcnt vmcnt(50) lgkmcnt(1)
	v_mul_f64 v[72:73], v[62:63], v[198:199]
	s_waitcnt vmcnt(48)
	v_fmac_f64_e32 v[72:73], v[64:65], v[202:203]
	v_add_f64 v[74:75], v[70:71], v[72:73]
	ds_read_b128 v[70:73], v1 offset:1824
	s_waitcnt lgkmcnt(1)
	v_mul_f64 v[76:77], v[66:67], v[170:171]
	v_fmac_f64_e32 v[76:77], v[68:69], v[172:173]
	v_add_f64 v[78:79], v[74:75], v[76:77]
	ds_read_b128 v[74:77], v1 offset:1840
	s_waitcnt vmcnt(42) lgkmcnt(1)
	v_mul_f64 v[80:81], v[70:71], v[206:207]
	s_waitcnt vmcnt(40)
	v_fmac_f64_e32 v[80:81], v[72:73], v[210:211]
	v_add_f64 v[82:83], v[78:79], v[80:81]
	ds_read_b128 v[78:81], v1 offset:1856
	s_waitcnt lgkmcnt(1)
	v_mul_f64 v[84:85], v[74:75], v[176:177]
	v_fmac_f64_e32 v[84:85], v[76:77], v[180:181]
	v_add_f64 v[86:87], v[82:83], v[84:85]
	ds_read_b128 v[82:85], v1 offset:1872
	s_waitcnt vmcnt(34) lgkmcnt(1)
	v_mul_f64 v[88:89], v[78:79], v[214:215]
	s_waitcnt vmcnt(32)
	v_fmac_f64_e32 v[88:89], v[80:81], v[216:217]
	v_add_f64 v[90:91], v[86:87], v[88:89]
	ds_read_b128 v[86:89], v1 offset:1888
	s_waitcnt lgkmcnt(1)
	v_mul_f64 v[92:93], v[82:83], v[184:185]
	v_fmac_f64_e32 v[92:93], v[84:85], v[188:189]
	v_add_f64 v[94:95], v[90:91], v[92:93]
	ds_read_b128 v[90:93], v1 offset:1904
	s_waitcnt vmcnt(26) lgkmcnt(1)
	v_mul_f64 v[96:97], v[86:87], v[218:219]
	s_waitcnt vmcnt(24)
	v_fmac_f64_e32 v[96:97], v[88:89], v[220:221]
	v_add_f64 v[98:99], v[94:95], v[96:97]
	ds_read_b128 v[94:97], v1 offset:1920
	s_waitcnt lgkmcnt(1)
	v_mul_f64 v[100:101], v[90:91], v[192:193]
	v_fmac_f64_e32 v[100:101], v[92:93], v[196:197]
	v_add_f64 v[118:119], v[98:99], v[100:101]
	ds_read_b128 v[98:101], v1 offset:1936
	ds_read_b128 v[102:105], v1 offset:1952
	;; [unrolled: 1-line block ×3, first 2 shown]
	buffer_load_dword v252, off, s[0:3], 0 offset:520
	buffer_load_dword v253, off, s[0:3], 0 offset:524
	s_waitcnt vmcnt(20) lgkmcnt(3)
	v_mul_f64 v[240:241], v[94:95], v[224:225]
	s_waitcnt vmcnt(18)
	v_fmac_f64_e32 v[240:241], v[96:97], v[228:229]
	v_add_f64 v[118:119], v[118:119], v[240:241]
	s_waitcnt lgkmcnt(2)
	v_mul_f64 v[240:241], v[98:99], v[200:201]
	v_fmac_f64_e32 v[240:241], v[100:101], v[204:205]
	v_add_f64 v[118:119], v[118:119], v[240:241]
	s_waitcnt vmcnt(12) lgkmcnt(1)
	v_mul_f64 v[240:241], v[102:103], v[230:231]
	s_waitcnt vmcnt(10)
	v_fmac_f64_e32 v[240:241], v[104:105], v[232:233]
	v_mul_f64 v[236:237], v[110:111], v[208:209]
	v_add_f64 v[118:119], v[118:119], v[240:241]
	v_fmac_f64_e32 v[236:237], v[112:113], v[212:213]
	v_add_f64 v[118:119], v[118:119], v[236:237]
	s_waitcnt vmcnt(4)
	v_mul_f64 v[236:237], v[106:107], v[234:235]
	v_mul_f64 v[32:33], v[32:33], v[120:121]
	s_waitcnt vmcnt(2)
	v_fmac_f64_e32 v[236:237], v[108:109], v[244:245]
	v_add_f64 v[118:119], v[118:119], v[236:237]
	s_waitcnt lgkmcnt(0)
	v_mul_f64 v[236:237], v[114:115], v[222:223]
	v_fmac_f64_e32 v[236:237], v[116:117], v[226:227]
	v_add_f64 v[246:247], v[118:119], v[236:237]
	v_add_f64 v[118:119], v[248:249], 0
	;; [unrolled: 1-line block ×3, first 2 shown]
	v_fma_f64 v[30:31], v[30:31], v[154:155], -v[32:33]
	v_mul_f64 v[28:29], v[28:29], v[126:127]
	v_add_f64 v[30:31], v[118:119], v[30:31]
	v_fma_f64 v[26:27], v[26:27], v[152:153], -v[28:29]
	v_add_f64 v[26:27], v[30:31], v[26:27]
	v_mul_f64 v[20:21], v[20:21], v[132:133]
	v_add_f64 v[22:23], v[26:27], v[22:23]
	v_fma_f64 v[18:19], v[18:19], v[150:151], -v[20:21]
	v_add_f64 v[18:19], v[22:23], v[18:19]
	;; [unrolled: 4-line block ×3, first 2 shown]
	v_mul_f64 v[4:5], v[4:5], v[138:139]
	v_add_f64 v[6:7], v[10:11], v[6:7]
	v_fma_f64 v[2:3], v[2:3], v[146:147], -v[4:5]
	v_mul_f64 v[4:5], v[40:41], v[144:145]
	v_add_f64 v[2:3], v[6:7], v[2:3]
	v_fma_f64 v[4:5], v[38:39], v[156:157], -v[4:5]
	v_add_f64 v[2:3], v[2:3], v[4:5]
	v_mul_f64 v[4:5], v[36:37], v[174:175]
	v_fma_f64 v[4:5], v[34:35], v[178:179], -v[4:5]
	v_add_f64 v[2:3], v[2:3], v[4:5]
	v_mul_f64 v[4:5], v[44:45], v[158:159]
	;; [unrolled: 3-line block ×20, first 2 shown]
	v_fma_f64 v[4:5], v[114:115], v[226:227], -v[4:5]
	v_add_f64 v[2:3], v[2:3], v[4:5]
	v_add_f64 v[2:3], v[140:141], -v[2:3]
	s_waitcnt vmcnt(0)
	v_add_f64 v[4:5], v[252:253], -v[246:247]
	buffer_store_dword v3, off, s[0:3], 0 offset:516
	buffer_store_dword v2, off, s[0:3], 0 offset:512
	;; [unrolled: 1-line block ×4, first 2 shown]
	s_and_saveexec_b64 s[4:5], vcc
	s_cbranch_execz .LBB62_343
; %bb.342:
	v_accvgpr_read_b32 v0, a158
	buffer_load_dword v2, v0, s[0:3], 0 offen
	buffer_load_dword v3, v0, s[0:3], 0 offen offset:4
	buffer_load_dword v4, v0, s[0:3], 0 offen offset:8
	;; [unrolled: 1-line block ×3, first 2 shown]
	v_accvgpr_read_b32 v0, a189
	buffer_store_dword v1, off, s[0:3], 0 offset:496
	buffer_store_dword v1, off, s[0:3], 0 offset:500
	;; [unrolled: 1-line block ×4, first 2 shown]
	s_waitcnt vmcnt(4)
	ds_write_b128 v0, v[2:5]
.LBB62_343:
	s_or_b64 exec, exec, s[4:5]
	s_waitcnt lgkmcnt(0)
	; wave barrier
	s_waitcnt lgkmcnt(0)
	buffer_load_dword v112, off, s[0:3], 0 offset:512
	buffer_load_dword v113, off, s[0:3], 0 offset:516
	;; [unrolled: 1-line block ×36, first 2 shown]
	ds_read_b128 v[102:105], v1 offset:1504
	ds_read_b128 v[106:109], v1 offset:1520
	;; [unrolled: 1-line block ×9, first 2 shown]
	buffer_load_dword v145, off, s[0:3], 0 offset:684
	buffer_load_dword v144, off, s[0:3], 0 offset:680
	buffer_load_dword v147, off, s[0:3], 0 offset:676
	buffer_load_dword v146, off, s[0:3], 0 offset:672
	buffer_load_dword v149, off, s[0:3], 0 offset:668
	buffer_load_dword v148, off, s[0:3], 0 offset:664
	buffer_load_dword v151, off, s[0:3], 0 offset:660
	buffer_load_dword v150, off, s[0:3], 0 offset:656
	buffer_load_dword v153, off, s[0:3], 0 offset:716
	buffer_load_dword v152, off, s[0:3], 0 offset:712
	buffer_load_dword v155, off, s[0:3], 0 offset:708
	buffer_load_dword v154, off, s[0:3], 0 offset:704
	buffer_load_dword v161, off, s[0:3], 0 offset:700
	buffer_load_dword v160, off, s[0:3], 0 offset:696
	buffer_load_dword v163, off, s[0:3], 0 offset:692
	buffer_load_dword v162, off, s[0:3], 0 offset:688
	buffer_load_dword v157, off, s[0:3], 0 offset:748
	buffer_load_dword v156, off, s[0:3], 0 offset:744
	buffer_load_dword v159, off, s[0:3], 0 offset:740
	buffer_load_dword v158, off, s[0:3], 0 offset:736
	buffer_load_dword v177, off, s[0:3], 0 offset:732
	buffer_load_dword v176, off, s[0:3], 0 offset:728
	buffer_load_dword v181, off, s[0:3], 0 offset:724
	buffer_load_dword v180, off, s[0:3], 0 offset:720
	buffer_load_dword v165, off, s[0:3], 0 offset:780
	buffer_load_dword v164, off, s[0:3], 0 offset:776
	buffer_load_dword v167, off, s[0:3], 0 offset:772
	buffer_load_dword v166, off, s[0:3], 0 offset:768
	buffer_load_dword v185, off, s[0:3], 0 offset:764
	buffer_load_dword v184, off, s[0:3], 0 offset:760
	buffer_load_dword v189, off, s[0:3], 0 offset:756
	buffer_load_dword v188, off, s[0:3], 0 offset:752
	buffer_load_dword v169, off, s[0:3], 0 offset:812
	buffer_load_dword v168, off, s[0:3], 0 offset:808
	buffer_load_dword v171, off, s[0:3], 0 offset:804
	buffer_load_dword v170, off, s[0:3], 0 offset:800
	buffer_load_dword v193, off, s[0:3], 0 offset:796
	buffer_load_dword v192, off, s[0:3], 0 offset:792
	buffer_load_dword v197, off, s[0:3], 0 offset:788
	buffer_load_dword v196, off, s[0:3], 0 offset:784
	buffer_load_dword v173, off, s[0:3], 0 offset:844
	buffer_load_dword v172, off, s[0:3], 0 offset:840
	buffer_load_dword v175, off, s[0:3], 0 offset:836
	buffer_load_dword v174, off, s[0:3], 0 offset:832
	buffer_load_dword v201, off, s[0:3], 0 offset:828
	buffer_load_dword v200, off, s[0:3], 0 offset:824
	buffer_load_dword v205, off, s[0:3], 0 offset:820
	buffer_load_dword v204, off, s[0:3], 0 offset:816
	buffer_load_dword v179, off, s[0:3], 0 offset:876
	buffer_load_dword v178, off, s[0:3], 0 offset:872
	buffer_load_dword v183, off, s[0:3], 0 offset:868
	buffer_load_dword v182, off, s[0:3], 0 offset:864
	buffer_load_dword v209, off, s[0:3], 0 offset:860
	buffer_load_dword v208, off, s[0:3], 0 offset:856
	buffer_load_dword v211, off, s[0:3], 0 offset:852
	buffer_load_dword v210, off, s[0:3], 0 offset:848
	buffer_load_dword v187, off, s[0:3], 0 offset:908
	buffer_load_dword v186, off, s[0:3], 0 offset:904
	buffer_load_dword v191, off, s[0:3], 0 offset:900
	buffer_load_dword v190, off, s[0:3], 0 offset:896
	buffer_load_dword v213, off, s[0:3], 0 offset:892
	buffer_load_dword v212, off, s[0:3], 0 offset:888
	buffer_load_dword v215, off, s[0:3], 0 offset:884
	buffer_load_dword v214, off, s[0:3], 0 offset:880
	buffer_load_dword v195, off, s[0:3], 0 offset:940
	buffer_load_dword v194, off, s[0:3], 0 offset:936
	buffer_load_dword v199, off, s[0:3], 0 offset:932
	buffer_load_dword v198, off, s[0:3], 0 offset:928
	buffer_load_dword v217, off, s[0:3], 0 offset:924
	buffer_load_dword v216, off, s[0:3], 0 offset:920
	buffer_load_dword v219, off, s[0:3], 0 offset:916
	buffer_load_dword v218, off, s[0:3], 0 offset:912
	buffer_load_dword v203, off, s[0:3], 0 offset:972
	buffer_load_dword v202, off, s[0:3], 0 offset:968
	buffer_load_dword v207, off, s[0:3], 0 offset:964
	buffer_load_dword v206, off, s[0:3], 0 offset:960
	buffer_load_dword v221, off, s[0:3], 0 offset:956
	buffer_load_dword v220, off, s[0:3], 0 offset:952
	s_waitcnt vmcnt(62) lgkmcnt(8)
	v_mul_f64 v[26:27], v[102:103], v[246:247]
	v_fmac_f64_e32 v[26:27], v[104:105], v[112:113]
	v_add_f64 v[26:27], v[26:27], 0
	v_mul_f64 v[104:105], v[104:105], v[246:247]
	s_waitcnt lgkmcnt(7)
	v_mul_f64 v[28:29], v[106:107], v[248:249]
	v_fmac_f64_e32 v[28:29], v[108:109], v[110:111]
	s_waitcnt lgkmcnt(6)
	v_mul_f64 v[30:31], v[114:115], v[244:245]
	v_add_f64 v[26:27], v[26:27], v[28:29]
	s_waitcnt lgkmcnt(4)
	v_mul_f64 v[34:35], v[18:19], v[120:121]
	v_fma_f64 v[246:247], v[102:103], v[112:113], -v[104:105]
	v_fmac_f64_e32 v[34:35], v[20:21], v[122:123]
	v_mul_f64 v[108:109], v[108:109], v[248:249]
	v_mul_f64 v[32:33], v[22:23], v[124:125]
	v_fma_f64 v[248:249], v[106:107], v[110:111], -v[108:109]
	s_waitcnt lgkmcnt(2)
	v_mul_f64 v[38:39], v[10:11], v[126:127]
	v_mul_f64 v[20:21], v[20:21], v[120:121]
	v_fmac_f64_e32 v[38:39], v[12:13], v[128:129]
	v_fma_f64 v[18:19], v[18:19], v[122:123], -v[20:21]
	v_mul_f64 v[36:37], v[14:15], v[132:133]
	v_mul_f64 v[12:13], v[12:13], v[126:127]
	s_waitcnt lgkmcnt(1)
	v_mul_f64 v[40:41], v[6:7], v[130:131]
	v_fma_f64 v[10:11], v[10:11], v[128:129], -v[12:13]
	v_fmac_f64_e32 v[30:31], v[116:117], v[250:251]
	v_add_f64 v[26:27], v[26:27], v[30:31]
	v_fmac_f64_e32 v[32:33], v[24:25], v[140:141]
	v_add_f64 v[26:27], v[26:27], v[32:33]
	;; [unrolled: 2-line block ×3, first 2 shown]
	v_add_f64 v[26:27], v[26:27], v[36:37]
	v_fmac_f64_e32 v[40:41], v[8:9], v[136:137]
	v_add_f64 v[30:31], v[26:27], v[38:39]
	v_add_f64 v[30:31], v[30:31], v[40:41]
	s_waitcnt lgkmcnt(0)
	v_mul_f64 v[32:33], v[2:3], v[134:135]
	v_fmac_f64_e32 v[32:33], v[4:5], v[142:143]
	ds_read_b128 v[26:29], v1 offset:1648
	v_add_f64 v[34:35], v[30:31], v[32:33]
	ds_read_b128 v[30:33], v1 offset:1664
	buffer_load_dword v223, off, s[0:3], 0 offset:948
	buffer_load_dword v222, off, s[0:3], 0 offset:944
	v_mul_f64 v[116:117], v[116:117], v[244:245]
	s_waitcnt lgkmcnt(1)
	v_mul_f64 v[36:37], v[26:27], v[148:149]
	v_fmac_f64_e32 v[36:37], v[28:29], v[150:151]
	s_waitcnt lgkmcnt(0)
	v_mul_f64 v[40:41], v[30:31], v[144:145]
	v_add_f64 v[38:39], v[34:35], v[36:37]
	ds_read_b128 v[34:37], v1 offset:1680
	v_fmac_f64_e32 v[40:41], v[32:33], v[146:147]
	v_add_f64 v[42:43], v[38:39], v[40:41]
	ds_read_b128 v[38:41], v1 offset:1696
	v_fma_f64 v[250:251], v[114:115], v[250:251], -v[116:117]
	s_waitcnt lgkmcnt(1)
	v_mul_f64 v[44:45], v[34:35], v[160:161]
	v_fmac_f64_e32 v[44:45], v[36:37], v[162:163]
	v_add_f64 v[46:47], v[42:43], v[44:45]
	s_waitcnt lgkmcnt(0)
	v_mul_f64 v[48:49], v[38:39], v[152:153]
	ds_read_b128 v[42:45], v1 offset:1712
	v_fmac_f64_e32 v[48:49], v[40:41], v[154:155]
	v_add_f64 v[50:51], v[46:47], v[48:49]
	ds_read_b128 v[46:49], v1 offset:1728
	buffer_load_dword v225, off, s[0:3], 0 offset:1004
	buffer_load_dword v227, off, s[0:3], 0 offset:988
	;; [unrolled: 1-line block ×12, first 2 shown]
	s_waitcnt vmcnt(62) lgkmcnt(1)
	v_mul_f64 v[52:53], v[42:43], v[176:177]
	v_fmac_f64_e32 v[52:53], v[44:45], v[180:181]
	v_add_f64 v[54:55], v[50:51], v[52:53]
	ds_read_b128 v[50:53], v1 offset:1744
	s_waitcnt lgkmcnt(1)
	v_mul_f64 v[56:57], v[46:47], v[156:157]
	v_fmac_f64_e32 v[56:57], v[48:49], v[158:159]
	v_add_f64 v[58:59], v[54:55], v[56:57]
	ds_read_b128 v[54:57], v1 offset:1760
	s_waitcnt lgkmcnt(1)
	v_mul_f64 v[60:61], v[50:51], v[184:185]
	s_waitcnt vmcnt(60)
	v_fmac_f64_e32 v[60:61], v[52:53], v[188:189]
	v_add_f64 v[62:63], v[58:59], v[60:61]
	ds_read_b128 v[58:61], v1 offset:1776
	s_waitcnt lgkmcnt(1)
	v_mul_f64 v[64:65], v[54:55], v[164:165]
	v_fmac_f64_e32 v[64:65], v[56:57], v[166:167]
	v_add_f64 v[66:67], v[62:63], v[64:65]
	ds_read_b128 v[62:65], v1 offset:1792
	s_waitcnt vmcnt(54) lgkmcnt(1)
	v_mul_f64 v[68:69], v[58:59], v[192:193]
	s_waitcnt vmcnt(52)
	v_fmac_f64_e32 v[68:69], v[60:61], v[196:197]
	v_add_f64 v[70:71], v[66:67], v[68:69]
	ds_read_b128 v[66:69], v1 offset:1808
	s_waitcnt lgkmcnt(1)
	v_mul_f64 v[72:73], v[62:63], v[168:169]
	v_fmac_f64_e32 v[72:73], v[64:65], v[170:171]
	v_add_f64 v[74:75], v[70:71], v[72:73]
	ds_read_b128 v[70:73], v1 offset:1824
	s_waitcnt vmcnt(46) lgkmcnt(1)
	;; [unrolled: 11-line block ×4, first 2 shown]
	v_mul_f64 v[92:93], v[82:83], v[212:213]
	s_waitcnt vmcnt(28)
	v_fmac_f64_e32 v[92:93], v[84:85], v[214:215]
	v_add_f64 v[98:99], v[90:91], v[92:93]
	ds_read_b128 v[90:93], v1 offset:1904
	ds_read_b128 v[94:97], v1 offset:1920
	s_waitcnt lgkmcnt(2)
	v_mul_f64 v[100:101], v[86:87], v[186:187]
	v_fmac_f64_e32 v[100:101], v[88:89], v[190:191]
	v_add_f64 v[98:99], v[98:99], v[100:101]
	s_waitcnt vmcnt(22) lgkmcnt(1)
	v_mul_f64 v[100:101], v[90:91], v[216:217]
	s_waitcnt vmcnt(20)
	v_fmac_f64_e32 v[100:101], v[92:93], v[218:219]
	v_add_f64 v[98:99], v[98:99], v[100:101]
	s_waitcnt lgkmcnt(0)
	v_mul_f64 v[100:101], v[94:95], v[194:195]
	v_fmac_f64_e32 v[100:101], v[96:97], v[198:199]
	v_add_f64 v[118:119], v[98:99], v[100:101]
	ds_read_b128 v[98:101], v1 offset:1936
	ds_read_b128 v[102:105], v1 offset:1952
	;; [unrolled: 1-line block ×4, first 2 shown]
	v_mul_f64 v[24:25], v[24:25], v[124:125]
	s_waitcnt vmcnt(14) lgkmcnt(3)
	v_mul_f64 v[112:113], v[98:99], v[220:221]
	s_waitcnt vmcnt(12)
	v_fmac_f64_e32 v[112:113], v[100:101], v[222:223]
	s_waitcnt lgkmcnt(2)
	v_mul_f64 v[110:111], v[102:103], v[202:203]
	v_add_f64 v[112:113], v[118:119], v[112:113]
	v_fmac_f64_e32 v[110:111], v[104:105], v[206:207]
	v_add_f64 v[118:119], v[112:113], v[110:111]
	ds_read_b128 v[110:113], v1 offset:1984
	buffer_load_dword v254, off, s[0:3], 0 offset:496
	buffer_load_dword v255, off, s[0:3], 0 offset:500
	;; [unrolled: 1-line block ×4, first 2 shown]
	v_fma_f64 v[22:23], v[22:23], v[140:141], -v[24:25]
	v_mul_f64 v[16:17], v[16:17], v[132:133]
	v_fma_f64 v[14:15], v[14:15], v[138:139], -v[16:17]
	s_waitcnt vmcnt(13) lgkmcnt(2)
	v_mul_f64 v[236:237], v[106:107], v[226:227]
	v_mul_f64 v[8:9], v[8:9], v[130:131]
	s_waitcnt vmcnt(11)
	v_fmac_f64_e32 v[236:237], v[108:109], v[232:233]
	v_add_f64 v[0:1], v[118:119], v[236:237]
	s_waitcnt vmcnt(10) lgkmcnt(0)
	v_mul_f64 v[118:119], v[110:111], v[224:225]
	s_waitcnt vmcnt(8)
	v_fmac_f64_e32 v[118:119], v[112:113], v[230:231]
	v_add_f64 v[0:1], v[0:1], v[118:119]
	s_waitcnt vmcnt(6)
	v_mul_f64 v[118:119], v[114:115], v[228:229]
	v_fma_f64 v[6:7], v[6:7], v[136:137], -v[8:9]
	s_waitcnt vmcnt(4)
	v_fmac_f64_e32 v[118:119], v[116:117], v[234:235]
	v_add_f64 v[244:245], v[0:1], v[118:119]
	v_add_f64 v[0:1], v[246:247], 0
	;; [unrolled: 1-line block ×8, first 2 shown]
	v_mul_f64 v[4:5], v[4:5], v[134:135]
	v_add_f64 v[0:1], v[0:1], v[6:7]
	v_fma_f64 v[2:3], v[2:3], v[142:143], -v[4:5]
	v_add_f64 v[0:1], v[0:1], v[2:3]
	v_mul_f64 v[2:3], v[28:29], v[148:149]
	v_fma_f64 v[2:3], v[26:27], v[150:151], -v[2:3]
	v_add_f64 v[0:1], v[0:1], v[2:3]
	v_mul_f64 v[2:3], v[32:33], v[144:145]
	v_fma_f64 v[2:3], v[30:31], v[146:147], -v[2:3]
	v_add_f64 v[0:1], v[0:1], v[2:3]
	v_mul_f64 v[2:3], v[36:37], v[160:161]
	v_fma_f64 v[2:3], v[34:35], v[162:163], -v[2:3]
	v_add_f64 v[0:1], v[0:1], v[2:3]
	v_mul_f64 v[2:3], v[40:41], v[152:153]
	v_fma_f64 v[2:3], v[38:39], v[154:155], -v[2:3]
	v_add_f64 v[0:1], v[0:1], v[2:3]
	v_mul_f64 v[2:3], v[44:45], v[176:177]
	v_fma_f64 v[2:3], v[42:43], v[180:181], -v[2:3]
	v_add_f64 v[0:1], v[0:1], v[2:3]
	v_mul_f64 v[2:3], v[48:49], v[156:157]
	v_fma_f64 v[2:3], v[46:47], v[158:159], -v[2:3]
	v_add_f64 v[0:1], v[0:1], v[2:3]
	v_mul_f64 v[2:3], v[52:53], v[184:185]
	v_fma_f64 v[2:3], v[50:51], v[188:189], -v[2:3]
	v_add_f64 v[0:1], v[0:1], v[2:3]
	v_mul_f64 v[2:3], v[56:57], v[164:165]
	v_fma_f64 v[2:3], v[54:55], v[166:167], -v[2:3]
	v_add_f64 v[0:1], v[0:1], v[2:3]
	v_mul_f64 v[2:3], v[60:61], v[192:193]
	v_fma_f64 v[2:3], v[58:59], v[196:197], -v[2:3]
	v_add_f64 v[0:1], v[0:1], v[2:3]
	v_mul_f64 v[2:3], v[64:65], v[168:169]
	v_fma_f64 v[2:3], v[62:63], v[170:171], -v[2:3]
	v_add_f64 v[0:1], v[0:1], v[2:3]
	v_mul_f64 v[2:3], v[68:69], v[200:201]
	v_fma_f64 v[2:3], v[66:67], v[204:205], -v[2:3]
	v_add_f64 v[0:1], v[0:1], v[2:3]
	v_mul_f64 v[2:3], v[72:73], v[172:173]
	v_fma_f64 v[2:3], v[70:71], v[174:175], -v[2:3]
	v_add_f64 v[0:1], v[0:1], v[2:3]
	v_mul_f64 v[2:3], v[76:77], v[208:209]
	v_fma_f64 v[2:3], v[74:75], v[210:211], -v[2:3]
	v_add_f64 v[0:1], v[0:1], v[2:3]
	v_mul_f64 v[2:3], v[80:81], v[178:179]
	v_fma_f64 v[2:3], v[78:79], v[182:183], -v[2:3]
	v_add_f64 v[0:1], v[0:1], v[2:3]
	v_mul_f64 v[2:3], v[84:85], v[212:213]
	v_fma_f64 v[2:3], v[82:83], v[214:215], -v[2:3]
	v_add_f64 v[0:1], v[0:1], v[2:3]
	v_mul_f64 v[2:3], v[88:89], v[186:187]
	v_fma_f64 v[2:3], v[86:87], v[190:191], -v[2:3]
	v_add_f64 v[0:1], v[0:1], v[2:3]
	v_mul_f64 v[2:3], v[92:93], v[216:217]
	v_fma_f64 v[2:3], v[90:91], v[218:219], -v[2:3]
	v_add_f64 v[0:1], v[0:1], v[2:3]
	v_mul_f64 v[2:3], v[96:97], v[194:195]
	v_fma_f64 v[2:3], v[94:95], v[198:199], -v[2:3]
	v_add_f64 v[0:1], v[0:1], v[2:3]
	v_mul_f64 v[2:3], v[100:101], v[220:221]
	v_fma_f64 v[2:3], v[98:99], v[222:223], -v[2:3]
	v_add_f64 v[0:1], v[0:1], v[2:3]
	v_mul_f64 v[2:3], v[104:105], v[202:203]
	v_fma_f64 v[2:3], v[102:103], v[206:207], -v[2:3]
	v_add_f64 v[0:1], v[0:1], v[2:3]
	v_mul_f64 v[2:3], v[108:109], v[226:227]
	v_fma_f64 v[2:3], v[106:107], v[232:233], -v[2:3]
	v_add_f64 v[0:1], v[0:1], v[2:3]
	v_mul_f64 v[2:3], v[112:113], v[224:225]
	v_fma_f64 v[2:3], v[110:111], v[230:231], -v[2:3]
	v_add_f64 v[0:1], v[0:1], v[2:3]
	v_mul_f64 v[2:3], v[116:117], v[228:229]
	v_fma_f64 v[2:3], v[114:115], v[234:235], -v[2:3]
	v_add_f64 v[0:1], v[0:1], v[2:3]
	s_waitcnt vmcnt(2)
	v_add_f64 v[0:1], v[254:255], -v[0:1]
	v_accvgpr_read_b32 v254, a188
	v_cmp_lt_u32_e32 vcc, 29, v254
	s_waitcnt vmcnt(0)
	v_add_f64 v[2:3], v[252:253], -v[244:245]
	buffer_store_dword v1, off, s[0:3], 0 offset:500
	buffer_store_dword v0, off, s[0:3], 0 offset:496
	buffer_store_dword v3, off, s[0:3], 0 offset:508
	buffer_store_dword v2, off, s[0:3], 0 offset:504
	s_and_saveexec_b64 s[4:5], vcc
	s_cbranch_execz .LBB62_345
; %bb.344:
	v_accvgpr_read_b32 v0, a159
	buffer_load_dword v2, v0, s[0:3], 0 offen
	buffer_load_dword v3, v0, s[0:3], 0 offen offset:4
	buffer_load_dword v4, v0, s[0:3], 0 offen offset:8
	;; [unrolled: 1-line block ×3, first 2 shown]
	v_mov_b32_e32 v0, 0
	v_accvgpr_read_b32 v1, a189
	buffer_store_dword v0, off, s[0:3], 0 offset:480
	buffer_store_dword v0, off, s[0:3], 0 offset:484
	;; [unrolled: 1-line block ×4, first 2 shown]
	s_waitcnt vmcnt(4)
	ds_write_b128 v1, v[2:5]
.LBB62_345:
	s_or_b64 exec, exec, s[4:5]
	s_waitcnt lgkmcnt(0)
	; wave barrier
	s_waitcnt lgkmcnt(0)
	buffer_load_dword v94, off, s[0:3], 0 offset:496
	buffer_load_dword v95, off, s[0:3], 0 offset:500
	;; [unrolled: 1-line block ×52, first 2 shown]
	v_mov_b32_e32 v1, 0
	ds_read_b128 v[102:105], v1 offset:1488
	ds_read_b128 v[114:117], v1 offset:1504
	ds_read_b128 v[236:239], v1 offset:1520
	ds_read_b128 v[240:243], v1 offset:1536
	ds_read_b128 v[22:25], v1 offset:1552
	ds_read_b128 v[18:21], v1 offset:1568
	ds_read_b128 v[14:17], v1 offset:1584
	ds_read_b128 v[10:13], v1 offset:1600
	ds_read_b128 v[6:9], v1 offset:1616
	ds_read_b128 v[2:5], v1 offset:1632
	v_cmp_lt_u32_e32 vcc, 28, v254
	s_waitcnt vmcnt(48) lgkmcnt(9)
	v_mul_f64 v[26:27], v[102:103], v[96:97]
	v_fmac_f64_e32 v[26:27], v[104:105], v[94:95]
	v_add_f64 v[26:27], v[26:27], 0
	v_mul_f64 v[96:97], v[104:105], v[96:97]
	s_waitcnt vmcnt(44) lgkmcnt(8)
	v_mul_f64 v[28:29], v[114:115], v[100:101]
	v_fmac_f64_e32 v[28:29], v[116:117], v[98:99]
	s_waitcnt vmcnt(42) lgkmcnt(7)
	v_mul_f64 v[30:31], v[236:237], v[106:107]
	v_add_f64 v[26:27], v[26:27], v[28:29]
	s_waitcnt vmcnt(40) lgkmcnt(5)
	v_mul_f64 v[34:35], v[22:23], v[122:123]
	v_fma_f64 v[250:251], v[102:103], v[94:95], -v[96:97]
	s_waitcnt vmcnt(38)
	v_fmac_f64_e32 v[34:35], v[24:25], v[126:127]
	v_mul_f64 v[100:101], v[116:117], v[100:101]
	s_waitcnt vmcnt(36)
	v_mul_f64 v[32:33], v[240:241], v[110:111]
	v_fma_f64 v[252:253], v[114:115], v[98:99], -v[100:101]
	s_waitcnt vmcnt(34) lgkmcnt(3)
	v_mul_f64 v[38:39], v[14:15], v[120:121]
	v_mul_f64 v[106:107], v[238:239], v[106:107]
	s_waitcnt vmcnt(32)
	v_fmac_f64_e32 v[38:39], v[16:17], v[124:125]
	v_mul_f64 v[110:111], v[242:243], v[110:111]
	s_waitcnt vmcnt(30)
	v_mul_f64 v[36:37], v[18:19], v[132:133]
	v_mul_f64 v[24:25], v[24:25], v[122:123]
	v_fma_f64 v[22:23], v[22:23], v[126:127], -v[24:25]
	s_waitcnt vmcnt(27) lgkmcnt(2)
	v_mul_f64 v[40:41], v[10:11], v[130:131]
	s_waitcnt vmcnt(26) lgkmcnt(1)
	v_mul_f64 v[42:43], v[6:7], v[128:129]
	v_mul_f64 v[16:17], v[16:17], v[120:121]
	s_waitcnt vmcnt(24)
	v_fmac_f64_e32 v[30:31], v[238:239], v[108:109]
	v_add_f64 v[26:27], v[26:27], v[30:31]
	s_waitcnt vmcnt(22)
	v_fmac_f64_e32 v[32:33], v[242:243], v[112:113]
	v_add_f64 v[26:27], v[26:27], v[32:33]
	;; [unrolled: 3-line block ×3, first 2 shown]
	v_add_f64 v[26:27], v[26:27], v[36:37]
	s_waitcnt vmcnt(18)
	v_fmac_f64_e32 v[40:41], v[12:13], v[134:135]
	v_add_f64 v[26:27], v[26:27], v[38:39]
	v_add_f64 v[26:27], v[26:27], v[40:41]
	s_waitcnt vmcnt(16)
	v_fmac_f64_e32 v[42:43], v[8:9], v[140:141]
	v_add_f64 v[34:35], v[26:27], v[42:43]
	ds_read_b128 v[26:29], v1 offset:1648
	ds_read_b128 v[30:33], v1 offset:1664
	buffer_load_dword v157, off, s[0:3], 0 offset:732
	buffer_load_dword v156, off, s[0:3], 0 offset:728
	buffer_load_dword v159, off, s[0:3], 0 offset:724
	buffer_load_dword v158, off, s[0:3], 0 offset:720
	buffer_load_dword v173, off, s[0:3], 0 offset:716
	buffer_load_dword v172, off, s[0:3], 0 offset:712
	buffer_load_dword v177, off, s[0:3], 0 offset:708
	buffer_load_dword v176, off, s[0:3], 0 offset:704
	buffer_load_dword v161, off, s[0:3], 0 offset:764
	buffer_load_dword v160, off, s[0:3], 0 offset:760
	buffer_load_dword v163, off, s[0:3], 0 offset:756
	buffer_load_dword v162, off, s[0:3], 0 offset:752
	buffer_load_dword v181, off, s[0:3], 0 offset:748
	buffer_load_dword v180, off, s[0:3], 0 offset:744
	buffer_load_dword v185, off, s[0:3], 0 offset:740
	buffer_load_dword v184, off, s[0:3], 0 offset:736
	buffer_load_dword v165, off, s[0:3], 0 offset:796
	buffer_load_dword v164, off, s[0:3], 0 offset:792
	buffer_load_dword v167, off, s[0:3], 0 offset:788
	buffer_load_dword v166, off, s[0:3], 0 offset:784
	buffer_load_dword v189, off, s[0:3], 0 offset:780
	buffer_load_dword v188, off, s[0:3], 0 offset:776
	buffer_load_dword v193, off, s[0:3], 0 offset:772
	buffer_load_dword v192, off, s[0:3], 0 offset:768
	buffer_load_dword v169, off, s[0:3], 0 offset:828
	buffer_load_dword v168, off, s[0:3], 0 offset:824
	buffer_load_dword v171, off, s[0:3], 0 offset:820
	buffer_load_dword v170, off, s[0:3], 0 offset:816
	buffer_load_dword v197, off, s[0:3], 0 offset:812
	buffer_load_dword v196, off, s[0:3], 0 offset:808
	buffer_load_dword v199, off, s[0:3], 0 offset:804
	buffer_load_dword v198, off, s[0:3], 0 offset:800
	buffer_load_dword v175, off, s[0:3], 0 offset:860
	buffer_load_dword v174, off, s[0:3], 0 offset:856
	buffer_load_dword v179, off, s[0:3], 0 offset:852
	buffer_load_dword v178, off, s[0:3], 0 offset:848
	buffer_load_dword v203, off, s[0:3], 0 offset:844
	buffer_load_dword v202, off, s[0:3], 0 offset:840
	buffer_load_dword v207, off, s[0:3], 0 offset:836
	buffer_load_dword v206, off, s[0:3], 0 offset:832
	buffer_load_dword v183, off, s[0:3], 0 offset:892
	buffer_load_dword v182, off, s[0:3], 0 offset:888
	buffer_load_dword v187, off, s[0:3], 0 offset:884
	buffer_load_dword v186, off, s[0:3], 0 offset:880
	buffer_load_dword v211, off, s[0:3], 0 offset:876
	buffer_load_dword v210, off, s[0:3], 0 offset:872
	buffer_load_dword v217, off, s[0:3], 0 offset:868
	buffer_load_dword v216, off, s[0:3], 0 offset:864
	buffer_load_dword v191, off, s[0:3], 0 offset:924
	buffer_load_dword v190, off, s[0:3], 0 offset:920
	buffer_load_dword v195, off, s[0:3], 0 offset:916
	buffer_load_dword v215, off, s[0:3], 0 offset:908
	buffer_load_dword v214, off, s[0:3], 0 offset:904
	buffer_load_dword v219, off, s[0:3], 0 offset:900
	buffer_load_dword v218, off, s[0:3], 0 offset:896
	buffer_load_dword v194, off, s[0:3], 0 offset:912
	s_waitcnt vmcnt(62) lgkmcnt(2)
	v_mul_f64 v[36:37], v[2:3], v[144:145]
	v_fmac_f64_e32 v[36:37], v[4:5], v[146:147]
	v_add_f64 v[34:35], v[34:35], v[36:37]
	s_waitcnt lgkmcnt(1)
	v_mul_f64 v[36:37], v[26:27], v[138:139]
	v_fmac_f64_e32 v[36:37], v[28:29], v[142:143]
	v_add_f64 v[34:35], v[34:35], v[36:37]
	s_waitcnt lgkmcnt(0)
	v_mul_f64 v[36:37], v[30:31], v[148:149]
	s_waitcnt vmcnt(60)
	v_fmac_f64_e32 v[36:37], v[32:33], v[152:153]
	v_add_f64 v[42:43], v[34:35], v[36:37]
	ds_read_b128 v[34:37], v1 offset:1680
	buffer_load_dword v201, off, s[0:3], 0 offset:956
	buffer_load_dword v200, off, s[0:3], 0 offset:952
	;; [unrolled: 1-line block ×16, first 2 shown]
	ds_read_b128 v[38:41], v1 offset:1696
	buffer_load_dword v223, off, s[0:3], 0 offset:1020
	buffer_load_dword v222, off, s[0:3], 0 offset:1016
	;; [unrolled: 1-line block ×8, first 2 shown]
	ds_read_b128 v[98:101], v1 offset:1936
	s_waitcnt vmcnt(62) lgkmcnt(2)
	v_mul_f64 v[44:45], v[34:35], v[150:151]
	v_fmac_f64_e32 v[44:45], v[36:37], v[154:155]
	v_add_f64 v[46:47], v[42:43], v[44:45]
	ds_read_b128 v[42:45], v1 offset:1712
	v_fma_f64 v[248:249], v[236:237], v[108:109], -v[106:107]
	ds_read_b128 v[106:109], v1 offset:1968
	v_fma_f64 v[246:247], v[240:241], v[112:113], -v[110:111]
	v_mul_f64 v[20:21], v[20:21], v[132:133]
	v_fma_f64 v[18:19], v[18:19], v[136:137], -v[20:21]
	v_fma_f64 v[14:15], v[14:15], v[124:125], -v[16:17]
	v_mul_f64 v[12:13], v[12:13], v[130:131]
	v_fma_f64 v[10:11], v[10:11], v[134:135], -v[12:13]
	v_mul_f64 v[8:9], v[8:9], v[128:129]
	;; [unrolled: 2-line block ×3, first 2 shown]
	s_waitcnt lgkmcnt(3)
	v_mul_f64 v[48:49], v[38:39], v[172:173]
	v_fma_f64 v[2:3], v[2:3], v[146:147], -v[4:5]
	v_fmac_f64_e32 v[48:49], v[40:41], v[176:177]
	v_add_f64 v[50:51], v[46:47], v[48:49]
	ds_read_b128 v[46:49], v1 offset:1728
	s_waitcnt lgkmcnt(2)
	v_mul_f64 v[52:53], v[42:43], v[156:157]
	v_fmac_f64_e32 v[52:53], v[44:45], v[158:159]
	v_add_f64 v[54:55], v[50:51], v[52:53]
	ds_read_b128 v[50:53], v1 offset:1744
	s_waitcnt lgkmcnt(1)
	v_mul_f64 v[56:57], v[46:47], v[180:181]
	;; [unrolled: 5-line block ×3, first 2 shown]
	v_fmac_f64_e32 v[60:61], v[52:53], v[162:163]
	v_add_f64 v[62:63], v[58:59], v[60:61]
	ds_read_b128 v[58:61], v1 offset:1776
	s_waitcnt vmcnt(58) lgkmcnt(1)
	v_mul_f64 v[64:65], v[54:55], v[188:189]
	s_waitcnt vmcnt(56)
	v_fmac_f64_e32 v[64:65], v[56:57], v[192:193]
	v_add_f64 v[66:67], v[62:63], v[64:65]
	ds_read_b128 v[62:65], v1 offset:1792
	s_waitcnt lgkmcnt(1)
	v_mul_f64 v[68:69], v[58:59], v[164:165]
	v_fmac_f64_e32 v[68:69], v[60:61], v[166:167]
	v_add_f64 v[70:71], v[66:67], v[68:69]
	ds_read_b128 v[66:69], v1 offset:1808
	s_waitcnt vmcnt(50) lgkmcnt(1)
	v_mul_f64 v[72:73], v[62:63], v[196:197]
	s_waitcnt vmcnt(48)
	v_fmac_f64_e32 v[72:73], v[64:65], v[198:199]
	v_add_f64 v[74:75], v[70:71], v[72:73]
	ds_read_b128 v[70:73], v1 offset:1824
	s_waitcnt lgkmcnt(1)
	v_mul_f64 v[76:77], v[66:67], v[168:169]
	;; [unrolled: 11-line block ×3, first 2 shown]
	v_fmac_f64_e32 v[84:85], v[76:77], v[178:179]
	v_add_f64 v[90:91], v[82:83], v[84:85]
	ds_read_b128 v[82:85], v1 offset:1872
	ds_read_b128 v[86:89], v1 offset:1888
	s_waitcnt vmcnt(34) lgkmcnt(2)
	v_mul_f64 v[92:93], v[78:79], v[210:211]
	s_waitcnt vmcnt(32)
	v_fmac_f64_e32 v[92:93], v[80:81], v[216:217]
	v_add_f64 v[90:91], v[90:91], v[92:93]
	s_waitcnt lgkmcnt(1)
	v_mul_f64 v[92:93], v[82:83], v[182:183]
	v_fmac_f64_e32 v[92:93], v[84:85], v[186:187]
	v_add_f64 v[90:91], v[90:91], v[92:93]
	s_waitcnt vmcnt(27) lgkmcnt(0)
	v_mul_f64 v[92:93], v[86:87], v[214:215]
	s_waitcnt vmcnt(25)
	v_fmac_f64_e32 v[92:93], v[88:89], v[218:219]
	v_add_f64 v[118:119], v[90:91], v[92:93]
	ds_read_b128 v[90:93], v1 offset:1904
	ds_read_b128 v[94:97], v1 offset:1920
	;; [unrolled: 1-line block ×3, first 2 shown]
	v_mul_f64 v[4:5], v[28:29], v[138:139]
	v_fma_f64 v[4:5], v[26:27], v[142:143], -v[4:5]
	s_waitcnt lgkmcnt(2)
	v_mul_f64 v[102:103], v[90:91], v[190:191]
	s_waitcnt vmcnt(24)
	v_fmac_f64_e32 v[102:103], v[92:93], v[194:195]
	s_waitcnt vmcnt(18) lgkmcnt(1)
	v_mul_f64 v[104:105], v[94:95], v[220:221]
	v_add_f64 v[102:103], v[118:119], v[102:103]
	s_waitcnt vmcnt(16)
	v_fmac_f64_e32 v[104:105], v[96:97], v[224:225]
	v_add_f64 v[102:103], v[102:103], v[104:105]
	v_mul_f64 v[104:105], v[98:99], v[200:201]
	v_fmac_f64_e32 v[104:105], v[100:101], v[204:205]
	v_add_f64 v[114:115], v[102:103], v[104:105]
	ds_read_b128 v[102:105], v1 offset:1952
	s_waitcnt vmcnt(10) lgkmcnt(0)
	v_mul_f64 v[116:117], v[102:103], v[228:229]
	s_waitcnt vmcnt(8)
	v_fmac_f64_e32 v[116:117], v[104:105], v[230:231]
	v_add_f64 v[114:115], v[114:115], v[116:117]
	v_mul_f64 v[116:117], v[106:107], v[208:209]
	v_fmac_f64_e32 v[116:117], v[108:109], v[212:213]
	v_add_f64 v[114:115], v[114:115], v[116:117]
	s_waitcnt vmcnt(2)
	v_mul_f64 v[116:117], v[110:111], v[232:233]
	s_waitcnt vmcnt(0)
	v_fmac_f64_e32 v[116:117], v[112:113], v[234:235]
	v_add_f64 v[118:119], v[114:115], v[116:117]
	ds_read_b128 v[114:117], v1 offset:2000
	s_waitcnt lgkmcnt(0)
	v_mul_f64 v[236:237], v[114:115], v[222:223]
	v_fmac_f64_e32 v[236:237], v[116:117], v[226:227]
	v_add_f64 v[244:245], v[118:119], v[236:237]
	v_add_f64 v[118:119], v[250:251], 0
	;; [unrolled: 1-line block ×3, first 2 shown]
	buffer_load_dword v252, off, s[0:3], 0 offset:480
	buffer_load_dword v253, off, s[0:3], 0 offset:484
	v_add_f64 v[118:119], v[250:251], v[248:249]
	buffer_load_dword v248, off, s[0:3], 0 offset:488
	buffer_load_dword v249, off, s[0:3], 0 offset:492
	v_add_f64 v[118:119], v[118:119], v[246:247]
	v_add_f64 v[22:23], v[118:119], v[22:23]
	;; [unrolled: 1-line block ×8, first 2 shown]
	v_mul_f64 v[4:5], v[32:33], v[148:149]
	v_fma_f64 v[4:5], v[30:31], v[152:153], -v[4:5]
	v_add_f64 v[2:3], v[2:3], v[4:5]
	v_mul_f64 v[4:5], v[36:37], v[150:151]
	v_fma_f64 v[4:5], v[34:35], v[154:155], -v[4:5]
	v_add_f64 v[2:3], v[2:3], v[4:5]
	;; [unrolled: 3-line block ×22, first 2 shown]
	s_waitcnt vmcnt(2)
	v_add_f64 v[2:3], v[252:253], -v[2:3]
	s_waitcnt vmcnt(0)
	v_add_f64 v[4:5], v[248:249], -v[244:245]
	buffer_store_dword v3, off, s[0:3], 0 offset:484
	buffer_store_dword v2, off, s[0:3], 0 offset:480
	;; [unrolled: 1-line block ×4, first 2 shown]
	s_and_saveexec_b64 s[4:5], vcc
	s_cbranch_execz .LBB62_347
; %bb.346:
	v_accvgpr_read_b32 v0, a160
	buffer_load_dword v2, v0, s[0:3], 0 offen
	buffer_load_dword v3, v0, s[0:3], 0 offen offset:4
	buffer_load_dword v4, v0, s[0:3], 0 offen offset:8
	;; [unrolled: 1-line block ×3, first 2 shown]
	v_accvgpr_read_b32 v0, a189
	buffer_store_dword v1, off, s[0:3], 0 offset:464
	buffer_store_dword v1, off, s[0:3], 0 offset:468
	;; [unrolled: 1-line block ×4, first 2 shown]
	s_waitcnt vmcnt(4)
	ds_write_b128 v0, v[2:5]
.LBB62_347:
	s_or_b64 exec, exec, s[4:5]
	s_waitcnt lgkmcnt(0)
	; wave barrier
	s_waitcnt lgkmcnt(0)
	buffer_load_dword v86, off, s[0:3], 0 offset:480
	buffer_load_dword v87, off, s[0:3], 0 offset:484
	;; [unrolled: 1-line block ×42, first 2 shown]
	ds_read_b128 v[94:97], v1 offset:1472
	ds_read_b128 v[106:109], v1 offset:1488
	;; [unrolled: 1-line block ×10, first 2 shown]
	buffer_load_dword v147, off, s[0:3], 0 offset:628
	buffer_load_dword v146, off, s[0:3], 0 offset:624
	ds_read_b128 v[6:9], v1 offset:1632
	buffer_load_dword v143, off, s[0:3], 0 offset:684
	buffer_load_dword v142, off, s[0:3], 0 offset:680
	;; [unrolled: 1-line block ×80, first 2 shown]
	s_waitcnt vmcnt(62) lgkmcnt(10)
	v_mul_f64 v[26:27], v[94:95], v[88:89]
	v_fmac_f64_e32 v[26:27], v[96:97], v[86:87]
	v_add_f64 v[26:27], v[26:27], 0
	v_mul_f64 v[88:89], v[96:97], v[88:89]
	s_waitcnt lgkmcnt(9)
	v_mul_f64 v[28:29], v[106:107], v[92:93]
	v_fmac_f64_e32 v[28:29], v[108:109], v[90:91]
	s_waitcnt lgkmcnt(8)
	v_mul_f64 v[30:31], v[114:115], v[98:99]
	v_add_f64 v[26:27], v[26:27], v[28:29]
	s_waitcnt lgkmcnt(6)
	v_mul_f64 v[34:35], v[240:241], v[110:111]
	v_fma_f64 v[250:251], v[94:95], v[86:87], -v[88:89]
	v_fmac_f64_e32 v[34:35], v[242:243], v[112:113]
	v_mul_f64 v[92:93], v[108:109], v[92:93]
	v_mul_f64 v[32:33], v[236:237], v[102:103]
	v_mul_f64 v[98:99], v[116:117], v[98:99]
	s_waitcnt lgkmcnt(4)
	v_mul_f64 v[38:39], v[18:19], v[120:121]
	v_mul_f64 v[102:103], v[238:239], v[102:103]
	v_fmac_f64_e32 v[38:39], v[20:21], v[122:123]
	v_mul_f64 v[110:111], v[242:243], v[110:111]
	v_mul_f64 v[36:37], v[22:23], v[124:125]
	v_fma_f64 v[248:249], v[240:241], v[112:113], -v[110:111]
	s_waitcnt lgkmcnt(2)
	v_mul_f64 v[42:43], v[10:11], v[126:127]
	v_mul_f64 v[20:21], v[20:21], v[120:121]
	v_fma_f64 v[18:19], v[18:19], v[122:123], -v[20:21]
	v_mul_f64 v[40:41], v[14:15], v[132:133]
	s_waitcnt lgkmcnt(1)
	v_mul_f64 v[44:45], v[2:3], v[130:131]
	v_fmac_f64_e32 v[30:31], v[116:117], v[100:101]
	v_add_f64 v[26:27], v[26:27], v[30:31]
	v_fmac_f64_e32 v[32:33], v[238:239], v[104:105]
	v_add_f64 v[26:27], v[26:27], v[32:33]
	;; [unrolled: 2-line block ×3, first 2 shown]
	v_add_f64 v[26:27], v[26:27], v[36:37]
	v_fmac_f64_e32 v[40:41], v[16:17], v[134:135]
	v_add_f64 v[26:27], v[26:27], v[38:39]
	v_fmac_f64_e32 v[42:43], v[12:13], v[128:129]
	v_add_f64 v[26:27], v[26:27], v[40:41]
	v_add_f64 v[26:27], v[26:27], v[42:43]
	s_waitcnt lgkmcnt(0)
	v_mul_f64 v[32:33], v[6:7], v[138:139]
	v_fmac_f64_e32 v[44:45], v[4:5], v[146:147]
	v_add_f64 v[30:31], v[26:27], v[44:45]
	ds_read_b128 v[26:29], v1 offset:1648
	v_fmac_f64_e32 v[32:33], v[8:9], v[140:141]
	v_add_f64 v[34:35], v[30:31], v[32:33]
	ds_read_b128 v[30:33], v1 offset:1664
	v_fma_f64 v[252:253], v[114:115], v[100:101], -v[98:99]
	s_waitcnt lgkmcnt(1)
	v_mul_f64 v[36:37], v[26:27], v[148:149]
	v_fmac_f64_e32 v[36:37], v[28:29], v[164:165]
	v_add_f64 v[38:39], v[34:35], v[36:37]
	ds_read_b128 v[34:37], v1 offset:1680
	s_waitcnt lgkmcnt(1)
	v_mul_f64 v[40:41], v[30:31], v[142:143]
	v_fmac_f64_e32 v[40:41], v[32:33], v[144:145]
	v_add_f64 v[42:43], v[38:39], v[40:41]
	ds_read_b128 v[38:41], v1 offset:1696
	;; [unrolled: 5-line block ×4, first 2 shown]
	s_waitcnt vmcnt(58) lgkmcnt(1)
	v_mul_f64 v[52:53], v[42:43], v[176:177]
	s_waitcnt vmcnt(56)
	v_fmac_f64_e32 v[52:53], v[44:45], v[180:181]
	v_add_f64 v[54:55], v[50:51], v[52:53]
	ds_read_b128 v[50:53], v1 offset:1744
	buffer_load_dword v224, off, s[0:3], 0 offset:1000
	buffer_load_dword v229, off, s[0:3], 0 offset:988
	;; [unrolled: 1-line block ×8, first 2 shown]
	s_waitcnt lgkmcnt(1)
	v_mul_f64 v[56:57], v[46:47], v[154:155]
	v_fmac_f64_e32 v[56:57], v[48:49], v[156:157]
	v_add_f64 v[58:59], v[54:55], v[56:57]
	ds_read_b128 v[54:57], v1 offset:1760
	buffer_load_dword v233, off, s[0:3], 0 offset:1020
	buffer_load_dword v232, off, s[0:3], 0 offset:1016
	;; [unrolled: 1-line block ×4, first 2 shown]
	s_waitcnt vmcnt(62) lgkmcnt(1)
	v_mul_f64 v[60:61], v[50:51], v[184:185]
	s_waitcnt vmcnt(60)
	v_fmac_f64_e32 v[60:61], v[52:53], v[188:189]
	v_add_f64 v[62:63], v[58:59], v[60:61]
	ds_read_b128 v[58:61], v1 offset:1776
	s_waitcnt lgkmcnt(1)
	v_mul_f64 v[64:65], v[54:55], v[158:159]
	v_fmac_f64_e32 v[64:65], v[56:57], v[160:161]
	v_add_f64 v[66:67], v[62:63], v[64:65]
	ds_read_b128 v[62:65], v1 offset:1792
	s_waitcnt vmcnt(54) lgkmcnt(1)
	v_mul_f64 v[68:69], v[58:59], v[192:193]
	s_waitcnt vmcnt(52)
	v_fmac_f64_e32 v[68:69], v[60:61], v[196:197]
	v_add_f64 v[70:71], v[66:67], v[68:69]
	ds_read_b128 v[66:69], v1 offset:1808
	s_waitcnt lgkmcnt(1)
	v_mul_f64 v[72:73], v[62:63], v[162:163]
	v_fmac_f64_e32 v[72:73], v[64:65], v[166:167]
	v_add_f64 v[74:75], v[70:71], v[72:73]
	ds_read_b128 v[70:73], v1 offset:1824
	s_waitcnt vmcnt(46) lgkmcnt(1)
	v_mul_f64 v[76:77], v[66:67], v[200:201]
	s_waitcnt vmcnt(44)
	v_fmac_f64_e32 v[76:77], v[68:69], v[204:205]
	v_add_f64 v[82:83], v[74:75], v[76:77]
	ds_read_b128 v[74:77], v1 offset:1840
	ds_read_b128 v[78:81], v1 offset:1856
	s_waitcnt lgkmcnt(2)
	v_mul_f64 v[84:85], v[70:71], v[170:171]
	v_fmac_f64_e32 v[84:85], v[72:73], v[174:175]
	v_add_f64 v[82:83], v[82:83], v[84:85]
	s_waitcnt vmcnt(38) lgkmcnt(1)
	v_mul_f64 v[84:85], v[74:75], v[208:209]
	s_waitcnt vmcnt(36)
	v_fmac_f64_e32 v[84:85], v[76:77], v[210:211]
	v_add_f64 v[82:83], v[82:83], v[84:85]
	s_waitcnt lgkmcnt(0)
	v_mul_f64 v[84:85], v[78:79], v[178:179]
	v_fmac_f64_e32 v[84:85], v[80:81], v[182:183]
	v_add_f64 v[118:119], v[82:83], v[84:85]
	ds_read_b128 v[82:85], v1 offset:1872
	ds_read_b128 v[86:89], v1 offset:1888
	;; [unrolled: 1-line block ×3, first 2 shown]
	v_fma_f64 v[246:247], v[236:237], v[104:105], -v[102:103]
	ds_read_b128 v[102:105], v1 offset:1968
	ds_read_b128 v[110:113], v1 offset:1984
	s_waitcnt vmcnt(30) lgkmcnt(4)
	v_mul_f64 v[94:95], v[82:83], v[212:213]
	s_waitcnt vmcnt(28)
	v_fmac_f64_e32 v[94:95], v[84:85], v[214:215]
	v_add_f64 v[94:95], v[118:119], v[94:95]
	v_fma_f64 v[118:119], v[106:107], v[90:91], -v[92:93]
	ds_read_b128 v[90:93], v1 offset:1904
	s_waitcnt lgkmcnt(4)
	v_mul_f64 v[96:97], v[86:87], v[186:187]
	v_fmac_f64_e32 v[96:97], v[88:89], v[190:191]
	v_add_f64 v[106:107], v[94:95], v[96:97]
	ds_read_b128 v[94:97], v1 offset:1920
	s_waitcnt vmcnt(22) lgkmcnt(1)
	v_mul_f64 v[108:109], v[90:91], v[216:217]
	s_waitcnt vmcnt(20)
	v_fmac_f64_e32 v[108:109], v[92:93], v[218:219]
	v_add_f64 v[106:107], v[106:107], v[108:109]
	v_mul_f64 v[24:25], v[24:25], v[124:125]
	s_waitcnt lgkmcnt(0)
	v_mul_f64 v[108:109], v[94:95], v[194:195]
	v_fmac_f64_e32 v[108:109], v[96:97], v[198:199]
	v_add_f64 v[114:115], v[106:107], v[108:109]
	ds_read_b128 v[106:109], v1 offset:1952
	s_waitcnt vmcnt(14)
	v_mul_f64 v[116:117], v[98:99], v[220:221]
	s_waitcnt vmcnt(12)
	v_fmac_f64_e32 v[116:117], v[100:101], v[222:223]
	v_add_f64 v[114:115], v[114:115], v[116:117]
	v_fma_f64 v[22:23], v[22:23], v[136:137], -v[24:25]
	s_waitcnt lgkmcnt(0)
	v_mul_f64 v[116:117], v[106:107], v[202:203]
	v_fmac_f64_e32 v[116:117], v[108:109], v[206:207]
	v_add_f64 v[114:115], v[114:115], v[116:117]
	v_mul_f64 v[16:17], v[16:17], v[132:133]
	v_fma_f64 v[14:15], v[14:15], v[134:135], -v[16:17]
	v_mul_f64 v[12:13], v[12:13], v[126:127]
	v_fma_f64 v[10:11], v[10:11], v[128:129], -v[12:13]
	;; [unrolled: 2-line block ×3, first 2 shown]
	s_waitcnt vmcnt(9)
	v_mul_f64 v[116:117], v[102:103], v[228:229]
	s_waitcnt vmcnt(7)
	v_fmac_f64_e32 v[116:117], v[104:105], v[230:231]
	v_add_f64 v[114:115], v[114:115], v[116:117]
	s_waitcnt vmcnt(5)
	v_mul_f64 v[116:117], v[110:111], v[224:225]
	s_waitcnt vmcnt(4)
	v_fmac_f64_e32 v[116:117], v[112:113], v[226:227]
	v_add_f64 v[236:237], v[114:115], v[116:117]
	ds_read_b128 v[114:117], v1 offset:2000
	s_waitcnt vmcnt(2) lgkmcnt(0)
	v_mul_f64 v[0:1], v[114:115], v[232:233]
	s_waitcnt vmcnt(0)
	v_fmac_f64_e32 v[0:1], v[116:117], v[234:235]
	v_add_f64 v[244:245], v[236:237], v[0:1]
	v_add_f64 v[0:1], v[250:251], 0
	;; [unrolled: 1-line block ×4, first 2 shown]
	buffer_load_dword v254, off, s[0:3], 0 offset:464
	buffer_load_dword v255, off, s[0:3], 0 offset:468
	;; [unrolled: 1-line block ×4, first 2 shown]
	v_add_f64 v[0:1], v[250:251], v[246:247]
	v_add_f64 v[0:1], v[0:1], v[248:249]
	;; [unrolled: 1-line block ×7, first 2 shown]
	v_mul_f64 v[2:3], v[8:9], v[138:139]
	v_fma_f64 v[2:3], v[6:7], v[140:141], -v[2:3]
	v_add_f64 v[0:1], v[0:1], v[2:3]
	v_mul_f64 v[2:3], v[28:29], v[148:149]
	v_fma_f64 v[2:3], v[26:27], v[164:165], -v[2:3]
	v_add_f64 v[0:1], v[0:1], v[2:3]
	;; [unrolled: 3-line block ×24, first 2 shown]
	s_waitcnt vmcnt(2)
	v_add_f64 v[0:1], v[254:255], -v[0:1]
	v_accvgpr_read_b32 v254, a188
	v_cmp_lt_u32_e32 vcc, 27, v254
	s_waitcnt vmcnt(0)
	v_add_f64 v[2:3], v[252:253], -v[244:245]
	buffer_store_dword v1, off, s[0:3], 0 offset:468
	buffer_store_dword v0, off, s[0:3], 0 offset:464
	;; [unrolled: 1-line block ×4, first 2 shown]
	s_and_saveexec_b64 s[4:5], vcc
	s_cbranch_execz .LBB62_349
; %bb.348:
	v_accvgpr_read_b32 v0, a161
	buffer_load_dword v2, v0, s[0:3], 0 offen
	buffer_load_dword v3, v0, s[0:3], 0 offen offset:4
	buffer_load_dword v4, v0, s[0:3], 0 offen offset:8
	;; [unrolled: 1-line block ×3, first 2 shown]
	v_mov_b32_e32 v0, 0
	v_accvgpr_read_b32 v1, a189
	buffer_store_dword v0, off, s[0:3], 0 offset:448
	buffer_store_dword v0, off, s[0:3], 0 offset:452
	;; [unrolled: 1-line block ×4, first 2 shown]
	s_waitcnt vmcnt(4)
	ds_write_b128 v1, v[2:5]
.LBB62_349:
	s_or_b64 exec, exec, s[4:5]
	s_waitcnt lgkmcnt(0)
	; wave barrier
	s_waitcnt lgkmcnt(0)
	buffer_load_dword v82, off, s[0:3], 0 offset:464
	buffer_load_dword v83, off, s[0:3], 0 offset:468
	;; [unrolled: 1-line block ×54, first 2 shown]
	v_mov_b32_e32 v1, 0
	ds_read_b128 v[90:93], v1 offset:1456
	ds_read_b128 v[106:109], v1 offset:1472
	;; [unrolled: 1-line block ×9, first 2 shown]
	buffer_load_dword v151, off, s[0:3], 0 offset:692
	buffer_load_dword v150, off, s[0:3], 0 offset:688
	;; [unrolled: 1-line block ×62, first 2 shown]
	v_cmp_lt_u32_e32 vcc, 26, v254
	s_waitcnt vmcnt(62) lgkmcnt(8)
	v_mul_f64 v[14:15], v[90:91], v[84:85]
	v_fmac_f64_e32 v[14:15], v[92:93], v[82:83]
	v_add_f64 v[14:15], v[14:15], 0
	v_mul_f64 v[84:85], v[92:93], v[84:85]
	s_waitcnt lgkmcnt(7)
	v_mul_f64 v[16:17], v[106:107], v[88:89]
	v_fmac_f64_e32 v[16:17], v[108:109], v[86:87]
	s_waitcnt lgkmcnt(6)
	v_mul_f64 v[18:19], v[114:115], v[94:95]
	v_add_f64 v[14:15], v[14:15], v[16:17]
	s_waitcnt lgkmcnt(4)
	v_mul_f64 v[22:23], v[238:239], v[102:103]
	v_fma_f64 v[246:247], v[90:91], v[82:83], -v[84:85]
	v_fmac_f64_e32 v[22:23], v[240:241], v[104:105]
	v_mul_f64 v[88:89], v[108:109], v[88:89]
	v_mul_f64 v[20:21], v[234:235], v[98:99]
	v_fma_f64 v[248:249], v[106:107], v[86:87], -v[88:89]
	s_waitcnt lgkmcnt(2)
	v_mul_f64 v[26:27], v[10:11], v[120:121]
	v_mul_f64 v[94:95], v[116:117], v[94:95]
	v_fmac_f64_e32 v[26:27], v[12:13], v[122:123]
	v_mul_f64 v[98:99], v[236:237], v[98:99]
	v_mul_f64 v[24:25], v[242:243], v[110:111]
	;; [unrolled: 1-line block ×3, first 2 shown]
	s_waitcnt lgkmcnt(1)
	v_mul_f64 v[28:29], v[6:7], v[124:125]
	v_mul_f64 v[110:111], v[244:245], v[110:111]
	v_fmac_f64_e32 v[18:19], v[116:117], v[96:97]
	v_add_f64 v[14:15], v[14:15], v[18:19]
	v_fmac_f64_e32 v[20:21], v[236:237], v[100:101]
	v_add_f64 v[14:15], v[14:15], v[20:21]
	;; [unrolled: 2-line block ×3, first 2 shown]
	v_add_f64 v[14:15], v[14:15], v[24:25]
	v_fmac_f64_e32 v[28:29], v[8:9], v[128:129]
	v_add_f64 v[14:15], v[14:15], v[26:27]
	v_add_f64 v[18:19], v[14:15], v[28:29]
	ds_read_b128 v[14:17], v1 offset:1600
	s_waitcnt lgkmcnt(1)
	v_mul_f64 v[20:21], v[2:3], v[126:127]
	v_fmac_f64_e32 v[20:21], v[4:5], v[130:131]
	v_add_f64 v[22:23], v[18:19], v[20:21]
	ds_read_b128 v[18:21], v1 offset:1616
	s_waitcnt lgkmcnt(1)
	v_mul_f64 v[24:25], v[14:15], v[136:137]
	v_fmac_f64_e32 v[24:25], v[16:17], v[138:139]
	;; [unrolled: 5-line block ×5, first 2 shown]
	v_add_f64 v[38:39], v[34:35], v[36:37]
	ds_read_b128 v[34:37], v1 offset:1680
	s_waitcnt vmcnt(58) lgkmcnt(1)
	v_mul_f64 v[40:41], v[30:31], v[164:165]
	s_waitcnt vmcnt(56)
	v_fmac_f64_e32 v[40:41], v[32:33], v[168:169]
	v_add_f64 v[42:43], v[38:39], v[40:41]
	ds_read_b128 v[38:41], v1 offset:1696
	s_waitcnt lgkmcnt(1)
	v_mul_f64 v[44:45], v[34:35], v[144:145]
	v_fmac_f64_e32 v[44:45], v[36:37], v[150:151]
	v_add_f64 v[46:47], v[42:43], v[44:45]
	ds_read_b128 v[42:45], v1 offset:1712
	s_waitcnt vmcnt(50) lgkmcnt(1)
	v_mul_f64 v[48:49], v[38:39], v[172:173]
	s_waitcnt vmcnt(48)
	v_fmac_f64_e32 v[48:49], v[40:41], v[176:177]
	v_add_f64 v[50:51], v[46:47], v[48:49]
	ds_read_b128 v[46:49], v1 offset:1728
	buffer_load_dword v213, off, s[0:3], 0 offset:940
	buffer_load_dword v212, off, s[0:3], 0 offset:936
	;; [unrolled: 1-line block ×8, first 2 shown]
	s_waitcnt lgkmcnt(1)
	v_mul_f64 v[52:53], v[42:43], v[152:153]
	v_fmac_f64_e32 v[52:53], v[44:45], v[154:155]
	v_add_f64 v[54:55], v[50:51], v[52:53]
	ds_read_b128 v[50:53], v1 offset:1744
	s_waitcnt vmcnt(50) lgkmcnt(1)
	v_mul_f64 v[56:57], v[46:47], v[180:181]
	s_waitcnt vmcnt(48)
	v_fmac_f64_e32 v[56:57], v[48:49], v[184:185]
	buffer_load_dword v217, off, s[0:3], 0 offset:988
	buffer_load_dword v223, off, s[0:3], 0 offset:972
	;; [unrolled: 1-line block ×12, first 2 shown]
	v_add_f64 v[58:59], v[54:55], v[56:57]
	ds_read_b128 v[54:57], v1 offset:1760
	s_waitcnt lgkmcnt(1)
	v_mul_f64 v[60:61], v[50:51], v[156:157]
	v_fmac_f64_e32 v[60:61], v[52:53], v[158:159]
	v_add_f64 v[62:63], v[58:59], v[60:61]
	ds_read_b128 v[58:61], v1 offset:1776
	s_waitcnt vmcnt(54) lgkmcnt(1)
	v_mul_f64 v[64:65], v[54:55], v[188:189]
	s_waitcnt vmcnt(52)
	v_fmac_f64_e32 v[64:65], v[56:57], v[192:193]
	v_add_f64 v[66:67], v[62:63], v[64:65]
	ds_read_b128 v[62:65], v1 offset:1792
	s_waitcnt lgkmcnt(1)
	v_mul_f64 v[68:69], v[58:59], v[160:161]
	v_fmac_f64_e32 v[68:69], v[60:61], v[162:163]
	v_add_f64 v[70:71], v[66:67], v[68:69]
	ds_read_b128 v[66:69], v1 offset:1808
	s_waitcnt vmcnt(46) lgkmcnt(1)
	v_mul_f64 v[72:73], v[62:63], v[196:197]
	s_waitcnt vmcnt(44)
	v_fmac_f64_e32 v[72:73], v[64:65], v[198:199]
	v_add_f64 v[78:79], v[70:71], v[72:73]
	ds_read_b128 v[70:73], v1 offset:1824
	ds_read_b128 v[74:77], v1 offset:1840
	s_waitcnt lgkmcnt(2)
	v_mul_f64 v[80:81], v[66:67], v[166:167]
	v_fmac_f64_e32 v[80:81], v[68:69], v[170:171]
	v_add_f64 v[78:79], v[78:79], v[80:81]
	s_waitcnt vmcnt(38) lgkmcnt(1)
	v_mul_f64 v[80:81], v[70:71], v[200:201]
	s_waitcnt vmcnt(36)
	v_fmac_f64_e32 v[80:81], v[72:73], v[202:203]
	v_add_f64 v[78:79], v[78:79], v[80:81]
	s_waitcnt lgkmcnt(0)
	v_mul_f64 v[80:81], v[74:75], v[174:175]
	v_fmac_f64_e32 v[80:81], v[76:77], v[178:179]
	v_add_f64 v[118:119], v[78:79], v[80:81]
	ds_read_b128 v[78:81], v1 offset:1856
	ds_read_b128 v[82:85], v1 offset:1872
	;; [unrolled: 1-line block ×3, first 2 shown]
	v_fma_f64 v[236:237], v[234:235], v[100:101], -v[98:99]
	ds_read_b128 v[98:101], v1 offset:1936
	s_waitcnt vmcnt(30) lgkmcnt(3)
	v_mul_f64 v[90:91], v[78:79], v[204:205]
	s_waitcnt vmcnt(28)
	v_fmac_f64_e32 v[90:91], v[80:81], v[206:207]
	s_waitcnt lgkmcnt(2)
	v_mul_f64 v[92:93], v[82:83], v[182:183]
	v_add_f64 v[90:91], v[118:119], v[90:91]
	v_fmac_f64_e32 v[92:93], v[84:85], v[186:187]
	v_add_f64 v[90:91], v[90:91], v[92:93]
	v_fma_f64 v[118:119], v[114:115], v[96:97], -v[94:95]
	ds_read_b128 v[94:97], v1 offset:1920
	s_waitcnt vmcnt(22) lgkmcnt(2)
	v_mul_f64 v[92:93], v[86:87], v[208:209]
	s_waitcnt vmcnt(20)
	v_fmac_f64_e32 v[92:93], v[88:89], v[210:211]
	v_add_f64 v[106:107], v[90:91], v[92:93]
	ds_read_b128 v[90:93], v1 offset:1904
	buffer_load_dword v232, off, s[0:3], 0 offset:1016
	v_fma_f64 v[238:239], v[238:239], v[104:105], -v[102:103]
	ds_read_b128 v[102:105], v1 offset:1952
	v_fma_f64 v[250:251], v[242:243], v[112:113], -v[110:111]
	s_waitcnt lgkmcnt(1)
	v_mul_f64 v[108:109], v[90:91], v[190:191]
	v_fmac_f64_e32 v[108:109], v[92:93], v[194:195]
	v_add_f64 v[106:107], v[106:107], v[108:109]
	ds_read_b128 v[110:113], v1 offset:1984
	v_mul_f64 v[12:13], v[12:13], v[120:121]
	v_fma_f64 v[10:11], v[10:11], v[122:123], -v[12:13]
	v_mul_f64 v[8:9], v[8:9], v[124:125]
	v_fma_f64 v[6:7], v[6:7], v[128:129], -v[8:9]
	;; [unrolled: 2-line block ×4, first 2 shown]
	s_waitcnt vmcnt(19)
	v_mul_f64 v[108:109], v[94:95], v[212:213]
	s_waitcnt vmcnt(17)
	v_fmac_f64_e32 v[108:109], v[96:97], v[214:215]
	v_add_f64 v[106:107], v[106:107], v[108:109]
	s_waitcnt vmcnt(15)
	v_mul_f64 v[108:109], v[98:99], v[218:219]
	s_waitcnt vmcnt(13)
	v_fmac_f64_e32 v[108:109], v[100:101], v[220:221]
	v_add_f64 v[114:115], v[106:107], v[108:109]
	ds_read_b128 v[106:109], v1 offset:1968
	buffer_load_dword v244, off, s[0:3], 0 offset:1008
	buffer_load_dword v233, off, s[0:3], 0 offset:1020
	;; [unrolled: 1-line block ×3, first 2 shown]
	s_waitcnt vmcnt(13) lgkmcnt(2)
	v_mul_f64 v[116:117], v[102:103], v[222:223]
	s_waitcnt vmcnt(11)
	v_fmac_f64_e32 v[116:117], v[104:105], v[228:229]
	v_add_f64 v[114:115], v[114:115], v[116:117]
	s_waitcnt vmcnt(10) lgkmcnt(0)
	v_mul_f64 v[116:117], v[106:107], v[216:217]
	s_waitcnt vmcnt(8)
	v_fmac_f64_e32 v[116:117], v[108:109], v[226:227]
	v_add_f64 v[114:115], v[114:115], v[116:117]
	s_waitcnt vmcnt(6)
	v_mul_f64 v[116:117], v[110:111], v[224:225]
	s_waitcnt vmcnt(4)
	v_fmac_f64_e32 v[116:117], v[112:113], v[230:231]
	v_add_f64 v[234:235], v[114:115], v[116:117]
	ds_read_b128 v[114:117], v1 offset:2000
	s_waitcnt vmcnt(1) lgkmcnt(0)
	v_mul_f64 v[240:241], v[114:115], v[232:233]
	s_waitcnt vmcnt(0)
	v_fmac_f64_e32 v[240:241], v[116:117], v[244:245]
	v_add_f64 v[234:235], v[234:235], v[240:241]
	v_add_f64 v[240:241], v[246:247], 0
	;; [unrolled: 1-line block ×3, first 2 shown]
	buffer_load_dword v248, off, s[0:3], 0 offset:448
	buffer_load_dword v249, off, s[0:3], 0 offset:452
	;; [unrolled: 1-line block ×4, first 2 shown]
	v_add_f64 v[118:119], v[240:241], v[118:119]
	v_add_f64 v[118:119], v[118:119], v[236:237]
	;; [unrolled: 1-line block ×8, first 2 shown]
	v_mul_f64 v[4:5], v[20:21], v[132:133]
	v_fma_f64 v[4:5], v[18:19], v[134:135], -v[4:5]
	v_add_f64 v[2:3], v[2:3], v[4:5]
	v_mul_f64 v[4:5], v[24:25], v[146:147]
	v_fma_f64 v[4:5], v[22:23], v[148:149], -v[4:5]
	v_add_f64 v[2:3], v[2:3], v[4:5]
	;; [unrolled: 3-line block ×25, first 2 shown]
	s_waitcnt vmcnt(2)
	v_add_f64 v[2:3], v[248:249], -v[2:3]
	s_waitcnt vmcnt(0)
	v_add_f64 v[4:5], v[246:247], -v[234:235]
	buffer_store_dword v3, off, s[0:3], 0 offset:452
	buffer_store_dword v2, off, s[0:3], 0 offset:448
	;; [unrolled: 1-line block ×4, first 2 shown]
	s_and_saveexec_b64 s[4:5], vcc
	s_cbranch_execz .LBB62_351
; %bb.350:
	v_accvgpr_read_b32 v0, a162
	buffer_load_dword v2, v0, s[0:3], 0 offen
	buffer_load_dword v3, v0, s[0:3], 0 offen offset:4
	buffer_load_dword v4, v0, s[0:3], 0 offen offset:8
	;; [unrolled: 1-line block ×3, first 2 shown]
	v_accvgpr_read_b32 v0, a189
	buffer_store_dword v1, off, s[0:3], 0 offset:432
	buffer_store_dword v1, off, s[0:3], 0 offset:436
	;; [unrolled: 1-line block ×4, first 2 shown]
	s_waitcnt vmcnt(4)
	ds_write_b128 v0, v[2:5]
.LBB62_351:
	s_or_b64 exec, exec, s[4:5]
	s_waitcnt lgkmcnt(0)
	; wave barrier
	s_waitcnt lgkmcnt(0)
	buffer_load_dword v84, off, s[0:3], 0 offset:448
	buffer_load_dword v85, off, s[0:3], 0 offset:452
	;; [unrolled: 1-line block ×34, first 2 shown]
	ds_read_b128 v[74:77], v1 offset:1440
	ds_read_b128 v[78:81], v1 offset:1456
	;; [unrolled: 1-line block ×8, first 2 shown]
	buffer_load_dword v127, off, s[0:3], 0 offset:564
	buffer_load_dword v126, off, s[0:3], 0 offset:560
	ds_read_b128 v[6:9], v1 offset:1568
	buffer_load_dword v129, off, s[0:3], 0 offset:620
	buffer_load_dword v128, off, s[0:3], 0 offset:616
	;; [unrolled: 1-line block ×80, first 2 shown]
	s_waitcnt vmcnt(62) lgkmcnt(8)
	v_mul_f64 v[10:11], v[74:75], v[106:107]
	v_fmac_f64_e32 v[10:11], v[76:77], v[84:85]
	v_add_f64 v[10:11], v[10:11], 0
	v_mul_f64 v[76:77], v[76:77], v[106:107]
	s_waitcnt lgkmcnt(7)
	v_mul_f64 v[12:13], v[78:79], v[96:97]
	v_fmac_f64_e32 v[12:13], v[80:81], v[82:83]
	s_waitcnt lgkmcnt(6)
	v_mul_f64 v[14:15], v[86:87], v[94:95]
	v_add_f64 v[10:11], v[10:11], v[12:13]
	s_waitcnt lgkmcnt(4)
	v_mul_f64 v[18:19], v[98:99], v[108:109]
	v_fma_f64 v[236:237], v[74:75], v[84:85], -v[76:77]
	v_fmac_f64_e32 v[18:19], v[100:101], v[114:115]
	v_mul_f64 v[80:81], v[80:81], v[96:97]
	v_mul_f64 v[16:17], v[90:91], v[116:117]
	v_fma_f64 v[238:239], v[78:79], v[82:83], -v[80:81]
	s_waitcnt lgkmcnt(2)
	v_mul_f64 v[22:23], v[110:111], v[232:233]
	v_mul_f64 v[100:101], v[100:101], v[108:109]
	v_fma_f64 v[242:243], v[98:99], v[114:115], -v[100:101]
	v_mul_f64 v[20:21], v[102:103], v[244:245]
	s_waitcnt lgkmcnt(1)
	v_mul_f64 v[24:25], v[2:3], v[120:121]
	v_fmac_f64_e32 v[14:15], v[88:89], v[250:251]
	v_add_f64 v[10:11], v[10:11], v[14:15]
	v_fmac_f64_e32 v[16:17], v[92:93], v[248:249]
	v_add_f64 v[10:11], v[10:11], v[16:17]
	v_fmac_f64_e32 v[20:21], v[104:105], v[246:247]
	v_add_f64 v[10:11], v[10:11], v[18:19]
	v_fmac_f64_e32 v[22:23], v[112:113], v[234:235]
	v_add_f64 v[10:11], v[10:11], v[20:21]
	v_add_f64 v[10:11], v[10:11], v[22:23]
	s_waitcnt lgkmcnt(0)
	v_mul_f64 v[16:17], v[6:7], v[122:123]
	v_fmac_f64_e32 v[16:17], v[8:9], v[124:125]
	v_fmac_f64_e32 v[24:25], v[4:5], v[126:127]
	v_add_f64 v[14:15], v[10:11], v[24:25]
	ds_read_b128 v[10:13], v1 offset:1584
	v_add_f64 v[18:19], v[14:15], v[16:17]
	ds_read_b128 v[14:17], v1 offset:1600
	v_mul_f64 v[88:89], v[88:89], v[94:95]
	v_mul_f64 v[92:93], v[92:93], v[116:117]
	s_waitcnt lgkmcnt(1)
	v_mul_f64 v[20:21], v[10:11], v[132:133]
	v_fmac_f64_e32 v[20:21], v[12:13], v[134:135]
	s_waitcnt lgkmcnt(0)
	v_mul_f64 v[24:25], v[14:15], v[128:129]
	v_add_f64 v[22:23], v[18:19], v[20:21]
	ds_read_b128 v[18:21], v1 offset:1616
	v_fmac_f64_e32 v[24:25], v[16:17], v[130:131]
	v_add_f64 v[26:27], v[22:23], v[24:25]
	ds_read_b128 v[22:25], v1 offset:1632
	v_fma_f64 v[240:241], v[90:91], v[248:249], -v[92:93]
	s_waitcnt lgkmcnt(1)
	v_mul_f64 v[28:29], v[18:19], v[144:145]
	v_fmac_f64_e32 v[28:29], v[20:21], v[146:147]
	v_add_f64 v[30:31], v[26:27], v[28:29]
	s_waitcnt lgkmcnt(0)
	v_mul_f64 v[32:33], v[22:23], v[136:137]
	ds_read_b128 v[26:29], v1 offset:1648
	v_fmac_f64_e32 v[32:33], v[24:25], v[138:139]
	v_add_f64 v[34:35], v[30:31], v[32:33]
	ds_read_b128 v[30:33], v1 offset:1664
	v_mul_f64 v[104:105], v[104:105], v[244:245]
	s_waitcnt vmcnt(58) lgkmcnt(1)
	v_mul_f64 v[36:37], v[26:27], v[160:161]
	s_waitcnt vmcnt(56)
	v_fmac_f64_e32 v[36:37], v[28:29], v[164:165]
	v_add_f64 v[38:39], v[34:35], v[36:37]
	s_waitcnt lgkmcnt(0)
	v_mul_f64 v[40:41], v[30:31], v[140:141]
	ds_read_b128 v[34:37], v1 offset:1680
	v_fmac_f64_e32 v[40:41], v[32:33], v[142:143]
	v_add_f64 v[42:43], v[38:39], v[40:41]
	ds_read_b128 v[38:41], v1 offset:1696
	v_mul_f64 v[112:113], v[112:113], v[232:233]
	s_waitcnt vmcnt(50) lgkmcnt(1)
	v_mul_f64 v[44:45], v[34:35], v[168:169]
	s_waitcnt vmcnt(48)
	v_fmac_f64_e32 v[44:45], v[36:37], v[172:173]
	v_add_f64 v[46:47], v[42:43], v[44:45]
	s_waitcnt lgkmcnt(0)
	v_mul_f64 v[48:49], v[38:39], v[148:149]
	v_fmac_f64_e32 v[48:49], v[40:41], v[150:151]
	ds_read_b128 v[42:45], v1 offset:1712
	v_add_f64 v[50:51], v[46:47], v[48:49]
	ds_read_b128 v[46:49], v1 offset:1728
	buffer_load_dword v209, off, s[0:3], 0 offset:940
	buffer_load_dword v211, off, s[0:3], 0 offset:924
	;; [unrolled: 1-line block ×12, first 2 shown]
	v_fma_f64 v[252:253], v[110:111], v[234:235], -v[112:113]
	s_waitcnt vmcnt(54) lgkmcnt(1)
	v_mul_f64 v[52:53], v[42:43], v[176:177]
	s_waitcnt vmcnt(52)
	v_fmac_f64_e32 v[52:53], v[44:45], v[180:181]
	v_add_f64 v[54:55], v[50:51], v[52:53]
	ds_read_b128 v[50:53], v1 offset:1744
	s_waitcnt lgkmcnt(1)
	v_mul_f64 v[56:57], v[46:47], v[152:153]
	v_fmac_f64_e32 v[56:57], v[48:49], v[154:155]
	buffer_load_dword v223, off, s[0:3], 0 offset:972
	buffer_load_dword v222, off, s[0:3], 0 offset:968
	;; [unrolled: 1-line block ×12, first 2 shown]
	v_add_f64 v[58:59], v[54:55], v[56:57]
	ds_read_b128 v[54:57], v1 offset:1760
	s_waitcnt vmcnt(58) lgkmcnt(1)
	v_mul_f64 v[60:61], v[50:51], v[184:185]
	s_waitcnt vmcnt(56)
	v_fmac_f64_e32 v[60:61], v[52:53], v[188:189]
	v_add_f64 v[62:63], v[58:59], v[60:61]
	ds_read_b128 v[58:61], v1 offset:1776
	s_waitcnt lgkmcnt(1)
	v_mul_f64 v[64:65], v[54:55], v[156:157]
	v_fmac_f64_e32 v[64:65], v[56:57], v[158:159]
	v_add_f64 v[70:71], v[62:63], v[64:65]
	ds_read_b128 v[62:65], v1 offset:1792
	ds_read_b128 v[66:69], v1 offset:1808
	s_waitcnt vmcnt(50) lgkmcnt(2)
	v_mul_f64 v[72:73], v[58:59], v[192:193]
	s_waitcnt vmcnt(48)
	v_fmac_f64_e32 v[72:73], v[60:61], v[194:195]
	v_add_f64 v[70:71], v[70:71], v[72:73]
	s_waitcnt lgkmcnt(1)
	v_mul_f64 v[72:73], v[62:63], v[162:163]
	v_fmac_f64_e32 v[72:73], v[64:65], v[166:167]
	v_add_f64 v[70:71], v[70:71], v[72:73]
	s_waitcnt vmcnt(42) lgkmcnt(0)
	v_mul_f64 v[72:73], v[66:67], v[196:197]
	s_waitcnt vmcnt(40)
	v_fmac_f64_e32 v[72:73], v[68:69], v[198:199]
	v_add_f64 v[118:119], v[70:71], v[72:73]
	ds_read_b128 v[70:73], v1 offset:1824
	ds_read_b128 v[74:77], v1 offset:1840
	;; [unrolled: 1-line block ×5, first 2 shown]
	s_waitcnt lgkmcnt(4)
	v_mul_f64 v[84:85], v[70:71], v[170:171]
	v_fmac_f64_e32 v[84:85], v[72:73], v[174:175]
	v_add_f64 v[82:83], v[118:119], v[84:85]
	s_waitcnt vmcnt(34) lgkmcnt(3)
	v_mul_f64 v[84:85], v[74:75], v[200:201]
	s_waitcnt vmcnt(32)
	v_fmac_f64_e32 v[84:85], v[76:77], v[202:203]
	v_add_f64 v[82:83], v[82:83], v[84:85]
	v_fma_f64 v[118:119], v[86:87], v[250:251], -v[88:89]
	ds_read_b128 v[86:89], v1 offset:1888
	s_waitcnt lgkmcnt(3)
	v_mul_f64 v[84:85], v[78:79], v[178:179]
	v_fmac_f64_e32 v[84:85], v[80:81], v[182:183]
	v_add_f64 v[96:97], v[82:83], v[84:85]
	ds_read_b128 v[82:85], v1 offset:1872
	v_fma_f64 v[250:251], v[102:103], v[246:247], -v[104:105]
	ds_read_b128 v[110:113], v1 offset:1984
	v_mul_f64 v[4:5], v[4:5], v[120:121]
	v_fma_f64 v[2:3], v[2:3], v[126:127], -v[4:5]
	s_waitcnt vmcnt(26) lgkmcnt(1)
	v_mul_f64 v[94:95], v[82:83], v[204:205]
	s_waitcnt vmcnt(24)
	v_fmac_f64_e32 v[94:95], v[84:85], v[206:207]
	v_add_f64 v[94:95], v[96:97], v[94:95]
	v_mul_f64 v[96:97], v[86:87], v[186:187]
	v_fmac_f64_e32 v[96:97], v[88:89], v[190:191]
	v_add_f64 v[106:107], v[94:95], v[96:97]
	ds_read_b128 v[94:97], v1 offset:1920
	ds_read_b128 v[102:105], v1 offset:1968
	s_waitcnt vmcnt(21)
	v_mul_f64 v[108:109], v[90:91], v[210:211]
	s_waitcnt vmcnt(19)
	v_fmac_f64_e32 v[108:109], v[92:93], v[216:217]
	v_add_f64 v[106:107], v[106:107], v[108:109]
	s_waitcnt vmcnt(18) lgkmcnt(1)
	v_mul_f64 v[108:109], v[94:95], v[208:209]
	s_waitcnt vmcnt(16)
	v_fmac_f64_e32 v[108:109], v[96:97], v[214:215]
	v_add_f64 v[114:115], v[106:107], v[108:109]
	ds_read_b128 v[106:109], v1 offset:1952
	buffer_load_dword v235, off, s[0:3], 0 offset:1020
	buffer_load_dword v234, off, s[0:3], 0 offset:1016
	;; [unrolled: 1-line block ×4, first 2 shown]
	s_waitcnt vmcnt(18)
	v_mul_f64 v[116:117], v[98:99], v[212:213]
	s_waitcnt vmcnt(16)
	v_fmac_f64_e32 v[116:117], v[100:101], v[218:219]
	v_add_f64 v[114:115], v[114:115], v[116:117]
	s_waitcnt vmcnt(14) lgkmcnt(0)
	v_mul_f64 v[116:117], v[106:107], v[222:223]
	s_waitcnt vmcnt(12)
	v_fmac_f64_e32 v[116:117], v[108:109], v[224:225]
	v_add_f64 v[114:115], v[114:115], v[116:117]
	s_waitcnt vmcnt(9)
	v_mul_f64 v[116:117], v[102:103], v[228:229]
	s_waitcnt vmcnt(7)
	v_fmac_f64_e32 v[116:117], v[104:105], v[230:231]
	v_add_f64 v[114:115], v[114:115], v[116:117]
	s_waitcnt vmcnt(5)
	v_mul_f64 v[116:117], v[110:111], v[220:221]
	s_waitcnt vmcnt(4)
	v_fmac_f64_e32 v[116:117], v[112:113], v[226:227]
	v_add_f64 v[232:233], v[114:115], v[116:117]
	ds_read_b128 v[114:117], v1 offset:2000
	buffer_load_dword v248, off, s[0:3], 0 offset:432
	buffer_load_dword v249, off, s[0:3], 0 offset:436
	buffer_load_dword v246, off, s[0:3], 0 offset:440
	buffer_load_dword v247, off, s[0:3], 0 offset:444
	s_waitcnt vmcnt(6) lgkmcnt(0)
	v_mul_f64 v[0:1], v[114:115], v[234:235]
	s_waitcnt vmcnt(4)
	v_fmac_f64_e32 v[0:1], v[116:117], v[244:245]
	v_add_f64 v[232:233], v[232:233], v[0:1]
	v_add_f64 v[0:1], v[236:237], 0
	;; [unrolled: 1-line block ×9, first 2 shown]
	v_mul_f64 v[2:3], v[8:9], v[122:123]
	v_fma_f64 v[2:3], v[6:7], v[124:125], -v[2:3]
	v_add_f64 v[0:1], v[0:1], v[2:3]
	v_mul_f64 v[2:3], v[12:13], v[132:133]
	v_fma_f64 v[2:3], v[10:11], v[134:135], -v[2:3]
	v_add_f64 v[0:1], v[0:1], v[2:3]
	v_mul_f64 v[2:3], v[16:17], v[128:129]
	v_fma_f64 v[2:3], v[14:15], v[130:131], -v[2:3]
	v_add_f64 v[0:1], v[0:1], v[2:3]
	v_mul_f64 v[2:3], v[20:21], v[144:145]
	v_fma_f64 v[2:3], v[18:19], v[146:147], -v[2:3]
	v_add_f64 v[0:1], v[0:1], v[2:3]
	v_mul_f64 v[2:3], v[24:25], v[136:137]
	v_fma_f64 v[2:3], v[22:23], v[138:139], -v[2:3]
	v_add_f64 v[0:1], v[0:1], v[2:3]
	v_mul_f64 v[2:3], v[28:29], v[160:161]
	v_fma_f64 v[2:3], v[26:27], v[164:165], -v[2:3]
	v_add_f64 v[0:1], v[0:1], v[2:3]
	v_mul_f64 v[2:3], v[32:33], v[140:141]
	v_fma_f64 v[2:3], v[30:31], v[142:143], -v[2:3]
	v_add_f64 v[0:1], v[0:1], v[2:3]
	v_mul_f64 v[2:3], v[36:37], v[168:169]
	v_fma_f64 v[2:3], v[34:35], v[172:173], -v[2:3]
	v_add_f64 v[0:1], v[0:1], v[2:3]
	v_mul_f64 v[2:3], v[40:41], v[148:149]
	v_fma_f64 v[2:3], v[38:39], v[150:151], -v[2:3]
	v_add_f64 v[0:1], v[0:1], v[2:3]
	v_mul_f64 v[2:3], v[44:45], v[176:177]
	v_fma_f64 v[2:3], v[42:43], v[180:181], -v[2:3]
	v_add_f64 v[0:1], v[0:1], v[2:3]
	v_mul_f64 v[2:3], v[48:49], v[152:153]
	v_fma_f64 v[2:3], v[46:47], v[154:155], -v[2:3]
	v_add_f64 v[0:1], v[0:1], v[2:3]
	v_mul_f64 v[2:3], v[52:53], v[184:185]
	v_fma_f64 v[2:3], v[50:51], v[188:189], -v[2:3]
	v_add_f64 v[0:1], v[0:1], v[2:3]
	v_mul_f64 v[2:3], v[56:57], v[156:157]
	v_fma_f64 v[2:3], v[54:55], v[158:159], -v[2:3]
	v_add_f64 v[0:1], v[0:1], v[2:3]
	v_mul_f64 v[2:3], v[60:61], v[192:193]
	v_fma_f64 v[2:3], v[58:59], v[194:195], -v[2:3]
	v_add_f64 v[0:1], v[0:1], v[2:3]
	v_mul_f64 v[2:3], v[64:65], v[162:163]
	v_fma_f64 v[2:3], v[62:63], v[166:167], -v[2:3]
	v_add_f64 v[0:1], v[0:1], v[2:3]
	v_mul_f64 v[2:3], v[68:69], v[196:197]
	v_fma_f64 v[2:3], v[66:67], v[198:199], -v[2:3]
	v_add_f64 v[0:1], v[0:1], v[2:3]
	v_mul_f64 v[2:3], v[72:73], v[170:171]
	v_fma_f64 v[2:3], v[70:71], v[174:175], -v[2:3]
	v_add_f64 v[0:1], v[0:1], v[2:3]
	v_mul_f64 v[2:3], v[76:77], v[200:201]
	v_fma_f64 v[2:3], v[74:75], v[202:203], -v[2:3]
	v_add_f64 v[0:1], v[0:1], v[2:3]
	v_mul_f64 v[2:3], v[80:81], v[178:179]
	v_fma_f64 v[2:3], v[78:79], v[182:183], -v[2:3]
	v_add_f64 v[0:1], v[0:1], v[2:3]
	v_mul_f64 v[2:3], v[84:85], v[204:205]
	v_fma_f64 v[2:3], v[82:83], v[206:207], -v[2:3]
	v_add_f64 v[0:1], v[0:1], v[2:3]
	v_mul_f64 v[2:3], v[88:89], v[186:187]
	v_fma_f64 v[2:3], v[86:87], v[190:191], -v[2:3]
	v_add_f64 v[0:1], v[0:1], v[2:3]
	v_mul_f64 v[2:3], v[92:93], v[210:211]
	v_fma_f64 v[2:3], v[90:91], v[216:217], -v[2:3]
	v_add_f64 v[0:1], v[0:1], v[2:3]
	v_mul_f64 v[2:3], v[96:97], v[208:209]
	v_fma_f64 v[2:3], v[94:95], v[214:215], -v[2:3]
	v_add_f64 v[0:1], v[0:1], v[2:3]
	v_mul_f64 v[2:3], v[100:101], v[212:213]
	v_fma_f64 v[2:3], v[98:99], v[218:219], -v[2:3]
	v_add_f64 v[0:1], v[0:1], v[2:3]
	v_mul_f64 v[2:3], v[108:109], v[222:223]
	v_fma_f64 v[2:3], v[106:107], v[224:225], -v[2:3]
	v_add_f64 v[0:1], v[0:1], v[2:3]
	v_mul_f64 v[2:3], v[104:105], v[228:229]
	v_fma_f64 v[2:3], v[102:103], v[230:231], -v[2:3]
	v_add_f64 v[0:1], v[0:1], v[2:3]
	v_mul_f64 v[2:3], v[112:113], v[220:221]
	v_fma_f64 v[2:3], v[110:111], v[226:227], -v[2:3]
	v_add_f64 v[0:1], v[0:1], v[2:3]
	v_mul_f64 v[2:3], v[116:117], v[234:235]
	v_fma_f64 v[2:3], v[114:115], v[244:245], -v[2:3]
	v_add_f64 v[0:1], v[0:1], v[2:3]
	s_waitcnt vmcnt(2)
	v_add_f64 v[0:1], v[248:249], -v[0:1]
	s_waitcnt vmcnt(0)
	v_add_f64 v[2:3], v[246:247], -v[232:233]
	buffer_store_dword v1, off, s[0:3], 0 offset:436
	buffer_store_dword v0, off, s[0:3], 0 offset:432
	;; [unrolled: 1-line block ×4, first 2 shown]
	v_accvgpr_read_b32 v0, a188
	v_cmp_lt_u32_e32 vcc, 25, v0
	s_and_saveexec_b64 s[4:5], vcc
	s_cbranch_execz .LBB62_353
; %bb.352:
	v_accvgpr_read_b32 v0, a163
	buffer_load_dword v2, v0, s[0:3], 0 offen
	buffer_load_dword v3, v0, s[0:3], 0 offen offset:4
	buffer_load_dword v4, v0, s[0:3], 0 offen offset:8
	;; [unrolled: 1-line block ×3, first 2 shown]
	v_mov_b32_e32 v0, 0
	v_accvgpr_read_b32 v1, a189
	buffer_store_dword v0, off, s[0:3], 0 offset:416
	buffer_store_dword v0, off, s[0:3], 0 offset:420
	buffer_store_dword v0, off, s[0:3], 0 offset:424
	buffer_store_dword v0, off, s[0:3], 0 offset:428
	s_waitcnt vmcnt(4)
	ds_write_b128 v1, v[2:5]
.LBB62_353:
	s_or_b64 exec, exec, s[4:5]
	s_waitcnt lgkmcnt(0)
	; wave barrier
	s_waitcnt lgkmcnt(0)
	buffer_load_dword v66, off, s[0:3], 0 offset:432
	buffer_load_dword v67, off, s[0:3], 0 offset:436
	;; [unrolled: 1-line block ×55, first 2 shown]
	v_mov_b32_e32 v1, 0
	ds_read_b128 v[74:77], v1 offset:1424
	ds_read_b128 v[86:89], v1 offset:1440
	ds_read_b128 v[98:101], v1 offset:1456
	ds_read_b128 v[110:113], v1 offset:1472
	ds_read_b128 v[114:117], v1 offset:1488
	ds_read_b128 v[232:235], v1 offset:1504
	ds_read_b128 v[236:239], v1 offset:1520
	ds_read_b128 v[240:243], v1 offset:1536
	ds_read_b128 v[2:5], v1 offset:1552
	buffer_load_dword v138, off, s[0:3], 0 offset:656
	buffer_load_dword v157, off, s[0:3], 0 offset:652
	;; [unrolled: 1-line block ×61, first 2 shown]
	v_accvgpr_read_b32 v0, a188
	v_cmp_lt_u32_e32 vcc, 24, v0
	s_waitcnt vmcnt(62) lgkmcnt(8)
	v_mul_f64 v[6:7], v[74:75], v[68:69]
	v_fmac_f64_e32 v[6:7], v[76:77], v[66:67]
	v_add_f64 v[6:7], v[6:7], 0
	v_mul_f64 v[68:69], v[76:77], v[68:69]
	s_waitcnt lgkmcnt(7)
	v_mul_f64 v[8:9], v[86:87], v[72:73]
	v_fmac_f64_e32 v[8:9], v[88:89], v[70:71]
	s_waitcnt lgkmcnt(6)
	v_mul_f64 v[10:11], v[98:99], v[78:79]
	v_add_f64 v[6:7], v[6:7], v[8:9]
	s_waitcnt lgkmcnt(4)
	v_mul_f64 v[14:15], v[114:115], v[90:91]
	v_fma_f64 v[246:247], v[74:75], v[66:67], -v[68:69]
	v_fmac_f64_e32 v[14:15], v[116:117], v[92:93]
	v_mul_f64 v[72:73], v[88:89], v[72:73]
	v_mul_f64 v[12:13], v[110:111], v[82:83]
	;; [unrolled: 1-line block ×3, first 2 shown]
	s_waitcnt lgkmcnt(2)
	v_mul_f64 v[18:19], v[236:237], v[102:103]
	v_mul_f64 v[82:83], v[112:113], v[82:83]
	;; [unrolled: 1-line block ×4, first 2 shown]
	v_fma_f64 v[254:255], v[114:115], v[92:93], -v[90:91]
	s_waitcnt lgkmcnt(1)
	v_mul_f64 v[20:21], v[240:241], v[106:107]
	v_fmac_f64_e32 v[20:21], v[242:243], v[108:109]
	v_fmac_f64_e32 v[10:11], v[100:101], v[80:81]
	v_add_f64 v[6:7], v[6:7], v[10:11]
	v_fmac_f64_e32 v[12:13], v[112:113], v[84:85]
	v_add_f64 v[6:7], v[6:7], v[12:13]
	;; [unrolled: 2-line block ×4, first 2 shown]
	v_add_f64 v[6:7], v[6:7], v[18:19]
	v_add_f64 v[10:11], v[6:7], v[20:21]
	ds_read_b128 v[6:9], v1 offset:1568
	s_waitcnt lgkmcnt(1)
	v_mul_f64 v[12:13], v[2:3], v[120:121]
	v_fmac_f64_e32 v[12:13], v[4:5], v[122:123]
	v_add_f64 v[14:15], v[10:11], v[12:13]
	ds_read_b128 v[10:13], v1 offset:1584
	s_waitcnt lgkmcnt(1)
	v_mul_f64 v[16:17], v[6:7], v[128:129]
	v_fmac_f64_e32 v[16:17], v[8:9], v[130:131]
	;; [unrolled: 5-line block ×5, first 2 shown]
	v_add_f64 v[30:31], v[26:27], v[28:29]
	ds_read_b128 v[26:29], v1 offset:1648
	s_waitcnt vmcnt(58) lgkmcnt(1)
	v_mul_f64 v[32:33], v[22:23], v[156:157]
	s_waitcnt vmcnt(56)
	v_fmac_f64_e32 v[32:33], v[24:25], v[160:161]
	v_add_f64 v[34:35], v[30:31], v[32:33]
	ds_read_b128 v[30:33], v1 offset:1664
	s_waitcnt lgkmcnt(1)
	v_mul_f64 v[36:37], v[26:27], v[136:137]
	v_fmac_f64_e32 v[36:37], v[28:29], v[138:139]
	v_add_f64 v[38:39], v[34:35], v[36:37]
	ds_read_b128 v[34:37], v1 offset:1680
	s_waitcnt vmcnt(50) lgkmcnt(1)
	v_mul_f64 v[40:41], v[30:31], v[164:165]
	s_waitcnt vmcnt(48)
	v_fmac_f64_e32 v[40:41], v[32:33], v[168:169]
	v_add_f64 v[42:43], v[38:39], v[40:41]
	ds_read_b128 v[38:41], v1 offset:1696
	s_waitcnt lgkmcnt(1)
	v_mul_f64 v[44:45], v[34:35], v[144:145]
	v_fmac_f64_e32 v[44:45], v[36:37], v[146:147]
	v_add_f64 v[46:47], v[42:43], v[44:45]
	ds_read_b128 v[42:45], v1 offset:1712
	s_waitcnt vmcnt(42) lgkmcnt(1)
	v_mul_f64 v[48:49], v[38:39], v[172:173]
	s_waitcnt vmcnt(40)
	v_fmac_f64_e32 v[48:49], v[40:41], v[176:177]
	v_add_f64 v[50:51], v[46:47], v[48:49]
	ds_read_b128 v[46:49], v1 offset:1728
	buffer_load_dword v205, off, s[0:3], 0 offset:908
	buffer_load_dword v204, off, s[0:3], 0 offset:904
	buffer_load_dword v207, off, s[0:3], 0 offset:900
	buffer_load_dword v206, off, s[0:3], 0 offset:896
	s_waitcnt lgkmcnt(1)
	v_mul_f64 v[52:53], v[42:43], v[148:149]
	v_fmac_f64_e32 v[52:53], v[44:45], v[150:151]
	v_add_f64 v[54:55], v[50:51], v[52:53]
	ds_read_b128 v[50:53], v1 offset:1744
	buffer_load_dword v209, off, s[0:3], 0 offset:924
	buffer_load_dword v208, off, s[0:3], 0 offset:920
	;; [unrolled: 1-line block ×8, first 2 shown]
	s_waitcnt vmcnt(46) lgkmcnt(1)
	v_mul_f64 v[56:57], v[46:47], v[180:181]
	s_waitcnt vmcnt(44)
	v_fmac_f64_e32 v[56:57], v[48:49], v[184:185]
	v_add_f64 v[58:59], v[54:55], v[56:57]
	ds_read_b128 v[54:57], v1 offset:1760
	buffer_load_dword v219, off, s[0:3], 0 offset:956
	buffer_load_dword v218, off, s[0:3], 0 offset:952
	;; [unrolled: 1-line block ×12, first 2 shown]
	s_waitcnt lgkmcnt(1)
	v_mul_f64 v[60:61], v[50:51], v[152:153]
	v_fmac_f64_e32 v[60:61], v[52:53], v[154:155]
	v_add_f64 v[62:63], v[58:59], v[60:61]
	ds_read_b128 v[58:61], v1 offset:1776
	s_waitcnt vmcnt(50) lgkmcnt(1)
	v_mul_f64 v[64:65], v[54:55], v[188:189]
	s_waitcnt vmcnt(48)
	v_fmac_f64_e32 v[64:65], v[56:57], v[190:191]
	v_add_f64 v[62:63], v[62:63], v[64:65]
	buffer_load_dword v229, off, s[0:3], 0 offset:1004
	buffer_load_dword v228, off, s[0:3], 0 offset:1000
	;; [unrolled: 1-line block ×4, first 2 shown]
	s_waitcnt lgkmcnt(0)
	v_mul_f64 v[64:65], v[58:59], v[158:159]
	v_fmac_f64_e32 v[64:65], v[60:61], v[162:163]
	v_add_f64 v[118:119], v[62:63], v[64:65]
	ds_read_b128 v[62:65], v1 offset:1792
	ds_read_b128 v[66:69], v1 offset:1808
	v_fma_f64 v[248:249], v[98:99], v[80:81], -v[78:79]
	ds_read_b128 v[78:81], v1 offset:1856
	v_fma_f64 v[252:253], v[110:111], v[84:85], -v[82:83]
	ds_read_b128 v[82:85], v1 offset:1872
	s_waitcnt vmcnt(46) lgkmcnt(3)
	v_mul_f64 v[74:75], v[62:63], v[192:193]
	s_waitcnt vmcnt(44)
	v_fmac_f64_e32 v[74:75], v[64:65], v[194:195]
	v_add_f64 v[74:75], v[118:119], v[74:75]
	v_fma_f64 v[118:119], v[86:87], v[70:71], -v[72:73]
	ds_read_b128 v[70:73], v1 offset:1824
	s_waitcnt lgkmcnt(3)
	v_mul_f64 v[76:77], v[66:67], v[166:167]
	v_fmac_f64_e32 v[76:77], v[68:69], v[170:171]
	v_add_f64 v[86:87], v[74:75], v[76:77]
	ds_read_b128 v[74:77], v1 offset:1840
	s_waitcnt vmcnt(38) lgkmcnt(1)
	v_mul_f64 v[88:89], v[70:71], v[196:197]
	s_waitcnt vmcnt(36)
	v_fmac_f64_e32 v[88:89], v[72:73], v[198:199]
	v_add_f64 v[86:87], v[86:87], v[88:89]
	ds_read_b128 v[90:93], v1 offset:1904
	s_waitcnt lgkmcnt(1)
	v_mul_f64 v[88:89], v[74:75], v[174:175]
	v_fmac_f64_e32 v[88:89], v[76:77], v[178:179]
	v_add_f64 v[86:87], v[86:87], v[88:89]
	s_waitcnt vmcnt(30)
	v_mul_f64 v[88:89], v[78:79], v[200:201]
	s_waitcnt vmcnt(28)
	v_fmac_f64_e32 v[88:89], v[80:81], v[202:203]
	v_add_f64 v[86:87], v[86:87], v[88:89]
	v_mul_f64 v[88:89], v[82:83], v[182:183]
	v_fmac_f64_e32 v[88:89], v[84:85], v[186:187]
	v_add_f64 v[98:99], v[86:87], v[88:89]
	ds_read_b128 v[86:89], v1 offset:1888
	v_mul_f64 v[94:95], v[234:235], v[94:95]
	v_fma_f64 v[232:233], v[232:233], v[96:97], -v[94:95]
	ds_read_b128 v[94:97], v1 offset:1920
	v_mul_f64 v[102:103], v[238:239], v[102:103]
	v_fma_f64 v[238:239], v[236:237], v[104:105], -v[102:103]
	;; [unrolled: 3-line block ×3, first 2 shown]
	v_mul_f64 v[4:5], v[4:5], v[120:121]
	v_fma_f64 v[2:3], v[2:3], v[122:123], -v[4:5]
	v_mul_f64 v[4:5], v[8:9], v[128:129]
	v_fma_f64 v[4:5], v[6:7], v[130:131], -v[4:5]
	ds_read_b128 v[106:109], v1 offset:1968
	s_waitcnt vmcnt(26) lgkmcnt(3)
	v_mul_f64 v[100:101], v[86:87], v[204:205]
	s_waitcnt vmcnt(24)
	v_fmac_f64_e32 v[100:101], v[88:89], v[206:207]
	v_add_f64 v[98:99], v[98:99], v[100:101]
	s_waitcnt vmcnt(22)
	v_mul_f64 v[100:101], v[90:91], v[208:209]
	s_waitcnt vmcnt(20)
	v_fmac_f64_e32 v[100:101], v[92:93], v[212:213]
	v_add_f64 v[98:99], v[98:99], v[100:101]
	s_waitcnt vmcnt(18) lgkmcnt(2)
	v_mul_f64 v[100:101], v[94:95], v[210:211]
	s_waitcnt vmcnt(16)
	v_fmac_f64_e32 v[100:101], v[96:97], v[214:215]
	v_add_f64 v[110:111], v[98:99], v[100:101]
	ds_read_b128 v[98:101], v1 offset:1936
	s_waitcnt vmcnt(14) lgkmcnt(0)
	v_mul_f64 v[112:113], v[98:99], v[218:219]
	s_waitcnt vmcnt(12)
	v_fmac_f64_e32 v[112:113], v[100:101], v[220:221]
	v_add_f64 v[110:111], v[110:111], v[112:113]
	s_waitcnt vmcnt(9)
	v_mul_f64 v[112:113], v[102:103], v[224:225]
	s_waitcnt vmcnt(7)
	v_fmac_f64_e32 v[112:113], v[104:105], v[226:227]
	v_add_f64 v[110:111], v[110:111], v[112:113]
	s_waitcnt vmcnt(5)
	v_mul_f64 v[112:113], v[106:107], v[216:217]
	s_waitcnt vmcnt(4)
	v_fmac_f64_e32 v[112:113], v[108:109], v[222:223]
	v_add_f64 v[114:115], v[110:111], v[112:113]
	ds_read_b128 v[110:113], v1 offset:1984
	buffer_load_dword v234, off, s[0:3], 0 offset:1016
	buffer_load_dword v235, off, s[0:3], 0 offset:1020
	;; [unrolled: 1-line block ×4, first 2 shown]
	s_waitcnt vmcnt(6) lgkmcnt(0)
	v_mul_f64 v[116:117], v[110:111], v[228:229]
	s_waitcnt vmcnt(4)
	v_fmac_f64_e32 v[116:117], v[112:113], v[230:231]
	v_add_f64 v[236:237], v[114:115], v[116:117]
	ds_read_b128 v[114:117], v1 offset:2000
	s_waitcnt vmcnt(2) lgkmcnt(0)
	v_mul_f64 v[240:241], v[114:115], v[234:235]
	s_waitcnt vmcnt(0)
	v_fmac_f64_e32 v[240:241], v[116:117], v[244:245]
	v_add_f64 v[236:237], v[236:237], v[240:241]
	v_add_f64 v[240:241], v[246:247], 0
	v_add_f64 v[118:119], v[240:241], v[118:119]
	v_add_f64 v[118:119], v[118:119], v[248:249]
	buffer_load_dword v248, off, s[0:3], 0 offset:416
	buffer_load_dword v249, off, s[0:3], 0 offset:420
	;; [unrolled: 1-line block ×4, first 2 shown]
	v_add_f64 v[118:119], v[118:119], v[252:253]
	v_add_f64 v[118:119], v[118:119], v[254:255]
	;; [unrolled: 1-line block ×7, first 2 shown]
	v_mul_f64 v[4:5], v[12:13], v[124:125]
	v_fma_f64 v[4:5], v[10:11], v[126:127], -v[4:5]
	v_add_f64 v[2:3], v[2:3], v[4:5]
	v_mul_f64 v[4:5], v[16:17], v[140:141]
	v_fma_f64 v[4:5], v[14:15], v[142:143], -v[4:5]
	v_add_f64 v[2:3], v[2:3], v[4:5]
	;; [unrolled: 3-line block ×27, first 2 shown]
	s_waitcnt vmcnt(2)
	v_add_f64 v[2:3], v[248:249], -v[2:3]
	s_waitcnt vmcnt(0)
	v_add_f64 v[4:5], v[246:247], -v[236:237]
	buffer_store_dword v3, off, s[0:3], 0 offset:420
	buffer_store_dword v2, off, s[0:3], 0 offset:416
	buffer_store_dword v5, off, s[0:3], 0 offset:428
	buffer_store_dword v4, off, s[0:3], 0 offset:424
	s_and_saveexec_b64 s[4:5], vcc
	s_cbranch_execz .LBB62_355
; %bb.354:
	v_accvgpr_read_b32 v0, a164
	buffer_load_dword v2, v0, s[0:3], 0 offen
	buffer_load_dword v3, v0, s[0:3], 0 offen offset:4
	buffer_load_dword v4, v0, s[0:3], 0 offen offset:8
	;; [unrolled: 1-line block ×3, first 2 shown]
	v_accvgpr_read_b32 v0, a189
	buffer_store_dword v1, off, s[0:3], 0 offset:400
	buffer_store_dword v1, off, s[0:3], 0 offset:404
	;; [unrolled: 1-line block ×4, first 2 shown]
	s_waitcnt vmcnt(4)
	ds_write_b128 v0, v[2:5]
.LBB62_355:
	s_or_b64 exec, exec, s[4:5]
	s_waitcnt lgkmcnt(0)
	; wave barrier
	s_waitcnt lgkmcnt(0)
	buffer_load_dword v66, off, s[0:3], 0 offset:416
	buffer_load_dword v67, off, s[0:3], 0 offset:420
	;; [unrolled: 1-line block ×42, first 2 shown]
	ds_read_b128 v[78:81], v1 offset:1408
	ds_read_b128 v[90:93], v1 offset:1424
	;; [unrolled: 1-line block ×10, first 2 shown]
	buffer_load_dword v131, off, s[0:3], 0 offset:564
	buffer_load_dword v130, off, s[0:3], 0 offset:560
	ds_read_b128 v[6:9], v1 offset:1568
	buffer_load_dword v127, off, s[0:3], 0 offset:620
	buffer_load_dword v126, off, s[0:3], 0 offset:616
	;; [unrolled: 1-line block ×80, first 2 shown]
	s_waitcnt vmcnt(62) lgkmcnt(10)
	v_mul_f64 v[10:11], v[78:79], v[68:69]
	v_fmac_f64_e32 v[10:11], v[80:81], v[66:67]
	v_add_f64 v[10:11], v[10:11], 0
	v_mul_f64 v[68:69], v[80:81], v[68:69]
	s_waitcnt lgkmcnt(9)
	v_mul_f64 v[12:13], v[90:91], v[64:65]
	v_fmac_f64_e32 v[12:13], v[92:93], v[62:63]
	s_waitcnt lgkmcnt(8)
	v_mul_f64 v[14:15], v[102:103], v[70:71]
	v_add_f64 v[10:11], v[10:11], v[12:13]
	s_waitcnt lgkmcnt(6)
	v_mul_f64 v[18:19], v[114:115], v[82:83]
	v_mul_f64 v[64:65], v[92:93], v[64:65]
	v_fmac_f64_e32 v[18:19], v[116:117], v[84:85]
	v_fma_f64 v[254:255], v[90:91], v[62:63], -v[64:65]
	v_mul_f64 v[16:17], v[110:111], v[74:75]
	v_fma_f64 v[248:249], v[78:79], v[66:67], -v[68:69]
	s_waitcnt lgkmcnt(4)
	v_mul_f64 v[22:23], v[236:237], v[94:95]
	v_mul_f64 v[70:71], v[104:105], v[70:71]
	v_fmac_f64_e32 v[22:23], v[238:239], v[96:97]
	v_mul_f64 v[74:75], v[112:113], v[74:75]
	v_mul_f64 v[20:21], v[232:233], v[86:87]
	;; [unrolled: 1-line block ×3, first 2 shown]
	s_waitcnt lgkmcnt(2)
	v_mul_f64 v[26:27], v[244:245], v[106:107]
	v_fma_f64 v[252:253], v[114:115], v[84:85], -v[82:83]
	v_mul_f64 v[86:87], v[234:235], v[86:87]
	v_mul_f64 v[24:25], v[240:241], v[98:99]
	;; [unrolled: 1-line block ×3, first 2 shown]
	s_waitcnt lgkmcnt(1)
	v_mul_f64 v[28:29], v[2:3], v[120:121]
	v_fma_f64 v[236:237], v[236:237], v[96:97], -v[94:95]
	v_fmac_f64_e32 v[14:15], v[104:105], v[72:73]
	v_add_f64 v[10:11], v[10:11], v[14:15]
	v_fmac_f64_e32 v[16:17], v[112:113], v[76:77]
	v_add_f64 v[10:11], v[10:11], v[16:17]
	;; [unrolled: 2-line block ×3, first 2 shown]
	v_add_f64 v[10:11], v[10:11], v[20:21]
	v_fmac_f64_e32 v[24:25], v[242:243], v[100:101]
	v_add_f64 v[10:11], v[10:11], v[22:23]
	v_fmac_f64_e32 v[26:27], v[246:247], v[108:109]
	v_add_f64 v[10:11], v[10:11], v[24:25]
	v_add_f64 v[10:11], v[10:11], v[26:27]
	s_waitcnt lgkmcnt(0)
	v_mul_f64 v[16:17], v[6:7], v[122:123]
	v_fmac_f64_e32 v[28:29], v[4:5], v[130:131]
	v_add_f64 v[14:15], v[10:11], v[28:29]
	ds_read_b128 v[10:13], v1 offset:1584
	v_fmac_f64_e32 v[16:17], v[8:9], v[124:125]
	v_add_f64 v[18:19], v[14:15], v[16:17]
	ds_read_b128 v[14:17], v1 offset:1600
	v_fma_f64 v[250:251], v[110:111], v[76:77], -v[74:75]
	s_waitcnt lgkmcnt(1)
	v_mul_f64 v[20:21], v[10:11], v[132:133]
	v_fmac_f64_e32 v[20:21], v[12:13], v[148:149]
	v_add_f64 v[22:23], v[18:19], v[20:21]
	ds_read_b128 v[18:21], v1 offset:1616
	s_waitcnt lgkmcnt(1)
	v_mul_f64 v[24:25], v[14:15], v[126:127]
	v_fmac_f64_e32 v[24:25], v[16:17], v[128:129]
	v_add_f64 v[26:27], v[22:23], v[24:25]
	ds_read_b128 v[22:25], v1 offset:1632
	;; [unrolled: 5-line block ×4, first 2 shown]
	s_waitcnt vmcnt(58) lgkmcnt(1)
	v_mul_f64 v[36:37], v[26:27], v[160:161]
	s_waitcnt vmcnt(56)
	v_fmac_f64_e32 v[36:37], v[28:29], v[164:165]
	v_add_f64 v[38:39], v[34:35], v[36:37]
	ds_read_b128 v[34:37], v1 offset:1680
	s_waitcnt lgkmcnt(1)
	v_mul_f64 v[40:41], v[30:31], v[138:139]
	v_fmac_f64_e32 v[40:41], v[32:33], v[140:141]
	v_add_f64 v[42:43], v[38:39], v[40:41]
	ds_read_b128 v[38:41], v1 offset:1696
	s_waitcnt vmcnt(50) lgkmcnt(1)
	v_mul_f64 v[44:45], v[34:35], v[168:169]
	s_waitcnt vmcnt(48)
	v_fmac_f64_e32 v[44:45], v[36:37], v[172:173]
	v_add_f64 v[46:47], v[42:43], v[44:45]
	ds_read_b128 v[42:45], v1 offset:1712
	s_waitcnt lgkmcnt(1)
	v_mul_f64 v[48:49], v[38:39], v[142:143]
	v_fmac_f64_e32 v[48:49], v[40:41], v[144:145]
	v_add_f64 v[50:51], v[46:47], v[48:49]
	ds_read_b128 v[46:49], v1 offset:1728
	s_waitcnt vmcnt(42) lgkmcnt(1)
	v_mul_f64 v[52:53], v[42:43], v[176:177]
	s_waitcnt vmcnt(40)
	v_fmac_f64_e32 v[52:53], v[44:45], v[180:181]
	v_add_f64 v[54:55], v[50:51], v[52:53]
	ds_read_b128 v[50:53], v1 offset:1744
	s_waitcnt lgkmcnt(1)
	v_mul_f64 v[56:57], v[46:47], v[146:147]
	buffer_load_dword v209, off, s[0:3], 0 offset:924
	buffer_load_dword v208, off, s[0:3], 0 offset:920
	buffer_load_dword v211, off, s[0:3], 0 offset:916
	buffer_load_dword v210, off, s[0:3], 0 offset:912
	v_fmac_f64_e32 v[56:57], v[48:49], v[150:151]
	v_add_f64 v[58:59], v[54:55], v[56:57]
	ds_read_b128 v[54:57], v1 offset:1760
	buffer_load_dword v214, off, s[0:3], 0 offset:936
	buffer_load_dword v216, off, s[0:3], 0 offset:928
	;; [unrolled: 1-line block ×16, first 2 shown]
	s_waitcnt vmcnt(54) lgkmcnt(1)
	v_mul_f64 v[60:61], v[50:51], v[184:185]
	s_waitcnt vmcnt(52)
	v_fmac_f64_e32 v[60:61], v[52:53], v[188:189]
	v_add_f64 v[118:119], v[58:59], v[60:61]
	ds_read_b128 v[58:61], v1 offset:1776
	buffer_load_dword v228, off, s[0:3], 0 offset:1000
	buffer_load_dword v230, off, s[0:3], 0 offset:992
	;; [unrolled: 1-line block ×4, first 2 shown]
	ds_read_b128 v[62:65], v1 offset:1792
	s_waitcnt lgkmcnt(2)
	v_mul_f64 v[66:67], v[54:55], v[154:155]
	v_fmac_f64_e32 v[66:67], v[56:57], v[158:159]
	s_waitcnt vmcnt(50) lgkmcnt(1)
	v_mul_f64 v[68:69], v[58:59], v[192:193]
	v_add_f64 v[66:67], v[118:119], v[66:67]
	s_waitcnt vmcnt(48)
	v_fmac_f64_e32 v[68:69], v[60:61], v[194:195]
	v_add_f64 v[66:67], v[66:67], v[68:69]
	v_fma_f64 v[118:119], v[102:103], v[72:73], -v[70:71]
	ds_read_b128 v[70:73], v1 offset:1824
	s_waitcnt lgkmcnt(1)
	v_mul_f64 v[68:69], v[62:63], v[162:163]
	v_fmac_f64_e32 v[68:69], v[64:65], v[166:167]
	v_add_f64 v[78:79], v[66:67], v[68:69]
	ds_read_b128 v[66:69], v1 offset:1808
	ds_read_b128 v[74:77], v1 offset:1840
	;; [unrolled: 1-line block ×3, first 2 shown]
	v_fma_f64 v[232:233], v[232:233], v[88:89], -v[86:87]
	ds_read_b128 v[86:89], v1 offset:1888
	ds_read_b128 v[94:97], v1 offset:1920
	s_waitcnt vmcnt(42) lgkmcnt(4)
	v_mul_f64 v[80:81], v[66:67], v[196:197]
	s_waitcnt vmcnt(40)
	v_fmac_f64_e32 v[80:81], v[68:69], v[198:199]
	v_add_f64 v[78:79], v[78:79], v[80:81]
	v_mul_f64 v[80:81], v[70:71], v[170:171]
	v_fmac_f64_e32 v[80:81], v[72:73], v[174:175]
	v_add_f64 v[90:91], v[78:79], v[80:81]
	ds_read_b128 v[78:81], v1 offset:1856
	s_waitcnt vmcnt(34) lgkmcnt(4)
	v_mul_f64 v[92:93], v[74:75], v[200:201]
	s_waitcnt vmcnt(32)
	v_fmac_f64_e32 v[92:93], v[76:77], v[202:203]
	v_add_f64 v[90:91], v[90:91], v[92:93]
	v_mul_f64 v[98:99], v[242:243], v[98:99]
	s_waitcnt lgkmcnt(0)
	v_mul_f64 v[92:93], v[78:79], v[178:179]
	v_fmac_f64_e32 v[92:93], v[80:81], v[182:183]
	v_add_f64 v[90:91], v[90:91], v[92:93]
	s_waitcnt vmcnt(26)
	v_mul_f64 v[92:93], v[82:83], v[204:205]
	s_waitcnt vmcnt(24)
	v_fmac_f64_e32 v[92:93], v[84:85], v[206:207]
	v_add_f64 v[90:91], v[90:91], v[92:93]
	v_mul_f64 v[92:93], v[86:87], v[186:187]
	v_fmac_f64_e32 v[92:93], v[88:89], v[190:191]
	v_add_f64 v[102:103], v[90:91], v[92:93]
	ds_read_b128 v[90:93], v1 offset:1904
	v_fma_f64 v[240:241], v[240:241], v[100:101], -v[98:99]
	ds_read_b128 v[98:101], v1 offset:1936
	v_mul_f64 v[106:107], v[246:247], v[106:107]
	v_fma_f64 v[238:239], v[244:245], v[108:109], -v[106:107]
	v_mul_f64 v[4:5], v[4:5], v[120:121]
	v_fma_f64 v[2:3], v[2:3], v[130:131], -v[4:5]
	;; [unrolled: 2-line block ×3, first 2 shown]
	ds_read_b128 v[106:109], v1 offset:1968
	s_waitcnt vmcnt(13) lgkmcnt(1)
	v_mul_f64 v[112:113], v[98:99], v[218:219]
	v_mul_f64 v[104:105], v[90:91], v[208:209]
	s_waitcnt vmcnt(11)
	v_fmac_f64_e32 v[112:113], v[100:101], v[224:225]
	v_fmac_f64_e32 v[104:105], v[92:93], v[210:211]
	v_add_f64 v[102:103], v[102:103], v[104:105]
	v_mul_f64 v[104:105], v[94:95], v[214:215]
	v_fmac_f64_e32 v[104:105], v[96:97], v[216:217]
	v_add_f64 v[110:111], v[102:103], v[104:105]
	ds_read_b128 v[102:105], v1 offset:1952
	v_add_f64 v[110:111], v[110:111], v[112:113]
	s_waitcnt vmcnt(10) lgkmcnt(0)
	v_mul_f64 v[112:113], v[102:103], v[212:213]
	s_waitcnt vmcnt(8)
	v_fmac_f64_e32 v[112:113], v[104:105], v[222:223]
	v_add_f64 v[110:111], v[110:111], v[112:113]
	s_waitcnt vmcnt(6)
	v_mul_f64 v[112:113], v[106:107], v[220:221]
	s_waitcnt vmcnt(4)
	v_fmac_f64_e32 v[112:113], v[108:109], v[226:227]
	v_add_f64 v[114:115], v[110:111], v[112:113]
	ds_read_b128 v[110:113], v1 offset:1984
	buffer_load_dword v235, off, s[0:3], 0 offset:1020
	buffer_load_dword v234, off, s[0:3], 0 offset:1016
	;; [unrolled: 1-line block ×4, first 2 shown]
	s_waitcnt vmcnt(5) lgkmcnt(0)
	v_mul_f64 v[116:117], v[110:111], v[228:229]
	s_waitcnt vmcnt(4)
	v_fmac_f64_e32 v[116:117], v[112:113], v[230:231]
	v_add_f64 v[242:243], v[114:115], v[116:117]
	ds_read_b128 v[114:117], v1 offset:2000
	s_waitcnt vmcnt(2) lgkmcnt(0)
	v_mul_f64 v[0:1], v[114:115], v[234:235]
	s_waitcnt vmcnt(0)
	v_fmac_f64_e32 v[0:1], v[116:117], v[244:245]
	v_add_f64 v[0:1], v[242:243], v[0:1]
	v_add_f64 v[242:243], v[248:249], 0
	buffer_load_dword v248, off, s[0:3], 0 offset:400
	buffer_load_dword v249, off, s[0:3], 0 offset:404
	;; [unrolled: 1-line block ×4, first 2 shown]
	v_add_f64 v[242:243], v[242:243], v[254:255]
	v_add_f64 v[118:119], v[242:243], v[118:119]
	;; [unrolled: 1-line block ×10, first 2 shown]
	v_mul_f64 v[4:5], v[12:13], v[132:133]
	v_fma_f64 v[4:5], v[10:11], v[148:149], -v[4:5]
	v_add_f64 v[2:3], v[2:3], v[4:5]
	v_mul_f64 v[4:5], v[16:17], v[126:127]
	v_fma_f64 v[4:5], v[14:15], v[128:129], -v[4:5]
	v_add_f64 v[2:3], v[2:3], v[4:5]
	;; [unrolled: 3-line block ×27, first 2 shown]
	s_waitcnt vmcnt(2)
	v_add_f64 v[2:3], v[248:249], -v[2:3]
	s_waitcnt vmcnt(0)
	v_add_f64 v[0:1], v[246:247], -v[0:1]
	buffer_store_dword v3, off, s[0:3], 0 offset:404
	buffer_store_dword v2, off, s[0:3], 0 offset:400
	;; [unrolled: 1-line block ×4, first 2 shown]
	v_accvgpr_read_b32 v0, a188
	v_cmp_lt_u32_e32 vcc, 23, v0
	s_and_saveexec_b64 s[4:5], vcc
	s_cbranch_execz .LBB62_357
; %bb.356:
	v_accvgpr_read_b32 v0, a165
	buffer_load_dword v2, v0, s[0:3], 0 offen
	buffer_load_dword v3, v0, s[0:3], 0 offen offset:4
	buffer_load_dword v4, v0, s[0:3], 0 offen offset:8
	;; [unrolled: 1-line block ×3, first 2 shown]
	v_mov_b32_e32 v0, 0
	v_accvgpr_read_b32 v1, a189
	buffer_store_dword v0, off, s[0:3], 0 offset:384
	buffer_store_dword v0, off, s[0:3], 0 offset:388
	buffer_store_dword v0, off, s[0:3], 0 offset:392
	buffer_store_dword v0, off, s[0:3], 0 offset:396
	s_waitcnt vmcnt(4)
	ds_write_b128 v1, v[2:5]
.LBB62_357:
	s_or_b64 exec, exec, s[4:5]
	s_waitcnt lgkmcnt(0)
	; wave barrier
	s_waitcnt lgkmcnt(0)
	buffer_load_dword v54, off, s[0:3], 0 offset:400
	buffer_load_dword v55, off, s[0:3], 0 offset:404
	;; [unrolled: 1-line block ×49, first 2 shown]
	s_waitcnt vmcnt(8)
	v_pk_mov_b32 v[2:3], v[0:1], v[0:1] op_sel:[0,1]
	v_mov_b32_e32 v1, 0
	ds_read_b128 v[62:65], v1 offset:1392
	ds_read_b128 v[74:77], v1 offset:1408
	;; [unrolled: 1-line block ×11, first 2 shown]
	s_waitcnt lgkmcnt(10)
	v_mul_f64 v[6:7], v[62:63], v[56:57]
	s_waitcnt lgkmcnt(9)
	v_mul_f64 v[8:9], v[74:75], v[60:61]
	v_fmac_f64_e32 v[6:7], v[64:65], v[54:55]
	s_waitcnt lgkmcnt(8)
	v_mul_f64 v[10:11], v[86:87], v[66:67]
	v_fmac_f64_e32 v[8:9], v[76:77], v[58:59]
	v_add_f64 v[6:7], v[6:7], 0
	s_waitcnt lgkmcnt(7)
	v_mul_f64 v[12:13], v[98:99], v[70:71]
	v_fmac_f64_e32 v[10:11], v[88:89], v[68:69]
	v_add_f64 v[6:7], v[6:7], v[8:9]
	;; [unrolled: 4-line block ×4, first 2 shown]
	buffer_load_dword v128, off, s[0:3], 0 offset:584
	buffer_load_dword v145, off, s[0:3], 0 offset:580
	;; [unrolled: 1-line block ×75, first 2 shown]
	s_waitcnt lgkmcnt(4)
	v_mul_f64 v[18:19], v[228:229], v[90:91]
	v_fmac_f64_e32 v[16:17], v[116:117], v[84:85]
	v_add_f64 v[6:7], v[6:7], v[14:15]
	s_waitcnt lgkmcnt(3)
	v_mul_f64 v[20:21], v[232:233], v[94:95]
	v_fmac_f64_e32 v[18:19], v[230:231], v[92:93]
	v_add_f64 v[6:7], v[6:7], v[16:17]
	;; [unrolled: 4-line block ×4, first 2 shown]
	v_add_f64 v[6:7], v[6:7], v[22:23]
	s_waitcnt vmcnt(62)
	v_fmac_f64_e32 v[24:25], v[242:243], v[108:109]
	v_add_f64 v[10:11], v[6:7], v[24:25]
	ds_read_b128 v[6:9], v1 offset:1568
	s_waitcnt lgkmcnt(1)
	v_mul_f64 v[12:13], v[120:121], v[4:5]
	v_fmac_f64_e32 v[12:13], v[122:123], v[2:3]
	v_add_f64 v[14:15], v[10:11], v[12:13]
	ds_read_b128 v[10:13], v1 offset:1584
	s_waitcnt lgkmcnt(1)
	v_mul_f64 v[16:17], v[6:7], v[128:129]
	;; [unrolled: 5-line block ×5, first 2 shown]
	v_fmac_f64_e32 v[28:29], v[20:21], v[132:133]
	v_add_f64 v[30:31], v[26:27], v[28:29]
	ds_read_b128 v[26:29], v1 offset:1648
	s_waitcnt vmcnt(58) lgkmcnt(1)
	v_mul_f64 v[32:33], v[22:23], v[156:157]
	s_waitcnt vmcnt(56)
	v_fmac_f64_e32 v[32:33], v[24:25], v[160:161]
	v_add_f64 v[34:35], v[30:31], v[32:33]
	ds_read_b128 v[30:33], v1 offset:1664
	s_waitcnt lgkmcnt(1)
	v_mul_f64 v[36:37], v[26:27], v[134:135]
	v_fmac_f64_e32 v[36:37], v[28:29], v[136:137]
	v_add_f64 v[38:39], v[34:35], v[36:37]
	ds_read_b128 v[34:37], v1 offset:1680
	s_waitcnt vmcnt(50) lgkmcnt(1)
	v_mul_f64 v[40:41], v[30:31], v[164:165]
	s_waitcnt vmcnt(48)
	v_fmac_f64_e32 v[40:41], v[32:33], v[168:169]
	v_add_f64 v[42:43], v[38:39], v[40:41]
	ds_read_b128 v[38:41], v1 offset:1696
	s_waitcnt lgkmcnt(1)
	v_mul_f64 v[44:45], v[34:35], v[138:139]
	;; [unrolled: 11-line block ×3, first 2 shown]
	buffer_load_dword v205, off, s[0:3], 0 offset:908
	buffer_load_dword v204, off, s[0:3], 0 offset:904
	;; [unrolled: 1-line block ×4, first 2 shown]
	v_fmac_f64_e32 v[52:53], v[44:45], v[146:147]
	v_add_f64 v[118:119], v[50:51], v[52:53]
	ds_read_b128 v[50:53], v1 offset:1744
	buffer_load_dword v208, off, s[0:3], 0 offset:920
	buffer_load_dword v210, off, s[0:3], 0 offset:912
	;; [unrolled: 1-line block ×12, first 2 shown]
	s_waitcnt vmcnt(50) lgkmcnt(1)
	v_mul_f64 v[212:213], v[46:47], v[180:181]
	s_waitcnt vmcnt(48)
	v_fmac_f64_e32 v[212:213], v[48:49], v[184:185]
	v_add_f64 v[118:119], v[118:119], v[212:213]
	buffer_load_dword v212, off, s[0:3], 0 offset:984
	buffer_load_dword v225, off, s[0:3], 0 offset:972
	buffer_load_dword v224, off, s[0:3], 0 offset:968
	buffer_load_dword v227, off, s[0:3], 0 offset:964
	buffer_load_dword v226, off, s[0:3], 0 offset:960
	buffer_load_dword v222, off, s[0:3], 0 offset:976
	buffer_load_dword v213, off, s[0:3], 0 offset:988
	buffer_load_dword v223, off, s[0:3], 0 offset:980
	v_mul_f64 v[56:57], v[64:65], v[56:57]
	v_fma_f64 v[246:247], v[62:63], v[54:55], -v[56:57]
	ds_read_b128 v[54:57], v1 offset:1760
	v_mul_f64 v[60:61], v[76:77], v[60:61]
	v_fma_f64 v[248:249], v[74:75], v[58:59], -v[60:61]
	ds_read_b128 v[58:61], v1 offset:1776
	s_waitcnt lgkmcnt(2)
	v_mul_f64 v[62:63], v[50:51], v[150:151]
	v_fmac_f64_e32 v[62:63], v[52:53], v[154:155]
	s_waitcnt vmcnt(50) lgkmcnt(1)
	v_mul_f64 v[64:65], v[54:55], v[188:189]
	v_add_f64 v[62:63], v[118:119], v[62:63]
	s_waitcnt vmcnt(48)
	v_fmac_f64_e32 v[64:65], v[56:57], v[190:191]
	v_add_f64 v[62:63], v[62:63], v[64:65]
	s_waitcnt lgkmcnt(0)
	v_mul_f64 v[64:65], v[58:59], v[158:159]
	v_fmac_f64_e32 v[64:65], v[60:61], v[162:163]
	v_add_f64 v[74:75], v[62:63], v[64:65]
	ds_read_b128 v[62:65], v1 offset:1792
	v_mul_f64 v[66:67], v[88:89], v[66:67]
	v_fma_f64 v[118:119], v[86:87], v[68:69], -v[66:67]
	ds_read_b128 v[66:69], v1 offset:1808
	v_mul_f64 v[70:71], v[100:101], v[70:71]
	s_waitcnt vmcnt(42) lgkmcnt(1)
	v_mul_f64 v[76:77], v[62:63], v[192:193]
	s_waitcnt vmcnt(40)
	v_fmac_f64_e32 v[76:77], v[64:65], v[194:195]
	v_add_f64 v[74:75], v[74:75], v[76:77]
	v_fma_f64 v[252:253], v[98:99], v[72:73], -v[70:71]
	ds_read_b128 v[70:73], v1 offset:1824
	s_waitcnt lgkmcnt(1)
	v_mul_f64 v[76:77], v[66:67], v[166:167]
	v_fmac_f64_e32 v[76:77], v[68:69], v[170:171]
	v_add_f64 v[86:87], v[74:75], v[76:77]
	ds_read_b128 v[74:77], v1 offset:1840
	v_mul_f64 v[78:79], v[112:113], v[78:79]
	v_fma_f64 v[254:255], v[110:111], v[80:81], -v[78:79]
	ds_read_b128 v[78:81], v1 offset:1856
	s_waitcnt vmcnt(34) lgkmcnt(2)
	v_mul_f64 v[88:89], v[70:71], v[196:197]
	v_mul_f64 v[82:83], v[116:117], v[82:83]
	s_waitcnt vmcnt(32)
	v_fmac_f64_e32 v[88:89], v[72:73], v[198:199]
	v_fma_f64 v[250:251], v[114:115], v[84:85], -v[82:83]
	ds_read_b128 v[82:85], v1 offset:1872
	v_add_f64 v[86:87], v[86:87], v[88:89]
	s_waitcnt lgkmcnt(2)
	v_mul_f64 v[88:89], v[74:75], v[174:175]
	v_fmac_f64_e32 v[88:89], v[76:77], v[178:179]
	v_add_f64 v[86:87], v[86:87], v[88:89]
	s_waitcnt vmcnt(26) lgkmcnt(1)
	v_mul_f64 v[88:89], v[78:79], v[200:201]
	s_waitcnt vmcnt(24)
	v_fmac_f64_e32 v[88:89], v[80:81], v[202:203]
	v_add_f64 v[86:87], v[86:87], v[88:89]
	s_waitcnt lgkmcnt(0)
	v_mul_f64 v[88:89], v[82:83], v[182:183]
	v_fmac_f64_e32 v[88:89], v[84:85], v[186:187]
	v_add_f64 v[98:99], v[86:87], v[88:89]
	ds_read_b128 v[86:89], v1 offset:1888
	v_accvgpr_write_b32 a191, v3
	v_mul_f64 v[90:91], v[230:231], v[90:91]
	v_accvgpr_write_b32 a190, v2
	v_fma_f64 v[2:3], v[228:229], v[92:93], -v[90:91]
	ds_read_b128 v[90:93], v1 offset:1904
	v_mul_f64 v[94:95], v[234:235], v[94:95]
	v_fma_f64 v[232:233], v[232:233], v[96:97], -v[94:95]
	ds_read_b128 v[94:97], v1 offset:1920
	v_mul_f64 v[102:103], v[238:239], v[102:103]
	;; [unrolled: 3-line block ×4, first 2 shown]
	v_accvgpr_read_b32 v0, a188
	v_cmp_lt_u32_e32 vcc, 22, v0
	s_waitcnt vmcnt(22) lgkmcnt(4)
	v_mul_f64 v[100:101], v[86:87], v[204:205]
	s_waitcnt vmcnt(20)
	v_fmac_f64_e32 v[100:101], v[88:89], v[206:207]
	v_add_f64 v[98:99], v[98:99], v[100:101]
	s_waitcnt vmcnt(17) lgkmcnt(3)
	v_mul_f64 v[100:101], v[90:91], v[208:209]
	s_waitcnt vmcnt(16)
	v_fmac_f64_e32 v[100:101], v[92:93], v[210:211]
	v_add_f64 v[110:111], v[98:99], v[100:101]
	ds_read_b128 v[98:101], v1 offset:1936
	s_waitcnt vmcnt(14) lgkmcnt(3)
	v_mul_f64 v[112:113], v[94:95], v[214:215]
	s_waitcnt vmcnt(12)
	v_fmac_f64_e32 v[112:113], v[96:97], v[218:219]
	buffer_load_dword v229, off, s[0:3], 0 offset:1004
	buffer_load_dword v228, off, s[0:3], 0 offset:1000
	;; [unrolled: 1-line block ×4, first 2 shown]
	v_add_f64 v[110:111], v[110:111], v[112:113]
	s_waitcnt vmcnt(14) lgkmcnt(0)
	v_mul_f64 v[112:113], v[98:99], v[216:217]
	s_waitcnt vmcnt(12)
	v_fmac_f64_e32 v[112:113], v[100:101], v[220:221]
	v_add_f64 v[110:111], v[110:111], v[112:113]
	s_waitcnt vmcnt(9)
	v_mul_f64 v[112:113], v[102:103], v[224:225]
	s_waitcnt vmcnt(7)
	v_fmac_f64_e32 v[112:113], v[104:105], v[226:227]
	v_add_f64 v[110:111], v[110:111], v[112:113]
	s_waitcnt vmcnt(5)
	v_mul_f64 v[112:113], v[106:107], v[212:213]
	s_waitcnt vmcnt(4)
	v_fmac_f64_e32 v[112:113], v[108:109], v[222:223]
	v_add_f64 v[114:115], v[110:111], v[112:113]
	ds_read_b128 v[110:113], v1 offset:1984
	buffer_load_dword v234, off, s[0:3], 0 offset:1016
	buffer_load_dword v235, off, s[0:3], 0 offset:1020
	;; [unrolled: 1-line block ×4, first 2 shown]
	s_waitcnt vmcnt(6) lgkmcnt(0)
	v_mul_f64 v[116:117], v[110:111], v[228:229]
	s_waitcnt vmcnt(4)
	v_fmac_f64_e32 v[116:117], v[112:113], v[230:231]
	v_add_f64 v[240:241], v[114:115], v[116:117]
	ds_read_b128 v[114:117], v1 offset:2000
	s_waitcnt vmcnt(2) lgkmcnt(0)
	v_mul_f64 v[242:243], v[114:115], v[234:235]
	s_waitcnt vmcnt(0)
	v_fmac_f64_e32 v[242:243], v[116:117], v[244:245]
	v_add_f64 v[240:241], v[240:241], v[242:243]
	v_add_f64 v[242:243], v[246:247], 0
	v_add_f64 v[242:243], v[242:243], v[248:249]
	buffer_load_dword v248, off, s[0:3], 0 offset:384
	buffer_load_dword v249, off, s[0:3], 0 offset:388
	;; [unrolled: 1-line block ×4, first 2 shown]
	v_add_f64 v[118:119], v[242:243], v[118:119]
	v_add_f64 v[118:119], v[118:119], v[252:253]
	;; [unrolled: 1-line block ×6, first 2 shown]
	v_accvgpr_read_b32 v118, a190
	v_add_f64 v[252:253], v[2:3], v[238:239]
	v_accvgpr_read_b32 v119, a191
	v_add_f64 v[2:3], v[252:253], v[236:237]
	v_fma_f64 v[4:5], v[120:121], v[118:119], -v[4:5]
	v_add_f64 v[2:3], v[2:3], v[4:5]
	v_mul_f64 v[4:5], v[8:9], v[128:129]
	v_fma_f64 v[4:5], v[6:7], v[144:145], -v[4:5]
	v_add_f64 v[2:3], v[2:3], v[4:5]
	v_mul_f64 v[4:5], v[12:13], v[124:125]
	;; [unrolled: 3-line block ×28, first 2 shown]
	v_fma_f64 v[4:5], v[114:115], v[244:245], -v[4:5]
	v_add_f64 v[2:3], v[2:3], v[4:5]
	s_waitcnt vmcnt(2)
	v_add_f64 v[2:3], v[248:249], -v[2:3]
	s_waitcnt vmcnt(0)
	v_add_f64 v[4:5], v[246:247], -v[240:241]
	buffer_store_dword v3, off, s[0:3], 0 offset:388
	buffer_store_dword v2, off, s[0:3], 0 offset:384
	;; [unrolled: 1-line block ×4, first 2 shown]
	s_and_saveexec_b64 s[4:5], vcc
	s_cbranch_execz .LBB62_359
; %bb.358:
	v_accvgpr_read_b32 v0, a166
	buffer_load_dword v2, v0, s[0:3], 0 offen
	buffer_load_dword v3, v0, s[0:3], 0 offen offset:4
	buffer_load_dword v4, v0, s[0:3], 0 offen offset:8
	;; [unrolled: 1-line block ×3, first 2 shown]
	v_accvgpr_read_b32 v0, a189
	buffer_store_dword v1, off, s[0:3], 0 offset:368
	buffer_store_dword v1, off, s[0:3], 0 offset:372
	;; [unrolled: 1-line block ×4, first 2 shown]
	s_waitcnt vmcnt(4)
	ds_write_b128 v0, v[2:5]
.LBB62_359:
	s_or_b64 exec, exec, s[4:5]
	s_waitcnt lgkmcnt(0)
	; wave barrier
	s_waitcnt lgkmcnt(0)
	buffer_load_dword v56, off, s[0:3], 0 offset:384
	buffer_load_dword v57, off, s[0:3], 0 offset:388
	;; [unrolled: 1-line block ×42, first 2 shown]
	ds_read_b128 v[78:81], v1 offset:1376
	ds_read_b128 v[90:93], v1 offset:1392
	;; [unrolled: 1-line block ×10, first 2 shown]
	buffer_load_dword v105, off, s[0:3], 0 offset:532
	buffer_load_dword v104, off, s[0:3], 0 offset:528
	ds_read_b128 v[106:109], v1 offset:1536
	buffer_load_dword v3, off, s[0:3], 0 offset:588
	buffer_load_dword v2, off, s[0:3], 0 offset:584
	s_waitcnt vmcnt(38) lgkmcnt(9)
	v_mul_f64 v[4:5], v[90:91], v[62:63]
	v_fmac_f64_e32 v[4:5], v[92:93], v[54:55]
	s_waitcnt vmcnt(36) lgkmcnt(8)
	v_mul_f64 v[6:7], v[114:115], v[58:59]
	v_mul_f64 v[58:59], v[116:117], v[58:59]
	s_waitcnt vmcnt(34) lgkmcnt(6)
	v_mul_f64 v[10:11], v[232:233], v[70:71]
	v_mul_f64 v[70:71], v[234:235], v[70:71]
	s_waitcnt vmcnt(32)
	v_fmac_f64_e32 v[10:11], v[234:235], v[72:73]
	v_fma_f64 v[232:233], v[232:233], v[72:73], -v[70:71]
	s_waitcnt vmcnt(30)
	v_mul_f64 v[8:9], v[228:229], v[64:65]
	s_waitcnt vmcnt(28) lgkmcnt(4)
	v_mul_f64 v[14:15], v[240:241], v[82:83]
	v_mul_f64 v[82:83], v[242:243], v[82:83]
	s_waitcnt vmcnt(26)
	v_fmac_f64_e32 v[14:15], v[242:243], v[84:85]
	s_waitcnt vmcnt(24)
	v_mul_f64 v[12:13], v[236:237], v[74:75]
	v_mul_f64 v[74:75], v[238:239], v[74:75]
	s_waitcnt vmcnt(22) lgkmcnt(2)
	v_mul_f64 v[18:19], v[248:249], v[94:95]
	v_mul_f64 v[94:95], v[250:251], v[94:95]
	s_waitcnt vmcnt(19)
	v_mul_f64 v[16:17], v[244:245], v[86:87]
	v_mul_f64 v[86:87], v[246:247], v[86:87]
	s_waitcnt vmcnt(17) lgkmcnt(1)
	v_mul_f64 v[20:21], v[98:99], v[102:103]
	s_waitcnt vmcnt(15)
	v_fmac_f64_e32 v[6:7], v[116:117], v[68:69]
	s_waitcnt vmcnt(13)
	v_fmac_f64_e32 v[8:9], v[230:231], v[66:67]
	;; [unrolled: 2-line block ×3, first 2 shown]
	v_fma_f64 v[236:237], v[236:237], v[76:77], -v[74:75]
	s_waitcnt vmcnt(9)
	v_fmac_f64_e32 v[16:17], v[246:247], v[88:89]
	s_waitcnt vmcnt(8)
	v_fmac_f64_e32 v[18:19], v[250:251], v[96:97]
	v_fma_f64 v[238:239], v[240:241], v[84:85], -v[82:83]
	v_fma_f64 v[240:241], v[244:245], v[88:89], -v[86:87]
	;; [unrolled: 1-line block ×3, first 2 shown]
	s_waitcnt vmcnt(2)
	v_fmac_f64_e32 v[20:21], v[100:101], v[104:105]
	v_mul_f64 v[100:101], v[100:101], v[102:103]
	s_waitcnt vmcnt(0)
	v_pk_mov_b32 v[22:23], v[2:3], v[2:3] op_sel:[0,1]
	buffer_load_dword v3, off, s[0:3], 0 offset:580
	buffer_load_dword v2, off, s[0:3], 0 offset:576
	;; [unrolled: 1-line block ×78, first 2 shown]
	ds_read_b128 v[120:123], v1 offset:1552
	v_accvgpr_write_b32 a191, v23
	v_accvgpr_write_b32 a190, v22
	v_fma_f64 v[250:251], v[98:99], v[104:105], -v[100:101]
	s_waitcnt vmcnt(62)
	v_pk_mov_b32 v[24:25], v[2:3], v[2:3] op_sel:[0,1]
	v_mul_f64 v[2:3], v[78:79], v[60:61]
	v_fmac_f64_e32 v[2:3], v[80:81], v[56:57]
	v_add_f64 v[2:3], v[2:3], 0
	v_add_f64 v[2:3], v[2:3], v[4:5]
	;; [unrolled: 1-line block ×9, first 2 shown]
	s_waitcnt lgkmcnt(1)
	v_mul_f64 v[8:9], v[106:107], v[110:111]
	v_add_f64 v[6:7], v[2:3], v[20:21]
	v_fmac_f64_e32 v[8:9], v[108:109], v[112:113]
	v_add_f64 v[10:11], v[6:7], v[8:9]
	ds_read_b128 v[6:9], v1 offset:1568
	s_waitcnt lgkmcnt(1)
	v_mul_f64 v[12:13], v[120:121], v[124:125]
	v_fmac_f64_e32 v[12:13], v[122:123], v[140:141]
	v_add_f64 v[14:15], v[10:11], v[12:13]
	ds_read_b128 v[10:13], v1 offset:1584
	s_waitcnt lgkmcnt(1)
	v_mul_f64 v[16:17], v[6:7], v[22:23]
	;; [unrolled: 5-line block ×3, first 2 shown]
	v_fmac_f64_e32 v[20:21], v[12:13], v[148:149]
	v_add_f64 v[22:23], v[18:19], v[20:21]
	ds_read_b128 v[18:21], v1 offset:1616
	v_accvgpr_write_b32 a193, v25
	v_accvgpr_write_b32 a192, v24
	s_waitcnt lgkmcnt(1)
	v_mul_f64 v[24:25], v[14:15], v[126:127]
	v_fmac_f64_e32 v[24:25], v[16:17], v[128:129]
	v_add_f64 v[26:27], v[22:23], v[24:25]
	ds_read_b128 v[22:25], v1 offset:1632
	s_waitcnt vmcnt(58) lgkmcnt(1)
	v_mul_f64 v[28:29], v[18:19], v[152:153]
	s_waitcnt vmcnt(56)
	v_fmac_f64_e32 v[28:29], v[20:21], v[156:157]
	v_add_f64 v[30:31], v[26:27], v[28:29]
	ds_read_b128 v[26:29], v1 offset:1648
	s_waitcnt lgkmcnt(1)
	v_mul_f64 v[32:33], v[22:23], v[130:131]
	v_fmac_f64_e32 v[32:33], v[24:25], v[132:133]
	v_add_f64 v[34:35], v[30:31], v[32:33]
	ds_read_b128 v[30:33], v1 offset:1664
	s_waitcnt vmcnt(50) lgkmcnt(1)
	v_mul_f64 v[36:37], v[26:27], v[160:161]
	s_waitcnt vmcnt(48)
	v_fmac_f64_e32 v[36:37], v[28:29], v[164:165]
	v_add_f64 v[38:39], v[34:35], v[36:37]
	ds_read_b128 v[34:37], v1 offset:1680
	;; [unrolled: 11-line block ×4, first 2 shown]
	buffer_load_dword v200, off, s[0:3], 0 offset:904
	buffer_load_dword v205, off, s[0:3], 0 offset:892
	;; [unrolled: 1-line block ×8, first 2 shown]
	s_waitcnt lgkmcnt(1)
	v_mul_f64 v[208:209], v[46:47], v[146:147]
	v_fmac_f64_e32 v[208:209], v[48:49], v[150:151]
	v_add_f64 v[118:119], v[118:119], v[208:209]
	buffer_load_dword v209, off, s[0:3], 0 offset:924
	buffer_load_dword v208, off, s[0:3], 0 offset:920
	;; [unrolled: 1-line block ×20, first 2 shown]
	v_mul_f64 v[60:61], v[80:81], v[60:61]
	s_waitcnt vmcnt(54) lgkmcnt(0)
	v_mul_f64 v[252:253], v[50:51], v[184:185]
	v_fma_f64 v[254:255], v[78:79], v[56:57], -v[60:61]
	v_mul_f64 v[56:57], v[92:93], v[62:63]
	v_fma_f64 v[2:3], v[90:91], v[54:55], -v[56:57]
	s_waitcnt vmcnt(52)
	v_fmac_f64_e32 v[252:253], v[52:53], v[186:187]
	ds_read_b128 v[54:57], v1 offset:1760
	v_add_f64 v[4:5], v[118:119], v[252:253]
	v_fma_f64 v[118:119], v[114:115], v[68:69], -v[58:59]
	ds_read_b128 v[58:61], v1 offset:1776
	v_mul_f64 v[62:63], v[230:231], v[64:65]
	v_fma_f64 v[252:253], v[228:229], v[66:67], -v[62:63]
	ds_read_b128 v[62:65], v1 offset:1792
	ds_read_b128 v[70:73], v1 offset:1824
	s_waitcnt lgkmcnt(3)
	v_mul_f64 v[68:69], v[54:55], v[154:155]
	v_fmac_f64_e32 v[68:69], v[56:57], v[158:159]
	s_waitcnt vmcnt(46) lgkmcnt(2)
	v_mul_f64 v[66:67], v[58:59], v[188:189]
	v_add_f64 v[4:5], v[4:5], v[68:69]
	s_waitcnt vmcnt(44)
	v_fmac_f64_e32 v[66:67], v[60:61], v[190:191]
	v_add_f64 v[4:5], v[4:5], v[66:67]
	s_waitcnt lgkmcnt(1)
	v_mul_f64 v[66:67], v[62:63], v[162:163]
	v_fmac_f64_e32 v[66:67], v[64:65], v[166:167]
	v_add_f64 v[4:5], v[4:5], v[66:67]
	ds_read_b128 v[66:69], v1 offset:1808
	ds_read_b128 v[74:77], v1 offset:1840
	;; [unrolled: 1-line block ×5, first 2 shown]
	s_waitcnt vmcnt(38) lgkmcnt(4)
	v_mul_f64 v[78:79], v[66:67], v[192:193]
	s_waitcnt vmcnt(36)
	v_fmac_f64_e32 v[78:79], v[68:69], v[194:195]
	v_add_f64 v[4:5], v[4:5], v[78:79]
	v_mul_f64 v[78:79], v[70:71], v[170:171]
	v_fmac_f64_e32 v[78:79], v[72:73], v[174:175]
	v_add_f64 v[4:5], v[4:5], v[78:79]
	s_waitcnt vmcnt(30) lgkmcnt(3)
	v_mul_f64 v[78:79], v[74:75], v[196:197]
	s_waitcnt vmcnt(28)
	v_fmac_f64_e32 v[78:79], v[76:77], v[198:199]
	v_add_f64 v[4:5], v[4:5], v[78:79]
	ds_read_b128 v[78:81], v1 offset:1856
	ds_read_b128 v[98:101], v1 offset:1936
	s_waitcnt lgkmcnt(1)
	v_mul_f64 v[90:91], v[78:79], v[178:179]
	v_fmac_f64_e32 v[90:91], v[80:81], v[182:183]
	v_add_f64 v[4:5], v[4:5], v[90:91]
	s_waitcnt vmcnt(25)
	v_mul_f64 v[90:91], v[82:83], v[204:205]
	s_waitcnt vmcnt(23)
	v_fmac_f64_e32 v[90:91], v[84:85], v[206:207]
	v_add_f64 v[4:5], v[4:5], v[90:91]
	s_waitcnt vmcnt(21)
	v_mul_f64 v[90:91], v[86:87], v[200:201]
	s_waitcnt vmcnt(20)
	v_fmac_f64_e32 v[90:91], v[88:89], v[202:203]
	v_add_f64 v[4:5], v[4:5], v[90:91]
	ds_read_b128 v[90:93], v1 offset:1904
	s_waitcnt vmcnt(14)
	v_mul_f64 v[102:103], v[94:95], v[214:215]
	s_waitcnt vmcnt(12)
	v_fmac_f64_e32 v[102:103], v[96:97], v[216:217]
	s_waitcnt lgkmcnt(0)
	v_mul_f64 v[114:115], v[90:91], v[208:209]
	v_fmac_f64_e32 v[114:115], v[92:93], v[210:211]
	v_add_f64 v[4:5], v[4:5], v[114:115]
	v_add_f64 v[114:115], v[4:5], v[102:103]
	ds_read_b128 v[102:105], v1 offset:1952
	v_mul_f64 v[4:5], v[108:109], v[110:111]
	v_fma_f64 v[4:5], v[106:107], v[112:113], -v[4:5]
	ds_read_b128 v[106:109], v1 offset:1968
	buffer_load_dword v228, off, s[0:3], 0 offset:1000
	buffer_load_dword v229, off, s[0:3], 0 offset:1004
	;; [unrolled: 1-line block ×4, first 2 shown]
	s_waitcnt vmcnt(13)
	v_mul_f64 v[110:111], v[98:99], v[220:221]
	s_waitcnt vmcnt(11)
	v_fmac_f64_e32 v[110:111], v[100:101], v[224:225]
	s_waitcnt vmcnt(9) lgkmcnt(1)
	v_mul_f64 v[112:113], v[102:103], v[212:213]
	v_add_f64 v[110:111], v[114:115], v[110:111]
	s_waitcnt vmcnt(8)
	v_fmac_f64_e32 v[112:113], v[104:105], v[218:219]
	v_add_f64 v[110:111], v[110:111], v[112:113]
	s_waitcnt vmcnt(6) lgkmcnt(0)
	v_mul_f64 v[112:113], v[106:107], v[222:223]
	s_waitcnt vmcnt(4)
	v_fmac_f64_e32 v[112:113], v[108:109], v[226:227]
	v_add_f64 v[114:115], v[110:111], v[112:113]
	ds_read_b128 v[110:113], v1 offset:1984
	buffer_load_dword v235, off, s[0:3], 0 offset:1020
	buffer_load_dword v234, off, s[0:3], 0 offset:1016
	;; [unrolled: 1-line block ×4, first 2 shown]
	s_waitcnt vmcnt(6) lgkmcnt(0)
	v_mul_f64 v[116:117], v[110:111], v[228:229]
	s_waitcnt vmcnt(4)
	v_fmac_f64_e32 v[116:117], v[112:113], v[230:231]
	v_add_f64 v[246:247], v[114:115], v[116:117]
	ds_read_b128 v[114:117], v1 offset:2000
	s_waitcnt vmcnt(2) lgkmcnt(0)
	v_mul_f64 v[0:1], v[114:115], v[234:235]
	s_waitcnt vmcnt(0)
	v_fmac_f64_e32 v[0:1], v[116:117], v[244:245]
	v_add_f64 v[0:1], v[246:247], v[0:1]
	v_add_f64 v[246:247], v[254:255], 0
	;; [unrolled: 1-line block ×3, first 2 shown]
	buffer_load_dword v248, off, s[0:3], 0 offset:368
	buffer_load_dword v249, off, s[0:3], 0 offset:372
	;; [unrolled: 1-line block ×4, first 2 shown]
	v_add_f64 v[2:3], v[2:3], v[118:119]
	v_add_f64 v[2:3], v[2:3], v[252:253]
	;; [unrolled: 1-line block ×9, first 2 shown]
	v_mul_f64 v[4:5], v[122:123], v[124:125]
	v_fma_f64 v[4:5], v[120:121], v[140:141], -v[4:5]
	v_add_f64 v[2:3], v[2:3], v[4:5]
	v_accvgpr_read_b32 v4, a190
	v_accvgpr_read_b32 v5, a191
	v_mul_f64 v[4:5], v[8:9], v[4:5]
	v_accvgpr_read_b32 v8, a192
	v_accvgpr_read_b32 v9, a193
	v_fma_f64 v[4:5], v[6:7], v[8:9], -v[4:5]
	v_add_f64 v[2:3], v[2:3], v[4:5]
	v_mul_f64 v[4:5], v[12:13], v[144:145]
	v_fma_f64 v[4:5], v[10:11], v[148:149], -v[4:5]
	v_add_f64 v[2:3], v[2:3], v[4:5]
	v_mul_f64 v[4:5], v[16:17], v[126:127]
	;; [unrolled: 3-line block ×27, first 2 shown]
	v_fma_f64 v[4:5], v[114:115], v[244:245], -v[4:5]
	v_add_f64 v[2:3], v[2:3], v[4:5]
	s_waitcnt vmcnt(2)
	v_add_f64 v[2:3], v[248:249], -v[2:3]
	s_waitcnt vmcnt(0)
	v_add_f64 v[0:1], v[246:247], -v[0:1]
	buffer_store_dword v3, off, s[0:3], 0 offset:372
	buffer_store_dword v2, off, s[0:3], 0 offset:368
	buffer_store_dword v1, off, s[0:3], 0 offset:380
	buffer_store_dword v0, off, s[0:3], 0 offset:376
	v_accvgpr_read_b32 v0, a188
	v_cmp_lt_u32_e32 vcc, 21, v0
	s_and_saveexec_b64 s[4:5], vcc
	s_cbranch_execz .LBB62_361
; %bb.360:
	v_accvgpr_read_b32 v0, a167
	buffer_load_dword v2, v0, s[0:3], 0 offen
	buffer_load_dword v3, v0, s[0:3], 0 offen offset:4
	buffer_load_dword v4, v0, s[0:3], 0 offen offset:8
	;; [unrolled: 1-line block ×3, first 2 shown]
	v_mov_b32_e32 v0, 0
	v_accvgpr_read_b32 v1, a189
	buffer_store_dword v0, off, s[0:3], 0 offset:352
	buffer_store_dword v0, off, s[0:3], 0 offset:356
	;; [unrolled: 1-line block ×4, first 2 shown]
	s_waitcnt vmcnt(4)
	ds_write_b128 v1, v[2:5]
.LBB62_361:
	s_or_b64 exec, exec, s[4:5]
	s_waitcnt lgkmcnt(0)
	; wave barrier
	s_waitcnt lgkmcnt(0)
	buffer_load_dword v54, off, s[0:3], 0 offset:368
	buffer_load_dword v55, off, s[0:3], 0 offset:372
	;; [unrolled: 1-line block ×46, first 2 shown]
	v_mov_b32_e32 v1, 0
	v_accvgpr_read_b32 v0, a188
	v_cmp_lt_u32_e32 vcc, 20, v0
	s_waitcnt vmcnt(0)
	v_pk_mov_b32 v[22:23], v[2:3], v[2:3] op_sel:[0,1]
	buffer_load_dword v3, off, s[0:3], 0 offset:564
	buffer_load_dword v2, off, s[0:3], 0 offset:560
	buffer_load_dword v107, off, s[0:3], 0 offset:556
	ds_read_b128 v[94:97], v1 offset:1360
	ds_read_b128 v[108:111], v1 offset:1376
	;; [unrolled: 1-line block ×11, first 2 shown]
	s_waitcnt lgkmcnt(9)
	v_mul_f64 v[4:5], v[108:109], v[62:63]
	v_fmac_f64_e32 v[4:5], v[110:111], v[58:59]
	s_waitcnt lgkmcnt(8)
	v_mul_f64 v[6:7], v[112:113], v[60:61]
	s_waitcnt lgkmcnt(7)
	v_mul_f64 v[8:9], v[116:117], v[68:69]
	v_fmac_f64_e32 v[6:7], v[114:115], v[84:85]
	s_waitcnt lgkmcnt(6)
	v_mul_f64 v[10:11], v[228:229], v[64:65]
	v_fmac_f64_e32 v[8:9], v[118:119], v[82:83]
	;; [unrolled: 3-line block ×7, first 2 shown]
	v_fmac_f64_e32 v[20:21], v[250:251], v[92:93]
	v_accvgpr_write_b32 a191, v23
	v_accvgpr_write_b32 a190, v22
	v_mul_f64 v[62:63], v[110:111], v[62:63]
	v_mul_f64 v[74:75], v[238:239], v[74:75]
	;; [unrolled: 1-line block ×4, first 2 shown]
	v_fma_f64 v[246:247], v[244:245], v[88:89], -v[86:87]
	v_mul_f64 v[90:91], v[250:251], v[90:91]
	v_fma_f64 v[248:249], v[248:249], v[92:93], -v[90:91]
	s_waitcnt vmcnt(1)
	v_pk_mov_b32 v[24:25], v[2:3], v[2:3] op_sel:[0,1]
	v_mul_f64 v[2:3], v[94:95], v[56:57]
	v_fmac_f64_e32 v[2:3], v[96:97], v[54:55]
	v_add_f64 v[2:3], v[2:3], 0
	v_add_f64 v[2:3], v[2:3], v[4:5]
	buffer_load_dword v106, off, s[0:3], 0 offset:552
	buffer_load_dword v225, off, s[0:3], 0 offset:548
	buffer_load_dword v224, off, s[0:3], 0 offset:544
	buffer_load_dword v5, off, s[0:3], 0 offset:604
	buffer_load_dword v4, off, s[0:3], 0 offset:600
	buffer_load_dword v127, off, s[0:3], 0 offset:596
	buffer_load_dword v126, off, s[0:3], 0 offset:592
	buffer_load_dword v141, off, s[0:3], 0 offset:588
	buffer_load_dword v140, off, s[0:3], 0 offset:584
	buffer_load_dword v145, off, s[0:3], 0 offset:580
	buffer_load_dword v144, off, s[0:3], 0 offset:576
	buffer_load_dword v129, off, s[0:3], 0 offset:636
	buffer_load_dword v128, off, s[0:3], 0 offset:632
	buffer_load_dword v131, off, s[0:3], 0 offset:628
	buffer_load_dword v130, off, s[0:3], 0 offset:624
	buffer_load_dword v149, off, s[0:3], 0 offset:620
	buffer_load_dword v148, off, s[0:3], 0 offset:616
	buffer_load_dword v153, off, s[0:3], 0 offset:612
	buffer_load_dword v152, off, s[0:3], 0 offset:608
	buffer_load_dword v133, off, s[0:3], 0 offset:668
	buffer_load_dword v132, off, s[0:3], 0 offset:664
	buffer_load_dword v135, off, s[0:3], 0 offset:660
	buffer_load_dword v134, off, s[0:3], 0 offset:656
	buffer_load_dword v157, off, s[0:3], 0 offset:652
	buffer_load_dword v156, off, s[0:3], 0 offset:648
	buffer_load_dword v161, off, s[0:3], 0 offset:644
	buffer_load_dword v160, off, s[0:3], 0 offset:640
	buffer_load_dword v137, off, s[0:3], 0 offset:700
	buffer_load_dword v136, off, s[0:3], 0 offset:696
	buffer_load_dword v139, off, s[0:3], 0 offset:692
	buffer_load_dword v138, off, s[0:3], 0 offset:688
	buffer_load_dword v165, off, s[0:3], 0 offset:684
	buffer_load_dword v164, off, s[0:3], 0 offset:680
	buffer_load_dword v169, off, s[0:3], 0 offset:676
	buffer_load_dword v168, off, s[0:3], 0 offset:672
	buffer_load_dword v143, off, s[0:3], 0 offset:732
	buffer_load_dword v142, off, s[0:3], 0 offset:728
	buffer_load_dword v147, off, s[0:3], 0 offset:724
	buffer_load_dword v146, off, s[0:3], 0 offset:720
	buffer_load_dword v173, off, s[0:3], 0 offset:716
	buffer_load_dword v172, off, s[0:3], 0 offset:712
	buffer_load_dword v177, off, s[0:3], 0 offset:708
	buffer_load_dword v176, off, s[0:3], 0 offset:704
	buffer_load_dword v151, off, s[0:3], 0 offset:764
	buffer_load_dword v150, off, s[0:3], 0 offset:760
	buffer_load_dword v155, off, s[0:3], 0 offset:756
	buffer_load_dword v154, off, s[0:3], 0 offset:752
	buffer_load_dword v181, off, s[0:3], 0 offset:748
	buffer_load_dword v180, off, s[0:3], 0 offset:744
	buffer_load_dword v183, off, s[0:3], 0 offset:740
	buffer_load_dword v182, off, s[0:3], 0 offset:736
	buffer_load_dword v159, off, s[0:3], 0 offset:796
	buffer_load_dword v158, off, s[0:3], 0 offset:792
	buffer_load_dword v163, off, s[0:3], 0 offset:788
	buffer_load_dword v162, off, s[0:3], 0 offset:784
	buffer_load_dword v185, off, s[0:3], 0 offset:780
	buffer_load_dword v184, off, s[0:3], 0 offset:776
	buffer_load_dword v187, off, s[0:3], 0 offset:772
	buffer_load_dword v186, off, s[0:3], 0 offset:768
	buffer_load_dword v167, off, s[0:3], 0 offset:828
	buffer_load_dword v166, off, s[0:3], 0 offset:824
	buffer_load_dword v171, off, s[0:3], 0 offset:820
	buffer_load_dword v170, off, s[0:3], 0 offset:816
	buffer_load_dword v189, off, s[0:3], 0 offset:812
	buffer_load_dword v188, off, s[0:3], 0 offset:808
	buffer_load_dword v191, off, s[0:3], 0 offset:804
	buffer_load_dword v190, off, s[0:3], 0 offset:800
	buffer_load_dword v175, off, s[0:3], 0 offset:860
	buffer_load_dword v174, off, s[0:3], 0 offset:856
	buffer_load_dword v179, off, s[0:3], 0 offset:852
	buffer_load_dword v178, off, s[0:3], 0 offset:848
	buffer_load_dword v193, off, s[0:3], 0 offset:844
	buffer_load_dword v192, off, s[0:3], 0 offset:840
	buffer_load_dword v195, off, s[0:3], 0 offset:836
	buffer_load_dword v194, off, s[0:3], 0 offset:832
	v_add_f64 v[2:3], v[2:3], v[6:7]
	v_add_f64 v[2:3], v[2:3], v[8:9]
	;; [unrolled: 1-line block ×3, first 2 shown]
	ds_read_b128 v[252:255], v1 offset:1536
	ds_read_b128 v[120:123], v1 offset:1552
	v_add_f64 v[2:3], v[2:3], v[12:13]
	v_add_f64 v[2:3], v[2:3], v[14:15]
	;; [unrolled: 1-line block ×3, first 2 shown]
	ds_read_b128 v[196:199], v1 offset:1568
	v_add_f64 v[2:3], v[2:3], v[18:19]
	v_add_f64 v[2:3], v[2:3], v[20:21]
	s_waitcnt lgkmcnt(1)
	v_mul_f64 v[12:13], v[120:121], v[22:23]
	v_fmac_f64_e32 v[12:13], v[122:123], v[24:25]
	v_accvgpr_write_b32 a193, v25
	v_accvgpr_write_b32 a192, v24
	v_mul_f64 v[56:57], v[96:97], v[56:57]
	s_waitcnt vmcnt(62)
	v_mul_f64 v[8:9], v[252:253], v[106:107]
	v_fmac_f64_e32 v[8:9], v[254:255], v[224:225]
	v_pk_mov_b32 v[26:27], v[4:5], v[4:5] op_sel:[0,1]
	v_mul_f64 v[4:5], v[98:99], v[102:103]
	v_fmac_f64_e32 v[4:5], v[100:101], v[104:105]
	v_add_f64 v[6:7], v[2:3], v[4:5]
	v_add_f64 v[10:11], v[6:7], v[8:9]
	;; [unrolled: 1-line block ×3, first 2 shown]
	ds_read_b128 v[10:13], v1 offset:1584
	s_waitcnt lgkmcnt(1)
	v_mul_f64 v[16:17], v[196:197], v[140:141]
	v_fmac_f64_e32 v[16:17], v[198:199], v[144:145]
	v_add_f64 v[18:19], v[14:15], v[16:17]
	ds_read_b128 v[14:17], v1 offset:1600
	s_waitcnt lgkmcnt(1)
	v_mul_f64 v[20:21], v[10:11], v[26:27]
	v_fmac_f64_e32 v[20:21], v[12:13], v[126:127]
	v_add_f64 v[22:23], v[18:19], v[20:21]
	ds_read_b128 v[18:21], v1 offset:1616
	s_waitcnt vmcnt(58) lgkmcnt(1)
	v_mul_f64 v[24:25], v[14:15], v[148:149]
	v_accvgpr_write_b32 a195, v27
	s_waitcnt vmcnt(56)
	v_fmac_f64_e32 v[24:25], v[16:17], v[152:153]
	v_accvgpr_write_b32 a194, v26
	v_add_f64 v[26:27], v[22:23], v[24:25]
	ds_read_b128 v[22:25], v1 offset:1632
	s_waitcnt lgkmcnt(1)
	v_mul_f64 v[28:29], v[18:19], v[128:129]
	v_fmac_f64_e32 v[28:29], v[20:21], v[130:131]
	v_add_f64 v[30:31], v[26:27], v[28:29]
	ds_read_b128 v[26:29], v1 offset:1648
	s_waitcnt vmcnt(50) lgkmcnt(1)
	v_mul_f64 v[32:33], v[22:23], v[156:157]
	s_waitcnt vmcnt(48)
	v_fmac_f64_e32 v[32:33], v[24:25], v[160:161]
	v_add_f64 v[34:35], v[30:31], v[32:33]
	ds_read_b128 v[30:33], v1 offset:1664
	s_waitcnt lgkmcnt(1)
	v_mul_f64 v[36:37], v[26:27], v[132:133]
	v_fmac_f64_e32 v[36:37], v[28:29], v[134:135]
	v_add_f64 v[38:39], v[34:35], v[36:37]
	ds_read_b128 v[34:37], v1 offset:1680
	s_waitcnt vmcnt(42) lgkmcnt(1)
	v_mul_f64 v[40:41], v[30:31], v[164:165]
	s_waitcnt vmcnt(40)
	v_fmac_f64_e32 v[40:41], v[32:33], v[168:169]
	v_add_f64 v[42:43], v[38:39], v[40:41]
	ds_read_b128 v[38:41], v1 offset:1696
	s_waitcnt lgkmcnt(1)
	v_mul_f64 v[44:45], v[34:35], v[136:137]
	v_fmac_f64_e32 v[44:45], v[36:37], v[138:139]
	v_add_f64 v[46:47], v[42:43], v[44:45]
	ds_read_b128 v[42:45], v1 offset:1712
	s_waitcnt vmcnt(34) lgkmcnt(1)
	v_mul_f64 v[48:49], v[38:39], v[172:173]
	s_waitcnt vmcnt(32)
	v_fmac_f64_e32 v[48:49], v[40:41], v[176:177]
	v_add_f64 v[50:51], v[46:47], v[48:49]
	ds_read_b128 v[46:49], v1 offset:1728
	s_waitcnt lgkmcnt(1)
	v_mul_f64 v[52:53], v[42:43], v[142:143]
	v_fmac_f64_e32 v[52:53], v[44:45], v[146:147]
	v_add_f64 v[200:201], v[50:51], v[52:53]
	ds_read_b128 v[50:53], v1 offset:1744
	buffer_load_dword v9, off, s[0:3], 0 offset:876
	buffer_load_dword v8, off, s[0:3], 0 offset:872
	;; [unrolled: 1-line block ×4, first 2 shown]
	s_waitcnt vmcnt(30) lgkmcnt(1)
	v_mul_f64 v[202:203], v[46:47], v[180:181]
	s_waitcnt vmcnt(28)
	v_fmac_f64_e32 v[202:203], v[48:49], v[182:183]
	v_add_f64 v[226:227], v[200:201], v[202:203]
	buffer_load_dword v202, off, s[0:3], 0 offset:888
	buffer_load_dword v204, off, s[0:3], 0 offset:880
	;; [unrolled: 1-line block ×12, first 2 shown]
	v_fma_f64 v[6:7], v[94:95], v[54:55], -v[56:57]
	ds_read_b128 v[54:57], v1 offset:1760
	buffer_load_dword v213, off, s[0:3], 0 offset:940
	buffer_load_dword v212, off, s[0:3], 0 offset:936
	;; [unrolled: 1-line block ×12, first 2 shown]
	s_waitcnt lgkmcnt(1)
	v_mul_f64 v[4:5], v[50:51], v[150:151]
	v_fma_f64 v[94:95], v[108:109], v[58:59], -v[62:63]
	v_mul_f64 v[58:59], v[114:115], v[60:61]
	v_fmac_f64_e32 v[4:5], v[52:53], v[154:155]
	v_fma_f64 v[96:97], v[112:113], v[84:85], -v[58:59]
	v_add_f64 v[4:5], v[226:227], v[4:5]
	v_mul_f64 v[58:59], v[118:119], v[68:69]
	buffer_load_dword v118, off, s[0:3], 0 offset:984
	buffer_load_dword v226, off, s[0:3], 0 offset:976
	;; [unrolled: 1-line block ×4, first 2 shown]
	v_fma_f64 v[82:83], v[116:117], v[82:83], -v[58:59]
	s_waitcnt vmcnt(50) lgkmcnt(0)
	v_mul_f64 v[58:59], v[54:55], v[184:185]
	s_waitcnt vmcnt(48)
	v_fmac_f64_e32 v[58:59], v[56:57], v[186:187]
	v_add_f64 v[4:5], v[4:5], v[58:59]
	ds_read_b128 v[58:61], v1 offset:1776
	v_mul_f64 v[62:63], v[230:231], v[64:65]
	v_fma_f64 v[84:85], v[228:229], v[66:67], -v[62:63]
	ds_read_b128 v[62:65], v1 offset:1792
	v_mul_f64 v[66:67], v[234:235], v[70:71]
	v_fma_f64 v[232:233], v[232:233], v[72:73], -v[66:67]
	ds_read_b128 v[66:69], v1 offset:1808
	s_waitcnt lgkmcnt(2)
	v_mul_f64 v[108:109], v[58:59], v[158:159]
	v_fmac_f64_e32 v[108:109], v[60:61], v[162:163]
	s_waitcnt vmcnt(42) lgkmcnt(1)
	v_mul_f64 v[70:71], v[62:63], v[188:189]
	v_add_f64 v[4:5], v[4:5], v[108:109]
	s_waitcnt vmcnt(40)
	v_fmac_f64_e32 v[70:71], v[64:65], v[190:191]
	v_add_f64 v[4:5], v[4:5], v[70:71]
	v_fma_f64 v[228:229], v[236:237], v[76:77], -v[74:75]
	ds_read_b128 v[74:77], v1 offset:1840
	s_waitcnt lgkmcnt(1)
	v_mul_f64 v[70:71], v[66:67], v[166:167]
	v_fmac_f64_e32 v[70:71], v[68:69], v[170:171]
	v_add_f64 v[4:5], v[4:5], v[70:71]
	ds_read_b128 v[70:73], v1 offset:1824
	v_fma_f64 v[230:231], v[240:241], v[80:81], -v[78:79]
	ds_read_b128 v[78:81], v1 offset:1856
	ds_read_b128 v[240:243], v1 offset:1872
	;; [unrolled: 1-line block ×3, first 2 shown]
	s_waitcnt vmcnt(34) lgkmcnt(3)
	v_mul_f64 v[108:109], v[70:71], v[192:193]
	s_waitcnt vmcnt(32)
	v_fmac_f64_e32 v[108:109], v[72:73], v[194:195]
	v_add_f64 v[4:5], v[4:5], v[108:109]
	v_mul_f64 v[108:109], v[74:75], v[174:175]
	v_fmac_f64_e32 v[108:109], v[76:77], v[178:179]
	v_add_f64 v[4:5], v[4:5], v[108:109]
	ds_read_b128 v[90:93], v1 offset:1904
	ds_read_b128 v[236:239], v1 offset:1920
	v_mul_f64 v[100:101], v[100:101], v[102:103]
	v_fma_f64 v[2:3], v[98:99], v[104:105], -v[100:101]
	ds_read_b128 v[98:101], v1 offset:1936
	v_mul_f64 v[102:103], v[254:255], v[106:107]
	v_fma_f64 v[250:251], v[252:253], v[224:225], -v[102:103]
	ds_read_b128 v[102:105], v1 offset:1952
	v_add_f64 v[6:7], v[6:7], 0
	v_add_f64 v[6:7], v[6:7], v[94:95]
	;; [unrolled: 1-line block ×10, first 2 shown]
	v_accvgpr_read_b32 v82, a192
	v_accvgpr_read_b32 v83, a193
	s_waitcnt vmcnt(30) lgkmcnt(6)
	v_mul_f64 v[108:109], v[78:79], v[8:9]
	s_waitcnt vmcnt(28)
	v_fmac_f64_e32 v[108:109], v[80:81], v[124:125]
	v_add_f64 v[4:5], v[4:5], v[108:109]
	s_waitcnt vmcnt(25) lgkmcnt(5)
	v_mul_f64 v[108:109], v[240:241], v[202:203]
	s_waitcnt vmcnt(24)
	v_fmac_f64_e32 v[108:109], v[242:243], v[204:205]
	v_add_f64 v[4:5], v[4:5], v[108:109]
	;; [unrolled: 5-line block ×4, first 2 shown]
	s_waitcnt vmcnt(14) lgkmcnt(2)
	v_mul_f64 v[108:109], v[236:237], v[212:213]
	s_waitcnt vmcnt(12)
	v_fmac_f64_e32 v[108:109], v[238:239], v[214:215]
	s_waitcnt vmcnt(9) lgkmcnt(1)
	v_mul_f64 v[106:107], v[98:99], v[216:217]
	v_add_f64 v[4:5], v[4:5], v[108:109]
	s_waitcnt vmcnt(8)
	v_fmac_f64_e32 v[106:107], v[100:101], v[218:219]
	v_add_f64 v[4:5], v[4:5], v[106:107]
	s_waitcnt vmcnt(6) lgkmcnt(0)
	v_mul_f64 v[106:107], v[102:103], v[220:221]
	s_waitcnt vmcnt(4)
	v_fmac_f64_e32 v[106:107], v[104:105], v[222:223]
	v_add_f64 v[4:5], v[4:5], v[106:107]
	ds_read_b128 v[106:109], v1 offset:1968
	buffer_load_dword v225, off, s[0:3], 0 offset:1004
	buffer_load_dword v224, off, s[0:3], 0 offset:1000
	buffer_load_dword v255, off, s[0:3], 0 offset:996
	buffer_load_dword v254, off, s[0:3], 0 offset:992
	s_waitcnt vmcnt(5) lgkmcnt(0)
	v_mul_f64 v[110:111], v[106:107], v[118:119]
	s_waitcnt vmcnt(4)
	v_fmac_f64_e32 v[110:111], v[108:109], v[226:227]
	v_add_f64 v[4:5], v[4:5], v[110:111]
	ds_read_b128 v[110:113], v1 offset:1984
	buffer_load_dword v234, off, s[0:3], 0 offset:1016
	buffer_load_dword v235, off, s[0:3], 0 offset:1020
	buffer_load_dword v244, off, s[0:3], 0 offset:1008
	buffer_load_dword v245, off, s[0:3], 0 offset:1012
	;; [unrolled: 10-line block ×3, first 2 shown]
	s_waitcnt vmcnt(6) lgkmcnt(0)
	v_mul_f64 v[252:253], v[114:115], v[234:235]
	s_waitcnt vmcnt(4)
	v_fmac_f64_e32 v[252:253], v[116:117], v[244:245]
	v_add_f64 v[4:5], v[4:5], v[252:253]
	v_add_f64 v[252:253], v[6:7], v[2:3]
	v_accvgpr_read_b32 v6, a190
	v_accvgpr_read_b32 v7, a191
	v_mul_f64 v[6:7], v[122:123], v[6:7]
	v_add_f64 v[2:3], v[252:253], v[250:251]
	v_fma_f64 v[6:7], v[120:121], v[82:83], -v[6:7]
	v_add_f64 v[2:3], v[2:3], v[6:7]
	v_mul_f64 v[6:7], v[198:199], v[140:141]
	v_fma_f64 v[6:7], v[196:197], v[144:145], -v[6:7]
	v_add_f64 v[2:3], v[2:3], v[6:7]
	v_accvgpr_read_b32 v6, a194
	v_accvgpr_read_b32 v7, a195
	v_mul_f64 v[6:7], v[12:13], v[6:7]
	v_fma_f64 v[6:7], v[10:11], v[126:127], -v[6:7]
	v_add_f64 v[2:3], v[2:3], v[6:7]
	v_mul_f64 v[6:7], v[16:17], v[148:149]
	v_fma_f64 v[6:7], v[14:15], v[152:153], -v[6:7]
	v_add_f64 v[2:3], v[2:3], v[6:7]
	;; [unrolled: 3-line block ×27, first 2 shown]
	s_waitcnt vmcnt(2)
	v_add_f64 v[2:3], v[248:249], -v[2:3]
	s_waitcnt vmcnt(0)
	v_add_f64 v[4:5], v[246:247], -v[4:5]
	buffer_store_dword v3, off, s[0:3], 0 offset:356
	buffer_store_dword v2, off, s[0:3], 0 offset:352
	;; [unrolled: 1-line block ×4, first 2 shown]
	s_and_saveexec_b64 s[4:5], vcc
	s_cbranch_execz .LBB62_363
; %bb.362:
	v_accvgpr_read_b32 v0, a168
	buffer_load_dword v2, v0, s[0:3], 0 offen
	buffer_load_dword v3, v0, s[0:3], 0 offen offset:4
	buffer_load_dword v4, v0, s[0:3], 0 offen offset:8
	;; [unrolled: 1-line block ×3, first 2 shown]
	v_accvgpr_read_b32 v0, a189
	buffer_store_dword v1, off, s[0:3], 0 offset:336
	buffer_store_dword v1, off, s[0:3], 0 offset:340
	buffer_store_dword v1, off, s[0:3], 0 offset:344
	buffer_store_dword v1, off, s[0:3], 0 offset:348
	s_waitcnt vmcnt(4)
	ds_write_b128 v0, v[2:5]
.LBB62_363:
	s_or_b64 exec, exec, s[4:5]
	s_waitcnt lgkmcnt(0)
	; wave barrier
	s_waitcnt lgkmcnt(0)
	buffer_load_dword v58, off, s[0:3], 0 offset:352
	buffer_load_dword v59, off, s[0:3], 0 offset:356
	buffer_load_dword v60, off, s[0:3], 0 offset:360
	buffer_load_dword v61, off, s[0:3], 0 offset:364
	buffer_load_dword v56, off, s[0:3], 0 offset:368
	buffer_load_dword v57, off, s[0:3], 0 offset:372
	buffer_load_dword v62, off, s[0:3], 0 offset:376
	buffer_load_dword v63, off, s[0:3], 0 offset:380
	buffer_load_dword v220, off, s[0:3], 0 offset:392
	buffer_load_dword v221, off, s[0:3], 0 offset:396
	buffer_load_dword v65, off, s[0:3], 0 offset:428
	buffer_load_dword v64, off, s[0:3], 0 offset:424
	buffer_load_dword v67, off, s[0:3], 0 offset:420
	buffer_load_dword v66, off, s[0:3], 0 offset:416
	buffer_load_dword v69, off, s[0:3], 0 offset:412
	buffer_load_dword v68, off, s[0:3], 0 offset:408
	buffer_load_dword v71, off, s[0:3], 0 offset:460
	buffer_load_dword v70, off, s[0:3], 0 offset:456
	buffer_load_dword v73, off, s[0:3], 0 offset:452
	buffer_load_dword v72, off, s[0:3], 0 offset:448
	buffer_load_dword v75, off, s[0:3], 0 offset:444
	buffer_load_dword v74, off, s[0:3], 0 offset:440
	buffer_load_dword v79, off, s[0:3], 0 offset:492
	buffer_load_dword v78, off, s[0:3], 0 offset:488
	buffer_load_dword v80, off, s[0:3], 0 offset:480
	buffer_load_dword v77, off, s[0:3], 0 offset:476
	buffer_load_dword v76, off, s[0:3], 0 offset:472
	buffer_load_dword v87, off, s[0:3], 0 offset:508
	buffer_load_dword v86, off, s[0:3], 0 offset:504
	buffer_load_dword v100, off, s[0:3], 0 offset:384
	buffer_load_dword v101, off, s[0:3], 0 offset:388
	buffer_load_dword v99, off, s[0:3], 0 offset:404
	buffer_load_dword v98, off, s[0:3], 0 offset:400
	buffer_load_dword v95, off, s[0:3], 0 offset:436
	buffer_load_dword v94, off, s[0:3], 0 offset:432
	buffer_load_dword v89, off, s[0:3], 0 offset:468
	buffer_load_dword v88, off, s[0:3], 0 offset:464
	buffer_load_dword v81, off, s[0:3], 0 offset:484
	buffer_load_dword v96, off, s[0:3], 0 offset:520
	buffer_load_dword v102, off, s[0:3], 0 offset:512
	buffer_load_dword v103, off, s[0:3], 0 offset:516
	buffer_load_dword v97, off, s[0:3], 0 offset:524
	ds_read_b128 v[110:113], v1 offset:1344
	ds_read_b128 v[114:117], v1 offset:1360
	;; [unrolled: 1-line block ×10, first 2 shown]
	buffer_load_dword v119, off, s[0:3], 0 offset:500
	buffer_load_dword v118, off, s[0:3], 0 offset:496
	ds_read_b128 v[90:93], v1 offset:1504
	buffer_load_dword v105, off, s[0:3], 0 offset:556
	buffer_load_dword v104, off, s[0:3], 0 offset:552
	;; [unrolled: 1-line block ×6, first 2 shown]
	s_waitcnt vmcnt(46) lgkmcnt(10)
	v_mul_f64 v[2:3], v[110:111], v[60:61]
	v_fmac_f64_e32 v[2:3], v[112:113], v[58:59]
	v_add_f64 v[2:3], v[2:3], 0
	v_mul_f64 v[60:61], v[112:113], v[60:61]
	s_waitcnt vmcnt(42) lgkmcnt(9)
	v_mul_f64 v[4:5], v[114:115], v[62:63]
	v_fmac_f64_e32 v[4:5], v[116:117], v[56:57]
	v_add_f64 v[2:3], v[2:3], v[4:5]
	buffer_load_dword v249, off, s[0:3], 0 offset:532
	buffer_load_dword v248, off, s[0:3], 0 offset:528
	;; [unrolled: 1-line block ×4, first 2 shown]
	s_waitcnt vmcnt(44) lgkmcnt(8)
	v_mul_f64 v[6:7], v[212:213], v[220:221]
	s_waitcnt vmcnt(42) lgkmcnt(6)
	v_mul_f64 v[10:11], v[224:225], v[64:65]
	s_waitcnt vmcnt(40)
	v_fmac_f64_e32 v[10:11], v[226:227], v[66:67]
	s_waitcnt vmcnt(38)
	v_mul_f64 v[8:9], v[216:217], v[68:69]
	s_waitcnt vmcnt(36) lgkmcnt(4)
	v_mul_f64 v[14:15], v[232:233], v[70:71]
	s_waitcnt vmcnt(34)
	v_fmac_f64_e32 v[14:15], v[234:235], v[72:73]
	s_waitcnt vmcnt(32)
	v_mul_f64 v[12:13], v[228:229], v[74:75]
	s_waitcnt vmcnt(30) lgkmcnt(2)
	v_mul_f64 v[18:19], v[240:241], v[78:79]
	v_mul_f64 v[78:79], v[242:243], v[78:79]
	s_waitcnt vmcnt(27)
	v_mul_f64 v[16:17], v[236:237], v[76:77]
	s_waitcnt vmcnt(25) lgkmcnt(1)
	v_mul_f64 v[20:21], v[82:83], v[86:87]
	s_waitcnt vmcnt(23)
	v_fmac_f64_e32 v[6:7], v[214:215], v[100:101]
	v_add_f64 v[2:3], v[2:3], v[6:7]
	s_waitcnt vmcnt(21)
	v_fmac_f64_e32 v[8:9], v[218:219], v[98:99]
	v_add_f64 v[2:3], v[2:3], v[8:9]
	;; [unrolled: 3-line block ×3, first 2 shown]
	v_add_f64 v[2:3], v[2:3], v[12:13]
	s_waitcnt vmcnt(17)
	v_fmac_f64_e32 v[16:17], v[238:239], v[88:89]
	v_add_f64 v[2:3], v[2:3], v[14:15]
	s_waitcnt vmcnt(16)
	v_fmac_f64_e32 v[18:19], v[242:243], v[80:81]
	v_add_f64 v[2:3], v[2:3], v[16:17]
	v_add_f64 v[2:3], v[2:3], v[18:19]
	s_waitcnt vmcnt(10)
	v_fmac_f64_e32 v[20:21], v[84:85], v[118:119]
	v_add_f64 v[2:3], v[2:3], v[20:21]
	v_mul_f64 v[84:85], v[84:85], v[86:87]
	s_waitcnt vmcnt(0)
	v_pk_mov_b32 v[18:19], v[4:5], v[4:5] op_sel:[0,1]
	buffer_load_dword v5, off, s[0:3], 0 offset:580
	buffer_load_dword v4, off, s[0:3], 0 offset:576
	v_accvgpr_write_b32 a191, v19
	v_accvgpr_write_b32 a190, v18
	s_waitcnt vmcnt(0)
	v_pk_mov_b32 v[22:23], v[4:5], v[4:5] op_sel:[0,1]
	buffer_load_dword v137, off, s[0:3], 0 offset:572
	buffer_load_dword v136, off, s[0:3], 0 offset:568
	;; [unrolled: 1-line block ×6, first 2 shown]
	v_accvgpr_write_b32 a193, v23
	v_accvgpr_write_b32 a192, v22
	s_waitcnt vmcnt(0)
	v_pk_mov_b32 v[26:27], v[4:5], v[4:5] op_sel:[0,1]
	buffer_load_dword v5, off, s[0:3], 0 offset:612
	buffer_load_dword v4, off, s[0:3], 0 offset:608
	v_accvgpr_write_b32 a195, v27
	v_accvgpr_write_b32 a194, v26
	s_waitcnt vmcnt(0)
	v_pk_mov_b32 v[28:29], v[4:5], v[4:5] op_sel:[0,1]
	buffer_load_dword v145, off, s[0:3], 0 offset:604
	buffer_load_dword v144, off, s[0:3], 0 offset:600
	;; [unrolled: 1-line block ×60, first 2 shown]
	ds_read_b128 v[244:247], v1 offset:1520
	ds_read_b128 v[252:255], v1 offset:1536
	;; [unrolled: 1-line block ×5, first 2 shown]
	v_accvgpr_write_b32 a197, v29
	s_waitcnt lgkmcnt(3)
	v_mul_f64 v[8:9], v[252:253], v[104:105]
	v_fmac_f64_e32 v[8:9], v[254:255], v[106:107]
	s_waitcnt lgkmcnt(2)
	v_mul_f64 v[12:13], v[120:121], v[136:137]
	v_fmac_f64_e32 v[12:13], v[122:123], v[140:141]
	;; [unrolled: 3-line block ×3, first 2 shown]
	v_accvgpr_write_b32 a196, v28
	s_waitcnt vmcnt(54)
	v_pk_mov_b32 v[34:35], v[4:5], v[4:5] op_sel:[0,1]
	v_mul_f64 v[4:5], v[90:91], v[96:97]
	v_fmac_f64_e32 v[4:5], v[92:93], v[102:103]
	v_add_f64 v[2:3], v[2:3], v[4:5]
	v_mul_f64 v[4:5], v[244:245], v[108:109]
	v_fmac_f64_e32 v[4:5], v[246:247], v[248:249]
	v_add_f64 v[6:7], v[2:3], v[4:5]
	v_add_f64 v[10:11], v[6:7], v[8:9]
	;; [unrolled: 1-line block ×4, first 2 shown]
	ds_read_b128 v[14:17], v1 offset:1600
	s_waitcnt lgkmcnt(1)
	v_mul_f64 v[20:21], v[124:125], v[144:145]
	v_fmac_f64_e32 v[20:21], v[126:127], v[148:149]
	v_add_f64 v[22:23], v[18:19], v[20:21]
	ds_read_b128 v[18:21], v1 offset:1616
	s_waitcnt lgkmcnt(1)
	v_mul_f64 v[24:25], v[14:15], v[26:27]
	v_fmac_f64_e32 v[24:25], v[16:17], v[28:29]
	v_add_f64 v[26:27], v[22:23], v[24:25]
	ds_read_b128 v[22:25], v1 offset:1632
	s_waitcnt vmcnt(50) lgkmcnt(1)
	v_mul_f64 v[28:29], v[18:19], v[152:153]
	s_waitcnt vmcnt(48)
	v_fmac_f64_e32 v[28:29], v[20:21], v[156:157]
	v_add_f64 v[30:31], v[26:27], v[28:29]
	ds_read_b128 v[26:29], v1 offset:1648
	s_waitcnt lgkmcnt(1)
	v_mul_f64 v[32:33], v[22:23], v[34:35]
	v_accvgpr_write_b32 a199, v35
	v_fmac_f64_e32 v[32:33], v[24:25], v[130:131]
	v_accvgpr_write_b32 a198, v34
	v_add_f64 v[34:35], v[30:31], v[32:33]
	ds_read_b128 v[30:33], v1 offset:1664
	s_waitcnt vmcnt(42) lgkmcnt(1)
	v_mul_f64 v[36:37], v[26:27], v[160:161]
	s_waitcnt vmcnt(40)
	v_fmac_f64_e32 v[36:37], v[28:29], v[164:165]
	v_add_f64 v[38:39], v[34:35], v[36:37]
	ds_read_b128 v[34:37], v1 offset:1680
	s_waitcnt lgkmcnt(1)
	v_mul_f64 v[40:41], v[30:31], v[132:133]
	v_fmac_f64_e32 v[40:41], v[32:33], v[134:135]
	v_add_f64 v[42:43], v[38:39], v[40:41]
	ds_read_b128 v[38:41], v1 offset:1696
	s_waitcnt vmcnt(34) lgkmcnt(1)
	v_mul_f64 v[44:45], v[34:35], v[168:169]
	s_waitcnt vmcnt(32)
	v_fmac_f64_e32 v[44:45], v[36:37], v[172:173]
	v_add_f64 v[46:47], v[42:43], v[44:45]
	ds_read_b128 v[42:45], v1 offset:1712
	s_waitcnt lgkmcnt(1)
	v_mul_f64 v[48:49], v[38:39], v[138:139]
	v_fmac_f64_e32 v[48:49], v[40:41], v[142:143]
	v_add_f64 v[50:51], v[46:47], v[48:49]
	ds_read_b128 v[46:49], v1 offset:1728
	s_waitcnt vmcnt(26) lgkmcnt(1)
	v_mul_f64 v[52:53], v[42:43], v[176:177]
	s_waitcnt vmcnt(24)
	v_fmac_f64_e32 v[52:53], v[44:45], v[178:179]
	v_add_f64 v[250:251], v[50:51], v[52:53]
	ds_read_b128 v[50:53], v1 offset:1744
	buffer_load_dword v13, off, s[0:3], 0 offset:860
	buffer_load_dword v12, off, s[0:3], 0 offset:856
	;; [unrolled: 1-line block ×20, first 2 shown]
	v_mul_f64 v[4:5], v[116:117], v[62:63]
	v_fma_f64 v[8:9], v[114:115], v[56:57], -v[4:5]
	v_mul_f64 v[56:57], v[214:215], v[220:221]
	v_fma_f64 v[100:101], v[212:213], v[100:101], -v[56:57]
	;; [unrolled: 2-line block ×3, first 2 shown]
	buffer_load_dword v214, off, s[0:3], 0 offset:936
	buffer_load_dword v216, off, s[0:3], 0 offset:928
	;; [unrolled: 1-line block ×12, first 2 shown]
	s_waitcnt lgkmcnt(1)
	v_mul_f64 v[54:55], v[46:47], v[146:147]
	v_fmac_f64_e32 v[54:55], v[48:49], v[150:151]
	v_fma_f64 v[10:11], v[110:111], v[58:59], -v[60:61]
	v_add_f64 v[58:59], v[250:251], v[54:55]
	v_mul_f64 v[54:55], v[226:227], v[64:65]
	v_fma_f64 v[250:251], v[224:225], v[66:67], -v[54:55]
	buffer_load_dword v225, off, s[0:3], 0 offset:988
	buffer_load_dword v224, off, s[0:3], 0 offset:984
	;; [unrolled: 1-line block ×4, first 2 shown]
	s_waitcnt vmcnt(54) lgkmcnt(0)
	v_mul_f64 v[60:61], v[50:51], v[180:181]
	ds_read_b128 v[54:57], v1 offset:1760
	s_waitcnt vmcnt(52)
	v_fmac_f64_e32 v[60:61], v[52:53], v[182:183]
	v_add_f64 v[62:63], v[58:59], v[60:61]
	v_mul_f64 v[58:59], v[230:231], v[74:75]
	v_fma_f64 v[94:95], v[228:229], v[94:95], -v[58:59]
	ds_read_b128 v[58:61], v1 offset:1776
	s_waitcnt lgkmcnt(1)
	v_mul_f64 v[64:65], v[54:55], v[154:155]
	v_fmac_f64_e32 v[64:65], v[56:57], v[158:159]
	v_add_f64 v[74:75], v[62:63], v[64:65]
	ds_read_b128 v[62:65], v1 offset:1792
	v_mul_f64 v[66:67], v[234:235], v[70:71]
	s_waitcnt vmcnt(46) lgkmcnt(1)
	v_mul_f64 v[70:71], v[58:59], v[184:185]
	v_fma_f64 v[232:233], v[232:233], v[72:73], -v[66:67]
	ds_read_b128 v[66:69], v1 offset:1808
	s_waitcnt vmcnt(44)
	v_fmac_f64_e32 v[70:71], v[60:61], v[186:187]
	v_add_f64 v[74:75], v[74:75], v[70:71]
	v_mul_f64 v[70:71], v[238:239], v[76:77]
	v_fma_f64 v[228:229], v[236:237], v[88:89], -v[70:71]
	ds_read_b128 v[70:73], v1 offset:1824
	s_waitcnt lgkmcnt(2)
	v_mul_f64 v[110:111], v[62:63], v[162:163]
	v_fmac_f64_e32 v[110:111], v[64:65], v[166:167]
	s_waitcnt vmcnt(38) lgkmcnt(1)
	v_mul_f64 v[76:77], v[66:67], v[188:189]
	v_add_f64 v[74:75], v[74:75], v[110:111]
	s_waitcnt vmcnt(36)
	v_fmac_f64_e32 v[76:77], v[68:69], v[190:191]
	v_add_f64 v[74:75], v[74:75], v[76:77]
	v_fma_f64 v[6:7], v[240:241], v[80:81], -v[78:79]
	ds_read_b128 v[78:81], v1 offset:1856
	s_waitcnt lgkmcnt(1)
	v_mul_f64 v[76:77], v[70:71], v[170:171]
	v_fmac_f64_e32 v[76:77], v[72:73], v[174:175]
	v_add_f64 v[88:89], v[74:75], v[76:77]
	ds_read_b128 v[74:77], v1 offset:1840
	v_fma_f64 v[4:5], v[82:83], v[118:119], -v[84:85]
	ds_read_b128 v[82:85], v1 offset:1872
	v_mul_f64 v[92:93], v[92:93], v[96:97]
	v_fma_f64 v[2:3], v[90:91], v[102:103], -v[92:93]
	ds_read_b128 v[236:239], v1 offset:1920
	ds_read_b128 v[240:243], v1 offset:1936
	v_mul_f64 v[108:109], v[246:247], v[108:109]
	v_fma_f64 v[118:119], v[244:245], v[248:249], -v[108:109]
	v_add_f64 v[10:11], v[10:11], 0
	v_add_f64 v[8:9], v[10:11], v[8:9]
	;; [unrolled: 1-line block ×5, first 2 shown]
	ds_read_b128 v[90:93], v1 offset:1904
	v_add_f64 v[8:9], v[8:9], v[94:95]
	v_add_f64 v[8:9], v[8:9], v[232:233]
	;; [unrolled: 1-line block ×5, first 2 shown]
	v_accvgpr_read_b32 v6, a192
	v_accvgpr_read_b32 v7, a193
	s_waitcnt vmcnt(25) lgkmcnt(3)
	v_mul_f64 v[96:97], v[82:83], v[202:203]
	s_waitcnt vmcnt(23)
	v_fmac_f64_e32 v[96:97], v[84:85], v[208:209]
	v_mul_f64 v[110:111], v[74:75], v[12:13]
	v_fmac_f64_e32 v[110:111], v[76:77], v[128:129]
	v_mul_f64 v[86:87], v[78:79], v[198:199]
	v_add_f64 v[88:89], v[88:89], v[110:111]
	v_fmac_f64_e32 v[86:87], v[80:81], v[200:201]
	v_add_f64 v[110:111], v[88:89], v[86:87]
	ds_read_b128 v[86:89], v1 offset:1888
	v_add_f64 v[96:97], v[110:111], v[96:97]
	s_waitcnt vmcnt(22) lgkmcnt(0)
	v_mul_f64 v[102:103], v[86:87], v[196:197]
	s_waitcnt vmcnt(20)
	v_fmac_f64_e32 v[102:103], v[88:89], v[206:207]
	v_add_f64 v[96:97], v[96:97], v[102:103]
	s_waitcnt vmcnt(18)
	v_mul_f64 v[102:103], v[90:91], v[204:205]
	s_waitcnt vmcnt(16)
	v_fmac_f64_e32 v[102:103], v[92:93], v[210:211]
	v_add_f64 v[96:97], v[96:97], v[102:103]
	v_mul_f64 v[102:103], v[254:255], v[104:105]
	v_fma_f64 v[252:253], v[252:253], v[106:107], -v[102:103]
	ds_read_b128 v[102:105], v1 offset:1952
	s_waitcnt vmcnt(13)
	v_mul_f64 v[106:107], v[236:237], v[214:215]
	s_waitcnt vmcnt(12)
	v_fmac_f64_e32 v[106:107], v[238:239], v[216:217]
	v_add_f64 v[96:97], v[96:97], v[106:107]
	s_waitcnt vmcnt(9)
	v_mul_f64 v[106:107], v[240:241], v[220:221]
	s_waitcnt vmcnt(7)
	v_fmac_f64_e32 v[106:107], v[242:243], v[222:223]
	v_add_f64 v[96:97], v[96:97], v[106:107]
	s_waitcnt vmcnt(5) lgkmcnt(0)
	v_mul_f64 v[106:107], v[102:103], v[212:213]
	s_waitcnt vmcnt(4)
	v_fmac_f64_e32 v[106:107], v[104:105], v[218:219]
	v_add_f64 v[96:97], v[96:97], v[106:107]
	ds_read_b128 v[106:109], v1 offset:1968
	v_add_f64 v[254:255], v[4:5], v[2:3]
	v_add_f64 v[2:3], v[254:255], v[118:119]
	v_mul_f64 v[4:5], v[122:123], v[136:137]
	v_add_f64 v[2:3], v[2:3], v[252:253]
	s_waitcnt vmcnt(2) lgkmcnt(0)
	v_mul_f64 v[110:111], v[106:107], v[224:225]
	s_waitcnt vmcnt(0)
	v_fmac_f64_e32 v[110:111], v[108:109], v[226:227]
	v_add_f64 v[114:115], v[96:97], v[110:111]
	buffer_load_dword v96, off, s[0:3], 0 offset:1000
	buffer_load_dword v97, off, s[0:3], 0 offset:1004
	;; [unrolled: 1-line block ×4, first 2 shown]
	ds_read_b128 v[110:113], v1 offset:1984
	buffer_load_dword v235, off, s[0:3], 0 offset:1020
	buffer_load_dword v234, off, s[0:3], 0 offset:1016
	;; [unrolled: 1-line block ×4, first 2 shown]
	v_fma_f64 v[4:5], v[120:121], v[140:141], -v[4:5]
	v_add_f64 v[2:3], v[2:3], v[4:5]
	v_accvgpr_read_b32 v4, a190
	v_accvgpr_read_b32 v5, a191
	v_mul_f64 v[4:5], v[194:195], v[4:5]
	v_fma_f64 v[4:5], v[192:193], v[6:7], -v[4:5]
	v_add_f64 v[2:3], v[2:3], v[4:5]
	v_mul_f64 v[4:5], v[126:127], v[144:145]
	v_fma_f64 v[4:5], v[124:125], v[148:149], -v[4:5]
	v_add_f64 v[2:3], v[2:3], v[4:5]
	v_accvgpr_read_b32 v4, a194
	v_accvgpr_read_b32 v5, a195
	;; [unrolled: 1-line block ×3, first 2 shown]
	v_mul_f64 v[4:5], v[16:17], v[4:5]
	v_accvgpr_read_b32 v7, a197
	v_fma_f64 v[4:5], v[14:15], v[6:7], -v[4:5]
	v_add_f64 v[2:3], v[2:3], v[4:5]
	v_mul_f64 v[4:5], v[20:21], v[152:153]
	v_fma_f64 v[4:5], v[18:19], v[156:157], -v[4:5]
	v_add_f64 v[2:3], v[2:3], v[4:5]
	v_accvgpr_read_b32 v4, a198
	v_accvgpr_read_b32 v5, a199
	v_mul_f64 v[4:5], v[24:25], v[4:5]
	v_fma_f64 v[4:5], v[22:23], v[130:131], -v[4:5]
	v_add_f64 v[2:3], v[2:3], v[4:5]
	v_mul_f64 v[4:5], v[28:29], v[160:161]
	v_fma_f64 v[4:5], v[26:27], v[164:165], -v[4:5]
	v_add_f64 v[2:3], v[2:3], v[4:5]
	;; [unrolled: 3-line block ×17, first 2 shown]
	v_mul_f64 v[4:5], v[92:93], v[204:205]
	v_fma_f64 v[4:5], v[90:91], v[210:211], -v[4:5]
	s_waitcnt vmcnt(6) lgkmcnt(0)
	v_mul_f64 v[116:117], v[110:111], v[96:97]
	v_add_f64 v[2:3], v[2:3], v[4:5]
	s_waitcnt vmcnt(4)
	v_fmac_f64_e32 v[116:117], v[112:113], v[230:231]
	v_add_f64 v[246:247], v[114:115], v[116:117]
	ds_read_b128 v[114:117], v1 offset:2000
	v_mul_f64 v[4:5], v[238:239], v[214:215]
	v_fma_f64 v[4:5], v[236:237], v[216:217], -v[4:5]
	v_add_f64 v[2:3], v[2:3], v[4:5]
	v_mul_f64 v[4:5], v[242:243], v[220:221]
	s_waitcnt vmcnt(2) lgkmcnt(0)
	v_mul_f64 v[0:1], v[114:115], v[234:235]
	s_waitcnt vmcnt(0)
	v_fmac_f64_e32 v[0:1], v[116:117], v[244:245]
	v_add_f64 v[0:1], v[246:247], v[0:1]
	buffer_load_dword v248, off, s[0:3], 0 offset:336
	buffer_load_dword v249, off, s[0:3], 0 offset:340
	;; [unrolled: 1-line block ×4, first 2 shown]
	v_fma_f64 v[4:5], v[240:241], v[222:223], -v[4:5]
	v_add_f64 v[2:3], v[2:3], v[4:5]
	v_mul_f64 v[4:5], v[104:105], v[212:213]
	v_fma_f64 v[4:5], v[102:103], v[218:219], -v[4:5]
	v_add_f64 v[2:3], v[2:3], v[4:5]
	v_mul_f64 v[4:5], v[108:109], v[224:225]
	;; [unrolled: 3-line block ×4, first 2 shown]
	v_fma_f64 v[4:5], v[114:115], v[244:245], -v[4:5]
	v_add_f64 v[2:3], v[2:3], v[4:5]
	s_waitcnt vmcnt(2)
	v_add_f64 v[2:3], v[248:249], -v[2:3]
	s_waitcnt vmcnt(0)
	v_add_f64 v[0:1], v[246:247], -v[0:1]
	buffer_store_dword v3, off, s[0:3], 0 offset:340
	buffer_store_dword v2, off, s[0:3], 0 offset:336
	;; [unrolled: 1-line block ×4, first 2 shown]
	v_accvgpr_read_b32 v0, a188
	v_cmp_lt_u32_e32 vcc, 19, v0
	s_and_saveexec_b64 s[4:5], vcc
	s_cbranch_execz .LBB62_365
; %bb.364:
	v_accvgpr_read_b32 v0, a169
	buffer_load_dword v2, v0, s[0:3], 0 offen
	buffer_load_dword v3, v0, s[0:3], 0 offen offset:4
	buffer_load_dword v4, v0, s[0:3], 0 offen offset:8
	;; [unrolled: 1-line block ×3, first 2 shown]
	v_mov_b32_e32 v0, 0
	v_accvgpr_read_b32 v1, a189
	buffer_store_dword v0, off, s[0:3], 0 offset:320
	buffer_store_dword v0, off, s[0:3], 0 offset:324
	;; [unrolled: 1-line block ×4, first 2 shown]
	s_waitcnt vmcnt(4)
	ds_write_b128 v1, v[2:5]
.LBB62_365:
	s_or_b64 exec, exec, s[4:5]
	s_waitcnt lgkmcnt(0)
	; wave barrier
	s_waitcnt lgkmcnt(0)
	buffer_load_dword v50, off, s[0:3], 0 offset:336
	buffer_load_dword v51, off, s[0:3], 0 offset:340
	;; [unrolled: 1-line block ×54, first 2 shown]
	v_mov_b32_e32 v1, 0
	ds_read_b128 v[102:105], v1 offset:1328
	ds_read_b128 v[106:109], v1 offset:1344
	;; [unrolled: 1-line block ×9, first 2 shown]
	v_accvgpr_read_b32 v0, a188
	v_cmp_lt_u32_e32 vcc, 18, v0
	s_waitcnt vmcnt(46) lgkmcnt(7)
	v_mul_f64 v[4:5], v[106:107], v[58:59]
	v_fmac_f64_e32 v[4:5], v[108:109], v[52:53]
	s_waitcnt vmcnt(44) lgkmcnt(6)
	v_mul_f64 v[6:7], v[110:111], v[54:55]
	s_waitcnt vmcnt(42) lgkmcnt(4)
	v_mul_f64 v[10:11], v[208:209], v[62:63]
	s_waitcnt vmcnt(40)
	v_fmac_f64_e32 v[10:11], v[210:211], v[60:61]
	s_waitcnt vmcnt(38)
	v_mul_f64 v[8:9], v[114:115], v[64:65]
	s_waitcnt vmcnt(36) lgkmcnt(2)
	v_mul_f64 v[14:15], v[228:229], v[66:67]
	s_waitcnt vmcnt(34)
	v_fmac_f64_e32 v[14:15], v[230:231], v[70:71]
	s_waitcnt vmcnt(32)
	;; [unrolled: 6-line block ×3, first 2 shown]
	v_fmac_f64_e32 v[8:9], v[116:117], v[212:213]
	s_waitcnt vmcnt(24)
	v_fmac_f64_e32 v[12:13], v[226:227], v[78:79]
	s_waitcnt vmcnt(22)
	v_fmac_f64_e32 v[16:17], v[234:235], v[72:73]
	s_waitcnt vmcnt(0)
	v_pk_mov_b32 v[18:19], v[2:3], v[2:3] op_sel:[0,1]
	v_mul_f64 v[2:3], v[102:103], v[56:57]
	v_fmac_f64_e32 v[2:3], v[104:105], v[50:51]
	v_add_f64 v[2:3], v[2:3], 0
	v_add_f64 v[2:3], v[2:3], v[4:5]
	buffer_load_dword v5, off, s[0:3], 0 offset:564
	buffer_load_dword v4, off, s[0:3], 0 offset:560
	v_add_f64 v[2:3], v[2:3], v[6:7]
	v_add_f64 v[2:3], v[2:3], v[8:9]
	;; [unrolled: 1-line block ×6, first 2 shown]
	v_accvgpr_write_b32 a191, v19
	v_accvgpr_write_b32 a190, v18
	s_waitcnt vmcnt(0)
	v_pk_mov_b32 v[14:15], v[4:5], v[4:5] op_sel:[0,1]
	buffer_load_dword v81, off, s[0:3], 0 offset:556
	buffer_load_dword v80, off, s[0:3], 0 offset:552
	;; [unrolled: 1-line block ×6, first 2 shown]
	v_accvgpr_write_b32 a193, v15
	v_accvgpr_write_b32 a192, v14
	s_waitcnt vmcnt(0)
	v_pk_mov_b32 v[22:23], v[4:5], v[4:5] op_sel:[0,1]
	buffer_load_dword v5, off, s[0:3], 0 offset:596
	buffer_load_dword v4, off, s[0:3], 0 offset:592
	v_accvgpr_write_b32 a195, v23
	v_accvgpr_write_b32 a194, v22
	s_waitcnt vmcnt(0)
	v_pk_mov_b32 v[24:25], v[4:5], v[4:5] op_sel:[0,1]
	buffer_load_dword v141, off, s[0:3], 0 offset:588
	buffer_load_dword v140, off, s[0:3], 0 offset:584
	;; [unrolled: 1-line block ×52, first 2 shown]
	ds_read_b128 v[240:243], v1 offset:1472
	ds_read_b128 v[244:247], v1 offset:1488
	;; [unrolled: 1-line block ×7, first 2 shown]
	v_accvgpr_write_b32 a197, v25
	v_accvgpr_write_b32 a196, v24
	s_waitcnt lgkmcnt(2)
	v_mul_f64 v[8:9], v[118:119], v[80:81]
	v_fmac_f64_e32 v[8:9], v[120:121], v[82:83]
	s_waitcnt lgkmcnt(1)
	v_mul_f64 v[12:13], v[126:127], v[18:19]
	v_fmac_f64_e32 v[12:13], v[128:129], v[14:15]
	v_mul_f64 v[80:81], v[120:121], v[80:81]
	s_waitcnt vmcnt(46)
	v_pk_mov_b32 v[30:31], v[4:5], v[4:5] op_sel:[0,1]
	v_mul_f64 v[4:5], v[236:237], v[74:75]
	v_fmac_f64_e32 v[4:5], v[238:239], v[84:85]
	v_add_f64 v[2:3], v[2:3], v[4:5]
	v_mul_f64 v[4:5], v[240:241], v[90:91]
	v_fmac_f64_e32 v[4:5], v[242:243], v[92:93]
	v_add_f64 v[2:3], v[2:3], v[4:5]
	v_mul_f64 v[4:5], v[244:245], v[86:87]
	v_fmac_f64_e32 v[4:5], v[246:247], v[88:89]
	v_add_f64 v[2:3], v[2:3], v[4:5]
	v_mul_f64 v[4:5], v[248:249], v[98:99]
	v_fmac_f64_e32 v[4:5], v[250:251], v[100:101]
	v_add_f64 v[2:3], v[2:3], v[4:5]
	v_mul_f64 v[4:5], v[252:253], v[94:95]
	v_fmac_f64_e32 v[4:5], v[254:255], v[96:97]
	v_add_f64 v[6:7], v[2:3], v[4:5]
	v_add_f64 v[10:11], v[6:7], v[8:9]
	v_add_f64 v[14:15], v[10:11], v[12:13]
	ds_read_b128 v[10:13], v1 offset:1584
	s_waitcnt lgkmcnt(1)
	v_mul_f64 v[16:17], v[122:123], v[140:141]
	v_fmac_f64_e32 v[16:17], v[124:125], v[144:145]
	v_add_f64 v[18:19], v[14:15], v[16:17]
	ds_read_b128 v[14:17], v1 offset:1600
	s_waitcnt lgkmcnt(1)
	v_mul_f64 v[20:21], v[10:11], v[22:23]
	v_fmac_f64_e32 v[20:21], v[12:13], v[24:25]
	v_add_f64 v[22:23], v[18:19], v[20:21]
	ds_read_b128 v[18:21], v1 offset:1616
	s_waitcnt vmcnt(42) lgkmcnt(1)
	v_mul_f64 v[24:25], v[14:15], v[148:149]
	s_waitcnt vmcnt(40)
	v_fmac_f64_e32 v[24:25], v[16:17], v[152:153]
	v_add_f64 v[26:27], v[22:23], v[24:25]
	ds_read_b128 v[22:25], v1 offset:1632
	s_waitcnt lgkmcnt(1)
	v_mul_f64 v[28:29], v[18:19], v[30:31]
	v_accvgpr_write_b32 a199, v31
	v_fmac_f64_e32 v[28:29], v[20:21], v[130:131]
	v_accvgpr_write_b32 a198, v30
	v_add_f64 v[30:31], v[26:27], v[28:29]
	ds_read_b128 v[26:29], v1 offset:1648
	s_waitcnt vmcnt(34) lgkmcnt(1)
	v_mul_f64 v[32:33], v[22:23], v[156:157]
	s_waitcnt vmcnt(32)
	v_fmac_f64_e32 v[32:33], v[24:25], v[160:161]
	v_add_f64 v[34:35], v[30:31], v[32:33]
	ds_read_b128 v[30:33], v1 offset:1664
	s_waitcnt lgkmcnt(1)
	v_mul_f64 v[36:37], v[26:27], v[132:133]
	v_fmac_f64_e32 v[36:37], v[28:29], v[134:135]
	v_add_f64 v[38:39], v[34:35], v[36:37]
	ds_read_b128 v[34:37], v1 offset:1680
	s_waitcnt vmcnt(26) lgkmcnt(1)
	v_mul_f64 v[40:41], v[30:31], v[164:165]
	s_waitcnt vmcnt(24)
	v_fmac_f64_e32 v[40:41], v[32:33], v[166:167]
	v_add_f64 v[42:43], v[38:39], v[40:41]
	ds_read_b128 v[38:41], v1 offset:1696
	s_waitcnt lgkmcnt(1)
	v_mul_f64 v[44:45], v[34:35], v[136:137]
	v_fmac_f64_e32 v[44:45], v[36:37], v[138:139]
	v_add_f64 v[46:47], v[42:43], v[44:45]
	ds_read_b128 v[42:45], v1 offset:1712
	buffer_load_dword v181, off, s[0:3], 0 offset:828
	buffer_load_dword v183, off, s[0:3], 0 offset:812
	;; [unrolled: 1-line block ×8, first 2 shown]
	s_waitcnt vmcnt(26) lgkmcnt(1)
	v_mul_f64 v[48:49], v[38:39], v[168:169]
	s_waitcnt vmcnt(24)
	v_fmac_f64_e32 v[48:49], v[40:41], v[170:171]
	v_add_f64 v[192:193], v[46:47], v[48:49]
	ds_read_b128 v[46:49], v1 offset:1728
	buffer_load_dword v189, off, s[0:3], 0 offset:844
	buffer_load_dword v188, off, s[0:3], 0 offset:840
	;; [unrolled: 1-line block ×4, first 2 shown]
	s_waitcnt lgkmcnt(1)
	v_mul_f64 v[194:195], v[42:43], v[142:143]
	v_fmac_f64_e32 v[194:195], v[44:45], v[146:147]
	v_add_f64 v[2:3], v[192:193], v[194:195]
	buffer_load_dword v193, off, s[0:3], 0 offset:860
	buffer_load_dword v192, off, s[0:3], 0 offset:856
	;; [unrolled: 1-line block ×8, first 2 shown]
	v_mul_f64 v[4:5], v[104:105], v[56:57]
	v_fma_f64 v[6:7], v[102:103], v[50:51], -v[4:5]
	buffer_load_dword v200, off, s[0:3], 0 offset:888
	v_mul_f64 v[50:51], v[108:109], v[58:59]
	v_fma_f64 v[102:103], v[106:107], v[52:53], -v[50:51]
	buffer_load_dword v202, off, s[0:3], 0 offset:880
	buffer_load_dword v201, off, s[0:3], 0 offset:892
	;; [unrolled: 1-line block ×3, first 2 shown]
	v_mul_f64 v[50:51], v[112:113], v[54:55]
	v_fma_f64 v[104:105], v[110:111], v[204:205], -v[50:51]
	buffer_load_dword v205, off, s[0:3], 0 offset:908
	buffer_load_dword v204, off, s[0:3], 0 offset:904
	;; [unrolled: 1-line block ×4, first 2 shown]
	v_mul_f64 v[50:51], v[116:117], v[64:65]
	v_fma_f64 v[106:107], v[114:115], v[212:213], -v[50:51]
	v_mul_f64 v[50:51], v[210:211], v[62:63]
	buffer_load_dword v211, off, s[0:3], 0 offset:924
	buffer_load_dword v210, off, s[0:3], 0 offset:920
	;; [unrolled: 1-line block ×4, first 2 shown]
	v_fma_f64 v[108:109], v[208:209], v[60:61], -v[50:51]
	buffer_load_dword v209, off, s[0:3], 0 offset:956
	buffer_load_dword v215, off, s[0:3], 0 offset:940
	;; [unrolled: 1-line block ×12, first 2 shown]
	ds_read_b128 v[50:53], v1 offset:1744
	v_mul_f64 v[54:55], v[226:227], v[76:77]
	v_fma_f64 v[224:225], v[224:225], v[78:79], -v[54:55]
	ds_read_b128 v[54:57], v1 offset:1760
	s_waitcnt vmcnt(54) lgkmcnt(2)
	v_mul_f64 v[58:59], v[46:47], v[172:173]
	s_waitcnt vmcnt(52)
	v_fmac_f64_e32 v[58:59], v[48:49], v[174:175]
	v_add_f64 v[2:3], v[2:3], v[58:59]
	s_waitcnt lgkmcnt(1)
	v_mul_f64 v[58:59], v[50:51], v[150:151]
	v_fmac_f64_e32 v[58:59], v[52:53], v[154:155]
	v_add_f64 v[2:3], v[2:3], v[58:59]
	s_waitcnt vmcnt(46) lgkmcnt(0)
	v_mul_f64 v[58:59], v[54:55], v[176:177]
	s_waitcnt vmcnt(44)
	v_fmac_f64_e32 v[58:59], v[56:57], v[178:179]
	v_add_f64 v[2:3], v[2:3], v[58:59]
	ds_read_b128 v[58:61], v1 offset:1776
	v_mul_f64 v[62:63], v[230:231], v[66:67]
	v_fma_f64 v[78:79], v[228:229], v[70:71], -v[62:63]
	ds_read_b128 v[62:65], v1 offset:1792
	v_mul_f64 v[66:67], v[234:235], v[68:69]
	v_fma_f64 v[232:233], v[232:233], v[72:73], -v[66:67]
	ds_read_b128 v[66:69], v1 offset:1808
	s_waitcnt lgkmcnt(2)
	v_mul_f64 v[70:71], v[58:59], v[158:159]
	v_fmac_f64_e32 v[70:71], v[60:61], v[162:163]
	v_add_f64 v[2:3], v[2:3], v[70:71]
	v_mul_f64 v[74:75], v[238:239], v[74:75]
	v_fma_f64 v[226:227], v[236:237], v[84:85], -v[74:75]
	ds_read_b128 v[74:77], v1 offset:1840
	v_mul_f64 v[90:91], v[242:243], v[90:91]
	v_fma_f64 v[4:5], v[240:241], v[92:93], -v[90:91]
	ds_read_b128 v[240:243], v1 offset:1872
	v_mul_f64 v[90:91], v[250:251], v[98:99]
	v_mul_f64 v[94:95], v[254:255], v[94:95]
	v_fma_f64 v[252:253], v[252:253], v[96:97], -v[94:95]
	v_fma_f64 v[250:251], v[118:119], v[82:83], -v[80:81]
	v_add_f64 v[6:7], v[6:7], 0
	v_add_f64 v[6:7], v[6:7], v[102:103]
	ds_read_b128 v[236:239], v1 offset:1856
	v_add_f64 v[6:7], v[6:7], v[104:105]
	v_add_f64 v[6:7], v[6:7], v[106:107]
	;; [unrolled: 1-line block ×8, first 2 shown]
	v_accvgpr_read_b32 v6, a190
	ds_read_b128 v[94:97], v1 offset:1920
	v_accvgpr_read_b32 v7, a191
	v_mul_f64 v[6:7], v[128:129], v[6:7]
	ds_read_b128 v[118:121], v1 offset:1952
	s_waitcnt vmcnt(41) lgkmcnt(6)
	v_mul_f64 v[70:71], v[62:63], v[182:183]
	s_waitcnt vmcnt(39)
	v_fmac_f64_e32 v[70:71], v[64:65], v[186:187]
	v_add_f64 v[2:3], v[2:3], v[70:71]
	s_waitcnt vmcnt(38) lgkmcnt(5)
	v_mul_f64 v[70:71], v[66:67], v[180:181]
	s_waitcnt vmcnt(36)
	v_fmac_f64_e32 v[70:71], v[68:69], v[184:185]
	v_add_f64 v[2:3], v[2:3], v[70:71]
	ds_read_b128 v[70:73], v1 offset:1824
	s_waitcnt vmcnt(30) lgkmcnt(5)
	v_mul_f64 v[8:9], v[74:75], v[192:193]
	s_waitcnt vmcnt(28)
	v_fmac_f64_e32 v[8:9], v[76:77], v[196:197]
	s_waitcnt lgkmcnt(0)
	v_mul_f64 v[84:85], v[70:71], v[188:189]
	v_fmac_f64_e32 v[84:85], v[72:73], v[190:191]
	v_add_f64 v[2:3], v[2:3], v[84:85]
	v_add_f64 v[2:3], v[2:3], v[8:9]
	s_waitcnt vmcnt(26)
	v_mul_f64 v[8:9], v[236:237], v[194:195]
	s_waitcnt vmcnt(24)
	v_fmac_f64_e32 v[8:9], v[238:239], v[198:199]
	v_add_f64 v[2:3], v[2:3], v[8:9]
	v_mul_f64 v[8:9], v[246:247], v[86:87]
	v_fma_f64 v[8:9], v[244:245], v[88:89], -v[8:9]
	ds_read_b128 v[86:89], v1 offset:1888
	v_fma_f64 v[246:247], v[248:249], v[100:101], -v[90:91]
	ds_read_b128 v[90:93], v1 offset:1904
	s_waitcnt vmcnt(21)
	v_mul_f64 v[84:85], v[240:241], v[200:201]
	s_waitcnt vmcnt(20)
	v_fmac_f64_e32 v[84:85], v[242:243], v[202:203]
	s_waitcnt vmcnt(18) lgkmcnt(1)
	v_mul_f64 v[98:99], v[86:87], v[204:205]
	v_add_f64 v[84:85], v[2:3], v[84:85]
	s_waitcnt vmcnt(16)
	v_fmac_f64_e32 v[98:99], v[88:89], v[206:207]
	v_add_f64 v[84:85], v[84:85], v[98:99]
	s_waitcnt vmcnt(14) lgkmcnt(0)
	v_mul_f64 v[98:99], v[90:91], v[210:211]
	buffer_load_dword v2, off, s[0:3], 0 offset:984
	s_waitcnt vmcnt(13)
	v_fmac_f64_e32 v[98:99], v[92:93], v[212:213]
	v_add_f64 v[84:85], v[84:85], v[98:99]
	ds_read_b128 v[98:101], v1 offset:1936
	buffer_load_dword v254, off, s[0:3], 0 offset:976
	buffer_load_dword v3, off, s[0:3], 0 offset:988
	;; [unrolled: 1-line block ×3, first 2 shown]
	s_waitcnt vmcnt(13)
	v_mul_f64 v[80:81], v[94:95], v[214:215]
	s_waitcnt vmcnt(11)
	v_fmac_f64_e32 v[80:81], v[96:97], v[220:221]
	v_add_f64 v[80:81], v[84:85], v[80:81]
	s_waitcnt vmcnt(10) lgkmcnt(0)
	v_mul_f64 v[82:83], v[98:99], v[208:209]
	s_waitcnt vmcnt(8)
	v_fmac_f64_e32 v[82:83], v[100:101], v[218:219]
	v_add_f64 v[80:81], v[80:81], v[82:83]
	s_waitcnt vmcnt(6)
	v_mul_f64 v[82:83], v[118:119], v[216:217]
	s_waitcnt vmcnt(4)
	v_fmac_f64_e32 v[82:83], v[120:121], v[222:223]
	v_add_f64 v[80:81], v[80:81], v[82:83]
	ds_read_b128 v[82:85], v1 offset:1968
	buffer_load_dword v229, off, s[0:3], 0 offset:1004
	buffer_load_dword v228, off, s[0:3], 0 offset:1000
	;; [unrolled: 1-line block ×4, first 2 shown]
	v_add_f64 v[4:5], v[4:5], v[8:9]
	v_add_f64 v[4:5], v[4:5], v[246:247]
	v_accvgpr_read_b32 v8, a192
	v_add_f64 v[252:253], v[4:5], v[252:253]
	v_accvgpr_read_b32 v9, a193
	v_add_f64 v[4:5], v[252:253], v[250:251]
	v_fma_f64 v[6:7], v[126:127], v[8:9], -v[6:7]
	v_add_f64 v[4:5], v[4:5], v[6:7]
	v_mul_f64 v[6:7], v[124:125], v[140:141]
	v_fma_f64 v[6:7], v[122:123], v[144:145], -v[6:7]
	v_add_f64 v[4:5], v[4:5], v[6:7]
	v_accvgpr_read_b32 v6, a194
	v_accvgpr_read_b32 v7, a195
	v_accvgpr_read_b32 v8, a196
	v_mul_f64 v[6:7], v[12:13], v[6:7]
	v_accvgpr_read_b32 v9, a197
	v_fma_f64 v[6:7], v[10:11], v[8:9], -v[6:7]
	v_add_f64 v[4:5], v[4:5], v[6:7]
	v_mul_f64 v[6:7], v[16:17], v[148:149]
	v_fma_f64 v[6:7], v[14:15], v[152:153], -v[6:7]
	v_add_f64 v[4:5], v[4:5], v[6:7]
	v_accvgpr_read_b32 v6, a198
	v_accvgpr_read_b32 v7, a199
	v_mul_f64 v[6:7], v[20:21], v[6:7]
	v_fma_f64 v[6:7], v[18:19], v[130:131], -v[6:7]
	v_add_f64 v[4:5], v[4:5], v[6:7]
	v_mul_f64 v[6:7], v[24:25], v[156:157]
	v_fma_f64 v[6:7], v[22:23], v[160:161], -v[6:7]
	v_add_f64 v[4:5], v[4:5], v[6:7]
	;; [unrolled: 3-line block ×14, first 2 shown]
	v_mul_f64 v[6:7], v[76:77], v[192:193]
	v_fma_f64 v[6:7], v[74:75], v[196:197], -v[6:7]
	s_waitcnt vmcnt(5) lgkmcnt(0)
	v_mul_f64 v[110:111], v[82:83], v[2:3]
	s_waitcnt vmcnt(4)
	v_fmac_f64_e32 v[110:111], v[84:85], v[254:255]
	v_add_f64 v[80:81], v[80:81], v[110:111]
	ds_read_b128 v[110:113], v1 offset:1984
	buffer_load_dword v234, off, s[0:3], 0 offset:1016
	buffer_load_dword v235, off, s[0:3], 0 offset:1020
	;; [unrolled: 1-line block ×4, first 2 shown]
	v_add_f64 v[4:5], v[4:5], v[6:7]
	v_mul_f64 v[6:7], v[238:239], v[194:195]
	v_fma_f64 v[6:7], v[236:237], v[198:199], -v[6:7]
	v_add_f64 v[4:5], v[4:5], v[6:7]
	v_mul_f64 v[6:7], v[242:243], v[200:201]
	s_waitcnt vmcnt(6) lgkmcnt(0)
	v_mul_f64 v[114:115], v[110:111], v[228:229]
	v_fma_f64 v[6:7], v[240:241], v[202:203], -v[6:7]
	s_waitcnt vmcnt(4)
	v_fmac_f64_e32 v[114:115], v[112:113], v[230:231]
	v_add_f64 v[80:81], v[80:81], v[114:115]
	ds_read_b128 v[114:117], v1 offset:2000
	v_add_f64 v[4:5], v[4:5], v[6:7]
	v_mul_f64 v[6:7], v[88:89], v[204:205]
	v_fma_f64 v[6:7], v[86:87], v[206:207], -v[6:7]
	v_add_f64 v[4:5], v[4:5], v[6:7]
	v_mul_f64 v[6:7], v[92:93], v[210:211]
	v_fma_f64 v[6:7], v[90:91], v[212:213], -v[6:7]
	;; [unrolled: 3-line block ×5, first 2 shown]
	v_mul_f64 v[2:3], v[84:85], v[2:3]
	v_add_f64 v[4:5], v[4:5], v[6:7]
	v_fma_f64 v[2:3], v[82:83], v[254:255], -v[2:3]
	v_add_f64 v[2:3], v[4:5], v[2:3]
	v_mul_f64 v[4:5], v[112:113], v[228:229]
	v_fma_f64 v[4:5], v[110:111], v[230:231], -v[4:5]
	v_add_f64 v[2:3], v[2:3], v[4:5]
	s_waitcnt vmcnt(2) lgkmcnt(0)
	v_mul_f64 v[248:249], v[114:115], v[234:235]
	v_mul_f64 v[4:5], v[116:117], v[234:235]
	s_waitcnt vmcnt(0)
	v_fmac_f64_e32 v[248:249], v[116:117], v[244:245]
	v_add_f64 v[80:81], v[80:81], v[248:249]
	buffer_load_dword v248, off, s[0:3], 0 offset:320
	buffer_load_dword v249, off, s[0:3], 0 offset:324
	;; [unrolled: 1-line block ×4, first 2 shown]
	v_fma_f64 v[4:5], v[114:115], v[244:245], -v[4:5]
	v_add_f64 v[2:3], v[2:3], v[4:5]
	s_waitcnt vmcnt(2)
	v_add_f64 v[2:3], v[248:249], -v[2:3]
	s_waitcnt vmcnt(0)
	v_add_f64 v[4:5], v[246:247], -v[80:81]
	buffer_store_dword v3, off, s[0:3], 0 offset:324
	buffer_store_dword v2, off, s[0:3], 0 offset:320
	;; [unrolled: 1-line block ×4, first 2 shown]
	s_and_saveexec_b64 s[4:5], vcc
	s_cbranch_execz .LBB62_367
; %bb.366:
	v_accvgpr_read_b32 v0, a170
	buffer_load_dword v2, v0, s[0:3], 0 offen
	buffer_load_dword v3, v0, s[0:3], 0 offen offset:4
	buffer_load_dword v4, v0, s[0:3], 0 offen offset:8
	;; [unrolled: 1-line block ×3, first 2 shown]
	v_accvgpr_read_b32 v0, a189
	buffer_store_dword v1, off, s[0:3], 0 offset:304
	buffer_store_dword v1, off, s[0:3], 0 offset:308
	buffer_store_dword v1, off, s[0:3], 0 offset:312
	buffer_store_dword v1, off, s[0:3], 0 offset:316
	s_waitcnt vmcnt(4)
	ds_write_b128 v0, v[2:5]
.LBB62_367:
	s_or_b64 exec, exec, s[4:5]
	s_waitcnt lgkmcnt(0)
	; wave barrier
	s_waitcnt lgkmcnt(0)
	buffer_load_dword v186, off, s[0:3], 0 offset:320
	buffer_load_dword v187, off, s[0:3], 0 offset:324
	;; [unrolled: 1-line block ×36, first 2 shown]
	ds_read_b128 v[82:85], v1 offset:1312
	ds_read_b128 v[78:81], v1 offset:1328
	;; [unrolled: 1-line block ×9, first 2 shown]
	buffer_load_dword v227, off, s[0:3], 0 offset:492
	buffer_load_dword v226, off, s[0:3], 0 offset:488
	;; [unrolled: 1-line block ×19, first 2 shown]
	s_waitcnt vmcnt(51) lgkmcnt(8)
	v_mul_f64 v[2:3], v[82:83], v[194:195]
	v_fmac_f64_e32 v[2:3], v[84:85], v[186:187]
	v_add_f64 v[2:3], v[2:3], 0
	s_waitcnt vmcnt(47) lgkmcnt(7)
	v_mul_f64 v[4:5], v[78:79], v[196:197]
	v_fmac_f64_e32 v[4:5], v[80:81], v[86:87]
	v_add_f64 v[2:3], v[2:3], v[4:5]
	buffer_load_dword v236, off, s[0:3], 0 offset:544
	buffer_load_dword v113, off, s[0:3], 0 offset:540
	;; [unrolled: 1-line block ×7, first 2 shown]
	s_waitcnt vmcnt(52) lgkmcnt(6)
	v_mul_f64 v[6:7], v[74:75], v[88:89]
	s_waitcnt vmcnt(50) lgkmcnt(4)
	v_mul_f64 v[10:11], v[62:63], v[212:213]
	s_waitcnt vmcnt(48)
	v_fmac_f64_e32 v[10:11], v[64:65], v[214:215]
	v_mul_f64 v[80:81], v[80:81], v[196:197]
	s_waitcnt vmcnt(46)
	v_mul_f64 v[8:9], v[70:71], v[202:203]
	v_mul_f64 v[64:65], v[64:65], v[212:213]
	s_waitcnt vmcnt(44) lgkmcnt(2)
	v_mul_f64 v[14:15], v[54:55], v[104:105]
	s_waitcnt vmcnt(42)
	v_fmac_f64_e32 v[14:15], v[56:57], v[108:109]
	v_mul_f64 v[56:57], v[56:57], v[104:105]
	s_waitcnt vmcnt(40)
	v_mul_f64 v[12:13], v[50:51], v[216:217]
	v_fma_f64 v[104:105], v[54:55], v[108:109], -v[56:57]
	s_waitcnt vmcnt(38) lgkmcnt(1)
	v_mul_f64 v[16:17], v[58:59], v[106:107]
	s_waitcnt vmcnt(36)
	v_fmac_f64_e32 v[6:7], v[76:77], v[200:201]
	v_add_f64 v[2:3], v[2:3], v[6:7]
	s_waitcnt vmcnt(34)
	v_fmac_f64_e32 v[8:9], v[72:73], v[116:117]
	v_add_f64 v[2:3], v[2:3], v[8:9]
	;; [unrolled: 3-line block ×3, first 2 shown]
	v_add_f64 v[2:3], v[2:3], v[12:13]
	s_waitcnt vmcnt(30)
	v_fmac_f64_e32 v[16:17], v[60:61], v[110:111]
	v_add_f64 v[2:3], v[2:3], v[14:15]
	v_add_f64 v[2:3], v[2:3], v[16:17]
	v_mul_f64 v[72:73], v[72:73], v[202:203]
	v_mul_f64 v[60:61], v[60:61], v[106:107]
	v_fma_f64 v[116:117], v[70:71], v[116:117], -v[72:73]
	s_waitcnt vmcnt(0)
	v_pk_mov_b32 v[18:19], v[4:5], v[4:5] op_sel:[0,1]
	buffer_load_dword v5, off, s[0:3], 0 offset:580
	buffer_load_dword v4, off, s[0:3], 0 offset:576
	v_accvgpr_write_b32 a191, v19
	v_accvgpr_write_b32 a190, v18
	s_waitcnt vmcnt(0)
	v_pk_mov_b32 v[20:21], v[4:5], v[4:5] op_sel:[0,1]
	buffer_load_dword v137, off, s[0:3], 0 offset:572
	buffer_load_dword v136, off, s[0:3], 0 offset:568
	buffer_load_dword v141, off, s[0:3], 0 offset:564
	buffer_load_dword v140, off, s[0:3], 0 offset:560
	buffer_load_dword v5, off, s[0:3], 0 offset:620
	buffer_load_dword v4, off, s[0:3], 0 offset:616
	v_accvgpr_write_b32 a193, v21
	v_accvgpr_write_b32 a192, v20
	s_waitcnt vmcnt(0)
	v_pk_mov_b32 v[26:27], v[4:5], v[4:5] op_sel:[0,1]
	buffer_load_dword v5, off, s[0:3], 0 offset:612
	buffer_load_dword v4, off, s[0:3], 0 offset:608
	v_accvgpr_write_b32 a195, v27
	v_accvgpr_write_b32 a194, v26
	s_waitcnt vmcnt(0)
	v_pk_mov_b32 v[28:29], v[4:5], v[4:5] op_sel:[0,1]
	buffer_load_dword v145, off, s[0:3], 0 offset:604
	buffer_load_dword v144, off, s[0:3], 0 offset:600
	buffer_load_dword v149, off, s[0:3], 0 offset:596
	buffer_load_dword v148, off, s[0:3], 0 offset:592
	buffer_load_dword v5, off, s[0:3], 0 offset:652
	buffer_load_dword v4, off, s[0:3], 0 offset:648
	v_accvgpr_write_b32 a197, v29
	v_accvgpr_write_b32 a196, v28
	;; [unrolled: 16-line block ×3, first 2 shown]
	s_waitcnt vmcnt(0)
	v_pk_mov_b32 v[42:43], v[4:5], v[4:5] op_sel:[0,1]
	buffer_load_dword v5, off, s[0:3], 0 offset:676
	buffer_load_dword v4, off, s[0:3], 0 offset:672
	;; [unrolled: 1-line block ×30, first 2 shown]
	ds_read_b128 v[244:247], v1 offset:1456
	ds_read_b128 v[248:251], v1 offset:1472
	;; [unrolled: 1-line block ×10, first 2 shown]
	s_waitcnt lgkmcnt(4)
	v_mul_f64 v[8:9], v[98:99], v[234:235]
	v_fmac_f64_e32 v[8:9], v[100:101], v[236:237]
	s_waitcnt lgkmcnt(3)
	v_mul_f64 v[12:13], v[132:133], v[136:137]
	v_fmac_f64_e32 v[12:13], v[134:135], v[140:141]
	s_waitcnt lgkmcnt(2)
	v_mul_f64 v[16:17], v[128:129], v[18:19]
	v_fmac_f64_e32 v[16:17], v[130:131], v[20:21]
	s_waitcnt lgkmcnt(1)
	v_mul_f64 v[20:21], v[124:125], v[144:145]
	v_fmac_f64_e32 v[20:21], v[126:127], v[148:149]
	s_waitcnt lgkmcnt(0)
	v_mul_f64 v[24:25], v[120:121], v[26:27]
	v_fmac_f64_e32 v[24:25], v[122:123], v[28:29]
	v_accvgpr_write_b32 a203, v43
	v_accvgpr_write_b32 a202, v42
	v_mul_f64 v[70:71], v[246:247], v[230:231]
	v_mul_f64 v[100:101], v[100:101], v[234:235]
	s_waitcnt vmcnt(28)
	v_pk_mov_b32 v[44:45], v[4:5], v[4:5] op_sel:[0,1]
	v_mul_f64 v[4:5], v[66:67], v[102:103]
	v_fmac_f64_e32 v[4:5], v[68:69], v[224:225]
	v_add_f64 v[2:3], v[2:3], v[4:5]
	v_mul_f64 v[4:5], v[244:245], v[230:231]
	v_fmac_f64_e32 v[4:5], v[246:247], v[232:233]
	v_add_f64 v[2:3], v[2:3], v[4:5]
	;; [unrolled: 3-line block ×6, first 2 shown]
	v_add_f64 v[10:11], v[6:7], v[8:9]
	v_add_f64 v[14:15], v[10:11], v[12:13]
	;; [unrolled: 1-line block ×4, first 2 shown]
	ds_read_b128 v[18:21], v1 offset:1616
	v_add_f64 v[26:27], v[22:23], v[24:25]
	ds_read_b128 v[22:25], v1 offset:1632
	v_accvgpr_write_b32 a205, v45
	v_accvgpr_write_b32 a204, v44
	s_waitcnt lgkmcnt(1)
	v_mul_f64 v[28:29], v[18:19], v[152:153]
	v_fmac_f64_e32 v[28:29], v[20:21], v[156:157]
	v_add_f64 v[30:31], v[26:27], v[28:29]
	ds_read_b128 v[26:29], v1 offset:1648
	s_waitcnt lgkmcnt(1)
	v_mul_f64 v[32:33], v[22:23], v[34:35]
	v_fmac_f64_e32 v[32:33], v[24:25], v[36:37]
	v_add_f64 v[34:35], v[30:31], v[32:33]
	ds_read_b128 v[30:33], v1 offset:1664
	s_waitcnt vmcnt(26) lgkmcnt(1)
	v_mul_f64 v[36:37], v[26:27], v[160:161]
	s_waitcnt vmcnt(24)
	v_fmac_f64_e32 v[36:37], v[28:29], v[162:163]
	v_add_f64 v[38:39], v[34:35], v[36:37]
	ds_read_b128 v[34:37], v1 offset:1680
	s_waitcnt lgkmcnt(1)
	v_mul_f64 v[40:41], v[30:31], v[42:43]
	v_fmac_f64_e32 v[40:41], v[32:33], v[44:45]
	v_add_f64 v[42:43], v[38:39], v[40:41]
	ds_read_b128 v[38:41], v1 offset:1696
	s_waitcnt vmcnt(18) lgkmcnt(1)
	v_mul_f64 v[44:45], v[34:35], v[164:165]
	s_waitcnt vmcnt(16)
	v_fmac_f64_e32 v[44:45], v[36:37], v[166:167]
	v_add_f64 v[46:47], v[42:43], v[44:45]
	ds_read_b128 v[42:45], v1 offset:1712
	buffer_load_dword v177, off, s[0:3], 0 offset:796
	buffer_load_dword v176, off, s[0:3], 0 offset:792
	;; [unrolled: 1-line block ×4, first 2 shown]
	s_waitcnt lgkmcnt(1)
	v_mul_f64 v[48:49], v[38:39], v[138:139]
	v_fmac_f64_e32 v[48:49], v[40:41], v[142:143]
	v_add_f64 v[180:181], v[46:47], v[48:49]
	ds_read_b128 v[46:49], v1 offset:1728
	buffer_load_dword v183, off, s[0:3], 0 offset:812
	buffer_load_dword v182, off, s[0:3], 0 offset:808
	buffer_load_dword v185, off, s[0:3], 0 offset:804
	buffer_load_dword v184, off, s[0:3], 0 offset:800
	s_waitcnt vmcnt(18) lgkmcnt(1)
	v_mul_f64 v[188:189], v[42:43], v[168:169]
	s_waitcnt vmcnt(16)
	v_fmac_f64_e32 v[188:189], v[44:45], v[170:171]
	v_add_f64 v[2:3], v[180:181], v[188:189]
	buffer_load_dword v181, off, s[0:3], 0 offset:844
	buffer_load_dword v189, off, s[0:3], 0 offset:828
	;; [unrolled: 1-line block ×8, first 2 shown]
	v_mul_f64 v[4:5], v[84:85], v[194:195]
	v_fma_f64 v[14:15], v[82:83], v[186:187], -v[4:5]
	buffer_load_dword v186, off, s[0:3], 0 offset:872
	buffer_load_dword v195, off, s[0:3], 0 offset:860
	buffer_load_dword v194, off, s[0:3], 0 offset:856
	buffer_load_dword v199, off, s[0:3], 0 offset:852
	buffer_load_dword v198, off, s[0:3], 0 offset:848
	buffer_load_dword v196, off, s[0:3], 0 offset:864
	buffer_load_dword v187, off, s[0:3], 0 offset:876
	buffer_load_dword v197, off, s[0:3], 0 offset:868
	v_mul_f64 v[8:9], v[76:77], v[88:89]
	v_fma_f64 v[8:9], v[74:75], v[200:201], -v[8:9]
	buffer_load_dword v201, off, s[0:3], 0 offset:908
	buffer_load_dword v203, off, s[0:3], 0 offset:892
	;; [unrolled: 1-line block ×12, first 2 shown]
	v_mul_f64 v[12:13], v[52:53], v[216:217]
	v_fma_f64 v[6:7], v[62:63], v[214:215], -v[64:65]
	v_fma_f64 v[12:13], v[50:51], v[218:219], -v[12:13]
	buffer_load_dword v215, off, s[0:3], 0 offset:940
	buffer_load_dword v214, off, s[0:3], 0 offset:936
	buffer_load_dword v217, off, s[0:3], 0 offset:932
	buffer_load_dword v216, off, s[0:3], 0 offset:928
	buffer_load_dword v212, off, s[0:3], 0 offset:968
	buffer_load_dword v221, off, s[0:3], 0 offset:956
	buffer_load_dword v220, off, s[0:3], 0 offset:952
	buffer_load_dword v223, off, s[0:3], 0 offset:948
	buffer_load_dword v222, off, s[0:3], 0 offset:944
	buffer_load_dword v218, off, s[0:3], 0 offset:960
	buffer_load_dword v213, off, s[0:3], 0 offset:972
	buffer_load_dword v219, off, s[0:3], 0 offset:964
	s_waitcnt lgkmcnt(0)
	v_mul_f64 v[50:51], v[46:47], v[146:147]
	v_fmac_f64_e32 v[50:51], v[48:49], v[150:151]
	v_add_f64 v[2:3], v[2:3], v[50:51]
	ds_read_b128 v[50:53], v1 offset:1744
	ds_read_b128 v[54:57], v1 offset:1760
	v_fma_f64 v[4:5], v[58:59], v[110:111], -v[60:61]
	ds_read_b128 v[58:61], v1 offset:1776
	v_fma_f64 v[10:11], v[78:79], v[86:87], -v[80:81]
	s_waitcnt vmcnt(50) lgkmcnt(2)
	v_mul_f64 v[62:63], v[50:51], v[172:173]
	s_waitcnt vmcnt(48)
	v_fmac_f64_e32 v[62:63], v[52:53], v[174:175]
	s_waitcnt lgkmcnt(1)
	v_mul_f64 v[16:17], v[54:55], v[154:155]
	v_add_f64 v[2:3], v[2:3], v[62:63]
	ds_read_b128 v[62:65], v1 offset:1792
	v_fmac_f64_e32 v[16:17], v[56:57], v[158:159]
	v_add_f64 v[2:3], v[2:3], v[16:17]
	v_mul_f64 v[78:79], v[250:251], v[226:227]
	v_fma_f64 v[246:247], v[248:249], v[228:229], -v[78:79]
	v_mul_f64 v[92:93], v[92:93], v[238:239]
	v_mul_f64 v[96:97], v[96:97], v[112:113]
	v_fma_f64 v[250:251], v[94:95], v[114:115], -v[96:97]
	ds_read_b128 v[94:97], v1 offset:1936
	v_add_f64 v[14:15], v[14:15], 0
	v_add_f64 v[10:11], v[14:15], v[10:11]
	;; [unrolled: 1-line block ×8, first 2 shown]
	v_mul_f64 v[6:7], v[134:135], v[136:137]
	v_fma_f64 v[6:7], v[132:133], v[140:141], -v[6:7]
	v_accvgpr_read_b32 v8, a192
	v_accvgpr_read_b32 v9, a193
	ds_read_b128 v[78:81], v1 offset:1856
	s_waitcnt vmcnt(46) lgkmcnt(3)
	v_mul_f64 v[16:17], v[58:59], v[176:177]
	s_waitcnt vmcnt(44)
	v_fmac_f64_e32 v[16:17], v[60:61], v[178:179]
	v_add_f64 v[2:3], v[2:3], v[16:17]
	v_mul_f64 v[16:17], v[68:69], v[102:103]
	v_fma_f64 v[16:17], v[66:67], v[224:225], -v[16:17]
	ds_read_b128 v[66:69], v1 offset:1808
	v_fma_f64 v[102:103], v[244:245], v[232:233], -v[70:71]
	ds_read_b128 v[70:73], v1 offset:1824
	s_waitcnt vmcnt(42) lgkmcnt(4)
	v_mul_f64 v[74:75], v[62:63], v[182:183]
	s_waitcnt vmcnt(40)
	v_fmac_f64_e32 v[74:75], v[64:65], v[184:185]
	v_add_f64 v[2:3], v[2:3], v[74:75]
	s_waitcnt vmcnt(37) lgkmcnt(1)
	v_mul_f64 v[74:75], v[66:67], v[188:189]
	s_waitcnt vmcnt(35)
	v_fmac_f64_e32 v[74:75], v[68:69], v[192:193]
	v_add_f64 v[2:3], v[2:3], v[74:75]
	;; [unrolled: 5-line block ×3, first 2 shown]
	ds_read_b128 v[74:77], v1 offset:1840
	s_waitcnt vmcnt(25)
	v_mul_f64 v[86:87], v[78:79], v[186:187]
	s_waitcnt vmcnt(24)
	v_fmac_f64_e32 v[86:87], v[80:81], v[196:197]
	v_add_f64 v[4:5], v[4:5], v[16:17]
	v_add_f64 v[4:5], v[4:5], v[102:103]
	s_waitcnt lgkmcnt(0)
	v_mul_f64 v[82:83], v[74:75], v[194:195]
	v_fmac_f64_e32 v[82:83], v[76:77], v[198:199]
	v_add_f64 v[2:3], v[2:3], v[82:83]
	v_mul_f64 v[82:83], v[254:255], v[118:119]
	v_fma_f64 v[118:119], v[252:253], v[242:243], -v[82:83]
	ds_read_b128 v[82:85], v1 offset:1872
	v_add_f64 v[2:3], v[2:3], v[86:87]
	ds_read_b128 v[86:89], v1 offset:1888
	v_fma_f64 v[242:243], v[90:91], v[240:241], -v[92:93]
	ds_read_b128 v[90:93], v1 offset:1904
	ds_read_b128 v[238:241], v1 offset:1920
	s_waitcnt vmcnt(21) lgkmcnt(3)
	v_mul_f64 v[106:107], v[82:83], v[202:203]
	s_waitcnt vmcnt(19)
	v_fmac_f64_e32 v[106:107], v[84:85], v[208:209]
	v_add_f64 v[2:3], v[2:3], v[106:107]
	s_waitcnt vmcnt(18) lgkmcnt(2)
	v_mul_f64 v[106:107], v[86:87], v[200:201]
	s_waitcnt vmcnt(16)
	v_fmac_f64_e32 v[106:107], v[88:89], v[206:207]
	v_add_f64 v[2:3], v[2:3], v[106:107]
	s_waitcnt vmcnt(14) lgkmcnt(1)
	v_mul_f64 v[106:107], v[90:91], v[204:205]
	s_waitcnt vmcnt(12)
	v_fmac_f64_e32 v[106:107], v[92:93], v[210:211]
	v_fma_f64 v[252:253], v[98:99], v[236:237], -v[100:101]
	ds_read_b128 v[98:101], v1 offset:1952
	buffer_load_dword v225, off, s[0:3], 0 offset:988
	buffer_load_dword v224, off, s[0:3], 0 offset:984
	;; [unrolled: 1-line block ×4, first 2 shown]
	v_add_f64 v[2:3], v[2:3], v[106:107]
	s_waitcnt vmcnt(14) lgkmcnt(1)
	v_mul_f64 v[106:107], v[238:239], v[214:215]
	s_waitcnt vmcnt(12)
	v_fmac_f64_e32 v[106:107], v[240:241], v[216:217]
	v_add_f64 v[2:3], v[2:3], v[106:107]
	s_waitcnt vmcnt(9)
	v_mul_f64 v[106:107], v[94:95], v[220:221]
	s_waitcnt vmcnt(7)
	v_fmac_f64_e32 v[106:107], v[96:97], v[222:223]
	v_add_f64 v[2:3], v[2:3], v[106:107]
	s_waitcnt vmcnt(5) lgkmcnt(0)
	v_mul_f64 v[106:107], v[98:99], v[212:213]
	s_waitcnt vmcnt(4)
	v_fmac_f64_e32 v[106:107], v[100:101], v[218:219]
	v_add_f64 v[2:3], v[2:3], v[106:107]
	ds_read_b128 v[106:109], v1 offset:1968
	buffer_load_dword v228, off, s[0:3], 0 offset:1000
	buffer_load_dword v229, off, s[0:3], 0 offset:1004
	buffer_load_dword v230, off, s[0:3], 0 offset:992
	buffer_load_dword v231, off, s[0:3], 0 offset:996
	v_add_f64 v[4:5], v[4:5], v[246:247]
	v_add_f64 v[4:5], v[4:5], v[118:119]
	;; [unrolled: 1-line block ×6, first 2 shown]
	v_accvgpr_read_b32 v6, a190
	v_accvgpr_read_b32 v7, a191
	v_mul_f64 v[6:7], v[130:131], v[6:7]
	v_fma_f64 v[6:7], v[128:129], v[8:9], -v[6:7]
	v_add_f64 v[4:5], v[4:5], v[6:7]
	v_mul_f64 v[6:7], v[126:127], v[144:145]
	v_fma_f64 v[6:7], v[124:125], v[148:149], -v[6:7]
	v_add_f64 v[4:5], v[4:5], v[6:7]
	v_accvgpr_read_b32 v6, a194
	v_accvgpr_read_b32 v7, a195
	v_accvgpr_read_b32 v8, a196
	v_mul_f64 v[6:7], v[122:123], v[6:7]
	v_accvgpr_read_b32 v9, a197
	v_fma_f64 v[6:7], v[120:121], v[8:9], -v[6:7]
	v_add_f64 v[4:5], v[4:5], v[6:7]
	v_mul_f64 v[6:7], v[20:21], v[152:153]
	v_fma_f64 v[6:7], v[18:19], v[156:157], -v[6:7]
	v_add_f64 v[4:5], v[4:5], v[6:7]
	v_accvgpr_read_b32 v6, a198
	v_accvgpr_read_b32 v7, a199
	v_accvgpr_read_b32 v8, a200
	v_mul_f64 v[6:7], v[24:25], v[6:7]
	v_accvgpr_read_b32 v9, a201
	v_fma_f64 v[6:7], v[22:23], v[8:9], -v[6:7]
	v_add_f64 v[4:5], v[4:5], v[6:7]
	v_mul_f64 v[6:7], v[28:29], v[160:161]
	v_fma_f64 v[6:7], v[26:27], v[162:163], -v[6:7]
	v_add_f64 v[4:5], v[4:5], v[6:7]
	v_accvgpr_read_b32 v6, a202
	v_accvgpr_read_b32 v7, a203
	v_accvgpr_read_b32 v8, a204
	v_mul_f64 v[6:7], v[32:33], v[6:7]
	v_accvgpr_read_b32 v9, a205
	v_fma_f64 v[6:7], v[30:31], v[8:9], -v[6:7]
	v_add_f64 v[4:5], v[4:5], v[6:7]
	v_mul_f64 v[6:7], v[36:37], v[164:165]
	v_fma_f64 v[6:7], v[34:35], v[166:167], -v[6:7]
	v_add_f64 v[4:5], v[4:5], v[6:7]
	v_mul_f64 v[6:7], v[40:41], v[138:139]
	;; [unrolled: 3-line block ×8, first 2 shown]
	v_fma_f64 v[6:7], v[62:63], v[184:185], -v[6:7]
	v_add_f64 v[4:5], v[4:5], v[6:7]
	s_waitcnt vmcnt(6) lgkmcnt(0)
	v_mul_f64 v[110:111], v[106:107], v[224:225]
	v_mul_f64 v[6:7], v[68:69], v[188:189]
	s_waitcnt vmcnt(4)
	v_fmac_f64_e32 v[110:111], v[108:109], v[226:227]
	v_add_f64 v[2:3], v[2:3], v[110:111]
	ds_read_b128 v[110:113], v1 offset:1984
	buffer_load_dword v235, off, s[0:3], 0 offset:1020
	buffer_load_dword v234, off, s[0:3], 0 offset:1016
	;; [unrolled: 1-line block ×4, first 2 shown]
	v_fma_f64 v[6:7], v[66:67], v[192:193], -v[6:7]
	v_add_f64 v[4:5], v[4:5], v[6:7]
	v_mul_f64 v[6:7], v[72:73], v[180:181]
	v_fma_f64 v[6:7], v[70:71], v[190:191], -v[6:7]
	v_add_f64 v[4:5], v[4:5], v[6:7]
	v_mul_f64 v[6:7], v[76:77], v[194:195]
	s_waitcnt vmcnt(6) lgkmcnt(0)
	v_mul_f64 v[114:115], v[110:111], v[228:229]
	v_fma_f64 v[6:7], v[74:75], v[198:199], -v[6:7]
	s_waitcnt vmcnt(4)
	v_fmac_f64_e32 v[114:115], v[112:113], v[230:231]
	v_add_f64 v[114:115], v[2:3], v[114:115]
	ds_read_b128 v[0:3], v1 offset:2000
	buffer_load_dword v248, off, s[0:3], 0 offset:304
	buffer_load_dword v249, off, s[0:3], 0 offset:308
	;; [unrolled: 1-line block ×4, first 2 shown]
	v_add_f64 v[4:5], v[4:5], v[6:7]
	v_mul_f64 v[6:7], v[80:81], v[186:187]
	v_fma_f64 v[6:7], v[78:79], v[196:197], -v[6:7]
	v_add_f64 v[4:5], v[4:5], v[6:7]
	v_mul_f64 v[6:7], v[84:85], v[202:203]
	v_fma_f64 v[6:7], v[82:83], v[208:209], -v[6:7]
	;; [unrolled: 3-line block ×9, first 2 shown]
	v_add_f64 v[4:5], v[4:5], v[6:7]
	s_waitcnt vmcnt(6) lgkmcnt(0)
	v_mul_f64 v[232:233], v[0:1], v[234:235]
	s_waitcnt vmcnt(4)
	v_fmac_f64_e32 v[232:233], v[2:3], v[244:245]
	v_mul_f64 v[2:3], v[2:3], v[234:235]
	v_fma_f64 v[0:1], v[0:1], v[244:245], -v[2:3]
	v_add_f64 v[0:1], v[4:5], v[0:1]
	v_add_f64 v[232:233], v[114:115], v[232:233]
	s_waitcnt vmcnt(2)
	v_add_f64 v[0:1], v[248:249], -v[0:1]
	s_waitcnt vmcnt(0)
	v_add_f64 v[2:3], v[246:247], -v[232:233]
	buffer_store_dword v1, off, s[0:3], 0 offset:308
	buffer_store_dword v0, off, s[0:3], 0 offset:304
	;; [unrolled: 1-line block ×4, first 2 shown]
	v_accvgpr_read_b32 v0, a188
	v_cmp_lt_u32_e32 vcc, 17, v0
	s_and_saveexec_b64 s[4:5], vcc
	s_cbranch_execz .LBB62_369
; %bb.368:
	v_accvgpr_read_b32 v0, a171
	buffer_load_dword v2, v0, s[0:3], 0 offen
	buffer_load_dword v3, v0, s[0:3], 0 offen offset:4
	buffer_load_dword v4, v0, s[0:3], 0 offen offset:8
	;; [unrolled: 1-line block ×3, first 2 shown]
	v_mov_b32_e32 v0, 0
	v_accvgpr_read_b32 v1, a189
	buffer_store_dword v0, off, s[0:3], 0 offset:288
	buffer_store_dword v0, off, s[0:3], 0 offset:292
	;; [unrolled: 1-line block ×4, first 2 shown]
	s_waitcnt vmcnt(4)
	ds_write_b128 v1, v[2:5]
.LBB62_369:
	s_or_b64 exec, exec, s[4:5]
	s_waitcnt lgkmcnt(0)
	; wave barrier
	s_waitcnt lgkmcnt(0)
	buffer_load_dword v56, off, s[0:3], 0 offset:304
	buffer_load_dword v57, off, s[0:3], 0 offset:308
	;; [unrolled: 1-line block ×36, first 2 shown]
	v_mov_b32_e32 v1, 0
	buffer_load_dword v87, off, s[0:3], 0 offset:476
	buffer_load_dword v86, off, s[0:3], 0 offset:472
	;; [unrolled: 1-line block ×18, first 2 shown]
	ds_read_b128 v[110:113], v1 offset:1296
	ds_read_b128 v[114:117], v1 offset:1312
	;; [unrolled: 1-line block ×9, first 2 shown]
	v_accvgpr_read_b32 v0, a188
	v_cmp_lt_u32_e32 vcc, 16, v0
	s_waitcnt vmcnt(50) lgkmcnt(8)
	v_mul_f64 v[2:3], v[110:111], v[58:59]
	v_fmac_f64_e32 v[2:3], v[112:113], v[56:57]
	v_add_f64 v[2:3], v[2:3], 0
	s_waitcnt vmcnt(46) lgkmcnt(7)
	v_mul_f64 v[4:5], v[114:115], v[54:55]
	v_fmac_f64_e32 v[4:5], v[116:117], v[52:53]
	v_add_f64 v[2:3], v[2:3], v[4:5]
	buffer_load_dword v105, off, s[0:3], 0 offset:532
	buffer_load_dword v104, off, s[0:3], 0 offset:528
	;; [unrolled: 1-line block ×8, first 2 shown]
	s_waitcnt vmcnt(52) lgkmcnt(6)
	v_mul_f64 v[6:7], v[196:197], v[50:51]
	s_waitcnt vmcnt(50) lgkmcnt(4)
	v_mul_f64 v[10:11], v[204:205], v[60:61]
	s_waitcnt vmcnt(48)
	v_fmac_f64_e32 v[10:11], v[206:207], v[62:63]
	v_mul_f64 v[50:51], v[198:199], v[50:51]
	s_waitcnt vmcnt(46)
	v_mul_f64 v[8:9], v[200:201], v[64:65]
	v_mul_f64 v[54:55], v[116:117], v[54:55]
	s_waitcnt vmcnt(44) lgkmcnt(2)
	v_mul_f64 v[14:15], v[214:215], v[212:213]
	v_fma_f64 v[218:219], v[114:115], v[52:53], -v[54:55]
	s_waitcnt vmcnt(42)
	v_fmac_f64_e32 v[14:15], v[216:217], v[72:73]
	s_waitcnt vmcnt(40)
	v_mul_f64 v[12:13], v[208:209], v[76:77]
	v_mul_f64 v[54:55], v[210:211], v[76:77]
	s_waitcnt vmcnt(38) lgkmcnt(1)
	v_mul_f64 v[16:17], v[220:221], v[68:69]
	s_waitcnt vmcnt(36)
	v_fmac_f64_e32 v[6:7], v[198:199], v[82:83]
	v_add_f64 v[2:3], v[2:3], v[6:7]
	s_waitcnt vmcnt(34)
	v_fmac_f64_e32 v[8:9], v[202:203], v[80:81]
	v_add_f64 v[2:3], v[2:3], v[8:9]
	;; [unrolled: 3-line block ×3, first 2 shown]
	v_add_f64 v[2:3], v[2:3], v[12:13]
	v_add_f64 v[2:3], v[2:3], v[14:15]
	s_waitcnt vmcnt(30)
	v_fmac_f64_e32 v[16:17], v[222:223], v[70:71]
	v_add_f64 v[2:3], v[2:3], v[16:17]
	v_fma_f64 v[82:83], v[196:197], v[82:83], -v[50:51]
	v_mul_f64 v[50:51], v[202:203], v[64:65]
	s_waitcnt vmcnt(0)
	v_pk_mov_b32 v[14:15], v[4:5], v[4:5] op_sel:[0,1]
	buffer_load_dword v5, off, s[0:3], 0 offset:564
	buffer_load_dword v4, off, s[0:3], 0 offset:560
	v_accvgpr_write_b32 a191, v15
	v_accvgpr_write_b32 a190, v14
	s_waitcnt vmcnt(0)
	v_pk_mov_b32 v[18:19], v[4:5], v[4:5] op_sel:[0,1]
	buffer_load_dword v107, off, s[0:3], 0 offset:556
	buffer_load_dword v106, off, s[0:3], 0 offset:552
	buffer_load_dword v109, off, s[0:3], 0 offset:548
	buffer_load_dword v108, off, s[0:3], 0 offset:544
	buffer_load_dword v5, off, s[0:3], 0 offset:604
	buffer_load_dword v4, off, s[0:3], 0 offset:600
	v_accvgpr_write_b32 a193, v19
	v_accvgpr_write_b32 a192, v18
	s_waitcnt vmcnt(0)
	v_pk_mov_b32 v[22:23], v[4:5], v[4:5] op_sel:[0,1]
	buffer_load_dword v5, off, s[0:3], 0 offset:596
	buffer_load_dword v4, off, s[0:3], 0 offset:592
	v_accvgpr_write_b32 a195, v23
	v_accvgpr_write_b32 a194, v22
	s_waitcnt vmcnt(0)
	v_pk_mov_b32 v[24:25], v[4:5], v[4:5] op_sel:[0,1]
	buffer_load_dword v141, off, s[0:3], 0 offset:588
	buffer_load_dword v140, off, s[0:3], 0 offset:584
	buffer_load_dword v145, off, s[0:3], 0 offset:580
	buffer_load_dword v144, off, s[0:3], 0 offset:576
	buffer_load_dword v5, off, s[0:3], 0 offset:636
	buffer_load_dword v4, off, s[0:3], 0 offset:632
	v_accvgpr_write_b32 a197, v25
	v_accvgpr_write_b32 a196, v24
	;; [unrolled: 16-line block ×3, first 2 shown]
	s_waitcnt vmcnt(0)
	v_pk_mov_b32 v[38:39], v[4:5], v[4:5] op_sel:[0,1]
	buffer_load_dword v5, off, s[0:3], 0 offset:660
	buffer_load_dword v4, off, s[0:3], 0 offset:656
	;; [unrolled: 1-line block ×30, first 2 shown]
	ds_read_b128 v[228:231], v1 offset:1440
	ds_read_b128 v[232:235], v1 offset:1456
	;; [unrolled: 1-line block ×11, first 2 shown]
	s_waitcnt lgkmcnt(4)
	v_mul_f64 v[8:9], v[252:253], v[106:107]
	v_fmac_f64_e32 v[8:9], v[254:255], v[108:109]
	s_waitcnt lgkmcnt(3)
	v_mul_f64 v[12:13], v[132:133], v[14:15]
	v_fmac_f64_e32 v[12:13], v[134:135], v[18:19]
	;; [unrolled: 3-line block ×4, first 2 shown]
	v_accvgpr_write_b32 a203, v39
	v_accvgpr_write_b32 a202, v38
	s_waitcnt vmcnt(28)
	v_pk_mov_b32 v[40:41], v[4:5], v[4:5] op_sel:[0,1]
	v_mul_f64 v[4:5], v[224:225], v[66:67]
	v_fmac_f64_e32 v[4:5], v[226:227], v[84:85]
	v_add_f64 v[2:3], v[2:3], v[4:5]
	v_mul_f64 v[4:5], v[228:229], v[90:91]
	v_fmac_f64_e32 v[4:5], v[230:231], v[92:93]
	v_add_f64 v[2:3], v[2:3], v[4:5]
	;; [unrolled: 3-line block ×7, first 2 shown]
	v_add_f64 v[10:11], v[6:7], v[8:9]
	v_add_f64 v[14:15], v[10:11], v[12:13]
	;; [unrolled: 1-line block ×4, first 2 shown]
	ds_read_b128 v[18:21], v1 offset:1616
	s_waitcnt lgkmcnt(1)
	v_mul_f64 v[24:25], v[120:121], v[148:149]
	v_fmac_f64_e32 v[24:25], v[122:123], v[152:153]
	v_add_f64 v[26:27], v[22:23], v[24:25]
	ds_read_b128 v[22:25], v1 offset:1632
	s_waitcnt lgkmcnt(1)
	v_mul_f64 v[28:29], v[18:19], v[30:31]
	v_fmac_f64_e32 v[28:29], v[20:21], v[32:33]
	v_add_f64 v[30:31], v[26:27], v[28:29]
	ds_read_b128 v[26:29], v1 offset:1648
	s_waitcnt vmcnt(26) lgkmcnt(1)
	v_mul_f64 v[32:33], v[22:23], v[156:157]
	s_waitcnt vmcnt(24)
	v_fmac_f64_e32 v[32:33], v[24:25], v[158:159]
	v_add_f64 v[34:35], v[30:31], v[32:33]
	ds_read_b128 v[30:33], v1 offset:1664
	s_waitcnt lgkmcnt(1)
	v_mul_f64 v[36:37], v[26:27], v[38:39]
	v_fmac_f64_e32 v[36:37], v[28:29], v[40:41]
	v_accvgpr_write_b32 a205, v41
	v_add_f64 v[38:39], v[34:35], v[36:37]
	ds_read_b128 v[34:37], v1 offset:1680
	v_accvgpr_write_b32 a204, v40
	s_waitcnt vmcnt(18) lgkmcnt(1)
	v_mul_f64 v[40:41], v[30:31], v[160:161]
	s_waitcnt vmcnt(16)
	v_fmac_f64_e32 v[40:41], v[32:33], v[162:163]
	v_add_f64 v[42:43], v[38:39], v[40:41]
	ds_read_b128 v[38:41], v1 offset:1696
	s_waitcnt lgkmcnt(1)
	v_mul_f64 v[44:45], v[34:35], v[136:137]
	v_fmac_f64_e32 v[44:45], v[36:37], v[138:139]
	v_add_f64 v[46:47], v[42:43], v[44:45]
	ds_read_b128 v[42:45], v1 offset:1712
	s_waitcnt vmcnt(10) lgkmcnt(1)
	v_mul_f64 v[48:49], v[38:39], v[164:165]
	s_waitcnt vmcnt(8)
	v_fmac_f64_e32 v[48:49], v[40:41], v[166:167]
	v_add_f64 v[174:175], v[46:47], v[48:49]
	ds_read_b128 v[46:49], v1 offset:1728
	buffer_load_dword v173, off, s[0:3], 0 offset:780
	buffer_load_dword v172, off, s[0:3], 0 offset:776
	;; [unrolled: 1-line block ×4, first 2 shown]
	s_waitcnt lgkmcnt(1)
	v_mul_f64 v[178:179], v[42:43], v[142:143]
	v_fmac_f64_e32 v[178:179], v[44:45], v[146:147]
	v_add_f64 v[2:3], v[174:175], v[178:179]
	buffer_load_dword v179, off, s[0:3], 0 offset:796
	buffer_load_dword v178, off, s[0:3], 0 offset:792
	;; [unrolled: 1-line block ×24, first 2 shown]
	v_mul_f64 v[8:9], v[206:207], v[60:61]
	v_fma_f64 v[10:11], v[200:201], v[80:81], -v[50:51]
	v_fma_f64 v[8:9], v[204:205], v[62:63], -v[8:9]
	buffer_load_dword v201, off, s[0:3], 0 offset:892
	buffer_load_dword v200, off, s[0:3], 0 offset:888
	;; [unrolled: 1-line block ×8, first 2 shown]
	ds_read_b128 v[50:53], v1 offset:1744
	v_mul_f64 v[12:13], v[216:217], v[212:213]
	buffer_load_dword v211, off, s[0:3], 0 offset:924
	buffer_load_dword v210, off, s[0:3], 0 offset:920
	;; [unrolled: 1-line block ×4, first 2 shown]
	v_mul_f64 v[4:5], v[112:113], v[58:59]
	v_fma_f64 v[6:7], v[208:209], v[78:79], -v[54:55]
	v_fma_f64 v[12:13], v[214:215], v[72:73], -v[12:13]
	buffer_load_dword v208, off, s[0:3], 0 offset:952
	buffer_load_dword v217, off, s[0:3], 0 offset:940
	;; [unrolled: 1-line block ×8, first 2 shown]
	v_fma_f64 v[14:15], v[110:111], v[56:57], -v[4:5]
	v_mul_f64 v[56:57], v[222:223], v[68:69]
	v_fma_f64 v[4:5], v[220:221], v[70:71], -v[56:57]
	buffer_load_dword v221, off, s[0:3], 0 offset:972
	buffer_load_dword v220, off, s[0:3], 0 offset:968
	buffer_load_dword v223, off, s[0:3], 0 offset:964
	buffer_load_dword v222, off, s[0:3], 0 offset:960
	s_waitcnt vmcnt(54) lgkmcnt(1)
	v_mul_f64 v[54:55], v[46:47], v[168:169]
	s_waitcnt vmcnt(52)
	v_fmac_f64_e32 v[54:55], v[48:49], v[170:171]
	v_add_f64 v[2:3], v[2:3], v[54:55]
	ds_read_b128 v[54:57], v1 offset:1760
	ds_read_b128 v[58:61], v1 offset:1776
	s_waitcnt lgkmcnt(2)
	v_mul_f64 v[16:17], v[50:51], v[150:151]
	v_fmac_f64_e32 v[16:17], v[52:53], v[154:155]
	v_add_f64 v[2:3], v[2:3], v[16:17]
	v_mul_f64 v[16:17], v[226:227], v[66:67]
	v_fma_f64 v[16:17], v[224:225], v[84:85], -v[16:17]
	v_mul_f64 v[70:71], v[234:235], v[86:87]
	v_fma_f64 v[232:233], v[232:233], v[88:89], -v[70:71]
	ds_read_b128 v[70:73], v1 offset:1824
	v_mul_f64 v[80:81], v[238:239], v[100:101]
	v_fma_f64 v[224:225], v[236:237], v[102:103], -v[80:81]
	ds_read_b128 v[236:239], v1 offset:1840
	v_mul_f64 v[86:87], v[242:243], v[96:97]
	v_fma_f64 v[226:227], v[240:241], v[98:99], -v[86:87]
	v_mul_f64 v[86:87], v[246:247], v[118:119]
	v_fma_f64 v[246:247], v[244:245], v[74:75], -v[86:87]
	ds_read_b128 v[86:89], v1 offset:1888
	v_mul_f64 v[98:99], v[254:255], v[106:107]
	v_fma_f64 v[254:255], v[252:253], v[108:109], -v[98:99]
	v_add_f64 v[14:15], v[14:15], 0
	v_add_f64 v[14:15], v[14:15], v[218:219]
	;; [unrolled: 1-line block ×9, first 2 shown]
	v_accvgpr_read_b32 v6, a190
	v_accvgpr_read_b32 v7, a191
	;; [unrolled: 1-line block ×3, first 2 shown]
	v_mul_f64 v[6:7], v[134:135], v[6:7]
	v_accvgpr_read_b32 v9, a193
	v_fma_f64 v[6:7], v[132:133], v[8:9], -v[6:7]
	v_accvgpr_read_b32 v8, a196
	v_accvgpr_read_b32 v9, a197
	ds_read_b128 v[240:243], v1 offset:1872
	ds_read_b128 v[98:101], v1 offset:1936
	s_waitcnt vmcnt(50) lgkmcnt(6)
	v_mul_f64 v[62:63], v[54:55], v[172:173]
	s_waitcnt vmcnt(48)
	v_fmac_f64_e32 v[62:63], v[56:57], v[176:177]
	v_add_f64 v[2:3], v[2:3], v[62:63]
	v_mul_f64 v[62:63], v[230:231], v[90:91]
	v_fma_f64 v[84:85], v[228:229], v[92:93], -v[62:63]
	ds_read_b128 v[62:65], v1 offset:1792
	s_waitcnt vmcnt(46) lgkmcnt(6)
	v_mul_f64 v[66:67], v[58:59], v[178:179]
	s_waitcnt vmcnt(44)
	v_fmac_f64_e32 v[66:67], v[60:61], v[180:181]
	v_add_f64 v[2:3], v[2:3], v[66:67]
	ds_read_b128 v[66:69], v1 offset:1808
	s_waitcnt vmcnt(41) lgkmcnt(1)
	v_mul_f64 v[78:79], v[62:63], v[184:185]
	s_waitcnt vmcnt(39)
	v_fmac_f64_e32 v[78:79], v[64:65], v[188:189]
	v_add_f64 v[2:3], v[2:3], v[78:79]
	s_waitcnt vmcnt(22)
	v_mul_f64 v[74:75], v[240:241], v[200:201]
	s_waitcnt lgkmcnt(0)
	v_mul_f64 v[78:79], v[66:67], v[174:175]
	v_fmac_f64_e32 v[78:79], v[68:69], v[186:187]
	v_add_f64 v[2:3], v[2:3], v[78:79]
	v_mul_f64 v[78:79], v[70:71], v[192:193]
	v_fmac_f64_e32 v[78:79], v[72:73], v[194:195]
	v_add_f64 v[2:3], v[2:3], v[78:79]
	;; [unrolled: 3-line block ×3, first 2 shown]
	ds_read_b128 v[78:81], v1 offset:1856
	s_waitcnt vmcnt(20)
	v_fmac_f64_e32 v[74:75], v[242:243], v[204:205]
	v_add_f64 v[4:5], v[4:5], v[84:85]
	v_add_f64 v[4:5], v[4:5], v[232:233]
	;; [unrolled: 1-line block ×3, first 2 shown]
	s_waitcnt lgkmcnt(0)
	v_mul_f64 v[90:91], v[78:79], v[196:197]
	v_fmac_f64_e32 v[90:91], v[80:81], v[198:199]
	v_add_f64 v[2:3], v[2:3], v[90:91]
	v_add_f64 v[2:3], v[2:3], v[74:75]
	ds_read_b128 v[90:93], v1 offset:1904
	s_waitcnt vmcnt(18)
	v_mul_f64 v[74:75], v[86:87], v[202:203]
	s_waitcnt vmcnt(16)
	v_fmac_f64_e32 v[74:75], v[88:89], v[206:207]
	v_add_f64 v[2:3], v[2:3], v[74:75]
	v_mul_f64 v[74:75], v[250:251], v[94:95]
	ds_read_b128 v[94:97], v1 offset:1920
	v_fma_f64 v[250:251], v[248:249], v[104:105], -v[74:75]
	s_waitcnt vmcnt(14) lgkmcnt(1)
	v_mul_f64 v[74:75], v[90:91], v[210:211]
	s_waitcnt vmcnt(12)
	v_fmac_f64_e32 v[74:75], v[92:93], v[212:213]
	ds_read_b128 v[102:105], v1 offset:1952
	v_add_f64 v[2:3], v[2:3], v[74:75]
	s_waitcnt vmcnt(9) lgkmcnt(1)
	v_mul_f64 v[74:75], v[94:95], v[216:217]
	s_waitcnt vmcnt(7)
	v_fmac_f64_e32 v[74:75], v[96:97], v[76:77]
	v_add_f64 v[2:3], v[2:3], v[74:75]
	s_waitcnt vmcnt(5)
	v_mul_f64 v[74:75], v[98:99], v[208:209]
	s_waitcnt vmcnt(4)
	v_fmac_f64_e32 v[74:75], v[100:101], v[214:215]
	v_add_f64 v[2:3], v[2:3], v[74:75]
	s_waitcnt vmcnt(2) lgkmcnt(0)
	v_mul_f64 v[74:75], v[102:103], v[220:221]
	s_waitcnt vmcnt(0)
	v_fmac_f64_e32 v[74:75], v[104:105], v[222:223]
	v_add_f64 v[2:3], v[2:3], v[74:75]
	buffer_load_dword v74, off, s[0:3], 0 offset:984
	buffer_load_dword v75, off, s[0:3], 0 offset:988
	buffer_load_dword v118, off, s[0:3], 0 offset:976
	buffer_load_dword v119, off, s[0:3], 0 offset:980
	ds_read_b128 v[106:109], v1 offset:1968
	buffer_load_dword v229, off, s[0:3], 0 offset:1004
	buffer_load_dword v228, off, s[0:3], 0 offset:1000
	;; [unrolled: 1-line block ×4, first 2 shown]
	v_add_f64 v[4:5], v[4:5], v[226:227]
	v_add_f64 v[4:5], v[4:5], v[246:247]
	;; [unrolled: 1-line block ×5, first 2 shown]
	v_mul_f64 v[6:7], v[130:131], v[140:141]
	v_fma_f64 v[6:7], v[128:129], v[144:145], -v[6:7]
	v_add_f64 v[4:5], v[4:5], v[6:7]
	v_accvgpr_read_b32 v6, a194
	v_accvgpr_read_b32 v7, a195
	v_mul_f64 v[6:7], v[126:127], v[6:7]
	v_fma_f64 v[6:7], v[124:125], v[8:9], -v[6:7]
	v_add_f64 v[4:5], v[4:5], v[6:7]
	v_mul_f64 v[6:7], v[122:123], v[148:149]
	v_fma_f64 v[6:7], v[120:121], v[152:153], -v[6:7]
	v_add_f64 v[4:5], v[4:5], v[6:7]
	v_accvgpr_read_b32 v6, a198
	v_accvgpr_read_b32 v7, a199
	;; [unrolled: 1-line block ×3, first 2 shown]
	v_mul_f64 v[6:7], v[20:21], v[6:7]
	v_accvgpr_read_b32 v9, a201
	v_fma_f64 v[6:7], v[18:19], v[8:9], -v[6:7]
	v_add_f64 v[4:5], v[4:5], v[6:7]
	v_mul_f64 v[6:7], v[24:25], v[156:157]
	v_fma_f64 v[6:7], v[22:23], v[158:159], -v[6:7]
	v_add_f64 v[4:5], v[4:5], v[6:7]
	v_accvgpr_read_b32 v6, a202
	v_accvgpr_read_b32 v7, a203
	;; [unrolled: 1-line block ×3, first 2 shown]
	v_mul_f64 v[6:7], v[28:29], v[6:7]
	v_accvgpr_read_b32 v9, a205
	v_fma_f64 v[6:7], v[26:27], v[8:9], -v[6:7]
	v_add_f64 v[4:5], v[4:5], v[6:7]
	v_mul_f64 v[6:7], v[32:33], v[160:161]
	v_fma_f64 v[6:7], v[30:31], v[162:163], -v[6:7]
	v_add_f64 v[4:5], v[4:5], v[6:7]
	v_mul_f64 v[6:7], v[36:37], v[136:137]
	;; [unrolled: 3-line block ×14, first 2 shown]
	v_fma_f64 v[6:7], v[240:241], v[204:205], -v[6:7]
	v_add_f64 v[4:5], v[4:5], v[6:7]
	s_waitcnt vmcnt(6) lgkmcnt(0)
	v_mul_f64 v[110:111], v[106:107], v[74:75]
	v_mul_f64 v[6:7], v[88:89], v[202:203]
	s_waitcnt vmcnt(4)
	v_fmac_f64_e32 v[110:111], v[108:109], v[118:119]
	v_add_f64 v[2:3], v[2:3], v[110:111]
	ds_read_b128 v[110:113], v1 offset:1984
	buffer_load_dword v234, off, s[0:3], 0 offset:1016
	buffer_load_dword v235, off, s[0:3], 0 offset:1020
	;; [unrolled: 1-line block ×4, first 2 shown]
	v_fma_f64 v[6:7], v[86:87], v[206:207], -v[6:7]
	v_add_f64 v[4:5], v[4:5], v[6:7]
	v_mul_f64 v[6:7], v[92:93], v[210:211]
	s_waitcnt vmcnt(6) lgkmcnt(0)
	v_mul_f64 v[114:115], v[110:111], v[228:229]
	s_waitcnt vmcnt(4)
	v_fmac_f64_e32 v[114:115], v[112:113], v[230:231]
	v_add_f64 v[2:3], v[2:3], v[114:115]
	ds_read_b128 v[114:117], v1 offset:2000
	v_fma_f64 v[6:7], v[90:91], v[212:213], -v[6:7]
	v_add_f64 v[4:5], v[4:5], v[6:7]
	v_mul_f64 v[6:7], v[96:97], v[216:217]
	v_fma_f64 v[6:7], v[94:95], v[76:77], -v[6:7]
	v_add_f64 v[4:5], v[4:5], v[6:7]
	v_mul_f64 v[6:7], v[100:101], v[208:209]
	;; [unrolled: 3-line block ×5, first 2 shown]
	v_fma_f64 v[6:7], v[110:111], v[230:231], -v[6:7]
	v_add_f64 v[4:5], v[4:5], v[6:7]
	s_waitcnt vmcnt(2) lgkmcnt(0)
	v_mul_f64 v[248:249], v[114:115], v[234:235]
	v_mul_f64 v[6:7], v[116:117], v[234:235]
	s_waitcnt vmcnt(0)
	v_fmac_f64_e32 v[248:249], v[116:117], v[244:245]
	v_add_f64 v[2:3], v[2:3], v[248:249]
	buffer_load_dword v248, off, s[0:3], 0 offset:288
	buffer_load_dword v249, off, s[0:3], 0 offset:292
	;; [unrolled: 1-line block ×4, first 2 shown]
	v_fma_f64 v[6:7], v[114:115], v[244:245], -v[6:7]
	v_add_f64 v[4:5], v[4:5], v[6:7]
	s_waitcnt vmcnt(2)
	v_add_f64 v[4:5], v[248:249], -v[4:5]
	s_waitcnt vmcnt(0)
	v_add_f64 v[2:3], v[246:247], -v[2:3]
	buffer_store_dword v5, off, s[0:3], 0 offset:292
	buffer_store_dword v4, off, s[0:3], 0 offset:288
	buffer_store_dword v3, off, s[0:3], 0 offset:300
	buffer_store_dword v2, off, s[0:3], 0 offset:296
	s_and_saveexec_b64 s[4:5], vcc
	s_cbranch_execz .LBB62_371
; %bb.370:
	v_accvgpr_read_b32 v0, a172
	buffer_load_dword v2, v0, s[0:3], 0 offen
	buffer_load_dword v3, v0, s[0:3], 0 offen offset:4
	buffer_load_dword v4, v0, s[0:3], 0 offen offset:8
	;; [unrolled: 1-line block ×3, first 2 shown]
	v_accvgpr_read_b32 v0, a189
	buffer_store_dword v1, off, s[0:3], 0 offset:272
	buffer_store_dword v1, off, s[0:3], 0 offset:276
	;; [unrolled: 1-line block ×4, first 2 shown]
	s_waitcnt vmcnt(4)
	ds_write_b128 v0, v[2:5]
.LBB62_371:
	s_or_b64 exec, exec, s[4:5]
	s_waitcnt lgkmcnt(0)
	; wave barrier
	s_waitcnt lgkmcnt(0)
	buffer_load_dword v60, off, s[0:3], 0 offset:288
	buffer_load_dword v61, off, s[0:3], 0 offset:292
	;; [unrolled: 1-line block ×42, first 2 shown]
	ds_read_b128 v[114:117], v1 offset:1280
	ds_read_b128 v[182:185], v1 offset:1296
	;; [unrolled: 1-line block ×10, first 2 shown]
	buffer_load_dword v119, off, s[0:3], 0 offset:436
	buffer_load_dword v118, off, s[0:3], 0 offset:432
	ds_read_b128 v[62:65], v1 offset:1440
	buffer_load_dword v101, off, s[0:3], 0 offset:492
	buffer_load_dword v100, off, s[0:3], 0 offset:488
	;; [unrolled: 1-line block ×6, first 2 shown]
	s_waitcnt vmcnt(46) lgkmcnt(10)
	v_mul_f64 v[2:3], v[114:115], v[66:67]
	v_fmac_f64_e32 v[2:3], v[116:117], v[60:61]
	v_add_f64 v[2:3], v[2:3], 0
	s_waitcnt vmcnt(42) lgkmcnt(9)
	v_mul_f64 v[4:5], v[182:183], v[58:59]
	v_fmac_f64_e32 v[4:5], v[184:185], v[50:51]
	v_add_f64 v[2:3], v[2:3], v[4:5]
	buffer_load_dword v249, off, s[0:3], 0 offset:468
	buffer_load_dword v248, off, s[0:3], 0 offset:464
	;; [unrolled: 1-line block ×20, first 2 shown]
	s_waitcnt vmcnt(60) lgkmcnt(8)
	v_mul_f64 v[6:7], v[186:187], v[52:53]
	s_waitcnt vmcnt(58) lgkmcnt(6)
	v_mul_f64 v[10:11], v[200:201], v[68:69]
	s_waitcnt vmcnt(56)
	v_fmac_f64_e32 v[10:11], v[202:203], v[70:71]
	v_mul_f64 v[58:59], v[184:185], v[58:59]
	s_waitcnt vmcnt(54)
	v_mul_f64 v[8:9], v[194:195], v[72:73]
	v_fma_f64 v[218:219], v[182:183], v[50:51], -v[58:59]
	s_waitcnt vmcnt(52) lgkmcnt(4)
	v_mul_f64 v[14:15], v[208:209], v[74:75]
	v_mul_f64 v[50:51], v[188:189], v[52:53]
	s_waitcnt vmcnt(50)
	v_fmac_f64_e32 v[14:15], v[210:211], v[76:77]
	s_waitcnt vmcnt(48)
	v_mul_f64 v[12:13], v[204:205], v[78:79]
	s_waitcnt vmcnt(46) lgkmcnt(2)
	v_mul_f64 v[18:19], v[220:221], v[82:83]
	s_waitcnt vmcnt(43)
	v_mul_f64 v[16:17], v[212:213], v[216:217]
	s_waitcnt vmcnt(41) lgkmcnt(1)
	v_mul_f64 v[20:21], v[54:55], v[80:81]
	s_waitcnt vmcnt(39)
	v_fmac_f64_e32 v[6:7], v[188:189], v[96:97]
	v_add_f64 v[2:3], v[2:3], v[6:7]
	s_waitcnt vmcnt(37)
	v_fmac_f64_e32 v[8:9], v[196:197], v[92:93]
	v_add_f64 v[2:3], v[2:3], v[8:9]
	;; [unrolled: 3-line block ×3, first 2 shown]
	v_add_f64 v[2:3], v[2:3], v[12:13]
	s_waitcnt vmcnt(33)
	v_fmac_f64_e32 v[16:17], v[214:215], v[88:89]
	v_add_f64 v[2:3], v[2:3], v[14:15]
	s_waitcnt vmcnt(32)
	v_fmac_f64_e32 v[18:19], v[222:223], v[84:85]
	v_add_f64 v[2:3], v[2:3], v[16:17]
	v_add_f64 v[2:3], v[2:3], v[18:19]
	v_fma_f64 v[96:97], v[186:187], v[96:97], -v[50:51]
	s_waitcnt vmcnt(26)
	v_fmac_f64_e32 v[20:21], v[56:57], v[118:119]
	v_add_f64 v[2:3], v[2:3], v[20:21]
	v_mul_f64 v[50:51], v[196:197], v[72:73]
	v_mul_f64 v[56:57], v[56:57], v[80:81]
	v_fma_f64 v[118:119], v[54:55], v[118:119], -v[56:57]
	s_waitcnt vmcnt(0)
	v_pk_mov_b32 v[18:19], v[4:5], v[4:5] op_sel:[0,1]
	buffer_load_dword v5, off, s[0:3], 0 offset:580
	buffer_load_dword v4, off, s[0:3], 0 offset:576
	v_accvgpr_write_b32 a191, v19
	v_accvgpr_write_b32 a190, v18
	s_waitcnt vmcnt(0)
	v_pk_mov_b32 v[22:23], v[4:5], v[4:5] op_sel:[0,1]
	buffer_load_dword v137, off, s[0:3], 0 offset:572
	buffer_load_dword v136, off, s[0:3], 0 offset:568
	buffer_load_dword v141, off, s[0:3], 0 offset:564
	buffer_load_dword v140, off, s[0:3], 0 offset:560
	buffer_load_dword v5, off, s[0:3], 0 offset:620
	buffer_load_dword v4, off, s[0:3], 0 offset:616
	v_accvgpr_write_b32 a193, v23
	v_accvgpr_write_b32 a192, v22
	s_waitcnt vmcnt(0)
	v_pk_mov_b32 v[26:27], v[4:5], v[4:5] op_sel:[0,1]
	buffer_load_dword v5, off, s[0:3], 0 offset:612
	buffer_load_dword v4, off, s[0:3], 0 offset:608
	v_accvgpr_write_b32 a195, v27
	v_accvgpr_write_b32 a194, v26
	s_waitcnt vmcnt(0)
	v_pk_mov_b32 v[28:29], v[4:5], v[4:5] op_sel:[0,1]
	buffer_load_dword v145, off, s[0:3], 0 offset:604
	buffer_load_dword v144, off, s[0:3], 0 offset:600
	buffer_load_dword v149, off, s[0:3], 0 offset:596
	buffer_load_dword v148, off, s[0:3], 0 offset:592
	buffer_load_dword v5, off, s[0:3], 0 offset:652
	buffer_load_dword v4, off, s[0:3], 0 offset:648
	v_accvgpr_write_b32 a197, v29
	v_accvgpr_write_b32 a196, v28
	;; [unrolled: 16-line block ×3, first 2 shown]
	s_waitcnt vmcnt(0)
	v_pk_mov_b32 v[42:43], v[4:5], v[4:5] op_sel:[0,1]
	buffer_load_dword v5, off, s[0:3], 0 offset:676
	buffer_load_dword v4, off, s[0:3], 0 offset:672
	;; [unrolled: 1-line block ×30, first 2 shown]
	ds_read_b128 v[224:227], v1 offset:1456
	ds_read_b128 v[228:231], v1 offset:1472
	;; [unrolled: 1-line block ×10, first 2 shown]
	s_waitcnt lgkmcnt(4)
	v_mul_f64 v[8:9], v[244:245], v[106:107]
	v_fmac_f64_e32 v[8:9], v[246:247], v[108:109]
	s_waitcnt lgkmcnt(3)
	v_mul_f64 v[12:13], v[132:133], v[136:137]
	v_fmac_f64_e32 v[12:13], v[134:135], v[140:141]
	;; [unrolled: 3-line block ×5, first 2 shown]
	v_accvgpr_write_b32 a203, v43
	v_accvgpr_write_b32 a202, v42
	s_waitcnt vmcnt(28)
	v_pk_mov_b32 v[44:45], v[4:5], v[4:5] op_sel:[0,1]
	v_mul_f64 v[4:5], v[62:63], v[94:95]
	v_fmac_f64_e32 v[4:5], v[64:65], v[98:99]
	v_add_f64 v[2:3], v[2:3], v[4:5]
	v_mul_f64 v[4:5], v[224:225], v[104:105]
	v_fmac_f64_e32 v[4:5], v[226:227], v[248:249]
	v_add_f64 v[2:3], v[2:3], v[4:5]
	;; [unrolled: 3-line block ×6, first 2 shown]
	v_add_f64 v[10:11], v[6:7], v[8:9]
	v_add_f64 v[14:15], v[10:11], v[12:13]
	;; [unrolled: 1-line block ×4, first 2 shown]
	ds_read_b128 v[18:21], v1 offset:1616
	v_add_f64 v[26:27], v[22:23], v[24:25]
	ds_read_b128 v[22:25], v1 offset:1632
	v_accvgpr_write_b32 a205, v45
	v_accvgpr_write_b32 a204, v44
	s_waitcnt lgkmcnt(1)
	v_mul_f64 v[28:29], v[18:19], v[152:153]
	v_fmac_f64_e32 v[28:29], v[20:21], v[156:157]
	v_add_f64 v[30:31], v[26:27], v[28:29]
	ds_read_b128 v[26:29], v1 offset:1648
	s_waitcnt lgkmcnt(1)
	v_mul_f64 v[32:33], v[22:23], v[34:35]
	v_fmac_f64_e32 v[32:33], v[24:25], v[36:37]
	v_add_f64 v[34:35], v[30:31], v[32:33]
	ds_read_b128 v[30:33], v1 offset:1664
	s_waitcnt vmcnt(26) lgkmcnt(1)
	v_mul_f64 v[36:37], v[26:27], v[160:161]
	s_waitcnt vmcnt(24)
	v_fmac_f64_e32 v[36:37], v[28:29], v[162:163]
	v_add_f64 v[38:39], v[34:35], v[36:37]
	ds_read_b128 v[34:37], v1 offset:1680
	s_waitcnt lgkmcnt(1)
	v_mul_f64 v[40:41], v[30:31], v[42:43]
	v_fmac_f64_e32 v[40:41], v[32:33], v[44:45]
	v_add_f64 v[46:47], v[38:39], v[40:41]
	ds_read_b128 v[38:41], v1 offset:1696
	ds_read_b128 v[42:45], v1 offset:1712
	s_waitcnt vmcnt(18) lgkmcnt(2)
	v_mul_f64 v[48:49], v[34:35], v[164:165]
	s_waitcnt vmcnt(16)
	v_fmac_f64_e32 v[48:49], v[36:37], v[166:167]
	v_add_f64 v[46:47], v[46:47], v[48:49]
	s_waitcnt lgkmcnt(1)
	v_mul_f64 v[48:49], v[38:39], v[138:139]
	v_fmac_f64_e32 v[48:49], v[40:41], v[142:143]
	v_add_f64 v[46:47], v[46:47], v[48:49]
	s_waitcnt vmcnt(10) lgkmcnt(0)
	v_mul_f64 v[48:49], v[42:43], v[168:169]
	s_waitcnt vmcnt(8)
	v_fmac_f64_e32 v[48:49], v[44:45], v[170:171]
	v_add_f64 v[2:3], v[46:47], v[48:49]
	ds_read_b128 v[46:49], v1 offset:1728
	buffer_load_dword v177, off, s[0:3], 0 offset:796
	buffer_load_dword v176, off, s[0:3], 0 offset:792
	;; [unrolled: 1-line block ×16, first 2 shown]
	v_mul_f64 v[4:5], v[116:117], v[66:67]
	v_fma_f64 v[14:15], v[114:115], v[60:61], -v[4:5]
	v_fma_f64 v[114:115], v[194:195], v[92:93], -v[50:51]
	buffer_load_dword v184, off, s[0:3], 0 offset:872
	buffer_load_dword v197, off, s[0:3], 0 offset:860
	;; [unrolled: 1-line block ×8, first 2 shown]
	v_mul_f64 v[50:51], v[202:203], v[68:69]
	v_fma_f64 v[116:117], v[200:201], v[70:71], -v[50:51]
	buffer_load_dword v201, off, s[0:3], 0 offset:892
	buffer_load_dword v200, off, s[0:3], 0 offset:888
	;; [unrolled: 1-line block ×4, first 2 shown]
	v_mul_f64 v[8:9], v[210:211], v[74:75]
	v_mul_f64 v[50:51], v[206:207], v[78:79]
	v_fma_f64 v[8:9], v[208:209], v[76:77], -v[8:9]
	buffer_load_dword v206, off, s[0:3], 0 offset:904
	buffer_load_dword v208, off, s[0:3], 0 offset:896
	;; [unrolled: 1-line block ×4, first 2 shown]
	v_fma_f64 v[10:11], v[204:205], v[90:91], -v[50:51]
	v_mul_f64 v[50:51], v[214:215], v[216:217]
	v_fma_f64 v[6:7], v[212:213], v[88:89], -v[50:51]
	buffer_load_dword v205, off, s[0:3], 0 offset:940
	buffer_load_dword v211, off, s[0:3], 0 offset:924
	;; [unrolled: 1-line block ×12, first 2 shown]
	v_mul_f64 v[12:13], v[222:223], v[82:83]
	ds_read_b128 v[50:53], v1 offset:1744
	v_fma_f64 v[12:13], v[220:221], v[84:85], -v[12:13]
	buffer_load_dword v220, off, s[0:3], 0 offset:968
	buffer_load_dword v222, off, s[0:3], 0 offset:960
	buffer_load_dword v221, off, s[0:3], 0 offset:972
	buffer_load_dword v223, off, s[0:3], 0 offset:964
	ds_read_b128 v[54:57], v1 offset:1760
	s_waitcnt lgkmcnt(2)
	v_mul_f64 v[58:59], v[46:47], v[146:147]
	v_fmac_f64_e32 v[58:59], v[48:49], v[150:151]
	v_add_f64 v[2:3], v[2:3], v[58:59]
	s_waitcnt vmcnt(50) lgkmcnt(1)
	v_mul_f64 v[58:59], v[50:51], v[172:173]
	s_waitcnt vmcnt(48)
	v_fmac_f64_e32 v[58:59], v[52:53], v[174:175]
	v_mul_f64 v[64:65], v[64:65], v[94:95]
	v_add_f64 v[2:3], v[2:3], v[58:59]
	v_fma_f64 v[94:95], v[62:63], v[98:99], -v[64:65]
	ds_read_b128 v[62:65], v1 offset:1792
	s_waitcnt lgkmcnt(1)
	v_mul_f64 v[58:59], v[54:55], v[154:155]
	v_fmac_f64_e32 v[58:59], v[56:57], v[158:159]
	v_add_f64 v[2:3], v[2:3], v[58:59]
	ds_read_b128 v[58:61], v1 offset:1776
	v_mul_f64 v[74:75], v[230:231], v[100:101]
	ds_read_b128 v[98:101], v1 offset:1936
	v_add_f64 v[14:15], v[14:15], 0
	v_add_f64 v[14:15], v[14:15], v[218:219]
	;; [unrolled: 1-line block ×11, first 2 shown]
	v_accvgpr_read_b32 v8, a192
	v_accvgpr_read_b32 v9, a193
	s_waitcnt vmcnt(46) lgkmcnt(1)
	v_mul_f64 v[66:67], v[58:59], v[176:177]
	s_waitcnt vmcnt(44)
	v_fmac_f64_e32 v[66:67], v[60:61], v[180:181]
	v_add_f64 v[2:3], v[2:3], v[66:67]
	v_mul_f64 v[66:67], v[226:227], v[104:105]
	v_fma_f64 v[248:249], v[224:225], v[248:249], -v[66:67]
	ds_read_b128 v[66:69], v1 offset:1808
	s_waitcnt vmcnt(41)
	v_mul_f64 v[70:71], v[62:63], v[178:179]
	s_waitcnt vmcnt(40)
	v_fmac_f64_e32 v[70:71], v[64:65], v[182:183]
	v_add_f64 v[2:3], v[2:3], v[70:71]
	ds_read_b128 v[70:73], v1 offset:1824
	s_waitcnt vmcnt(38) lgkmcnt(1)
	v_mul_f64 v[78:79], v[66:67], v[186:187]
	v_fma_f64 v[224:225], v[228:229], v[102:103], -v[74:75]
	s_waitcnt vmcnt(36)
	v_fmac_f64_e32 v[78:79], v[68:69], v[190:191]
	ds_read_b128 v[74:77], v1 offset:1840
	v_add_f64 v[2:3], v[2:3], v[78:79]
	v_mul_f64 v[78:79], v[234:235], v[250:251]
	v_fma_f64 v[4:5], v[232:233], v[252:253], -v[78:79]
	ds_read_b128 v[78:81], v1 offset:1856
	s_waitcnt vmcnt(34) lgkmcnt(2)
	v_mul_f64 v[82:83], v[70:71], v[188:189]
	s_waitcnt vmcnt(32)
	v_fmac_f64_e32 v[82:83], v[72:73], v[192:193]
	v_add_f64 v[2:3], v[2:3], v[82:83]
	s_waitcnt vmcnt(29) lgkmcnt(1)
	v_mul_f64 v[16:17], v[74:75], v[196:197]
	ds_read_b128 v[82:85], v1 offset:1872
	s_waitcnt vmcnt(27)
	v_fmac_f64_e32 v[16:17], v[76:77], v[198:199]
	v_add_f64 v[2:3], v[2:3], v[16:17]
	s_waitcnt vmcnt(25) lgkmcnt(1)
	v_mul_f64 v[16:17], v[78:79], v[184:185]
	s_waitcnt vmcnt(24)
	v_fmac_f64_e32 v[16:17], v[80:81], v[194:195]
	v_add_f64 v[2:3], v[2:3], v[16:17]
	v_mul_f64 v[16:17], v[238:239], v[110:111]
	v_fma_f64 v[16:17], v[236:237], v[112:113], -v[16:17]
	ds_read_b128 v[236:239], v1 offset:1888
	s_waitcnt vmcnt(22) lgkmcnt(1)
	v_mul_f64 v[90:91], v[82:83], v[200:201]
	s_waitcnt vmcnt(20)
	v_fmac_f64_e32 v[90:91], v[84:85], v[202:203]
	v_add_f64 v[2:3], v[2:3], v[90:91]
	v_mul_f64 v[90:91], v[242:243], v[254:255]
	v_fma_f64 v[250:251], v[240:241], v[86:87], -v[90:91]
	ds_read_b128 v[90:93], v1 offset:1904
	ds_read_b128 v[240:243], v1 offset:1920
	s_waitcnt vmcnt(17) lgkmcnt(2)
	v_mul_f64 v[86:87], v[236:237], v[206:207]
	s_waitcnt vmcnt(16)
	v_fmac_f64_e32 v[86:87], v[238:239], v[208:209]
	v_add_f64 v[2:3], v[2:3], v[86:87]
	v_mul_f64 v[86:87], v[246:247], v[106:107]
	v_fma_f64 v[252:253], v[244:245], v[108:109], -v[86:87]
	s_waitcnt vmcnt(13) lgkmcnt(1)
	v_mul_f64 v[86:87], v[90:91], v[210:211]
	s_waitcnt vmcnt(11)
	v_fmac_f64_e32 v[86:87], v[92:93], v[216:217]
	ds_read_b128 v[102:105], v1 offset:1952
	v_add_f64 v[2:3], v[2:3], v[86:87]
	s_waitcnt vmcnt(10) lgkmcnt(1)
	v_mul_f64 v[86:87], v[240:241], v[204:205]
	s_waitcnt vmcnt(8)
	v_fmac_f64_e32 v[86:87], v[242:243], v[214:215]
	v_add_f64 v[2:3], v[2:3], v[86:87]
	s_waitcnt vmcnt(6)
	v_mul_f64 v[86:87], v[98:99], v[212:213]
	s_waitcnt vmcnt(4)
	v_fmac_f64_e32 v[86:87], v[100:101], v[88:89]
	v_add_f64 v[2:3], v[2:3], v[86:87]
	s_waitcnt vmcnt(1) lgkmcnt(0)
	v_mul_f64 v[86:87], v[102:103], v[220:221]
	s_waitcnt vmcnt(0)
	v_fmac_f64_e32 v[86:87], v[104:105], v[222:223]
	v_add_f64 v[2:3], v[2:3], v[86:87]
	buffer_load_dword v87, off, s[0:3], 0 offset:988
	buffer_load_dword v86, off, s[0:3], 0 offset:984
	;; [unrolled: 1-line block ×4, first 2 shown]
	ds_read_b128 v[106:109], v1 offset:1968
	buffer_load_dword v228, off, s[0:3], 0 offset:1000
	buffer_load_dword v229, off, s[0:3], 0 offset:1004
	;; [unrolled: 1-line block ×4, first 2 shown]
	v_add_f64 v[6:7], v[6:7], v[248:249]
	v_add_f64 v[6:7], v[6:7], v[224:225]
	v_add_f64 v[4:5], v[6:7], v[4:5]
	v_add_f64 v[254:255], v[4:5], v[16:17]
	v_add_f64 v[4:5], v[254:255], v[250:251]
	v_mul_f64 v[6:7], v[134:135], v[136:137]
	v_add_f64 v[4:5], v[4:5], v[252:253]
	v_fma_f64 v[6:7], v[132:133], v[140:141], -v[6:7]
	v_add_f64 v[4:5], v[4:5], v[6:7]
	v_accvgpr_read_b32 v6, a190
	v_accvgpr_read_b32 v7, a191
	v_mul_f64 v[6:7], v[130:131], v[6:7]
	v_fma_f64 v[6:7], v[128:129], v[8:9], -v[6:7]
	v_add_f64 v[4:5], v[4:5], v[6:7]
	v_mul_f64 v[6:7], v[126:127], v[144:145]
	v_fma_f64 v[6:7], v[124:125], v[148:149], -v[6:7]
	v_add_f64 v[4:5], v[4:5], v[6:7]
	v_accvgpr_read_b32 v6, a194
	v_accvgpr_read_b32 v7, a195
	v_accvgpr_read_b32 v8, a196
	v_mul_f64 v[6:7], v[122:123], v[6:7]
	v_accvgpr_read_b32 v9, a197
	v_fma_f64 v[6:7], v[120:121], v[8:9], -v[6:7]
	v_add_f64 v[4:5], v[4:5], v[6:7]
	v_mul_f64 v[6:7], v[20:21], v[152:153]
	v_fma_f64 v[6:7], v[18:19], v[156:157], -v[6:7]
	v_add_f64 v[4:5], v[4:5], v[6:7]
	v_accvgpr_read_b32 v6, a198
	v_accvgpr_read_b32 v7, a199
	v_accvgpr_read_b32 v8, a200
	v_mul_f64 v[6:7], v[24:25], v[6:7]
	v_accvgpr_read_b32 v9, a201
	;; [unrolled: 10-line block ×3, first 2 shown]
	v_fma_f64 v[6:7], v[30:31], v[8:9], -v[6:7]
	v_add_f64 v[4:5], v[4:5], v[6:7]
	v_mul_f64 v[6:7], v[36:37], v[164:165]
	v_fma_f64 v[6:7], v[34:35], v[166:167], -v[6:7]
	v_add_f64 v[4:5], v[4:5], v[6:7]
	v_mul_f64 v[6:7], v[40:41], v[138:139]
	;; [unrolled: 3-line block ×11, first 2 shown]
	s_waitcnt vmcnt(6) lgkmcnt(0)
	v_mul_f64 v[110:111], v[106:107], v[86:87]
	v_fma_f64 v[6:7], v[74:75], v[198:199], -v[6:7]
	s_waitcnt vmcnt(4)
	v_fmac_f64_e32 v[110:111], v[108:109], v[226:227]
	v_add_f64 v[2:3], v[2:3], v[110:111]
	ds_read_b128 v[110:113], v1 offset:1984
	buffer_load_dword v235, off, s[0:3], 0 offset:1020
	buffer_load_dword v234, off, s[0:3], 0 offset:1016
	;; [unrolled: 1-line block ×4, first 2 shown]
	v_add_f64 v[4:5], v[4:5], v[6:7]
	v_mul_f64 v[6:7], v[80:81], v[184:185]
	v_fma_f64 v[6:7], v[78:79], v[194:195], -v[6:7]
	s_waitcnt vmcnt(6) lgkmcnt(0)
	v_mul_f64 v[232:233], v[110:111], v[228:229]
	s_waitcnt vmcnt(4)
	v_fmac_f64_e32 v[232:233], v[112:113], v[230:231]
	v_add_f64 v[232:233], v[2:3], v[232:233]
	ds_read_b128 v[0:3], v1 offset:2000
	v_add_f64 v[4:5], v[4:5], v[6:7]
	v_mul_f64 v[6:7], v[84:85], v[200:201]
	v_fma_f64 v[6:7], v[82:83], v[202:203], -v[6:7]
	v_add_f64 v[4:5], v[4:5], v[6:7]
	v_mul_f64 v[6:7], v[238:239], v[206:207]
	v_fma_f64 v[6:7], v[236:237], v[208:209], -v[6:7]
	;; [unrolled: 3-line block ×8, first 2 shown]
	v_add_f64 v[4:5], v[4:5], v[6:7]
	s_waitcnt vmcnt(2) lgkmcnt(0)
	v_mul_f64 v[246:247], v[0:1], v[234:235]
	s_waitcnt vmcnt(0)
	v_fmac_f64_e32 v[246:247], v[2:3], v[244:245]
	v_add_f64 v[232:233], v[232:233], v[246:247]
	buffer_load_dword v248, off, s[0:3], 0 offset:272
	buffer_load_dword v249, off, s[0:3], 0 offset:276
	buffer_load_dword v246, off, s[0:3], 0 offset:280
	buffer_load_dword v247, off, s[0:3], 0 offset:284
	v_mul_f64 v[2:3], v[2:3], v[234:235]
	v_fma_f64 v[0:1], v[0:1], v[244:245], -v[2:3]
	v_add_f64 v[0:1], v[4:5], v[0:1]
	s_waitcnt vmcnt(2)
	v_add_f64 v[0:1], v[248:249], -v[0:1]
	s_waitcnt vmcnt(0)
	v_add_f64 v[2:3], v[246:247], -v[232:233]
	buffer_store_dword v1, off, s[0:3], 0 offset:276
	buffer_store_dword v0, off, s[0:3], 0 offset:272
	buffer_store_dword v3, off, s[0:3], 0 offset:284
	buffer_store_dword v2, off, s[0:3], 0 offset:280
	v_accvgpr_read_b32 v0, a188
	v_cmp_lt_u32_e32 vcc, 15, v0
	s_and_saveexec_b64 s[4:5], vcc
	s_cbranch_execz .LBB62_373
; %bb.372:
	v_accvgpr_read_b32 v0, a173
	buffer_load_dword v2, v0, s[0:3], 0 offen
	buffer_load_dword v3, v0, s[0:3], 0 offen offset:4
	buffer_load_dword v4, v0, s[0:3], 0 offen offset:8
	;; [unrolled: 1-line block ×3, first 2 shown]
	v_mov_b32_e32 v0, 0
	v_accvgpr_read_b32 v1, a189
	buffer_store_dword v0, off, s[0:3], 0 offset:256
	buffer_store_dword v0, off, s[0:3], 0 offset:260
	;; [unrolled: 1-line block ×4, first 2 shown]
	s_waitcnt vmcnt(4)
	ds_write_b128 v1, v[2:5]
.LBB62_373:
	s_or_b64 exec, exec, s[4:5]
	s_waitcnt lgkmcnt(0)
	; wave barrier
	s_waitcnt lgkmcnt(0)
	buffer_load_dword v48, off, s[0:3], 0 offset:272
	buffer_load_dword v49, off, s[0:3], 0 offset:276
	buffer_load_dword v52, off, s[0:3], 0 offset:280
	buffer_load_dword v53, off, s[0:3], 0 offset:284
	buffer_load_dword v50, off, s[0:3], 0 offset:288
	buffer_load_dword v51, off, s[0:3], 0 offset:292
	buffer_load_dword v54, off, s[0:3], 0 offset:296
	buffer_load_dword v55, off, s[0:3], 0 offset:300
	buffer_load_dword v46, off, s[0:3], 0 offset:312
	buffer_load_dword v47, off, s[0:3], 0 offset:316
	buffer_load_dword v63, off, s[0:3], 0 offset:348
	buffer_load_dword v62, off, s[0:3], 0 offset:344
	buffer_load_dword v57, off, s[0:3], 0 offset:340
	buffer_load_dword v56, off, s[0:3], 0 offset:336
	buffer_load_dword v65, off, s[0:3], 0 offset:332
	buffer_load_dword v64, off, s[0:3], 0 offset:328
	buffer_load_dword v67, off, s[0:3], 0 offset:380
	buffer_load_dword v66, off, s[0:3], 0 offset:376
	buffer_load_dword v69, off, s[0:3], 0 offset:372
	buffer_load_dword v68, off, s[0:3], 0 offset:368
	buffer_load_dword v71, off, s[0:3], 0 offset:364
	buffer_load_dword v70, off, s[0:3], 0 offset:360
	buffer_load_dword v77, off, s[0:3], 0 offset:412
	buffer_load_dword v76, off, s[0:3], 0 offset:408
	buffer_load_dword v74, off, s[0:3], 0 offset:400
	buffer_load_dword v79, off, s[0:3], 0 offset:396
	buffer_load_dword v78, off, s[0:3], 0 offset:392
	buffer_load_dword v73, off, s[0:3], 0 offset:428
	buffer_load_dword v72, off, s[0:3], 0 offset:424
	buffer_load_dword v90, off, s[0:3], 0 offset:304
	buffer_load_dword v91, off, s[0:3], 0 offset:308
	buffer_load_dword v189, off, s[0:3], 0 offset:324
	buffer_load_dword v188, off, s[0:3], 0 offset:320
	buffer_load_dword v209, off, s[0:3], 0 offset:356
	buffer_load_dword v208, off, s[0:3], 0 offset:352
	buffer_load_dword v81, off, s[0:3], 0 offset:388
	buffer_load_dword v80, off, s[0:3], 0 offset:384
	buffer_load_dword v75, off, s[0:3], 0 offset:404
	buffer_load_dword v84, off, s[0:3], 0 offset:440
	buffer_load_dword v86, off, s[0:3], 0 offset:432
	buffer_load_dword v87, off, s[0:3], 0 offset:436
	buffer_load_dword v85, off, s[0:3], 0 offset:444
	v_mov_b32_e32 v1, 0
	buffer_load_dword v99, off, s[0:3], 0 offset:420
	buffer_load_dword v98, off, s[0:3], 0 offset:416
	;; [unrolled: 1-line block ×7, first 2 shown]
	ds_read_b128 v[112:115], v1 offset:1264
	ds_read_b128 v[116:119], v1 offset:1280
	;; [unrolled: 1-line block ×11, first 2 shown]
	v_accvgpr_read_b32 v0, a188
	v_cmp_lt_u32_e32 vcc, 14, v0
	s_waitcnt vmcnt(45) lgkmcnt(10)
	v_mul_f64 v[2:3], v[112:113], v[52:53]
	v_fmac_f64_e32 v[2:3], v[114:115], v[48:49]
	v_add_f64 v[2:3], v[2:3], 0
	s_waitcnt vmcnt(41) lgkmcnt(9)
	v_mul_f64 v[4:5], v[116:117], v[54:55]
	v_fmac_f64_e32 v[4:5], v[118:119], v[50:51]
	v_add_f64 v[2:3], v[2:3], v[4:5]
	buffer_load_dword v96, off, s[0:3], 0 offset:456
	buffer_load_dword v253, off, s[0:3], 0 offset:452
	;; [unrolled: 1-line block ×21, first 2 shown]
	s_waitcnt vmcnt(60) lgkmcnt(8)
	v_mul_f64 v[6:7], v[180:181], v[46:47]
	s_waitcnt vmcnt(58) lgkmcnt(6)
	v_mul_f64 v[10:11], v[190:191], v[62:63]
	s_waitcnt vmcnt(56)
	v_fmac_f64_e32 v[10:11], v[192:193], v[56:57]
	v_mul_f64 v[46:47], v[182:183], v[46:47]
	s_waitcnt vmcnt(54)
	v_mul_f64 v[8:9], v[184:185], v[64:65]
	s_waitcnt vmcnt(52) lgkmcnt(4)
	v_mul_f64 v[14:15], v[200:201], v[66:67]
	s_waitcnt vmcnt(50)
	v_fmac_f64_e32 v[14:15], v[202:203], v[68:69]
	s_waitcnt vmcnt(48)
	v_mul_f64 v[12:13], v[196:197], v[70:71]
	s_waitcnt vmcnt(46) lgkmcnt(2)
	v_mul_f64 v[18:19], v[214:215], v[76:77]
	s_waitcnt vmcnt(43)
	v_mul_f64 v[16:17], v[204:205], v[78:79]
	s_waitcnt vmcnt(41) lgkmcnt(1)
	v_mul_f64 v[20:21], v[220:221], v[72:73]
	s_waitcnt vmcnt(39)
	v_fmac_f64_e32 v[6:7], v[182:183], v[90:91]
	v_add_f64 v[2:3], v[2:3], v[6:7]
	s_waitcnt vmcnt(37)
	v_fmac_f64_e32 v[8:9], v[186:187], v[188:189]
	v_add_f64 v[2:3], v[2:3], v[8:9]
	s_waitcnt vmcnt(35)
	v_fmac_f64_e32 v[12:13], v[198:199], v[208:209]
	v_add_f64 v[2:3], v[2:3], v[10:11]
	v_add_f64 v[2:3], v[2:3], v[12:13]
	v_add_f64 v[2:3], v[2:3], v[14:15]
	s_waitcnt vmcnt(33)
	v_fmac_f64_e32 v[16:17], v[206:207], v[80:81]
	v_add_f64 v[2:3], v[2:3], v[16:17]
	s_waitcnt vmcnt(32)
	v_fmac_f64_e32 v[18:19], v[216:217], v[74:75]
	;; [unrolled: 3-line block ×3, first 2 shown]
	v_add_f64 v[2:3], v[2:3], v[20:21]
	v_fma_f64 v[90:91], v[180:181], v[90:91], -v[46:47]
	v_mul_f64 v[46:47], v[186:187], v[64:65]
	s_waitcnt vmcnt(0)
	v_pk_mov_b32 v[14:15], v[4:5], v[4:5] op_sel:[0,1]
	buffer_load_dword v5, off, s[0:3], 0 offset:564
	buffer_load_dword v4, off, s[0:3], 0 offset:560
	v_accvgpr_write_b32 a191, v15
	v_accvgpr_write_b32 a190, v14
	s_waitcnt vmcnt(0)
	v_pk_mov_b32 v[16:17], v[4:5], v[4:5] op_sel:[0,1]
	buffer_load_dword v105, off, s[0:3], 0 offset:556
	buffer_load_dword v104, off, s[0:3], 0 offset:552
	buffer_load_dword v107, off, s[0:3], 0 offset:548
	buffer_load_dword v106, off, s[0:3], 0 offset:544
	buffer_load_dword v5, off, s[0:3], 0 offset:604
	buffer_load_dword v4, off, s[0:3], 0 offset:600
	v_accvgpr_write_b32 a193, v17
	v_accvgpr_write_b32 a192, v16
	s_waitcnt vmcnt(0)
	v_pk_mov_b32 v[22:23], v[4:5], v[4:5] op_sel:[0,1]
	buffer_load_dword v5, off, s[0:3], 0 offset:596
	buffer_load_dword v4, off, s[0:3], 0 offset:592
	v_accvgpr_write_b32 a195, v23
	v_accvgpr_write_b32 a194, v22
	s_waitcnt vmcnt(0)
	v_pk_mov_b32 v[24:25], v[4:5], v[4:5] op_sel:[0,1]
	buffer_load_dword v141, off, s[0:3], 0 offset:588
	buffer_load_dword v140, off, s[0:3], 0 offset:584
	buffer_load_dword v145, off, s[0:3], 0 offset:580
	buffer_load_dword v144, off, s[0:3], 0 offset:576
	buffer_load_dword v5, off, s[0:3], 0 offset:636
	buffer_load_dword v4, off, s[0:3], 0 offset:632
	v_accvgpr_write_b32 a197, v25
	v_accvgpr_write_b32 a196, v24
	;; [unrolled: 16-line block ×4, first 2 shown]
	s_waitcnt vmcnt(0)
	v_pk_mov_b32 v[174:175], v[4:5], v[4:5] op_sel:[0,1]
	buffer_load_dword v5, off, s[0:3], 0 offset:692
	buffer_load_dword v4, off, s[0:3], 0 offset:688
	;; [unrolled: 1-line block ×22, first 2 shown]
	ds_read_b128 v[224:227], v1 offset:1440
	ds_read_b128 v[228:231], v1 offset:1456
	;; [unrolled: 1-line block ×12, first 2 shown]
	s_waitcnt lgkmcnt(5)
	v_mul_f64 v[8:9], v[248:249], v[104:105]
	v_fmac_f64_e32 v[8:9], v[250:251], v[106:107]
	s_waitcnt lgkmcnt(4)
	v_mul_f64 v[12:13], v[136:137], v[14:15]
	v_fmac_f64_e32 v[12:13], v[138:139], v[16:17]
	;; [unrolled: 3-line block ×6, first 2 shown]
	v_accvgpr_write_b32 a207, v175
	v_accvgpr_write_b32 a206, v174
	s_waitcnt vmcnt(20)
	v_pk_mov_b32 v[176:177], v[4:5], v[4:5] op_sel:[0,1]
	v_mul_f64 v[4:5], v[58:59], v[84:85]
	v_fmac_f64_e32 v[4:5], v[60:61], v[86:87]
	v_add_f64 v[2:3], v[2:3], v[4:5]
	v_mul_f64 v[4:5], v[224:225], v[96:97]
	v_fmac_f64_e32 v[4:5], v[226:227], v[252:253]
	v_add_f64 v[2:3], v[2:3], v[4:5]
	;; [unrolled: 3-line block ×7, first 2 shown]
	v_add_f64 v[10:11], v[6:7], v[8:9]
	v_add_f64 v[14:15], v[10:11], v[12:13]
	;; [unrolled: 1-line block ×5, first 2 shown]
	ds_read_b128 v[22:25], v1 offset:1632
	v_add_f64 v[30:31], v[26:27], v[28:29]
	ds_read_b128 v[26:29], v1 offset:1648
	v_accvgpr_write_b32 a209, v177
	v_mul_f64 v[4:5], v[114:115], v[52:53]
	s_waitcnt lgkmcnt(1)
	v_mul_f64 v[32:33], v[22:23], v[156:157]
	v_fmac_f64_e32 v[32:33], v[24:25], v[158:159]
	s_waitcnt lgkmcnt(0)
	v_mul_f64 v[36:37], v[26:27], v[38:39]
	v_add_f64 v[34:35], v[30:31], v[32:33]
	ds_read_b128 v[30:33], v1 offset:1664
	v_fmac_f64_e32 v[36:37], v[28:29], v[40:41]
	v_add_f64 v[38:39], v[34:35], v[36:37]
	ds_read_b128 v[34:37], v1 offset:1680
	v_accvgpr_write_b32 a208, v176
	s_waitcnt vmcnt(18) lgkmcnt(1)
	v_mul_f64 v[40:41], v[30:31], v[160:161]
	s_waitcnt vmcnt(16)
	v_fmac_f64_e32 v[40:41], v[32:33], v[162:163]
	v_add_f64 v[42:43], v[38:39], v[40:41]
	s_waitcnt lgkmcnt(0)
	v_mul_f64 v[44:45], v[34:35], v[174:175]
	v_fmac_f64_e32 v[44:45], v[36:37], v[176:177]
	ds_read_b128 v[38:41], v1 offset:1696
	v_add_f64 v[2:3], v[42:43], v[44:45]
	ds_read_b128 v[42:45], v1 offset:1712
	v_fma_f64 v[18:19], v[112:113], v[48:49], -v[4:5]
	v_mul_f64 v[48:49], v[118:119], v[54:55]
	buffer_load_dword v119, off, s[0:3], 0 offset:780
	buffer_load_dword v118, off, s[0:3], 0 offset:776
	;; [unrolled: 1-line block ×8, first 2 shown]
	v_fma_f64 v[14:15], v[184:185], v[188:189], -v[46:47]
	buffer_load_dword v181, off, s[0:3], 0 offset:828
	buffer_load_dword v185, off, s[0:3], 0 offset:812
	;; [unrolled: 1-line block ×8, first 2 shown]
	v_mul_f64 v[8:9], v[192:193], v[62:63]
	v_fma_f64 v[10:11], v[190:191], v[56:57], -v[8:9]
	buffer_load_dword v182, off, s[0:3], 0 offset:856
	buffer_load_dword v193, off, s[0:3], 0 offset:844
	;; [unrolled: 1-line block ×8, first 2 shown]
	v_fma_f64 v[112:113], v[116:117], v[50:51], -v[48:49]
	v_mul_f64 v[50:51], v[198:199], v[70:71]
	ds_read_b128 v[46:49], v1 offset:1728
	v_fma_f64 v[8:9], v[196:197], v[208:209], -v[50:51]
	buffer_load_dword v197, off, s[0:3], 0 offset:876
	buffer_load_dword v196, off, s[0:3], 0 offset:872
	;; [unrolled: 1-line block ×4, first 2 shown]
	v_mul_f64 v[12:13], v[202:203], v[66:67]
	v_fma_f64 v[12:13], v[200:201], v[68:69], -v[12:13]
	buffer_load_dword v200, off, s[0:3], 0 offset:888
	buffer_load_dword v202, off, s[0:3], 0 offset:880
	;; [unrolled: 1-line block ×4, first 2 shown]
	v_mul_f64 v[50:51], v[206:207], v[78:79]
	buffer_load_dword v207, off, s[0:3], 0 offset:908
	buffer_load_dword v206, off, s[0:3], 0 offset:904
	;; [unrolled: 1-line block ×8, first 2 shown]
	v_mul_f64 v[16:17], v[216:217], v[76:77]
	v_fma_f64 v[6:7], v[204:205], v[80:81], -v[50:51]
	v_fma_f64 v[16:17], v[214:215], v[74:75], -v[16:17]
	buffer_load_dword v204, off, s[0:3], 0 offset:952
	buffer_load_dword v217, off, s[0:3], 0 offset:940
	;; [unrolled: 1-line block ×8, first 2 shown]
	s_waitcnt vmcnt(58) lgkmcnt(2)
	v_mul_f64 v[52:53], v[38:39], v[164:165]
	s_waitcnt vmcnt(56)
	v_fmac_f64_e32 v[52:53], v[40:41], v[166:167]
	v_mul_f64 v[50:51], v[222:223], v[72:73]
	v_add_f64 v[2:3], v[2:3], v[52:53]
	v_fma_f64 v[220:221], v[220:221], v[98:99], -v[50:51]
	ds_read_b128 v[50:53], v1 offset:1744
	s_waitcnt lgkmcnt(2)
	v_mul_f64 v[54:55], v[42:43], v[142:143]
	v_fmac_f64_e32 v[54:55], v[44:45], v[146:147]
	v_add_f64 v[2:3], v[2:3], v[54:55]
	s_waitcnt vmcnt(50) lgkmcnt(1)
	v_mul_f64 v[54:55], v[46:47], v[168:169]
	s_waitcnt vmcnt(48)
	v_fmac_f64_e32 v[54:55], v[48:49], v[170:171]
	v_mul_f64 v[60:61], v[60:61], v[84:85]
	v_add_f64 v[2:3], v[2:3], v[54:55]
	v_fma_f64 v[222:223], v[58:59], v[86:87], -v[60:61]
	ds_read_b128 v[58:61], v1 offset:1776
	s_waitcnt lgkmcnt(1)
	v_mul_f64 v[54:55], v[50:51], v[150:151]
	v_fmac_f64_e32 v[54:55], v[52:53], v[154:155]
	v_add_f64 v[2:3], v[2:3], v[54:55]
	ds_read_b128 v[54:57], v1 offset:1760
	v_mul_f64 v[70:71], v[230:231], v[92:93]
	v_fma_f64 v[92:93], v[228:229], v[94:95], -v[70:71]
	ds_read_b128 v[70:73], v1 offset:1824
	v_mul_f64 v[84:85], v[238:239], v[108:109]
	v_mul_f64 v[82:83], v[242:243], v[82:83]
	v_fma_f64 v[4:5], v[240:241], v[88:89], -v[82:83]
	ds_read_b128 v[240:243], v1 offset:1904
	v_add_f64 v[18:19], v[18:19], 0
	v_add_f64 v[18:19], v[18:19], v[112:113]
	;; [unrolled: 1-line block ×11, first 2 shown]
	v_accvgpr_read_b32 v8, a192
	v_accvgpr_read_b32 v9, a193
	ds_read_b128 v[86:89], v1 offset:1888
	s_waitcnt vmcnt(46) lgkmcnt(3)
	v_mul_f64 v[62:63], v[54:55], v[118:119]
	s_waitcnt vmcnt(44)
	v_fmac_f64_e32 v[62:63], v[56:57], v[178:179]
	v_add_f64 v[2:3], v[2:3], v[62:63]
	v_mul_f64 v[62:63], v[226:227], v[96:97]
	ds_read_b128 v[94:97], v1 offset:1920
	v_fma_f64 v[252:253], v[224:225], v[252:253], -v[62:63]
	ds_read_b128 v[62:65], v1 offset:1792
	s_waitcnt vmcnt(41)
	v_mul_f64 v[66:67], v[58:59], v[174:175]
	s_waitcnt vmcnt(40)
	v_fmac_f64_e32 v[66:67], v[60:61], v[176:177]
	v_add_f64 v[2:3], v[2:3], v[66:67]
	ds_read_b128 v[66:69], v1 offset:1808
	s_waitcnt vmcnt(37) lgkmcnt(1)
	v_mul_f64 v[74:75], v[62:63], v[184:185]
	s_waitcnt vmcnt(35)
	v_fmac_f64_e32 v[74:75], v[64:65], v[186:187]
	v_add_f64 v[2:3], v[2:3], v[74:75]
	v_mul_f64 v[74:75], v[234:235], v[254:255]
	v_fma_f64 v[172:173], v[232:233], v[172:173], -v[74:75]
	ds_read_b128 v[74:77], v1 offset:1840
	s_waitcnt vmcnt(34) lgkmcnt(1)
	v_mul_f64 v[78:79], v[66:67], v[180:181]
	s_waitcnt vmcnt(32)
	v_fmac_f64_e32 v[78:79], v[68:69], v[188:189]
	v_add_f64 v[2:3], v[2:3], v[78:79]
	s_waitcnt vmcnt(29)
	v_mul_f64 v[78:79], v[70:71], v[192:193]
	s_waitcnt vmcnt(27)
	v_fmac_f64_e32 v[78:79], v[72:73], v[194:195]
	v_add_f64 v[2:3], v[2:3], v[78:79]
	v_fma_f64 v[254:255], v[236:237], v[110:111], -v[84:85]
	ds_read_b128 v[236:239], v1 offset:1872
	s_waitcnt vmcnt(25) lgkmcnt(1)
	v_mul_f64 v[78:79], v[74:75], v[182:183]
	s_waitcnt vmcnt(24)
	v_fmac_f64_e32 v[78:79], v[76:77], v[190:191]
	v_add_f64 v[2:3], v[2:3], v[78:79]
	ds_read_b128 v[78:81], v1 offset:1856
	s_waitcnt vmcnt(17) lgkmcnt(1)
	v_mul_f64 v[20:21], v[236:237], v[200:201]
	s_waitcnt vmcnt(16)
	v_fmac_f64_e32 v[20:21], v[238:239], v[202:203]
	s_waitcnt vmcnt(14)
	v_mul_f64 v[82:83], v[86:87], v[206:207]
	s_waitcnt vmcnt(12)
	v_fmac_f64_e32 v[82:83], v[88:89], v[210:211]
	s_waitcnt lgkmcnt(0)
	v_mul_f64 v[84:85], v[78:79], v[196:197]
	v_fmac_f64_e32 v[84:85], v[80:81], v[198:199]
	v_add_f64 v[2:3], v[2:3], v[84:85]
	v_add_f64 v[2:3], v[2:3], v[20:21]
	v_mul_f64 v[20:21], v[246:247], v[100:101]
	ds_read_b128 v[98:101], v1 offset:1936
	v_add_f64 v[2:3], v[2:3], v[82:83]
	s_waitcnt vmcnt(10)
	v_mul_f64 v[82:83], v[240:241], v[208:209]
	s_waitcnt vmcnt(8)
	v_fmac_f64_e32 v[82:83], v[242:243], v[212:213]
	v_add_f64 v[2:3], v[2:3], v[82:83]
	s_waitcnt vmcnt(5)
	v_mul_f64 v[82:83], v[94:95], v[216:217]
	s_waitcnt vmcnt(3)
	v_fmac_f64_e32 v[82:83], v[96:97], v[218:219]
	v_add_f64 v[2:3], v[2:3], v[82:83]
	s_waitcnt vmcnt(1) lgkmcnt(0)
	v_mul_f64 v[82:83], v[98:99], v[204:205]
	s_waitcnt vmcnt(0)
	v_fmac_f64_e32 v[82:83], v[100:101], v[214:215]
	v_add_f64 v[82:83], v[2:3], v[82:83]
	buffer_load_dword v3, off, s[0:3], 0 offset:972
	buffer_load_dword v2, off, s[0:3], 0 offset:968
	;; [unrolled: 1-line block ×4, first 2 shown]
	v_fma_f64 v[20:21], v[244:245], v[102:103], -v[20:21]
	v_mul_f64 v[84:85], v[250:251], v[104:105]
	ds_read_b128 v[102:105], v1 offset:1952
	buffer_load_dword v224, off, s[0:3], 0 offset:984
	buffer_load_dword v225, off, s[0:3], 0 offset:988
	;; [unrolled: 1-line block ×4, first 2 shown]
	v_fma_f64 v[250:251], v[248:249], v[106:107], -v[84:85]
	ds_read_b128 v[106:109], v1 offset:1968
	buffer_load_dword v229, off, s[0:3], 0 offset:1004
	buffer_load_dword v228, off, s[0:3], 0 offset:1000
	;; [unrolled: 1-line block ×4, first 2 shown]
	v_add_f64 v[6:7], v[6:7], v[252:253]
	v_add_f64 v[6:7], v[6:7], v[92:93]
	;; [unrolled: 1-line block ×5, first 2 shown]
	v_accvgpr_read_b32 v6, a190
	v_accvgpr_read_b32 v7, a191
	v_add_f64 v[252:253], v[4:5], v[20:21]
	v_mul_f64 v[6:7], v[138:139], v[6:7]
	v_add_f64 v[4:5], v[252:253], v[250:251]
	v_fma_f64 v[6:7], v[136:137], v[8:9], -v[6:7]
	v_add_f64 v[4:5], v[4:5], v[6:7]
	v_mul_f64 v[6:7], v[134:135], v[140:141]
	v_fma_f64 v[6:7], v[132:133], v[144:145], -v[6:7]
	v_add_f64 v[4:5], v[4:5], v[6:7]
	v_accvgpr_read_b32 v6, a194
	v_accvgpr_read_b32 v7, a195
	v_accvgpr_read_b32 v8, a196
	v_mul_f64 v[6:7], v[130:131], v[6:7]
	v_accvgpr_read_b32 v9, a197
	v_fma_f64 v[6:7], v[128:129], v[8:9], -v[6:7]
	v_add_f64 v[4:5], v[4:5], v[6:7]
	v_mul_f64 v[6:7], v[126:127], v[148:149]
	v_fma_f64 v[6:7], v[124:125], v[152:153], -v[6:7]
	v_add_f64 v[4:5], v[4:5], v[6:7]
	v_accvgpr_read_b32 v6, a198
	v_accvgpr_read_b32 v7, a199
	v_accvgpr_read_b32 v8, a200
	v_mul_f64 v[6:7], v[122:123], v[6:7]
	v_accvgpr_read_b32 v9, a201
	;; [unrolled: 10-line block ×4, first 2 shown]
	v_fma_f64 v[6:7], v[34:35], v[8:9], -v[6:7]
	v_add_f64 v[4:5], v[4:5], v[6:7]
	v_mul_f64 v[6:7], v[40:41], v[164:165]
	v_fma_f64 v[6:7], v[38:39], v[166:167], -v[6:7]
	v_add_f64 v[4:5], v[4:5], v[6:7]
	v_mul_f64 v[6:7], v[44:45], v[142:143]
	;; [unrolled: 3-line block ×6, first 2 shown]
	v_fma_f64 v[6:7], v[58:59], v[176:177], -v[6:7]
	v_add_f64 v[4:5], v[4:5], v[6:7]
	s_waitcnt vmcnt(10) lgkmcnt(1)
	v_mul_f64 v[84:85], v[102:103], v[2:3]
	v_mul_f64 v[6:7], v[64:65], v[184:185]
	s_waitcnt vmcnt(8)
	v_fmac_f64_e32 v[84:85], v[104:105], v[110:111]
	v_add_f64 v[82:83], v[82:83], v[84:85]
	s_waitcnt vmcnt(6) lgkmcnt(0)
	v_mul_f64 v[84:85], v[106:107], v[224:225]
	v_fma_f64 v[6:7], v[62:63], v[186:187], -v[6:7]
	s_waitcnt vmcnt(4)
	v_fmac_f64_e32 v[84:85], v[108:109], v[226:227]
	v_add_f64 v[114:115], v[82:83], v[84:85]
	ds_read_b128 v[82:85], v1 offset:1984
	buffer_load_dword v234, off, s[0:3], 0 offset:1016
	buffer_load_dword v235, off, s[0:3], 0 offset:1020
	;; [unrolled: 1-line block ×4, first 2 shown]
	v_add_f64 v[4:5], v[4:5], v[6:7]
	v_mul_f64 v[6:7], v[68:69], v[180:181]
	v_fma_f64 v[6:7], v[66:67], v[188:189], -v[6:7]
	s_waitcnt vmcnt(6) lgkmcnt(0)
	v_mul_f64 v[116:117], v[82:83], v[228:229]
	s_waitcnt vmcnt(4)
	v_fmac_f64_e32 v[116:117], v[84:85], v[230:231]
	v_add_f64 v[232:233], v[114:115], v[116:117]
	ds_read_b128 v[114:117], v1 offset:2000
	buffer_load_dword v248, off, s[0:3], 0 offset:256
	buffer_load_dword v249, off, s[0:3], 0 offset:260
	v_add_f64 v[4:5], v[4:5], v[6:7]
	v_mul_f64 v[6:7], v[72:73], v[192:193]
	v_fma_f64 v[6:7], v[70:71], v[194:195], -v[6:7]
	v_add_f64 v[4:5], v[4:5], v[6:7]
	v_mul_f64 v[6:7], v[76:77], v[182:183]
	v_fma_f64 v[6:7], v[74:75], v[190:191], -v[6:7]
	;; [unrolled: 3-line block ×8, first 2 shown]
	v_mul_f64 v[2:3], v[104:105], v[2:3]
	v_add_f64 v[4:5], v[4:5], v[6:7]
	v_fma_f64 v[2:3], v[102:103], v[110:111], -v[2:3]
	v_add_f64 v[2:3], v[4:5], v[2:3]
	v_mul_f64 v[4:5], v[108:109], v[224:225]
	v_fma_f64 v[4:5], v[106:107], v[226:227], -v[4:5]
	v_add_f64 v[2:3], v[2:3], v[4:5]
	v_mul_f64 v[4:5], v[84:85], v[228:229]
	v_fma_f64 v[4:5], v[82:83], v[230:231], -v[4:5]
	v_add_f64 v[2:3], v[2:3], v[4:5]
	s_waitcnt vmcnt(4) lgkmcnt(0)
	v_mul_f64 v[246:247], v[114:115], v[234:235]
	v_mul_f64 v[4:5], v[116:117], v[234:235]
	s_waitcnt vmcnt(2)
	v_fmac_f64_e32 v[246:247], v[116:117], v[244:245]
	v_add_f64 v[232:233], v[232:233], v[246:247]
	buffer_load_dword v246, off, s[0:3], 0 offset:264
	buffer_load_dword v247, off, s[0:3], 0 offset:268
	v_fma_f64 v[4:5], v[114:115], v[244:245], -v[4:5]
	v_add_f64 v[2:3], v[2:3], v[4:5]
	s_waitcnt vmcnt(2)
	v_add_f64 v[2:3], v[248:249], -v[2:3]
	s_waitcnt vmcnt(0)
	v_add_f64 v[4:5], v[246:247], -v[232:233]
	buffer_store_dword v3, off, s[0:3], 0 offset:260
	buffer_store_dword v2, off, s[0:3], 0 offset:256
	;; [unrolled: 1-line block ×4, first 2 shown]
	s_and_saveexec_b64 s[4:5], vcc
	s_cbranch_execz .LBB62_375
; %bb.374:
	v_accvgpr_read_b32 v0, a174
	buffer_load_dword v2, v0, s[0:3], 0 offen
	buffer_load_dword v3, v0, s[0:3], 0 offen offset:4
	buffer_load_dword v4, v0, s[0:3], 0 offen offset:8
	;; [unrolled: 1-line block ×3, first 2 shown]
	v_accvgpr_read_b32 v0, a189
	buffer_store_dword v1, off, s[0:3], 0 offset:240
	buffer_store_dword v1, off, s[0:3], 0 offset:244
	;; [unrolled: 1-line block ×4, first 2 shown]
	s_waitcnt vmcnt(4)
	ds_write_b128 v0, v[2:5]
.LBB62_375:
	s_or_b64 exec, exec, s[4:5]
	s_waitcnt lgkmcnt(0)
	; wave barrier
	s_waitcnt lgkmcnt(0)
	buffer_load_dword v42, off, s[0:3], 0 offset:256
	buffer_load_dword v43, off, s[0:3], 0 offset:260
	;; [unrolled: 1-line block ×42, first 2 shown]
	ds_read_b128 v[110:113], v1 offset:1248
	ds_read_b128 v[114:117], v1 offset:1264
	;; [unrolled: 1-line block ×10, first 2 shown]
	buffer_load_dword v119, off, s[0:3], 0 offset:404
	buffer_load_dword v118, off, s[0:3], 0 offset:400
	ds_read_b128 v[50:53], v1 offset:1408
	buffer_load_dword v89, off, s[0:3], 0 offset:460
	buffer_load_dword v88, off, s[0:3], 0 offset:456
	;; [unrolled: 1-line block ×8, first 2 shown]
	s_waitcnt vmcnt(48) lgkmcnt(10)
	v_mul_f64 v[2:3], v[110:111], v[48:49]
	v_fmac_f64_e32 v[2:3], v[112:113], v[42:43]
	v_add_f64 v[2:3], v[2:3], 0
	s_waitcnt vmcnt(44) lgkmcnt(9)
	v_mul_f64 v[4:5], v[114:115], v[54:55]
	v_fmac_f64_e32 v[4:5], v[116:117], v[44:45]
	v_add_f64 v[2:3], v[2:3], v[4:5]
	buffer_load_dword v107, off, s[0:3], 0 offset:492
	buffer_load_dword v106, off, s[0:3], 0 offset:488
	;; [unrolled: 1-line block ×26, first 2 shown]
	s_waitcnt vmcnt(62) lgkmcnt(8)
	v_mul_f64 v[6:7], v[176:177], v[46:47]
	s_waitcnt lgkmcnt(6)
	v_mul_f64 v[10:11], v[188:189], v[58:59]
	v_fmac_f64_e32 v[10:11], v[190:191], v[56:57]
	v_mul_f64 v[46:47], v[178:179], v[46:47]
	v_mul_f64 v[8:9], v[180:181], v[60:61]
	s_waitcnt vmcnt(60) lgkmcnt(4)
	v_mul_f64 v[14:15], v[196:197], v[62:63]
	s_waitcnt vmcnt(58)
	v_fmac_f64_e32 v[14:15], v[198:199], v[64:65]
	s_waitcnt vmcnt(56)
	v_mul_f64 v[12:13], v[192:193], v[66:67]
	s_waitcnt vmcnt(54) lgkmcnt(2)
	v_mul_f64 v[18:19], v[204:205], v[68:69]
	s_waitcnt vmcnt(51)
	v_mul_f64 v[16:17], v[200:201], v[74:75]
	s_waitcnt vmcnt(49) lgkmcnt(1)
	v_mul_f64 v[20:21], v[210:211], v[72:73]
	s_waitcnt vmcnt(47)
	v_fmac_f64_e32 v[6:7], v[178:179], v[82:83]
	v_add_f64 v[2:3], v[2:3], v[6:7]
	s_waitcnt vmcnt(45)
	v_fmac_f64_e32 v[8:9], v[182:183], v[184:185]
	v_add_f64 v[2:3], v[2:3], v[8:9]
	;; [unrolled: 3-line block ×3, first 2 shown]
	v_add_f64 v[2:3], v[2:3], v[12:13]
	s_waitcnt vmcnt(41)
	v_fmac_f64_e32 v[16:17], v[202:203], v[76:77]
	v_add_f64 v[2:3], v[2:3], v[14:15]
	s_waitcnt vmcnt(40)
	v_fmac_f64_e32 v[18:19], v[206:207], v[70:71]
	v_add_f64 v[2:3], v[2:3], v[16:17]
	v_add_f64 v[2:3], v[2:3], v[18:19]
	s_waitcnt vmcnt(34)
	v_fmac_f64_e32 v[20:21], v[212:213], v[118:119]
	v_add_f64 v[2:3], v[2:3], v[20:21]
	s_waitcnt vmcnt(0)
	v_pk_mov_b32 v[18:19], v[4:5], v[4:5] op_sel:[0,1]
	buffer_load_dword v5, off, s[0:3], 0 offset:580
	buffer_load_dword v7, off, s[0:3], 0 offset:572
	;; [unrolled: 1-line block ×3, first 2 shown]
	v_accvgpr_write_b32 a195, v19
	v_accvgpr_write_b32 a194, v18
	s_waitcnt vmcnt(0)
	v_pk_mov_b32 v[14:15], v[6:7], v[6:7] op_sel:[0,1]
	buffer_load_dword v7, off, s[0:3], 0 offset:564
	buffer_load_dword v6, off, s[0:3], 0 offset:560
	;; [unrolled: 1-line block ×3, first 2 shown]
	v_accvgpr_write_b32 a191, v15
	v_accvgpr_write_b32 a190, v14
	s_waitcnt vmcnt(1)
	v_pk_mov_b32 v[16:17], v[6:7], v[6:7] op_sel:[0,1]
	s_waitcnt vmcnt(0)
	v_pk_mov_b32 v[22:23], v[4:5], v[4:5] op_sel:[0,1]
	buffer_load_dword v5, off, s[0:3], 0 offset:620
	buffer_load_dword v4, off, s[0:3], 0 offset:616
	v_accvgpr_write_b32 a193, v17
	v_accvgpr_write_b32 a192, v16
	;; [unrolled: 1-line block ×4, first 2 shown]
	s_waitcnt vmcnt(0)
	v_pk_mov_b32 v[26:27], v[4:5], v[4:5] op_sel:[0,1]
	buffer_load_dword v5, off, s[0:3], 0 offset:612
	buffer_load_dword v143, off, s[0:3], 0 offset:604
	;; [unrolled: 1-line block ×6, first 2 shown]
	v_accvgpr_write_b32 a199, v27
	v_accvgpr_write_b32 a198, v26
	s_waitcnt vmcnt(0)
	v_pk_mov_b32 v[28:29], v[4:5], v[4:5] op_sel:[0,1]
	buffer_load_dword v5, off, s[0:3], 0 offset:652
	buffer_load_dword v4, off, s[0:3], 0 offset:648
	v_accvgpr_write_b32 a201, v29
	v_accvgpr_write_b32 a200, v28
	s_waitcnt vmcnt(0)
	v_pk_mov_b32 v[34:35], v[4:5], v[4:5] op_sel:[0,1]
	buffer_load_dword v5, off, s[0:3], 0 offset:644
	buffer_load_dword v151, off, s[0:3], 0 offset:636
	;; [unrolled: 1-line block ×6, first 2 shown]
	v_accvgpr_write_b32 a203, v35
	v_accvgpr_write_b32 a202, v34
	s_waitcnt vmcnt(0)
	v_pk_mov_b32 v[36:37], v[4:5], v[4:5] op_sel:[0,1]
	buffer_load_dword v5, off, s[0:3], 0 offset:684
	buffer_load_dword v4, off, s[0:3], 0 offset:680
	v_accvgpr_write_b32 a205, v37
	v_accvgpr_write_b32 a204, v36
	s_waitcnt vmcnt(0)
	v_pk_mov_b32 v[38:39], v[4:5], v[4:5] op_sel:[0,1]
	buffer_load_dword v5, off, s[0:3], 0 offset:676
	buffer_load_dword v155, off, s[0:3], 0 offset:668
	;; [unrolled: 1-line block ×20, first 2 shown]
	ds_read_b128 v[220:223], v1 offset:1424
	ds_read_b128 v[224:227], v1 offset:1440
	;; [unrolled: 1-line block ×12, first 2 shown]
	s_waitcnt lgkmcnt(4)
	v_mul_f64 v[8:9], v[252:253], v[98:99]
	v_fmac_f64_e32 v[8:9], v[254:255], v[100:101]
	s_waitcnt lgkmcnt(3)
	v_mul_f64 v[12:13], v[136:137], v[14:15]
	v_fmac_f64_e32 v[12:13], v[138:139], v[16:17]
	;; [unrolled: 3-line block ×3, first 2 shown]
	s_waitcnt lgkmcnt(1)
	v_mul_f64 v[20:21], v[128:129], v[142:143]
	ds_read_b128 v[120:123], v1 offset:1616
	v_fmac_f64_e32 v[20:21], v[130:131], v[146:147]
	s_waitcnt lgkmcnt(1)
	v_mul_f64 v[24:25], v[124:125], v[26:27]
	v_fmac_f64_e32 v[24:25], v[126:127], v[28:29]
	v_accvgpr_write_b32 a207, v39
	v_accvgpr_write_b32 a206, v38
	v_mul_f64 v[98:99], v[254:255], v[98:99]
	v_fma_f64 v[252:253], v[252:253], v[100:101], -v[98:99]
	s_waitcnt vmcnt(14)
	v_pk_mov_b32 v[40:41], v[4:5], v[4:5] op_sel:[0,1]
	v_mul_f64 v[4:5], v[50:51], v[84:85]
	v_fmac_f64_e32 v[4:5], v[52:53], v[86:87]
	v_add_f64 v[2:3], v[2:3], v[4:5]
	v_mul_f64 v[4:5], v[220:221], v[96:97]
	v_fmac_f64_e32 v[4:5], v[222:223], v[248:249]
	v_add_f64 v[2:3], v[2:3], v[4:5]
	v_mul_f64 v[4:5], v[224:225], v[88:89]
	v_fmac_f64_e32 v[4:5], v[226:227], v[90:91]
	v_add_f64 v[2:3], v[2:3], v[4:5]
	v_mul_f64 v[4:5], v[228:229], v[250:251]
	v_fmac_f64_e32 v[4:5], v[230:231], v[214:215]
	v_add_f64 v[2:3], v[2:3], v[4:5]
	v_mul_f64 v[4:5], v[232:233], v[106:107]
	v_fmac_f64_e32 v[4:5], v[234:235], v[108:109]
	v_add_f64 v[2:3], v[2:3], v[4:5]
	v_mul_f64 v[4:5], v[236:237], v[78:79]
	v_fmac_f64_e32 v[4:5], v[238:239], v[80:81]
	v_add_f64 v[2:3], v[2:3], v[4:5]
	v_mul_f64 v[4:5], v[240:241], v[92:93]
	v_fmac_f64_e32 v[4:5], v[242:243], v[94:95]
	v_add_f64 v[2:3], v[2:3], v[4:5]
	v_mul_f64 v[4:5], v[244:245], v[102:103]
	v_fmac_f64_e32 v[4:5], v[246:247], v[104:105]
	v_add_f64 v[6:7], v[2:3], v[4:5]
	v_add_f64 v[10:11], v[6:7], v[8:9]
	v_add_f64 v[14:15], v[10:11], v[12:13]
	;; [unrolled: 1-line block ×5, first 2 shown]
	ds_read_b128 v[22:25], v1 offset:1632
	s_waitcnt lgkmcnt(1)
	v_mul_f64 v[28:29], v[120:121], v[150:151]
	v_fmac_f64_e32 v[28:29], v[122:123], v[152:153]
	v_add_f64 v[30:31], v[26:27], v[28:29]
	ds_read_b128 v[26:29], v1 offset:1648
	s_waitcnt lgkmcnt(1)
	v_mul_f64 v[32:33], v[22:23], v[34:35]
	v_fmac_f64_e32 v[32:33], v[24:25], v[36:37]
	v_add_f64 v[34:35], v[30:31], v[32:33]
	;; [unrolled: 5-line block ×3, first 2 shown]
	ds_read_b128 v[34:37], v1 offset:1680
	s_waitcnt lgkmcnt(1)
	v_mul_f64 v[168:169], v[30:31], v[38:39]
	v_accvgpr_write_b32 a209, v41
	v_fmac_f64_e32 v[168:169], v[32:33], v[40:41]
	v_accvgpr_write_b32 a208, v40
	ds_read_b128 v[38:41], v1 offset:1696
	v_add_f64 v[166:167], v[166:167], v[168:169]
	s_waitcnt vmcnt(9) lgkmcnt(1)
	v_mul_f64 v[168:169], v[34:35], v[158:159]
	s_waitcnt vmcnt(7)
	v_fmac_f64_e32 v[168:169], v[36:37], v[162:163]
	v_add_f64 v[166:167], v[166:167], v[168:169]
	s_waitcnt lgkmcnt(0)
	v_mul_f64 v[168:169], v[38:39], v[140:141]
	s_waitcnt vmcnt(6)
	v_fmac_f64_e32 v[168:169], v[40:41], v[144:145]
	v_add_f64 v[2:3], v[166:167], v[168:169]
	buffer_load_dword v169, off, s[0:3], 0 offset:740
	buffer_load_dword v168, off, s[0:3], 0 offset:736
	;; [unrolled: 1-line block ×10, first 2 shown]
	v_mul_f64 v[4:5], v[112:113], v[48:49]
	v_fma_f64 v[18:19], v[110:111], v[42:43], -v[4:5]
	v_mul_f64 v[42:43], v[116:117], v[54:55]
	v_fma_f64 v[110:111], v[114:115], v[44:45], -v[42:43]
	ds_read_b128 v[42:45], v1 offset:1712
	v_fma_f64 v[112:113], v[176:177], v[82:83], -v[46:47]
	v_mul_f64 v[46:47], v[182:183], v[60:61]
	buffer_load_dword v177, off, s[0:3], 0 offset:796
	buffer_load_dword v176, off, s[0:3], 0 offset:792
	;; [unrolled: 1-line block ×4, first 2 shown]
	v_fma_f64 v[114:115], v[180:181], v[184:185], -v[46:47]
	buffer_load_dword v181, off, s[0:3], 0 offset:812
	buffer_load_dword v180, off, s[0:3], 0 offset:808
	;; [unrolled: 1-line block ×8, first 2 shown]
	v_mul_f64 v[46:47], v[190:191], v[58:59]
	v_fma_f64 v[116:117], v[188:189], v[56:57], -v[46:47]
	buffer_load_dword v188, off, s[0:3], 0 offset:840
	v_mul_f64 v[46:47], v[194:195], v[66:67]
	v_fma_f64 v[14:15], v[192:193], v[208:209], -v[46:47]
	buffer_load_dword v192, off, s[0:3], 0 offset:832
	buffer_load_dword v189, off, s[0:3], 0 offset:844
	;; [unrolled: 1-line block ×3, first 2 shown]
	v_mul_f64 v[8:9], v[198:199], v[62:63]
	v_fma_f64 v[10:11], v[196:197], v[64:65], -v[8:9]
	buffer_load_dword v190, off, s[0:3], 0 offset:872
	buffer_load_dword v197, off, s[0:3], 0 offset:860
	;; [unrolled: 1-line block ×8, first 2 shown]
	v_mul_f64 v[48:49], v[202:203], v[74:75]
	v_fma_f64 v[8:9], v[200:201], v[76:77], -v[48:49]
	buffer_load_dword v201, off, s[0:3], 0 offset:892
	buffer_load_dword v200, off, s[0:3], 0 offset:888
	;; [unrolled: 1-line block ×4, first 2 shown]
	v_mul_f64 v[12:13], v[206:207], v[68:69]
	buffer_load_dword v207, off, s[0:3], 0 offset:908
	buffer_load_dword v206, off, s[0:3], 0 offset:904
	buffer_load_dword v209, off, s[0:3], 0 offset:900
	buffer_load_dword v208, off, s[0:3], 0 offset:896
	v_mul_f64 v[48:49], v[212:213], v[72:73]
	v_fma_f64 v[12:13], v[204:205], v[70:71], -v[12:13]
	v_fma_f64 v[6:7], v[210:211], v[118:119], -v[48:49]
	buffer_load_dword v204, off, s[0:3], 0 offset:936
	buffer_load_dword v213, off, s[0:3], 0 offset:924
	;; [unrolled: 1-line block ×12, first 2 shown]
	s_waitcnt vmcnt(56) lgkmcnt(0)
	v_mul_f64 v[46:47], v[42:43], v[160:161]
	s_waitcnt vmcnt(54)
	v_fmac_f64_e32 v[46:47], v[44:45], v[164:165]
	v_add_f64 v[2:3], v[2:3], v[46:47]
	ds_read_b128 v[46:49], v1 offset:1728
	v_mul_f64 v[16:17], v[52:53], v[84:85]
	v_fma_f64 v[16:17], v[50:51], v[86:87], -v[16:17]
	ds_read_b128 v[50:53], v1 offset:1744
	v_mul_f64 v[54:55], v[222:223], v[96:97]
	v_fma_f64 v[248:249], v[220:221], v[248:249], -v[54:55]
	ds_read_b128 v[54:57], v1 offset:1760
	s_waitcnt lgkmcnt(2)
	v_mul_f64 v[58:59], v[46:47], v[148:149]
	v_mul_f64 v[62:63], v[226:227], v[88:89]
	v_fma_f64 v[86:87], v[224:225], v[90:91], -v[62:63]
	ds_read_b128 v[62:65], v1 offset:1792
	v_mul_f64 v[66:67], v[230:231], v[250:251]
	v_fma_f64 v[88:89], v[228:229], v[214:215], -v[66:67]
	v_mul_f64 v[74:75], v[234:235], v[106:107]
	v_fma_f64 v[214:215], v[232:233], v[108:109], -v[74:75]
	;; [unrolled: 2-line block ×3, first 2 shown]
	ds_read_b128 v[78:81], v1 offset:1856
	v_mul_f64 v[90:91], v[246:247], v[102:103]
	v_fma_f64 v[250:251], v[244:245], v[104:105], -v[90:91]
	v_add_f64 v[18:19], v[18:19], 0
	v_add_f64 v[18:19], v[18:19], v[110:111]
	;; [unrolled: 1-line block ×4, first 2 shown]
	ds_read_b128 v[66:69], v1 offset:1808
	v_add_f64 v[18:19], v[18:19], v[116:117]
	v_add_f64 v[14:15], v[18:19], v[14:15]
	;; [unrolled: 1-line block ×10, first 2 shown]
	ds_read_b128 v[74:77], v1 offset:1840
	v_add_f64 v[6:7], v[6:7], v[214:215]
	v_add_f64 v[4:5], v[6:7], v[4:5]
	v_accvgpr_read_b32 v6, a190
	v_accvgpr_read_b32 v7, a191
	;; [unrolled: 1-line block ×3, first 2 shown]
	v_mul_f64 v[6:7], v[138:139], v[6:7]
	v_accvgpr_read_b32 v9, a193
	v_fma_f64 v[6:7], v[136:137], v[8:9], -v[6:7]
	v_accvgpr_read_b32 v8, a196
	s_waitcnt vmcnt(52)
	v_fmac_f64_e32 v[58:59], v[48:49], v[168:169]
	v_add_f64 v[2:3], v[2:3], v[58:59]
	s_waitcnt vmcnt(49) lgkmcnt(5)
	v_mul_f64 v[58:59], v[50:51], v[172:173]
	s_waitcnt vmcnt(47)
	v_fmac_f64_e32 v[58:59], v[52:53], v[174:175]
	v_add_f64 v[2:3], v[2:3], v[58:59]
	s_waitcnt vmcnt(45) lgkmcnt(4)
	v_mul_f64 v[58:59], v[54:55], v[166:167]
	s_waitcnt vmcnt(44)
	v_fmac_f64_e32 v[58:59], v[56:57], v[170:171]
	v_add_f64 v[2:3], v[2:3], v[58:59]
	ds_read_b128 v[58:61], v1 offset:1776
	ds_read_b128 v[98:101], v1 offset:1936
	v_accvgpr_read_b32 v9, a197
	s_waitcnt vmcnt(42) lgkmcnt(1)
	v_mul_f64 v[70:71], v[58:59], v[176:177]
	s_waitcnt vmcnt(40)
	v_fmac_f64_e32 v[70:71], v[60:61], v[178:179]
	v_add_f64 v[2:3], v[2:3], v[70:71]
	s_waitcnt vmcnt(38)
	v_mul_f64 v[70:71], v[62:63], v[180:181]
	s_waitcnt vmcnt(36)
	v_fmac_f64_e32 v[70:71], v[64:65], v[184:185]
	v_add_f64 v[2:3], v[2:3], v[70:71]
	s_waitcnt vmcnt(34)
	v_mul_f64 v[70:71], v[66:67], v[182:183]
	s_waitcnt vmcnt(32)
	v_fmac_f64_e32 v[70:71], v[68:69], v[186:187]
	v_add_f64 v[2:3], v[2:3], v[70:71]
	ds_read_b128 v[70:73], v1 offset:1824
	s_waitcnt vmcnt(25)
	v_mul_f64 v[20:21], v[74:75], v[196:197]
	s_waitcnt vmcnt(23)
	v_fmac_f64_e32 v[20:21], v[76:77], v[198:199]
	s_waitcnt lgkmcnt(0)
	v_mul_f64 v[82:83], v[70:71], v[188:189]
	v_fmac_f64_e32 v[82:83], v[72:73], v[192:193]
	v_add_f64 v[2:3], v[2:3], v[82:83]
	v_add_f64 v[2:3], v[2:3], v[20:21]
	ds_read_b128 v[82:85], v1 offset:1872
	s_waitcnt vmcnt(21)
	v_mul_f64 v[20:21], v[78:79], v[190:191]
	s_waitcnt vmcnt(20)
	v_fmac_f64_e32 v[20:21], v[80:81], v[194:195]
	v_add_f64 v[2:3], v[2:3], v[20:21]
	v_mul_f64 v[20:21], v[242:243], v[92:93]
	v_fma_f64 v[20:21], v[240:241], v[94:95], -v[20:21]
	ds_read_b128 v[240:243], v1 offset:1888
	ds_read_b128 v[90:93], v1 offset:1904
	s_waitcnt vmcnt(18) lgkmcnt(2)
	v_mul_f64 v[94:95], v[82:83], v[200:201]
	s_waitcnt vmcnt(16)
	v_fmac_f64_e32 v[94:95], v[84:85], v[202:203]
	v_add_f64 v[2:3], v[2:3], v[94:95]
	s_waitcnt vmcnt(14) lgkmcnt(1)
	v_mul_f64 v[94:95], v[240:241], v[206:207]
	s_waitcnt vmcnt(12)
	v_fmac_f64_e32 v[94:95], v[242:243], v[208:209]
	v_add_f64 v[2:3], v[2:3], v[94:95]
	ds_read_b128 v[94:97], v1 offset:1920
	buffer_load_dword v220, off, s[0:3], 0 offset:968
	buffer_load_dword v221, off, s[0:3], 0 offset:972
	;; [unrolled: 1-line block ×4, first 2 shown]
	s_waitcnt vmcnt(13) lgkmcnt(1)
	v_mul_f64 v[102:103], v[90:91], v[212:213]
	s_waitcnt vmcnt(11)
	v_fmac_f64_e32 v[102:103], v[92:93], v[216:217]
	v_add_f64 v[2:3], v[2:3], v[102:103]
	s_waitcnt vmcnt(9) lgkmcnt(0)
	v_mul_f64 v[102:103], v[94:95], v[204:205]
	s_waitcnt vmcnt(8)
	v_fmac_f64_e32 v[102:103], v[96:97], v[210:211]
	v_add_f64 v[2:3], v[2:3], v[102:103]
	s_waitcnt vmcnt(6)
	v_mul_f64 v[102:103], v[98:99], v[118:119]
	s_waitcnt vmcnt(4)
	v_fmac_f64_e32 v[102:103], v[100:101], v[218:219]
	v_add_f64 v[2:3], v[2:3], v[102:103]
	ds_read_b128 v[102:105], v1 offset:1952
	buffer_load_dword v225, off, s[0:3], 0 offset:988
	buffer_load_dword v224, off, s[0:3], 0 offset:984
	;; [unrolled: 1-line block ×4, first 2 shown]
	v_add_f64 v[254:255], v[4:5], v[20:21]
	v_add_f64 v[4:5], v[254:255], v[250:251]
	;; [unrolled: 1-line block ×4, first 2 shown]
	v_accvgpr_read_b32 v6, a194
	v_accvgpr_read_b32 v7, a195
	v_mul_f64 v[6:7], v[134:135], v[6:7]
	v_fma_f64 v[6:7], v[132:133], v[8:9], -v[6:7]
	v_add_f64 v[4:5], v[4:5], v[6:7]
	v_mul_f64 v[6:7], v[130:131], v[142:143]
	v_fma_f64 v[6:7], v[128:129], v[146:147], -v[6:7]
	v_add_f64 v[4:5], v[4:5], v[6:7]
	v_accvgpr_read_b32 v6, a198
	v_accvgpr_read_b32 v7, a199
	v_accvgpr_read_b32 v8, a200
	v_mul_f64 v[6:7], v[126:127], v[6:7]
	v_accvgpr_read_b32 v9, a201
	v_fma_f64 v[6:7], v[124:125], v[8:9], -v[6:7]
	v_add_f64 v[4:5], v[4:5], v[6:7]
	v_mul_f64 v[6:7], v[122:123], v[150:151]
	v_fma_f64 v[6:7], v[120:121], v[152:153], -v[6:7]
	v_add_f64 v[4:5], v[4:5], v[6:7]
	v_accvgpr_read_b32 v6, a202
	v_accvgpr_read_b32 v7, a203
	v_accvgpr_read_b32 v8, a204
	v_mul_f64 v[6:7], v[24:25], v[6:7]
	v_accvgpr_read_b32 v9, a205
	;; [unrolled: 10-line block ×3, first 2 shown]
	v_fma_f64 v[6:7], v[30:31], v[8:9], -v[6:7]
	v_add_f64 v[4:5], v[4:5], v[6:7]
	v_mul_f64 v[6:7], v[36:37], v[158:159]
	v_fma_f64 v[6:7], v[34:35], v[162:163], -v[6:7]
	v_add_f64 v[4:5], v[4:5], v[6:7]
	v_mul_f64 v[6:7], v[40:41], v[140:141]
	;; [unrolled: 3-line block ×9, first 2 shown]
	v_fma_f64 v[6:7], v[66:67], v[186:187], -v[6:7]
	v_add_f64 v[4:5], v[4:5], v[6:7]
	s_waitcnt vmcnt(6) lgkmcnt(0)
	v_mul_f64 v[106:107], v[102:103], v[220:221]
	v_mul_f64 v[6:7], v[72:73], v[188:189]
	s_waitcnt vmcnt(4)
	v_fmac_f64_e32 v[106:107], v[104:105], v[222:223]
	v_add_f64 v[2:3], v[2:3], v[106:107]
	ds_read_b128 v[106:109], v1 offset:1968
	v_fma_f64 v[6:7], v[70:71], v[192:193], -v[6:7]
	v_add_f64 v[4:5], v[4:5], v[6:7]
	v_mul_f64 v[6:7], v[76:77], v[196:197]
	v_fma_f64 v[6:7], v[74:75], v[198:199], -v[6:7]
	v_add_f64 v[4:5], v[4:5], v[6:7]
	v_mul_f64 v[6:7], v[80:81], v[190:191]
	s_waitcnt vmcnt(2) lgkmcnt(0)
	v_mul_f64 v[228:229], v[106:107], v[224:225]
	v_fma_f64 v[6:7], v[78:79], v[194:195], -v[6:7]
	s_waitcnt vmcnt(0)
	v_fmac_f64_e32 v[228:229], v[108:109], v[226:227]
	v_add_f64 v[2:3], v[2:3], v[228:229]
	buffer_load_dword v228, off, s[0:3], 0 offset:1000
	buffer_load_dword v229, off, s[0:3], 0 offset:1004
	;; [unrolled: 1-line block ×4, first 2 shown]
	ds_read_b128 v[236:239], v1 offset:1984
	buffer_load_dword v235, off, s[0:3], 0 offset:1020
	buffer_load_dword v234, off, s[0:3], 0 offset:1016
	;; [unrolled: 1-line block ×4, first 2 shown]
	v_add_f64 v[4:5], v[4:5], v[6:7]
	v_mul_f64 v[6:7], v[84:85], v[200:201]
	v_fma_f64 v[6:7], v[82:83], v[202:203], -v[6:7]
	v_add_f64 v[4:5], v[4:5], v[6:7]
	v_mul_f64 v[6:7], v[242:243], v[206:207]
	v_fma_f64 v[6:7], v[240:241], v[208:209], -v[6:7]
	;; [unrolled: 3-line block ×7, first 2 shown]
	v_add_f64 v[4:5], v[4:5], v[6:7]
	s_waitcnt vmcnt(6) lgkmcnt(0)
	v_mul_f64 v[232:233], v[236:237], v[228:229]
	v_mul_f64 v[6:7], v[238:239], v[228:229]
	s_waitcnt vmcnt(4)
	v_fmac_f64_e32 v[232:233], v[238:239], v[230:231]
	v_add_f64 v[232:233], v[2:3], v[232:233]
	ds_read_b128 v[0:3], v1 offset:2000
	v_fma_f64 v[6:7], v[236:237], v[230:231], -v[6:7]
	v_add_f64 v[4:5], v[4:5], v[6:7]
	s_waitcnt vmcnt(2) lgkmcnt(0)
	v_mul_f64 v[246:247], v[0:1], v[234:235]
	s_waitcnt vmcnt(0)
	v_fmac_f64_e32 v[246:247], v[2:3], v[244:245]
	v_add_f64 v[232:233], v[232:233], v[246:247]
	buffer_load_dword v248, off, s[0:3], 0 offset:240
	buffer_load_dword v249, off, s[0:3], 0 offset:244
	;; [unrolled: 1-line block ×4, first 2 shown]
	v_mul_f64 v[2:3], v[2:3], v[234:235]
	v_fma_f64 v[0:1], v[0:1], v[244:245], -v[2:3]
	v_add_f64 v[0:1], v[4:5], v[0:1]
	s_waitcnt vmcnt(2)
	v_add_f64 v[0:1], v[248:249], -v[0:1]
	s_waitcnt vmcnt(0)
	v_add_f64 v[2:3], v[246:247], -v[232:233]
	buffer_store_dword v1, off, s[0:3], 0 offset:244
	buffer_store_dword v0, off, s[0:3], 0 offset:240
	;; [unrolled: 1-line block ×4, first 2 shown]
	v_accvgpr_read_b32 v0, a188
	v_cmp_lt_u32_e32 vcc, 13, v0
	s_and_saveexec_b64 s[4:5], vcc
	s_cbranch_execz .LBB62_377
; %bb.376:
	v_accvgpr_read_b32 v0, a175
	buffer_load_dword v2, v0, s[0:3], 0 offen
	buffer_load_dword v3, v0, s[0:3], 0 offen offset:4
	buffer_load_dword v4, v0, s[0:3], 0 offen offset:8
	;; [unrolled: 1-line block ×3, first 2 shown]
	v_mov_b32_e32 v0, 0
	v_accvgpr_read_b32 v1, a189
	buffer_store_dword v0, off, s[0:3], 0 offset:224
	buffer_store_dword v0, off, s[0:3], 0 offset:228
	;; [unrolled: 1-line block ×4, first 2 shown]
	s_waitcnt vmcnt(4)
	ds_write_b128 v1, v[2:5]
.LBB62_377:
	s_or_b64 exec, exec, s[4:5]
	s_waitcnt lgkmcnt(0)
	; wave barrier
	s_waitcnt lgkmcnt(0)
	buffer_load_dword v38, off, s[0:3], 0 offset:240
	buffer_load_dword v39, off, s[0:3], 0 offset:244
	;; [unrolled: 1-line block ×42, first 2 shown]
	v_mov_b32_e32 v1, 0
	buffer_load_dword v99, off, s[0:3], 0 offset:388
	buffer_load_dword v98, off, s[0:3], 0 offset:384
	;; [unrolled: 1-line block ×7, first 2 shown]
	ds_read_b128 v[108:111], v1 offset:1232
	ds_read_b128 v[112:115], v1 offset:1248
	;; [unrolled: 1-line block ×11, first 2 shown]
	v_accvgpr_read_b32 v0, a188
	v_cmp_lt_u32_e32 vcc, 12, v0
	s_waitcnt vmcnt(45) lgkmcnt(10)
	v_mul_f64 v[2:3], v[108:109], v[40:41]
	v_fmac_f64_e32 v[2:3], v[110:111], v[38:39]
	v_add_f64 v[2:3], v[2:3], 0
	v_mul_f64 v[40:41], v[110:111], v[40:41]
	s_waitcnt vmcnt(41) lgkmcnt(9)
	v_mul_f64 v[4:5], v[112:113], v[46:47]
	v_fmac_f64_e32 v[4:5], v[114:115], v[44:45]
	v_add_f64 v[2:3], v[2:3], v[4:5]
	buffer_load_dword v84, off, s[0:3], 0 offset:424
	buffer_load_dword v253, off, s[0:3], 0 offset:420
	;; [unrolled: 1-line block ×29, first 2 shown]
	s_waitcnt vmcnt(62) lgkmcnt(8)
	v_mul_f64 v[6:7], v[116:117], v[42:43]
	s_waitcnt lgkmcnt(6)
	v_mul_f64 v[10:11], v[182:183], v[48:49]
	v_fmac_f64_e32 v[10:11], v[184:185], v[50:51]
	v_mul_f64 v[42:43], v[118:119], v[42:43]
	v_mul_f64 v[8:9], v[172:173], v[52:53]
	;; [unrolled: 1-line block ×3, first 2 shown]
	s_waitcnt vmcnt(60) lgkmcnt(4)
	v_mul_f64 v[14:15], v[192:193], v[56:57]
	s_waitcnt vmcnt(58)
	v_fmac_f64_e32 v[14:15], v[194:195], v[54:55]
	s_waitcnt vmcnt(56)
	v_mul_f64 v[12:13], v[186:187], v[58:59]
	s_waitcnt vmcnt(54) lgkmcnt(2)
	v_mul_f64 v[18:19], v[200:201], v[64:65]
	s_waitcnt vmcnt(51)
	v_mul_f64 v[16:17], v[196:197], v[66:67]
	s_waitcnt vmcnt(49) lgkmcnt(1)
	v_mul_f64 v[20:21], v[204:205], v[60:61]
	s_waitcnt vmcnt(47)
	v_fmac_f64_e32 v[6:7], v[118:119], v[74:75]
	v_add_f64 v[2:3], v[2:3], v[6:7]
	s_waitcnt vmcnt(45)
	v_fmac_f64_e32 v[8:9], v[174:175], v[178:179]
	v_add_f64 v[2:3], v[2:3], v[8:9]
	;; [unrolled: 3-line block ×3, first 2 shown]
	v_add_f64 v[2:3], v[2:3], v[12:13]
	v_add_f64 v[2:3], v[2:3], v[14:15]
	s_waitcnt vmcnt(41)
	v_fmac_f64_e32 v[16:17], v[198:199], v[68:69]
	v_add_f64 v[2:3], v[2:3], v[16:17]
	s_waitcnt vmcnt(40)
	v_fmac_f64_e32 v[18:19], v[202:203], v[62:63]
	;; [unrolled: 3-line block ×3, first 2 shown]
	v_add_f64 v[2:3], v[2:3], v[20:21]
	v_fma_f64 v[110:111], v[116:117], v[74:75], -v[42:43]
	v_mul_f64 v[42:43], v[174:175], v[52:53]
	s_waitcnt vmcnt(0)
	v_pk_mov_b32 v[14:15], v[4:5], v[4:5] op_sel:[0,1]
	buffer_load_dword v5, off, s[0:3], 0 offset:564
	buffer_load_dword v4, off, s[0:3], 0 offset:560
	v_accvgpr_write_b32 a191, v15
	v_accvgpr_write_b32 a190, v14
	s_waitcnt vmcnt(0)
	v_pk_mov_b32 v[16:17], v[4:5], v[4:5] op_sel:[0,1]
	buffer_load_dword v95, off, s[0:3], 0 offset:556
	buffer_load_dword v94, off, s[0:3], 0 offset:552
	;; [unrolled: 1-line block ×6, first 2 shown]
	v_accvgpr_write_b32 a193, v17
	v_accvgpr_write_b32 a192, v16
	s_waitcnt vmcnt(0)
	v_pk_mov_b32 v[22:23], v[4:5], v[4:5] op_sel:[0,1]
	buffer_load_dword v5, off, s[0:3], 0 offset:596
	buffer_load_dword v4, off, s[0:3], 0 offset:592
	v_accvgpr_write_b32 a197, v23
	v_accvgpr_write_b32 a196, v22
	s_waitcnt vmcnt(0)
	v_pk_mov_b32 v[24:25], v[4:5], v[4:5] op_sel:[0,1]
	buffer_load_dword v5, off, s[0:3], 0 offset:588
	buffer_load_dword v4, off, s[0:3], 0 offset:584
	;; [unrolled: 6-line block ×3, first 2 shown]
	buffer_load_dword v5, off, s[0:3], 0 offset:636
	buffer_load_dword v4, off, s[0:3], 0 offset:632
	v_accvgpr_write_b32 a195, v19
	v_accvgpr_write_b32 a194, v18
	s_waitcnt vmcnt(0)
	v_pk_mov_b32 v[30:31], v[4:5], v[4:5] op_sel:[0,1]
	buffer_load_dword v5, off, s[0:3], 0 offset:628
	buffer_load_dword v4, off, s[0:3], 0 offset:624
	v_accvgpr_write_b32 a201, v31
	v_accvgpr_write_b32 a200, v30
	s_waitcnt vmcnt(0)
	v_pk_mov_b32 v[32:33], v[4:5], v[4:5] op_sel:[0,1]
	buffer_load_dword v149, off, s[0:3], 0 offset:620
	buffer_load_dword v148, off, s[0:3], 0 offset:616
	buffer_load_dword v151, off, s[0:3], 0 offset:612
	buffer_load_dword v150, off, s[0:3], 0 offset:608
	buffer_load_dword v5, off, s[0:3], 0 offset:668
	buffer_load_dword v4, off, s[0:3], 0 offset:664
	v_accvgpr_write_b32 a203, v33
	v_accvgpr_write_b32 a202, v32
	s_waitcnt vmcnt(0)
	v_pk_mov_b32 v[164:165], v[4:5], v[4:5] op_sel:[0,1]
	buffer_load_dword v5, off, s[0:3], 0 offset:660
	buffer_load_dword v4, off, s[0:3], 0 offset:656
	v_accvgpr_write_b32 a205, v165
	v_accvgpr_write_b32 a204, v164
	s_waitcnt vmcnt(0)
	v_pk_mov_b32 v[166:167], v[4:5], v[4:5] op_sel:[0,1]
	buffer_load_dword v153, off, s[0:3], 0 offset:652
	buffer_load_dword v152, off, s[0:3], 0 offset:648
	buffer_load_dword v155, off, s[0:3], 0 offset:644
	buffer_load_dword v154, off, s[0:3], 0 offset:640
	;; [unrolled: 16-line block ×3, first 2 shown]
	buffer_load_dword v5, off, s[0:3], 0 offset:732
	buffer_load_dword v4, off, s[0:3], 0 offset:728
	;; [unrolled: 1-line block ×8, first 2 shown]
	ds_read_b128 v[216:219], v1 offset:1408
	ds_read_b128 v[220:223], v1 offset:1424
	;; [unrolled: 1-line block ×14, first 2 shown]
	s_waitcnt lgkmcnt(5)
	v_mul_f64 v[8:9], v[248:249], v[94:95]
	v_fmac_f64_e32 v[8:9], v[250:251], v[96:97]
	s_waitcnt lgkmcnt(4)
	v_mul_f64 v[12:13], v[140:141], v[14:15]
	v_fmac_f64_e32 v[12:13], v[142:143], v[16:17]
	s_waitcnt lgkmcnt(3)
	v_mul_f64 v[16:17], v[136:137], v[18:19]
	ds_read_b128 v[120:123], v1 offset:1632
	v_fmac_f64_e32 v[16:17], v[138:139], v[144:145]
	s_waitcnt lgkmcnt(3)
	v_mul_f64 v[20:21], v[132:133], v[22:23]
	v_fmac_f64_e32 v[20:21], v[134:135], v[24:25]
	s_waitcnt lgkmcnt(2)
	v_mul_f64 v[24:25], v[128:129], v[148:149]
	;; [unrolled: 3-line block ×3, first 2 shown]
	v_fmac_f64_e32 v[28:29], v[126:127], v[32:33]
	v_accvgpr_write_b32 a211, v171
	v_accvgpr_write_b32 a210, v170
	v_mul_f64 v[94:95], v[250:251], v[94:95]
	v_fma_f64 v[250:251], v[248:249], v[96:97], -v[94:95]
	s_waitcnt vmcnt(6)
	v_pk_mov_b32 v[212:213], v[4:5], v[4:5] op_sel:[0,1]
	v_mul_f64 v[4:5], v[208:209], v[76:77]
	v_fmac_f64_e32 v[4:5], v[210:211], v[82:83]
	v_add_f64 v[2:3], v[2:3], v[4:5]
	v_mul_f64 v[4:5], v[216:217], v[84:85]
	v_fmac_f64_e32 v[4:5], v[218:219], v[252:253]
	v_add_f64 v[2:3], v[2:3], v[4:5]
	;; [unrolled: 3-line block ×9, first 2 shown]
	v_add_f64 v[10:11], v[6:7], v[8:9]
	v_add_f64 v[14:15], v[10:11], v[12:13]
	;; [unrolled: 1-line block ×6, first 2 shown]
	ds_read_b128 v[26:29], v1 offset:1648
	s_waitcnt lgkmcnt(1)
	v_mul_f64 v[32:33], v[120:121], v[152:153]
	v_fmac_f64_e32 v[32:33], v[122:123], v[154:155]
	v_add_f64 v[34:35], v[30:31], v[32:33]
	ds_read_b128 v[30:33], v1 offset:1664
	s_waitcnt lgkmcnt(1)
	v_mul_f64 v[36:37], v[26:27], v[164:165]
	v_fmac_f64_e32 v[36:37], v[28:29], v[166:167]
	v_add_f64 v[164:165], v[34:35], v[36:37]
	ds_read_b128 v[34:37], v1 offset:1680
	s_waitcnt lgkmcnt(1)
	v_mul_f64 v[4:5], v[30:31], v[156:157]
	v_fmac_f64_e32 v[4:5], v[32:33], v[158:159]
	v_fma_f64 v[18:19], v[108:109], v[38:39], -v[40:41]
	ds_read_b128 v[38:41], v1 offset:1696
	v_add_f64 v[4:5], v[164:165], v[4:5]
	buffer_load_dword v165, off, s[0:3], 0 offset:748
	buffer_load_dword v164, off, s[0:3], 0 offset:744
	;; [unrolled: 1-line block ×4, first 2 shown]
	s_waitcnt lgkmcnt(1)
	v_mul_f64 v[108:109], v[34:35], v[168:169]
	v_fmac_f64_e32 v[108:109], v[36:37], v[170:171]
	buffer_load_dword v22, off, s[0:3], 0 offset:760
	buffer_load_dword v170, off, s[0:3], 0 offset:752
	;; [unrolled: 1-line block ×4, first 2 shown]
	v_fma_f64 v[168:169], v[112:113], v[44:45], -v[46:47]
	v_fma_f64 v[112:113], v[172:173], v[178:179], -v[42:43]
	buffer_load_dword v173, off, s[0:3], 0 offset:796
	buffer_load_dword v175, off, s[0:3], 0 offset:780
	buffer_load_dword v174, off, s[0:3], 0 offset:776
	buffer_load_dword v181, off, s[0:3], 0 offset:772
	buffer_load_dword v180, off, s[0:3], 0 offset:768
	buffer_load_dword v172, off, s[0:3], 0 offset:792
	buffer_load_dword v179, off, s[0:3], 0 offset:788
	buffer_load_dword v178, off, s[0:3], 0 offset:784
	v_mul_f64 v[46:47], v[184:185], v[48:49]
	ds_read_b128 v[42:45], v1 offset:1712
	v_fma_f64 v[114:115], v[182:183], v[50:51], -v[46:47]
	buffer_load_dword v118, off, s[0:3], 0 offset:824
	buffer_load_dword v183, off, s[0:3], 0 offset:812
	;; [unrolled: 1-line block ×5, first 2 shown]
	v_mul_f64 v[46:47], v[188:189], v[58:59]
	v_fma_f64 v[116:117], v[186:187], v[190:191], -v[46:47]
	buffer_load_dword v186, off, s[0:3], 0 offset:816
	buffer_load_dword v119, off, s[0:3], 0 offset:828
	;; [unrolled: 1-line block ×7, first 2 shown]
	v_mul_f64 v[8:9], v[198:199], v[66:67]
	v_mul_f64 v[46:47], v[194:195], v[56:57]
	v_fma_f64 v[10:11], v[196:197], v[68:69], -v[8:9]
	buffer_load_dword v194, off, s[0:3], 0 offset:856
	buffer_load_dword v196, off, s[0:3], 0 offset:848
	buffer_load_dword v195, off, s[0:3], 0 offset:860
	buffer_load_dword v197, off, s[0:3], 0 offset:852
	v_fma_f64 v[14:15], v[192:193], v[54:55], -v[46:47]
	v_mul_f64 v[46:47], v[202:203], v[64:65]
	v_fma_f64 v[8:9], v[200:201], v[62:63], -v[46:47]
	buffer_load_dword v193, off, s[0:3], 0 offset:892
	buffer_load_dword v199, off, s[0:3], 0 offset:876
	;; [unrolled: 1-line block ×8, first 2 shown]
	v_mul_f64 v[50:51], v[206:207], v[60:61]
	ds_read_b128 v[46:49], v1 offset:1728
	v_fma_f64 v[6:7], v[204:205], v[98:99], -v[50:51]
	buffer_load_dword v205, off, s[0:3], 0 offset:908
	buffer_load_dword v204, off, s[0:3], 0 offset:904
	;; [unrolled: 1-line block ×4, first 2 shown]
	v_accvgpr_write_b32 a212, v212
	v_mul_f64 v[16:17], v[210:211], v[76:77]
	s_waitcnt lgkmcnt(1)
	v_mul_f64 v[12:13], v[42:43], v[212:213]
	v_accvgpr_write_b32 a213, v213
	v_fma_f64 v[16:17], v[208:209], v[82:83], -v[16:17]
	buffer_load_dword v208, off, s[0:3], 0 offset:920
	buffer_load_dword v210, off, s[0:3], 0 offset:912
	;; [unrolled: 1-line block ×8, first 2 shown]
	v_mul_f64 v[50:51], v[218:219], v[84:85]
	v_fma_f64 v[252:253], v[216:217], v[252:253], -v[50:51]
	buffer_load_dword v216, off, s[0:3], 0 offset:952
	buffer_load_dword v218, off, s[0:3], 0 offset:944
	;; [unrolled: 1-line block ×4, first 2 shown]
	v_add_f64 v[4:5], v[4:5], v[108:109]
	s_waitcnt vmcnt(58)
	v_mul_f64 v[108:109], v[38:39], v[160:161]
	s_waitcnt vmcnt(56)
	v_fmac_f64_e32 v[108:109], v[40:41], v[162:163]
	v_add_f64 v[108:109], v[4:5], v[108:109]
	v_fmac_f64_e32 v[12:13], v[44:45], v[146:147]
	v_add_f64 v[12:13], v[108:109], v[12:13]
	v_mul_f64 v[54:55], v[222:223], v[78:79]
	v_fma_f64 v[220:221], v[220:221], v[80:81], -v[54:55]
	v_mul_f64 v[58:59], v[226:227], v[254:255]
	v_fma_f64 v[176:177], v[224:225], v[176:177], -v[58:59]
	ds_read_b128 v[58:61], v1 offset:1776
	v_mul_f64 v[66:67], v[230:231], v[104:105]
	v_fma_f64 v[254:255], v[228:229], v[106:107], -v[66:67]
	ds_read_b128 v[66:69], v1 offset:1808
	;; [unrolled: 3-line block ×4, first 2 shown]
	v_add_f64 v[18:19], v[18:19], 0
	v_add_f64 v[18:19], v[18:19], v[168:169]
	;; [unrolled: 1-line block ×7, first 2 shown]
	ds_read_b128 v[70:73], v1 offset:1824
	v_add_f64 v[10:11], v[14:15], v[10:11]
	v_add_f64 v[8:9], v[10:11], v[8:9]
	;; [unrolled: 1-line block ×6, first 2 shown]
	ds_read_b128 v[78:81], v1 offset:1856
	v_add_f64 v[6:7], v[6:7], v[176:177]
	v_add_f64 v[6:7], v[6:7], v[254:255]
	;; [unrolled: 1-line block ×3, first 2 shown]
	v_accvgpr_read_b32 v6, a192
	v_accvgpr_read_b32 v7, a193
	ds_read_b128 v[94:97], v1 offset:1920
	s_waitcnt vmcnt(54) lgkmcnt(7)
	v_mul_f64 v[50:51], v[46:47], v[164:165]
	s_waitcnt vmcnt(52)
	v_fmac_f64_e32 v[50:51], v[48:49], v[166:167]
	v_add_f64 v[12:13], v[12:13], v[50:51]
	ds_read_b128 v[50:53], v1 offset:1744
	s_waitcnt vmcnt(49) lgkmcnt(0)
	v_mul_f64 v[62:63], v[50:51], v[22:23]
	s_waitcnt vmcnt(48)
	v_fmac_f64_e32 v[62:63], v[52:53], v[170:171]
	v_add_f64 v[12:13], v[12:13], v[62:63]
	s_waitcnt vmcnt(45)
	v_mul_f64 v[62:63], v[54:55], v[174:175]
	s_waitcnt vmcnt(43)
	v_fmac_f64_e32 v[62:63], v[56:57], v[180:181]
	v_add_f64 v[12:13], v[12:13], v[62:63]
	s_waitcnt vmcnt(42)
	v_mul_f64 v[62:63], v[58:59], v[172:173]
	s_waitcnt vmcnt(40)
	v_fmac_f64_e32 v[62:63], v[60:61], v[178:179]
	v_add_f64 v[12:13], v[12:13], v[62:63]
	ds_read_b128 v[62:65], v1 offset:1792
	s_waitcnt vmcnt(33)
	v_mul_f64 v[20:21], v[66:67], v[118:119]
	s_waitcnt vmcnt(32)
	v_fmac_f64_e32 v[20:21], v[68:69], v[186:187]
	s_waitcnt vmcnt(21)
	v_mul_f64 v[24:25], v[78:79], v[198:199]
	s_waitcnt vmcnt(19)
	v_fmac_f64_e32 v[24:25], v[80:81], v[202:203]
	s_waitcnt lgkmcnt(0)
	v_mul_f64 v[74:75], v[62:63], v[182:183]
	v_fmac_f64_e32 v[74:75], v[64:65], v[184:185]
	v_add_f64 v[12:13], v[12:13], v[74:75]
	ds_read_b128 v[74:77], v1 offset:1840
	v_add_f64 v[12:13], v[12:13], v[20:21]
	v_mul_f64 v[20:21], v[70:71], v[188:189]
	v_fmac_f64_e32 v[20:21], v[72:73], v[190:191]
	v_add_f64 v[12:13], v[12:13], v[20:21]
	v_mul_f64 v[20:21], v[238:239], v[86:87]
	s_waitcnt lgkmcnt(0)
	v_mul_f64 v[86:87], v[74:75], v[194:195]
	v_fmac_f64_e32 v[86:87], v[76:77], v[196:197]
	v_add_f64 v[12:13], v[12:13], v[86:87]
	v_fma_f64 v[20:21], v[236:237], v[88:89], -v[20:21]
	v_add_f64 v[12:13], v[12:13], v[24:25]
	ds_read_b128 v[86:89], v1 offset:1888
	s_waitcnt vmcnt(18)
	v_mul_f64 v[24:25], v[82:83], v[192:193]
	s_waitcnt vmcnt(16)
	v_fmac_f64_e32 v[24:25], v[84:85], v[200:201]
	v_add_f64 v[12:13], v[12:13], v[24:25]
	v_mul_f64 v[24:25], v[246:247], v[90:91]
	v_fma_f64 v[24:25], v[244:245], v[92:93], -v[24:25]
	ds_read_b128 v[90:93], v1 offset:1904
	s_waitcnt vmcnt(14) lgkmcnt(1)
	v_mul_f64 v[98:99], v[86:87], v[204:205]
	s_waitcnt vmcnt(12)
	v_fmac_f64_e32 v[98:99], v[88:89], v[206:207]
	v_add_f64 v[12:13], v[12:13], v[98:99]
	v_add_f64 v[4:5], v[4:5], v[20:21]
	s_waitcnt vmcnt(9) lgkmcnt(0)
	v_mul_f64 v[98:99], v[90:91], v[208:209]
	s_waitcnt vmcnt(8)
	v_fmac_f64_e32 v[98:99], v[92:93], v[210:211]
	v_add_f64 v[12:13], v[12:13], v[98:99]
	s_waitcnt vmcnt(6)
	v_mul_f64 v[98:99], v[94:95], v[212:213]
	s_waitcnt vmcnt(4)
	v_fmac_f64_e32 v[98:99], v[96:97], v[214:215]
	v_add_f64 v[12:13], v[12:13], v[98:99]
	ds_read_b128 v[98:101], v1 offset:1936
	v_add_f64 v[2:3], v[4:5], v[2:3]
	v_accvgpr_read_b32 v4, a190
	v_accvgpr_read_b32 v5, a191
	v_add_f64 v[252:253], v[2:3], v[24:25]
	s_waitcnt vmcnt(1) lgkmcnt(0)
	v_mul_f64 v[102:103], v[98:99], v[216:217]
	s_waitcnt vmcnt(0)
	v_fmac_f64_e32 v[102:103], v[100:101], v[218:219]
	v_add_f64 v[106:107], v[12:13], v[102:103]
	buffer_load_dword v13, off, s[0:3], 0 offset:972
	buffer_load_dword v12, off, s[0:3], 0 offset:968
	;; [unrolled: 1-line block ×4, first 2 shown]
	ds_read_b128 v[102:105], v1 offset:1952
	buffer_load_dword v224, off, s[0:3], 0 offset:984
	buffer_load_dword v225, off, s[0:3], 0 offset:988
	;; [unrolled: 1-line block ×4, first 2 shown]
	v_mul_f64 v[4:5], v[142:143], v[4:5]
	v_add_f64 v[2:3], v[252:253], v[250:251]
	v_fma_f64 v[4:5], v[140:141], v[6:7], -v[4:5]
	v_add_f64 v[2:3], v[2:3], v[4:5]
	v_accvgpr_read_b32 v4, a194
	v_accvgpr_read_b32 v5, a195
	v_mul_f64 v[4:5], v[138:139], v[4:5]
	v_fma_f64 v[4:5], v[136:137], v[144:145], -v[4:5]
	v_add_f64 v[2:3], v[2:3], v[4:5]
	v_accvgpr_read_b32 v4, a196
	v_accvgpr_read_b32 v5, a197
	v_accvgpr_read_b32 v6, a198
	v_mul_f64 v[4:5], v[134:135], v[4:5]
	v_accvgpr_read_b32 v7, a199
	v_fma_f64 v[4:5], v[132:133], v[6:7], -v[4:5]
	v_add_f64 v[2:3], v[2:3], v[4:5]
	v_mul_f64 v[4:5], v[130:131], v[148:149]
	v_fma_f64 v[4:5], v[128:129], v[150:151], -v[4:5]
	v_add_f64 v[2:3], v[2:3], v[4:5]
	v_accvgpr_read_b32 v4, a200
	v_accvgpr_read_b32 v5, a201
	v_accvgpr_read_b32 v6, a202
	v_mul_f64 v[4:5], v[126:127], v[4:5]
	v_accvgpr_read_b32 v7, a203
	v_fma_f64 v[4:5], v[124:125], v[6:7], -v[4:5]
	v_add_f64 v[2:3], v[2:3], v[4:5]
	;; [unrolled: 10-line block ×4, first 2 shown]
	v_mul_f64 v[4:5], v[40:41], v[160:161]
	v_fma_f64 v[4:5], v[38:39], v[162:163], -v[4:5]
	v_add_f64 v[2:3], v[2:3], v[4:5]
	v_accvgpr_read_b32 v4, a212
	v_accvgpr_read_b32 v5, a213
	v_mul_f64 v[4:5], v[44:45], v[4:5]
	v_fma_f64 v[4:5], v[42:43], v[146:147], -v[4:5]
	v_add_f64 v[2:3], v[2:3], v[4:5]
	v_mul_f64 v[4:5], v[48:49], v[164:165]
	v_fma_f64 v[4:5], v[46:47], v[166:167], -v[4:5]
	v_add_f64 v[2:3], v[2:3], v[4:5]
	;; [unrolled: 3-line block ×8, first 2 shown]
	s_waitcnt vmcnt(6) lgkmcnt(0)
	v_mul_f64 v[108:109], v[102:103], v[12:13]
	v_mul_f64 v[4:5], v[76:77], v[194:195]
	s_waitcnt vmcnt(4)
	v_fmac_f64_e32 v[108:109], v[104:105], v[222:223]
	v_add_f64 v[228:229], v[106:107], v[108:109]
	ds_read_b128 v[106:109], v1 offset:1968
	v_fma_f64 v[4:5], v[74:75], v[196:197], -v[4:5]
	v_add_f64 v[2:3], v[2:3], v[4:5]
	v_mul_f64 v[4:5], v[80:81], v[198:199]
	v_fma_f64 v[4:5], v[78:79], v[202:203], -v[4:5]
	s_waitcnt vmcnt(2) lgkmcnt(0)
	v_mul_f64 v[230:231], v[106:107], v[224:225]
	s_waitcnt vmcnt(0)
	v_fmac_f64_e32 v[230:231], v[108:109], v[226:227]
	v_add_f64 v[232:233], v[228:229], v[230:231]
	buffer_load_dword v229, off, s[0:3], 0 offset:1004
	buffer_load_dword v228, off, s[0:3], 0 offset:1000
	;; [unrolled: 1-line block ×4, first 2 shown]
	ds_read_b128 v[236:239], v1 offset:1984
	v_add_f64 v[2:3], v[2:3], v[4:5]
	v_mul_f64 v[4:5], v[84:85], v[192:193]
	v_fma_f64 v[4:5], v[82:83], v[200:201], -v[4:5]
	v_add_f64 v[2:3], v[2:3], v[4:5]
	v_mul_f64 v[4:5], v[88:89], v[204:205]
	v_fma_f64 v[4:5], v[86:87], v[206:207], -v[4:5]
	;; [unrolled: 3-line block ×7, first 2 shown]
	v_add_f64 v[2:3], v[2:3], v[4:5]
	s_waitcnt vmcnt(2) lgkmcnt(0)
	v_mul_f64 v[234:235], v[236:237], v[228:229]
	v_mul_f64 v[4:5], v[238:239], v[228:229]
	s_waitcnt vmcnt(0)
	v_fmac_f64_e32 v[234:235], v[238:239], v[230:231]
	v_add_f64 v[232:233], v[232:233], v[234:235]
	buffer_load_dword v234, off, s[0:3], 0 offset:1016
	buffer_load_dword v235, off, s[0:3], 0 offset:1020
	;; [unrolled: 1-line block ×4, first 2 shown]
	ds_read_b128 v[240:243], v1 offset:2000
	buffer_load_dword v248, off, s[0:3], 0 offset:224
	buffer_load_dword v249, off, s[0:3], 0 offset:228
	v_fma_f64 v[4:5], v[236:237], v[230:231], -v[4:5]
	v_add_f64 v[2:3], v[2:3], v[4:5]
	s_waitcnt vmcnt(4) lgkmcnt(0)
	v_mul_f64 v[246:247], v[240:241], v[234:235]
	v_mul_f64 v[4:5], v[242:243], v[234:235]
	s_waitcnt vmcnt(2)
	v_fmac_f64_e32 v[246:247], v[242:243], v[244:245]
	v_add_f64 v[232:233], v[232:233], v[246:247]
	buffer_load_dword v246, off, s[0:3], 0 offset:232
	buffer_load_dword v247, off, s[0:3], 0 offset:236
	v_fma_f64 v[4:5], v[240:241], v[244:245], -v[4:5]
	v_add_f64 v[2:3], v[2:3], v[4:5]
	s_waitcnt vmcnt(2)
	v_add_f64 v[2:3], v[248:249], -v[2:3]
	s_waitcnt vmcnt(0)
	v_add_f64 v[4:5], v[246:247], -v[232:233]
	buffer_store_dword v3, off, s[0:3], 0 offset:228
	buffer_store_dword v2, off, s[0:3], 0 offset:224
	;; [unrolled: 1-line block ×4, first 2 shown]
	s_and_saveexec_b64 s[4:5], vcc
	s_cbranch_execz .LBB62_379
; %bb.378:
	v_accvgpr_read_b32 v0, a176
	buffer_load_dword v2, v0, s[0:3], 0 offen
	buffer_load_dword v3, v0, s[0:3], 0 offen offset:4
	buffer_load_dword v4, v0, s[0:3], 0 offen offset:8
	;; [unrolled: 1-line block ×3, first 2 shown]
	v_accvgpr_read_b32 v0, a189
	buffer_store_dword v1, off, s[0:3], 0 offset:208
	buffer_store_dword v1, off, s[0:3], 0 offset:212
	;; [unrolled: 1-line block ×4, first 2 shown]
	s_waitcnt vmcnt(4)
	ds_write_b128 v0, v[2:5]
.LBB62_379:
	s_or_b64 exec, exec, s[4:5]
	s_waitcnt lgkmcnt(0)
	; wave barrier
	s_waitcnt lgkmcnt(0)
	buffer_load_dword v176, off, s[0:3], 0 offset:224
	buffer_load_dword v177, off, s[0:3], 0 offset:228
	;; [unrolled: 1-line block ×42, first 2 shown]
	ds_read_b128 v[42:45], v1 offset:1216
	ds_read_b128 v[108:111], v1 offset:1232
	;; [unrolled: 1-line block ×10, first 2 shown]
	buffer_load_dword v201, off, s[0:3], 0 offset:372
	buffer_load_dword v200, off, s[0:3], 0 offset:368
	ds_read_b128 v[46:49], v1 offset:1376
	buffer_load_dword v85, off, s[0:3], 0 offset:428
	buffer_load_dword v84, off, s[0:3], 0 offset:424
	;; [unrolled: 1-line block ×6, first 2 shown]
	s_waitcnt vmcnt(46) lgkmcnt(10)
	v_mul_f64 v[2:3], v[42:43], v[36:37]
	v_fmac_f64_e32 v[2:3], v[44:45], v[176:177]
	v_add_f64 v[2:3], v[2:3], 0
	v_mul_f64 v[36:37], v[44:45], v[36:37]
	s_waitcnt vmcnt(42) lgkmcnt(9)
	v_mul_f64 v[4:5], v[108:109], v[40:41]
	v_fmac_f64_e32 v[4:5], v[110:111], v[38:39]
	v_add_f64 v[2:3], v[2:3], v[4:5]
	buffer_load_dword v211, off, s[0:3], 0 offset:404
	buffer_load_dword v210, off, s[0:3], 0 offset:400
	;; [unrolled: 1-line block ×36, first 2 shown]
	s_waitcnt vmcnt(62) lgkmcnt(8)
	v_mul_f64 v[6:7], v[112:113], v[160:161]
	s_waitcnt lgkmcnt(6)
	v_mul_f64 v[10:11], v[170:171], v[52:53]
	v_fmac_f64_e32 v[10:11], v[172:173], v[54:55]
	v_mul_f64 v[40:41], v[110:111], v[40:41]
	v_mul_f64 v[8:9], v[116:117], v[56:57]
	v_fma_f64 v[108:109], v[108:109], v[38:39], -v[40:41]
	s_waitcnt lgkmcnt(4)
	v_mul_f64 v[14:15], v[184:185], v[58:59]
	v_mul_f64 v[110:111], v[114:115], v[160:161]
	v_fmac_f64_e32 v[14:15], v[186:187], v[60:61]
	v_mul_f64 v[56:57], v[118:119], v[56:57]
	v_mul_f64 v[12:13], v[180:181], v[202:203]
	;; [unrolled: 1-line block ×3, first 2 shown]
	s_waitcnt lgkmcnt(2)
	v_mul_f64 v[18:19], v[192:193], v[212:213]
	s_waitcnt vmcnt(59)
	v_mul_f64 v[16:17], v[188:189], v[70:71]
	s_waitcnt vmcnt(57) lgkmcnt(1)
	v_mul_f64 v[20:21], v[196:197], v[68:69]
	s_waitcnt vmcnt(55)
	v_fmac_f64_e32 v[6:7], v[114:115], v[78:79]
	v_add_f64 v[2:3], v[2:3], v[6:7]
	s_waitcnt vmcnt(53)
	v_fmac_f64_e32 v[8:9], v[118:119], v[76:77]
	v_add_f64 v[2:3], v[2:3], v[8:9]
	;; [unrolled: 3-line block ×3, first 2 shown]
	v_add_f64 v[2:3], v[2:3], v[12:13]
	s_waitcnt vmcnt(49)
	v_fmac_f64_e32 v[16:17], v[190:191], v[72:73]
	v_add_f64 v[2:3], v[2:3], v[14:15]
	s_waitcnt vmcnt(48)
	v_fmac_f64_e32 v[18:19], v[194:195], v[66:67]
	v_add_f64 v[2:3], v[2:3], v[16:17]
	v_add_f64 v[2:3], v[2:3], v[18:19]
	v_fma_f64 v[110:111], v[112:113], v[78:79], -v[110:111]
	s_waitcnt vmcnt(42)
	v_fmac_f64_e32 v[20:21], v[198:199], v[200:201]
	v_add_f64 v[2:3], v[2:3], v[20:21]
	v_fma_f64 v[112:113], v[116:117], v[76:77], -v[56:57]
	s_waitcnt vmcnt(0)
	v_pk_mov_b32 v[18:19], v[4:5], v[4:5] op_sel:[0,1]
	buffer_load_dword v5, off, s[0:3], 0 offset:580
	buffer_load_dword v4, off, s[0:3], 0 offset:576
	v_accvgpr_write_b32 a195, v19
	v_accvgpr_write_b32 a194, v18
	s_waitcnt vmcnt(0)
	v_pk_mov_b32 v[22:23], v[4:5], v[4:5] op_sel:[0,1]
	buffer_load_dword v5, off, s[0:3], 0 offset:572
	buffer_load_dword v4, off, s[0:3], 0 offset:568
	v_accvgpr_write_b32 a197, v23
	v_accvgpr_write_b32 a196, v22
	;; [unrolled: 6-line block ×9, first 2 shown]
	s_waitcnt vmcnt(0)
	v_pk_mov_b32 v[166:167], v[4:5], v[4:5] op_sel:[0,1]
	buffer_load_dword v149, off, s[0:3], 0 offset:636
	buffer_load_dword v148, off, s[0:3], 0 offset:632
	;; [unrolled: 1-line block ×6, first 2 shown]
	v_accvgpr_write_b32 a209, v167
	v_accvgpr_write_b32 a208, v166
	s_waitcnt vmcnt(0)
	v_pk_mov_b32 v[168:169], v[4:5], v[4:5] op_sel:[0,1]
	buffer_load_dword v5, off, s[0:3], 0 offset:676
	buffer_load_dword v4, off, s[0:3], 0 offset:672
	s_waitcnt vmcnt(0)
	v_pk_mov_b32 v[174:175], v[4:5], v[4:5] op_sel:[0,1]
	buffer_load_dword v153, off, s[0:3], 0 offset:668
	buffer_load_dword v152, off, s[0:3], 0 offset:664
	;; [unrolled: 1-line block ×12, first 2 shown]
	ds_read_b128 v[204:207], v1 offset:1392
	ds_read_b128 v[216:219], v1 offset:1408
	ds_read_b128 v[220:223], v1 offset:1424
	ds_read_b128 v[224:227], v1 offset:1440
	ds_read_b128 v[228:231], v1 offset:1456
	ds_read_b128 v[232:235], v1 offset:1472
	ds_read_b128 v[236:239], v1 offset:1488
	ds_read_b128 v[240:243], v1 offset:1504
	ds_read_b128 v[244:247], v1 offset:1520
	ds_read_b128 v[252:255], v1 offset:1536
	ds_read_b128 v[144:147], v1 offset:1552
	ds_read_b128 v[140:143], v1 offset:1568
	ds_read_b128 v[136:139], v1 offset:1584
	ds_read_b128 v[132:135], v1 offset:1600
	s_waitcnt lgkmcnt(4)
	v_mul_f64 v[8:9], v[252:253], v[94:95]
	ds_read_b128 v[128:131], v1 offset:1616
	ds_read_b128 v[124:127], v1 offset:1632
	v_fmac_f64_e32 v[8:9], v[254:255], v[96:97]
	s_waitcnt lgkmcnt(5)
	v_mul_f64 v[12:13], v[144:145], v[14:15]
	v_fmac_f64_e32 v[12:13], v[146:147], v[16:17]
	s_waitcnt lgkmcnt(4)
	v_mul_f64 v[16:17], v[140:141], v[18:19]
	;; [unrolled: 3-line block ×6, first 2 shown]
	ds_read_b128 v[120:123], v1 offset:1648
	v_fmac_f64_e32 v[32:33], v[126:127], v[166:167]
	v_accvgpr_write_b32 a211, v175
	v_accvgpr_write_b32 a210, v174
	v_mul_f64 v[94:95], v[254:255], v[94:95]
	v_fma_f64 v[252:253], v[252:253], v[96:97], -v[94:95]
	s_waitcnt vmcnt(6)
	v_pk_mov_b32 v[214:215], v[4:5], v[4:5] op_sel:[0,1]
	v_mul_f64 v[4:5], v[46:47], v[80:81]
	v_fmac_f64_e32 v[4:5], v[48:49], v[82:83]
	v_add_f64 v[2:3], v[2:3], v[4:5]
	v_mul_f64 v[4:5], v[204:205], v[208:209]
	v_fmac_f64_e32 v[4:5], v[206:207], v[210:211]
	v_add_f64 v[2:3], v[2:3], v[4:5]
	;; [unrolled: 3-line block ×10, first 2 shown]
	v_add_f64 v[10:11], v[6:7], v[8:9]
	v_add_f64 v[14:15], v[10:11], v[12:13]
	;; [unrolled: 1-line block ×7, first 2 shown]
	ds_read_b128 v[30:33], v1 offset:1664
	ds_read_b128 v[26:29], v1 offset:1680
	s_waitcnt lgkmcnt(2)
	v_mul_f64 v[4:5], v[120:121], v[152:153]
	v_fma_f64 v[22:23], v[42:43], v[176:177], -v[36:37]
	v_fmac_f64_e32 v[4:5], v[122:123], v[154:155]
	s_waitcnt lgkmcnt(1)
	v_mul_f64 v[42:43], v[30:31], v[168:169]
	v_add_f64 v[4:5], v[164:165], v[4:5]
	v_fmac_f64_e32 v[42:43], v[32:33], v[174:175]
	v_add_f64 v[4:5], v[4:5], v[42:43]
	s_waitcnt vmcnt(2) lgkmcnt(0)
	v_mul_f64 v[42:43], v[26:27], v[156:157]
	s_waitcnt vmcnt(0)
	v_fmac_f64_e32 v[42:43], v[28:29], v[158:159]
	v_add_f64 v[4:5], v[4:5], v[42:43]
	ds_read_b128 v[42:45], v1 offset:1696
	ds_read_b128 v[38:41], v1 offset:1712
	buffer_load_dword v160, off, s[0:3], 0 offset:744
	buffer_load_dword v165, off, s[0:3], 0 offset:732
	buffer_load_dword v164, off, s[0:3], 0 offset:728
	buffer_load_dword v167, off, s[0:3], 0 offset:724
	buffer_load_dword v166, off, s[0:3], 0 offset:720
	v_pk_mov_b32 v[36:37], v[168:169], v[168:169] op_sel:[0,1]
	buffer_load_dword v168, off, s[0:3], 0 offset:736
	buffer_load_dword v161, off, s[0:3], 0 offset:748
	;; [unrolled: 1-line block ×5, first 2 shown]
	v_fma_f64 v[18:19], v[170:171], v[54:55], -v[52:53]
	buffer_load_dword v177, off, s[0:3], 0 offset:764
	buffer_load_dword v176, off, s[0:3], 0 offset:760
	;; [unrolled: 1-line block ×7, first 2 shown]
	v_mul_f64 v[8:9], v[182:183], v[202:203]
	v_fma_f64 v[14:15], v[180:181], v[74:75], -v[8:9]
	buffer_load_dword v172, off, s[0:3], 0 offset:800
	buffer_load_dword v181, off, s[0:3], 0 offset:796
	;; [unrolled: 1-line block ×7, first 2 shown]
	v_mul_f64 v[52:53], v[186:187], v[58:59]
	v_fma_f64 v[10:11], v[184:185], v[60:61], -v[52:53]
	buffer_load_dword v185, off, s[0:3], 0 offset:828
	buffer_load_dword v184, off, s[0:3], 0 offset:824
	;; [unrolled: 1-line block ×4, first 2 shown]
	v_mul_f64 v[52:53], v[190:191], v[70:71]
	v_mul_f64 v[16:17], v[194:195], v[212:213]
	buffer_load_dword v190, off, s[0:3], 0 offset:840
	v_fma_f64 v[16:17], v[192:193], v[66:67], -v[16:17]
	buffer_load_dword v192, off, s[0:3], 0 offset:832
	buffer_load_dword v191, off, s[0:3], 0 offset:844
	buffer_load_dword v193, off, s[0:3], 0 offset:836
	v_fma_f64 v[8:9], v[188:189], v[72:73], -v[52:53]
	v_mul_f64 v[52:53], v[198:199], v[68:69]
	v_fma_f64 v[6:7], v[196:197], v[200:201], -v[52:53]
	buffer_load_dword v189, off, s[0:3], 0 offset:876
	buffer_load_dword v195, off, s[0:3], 0 offset:860
	;; [unrolled: 1-line block ×12, first 2 shown]
	v_mul_f64 v[20:21], v[48:49], v[80:81]
	v_accvgpr_write_b32 a212, v214
	v_fma_f64 v[20:21], v[46:47], v[82:83], -v[20:21]
	v_mul_f64 v[46:47], v[206:207], v[208:209]
	s_waitcnt lgkmcnt(1)
	v_mul_f64 v[12:13], v[42:43], v[214:215]
	v_accvgpr_write_b32 a213, v215
	v_fma_f64 v[2:3], v[204:205], v[210:211], -v[46:47]
	buffer_load_dword v206, off, s[0:3], 0 offset:904
	buffer_load_dword v208, off, s[0:3], 0 offset:896
	;; [unrolled: 1-line block ×12, first 2 shown]
	v_fmac_f64_e32 v[12:13], v[44:45], v[34:35]
	v_add_f64 v[4:5], v[4:5], v[12:13]
	v_mul_f64 v[12:13], v[218:219], v[84:85]
	v_fma_f64 v[12:13], v[216:217], v[86:87], -v[12:13]
	buffer_load_dword v217, off, s[0:3], 0 offset:956
	buffer_load_dword v216, off, s[0:3], 0 offset:952
	;; [unrolled: 1-line block ×4, first 2 shown]
	ds_read_b128 v[46:49], v1 offset:1728
	v_mul_f64 v[58:59], v[226:227], v[248:249]
	v_mul_f64 v[62:63], v[230:231], v[62:63]
	v_fma_f64 v[248:249], v[228:229], v[64:65], -v[62:63]
	ds_read_b128 v[62:65], v1 offset:1792
	v_mul_f64 v[70:71], v[234:235], v[100:101]
	v_fma_f64 v[232:233], v[232:233], v[102:103], -v[70:71]
	ds_read_b128 v[70:73], v1 offset:1824
	v_mul_f64 v[82:83], v[242:243], v[88:89]
	ds_read_b128 v[94:97], v1 offset:1920
	v_add_f64 v[22:23], v[22:23], 0
	v_add_f64 v[22:23], v[22:23], v[108:109]
	;; [unrolled: 1-line block ×13, first 2 shown]
	v_accvgpr_read_b32 v6, a192
	v_accvgpr_read_b32 v7, a193
	s_waitcnt vmcnt(57) lgkmcnt(4)
	v_mul_f64 v[24:25], v[38:39], v[164:165]
	s_waitcnt vmcnt(55)
	v_fmac_f64_e32 v[24:25], v[40:41], v[166:167]
	v_add_f64 v[4:5], v[4:5], v[24:25]
	v_mul_f64 v[24:25], v[222:223], v[162:163]
	v_fma_f64 v[24:25], v[220:221], v[50:51], -v[24:25]
	ds_read_b128 v[50:53], v1 offset:1744
	s_waitcnt vmcnt(53) lgkmcnt(4)
	v_mul_f64 v[54:55], v[46:47], v[160:161]
	s_waitcnt vmcnt(52)
	v_fmac_f64_e32 v[54:55], v[48:49], v[168:169]
	v_add_f64 v[4:5], v[4:5], v[54:55]
	ds_read_b128 v[54:57], v1 offset:1760
	v_fma_f64 v[162:163], v[224:225], v[250:251], -v[58:59]
	ds_read_b128 v[58:61], v1 offset:1776
	s_waitcnt vmcnt(48) lgkmcnt(2)
	v_mul_f64 v[66:67], v[50:51], v[176:177]
	s_waitcnt vmcnt(46)
	v_fmac_f64_e32 v[66:67], v[52:53], v[178:179]
	v_add_f64 v[4:5], v[4:5], v[66:67]
	s_waitcnt lgkmcnt(1)
	v_mul_f64 v[66:67], v[54:55], v[118:119]
	s_waitcnt vmcnt(44)
	v_fmac_f64_e32 v[66:67], v[56:57], v[174:175]
	v_add_f64 v[4:5], v[4:5], v[66:67]
	s_waitcnt vmcnt(40) lgkmcnt(0)
	v_mul_f64 v[66:67], v[58:59], v[180:181]
	s_waitcnt vmcnt(38)
	v_fmac_f64_e32 v[66:67], v[60:61], v[182:183]
	v_add_f64 v[4:5], v[4:5], v[66:67]
	s_waitcnt vmcnt(37)
	v_mul_f64 v[66:67], v[62:63], v[170:171]
	s_waitcnt vmcnt(36)
	v_fmac_f64_e32 v[66:67], v[64:65], v[172:173]
	v_add_f64 v[4:5], v[4:5], v[66:67]
	ds_read_b128 v[66:69], v1 offset:1808
	v_fma_f64 v[250:251], v[240:241], v[92:93], -v[82:83]
	ds_read_b128 v[82:85], v1 offset:1872
	s_waitcnt vmcnt(29)
	v_mul_f64 v[78:79], v[70:71], v[190:191]
	s_waitcnt vmcnt(28)
	v_fmac_f64_e32 v[78:79], v[72:73], v[192:193]
	s_waitcnt lgkmcnt(1)
	v_mul_f64 v[74:75], v[66:67], v[184:185]
	v_fmac_f64_e32 v[74:75], v[68:69], v[186:187]
	v_add_f64 v[4:5], v[4:5], v[74:75]
	v_mul_f64 v[74:75], v[238:239], v[104:105]
	v_fma_f64 v[106:107], v[236:237], v[106:107], -v[74:75]
	ds_read_b128 v[74:77], v1 offset:1840
	v_add_f64 v[4:5], v[4:5], v[78:79]
	ds_read_b128 v[78:81], v1 offset:1856
	s_waitcnt vmcnt(18) lgkmcnt(2)
	v_mul_f64 v[88:89], v[82:83], v[196:197]
	s_waitcnt vmcnt(16)
	v_fmac_f64_e32 v[88:89], v[84:85], v[202:203]
	s_waitcnt lgkmcnt(1)
	v_mul_f64 v[86:87], v[74:75], v[194:195]
	v_fmac_f64_e32 v[86:87], v[76:77], v[200:201]
	v_add_f64 v[4:5], v[4:5], v[86:87]
	s_waitcnt lgkmcnt(0)
	v_mul_f64 v[86:87], v[78:79], v[188:189]
	v_fmac_f64_e32 v[86:87], v[80:81], v[198:199]
	v_add_f64 v[86:87], v[4:5], v[86:87]
	v_mul_f64 v[4:5], v[246:247], v[90:91]
	ds_read_b128 v[90:93], v1 offset:1888
	v_fma_f64 v[4:5], v[244:245], v[98:99], -v[4:5]
	v_add_f64 v[98:99], v[86:87], v[88:89]
	ds_read_b128 v[86:89], v1 offset:1904
	v_add_f64 v[2:3], v[2:3], v[24:25]
	s_waitcnt vmcnt(13) lgkmcnt(1)
	v_mul_f64 v[100:101], v[90:91], v[206:207]
	s_waitcnt vmcnt(12)
	v_fmac_f64_e32 v[100:101], v[92:93], v[208:209]
	v_add_f64 v[98:99], v[98:99], v[100:101]
	s_waitcnt vmcnt(9) lgkmcnt(0)
	v_mul_f64 v[100:101], v[86:87], v[212:213]
	s_waitcnt vmcnt(7)
	v_fmac_f64_e32 v[100:101], v[88:89], v[214:215]
	v_add_f64 v[98:99], v[98:99], v[100:101]
	s_waitcnt vmcnt(5)
	v_mul_f64 v[100:101], v[94:95], v[204:205]
	s_waitcnt vmcnt(4)
	v_fmac_f64_e32 v[100:101], v[96:97], v[210:211]
	v_add_f64 v[102:103], v[98:99], v[100:101]
	ds_read_b128 v[98:101], v1 offset:1936
	buffer_load_dword v220, off, s[0:3], 0 offset:968
	buffer_load_dword v221, off, s[0:3], 0 offset:972
	;; [unrolled: 1-line block ×4, first 2 shown]
	v_add_f64 v[2:3], v[2:3], v[162:163]
	v_add_f64 v[2:3], v[2:3], v[248:249]
	;; [unrolled: 1-line block ×3, first 2 shown]
	s_waitcnt vmcnt(6) lgkmcnt(0)
	v_mul_f64 v[104:105], v[98:99], v[216:217]
	s_waitcnt vmcnt(4)
	v_fmac_f64_e32 v[104:105], v[100:101], v[218:219]
	v_add_f64 v[114:115], v[102:103], v[104:105]
	ds_read_b128 v[102:105], v1 offset:1952
	buffer_load_dword v225, off, s[0:3], 0 offset:988
	buffer_load_dword v224, off, s[0:3], 0 offset:984
	buffer_load_dword v227, off, s[0:3], 0 offset:980
	buffer_load_dword v226, off, s[0:3], 0 offset:976
	ds_read_b128 v[236:239], v1 offset:1968
	buffer_load_dword v228, off, s[0:3], 0 offset:1000
	buffer_load_dword v229, off, s[0:3], 0 offset:1004
	buffer_load_dword v230, off, s[0:3], 0 offset:992
	buffer_load_dword v231, off, s[0:3], 0 offset:996
	ds_read_b128 v[240:243], v1 offset:1984
	buffer_load_dword v235, off, s[0:3], 0 offset:1020
	buffer_load_dword v234, off, s[0:3], 0 offset:1016
	buffer_load_dword v245, off, s[0:3], 0 offset:1012
	buffer_load_dword v244, off, s[0:3], 0 offset:1008
	v_add_f64 v[2:3], v[2:3], v[106:107]
	v_add_f64 v[254:255], v[2:3], v[250:251]
	;; [unrolled: 1-line block ×3, first 2 shown]
	v_accvgpr_read_b32 v4, a190
	v_accvgpr_read_b32 v5, a191
	v_mul_f64 v[4:5], v[146:147], v[4:5]
	v_add_f64 v[2:3], v[2:3], v[252:253]
	v_fma_f64 v[4:5], v[144:145], v[6:7], -v[4:5]
	v_add_f64 v[2:3], v[2:3], v[4:5]
	v_accvgpr_read_b32 v4, a194
	v_accvgpr_read_b32 v5, a195
	v_accvgpr_read_b32 v6, a196
	v_mul_f64 v[4:5], v[142:143], v[4:5]
	v_accvgpr_read_b32 v7, a197
	v_fma_f64 v[4:5], v[140:141], v[6:7], -v[4:5]
	v_add_f64 v[2:3], v[2:3], v[4:5]
	v_accvgpr_read_b32 v4, a198
	v_accvgpr_read_b32 v5, a199
	v_accvgpr_read_b32 v6, a200
	v_mul_f64 v[4:5], v[138:139], v[4:5]
	v_accvgpr_read_b32 v7, a201
	;; [unrolled: 7-line block ×3, first 2 shown]
	v_fma_f64 v[4:5], v[132:133], v[6:7], -v[4:5]
	v_add_f64 v[2:3], v[2:3], v[4:5]
	v_mul_f64 v[4:5], v[130:131], v[148:149]
	v_fma_f64 v[4:5], v[128:129], v[150:151], -v[4:5]
	v_add_f64 v[2:3], v[2:3], v[4:5]
	v_accvgpr_read_b32 v4, a206
	v_accvgpr_read_b32 v5, a207
	;; [unrolled: 1-line block ×3, first 2 shown]
	v_mul_f64 v[4:5], v[126:127], v[4:5]
	v_accvgpr_read_b32 v7, a209
	v_fma_f64 v[4:5], v[124:125], v[6:7], -v[4:5]
	v_add_f64 v[2:3], v[2:3], v[4:5]
	v_mul_f64 v[4:5], v[122:123], v[152:153]
	v_fma_f64 v[4:5], v[120:121], v[154:155], -v[4:5]
	v_accvgpr_read_b32 v6, a210
	v_add_f64 v[2:3], v[2:3], v[4:5]
	v_mul_f64 v[4:5], v[32:33], v[36:37]
	v_accvgpr_read_b32 v7, a211
	v_fma_f64 v[4:5], v[30:31], v[6:7], -v[4:5]
	v_add_f64 v[2:3], v[2:3], v[4:5]
	v_mul_f64 v[4:5], v[28:29], v[156:157]
	v_fma_f64 v[4:5], v[26:27], v[158:159], -v[4:5]
	v_add_f64 v[2:3], v[2:3], v[4:5]
	v_accvgpr_read_b32 v4, a212
	v_accvgpr_read_b32 v5, a213
	v_mul_f64 v[4:5], v[44:45], v[4:5]
	v_fma_f64 v[4:5], v[42:43], v[34:35], -v[4:5]
	v_add_f64 v[2:3], v[2:3], v[4:5]
	v_mul_f64 v[4:5], v[40:41], v[164:165]
	v_fma_f64 v[4:5], v[38:39], v[166:167], -v[4:5]
	v_add_f64 v[2:3], v[2:3], v[4:5]
	;; [unrolled: 3-line block ×4, first 2 shown]
	s_waitcnt vmcnt(14) lgkmcnt(2)
	v_mul_f64 v[116:117], v[102:103], v[220:221]
	v_mul_f64 v[4:5], v[56:57], v[118:119]
	s_waitcnt vmcnt(12)
	v_fmac_f64_e32 v[116:117], v[104:105], v[222:223]
	v_add_f64 v[114:115], v[114:115], v[116:117]
	v_fma_f64 v[4:5], v[54:55], v[174:175], -v[4:5]
	v_add_f64 v[2:3], v[2:3], v[4:5]
	v_mul_f64 v[4:5], v[60:61], v[180:181]
	v_fma_f64 v[4:5], v[58:59], v[182:183], -v[4:5]
	s_waitcnt vmcnt(10) lgkmcnt(1)
	v_mul_f64 v[116:117], v[236:237], v[224:225]
	v_add_f64 v[2:3], v[2:3], v[4:5]
	s_waitcnt vmcnt(8)
	v_fmac_f64_e32 v[116:117], v[238:239], v[226:227]
	v_add_f64 v[114:115], v[114:115], v[116:117]
	s_waitcnt vmcnt(6) lgkmcnt(0)
	v_mul_f64 v[116:117], v[240:241], v[228:229]
	s_waitcnt vmcnt(4)
	v_fmac_f64_e32 v[116:117], v[242:243], v[230:231]
	v_add_f64 v[246:247], v[114:115], v[116:117]
	ds_read_b128 v[114:117], v1 offset:2000
	v_mul_f64 v[4:5], v[64:65], v[170:171]
	v_fma_f64 v[4:5], v[62:63], v[172:173], -v[4:5]
	v_add_f64 v[2:3], v[2:3], v[4:5]
	v_mul_f64 v[4:5], v[68:69], v[184:185]
	s_waitcnt vmcnt(2) lgkmcnt(0)
	v_mul_f64 v[0:1], v[114:115], v[234:235]
	s_waitcnt vmcnt(0)
	v_fmac_f64_e32 v[0:1], v[116:117], v[244:245]
	v_add_f64 v[0:1], v[246:247], v[0:1]
	buffer_load_dword v248, off, s[0:3], 0 offset:208
	buffer_load_dword v249, off, s[0:3], 0 offset:212
	;; [unrolled: 1-line block ×4, first 2 shown]
	v_fma_f64 v[4:5], v[66:67], v[186:187], -v[4:5]
	v_add_f64 v[2:3], v[2:3], v[4:5]
	v_mul_f64 v[4:5], v[72:73], v[190:191]
	v_fma_f64 v[4:5], v[70:71], v[192:193], -v[4:5]
	v_add_f64 v[2:3], v[2:3], v[4:5]
	v_mul_f64 v[4:5], v[76:77], v[194:195]
	;; [unrolled: 3-line block ×12, first 2 shown]
	v_fma_f64 v[4:5], v[114:115], v[244:245], -v[4:5]
	v_add_f64 v[2:3], v[2:3], v[4:5]
	s_waitcnt vmcnt(2)
	v_add_f64 v[2:3], v[248:249], -v[2:3]
	s_waitcnt vmcnt(0)
	v_add_f64 v[0:1], v[246:247], -v[0:1]
	buffer_store_dword v3, off, s[0:3], 0 offset:212
	buffer_store_dword v2, off, s[0:3], 0 offset:208
	;; [unrolled: 1-line block ×4, first 2 shown]
	v_accvgpr_read_b32 v0, a188
	v_cmp_lt_u32_e32 vcc, 11, v0
	s_and_saveexec_b64 s[4:5], vcc
	s_cbranch_execz .LBB62_381
; %bb.380:
	v_accvgpr_read_b32 v0, a177
	buffer_load_dword v2, v0, s[0:3], 0 offen
	buffer_load_dword v3, v0, s[0:3], 0 offen offset:4
	buffer_load_dword v4, v0, s[0:3], 0 offen offset:8
	;; [unrolled: 1-line block ×3, first 2 shown]
	v_mov_b32_e32 v0, 0
	v_accvgpr_read_b32 v1, a189
	buffer_store_dword v0, off, s[0:3], 0 offset:192
	buffer_store_dword v0, off, s[0:3], 0 offset:196
	;; [unrolled: 1-line block ×4, first 2 shown]
	s_waitcnt vmcnt(4)
	ds_write_b128 v1, v[2:5]
.LBB62_381:
	s_or_b64 exec, exec, s[4:5]
	v_mov_b32_e32 v136, 0
	s_waitcnt lgkmcnt(0)
	; wave barrier
	s_waitcnt lgkmcnt(0)
	buffer_load_dword v30, off, s[0:3], 0 offset:208
	buffer_load_dword v31, off, s[0:3], 0 offset:212
	;; [unrolled: 1-line block ×54, first 2 shown]
	ds_read_b128 v[114:117], v136 offset:1200
	ds_read_b128 v[158:161], v136 offset:1216
	;; [unrolled: 1-line block ×9, first 2 shown]
	buffer_load_dword v109, off, s[0:3], 0 offset:436
	buffer_load_dword v108, off, s[0:3], 0 offset:432
	;; [unrolled: 1-line block ×32, first 2 shown]
	s_waitcnt vmcnt(62) lgkmcnt(8)
	v_mul_f64 v[2:3], v[114:115], v[32:33]
	v_fmac_f64_e32 v[2:3], v[116:117], v[30:31]
	v_add_f64 v[2:3], v[2:3], 0
	v_mul_f64 v[32:33], v[116:117], v[32:33]
	s_waitcnt lgkmcnt(7)
	v_mul_f64 v[4:5], v[158:159], v[38:39]
	v_fmac_f64_e32 v[4:5], v[160:161], v[36:37]
	s_waitcnt lgkmcnt(6)
	v_mul_f64 v[6:7], v[168:169], v[34:35]
	v_add_f64 v[2:3], v[2:3], v[4:5]
	s_waitcnt lgkmcnt(4)
	v_mul_f64 v[10:11], v[176:177], v[40:41]
	v_fma_f64 v[254:255], v[114:115], v[30:31], -v[32:33]
	v_fmac_f64_e32 v[10:11], v[178:179], v[42:43]
	v_mul_f64 v[38:39], v[160:161], v[38:39]
	v_mul_f64 v[8:9], v[172:173], v[44:45]
	s_waitcnt lgkmcnt(2)
	v_mul_f64 v[14:15], v[184:185], v[48:49]
	v_fmac_f64_e32 v[14:15], v[186:187], v[50:51]
	v_mul_f64 v[12:13], v[180:181], v[56:57]
	s_waitcnt lgkmcnt(1)
	v_mul_f64 v[16:17], v[188:189], v[52:53]
	s_waitcnt vmcnt(60)
	v_fmac_f64_e32 v[6:7], v[170:171], v[62:63]
	v_add_f64 v[2:3], v[2:3], v[6:7]
	s_waitcnt vmcnt(58)
	v_fmac_f64_e32 v[8:9], v[174:175], v[60:61]
	v_add_f64 v[2:3], v[2:3], v[8:9]
	;; [unrolled: 3-line block ×3, first 2 shown]
	v_add_f64 v[2:3], v[2:3], v[12:13]
	v_add_f64 v[2:3], v[2:3], v[14:15]
	s_waitcnt vmcnt(54)
	v_fmac_f64_e32 v[16:17], v[190:191], v[54:55]
	v_add_f64 v[2:3], v[2:3], v[16:17]
	s_waitcnt vmcnt(50) lgkmcnt(0)
	v_mul_f64 v[4:5], v[192:193], v[46:47]
	v_fmac_f64_e32 v[4:5], v[194:195], v[64:65]
	v_add_f64 v[2:3], v[2:3], v[4:5]
	s_waitcnt vmcnt(0)
	v_pk_mov_b32 v[14:15], v[0:1], v[0:1] op_sel:[0,1]
	buffer_load_dword v1, off, s[0:3], 0 offset:564
	buffer_load_dword v0, off, s[0:3], 0 offset:560
	v_accvgpr_write_b32 a191, v15
	v_accvgpr_write_b32 a190, v14
	s_waitcnt vmcnt(0)
	v_pk_mov_b32 v[18:19], v[0:1], v[0:1] op_sel:[0,1]
	buffer_load_dword v95, off, s[0:3], 0 offset:556
	buffer_load_dword v94, off, s[0:3], 0 offset:552
	;; [unrolled: 1-line block ×6, first 2 shown]
	v_accvgpr_write_b32 a193, v19
	v_accvgpr_write_b32 a192, v18
	s_waitcnt vmcnt(0)
	v_pk_mov_b32 v[22:23], v[0:1], v[0:1] op_sel:[0,1]
	buffer_load_dword v1, off, s[0:3], 0 offset:596
	buffer_load_dword v0, off, s[0:3], 0 offset:592
	v_accvgpr_write_b32 a199, v23
	v_accvgpr_write_b32 a198, v22
	s_waitcnt vmcnt(0)
	v_pk_mov_b32 v[24:25], v[0:1], v[0:1] op_sel:[0,1]
	buffer_load_dword v1, off, s[0:3], 0 offset:588
	buffer_load_dword v0, off, s[0:3], 0 offset:584
	;; [unrolled: 6-line block ×11, first 2 shown]
	ds_read_b128 v[196:199], v136 offset:1344
	ds_read_b128 v[200:203], v136 offset:1360
	;; [unrolled: 1-line block ×8, first 2 shown]
	s_waitcnt lgkmcnt(7)
	v_mul_f64 v[4:5], v[196:197], v[70:71]
	v_fmac_f64_e32 v[4:5], v[198:199], v[72:73]
	v_add_f64 v[2:3], v[2:3], v[4:5]
	s_waitcnt lgkmcnt(6)
	v_mul_f64 v[4:5], v[200:201], v[66:67]
	v_fmac_f64_e32 v[4:5], v[202:203], v[68:69]
	v_add_f64 v[2:3], v[2:3], v[4:5]
	;; [unrolled: 4-line block ×8, first 2 shown]
	v_accvgpr_write_b32 a211, v157
	v_accvgpr_write_b32 a210, v156
	s_waitcnt vmcnt(0)
	v_pk_mov_b32 v[166:167], v[0:1], v[0:1] op_sel:[0,1]
	buffer_load_dword v1, off, s[0:3], 0 offset:700
	buffer_load_dword v155, off, s[0:3], 0 offset:684
	;; [unrolled: 1-line block ×8, first 2 shown]
	ds_read_b128 v[232:235], v136 offset:1472
	ds_read_b128 v[236:239], v136 offset:1488
	;; [unrolled: 1-line block ×6, first 2 shown]
	s_waitcnt lgkmcnt(5)
	v_mul_f64 v[4:5], v[232:233], v[102:103]
	v_fmac_f64_e32 v[4:5], v[234:235], v[106:107]
	v_add_f64 v[2:3], v[2:3], v[4:5]
	s_waitcnt lgkmcnt(4)
	v_mul_f64 v[4:5], v[236:237], v[78:79]
	v_fmac_f64_e32 v[4:5], v[238:239], v[80:81]
	v_add_f64 v[2:3], v[2:3], v[4:5]
	s_waitcnt lgkmcnt(3)
	v_mul_f64 v[4:5], v[240:241], v[82:83]
	ds_read_b128 v[144:147], v136 offset:1568
	ds_read_b128 v[132:135], v136 offset:1584
	v_fmac_f64_e32 v[4:5], v[242:243], v[84:85]
	v_add_f64 v[2:3], v[2:3], v[4:5]
	s_waitcnt lgkmcnt(4)
	v_mul_f64 v[4:5], v[244:245], v[86:87]
	ds_read_b128 v[128:131], v136 offset:1600
	ds_read_b128 v[124:127], v136 offset:1616
	v_fmac_f64_e32 v[4:5], v[246:247], v[88:89]
	s_waitcnt lgkmcnt(5)
	v_mul_f64 v[8:9], v[248:249], v[94:95]
	v_add_f64 v[6:7], v[2:3], v[4:5]
	v_fmac_f64_e32 v[8:9], v[250:251], v[96:97]
	s_waitcnt lgkmcnt(4)
	v_mul_f64 v[12:13], v[148:149], v[14:15]
	v_add_f64 v[10:11], v[6:7], v[8:9]
	;; [unrolled: 4-line block ×5, first 2 shown]
	v_fmac_f64_e32 v[28:29], v[130:131], v[142:143]
	ds_read_b128 v[140:143], v136 offset:1632
	v_add_f64 v[26:27], v[26:27], v[28:29]
	s_waitcnt lgkmcnt(1)
	v_mul_f64 v[28:29], v[124:125], v[120:121]
	v_fmac_f64_e32 v[28:29], v[126:127], v[122:123]
	ds_read_b128 v[120:123], v136 offset:1648
	v_add_f64 v[26:27], v[26:27], v[28:29]
	s_waitcnt lgkmcnt(1)
	v_mul_f64 v[28:29], v[140:141], v[156:157]
	v_fmac_f64_e32 v[28:29], v[142:143], v[166:167]
	v_accvgpr_write_b32 a213, v167
	s_waitcnt lgkmcnt(0)
	v_mul_f64 v[114:115], v[120:121], v[162:163]
	v_add_f64 v[156:157], v[26:27], v[28:29]
	v_fmac_f64_e32 v[114:115], v[122:123], v[164:165]
	v_accvgpr_write_b32 a212, v166
	ds_read_b128 v[30:33], v136 offset:1664
	v_add_f64 v[114:115], v[156:157], v[114:115]
	buffer_load_dword v157, off, s[0:3], 0 offset:732
	buffer_load_dword v156, off, s[0:3], 0 offset:728
	v_fma_f64 v[26:27], v[158:159], v[36:37], -v[38:39]
	buffer_load_dword v159, off, s[0:3], 0 offset:724
	buffer_load_dword v158, off, s[0:3], 0 offset:720
	;; [unrolled: 1-line block ×6, first 2 shown]
	v_mul_f64 v[4:5], v[170:171], v[34:35]
	v_fma_f64 v[24:25], v[168:169], v[62:63], -v[4:5]
	buffer_load_dword v160, off, s[0:3], 0 offset:760
	buffer_load_dword v165, off, s[0:3], 0 offset:748
	;; [unrolled: 1-line block ×5, first 2 shown]
	v_mul_f64 v[34:35], v[174:175], v[44:45]
	v_fma_f64 v[116:117], v[172:173], v[60:61], -v[34:35]
	ds_read_b128 v[34:37], v136 offset:1680
	buffer_load_dword v170, off, s[0:3], 0 offset:752
	buffer_load_dword v161, off, s[0:3], 0 offset:764
	;; [unrolled: 1-line block ×3, first 2 shown]
	v_mul_f64 v[8:9], v[186:187], v[48:49]
	v_fma_f64 v[18:19], v[184:185], v[50:51], -v[8:9]
	v_mul_f64 v[12:13], v[194:195], v[46:47]
	v_fma_f64 v[12:13], v[192:193], v[64:65], -v[12:13]
	;; [unrolled: 2-line block ×6, first 2 shown]
	s_waitcnt vmcnt(21) lgkmcnt(1)
	v_mul_f64 v[38:39], v[30:31], v[154:155]
	v_mul_f64 v[82:83], v[242:243], v[82:83]
	s_waitcnt vmcnt(19)
	v_fmac_f64_e32 v[38:39], v[32:33], v[152:153]
	s_waitcnt vmcnt(18) lgkmcnt(0)
	v_mul_f64 v[44:45], v[34:35], v[0:1]
	v_add_f64 v[38:39], v[114:115], v[38:39]
	s_waitcnt vmcnt(16)
	v_fmac_f64_e32 v[44:45], v[36:37], v[138:139]
	v_add_f64 v[60:61], v[38:39], v[44:45]
	v_mul_f64 v[38:39], v[178:179], v[40:41]
	v_fma_f64 v[114:115], v[176:177], v[42:43], -v[38:39]
	buffer_load_dword v173, off, s[0:3], 0 offset:796
	buffer_load_dword v175, off, s[0:3], 0 offset:780
	buffer_load_dword v174, off, s[0:3], 0 offset:776
	buffer_load_dword v179, off, s[0:3], 0 offset:772
	buffer_load_dword v178, off, s[0:3], 0 offset:768
	buffer_load_dword v172, off, s[0:3], 0 offset:792
	buffer_load_dword v177, off, s[0:3], 0 offset:788
	buffer_load_dword v176, off, s[0:3], 0 offset:784
	v_mul_f64 v[38:39], v[182:183], v[56:57]
	v_fma_f64 v[22:23], v[180:181], v[58:59], -v[38:39]
	ds_read_b128 v[38:41], v136 offset:1696
	buffer_load_dword v181, off, s[0:3], 0 offset:812
	buffer_load_dword v180, off, s[0:3], 0 offset:808
	;; [unrolled: 1-line block ×4, first 2 shown]
	v_mul_f64 v[42:43], v[190:191], v[52:53]
	v_fma_f64 v[14:15], v[188:189], v[54:55], -v[42:43]
	buffer_load_dword v185, off, s[0:3], 0 offset:828
	buffer_load_dword v184, off, s[0:3], 0 offset:824
	;; [unrolled: 1-line block ×9, first 2 shown]
	v_mul_f64 v[42:43], v[198:199], v[70:71]
	buffer_load_dword v194, off, s[0:3], 0 offset:848
	buffer_load_dword v193, off, s[0:3], 0 offset:860
	buffer_load_dword v195, off, s[0:3], 0 offset:852
	v_fma_f64 v[10:11], v[196:197], v[72:73], -v[42:43]
	buffer_load_dword v197, off, s[0:3], 0 offset:876
	buffer_load_dword v196, off, s[0:3], 0 offset:872
	;; [unrolled: 1-line block ×4, first 2 shown]
	v_mul_f64 v[42:43], v[206:207], v[100:101]
	v_fma_f64 v[100:101], v[204:205], v[104:105], -v[42:43]
	buffer_load_dword v203, off, s[0:3], 0 offset:892
	buffer_load_dword v202, off, s[0:3], 0 offset:888
	;; [unrolled: 1-line block ×4, first 2 shown]
	v_mul_f64 v[42:43], v[210:211], v[92:93]
	v_fma_f64 v[8:9], v[208:209], v[76:77], -v[42:43]
	buffer_load_dword v201, off, s[0:3], 0 offset:924
	buffer_load_dword v207, off, s[0:3], 0 offset:908
	;; [unrolled: 1-line block ×12, first 2 shown]
	ds_read_b128 v[42:45], v136 offset:1712
	ds_read_b128 v[46:49], v136 offset:1728
	v_mul_f64 v[54:55], v[222:223], v[74:75]
	v_fma_f64 v[252:253], v[220:221], v[108:109], -v[54:55]
	ds_read_b128 v[54:57], v136 offset:1760
	v_mul_f64 v[58:59], v[226:227], v[110:111]
	v_fma_f64 v[216:217], v[224:225], v[112:113], -v[58:59]
	;; [unrolled: 3-line block ×3, first 2 shown]
	v_fma_f64 v[2:3], v[240:241], v[84:85], -v[82:83]
	ds_read_b128 v[82:85], v136 offset:1872
	v_mul_f64 v[86:87], v[246:247], v[86:87]
	v_fma_f64 v[246:247], v[244:245], v[88:89], -v[86:87]
	ds_read_b128 v[86:89], v136 offset:1888
	v_mul_f64 v[94:95], v[250:251], v[94:95]
	v_fma_f64 v[250:251], v[248:249], v[96:97], -v[94:95]
	ds_read_b128 v[70:73], v136 offset:1824
	ds_read_b128 v[78:81], v136 offset:1856
	;; [unrolled: 1-line block ×3, first 2 shown]
	s_waitcnt vmcnt(54) lgkmcnt(9)
	v_mul_f64 v[20:21], v[38:39], v[162:163]
	s_waitcnt lgkmcnt(8)
	v_mul_f64 v[50:51], v[42:43], v[156:157]
	s_waitcnt vmcnt(52)
	v_fmac_f64_e32 v[20:21], v[40:41], v[166:167]
	v_add_f64 v[20:21], v[60:61], v[20:21]
	v_fmac_f64_e32 v[50:51], v[44:45], v[158:159]
	v_add_f64 v[20:21], v[20:21], v[50:51]
	s_waitcnt vmcnt(49) lgkmcnt(7)
	v_mul_f64 v[50:51], v[46:47], v[164:165]
	s_waitcnt vmcnt(47)
	v_fmac_f64_e32 v[50:51], v[48:49], v[168:169]
	v_add_f64 v[20:21], v[20:21], v[50:51]
	ds_read_b128 v[50:53], v136 offset:1744
	ds_read_b128 v[58:61], v136 offset:1776
	s_waitcnt vmcnt(45) lgkmcnt(1)
	v_mul_f64 v[62:63], v[50:51], v[160:161]
	s_waitcnt vmcnt(44)
	v_fmac_f64_e32 v[62:63], v[52:53], v[170:171]
	v_add_f64 v[20:21], v[20:21], v[62:63]
	s_waitcnt vmcnt(41)
	v_mul_f64 v[62:63], v[54:55], v[174:175]
	s_waitcnt vmcnt(39)
	v_fmac_f64_e32 v[62:63], v[56:57], v[178:179]
	v_add_f64 v[20:21], v[20:21], v[62:63]
	s_waitcnt vmcnt(38) lgkmcnt(0)
	v_mul_f64 v[62:63], v[58:59], v[172:173]
	s_waitcnt vmcnt(36)
	v_fmac_f64_e32 v[62:63], v[60:61], v[176:177]
	v_add_f64 v[20:21], v[20:21], v[62:63]
	ds_read_b128 v[62:65], v136 offset:1792
	s_waitcnt vmcnt(34) lgkmcnt(0)
	v_mul_f64 v[74:75], v[62:63], v[180:181]
	s_waitcnt vmcnt(32)
	v_fmac_f64_e32 v[74:75], v[64:65], v[182:183]
	v_add_f64 v[20:21], v[20:21], v[74:75]
	s_waitcnt vmcnt(30)
	v_mul_f64 v[74:75], v[66:67], v[184:185]
	s_waitcnt vmcnt(28)
	v_fmac_f64_e32 v[74:75], v[68:69], v[188:189]
	v_add_f64 v[20:21], v[20:21], v[74:75]
	s_waitcnt vmcnt(26)
	v_mul_f64 v[74:75], v[70:71], v[186:187]
	s_waitcnt vmcnt(24)
	v_fmac_f64_e32 v[74:75], v[72:73], v[190:191]
	v_add_f64 v[20:21], v[20:21], v[74:75]
	ds_read_b128 v[74:77], v136 offset:1840
	s_waitcnt vmcnt(18)
	v_mul_f64 v[28:29], v[78:79], v[196:197]
	s_waitcnt vmcnt(16)
	v_fmac_f64_e32 v[28:29], v[80:81], v[198:199]
	s_waitcnt vmcnt(9)
	v_mul_f64 v[102:103], v[86:87], v[206:207]
	s_waitcnt vmcnt(7)
	v_fmac_f64_e32 v[102:103], v[88:89], v[212:213]
	s_waitcnt lgkmcnt(0)
	v_mul_f64 v[90:91], v[74:75], v[192:193]
	v_fmac_f64_e32 v[90:91], v[76:77], v[194:195]
	v_add_f64 v[90:91], v[20:21], v[90:91]
	v_add_f64 v[28:29], v[90:91], v[28:29]
	v_mul_f64 v[90:91], v[82:83], v[202:203]
	buffer_load_dword v20, off, s[0:3], 0 offset:952
	v_fmac_f64_e32 v[90:91], v[84:85], v[204:205]
	v_add_f64 v[28:29], v[28:29], v[90:91]
	ds_read_b128 v[90:93], v136 offset:1904
	buffer_load_dword v218, off, s[0:3], 0 offset:944
	buffer_load_dword v21, off, s[0:3], 0 offset:956
	;; [unrolled: 1-line block ×3, first 2 shown]
	ds_read_b128 v[240:243], v136 offset:1936
	buffer_load_dword v221, off, s[0:3], 0 offset:972
	buffer_load_dword v220, off, s[0:3], 0 offset:968
	;; [unrolled: 1-line block ×4, first 2 shown]
	v_add_f64 v[28:29], v[28:29], v[102:103]
	s_waitcnt vmcnt(14) lgkmcnt(1)
	v_mul_f64 v[102:103], v[90:91], v[200:201]
	s_waitcnt vmcnt(12)
	v_fmac_f64_e32 v[102:103], v[92:93], v[210:211]
	v_add_f64 v[28:29], v[28:29], v[102:103]
	s_waitcnt vmcnt(10)
	v_mul_f64 v[102:103], v[94:95], v[208:209]
	s_waitcnt vmcnt(8)
	v_fmac_f64_e32 v[102:103], v[96:97], v[214:215]
	v_add_f64 v[28:29], v[28:29], v[102:103]
	s_waitcnt vmcnt(5) lgkmcnt(0)
	v_mul_f64 v[102:103], v[240:241], v[20:21]
	s_waitcnt vmcnt(4)
	v_fmac_f64_e32 v[102:103], v[242:243], v[218:219]
	v_add_f64 v[28:29], v[28:29], v[102:103]
	ds_read_b128 v[102:105], v136 offset:1952
	buffer_load_dword v224, off, s[0:3], 0 offset:984
	buffer_load_dword v225, off, s[0:3], 0 offset:988
	buffer_load_dword v226, off, s[0:3], 0 offset:976
	buffer_load_dword v227, off, s[0:3], 0 offset:980
	s_waitcnt vmcnt(6) lgkmcnt(0)
	v_mul_f64 v[106:107], v[102:103], v[220:221]
	s_waitcnt vmcnt(4)
	v_fmac_f64_e32 v[106:107], v[104:105], v[222:223]
	v_add_f64 v[28:29], v[28:29], v[106:107]
	ds_read_b128 v[106:109], v136 offset:1968
	buffer_load_dword v229, off, s[0:3], 0 offset:1004
	buffer_load_dword v228, off, s[0:3], 0 offset:1000
	buffer_load_dword v231, off, s[0:3], 0 offset:996
	buffer_load_dword v230, off, s[0:3], 0 offset:992
	;; [unrolled: 10-line block ×3, first 2 shown]
	ds_read_b128 v[236:239], v136 offset:2000
	buffer_load_dword v248, off, s[0:3], 0 offset:192
	buffer_load_dword v249, off, s[0:3], 0 offset:196
	s_waitcnt vmcnt(8) lgkmcnt(1)
	v_mul_f64 v[232:233], v[110:111], v[228:229]
	s_waitcnt vmcnt(6)
	v_fmac_f64_e32 v[232:233], v[112:113], v[230:231]
	v_add_f64 v[28:29], v[28:29], v[232:233]
	s_waitcnt vmcnt(4) lgkmcnt(0)
	v_mul_f64 v[232:233], v[236:237], v[234:235]
	s_waitcnt vmcnt(2)
	v_fmac_f64_e32 v[232:233], v[238:239], v[244:245]
	v_add_f64 v[232:233], v[28:29], v[232:233]
	v_add_f64 v[28:29], v[254:255], 0
	;; [unrolled: 1-line block ×22, first 2 shown]
	buffer_load_dword v246, off, s[0:3], 0 offset:200
	buffer_load_dword v247, off, s[0:3], 0 offset:204
	v_accvgpr_read_b32 v4, a190
	v_accvgpr_read_b32 v5, a191
	;; [unrolled: 1-line block ×3, first 2 shown]
	v_mul_f64 v[4:5], v[150:151], v[4:5]
	v_accvgpr_read_b32 v7, a193
	v_add_f64 v[2:3], v[252:253], v[250:251]
	v_fma_f64 v[4:5], v[148:149], v[6:7], -v[4:5]
	v_add_f64 v[2:3], v[2:3], v[4:5]
	v_accvgpr_read_b32 v4, a194
	v_accvgpr_read_b32 v5, a195
	v_accvgpr_read_b32 v6, a196
	v_mul_f64 v[4:5], v[146:147], v[4:5]
	v_accvgpr_read_b32 v7, a197
	v_fma_f64 v[4:5], v[144:145], v[6:7], -v[4:5]
	v_add_f64 v[2:3], v[2:3], v[4:5]
	v_accvgpr_read_b32 v4, a198
	v_accvgpr_read_b32 v5, a199
	v_accvgpr_read_b32 v6, a200
	v_mul_f64 v[4:5], v[134:135], v[4:5]
	v_accvgpr_read_b32 v7, a201
	;; [unrolled: 7-line block ×6, first 2 shown]
	v_fma_f64 v[4:5], v[120:121], v[6:7], -v[4:5]
	v_add_f64 v[2:3], v[2:3], v[4:5]
	v_mul_f64 v[4:5], v[32:33], v[154:155]
	v_fma_f64 v[4:5], v[30:31], v[152:153], -v[4:5]
	v_add_f64 v[2:3], v[2:3], v[4:5]
	v_mul_f64 v[4:5], v[36:37], v[0:1]
	v_fma_f64 v[4:5], v[34:35], v[138:139], -v[4:5]
	v_add_f64 v[2:3], v[2:3], v[4:5]
	v_mul_f64 v[4:5], v[40:41], v[162:163]
	v_fma_f64 v[4:5], v[38:39], v[166:167], -v[4:5]
	v_add_f64 v[2:3], v[2:3], v[4:5]
	v_mul_f64 v[4:5], v[44:45], v[156:157]
	v_fma_f64 v[4:5], v[42:43], v[158:159], -v[4:5]
	v_add_f64 v[2:3], v[2:3], v[4:5]
	v_mul_f64 v[4:5], v[48:49], v[164:165]
	v_fma_f64 v[4:5], v[46:47], v[168:169], -v[4:5]
	v_add_f64 v[2:3], v[2:3], v[4:5]
	v_mul_f64 v[4:5], v[52:53], v[160:161]
	v_fma_f64 v[4:5], v[50:51], v[170:171], -v[4:5]
	v_add_f64 v[2:3], v[2:3], v[4:5]
	v_mul_f64 v[4:5], v[56:57], v[174:175]
	v_fma_f64 v[4:5], v[54:55], v[178:179], -v[4:5]
	v_add_f64 v[2:3], v[2:3], v[4:5]
	v_mul_f64 v[4:5], v[60:61], v[172:173]
	v_fma_f64 v[4:5], v[58:59], v[176:177], -v[4:5]
	v_add_f64 v[2:3], v[2:3], v[4:5]
	v_mul_f64 v[4:5], v[64:65], v[180:181]
	v_fma_f64 v[4:5], v[62:63], v[182:183], -v[4:5]
	v_add_f64 v[2:3], v[2:3], v[4:5]
	v_mul_f64 v[4:5], v[68:69], v[184:185]
	v_fma_f64 v[4:5], v[66:67], v[188:189], -v[4:5]
	v_add_f64 v[2:3], v[2:3], v[4:5]
	v_mul_f64 v[4:5], v[72:73], v[186:187]
	v_fma_f64 v[4:5], v[70:71], v[190:191], -v[4:5]
	v_add_f64 v[2:3], v[2:3], v[4:5]
	v_mul_f64 v[4:5], v[76:77], v[192:193]
	v_fma_f64 v[4:5], v[74:75], v[194:195], -v[4:5]
	v_add_f64 v[2:3], v[2:3], v[4:5]
	v_mul_f64 v[4:5], v[80:81], v[196:197]
	v_fma_f64 v[4:5], v[78:79], v[198:199], -v[4:5]
	v_add_f64 v[2:3], v[2:3], v[4:5]
	v_mul_f64 v[4:5], v[84:85], v[202:203]
	v_fma_f64 v[4:5], v[82:83], v[204:205], -v[4:5]
	v_add_f64 v[2:3], v[2:3], v[4:5]
	v_mul_f64 v[4:5], v[88:89], v[206:207]
	v_fma_f64 v[4:5], v[86:87], v[212:213], -v[4:5]
	v_add_f64 v[2:3], v[2:3], v[4:5]
	v_mul_f64 v[4:5], v[92:93], v[200:201]
	v_fma_f64 v[4:5], v[90:91], v[210:211], -v[4:5]
	v_add_f64 v[2:3], v[2:3], v[4:5]
	v_mul_f64 v[4:5], v[96:97], v[208:209]
	v_fma_f64 v[4:5], v[94:95], v[214:215], -v[4:5]
	v_add_f64 v[2:3], v[2:3], v[4:5]
	v_mul_f64 v[4:5], v[242:243], v[20:21]
	v_fma_f64 v[4:5], v[240:241], v[218:219], -v[4:5]
	v_add_f64 v[2:3], v[2:3], v[4:5]
	v_mul_f64 v[4:5], v[104:105], v[220:221]
	v_fma_f64 v[4:5], v[102:103], v[222:223], -v[4:5]
	v_add_f64 v[2:3], v[2:3], v[4:5]
	v_mul_f64 v[4:5], v[108:109], v[224:225]
	v_fma_f64 v[4:5], v[106:107], v[226:227], -v[4:5]
	v_add_f64 v[2:3], v[2:3], v[4:5]
	v_mul_f64 v[4:5], v[112:113], v[228:229]
	v_fma_f64 v[4:5], v[110:111], v[230:231], -v[4:5]
	v_add_f64 v[2:3], v[2:3], v[4:5]
	v_mul_f64 v[4:5], v[238:239], v[234:235]
	v_fma_f64 v[4:5], v[236:237], v[244:245], -v[4:5]
	v_add_f64 v[2:3], v[2:3], v[4:5]
	v_accvgpr_read_b32 v0, a188
	s_waitcnt vmcnt(2)
	v_add_f64 v[2:3], v[248:249], -v[2:3]
	v_cmp_lt_u32_e32 vcc, 10, v0
	s_waitcnt vmcnt(0)
	v_add_f64 v[4:5], v[246:247], -v[232:233]
	buffer_store_dword v3, off, s[0:3], 0 offset:196
	buffer_store_dword v2, off, s[0:3], 0 offset:192
	;; [unrolled: 1-line block ×4, first 2 shown]
	s_and_saveexec_b64 s[4:5], vcc
	s_cbranch_execz .LBB62_383
; %bb.382:
	v_accvgpr_read_b32 v0, a178
	buffer_load_dword v2, v0, s[0:3], 0 offen
	buffer_load_dword v3, v0, s[0:3], 0 offen offset:4
	buffer_load_dword v4, v0, s[0:3], 0 offen offset:8
	;; [unrolled: 1-line block ×3, first 2 shown]
	v_accvgpr_read_b32 v0, a189
	buffer_store_dword v136, off, s[0:3], 0 offset:176
	buffer_store_dword v136, off, s[0:3], 0 offset:180
	;; [unrolled: 1-line block ×4, first 2 shown]
	s_waitcnt vmcnt(4)
	ds_write_b128 v0, v[2:5]
.LBB62_383:
	s_or_b64 exec, exec, s[4:5]
	s_waitcnt lgkmcnt(0)
	; wave barrier
	s_waitcnt lgkmcnt(0)
	buffer_load_dword v22, off, s[0:3], 0 offset:192
	buffer_load_dword v23, off, s[0:3], 0 offset:196
	buffer_load_dword v24, off, s[0:3], 0 offset:200
	buffer_load_dword v25, off, s[0:3], 0 offset:204
	buffer_load_dword v160, off, s[0:3], 0 offset:208
	buffer_load_dword v161, off, s[0:3], 0 offset:212
	buffer_load_dword v162, off, s[0:3], 0 offset:216
	buffer_load_dword v163, off, s[0:3], 0 offset:220
	buffer_load_dword v158, off, s[0:3], 0 offset:232
	buffer_load_dword v159, off, s[0:3], 0 offset:236
	buffer_load_dword v169, off, s[0:3], 0 offset:268
	buffer_load_dword v168, off, s[0:3], 0 offset:264
	buffer_load_dword v173, off, s[0:3], 0 offset:260
	buffer_load_dword v172, off, s[0:3], 0 offset:256
	buffer_load_dword v69, off, s[0:3], 0 offset:252
	buffer_load_dword v68, off, s[0:3], 0 offset:248
	buffer_load_dword v75, off, s[0:3], 0 offset:300
	buffer_load_dword v74, off, s[0:3], 0 offset:296
	buffer_load_dword v77, off, s[0:3], 0 offset:292
	buffer_load_dword v76, off, s[0:3], 0 offset:288
	buffer_load_dword v81, off, s[0:3], 0 offset:284
	buffer_load_dword v80, off, s[0:3], 0 offset:280
	buffer_load_dword v73, off, s[0:3], 0 offset:316
	buffer_load_dword v72, off, s[0:3], 0 offset:312
	buffer_load_dword v86, off, s[0:3], 0 offset:224
	buffer_load_dword v87, off, s[0:3], 0 offset:228
	buffer_load_dword v167, off, s[0:3], 0 offset:244
	buffer_load_dword v166, off, s[0:3], 0 offset:240
	buffer_load_dword v171, off, s[0:3], 0 offset:276
	buffer_load_dword v170, off, s[0:3], 0 offset:272
	buffer_load_dword v79, off, s[0:3], 0 offset:308
	buffer_load_dword v78, off, s[0:3], 0 offset:304
	buffer_load_dword v70, off, s[0:3], 0 offset:328
	buffer_load_dword v88, off, s[0:3], 0 offset:320
	buffer_load_dword v89, off, s[0:3], 0 offset:324
	buffer_load_dword v71, off, s[0:3], 0 offset:332
	ds_read_b128 v[18:21], v136 offset:1184
	ds_read_b128 v[26:29], v136 offset:1200
	;; [unrolled: 1-line block ×9, first 2 shown]
	buffer_load_dword v91, off, s[0:3], 0 offset:364
	buffer_load_dword v90, off, s[0:3], 0 offset:360
	;; [unrolled: 1-line block ×58, first 2 shown]
	s_waitcnt vmcnt(62) lgkmcnt(8)
	v_mul_f64 v[2:3], v[18:19], v[24:25]
	v_fmac_f64_e32 v[2:3], v[20:21], v[22:23]
	v_add_f64 v[2:3], v[2:3], 0
	v_mul_f64 v[20:21], v[20:21], v[24:25]
	s_waitcnt lgkmcnt(7)
	v_mul_f64 v[4:5], v[26:27], v[162:163]
	v_fmac_f64_e32 v[4:5], v[28:29], v[160:161]
	s_waitcnt lgkmcnt(6)
	v_mul_f64 v[6:7], v[54:55], v[158:159]
	v_add_f64 v[2:3], v[2:3], v[4:5]
	s_waitcnt lgkmcnt(4)
	v_mul_f64 v[10:11], v[34:35], v[168:169]
	v_fma_f64 v[20:21], v[18:19], v[22:23], -v[20:21]
	v_fmac_f64_e32 v[10:11], v[36:37], v[172:173]
	v_mul_f64 v[28:29], v[28:29], v[162:163]
	v_mul_f64 v[8:9], v[30:31], v[68:69]
	v_fma_f64 v[160:161], v[26:27], v[160:161], -v[28:29]
	s_waitcnt lgkmcnt(2)
	v_mul_f64 v[14:15], v[50:51], v[74:75]
	v_mul_f64 v[36:37], v[36:37], v[168:169]
	v_fmac_f64_e32 v[14:15], v[52:53], v[76:77]
	v_fma_f64 v[18:19], v[34:35], v[172:173], -v[36:37]
	v_mul_f64 v[12:13], v[38:39], v[80:81]
	v_mul_f64 v[52:53], v[52:53], v[74:75]
	s_waitcnt lgkmcnt(1)
	v_mul_f64 v[16:17], v[46:47], v[72:73]
	v_add_f64 v[20:21], v[20:21], 0
	v_fmac_f64_e32 v[6:7], v[56:57], v[86:87]
	v_add_f64 v[2:3], v[2:3], v[6:7]
	v_fmac_f64_e32 v[8:9], v[32:33], v[166:167]
	;; [unrolled: 2-line block ×3, first 2 shown]
	v_add_f64 v[2:3], v[2:3], v[10:11]
	v_add_f64 v[2:3], v[2:3], v[12:13]
	;; [unrolled: 1-line block ×3, first 2 shown]
	v_fmac_f64_e32 v[16:17], v[48:49], v[78:79]
	v_add_f64 v[2:3], v[2:3], v[16:17]
	v_mul_f64 v[32:33], v[32:33], v[68:69]
	v_mul_f64 v[40:41], v[40:41], v[80:81]
	v_fma_f64 v[168:169], v[38:39], v[170:171], -v[40:41]
	s_waitcnt vmcnt(0)
	v_pk_mov_b32 v[120:121], v[0:1], v[0:1] op_sel:[0,1]
	buffer_load_dword v1, off, s[0:3], 0 offset:580
	buffer_load_dword v0, off, s[0:3], 0 offset:576
	v_accvgpr_write_b32 a197, v121
	v_accvgpr_write_b32 a196, v120
	v_add_f64 v[20:21], v[20:21], v[160:161]
	s_waitcnt vmcnt(0)
	v_pk_mov_b32 v[122:123], v[0:1], v[0:1] op_sel:[0,1]
	buffer_load_dword v1, off, s[0:3], 0 offset:572
	buffer_load_dword v0, off, s[0:3], 0 offset:568
	v_accvgpr_write_b32 a199, v123
	v_accvgpr_write_b32 a198, v122
	s_waitcnt vmcnt(0)
	v_pk_mov_b32 v[14:15], v[0:1], v[0:1] op_sel:[0,1]
	buffer_load_dword v1, off, s[0:3], 0 offset:564
	buffer_load_dword v0, off, s[0:3], 0 offset:560
	v_pk_mov_b32 v[138:139], v[14:15], v[14:15] op_sel:[0,1]
	s_waitcnt vmcnt(0)
	v_pk_mov_b32 v[124:125], v[0:1], v[0:1] op_sel:[0,1]
	buffer_load_dword v1, off, s[0:3], 0 offset:620
	buffer_load_dword v0, off, s[0:3], 0 offset:616
	v_accvgpr_write_b32 a195, v125
	v_accvgpr_write_b32 a194, v124
	s_waitcnt vmcnt(0)
	v_pk_mov_b32 v[176:177], v[0:1], v[0:1] op_sel:[0,1]
	buffer_load_dword v1, off, s[0:3], 0 offset:612
	buffer_load_dword v0, off, s[0:3], 0 offset:608
	v_accvgpr_write_b32 a205, v177
	v_accvgpr_write_b32 a204, v176
	;; [unrolled: 6-line block ×5, first 2 shown]
	s_waitcnt vmcnt(0)
	v_pk_mov_b32 v[180:181], v[0:1], v[0:1] op_sel:[0,1]
	buffer_load_dword v1, off, s[0:3], 0 offset:644
	buffer_load_dword v0, off, s[0:3], 0 offset:640
	;; [unrolled: 1-line block ×4, first 2 shown]
	v_accvgpr_write_b32 a213, v181
	v_accvgpr_write_b32 a212, v180
	s_waitcnt vmcnt(2)
	v_accvgpr_write_b32 a215, v1
	v_accvgpr_write_b32 a214, v0
	s_waitcnt vmcnt(0)
	v_pk_mov_b32 v[188:189], v[4:5], v[4:5] op_sel:[0,1]
	buffer_load_dword v5, off, s[0:3], 0 offset:628
	buffer_load_dword v4, off, s[0:3], 0 offset:624
	ds_read_b128 v[184:187], v136 offset:1328
	ds_read_b128 v[196:199], v136 offset:1344
	;; [unrolled: 1-line block ×9, first 2 shown]
	buffer_load_dword v149, off, s[0:3], 0 offset:668
	buffer_load_dword v148, off, s[0:3], 0 offset:664
	;; [unrolled: 1-line block ×4, first 2 shown]
	ds_read_b128 v[246:249], v136 offset:1472
	buffer_load_dword v153, off, s[0:3], 0 offset:684
	buffer_load_dword v152, off, s[0:3], 0 offset:680
	;; [unrolled: 1-line block ×8, first 2 shown]
	ds_read_b128 v[250:253], v136 offset:1488
	ds_read_b128 v[58:61], v136 offset:1504
	;; [unrolled: 1-line block ×4, first 2 shown]
	v_accvgpr_write_b32 a209, v189
	v_accvgpr_write_b32 a208, v188
	s_waitcnt lgkmcnt(5)
	v_mul_f64 v[68:69], v[244:245], v[118:119]
	ds_read_b128 v[132:135], v136 offset:1568
	s_waitcnt lgkmcnt(1)
	v_mul_f64 v[8:9], v[82:83], v[96:97]
	v_fmac_f64_e32 v[8:9], v[84:85], v[100:101]
	v_mul_f64 v[84:85], v[84:85], v[96:97]
	s_waitcnt lgkmcnt(0)
	v_mul_f64 v[16:17], v[132:133], v[120:121]
	v_fmac_f64_e32 v[16:17], v[134:135], v[122:123]
	s_waitcnt vmcnt(12)
	v_pk_mov_b32 v[190:191], v[4:5], v[4:5] op_sel:[0,1]
	v_mul_f64 v[4:5], v[42:43], v[70:71]
	v_fmac_f64_e32 v[4:5], v[44:45], v[88:89]
	v_add_f64 v[2:3], v[2:3], v[4:5]
	v_mul_f64 v[4:5], v[184:185], v[94:95]
	v_fmac_f64_e32 v[4:5], v[186:187], v[98:99]
	v_add_f64 v[2:3], v[2:3], v[4:5]
	;; [unrolled: 3-line block ×14, first 2 shown]
	ds_read_b128 v[2:5], v136 offset:1552
	buffer_load_dword v157, off, s[0:3], 0 offset:716
	buffer_load_dword v156, off, s[0:3], 0 offset:712
	ds_read_b128 v[140:143], v136 offset:1584
	ds_read_b128 v[128:131], v136 offset:1600
	v_add_f64 v[10:11], v[6:7], v[8:9]
	s_waitcnt lgkmcnt(2)
	v_mul_f64 v[12:13], v[2:3], v[14:15]
	v_fmac_f64_e32 v[12:13], v[4:5], v[124:125]
	s_waitcnt lgkmcnt(1)
	v_mul_f64 v[174:175], v[140:141], v[126:127]
	ds_read_b128 v[124:127], v136 offset:1616
	ds_read_b128 v[120:123], v136 offset:1632
	v_add_f64 v[14:15], v[10:11], v[12:13]
	v_accvgpr_write_b32 a193, v5
	v_add_f64 v[164:165], v[14:15], v[16:17]
	v_fmac_f64_e32 v[174:175], v[142:143], v[182:183]
	s_waitcnt lgkmcnt(2)
	v_mul_f64 v[22:23], v[128:129], v[176:177]
	v_accvgpr_write_b32 a192, v4
	v_accvgpr_write_b32 a191, v3
	;; [unrolled: 1-line block ×3, first 2 shown]
	v_add_f64 v[4:5], v[164:165], v[174:175]
	v_fmac_f64_e32 v[22:23], v[130:131], v[178:179]
	v_add_f64 v[4:5], v[4:5], v[22:23]
	s_waitcnt lgkmcnt(1)
	v_mul_f64 v[22:23], v[124:125], v[188:189]
	v_fmac_f64_e32 v[22:23], v[126:127], v[190:191]
	s_waitcnt lgkmcnt(0)
	v_mul_f64 v[162:163], v[120:121], v[180:181]
	v_add_f64 v[4:5], v[4:5], v[22:23]
	ds_read_b128 v[26:29], v136 offset:1648
	v_fmac_f64_e32 v[162:163], v[122:123], v[0:1]
	v_add_f64 v[174:175], v[4:5], v[162:163]
	buffer_load_dword v163, off, s[0:3], 0 offset:708
	buffer_load_dword v162, off, s[0:3], 0 offset:704
	v_mul_f64 v[4:5], v[56:57], v[158:159]
	buffer_load_dword v158, off, s[0:3], 0 offset:744
	buffer_load_dword v24, off, s[0:3], 0 offset:736
	;; [unrolled: 1-line block ×4, first 2 shown]
	v_fma_f64 v[188:189], v[30:31], v[166:167], -v[32:33]
	buffer_load_dword v167, off, s[0:3], 0 offset:724
	buffer_load_dword v166, off, s[0:3], 0 offset:720
	;; [unrolled: 1-line block ×3, first 2 shown]
	s_waitcnt vmcnt(21) lgkmcnt(0)
	v_mul_f64 v[30:31], v[26:27], v[148:149]
	buffer_load_dword v25, off, s[0:3], 0 offset:740
	s_waitcnt vmcnt(20)
	v_fmac_f64_e32 v[30:31], v[28:29], v[150:151]
	v_fma_f64 v[86:87], v[54:55], v[86:87], -v[4:5]
	v_add_f64 v[54:55], v[174:175], v[30:31]
	ds_read_b128 v[30:33], v136 offset:1664
	ds_read_b128 v[34:37], v136 offset:1680
	;; [unrolled: 1-line block ×3, first 2 shown]
	buffer_load_dword v23, off, s[0:3], 0 offset:764
	buffer_load_dword v22, off, s[0:3], 0 offset:760
	;; [unrolled: 1-line block ×16, first 2 shown]
	v_mul_f64 v[44:45], v[44:45], v[70:71]
	v_accvgpr_write_b32 a211, v191
	v_fma_f64 v[10:11], v[42:43], v[88:89], -v[44:45]
	v_mul_f64 v[42:43], v[186:187], v[94:95]
	v_accvgpr_write_b32 a210, v190
	v_fma_f64 v[94:95], v[184:185], v[98:99], -v[42:43]
	buffer_load_dword v185, off, s[0:3], 0 offset:828
	buffer_load_dword v184, off, s[0:3], 0 offset:824
	;; [unrolled: 1-line block ×8, first 2 shown]
	s_waitcnt vmcnt(42) lgkmcnt(2)
	v_mul_f64 v[8:9], v[30:31], v[152:153]
	s_waitcnt vmcnt(40)
	v_fmac_f64_e32 v[8:9], v[32:33], v[154:155]
	v_add_f64 v[8:9], v[54:55], v[8:9]
	s_waitcnt vmcnt(38) lgkmcnt(1)
	v_mul_f64 v[54:55], v[34:35], v[144:145]
	s_waitcnt vmcnt(36)
	v_fmac_f64_e32 v[54:55], v[36:37], v[146:147]
	v_mul_f64 v[42:43], v[198:199], v[90:91]
	v_add_f64 v[54:55], v[8:9], v[54:55]
	v_fma_f64 v[8:9], v[196:197], v[92:93], -v[42:43]
	v_mul_f64 v[42:43], v[202:203], v[192:193]
	v_fma_f64 v[6:7], v[200:201], v[194:195], -v[42:43]
	buffer_load_dword v193, off, s[0:3], 0 offset:876
	buffer_load_dword v195, off, s[0:3], 0 offset:860
	buffer_load_dword v194, off, s[0:3], 0 offset:856
	buffer_load_dword v201, off, s[0:3], 0 offset:852
	buffer_load_dword v200, off, s[0:3], 0 offset:848
	buffer_load_dword v192, off, s[0:3], 0 offset:872
	buffer_load_dword v199, off, s[0:3], 0 offset:868
	buffer_load_dword v198, off, s[0:3], 0 offset:864
	buffer_load_dword v197, off, s[0:3], 0 offset:892
	buffer_load_dword v196, off, s[0:3], 0 offset:888
	buffer_load_dword v203, off, s[0:3], 0 offset:884
	buffer_load_dword v202, off, s[0:3], 0 offset:880
	v_mul_f64 v[42:43], v[210:211], v[204:205]
	v_fma_f64 v[4:5], v[208:209], v[206:207], -v[42:43]
	v_mul_f64 v[42:43], v[214:215], v[254:255]
	v_mul_f64 v[12:13], v[48:49], v[72:73]
	v_fma_f64 v[254:255], v[212:213], v[66:67], -v[42:43]
	buffer_load_dword v207, off, s[0:3], 0 offset:908
	buffer_load_dword v206, off, s[0:3], 0 offset:904
	;; [unrolled: 1-line block ×12, first 2 shown]
	ds_read_b128 v[42:45], v136 offset:1712
	v_fma_f64 v[12:13], v[46:47], v[78:79], -v[12:13]
	v_mul_f64 v[46:47], v[232:233], v[102:103]
	v_fma_f64 v[232:233], v[230:231], v[104:105], -v[46:47]
	ds_read_b128 v[46:49], v136 offset:1728
	v_fma_f64 v[14:15], v[50:51], v[76:77], -v[52:53]
	v_mul_f64 v[50:51], v[236:237], v[226:227]
	v_fma_f64 v[226:227], v[234:235], v[228:229], -v[50:51]
	ds_read_b128 v[50:53], v136 offset:1744
	v_mul_f64 v[66:67], v[240:241], v[220:221]
	v_fma_f64 v[220:221], v[238:239], v[222:223], -v[66:67]
	ds_read_b128 v[236:239], v136 offset:1776
	v_fma_f64 v[118:119], v[242:243], v[224:225], -v[68:69]
	s_waitcnt vmcnt(58) lgkmcnt(4)
	v_mul_f64 v[16:17], v[38:39], v[156:157]
	ds_read_b128 v[240:243], v136 offset:1792
	v_mul_f64 v[70:71], v[248:249], v[114:115]
	v_fma_f64 v[246:247], v[246:247], v[116:117], -v[70:71]
	ds_read_b128 v[70:73], v136 offset:1824
	v_mul_f64 v[60:61], v[60:61], v[106:107]
	v_mul_f64 v[64:65], v[64:65], v[108:109]
	v_fma_f64 v[2:3], v[58:59], v[110:111], -v[60:61]
	ds_read_b128 v[58:61], v136 offset:1872
	v_add_f64 v[20:21], v[20:21], v[86:87]
	v_add_f64 v[20:21], v[20:21], v[188:189]
	;; [unrolled: 1-line block ×17, first 2 shown]
	v_accvgpr_read_b32 v6, a190
	s_waitcnt vmcnt(56)
	v_fmac_f64_e32 v[16:17], v[40:41], v[162:163]
	v_add_f64 v[16:17], v[54:55], v[16:17]
	s_waitcnt vmcnt(52) lgkmcnt(6)
	v_mul_f64 v[54:55], v[42:43], v[164:165]
	s_waitcnt vmcnt(50)
	v_fmac_f64_e32 v[54:55], v[44:45], v[166:167]
	v_add_f64 v[16:17], v[16:17], v[54:55]
	s_waitcnt vmcnt(49) lgkmcnt(5)
	v_mul_f64 v[54:55], v[46:47], v[158:159]
	s_waitcnt vmcnt(48)
	v_fmac_f64_e32 v[54:55], v[48:49], v[24:25]
	v_add_f64 v[16:17], v[16:17], v[54:55]
	v_accvgpr_read_b32 v8, a192
	v_accvgpr_read_b32 v9, a193
	;; [unrolled: 1-line block ×3, first 2 shown]
	s_waitcnt vmcnt(46) lgkmcnt(4)
	v_mul_f64 v[54:55], v[50:51], v[22:23]
	v_accvgpr_write_b32 a217, v149
	s_waitcnt vmcnt(44)
	v_fmac_f64_e32 v[54:55], v[52:53], v[170:171]
	v_add_f64 v[16:17], v[16:17], v[54:55]
	ds_read_b128 v[54:57], v136 offset:1760
	v_accvgpr_write_b32 a216, v148
	s_waitcnt vmcnt(42) lgkmcnt(0)
	v_mul_f64 v[66:67], v[54:55], v[174:175]
	s_waitcnt vmcnt(40)
	v_fmac_f64_e32 v[66:67], v[56:57], v[176:177]
	v_add_f64 v[16:17], v[16:17], v[66:67]
	s_waitcnt vmcnt(36)
	v_mul_f64 v[66:67], v[236:237], v[180:181]
	s_waitcnt vmcnt(34)
	v_fmac_f64_e32 v[66:67], v[238:239], v[182:183]
	v_add_f64 v[16:17], v[16:17], v[66:67]
	v_mul_f64 v[66:67], v[240:241], v[172:173]
	s_waitcnt vmcnt(32)
	v_fmac_f64_e32 v[66:67], v[242:243], v[178:179]
	v_add_f64 v[16:17], v[16:17], v[66:67]
	ds_read_b128 v[66:69], v136 offset:1808
	s_waitcnt vmcnt(25)
	v_mul_f64 v[78:79], v[70:71], v[186:187]
	s_waitcnt vmcnt(24)
	v_fmac_f64_e32 v[78:79], v[72:73], v[88:89]
	s_waitcnt lgkmcnt(0)
	v_mul_f64 v[74:75], v[66:67], v[184:185]
	v_fmac_f64_e32 v[74:75], v[68:69], v[190:191]
	v_add_f64 v[16:17], v[16:17], v[74:75]
	v_mul_f64 v[74:75], v[252:253], v[216:217]
	v_fma_f64 v[248:249], v[250:251], v[218:219], -v[74:75]
	ds_read_b128 v[74:77], v136 offset:1840
	v_add_f64 v[16:17], v[16:17], v[78:79]
	ds_read_b128 v[78:81], v136 offset:1856
	v_fma_f64 v[250:251], v[62:63], v[112:113], -v[64:65]
	ds_read_b128 v[62:65], v136 offset:1904
	s_waitcnt vmcnt(21) lgkmcnt(2)
	v_mul_f64 v[90:91], v[74:75], v[194:195]
	s_waitcnt vmcnt(19)
	v_fmac_f64_e32 v[90:91], v[76:77], v[200:201]
	v_add_f64 v[16:17], v[16:17], v[90:91]
	s_waitcnt vmcnt(18) lgkmcnt(1)
	v_mul_f64 v[90:91], v[78:79], v[192:193]
	s_waitcnt vmcnt(16)
	v_fmac_f64_e32 v[90:91], v[80:81], v[198:199]
	v_add_f64 v[16:17], v[16:17], v[90:91]
	ds_read_b128 v[90:93], v136 offset:1888
	v_fma_f64 v[252:253], v[82:83], v[100:101], -v[84:85]
	ds_read_b128 v[82:85], v136 offset:1920
	buffer_load_dword v217, off, s[0:3], 0 offset:956
	buffer_load_dword v216, off, s[0:3], 0 offset:952
	;; [unrolled: 1-line block ×4, first 2 shown]
	s_waitcnt vmcnt(18)
	v_mul_f64 v[98:99], v[58:59], v[196:197]
	s_waitcnt vmcnt(16)
	v_fmac_f64_e32 v[98:99], v[60:61], v[202:203]
	s_waitcnt vmcnt(14) lgkmcnt(1)
	v_mul_f64 v[96:97], v[90:91], v[206:207]
	v_add_f64 v[16:17], v[16:17], v[98:99]
	s_waitcnt vmcnt(12)
	v_fmac_f64_e32 v[96:97], v[92:93], v[208:209]
	ds_read_b128 v[98:101], v136 offset:1936
	v_add_f64 v[16:17], v[16:17], v[96:97]
	s_waitcnt vmcnt(9)
	v_mul_f64 v[96:97], v[62:63], v[212:213]
	s_waitcnt vmcnt(7)
	v_fmac_f64_e32 v[96:97], v[64:65], v[214:215]
	v_add_f64 v[16:17], v[16:17], v[96:97]
	s_waitcnt vmcnt(5) lgkmcnt(1)
	v_mul_f64 v[96:97], v[82:83], v[204:205]
	s_waitcnt vmcnt(4)
	v_fmac_f64_e32 v[96:97], v[84:85], v[210:211]
	v_add_f64 v[16:17], v[16:17], v[96:97]
	v_add_f64 v[4:5], v[4:5], v[248:249]
	v_add_f64 v[254:255], v[4:5], v[2:3]
	v_mul_f64 v[4:5], v[8:9], v[138:139]
	v_accvgpr_read_b32 v8, a194
	v_add_f64 v[2:3], v[254:255], v[250:251]
	v_accvgpr_read_b32 v9, a195
	v_add_f64 v[2:3], v[2:3], v[252:253]
	v_fma_f64 v[4:5], v[6:7], v[8:9], -v[4:5]
	v_add_f64 v[2:3], v[2:3], v[4:5]
	v_accvgpr_read_b32 v4, a196
	v_accvgpr_read_b32 v5, a197
	v_accvgpr_read_b32 v6, a198
	v_mul_f64 v[4:5], v[134:135], v[4:5]
	v_accvgpr_read_b32 v7, a199
	v_fma_f64 v[4:5], v[132:133], v[6:7], -v[4:5]
	v_add_f64 v[2:3], v[2:3], v[4:5]
	v_accvgpr_read_b32 v4, a200
	v_accvgpr_read_b32 v5, a201
	v_accvgpr_read_b32 v6, a202
	v_mul_f64 v[4:5], v[142:143], v[4:5]
	v_accvgpr_read_b32 v7, a203
	;; [unrolled: 7-line block ×5, first 2 shown]
	v_fma_f64 v[4:5], v[120:121], v[6:7], -v[4:5]
	v_add_f64 v[2:3], v[2:3], v[4:5]
	v_accvgpr_read_b32 v4, a216
	v_accvgpr_read_b32 v5, a217
	v_mul_f64 v[4:5], v[28:29], v[4:5]
	v_fma_f64 v[4:5], v[26:27], v[150:151], -v[4:5]
	v_add_f64 v[2:3], v[2:3], v[4:5]
	v_mul_f64 v[4:5], v[32:33], v[152:153]
	v_fma_f64 v[4:5], v[30:31], v[154:155], -v[4:5]
	v_add_f64 v[2:3], v[2:3], v[4:5]
	;; [unrolled: 3-line block ×6, first 2 shown]
	s_waitcnt vmcnt(2) lgkmcnt(0)
	v_mul_f64 v[96:97], v[98:99], v[216:217]
	v_mul_f64 v[4:5], v[52:53], v[22:23]
	s_waitcnt vmcnt(0)
	v_fmac_f64_e32 v[96:97], v[100:101], v[218:219]
	v_add_f64 v[16:17], v[16:17], v[96:97]
	buffer_load_dword v96, off, s[0:3], 0 offset:968
	buffer_load_dword v97, off, s[0:3], 0 offset:972
	;; [unrolled: 1-line block ×4, first 2 shown]
	ds_read_b128 v[102:105], v136 offset:1952
	v_fma_f64 v[4:5], v[50:51], v[170:171], -v[4:5]
	v_add_f64 v[2:3], v[2:3], v[4:5]
	v_mul_f64 v[4:5], v[56:57], v[174:175]
	v_fma_f64 v[4:5], v[54:55], v[176:177], -v[4:5]
	v_add_f64 v[2:3], v[2:3], v[4:5]
	v_mul_f64 v[4:5], v[238:239], v[180:181]
	;; [unrolled: 3-line block ×12, first 2 shown]
	v_fma_f64 v[4:5], v[98:99], v[218:219], -v[4:5]
	v_add_f64 v[2:3], v[2:3], v[4:5]
	s_waitcnt vmcnt(2) lgkmcnt(0)
	v_mul_f64 v[106:107], v[102:103], v[96:97]
	v_mul_f64 v[4:5], v[104:105], v[96:97]
	s_waitcnt vmcnt(0)
	v_fmac_f64_e32 v[106:107], v[104:105], v[222:223]
	v_add_f64 v[110:111], v[16:17], v[106:107]
	buffer_load_dword v225, off, s[0:3], 0 offset:988
	buffer_load_dword v224, off, s[0:3], 0 offset:984
	;; [unrolled: 1-line block ×4, first 2 shown]
	ds_read_b128 v[106:109], v136 offset:1968
	buffer_load_dword v228, off, s[0:3], 0 offset:1000
	buffer_load_dword v229, off, s[0:3], 0 offset:1004
	buffer_load_dword v230, off, s[0:3], 0 offset:992
	buffer_load_dword v231, off, s[0:3], 0 offset:996
	v_fma_f64 v[4:5], v[102:103], v[222:223], -v[4:5]
	v_add_f64 v[2:3], v[2:3], v[4:5]
	s_waitcnt vmcnt(6) lgkmcnt(0)
	v_mul_f64 v[112:113], v[106:107], v[224:225]
	v_mul_f64 v[4:5], v[108:109], v[224:225]
	s_waitcnt vmcnt(4)
	v_fmac_f64_e32 v[112:113], v[108:109], v[16:17]
	v_add_f64 v[114:115], v[110:111], v[112:113]
	ds_read_b128 v[110:113], v136 offset:1984
	buffer_load_dword v235, off, s[0:3], 0 offset:1020
	buffer_load_dword v234, off, s[0:3], 0 offset:1016
	;; [unrolled: 1-line block ×4, first 2 shown]
	v_fma_f64 v[4:5], v[106:107], v[16:17], -v[4:5]
	v_add_f64 v[2:3], v[2:3], v[4:5]
	s_waitcnt vmcnt(6) lgkmcnt(0)
	v_mul_f64 v[116:117], v[110:111], v[228:229]
	s_waitcnt vmcnt(4)
	v_fmac_f64_e32 v[116:117], v[112:113], v[230:231]
	v_add_f64 v[0:1], v[114:115], v[116:117]
	ds_read_b128 v[114:117], v136 offset:2000
	buffer_load_dword v248, off, s[0:3], 0 offset:176
	buffer_load_dword v249, off, s[0:3], 0 offset:180
	;; [unrolled: 1-line block ×4, first 2 shown]
	v_mul_f64 v[4:5], v[112:113], v[228:229]
	v_fma_f64 v[4:5], v[110:111], v[230:231], -v[4:5]
	v_add_f64 v[2:3], v[2:3], v[4:5]
	s_waitcnt vmcnt(6) lgkmcnt(0)
	v_mul_f64 v[148:149], v[114:115], v[234:235]
	v_mul_f64 v[4:5], v[116:117], v[234:235]
	s_waitcnt vmcnt(4)
	v_fmac_f64_e32 v[148:149], v[116:117], v[244:245]
	v_fma_f64 v[4:5], v[114:115], v[244:245], -v[4:5]
	v_add_f64 v[0:1], v[0:1], v[148:149]
	v_add_f64 v[2:3], v[2:3], v[4:5]
	s_waitcnt vmcnt(2)
	v_add_f64 v[2:3], v[248:249], -v[2:3]
	s_waitcnt vmcnt(0)
	v_add_f64 v[0:1], v[246:247], -v[0:1]
	buffer_store_dword v3, off, s[0:3], 0 offset:180
	buffer_store_dword v2, off, s[0:3], 0 offset:176
	;; [unrolled: 1-line block ×4, first 2 shown]
	v_accvgpr_read_b32 v0, a188
	v_cmp_lt_u32_e32 vcc, 9, v0
	s_and_saveexec_b64 s[4:5], vcc
	s_cbranch_execz .LBB62_385
; %bb.384:
	v_accvgpr_read_b32 v0, a179
	buffer_load_dword v2, v0, s[0:3], 0 offen
	buffer_load_dword v3, v0, s[0:3], 0 offen offset:4
	buffer_load_dword v4, v0, s[0:3], 0 offen offset:8
	;; [unrolled: 1-line block ×3, first 2 shown]
	v_mov_b32_e32 v0, 0
	v_accvgpr_read_b32 v1, a189
	buffer_store_dword v0, off, s[0:3], 0 offset:160
	buffer_store_dword v0, off, s[0:3], 0 offset:164
	;; [unrolled: 1-line block ×4, first 2 shown]
	s_waitcnt vmcnt(4)
	ds_write_b128 v1, v[2:5]
.LBB62_385:
	s_or_b64 exec, exec, s[4:5]
	s_waitcnt lgkmcnt(0)
	; wave barrier
	s_waitcnt lgkmcnt(0)
	buffer_load_dword v136, off, s[0:3], 0 offset:176
	buffer_load_dword v137, off, s[0:3], 0 offset:180
	;; [unrolled: 1-line block ×36, first 2 shown]
	v_mov_b32_e32 v138, 0
	buffer_load_dword v55, off, s[0:3], 0 offset:348
	buffer_load_dword v54, off, s[0:3], 0 offset:344
	;; [unrolled: 1-line block ×18, first 2 shown]
	ds_read_b128 v[22:25], v138 offset:1168
	ds_read_b128 v[110:113], v138 offset:1184
	;; [unrolled: 1-line block ×9, first 2 shown]
	s_waitcnt vmcnt(50) lgkmcnt(8)
	v_mul_f64 v[2:3], v[22:23], v[16:17]
	v_fmac_f64_e32 v[2:3], v[24:25], v[136:137]
	v_add_f64 v[2:3], v[2:3], 0
	v_mul_f64 v[16:17], v[24:25], v[16:17]
	s_waitcnt vmcnt(46) lgkmcnt(7)
	v_mul_f64 v[4:5], v[110:111], v[20:21]
	v_fmac_f64_e32 v[4:5], v[112:113], v[156:157]
	s_waitcnt vmcnt(44) lgkmcnt(6)
	v_mul_f64 v[6:7], v[114:115], v[26:27]
	v_add_f64 v[2:3], v[2:3], v[4:5]
	s_waitcnt vmcnt(42) lgkmcnt(4)
	v_mul_f64 v[10:11], v[166:167], v[30:31]
	v_fma_f64 v[252:253], v[22:23], v[136:137], -v[16:17]
	s_waitcnt vmcnt(40)
	v_fmac_f64_e32 v[10:11], v[168:169], v[32:33]
	v_mul_f64 v[20:21], v[112:113], v[20:21]
	s_waitcnt vmcnt(38)
	v_mul_f64 v[8:9], v[162:163], v[28:29]
	v_mul_f64 v[26:27], v[116:117], v[26:27]
	s_waitcnt vmcnt(36) lgkmcnt(2)
	v_mul_f64 v[68:69], v[174:175], v[44:45]
	v_mul_f64 v[28:29], v[164:165], v[28:29]
	s_waitcnt vmcnt(34)
	v_fmac_f64_e32 v[68:69], v[176:177], v[46:47]
	v_mul_f64 v[30:31], v[168:169], v[30:31]
	s_waitcnt vmcnt(32)
	v_mul_f64 v[12:13], v[170:171], v[34:35]
	v_mul_f64 v[34:35], v[172:173], v[34:35]
	s_waitcnt vmcnt(30) lgkmcnt(1)
	v_mul_f64 v[118:119], v[178:179], v[42:43]
	v_mul_f64 v[42:43], v[180:181], v[42:43]
	s_waitcnt vmcnt(28)
	v_fmac_f64_e32 v[6:7], v[116:117], v[160:161]
	v_add_f64 v[2:3], v[2:3], v[6:7]
	s_waitcnt vmcnt(26)
	v_fmac_f64_e32 v[8:9], v[164:165], v[38:39]
	v_add_f64 v[2:3], v[2:3], v[8:9]
	;; [unrolled: 3-line block ×3, first 2 shown]
	v_add_f64 v[2:3], v[2:3], v[12:13]
	v_add_f64 v[2:3], v[2:3], v[68:69]
	buffer_load_dword v109, off, s[0:3], 0 offset:404
	buffer_load_dword v108, off, s[0:3], 0 offset:400
	;; [unrolled: 1-line block ×40, first 2 shown]
	s_waitcnt vmcnt(62)
	v_fmac_f64_e32 v[118:119], v[180:181], v[50:51]
	s_waitcnt vmcnt(58) lgkmcnt(0)
	v_mul_f64 v[4:5], v[182:183], v[48:49]
	v_add_f64 v[2:3], v[2:3], v[118:119]
	v_fmac_f64_e32 v[4:5], v[184:185], v[52:53]
	v_add_f64 v[2:3], v[2:3], v[4:5]
	v_fma_f64 v[254:255], v[114:115], v[160:161], -v[26:27]
	v_fma_f64 v[250:251], v[162:163], v[38:39], -v[28:29]
	;; [unrolled: 1-line block ×3, first 2 shown]
	s_waitcnt vmcnt(0)
	v_pk_mov_b32 v[6:7], v[0:1], v[0:1] op_sel:[0,1]
	buffer_load_dword v1, off, s[0:3], 0 offset:564
	buffer_load_dword v0, off, s[0:3], 0 offset:560
	v_accvgpr_write_b32 a199, v7
	v_accvgpr_write_b32 a198, v6
	s_waitcnt vmcnt(0)
	v_pk_mov_b32 v[8:9], v[0:1], v[0:1] op_sel:[0,1]
	buffer_load_dword v91, off, s[0:3], 0 offset:556
	buffer_load_dword v90, off, s[0:3], 0 offset:552
	;; [unrolled: 1-line block ×6, first 2 shown]
	v_accvgpr_write_b32 a201, v9
	v_accvgpr_write_b32 a200, v8
	s_waitcnt vmcnt(0)
	v_pk_mov_b32 v[120:121], v[0:1], v[0:1] op_sel:[0,1]
	buffer_load_dword v1, off, s[0:3], 0 offset:596
	buffer_load_dword v0, off, s[0:3], 0 offset:592
	v_pk_mov_b32 v[136:137], v[120:121], v[120:121] op_sel:[0,1]
	s_waitcnt vmcnt(0)
	v_pk_mov_b32 v[122:123], v[0:1], v[0:1] op_sel:[0,1]
	buffer_load_dword v1, off, s[0:3], 0 offset:588
	buffer_load_dword v0, off, s[0:3], 0 offset:584
	v_accvgpr_write_b32 a207, v123
	v_accvgpr_write_b32 a206, v122
	s_waitcnt vmcnt(0)
	v_pk_mov_b32 v[128:129], v[0:1], v[0:1] op_sel:[0,1]
	buffer_load_dword v1, off, s[0:3], 0 offset:580
	buffer_load_dword v0, off, s[0:3], 0 offset:576
	v_accvgpr_write_b32 a203, v129
	v_accvgpr_write_b32 a202, v128
	;; [unrolled: 6-line block ×5, first 2 shown]
	s_waitcnt vmcnt(0)
	v_pk_mov_b32 v[140:141], v[0:1], v[0:1] op_sel:[0,1]
	buffer_load_dword v1, off, s[0:3], 0 offset:612
	buffer_load_dword v0, off, s[0:3], 0 offset:608
	ds_read_b128 v[186:189], v138 offset:1312
	ds_read_b128 v[190:193], v138 offset:1328
	;; [unrolled: 1-line block ×9, first 2 shown]
	s_waitcnt lgkmcnt(8)
	v_mul_f64 v[4:5], v[186:187], v[58:59]
	v_fmac_f64_e32 v[4:5], v[188:189], v[60:61]
	v_add_f64 v[2:3], v[2:3], v[4:5]
	s_waitcnt lgkmcnt(7)
	v_mul_f64 v[4:5], v[190:191], v[54:55]
	v_fmac_f64_e32 v[4:5], v[192:193], v[56:57]
	v_add_f64 v[2:3], v[2:3], v[4:5]
	;; [unrolled: 4-line block ×9, first 2 shown]
	v_accvgpr_write_b32 a209, v141
	v_accvgpr_write_b32 a208, v140
	v_mul_f64 v[16:17], v[200:201], v[64:65]
	v_fma_f64 v[16:17], v[198:199], v[66:67], -v[16:17]
	s_waitcnt vmcnt(0)
	v_pk_mov_b32 v[142:143], v[0:1], v[0:1] op_sel:[0,1]
	buffer_load_dword v19, off, s[0:3], 0 offset:652
	buffer_load_dword v18, off, s[0:3], 0 offset:648
	;; [unrolled: 1-line block ×4, first 2 shown]
	ds_read_b128 v[224:227], v138 offset:1456
	buffer_load_dword v15, off, s[0:3], 0 offset:668
	buffer_load_dword v14, off, s[0:3], 0 offset:664
	;; [unrolled: 1-line block ×12, first 2 shown]
	ds_read_b128 v[228:231], v138 offset:1472
	ds_read_b128 v[232:235], v138 offset:1488
	s_waitcnt lgkmcnt(2)
	v_mul_f64 v[4:5], v[224:225], v[68:69]
	v_fmac_f64_e32 v[4:5], v[226:227], v[70:71]
	ds_read_b128 v[236:239], v138 offset:1504
	ds_read_b128 v[240:243], v138 offset:1520
	v_add_f64 v[2:3], v[2:3], v[4:5]
	s_waitcnt lgkmcnt(3)
	v_mul_f64 v[4:5], v[228:229], v[72:73]
	v_fmac_f64_e32 v[4:5], v[230:231], v[82:83]
	v_add_f64 v[2:3], v[2:3], v[4:5]
	s_waitcnt lgkmcnt(2)
	v_mul_f64 v[4:5], v[232:233], v[74:75]
	v_fmac_f64_e32 v[4:5], v[234:235], v[76:77]
	;; [unrolled: 4-line block ×3, first 2 shown]
	v_add_f64 v[2:3], v[2:3], v[4:5]
	ds_read_b128 v[244:247], v138 offset:1536
	s_waitcnt lgkmcnt(1)
	v_mul_f64 v[4:5], v[240:241], v[86:87]
	v_fmac_f64_e32 v[4:5], v[242:243], v[88:89]
	v_add_f64 v[10:11], v[2:3], v[4:5]
	ds_read_b128 v[2:5], v138 offset:1552
	ds_read_b128 v[132:135], v138 offset:1568
	;; [unrolled: 1-line block ×3, first 2 shown]
	s_waitcnt lgkmcnt(3)
	v_mul_f64 v[12:13], v[244:245], v[90:91]
	v_fmac_f64_e32 v[12:13], v[246:247], v[92:93]
	v_add_f64 v[10:11], v[10:11], v[12:13]
	s_waitcnt lgkmcnt(2)
	v_mul_f64 v[12:13], v[2:3], v[6:7]
	v_fmac_f64_e32 v[12:13], v[4:5], v[8:9]
	v_add_f64 v[10:11], v[10:11], v[12:13]
	s_waitcnt lgkmcnt(1)
	v_mul_f64 v[12:13], v[132:133], v[128:129]
	v_accvgpr_write_b32 a197, v135
	v_fmac_f64_e32 v[12:13], v[134:135], v[130:131]
	v_accvgpr_write_b32 a196, v134
	v_accvgpr_write_b32 a195, v133
	;; [unrolled: 1-line block ×3, first 2 shown]
	ds_read_b128 v[132:135], v138 offset:1584
	ds_read_b128 v[128:131], v138 offset:1632
	v_add_f64 v[118:119], v[10:11], v[12:13]
	s_waitcnt lgkmcnt(2)
	v_mul_f64 v[24:25], v[144:145], v[140:141]
	v_accvgpr_write_b32 a211, v143
	s_waitcnt lgkmcnt(1)
	v_mul_f64 v[22:23], v[132:133], v[120:121]
	v_fmac_f64_e32 v[22:23], v[134:135], v[122:123]
	v_add_f64 v[22:23], v[118:119], v[22:23]
	v_fma_f64 v[118:119], v[110:111], v[156:157], -v[20:21]
	ds_read_b128 v[156:159], v138 offset:1616
	v_fmac_f64_e32 v[24:25], v[146:147], v[142:143]
	v_accvgpr_write_b32 a210, v142
	buffer_load_dword v161, off, s[0:3], 0 offset:716
	buffer_load_dword v160, off, s[0:3], 0 offset:712
	;; [unrolled: 1-line block ×4, first 2 shown]
	s_waitcnt lgkmcnt(0)
	v_mul_f64 v[26:27], v[156:157], v[124:125]
	v_fmac_f64_e32 v[26:27], v[158:159], v[126:127]
	buffer_load_dword v163, off, s[0:3], 0 offset:708
	buffer_load_dword v162, off, s[0:3], 0 offset:704
	;; [unrolled: 1-line block ×3, first 2 shown]
	ds_read_b128 v[124:127], v138 offset:1648
	ds_read_b128 v[120:123], v138 offset:1664
	buffer_load_dword v141, off, s[0:3], 0 offset:724
	v_accvgpr_write_b32 a193, v5
	v_add_f64 v[110:111], v[22:23], v[24:25]
	ds_read_b128 v[34:37], v138 offset:1680
	v_accvgpr_write_b32 a192, v4
	v_accvgpr_write_b32 a191, v3
	v_accvgpr_write_b32 a190, v2
	v_add_f64 v[26:27], v[110:111], v[26:27]
	v_fma_f64 v[24:25], v[178:179], v[50:51], -v[42:43]
	v_mul_f64 v[42:43], v[184:185], v[48:49]
	v_fma_f64 v[22:23], v[182:183], v[52:53], -v[42:43]
	v_mul_f64 v[42:43], v[188:189], v[58:59]
	;; [unrolled: 2-line block ×3, first 2 shown]
	v_mul_f64 v[42:43], v[196:197], v[96:97]
	v_mul_f64 v[48:49], v[214:215], v[104:105]
	v_fma_f64 v[10:11], v[212:213], v[106:107], -v[48:49]
	v_mul_f64 v[50:51], v[218:219], v[84:85]
	v_mul_f64 v[74:75], v[234:235], v[74:75]
	;; [unrolled: 1-line block ×3, first 2 shown]
	s_waitcnt vmcnt(22)
	v_mul_f64 v[28:29], v[128:129], v[18:19]
	v_accvgpr_write_b32 a217, v19
	s_waitcnt vmcnt(20)
	v_fmac_f64_e32 v[28:29], v[130:131], v[0:1]
	s_waitcnt vmcnt(18) lgkmcnt(2)
	v_mul_f64 v[4:5], v[124:125], v[14:15]
	v_add_f64 v[38:39], v[26:27], v[28:29]
	s_waitcnt vmcnt(16)
	v_fmac_f64_e32 v[4:5], v[126:127], v[40:41]
	v_add_f64 v[4:5], v[38:39], v[4:5]
	s_waitcnt vmcnt(13) lgkmcnt(1)
	v_mul_f64 v[38:39], v[120:121], v[150:151]
	s_waitcnt vmcnt(11)
	v_fmac_f64_e32 v[38:39], v[122:123], v[154:155]
	v_add_f64 v[4:5], v[4:5], v[38:39]
	s_waitcnt vmcnt(10) lgkmcnt(0)
	v_mul_f64 v[38:39], v[34:35], v[152:153]
	v_accvgpr_write_b32 a221, v41
	s_waitcnt vmcnt(8)
	v_fmac_f64_e32 v[38:39], v[36:37], v[148:149]
	v_fma_f64 v[26:27], v[166:167], v[32:33], -v[30:31]
	v_accvgpr_write_b32 a220, v40
	v_add_f64 v[110:111], v[4:5], v[38:39]
	ds_read_b128 v[38:41], v138 offset:1696
	buffer_load_dword v31, off, s[0:3], 0 offset:748
	buffer_load_dword v30, off, s[0:3], 0 offset:744
	;; [unrolled: 1-line block ×9, first 2 shown]
	v_mul_f64 v[4:5], v[176:177], v[44:45]
	v_fma_f64 v[112:113], v[174:175], v[46:47], -v[4:5]
	buffer_load_dword v177, off, s[0:3], 0 offset:780
	buffer_load_dword v176, off, s[0:3], 0 offset:776
	;; [unrolled: 1-line block ×15, first 2 shown]
	v_accvgpr_write_b32 a216, v18
	v_fma_f64 v[18:19], v[190:191], v[56:57], -v[12:13]
	buffer_load_dword v189, off, s[0:3], 0 offset:844
	buffer_load_dword v188, off, s[0:3], 0 offset:840
	;; [unrolled: 1-line block ×4, first 2 shown]
	v_accvgpr_write_b32 a219, v1
	v_accvgpr_write_b32 a218, v0
	v_pk_mov_b32 v[0:1], v[14:15], v[14:15] op_sel:[0,1]
	v_fma_f64 v[14:15], v[194:195], v[98:99], -v[42:43]
	buffer_load_dword v193, off, s[0:3], 0 offset:860
	buffer_load_dword v192, off, s[0:3], 0 offset:856
	;; [unrolled: 1-line block ×8, first 2 shown]
	v_mul_f64 v[42:43], v[204:205], v[210:211]
	v_fma_f64 v[248:249], v[202:203], v[248:249], -v[42:43]
	v_mul_f64 v[42:43], v[208:209], v[62:63]
	buffer_load_dword v203, off, s[0:3], 0 offset:892
	buffer_load_dword v202, off, s[0:3], 0 offset:888
	;; [unrolled: 1-line block ×4, first 2 shown]
	v_fma_f64 v[12:13], v[206:207], v[108:109], -v[42:43]
	buffer_load_dword v200, off, s[0:3], 0 offset:920
	buffer_load_dword v209, off, s[0:3], 0 offset:908
	;; [unrolled: 1-line block ×8, first 2 shown]
	ds_read_b128 v[42:45], v138 offset:1712
	buffer_load_dword v213, off, s[0:3], 0 offset:940
	buffer_load_dword v212, off, s[0:3], 0 offset:936
	;; [unrolled: 1-line block ×4, first 2 shown]
	v_mul_f64 v[62:63], v[226:227], v[68:69]
	v_fma_f64 v[8:9], v[224:225], v[70:71], -v[62:63]
	ds_read_b128 v[62:65], v138 offset:1792
	v_fma_f64 v[4:5], v[232:233], v[76:77], -v[74:75]
	v_fma_f64 v[232:233], v[236:237], v[80:81], -v[78:79]
	ds_read_b128 v[78:81], v138 offset:1856
	v_mul_f64 v[86:87], v[242:243], v[86:87]
	v_fma_f64 v[2:3], v[240:241], v[88:89], -v[86:87]
	ds_read_b128 v[86:89], v138 offset:1888
	v_mul_f64 v[90:91], v[246:247], v[90:91]
	v_fma_f64 v[236:237], v[244:245], v[92:93], -v[90:91]
	ds_read_b128 v[74:77], v138 offset:1840
	ds_read_b128 v[90:93], v138 offset:1904
	s_waitcnt vmcnt(58) lgkmcnt(6)
	v_mul_f64 v[46:47], v[38:39], v[160:161]
	s_waitcnt vmcnt(54)
	v_fmac_f64_e32 v[46:47], v[40:41], v[162:163]
	s_waitcnt vmcnt(53) lgkmcnt(5)
	v_mul_f64 v[48:49], v[42:43], v[142:143]
	v_add_f64 v[46:47], v[110:111], v[46:47]
	v_fma_f64 v[110:111], v[216:217], v[94:95], -v[50:51]
	s_waitcnt vmcnt(52)
	v_fmac_f64_e32 v[48:49], v[44:45], v[140:141]
	v_add_f64 v[54:55], v[46:47], v[48:49]
	ds_read_b128 v[46:49], v138 offset:1728
	ds_read_b128 v[50:53], v138 offset:1744
	;; [unrolled: 1-line block ×3, first 2 shown]
	s_waitcnt vmcnt(50) lgkmcnt(2)
	v_mul_f64 v[56:57], v[46:47], v[30:31]
	s_waitcnt vmcnt(48)
	v_fmac_f64_e32 v[56:57], v[48:49], v[170:171]
	v_add_f64 v[58:59], v[54:55], v[56:57]
	v_mul_f64 v[54:55], v[222:223], v[100:101]
	v_fma_f64 v[216:217], v[220:221], v[102:103], -v[54:55]
	ds_read_b128 v[54:57], v138 offset:1760
	s_waitcnt vmcnt(46) lgkmcnt(2)
	v_mul_f64 v[60:61], v[50:51], v[168:169]
	s_waitcnt vmcnt(44)
	v_fmac_f64_e32 v[60:61], v[52:53], v[172:173]
	v_add_f64 v[66:67], v[58:59], v[60:61]
	ds_read_b128 v[58:61], v138 offset:1776
	s_waitcnt vmcnt(41) lgkmcnt(1)
	v_mul_f64 v[68:69], v[54:55], v[176:177]
	s_waitcnt vmcnt(39)
	v_fmac_f64_e32 v[68:69], v[56:57], v[180:181]
	v_add_f64 v[70:71], v[66:67], v[68:69]
	v_mul_f64 v[66:67], v[230:231], v[72:73]
	v_fma_f64 v[6:7], v[228:229], v[82:83], -v[66:67]
	ds_read_b128 v[66:69], v138 offset:1808
	s_waitcnt vmcnt(38) lgkmcnt(1)
	v_mul_f64 v[84:85], v[58:59], v[166:167]
	s_waitcnt vmcnt(36)
	v_fmac_f64_e32 v[84:85], v[60:61], v[178:179]
	s_waitcnt vmcnt(33)
	v_mul_f64 v[72:73], v[62:63], v[184:185]
	v_add_f64 v[70:71], v[70:71], v[84:85]
	s_waitcnt vmcnt(31)
	v_fmac_f64_e32 v[72:73], v[64:65], v[186:187]
	v_add_f64 v[70:71], v[70:71], v[72:73]
	s_waitcnt vmcnt(29) lgkmcnt(0)
	v_mul_f64 v[72:73], v[66:67], v[174:175]
	s_waitcnt vmcnt(28)
	v_fmac_f64_e32 v[72:73], v[68:69], v[182:183]
	v_add_f64 v[82:83], v[70:71], v[72:73]
	ds_read_b128 v[70:73], v138 offset:1824
	s_waitcnt vmcnt(26) lgkmcnt(0)
	v_mul_f64 v[28:29], v[70:71], v[188:189]
	s_waitcnt vmcnt(24)
	v_fmac_f64_e32 v[28:29], v[72:73], v[190:191]
	v_add_f64 v[28:29], v[82:83], v[28:29]
	s_waitcnt vmcnt(22)
	v_mul_f64 v[82:83], v[74:75], v[192:193]
	s_waitcnt vmcnt(20)
	v_fmac_f64_e32 v[82:83], v[76:77], v[196:197]
	v_add_f64 v[28:29], v[28:29], v[82:83]
	s_waitcnt vmcnt(18)
	v_mul_f64 v[82:83], v[78:79], v[194:195]
	s_waitcnt vmcnt(16)
	v_fmac_f64_e32 v[82:83], v[80:81], v[198:199]
	v_add_f64 v[28:29], v[28:29], v[82:83]
	ds_read_b128 v[82:85], v138 offset:1872
	buffer_load_dword v242, off, s[0:3], 0 offset:952
	buffer_load_dword v243, off, s[0:3], 0 offset:956
	buffer_load_dword v218, off, s[0:3], 0 offset:944
	buffer_load_dword v219, off, s[0:3], 0 offset:948
	ds_read_b128 v[98:101], v138 offset:1936
	buffer_load_dword v221, off, s[0:3], 0 offset:972
	buffer_load_dword v220, off, s[0:3], 0 offset:968
	buffer_load_dword v223, off, s[0:3], 0 offset:964
	buffer_load_dword v222, off, s[0:3], 0 offset:960
	;; [unrolled: 5-line block ×5, first 2 shown]
	s_waitcnt vmcnt(34) lgkmcnt(4)
	v_mul_f64 v[32:33], v[82:83], v[202:203]
	s_waitcnt vmcnt(32)
	v_fmac_f64_e32 v[32:33], v[84:85], v[204:205]
	v_add_f64 v[28:29], v[28:29], v[32:33]
	s_waitcnt vmcnt(29)
	v_mul_f64 v[32:33], v[86:87], v[208:209]
	s_waitcnt vmcnt(27)
	v_fmac_f64_e32 v[32:33], v[88:89], v[210:211]
	v_add_f64 v[28:29], v[28:29], v[32:33]
	s_waitcnt vmcnt(25)
	;; [unrolled: 5-line block ×3, first 2 shown]
	v_mul_f64 v[32:33], v[94:95], v[212:213]
	s_waitcnt vmcnt(20)
	v_fmac_f64_e32 v[32:33], v[96:97], v[214:215]
	v_add_f64 v[28:29], v[28:29], v[32:33]
	ds_read_b128 v[114:117], v138 offset:2000
	s_waitcnt vmcnt(18) lgkmcnt(4)
	v_mul_f64 v[32:33], v[98:99], v[242:243]
	s_waitcnt vmcnt(16)
	v_fmac_f64_e32 v[32:33], v[100:101], v[218:219]
	v_add_f64 v[28:29], v[28:29], v[32:33]
	s_waitcnt vmcnt(14) lgkmcnt(3)
	v_mul_f64 v[32:33], v[102:103], v[220:221]
	s_waitcnt vmcnt(12)
	v_fmac_f64_e32 v[32:33], v[104:105], v[222:223]
	v_add_f64 v[28:29], v[28:29], v[32:33]
	;; [unrolled: 5-line block ×5, first 2 shown]
	v_add_f64 v[32:33], v[252:253], 0
	v_add_f64 v[32:33], v[32:33], v[118:119]
	;; [unrolled: 1-line block ×15, first 2 shown]
	buffer_load_dword v248, off, s[0:3], 0 offset:160
	buffer_load_dword v249, off, s[0:3], 0 offset:164
	v_add_f64 v[10:11], v[12:13], v[10:11]
	buffer_load_dword v246, off, s[0:3], 0 offset:168
	buffer_load_dword v247, off, s[0:3], 0 offset:172
	v_add_f64 v[10:11], v[10:11], v[110:111]
	v_add_f64 v[10:11], v[10:11], v[216:217]
	;; [unrolled: 1-line block ×7, first 2 shown]
	v_accvgpr_read_b32 v6, a190
	v_accvgpr_read_b32 v4, a198
	;; [unrolled: 1-line block ×5, first 2 shown]
	v_mul_f64 v[4:5], v[8:9], v[4:5]
	v_accvgpr_read_b32 v8, a200
	v_accvgpr_read_b32 v7, a191
	;; [unrolled: 1-line block ×3, first 2 shown]
	v_add_f64 v[2:3], v[252:253], v[236:237]
	v_fma_f64 v[4:5], v[6:7], v[8:9], -v[4:5]
	v_add_f64 v[2:3], v[2:3], v[4:5]
	v_accvgpr_read_b32 v6, a194
	v_accvgpr_read_b32 v4, a202
	;; [unrolled: 1-line block ×5, first 2 shown]
	v_mul_f64 v[4:5], v[8:9], v[4:5]
	v_accvgpr_read_b32 v8, a204
	v_accvgpr_read_b32 v7, a195
	;; [unrolled: 1-line block ×3, first 2 shown]
	v_fma_f64 v[4:5], v[6:7], v[8:9], -v[4:5]
	v_accvgpr_read_b32 v6, a206
	v_add_f64 v[2:3], v[2:3], v[4:5]
	v_mul_f64 v[4:5], v[134:135], v[136:137]
	v_accvgpr_read_b32 v7, a207
	v_fma_f64 v[4:5], v[132:133], v[6:7], -v[4:5]
	v_add_f64 v[2:3], v[2:3], v[4:5]
	v_accvgpr_read_b32 v4, a208
	v_accvgpr_read_b32 v5, a209
	v_accvgpr_read_b32 v6, a210
	v_mul_f64 v[4:5], v[146:147], v[4:5]
	v_accvgpr_read_b32 v7, a211
	v_fma_f64 v[4:5], v[144:145], v[6:7], -v[4:5]
	v_add_f64 v[2:3], v[2:3], v[4:5]
	v_accvgpr_read_b32 v4, a212
	v_accvgpr_read_b32 v5, a213
	v_accvgpr_read_b32 v6, a214
	v_mul_f64 v[4:5], v[158:159], v[4:5]
	v_accvgpr_read_b32 v7, a215
	v_fma_f64 v[4:5], v[156:157], v[6:7], -v[4:5]
	v_add_f64 v[2:3], v[2:3], v[4:5]
	v_accvgpr_read_b32 v4, a216
	v_accvgpr_read_b32 v5, a217
	v_accvgpr_read_b32 v6, a218
	v_mul_f64 v[4:5], v[130:131], v[4:5]
	v_accvgpr_read_b32 v7, a219
	v_fma_f64 v[4:5], v[128:129], v[6:7], -v[4:5]
	v_add_f64 v[2:3], v[2:3], v[4:5]
	v_mul_f64 v[4:5], v[126:127], v[0:1]
	v_accvgpr_read_b32 v0, a220
	v_accvgpr_read_b32 v1, a221
	v_fma_f64 v[4:5], v[124:125], v[0:1], -v[4:5]
	v_add_f64 v[2:3], v[2:3], v[4:5]
	v_mul_f64 v[4:5], v[122:123], v[150:151]
	v_fma_f64 v[4:5], v[120:121], v[154:155], -v[4:5]
	v_add_f64 v[2:3], v[2:3], v[4:5]
	v_mul_f64 v[4:5], v[36:37], v[152:153]
	;; [unrolled: 3-line block ×22, first 2 shown]
	v_fma_f64 v[4:5], v[114:115], v[244:245], -v[4:5]
	v_add_f64 v[2:3], v[2:3], v[4:5]
	v_accvgpr_read_b32 v0, a188
	s_waitcnt vmcnt(2)
	v_add_f64 v[2:3], v[248:249], -v[2:3]
	v_cmp_lt_u32_e32 vcc, 8, v0
	s_waitcnt vmcnt(0)
	v_add_f64 v[4:5], v[246:247], -v[28:29]
	buffer_store_dword v3, off, s[0:3], 0 offset:164
	buffer_store_dword v2, off, s[0:3], 0 offset:160
	;; [unrolled: 1-line block ×4, first 2 shown]
	s_and_saveexec_b64 s[4:5], vcc
	s_cbranch_execz .LBB62_387
; %bb.386:
	v_accvgpr_read_b32 v0, a180
	buffer_load_dword v2, v0, s[0:3], 0 offen
	buffer_load_dword v3, v0, s[0:3], 0 offen offset:4
	buffer_load_dword v4, v0, s[0:3], 0 offen offset:8
	;; [unrolled: 1-line block ×3, first 2 shown]
	v_accvgpr_read_b32 v0, a189
	buffer_store_dword v138, off, s[0:3], 0 offset:144
	buffer_store_dword v138, off, s[0:3], 0 offset:148
	;; [unrolled: 1-line block ×4, first 2 shown]
	s_waitcnt vmcnt(4)
	ds_write_b128 v0, v[2:5]
.LBB62_387:
	s_or_b64 exec, exec, s[4:5]
	s_waitcnt lgkmcnt(0)
	; wave barrier
	s_waitcnt lgkmcnt(0)
	buffer_load_dword v130, off, s[0:3], 0 offset:160
	buffer_load_dword v131, off, s[0:3], 0 offset:164
	;; [unrolled: 1-line block ×42, first 2 shown]
	ds_read_b128 v[14:17], v138 offset:1152
	ds_read_b128 v[26:29], v138 offset:1168
	;; [unrolled: 1-line block ×10, first 2 shown]
	buffer_load_dword v105, off, s[0:3], 0 offset:308
	buffer_load_dword v104, off, s[0:3], 0 offset:304
	ds_read_b128 v[42:45], v138 offset:1312
	buffer_load_dword v65, off, s[0:3], 0 offset:364
	buffer_load_dword v64, off, s[0:3], 0 offset:360
	;; [unrolled: 1-line block ×6, first 2 shown]
	s_waitcnt vmcnt(46) lgkmcnt(10)
	v_mul_f64 v[2:3], v[14:15], v[8:9]
	v_fmac_f64_e32 v[2:3], v[16:17], v[130:131]
	v_add_f64 v[2:3], v[2:3], 0
	v_mul_f64 v[8:9], v[16:17], v[8:9]
	s_waitcnt vmcnt(42) lgkmcnt(9)
	v_mul_f64 v[4:5], v[26:27], v[12:13]
	v_fmac_f64_e32 v[4:5], v[28:29], v[146:147]
	s_waitcnt vmcnt(40) lgkmcnt(8)
	v_mul_f64 v[66:67], v[106:107], v[154:155]
	v_add_f64 v[2:3], v[2:3], v[4:5]
	s_waitcnt vmcnt(38) lgkmcnt(6)
	v_mul_f64 v[72:73], v[114:115], v[30:31]
	v_mul_f64 v[12:13], v[28:29], v[12:13]
	s_waitcnt vmcnt(36)
	v_fmac_f64_e32 v[72:73], v[116:117], v[32:33]
	v_fma_f64 v[130:131], v[14:15], v[130:131], -v[8:9]
	s_waitcnt vmcnt(34)
	v_mul_f64 v[68:69], v[110:111], v[22:23]
	v_mul_f64 v[30:31], v[116:117], v[30:31]
	s_waitcnt vmcnt(32) lgkmcnt(4)
	v_mul_f64 v[76:77], v[164:165], v[38:39]
	v_mul_f64 v[22:23], v[112:113], v[22:23]
	s_waitcnt vmcnt(30)
	v_fmac_f64_e32 v[76:77], v[166:167], v[40:41]
	s_waitcnt vmcnt(28)
	v_mul_f64 v[74:75], v[156:157], v[34:35]
	v_mul_f64 v[34:35], v[158:159], v[34:35]
	s_waitcnt vmcnt(26) lgkmcnt(2)
	v_mul_f64 v[80:81], v[172:173], v[52:53]
	v_mul_f64 v[52:53], v[174:175], v[52:53]
	s_waitcnt vmcnt(23)
	v_mul_f64 v[78:79], v[168:169], v[56:57]
	s_waitcnt vmcnt(21) lgkmcnt(1)
	v_mul_f64 v[144:145], v[46:47], v[50:51]
	s_waitcnt vmcnt(19)
	v_fmac_f64_e32 v[66:67], v[108:109], v[180:181]
	v_add_f64 v[2:3], v[2:3], v[66:67]
	s_waitcnt vmcnt(17)
	v_fmac_f64_e32 v[68:69], v[112:113], v[24:25]
	v_add_f64 v[2:3], v[2:3], v[68:69]
	;; [unrolled: 3-line block ×3, first 2 shown]
	v_add_f64 v[2:3], v[2:3], v[74:75]
	s_waitcnt vmcnt(13)
	v_fmac_f64_e32 v[78:79], v[170:171], v[58:59]
	v_add_f64 v[2:3], v[2:3], v[76:77]
	s_waitcnt vmcnt(12)
	v_fmac_f64_e32 v[80:81], v[174:175], v[54:55]
	v_add_f64 v[2:3], v[2:3], v[78:79]
	v_add_f64 v[2:3], v[2:3], v[80:81]
	buffer_load_dword v187, off, s[0:3], 0 offset:340
	buffer_load_dword v186, off, s[0:3], 0 offset:336
	;; [unrolled: 1-line block ×52, first 2 shown]
	s_waitcnt vmcnt(58)
	v_fmac_f64_e32 v[144:145], v[48:49], v[104:105]
	v_add_f64 v[2:3], v[2:3], v[144:145]
	s_waitcnt vmcnt(0)
	v_pk_mov_b32 v[122:123], v[4:5], v[4:5] op_sel:[0,1]
	buffer_load_dword v5, off, s[0:3], 0 offset:580
	buffer_load_dword v4, off, s[0:3], 0 offset:576
	v_accvgpr_write_b32 a199, v123
	v_accvgpr_write_b32 a198, v122
	s_waitcnt vmcnt(0)
	v_pk_mov_b32 v[124:125], v[4:5], v[4:5] op_sel:[0,1]
	buffer_load_dword v5, off, s[0:3], 0 offset:572
	buffer_load_dword v4, off, s[0:3], 0 offset:568
	v_accvgpr_write_b32 a201, v125
	v_accvgpr_write_b32 a200, v124
	s_waitcnt vmcnt(0)
	v_pk_mov_b32 v[140:141], v[4:5], v[4:5] op_sel:[0,1]
	buffer_load_dword v5, off, s[0:3], 0 offset:564
	buffer_load_dword v4, off, s[0:3], 0 offset:560
	v_accvgpr_write_b32 a191, v141
	v_accvgpr_write_b32 a190, v140
	s_waitcnt vmcnt(0)
	v_pk_mov_b32 v[142:143], v[4:5], v[4:5] op_sel:[0,1]
	buffer_load_dword v5, off, s[0:3], 0 offset:620
	buffer_load_dword v4, off, s[0:3], 0 offset:616
	v_accvgpr_write_b32 a193, v143
	v_accvgpr_write_b32 a192, v142
	s_waitcnt vmcnt(0)
	v_pk_mov_b32 v[126:127], v[4:5], v[4:5] op_sel:[0,1]
	buffer_load_dword v5, off, s[0:3], 0 offset:612
	buffer_load_dword v4, off, s[0:3], 0 offset:608
	v_accvgpr_write_b32 a205, v127
	v_accvgpr_write_b32 a204, v126
	s_waitcnt vmcnt(0)
	v_pk_mov_b32 v[128:129], v[4:5], v[4:5] op_sel:[0,1]
	buffer_load_dword v5, off, s[0:3], 0 offset:604
	buffer_load_dword v4, off, s[0:3], 0 offset:600
	v_accvgpr_write_b32 a207, v129
	v_accvgpr_write_b32 a206, v128
	s_waitcnt vmcnt(0)
	v_pk_mov_b32 v[184:185], v[4:5], v[4:5] op_sel:[0,1]
	buffer_load_dword v5, off, s[0:3], 0 offset:596
	buffer_load_dword v4, off, s[0:3], 0 offset:592
	s_waitcnt vmcnt(0)
	v_pk_mov_b32 v[188:189], v[4:5], v[4:5] op_sel:[0,1]
	buffer_load_dword v5, off, s[0:3], 0 offset:652
	buffer_load_dword v4, off, s[0:3], 0 offset:648
	v_accvgpr_write_b32 a203, v189
	v_accvgpr_write_b32 a202, v188
	s_waitcnt vmcnt(0)
	v_pk_mov_b32 v[162:163], v[4:5], v[4:5] op_sel:[0,1]
	buffer_load_dword v5, off, s[0:3], 0 offset:644
	buffer_load_dword v4, off, s[0:3], 0 offset:640
	v_accvgpr_write_b32 a209, v163
	v_accvgpr_write_b32 a208, v162
	s_waitcnt vmcnt(0)
	v_pk_mov_b32 v[182:183], v[4:5], v[4:5] op_sel:[0,1]
	buffer_load_dword v7, off, s[0:3], 0 offset:636
	buffer_load_dword v6, off, s[0:3], 0 offset:632
	;; [unrolled: 1-line block ×4, first 2 shown]
	ds_read_b128 v[176:179], v138 offset:1328
	ds_read_b128 v[192:195], v138 offset:1344
	ds_read_b128 v[196:199], v138 offset:1360
	ds_read_b128 v[200:203], v138 offset:1376
	ds_read_b128 v[204:207], v138 offset:1392
	ds_read_b128 v[212:215], v138 offset:1408
	ds_read_b128 v[216:219], v138 offset:1424
	buffer_load_dword v11, off, s[0:3], 0 offset:668
	buffer_load_dword v10, off, s[0:3], 0 offset:664
	;; [unrolled: 1-line block ×4, first 2 shown]
	ds_read_b128 v[220:223], v138 offset:1440
	buffer_load_dword v132, off, s[0:3], 0 offset:680
	buffer_load_dword v133, off, s[0:3], 0 offset:684
	;; [unrolled: 1-line block ×4, first 2 shown]
	ds_read_b128 v[224:227], v138 offset:1456
	ds_read_b128 v[228:231], v138 offset:1472
	;; [unrolled: 1-line block ×4, first 2 shown]
	buffer_load_dword v149, off, s[0:3], 0 offset:700
	buffer_load_dword v148, off, s[0:3], 0 offset:696
	;; [unrolled: 1-line block ×4, first 2 shown]
	ds_read_b128 v[240:243], v138 offset:1520
	ds_read_b128 v[244:247], v138 offset:1536
	;; [unrolled: 1-line block ×4, first 2 shown]
	v_accvgpr_write_b32 a211, v183
	v_accvgpr_write_b32 a210, v182
	s_waitcnt lgkmcnt(1)
	v_accvgpr_write_b32 a227, v137
	v_accvgpr_write_b32 a226, v136
	;; [unrolled: 1-line block ×4, first 2 shown]
	s_waitcnt lgkmcnt(0)
	v_mul_f64 v[14:15], v[16:17], v[122:123]
	v_fmac_f64_e32 v[14:15], v[18:19], v[124:125]
	v_accvgpr_write_b32 a197, v19
	ds_read_b128 v[122:125], v138 offset:1648
	v_accvgpr_write_b32 a196, v18
	v_accvgpr_write_b32 a195, v17
	;; [unrolled: 1-line block ×3, first 2 shown]
	v_mul_f64 v[18:19], v[108:109], v[154:155]
	v_fma_f64 v[108:109], v[114:115], v[32:33], -v[30:31]
	ds_read_b128 v[30:33], v138 offset:1664
	v_fma_f64 v[180:181], v[106:107], v[180:181], -v[18:19]
	v_fma_f64 v[106:107], v[110:111], v[24:25], -v[22:23]
	v_fma_f64 v[18:19], v[172:173], v[54:55], -v[52:53]
	v_pk_mov_b32 v[154:155], v[184:185], v[184:185] op_sel:[0,1]
	v_mul_f64 v[54:55], v[222:223], v[76:77]
	s_waitcnt vmcnt(14)
	v_accvgpr_write_b32 a215, v7
	v_accvgpr_write_b32 a214, v6
	s_waitcnt vmcnt(12)
	v_pk_mov_b32 v[190:191], v[4:5], v[4:5] op_sel:[0,1]
	v_mul_f64 v[4:5], v[42:43], v[60:61]
	v_fmac_f64_e32 v[4:5], v[44:45], v[62:63]
	v_add_f64 v[2:3], v[2:3], v[4:5]
	v_mul_f64 v[4:5], v[176:177], v[118:119]
	v_fmac_f64_e32 v[4:5], v[178:179], v[186:187]
	v_add_f64 v[2:3], v[2:3], v[4:5]
	;; [unrolled: 3-line block ×15, first 2 shown]
	v_mul_f64 v[4:5], v[134:135], v[140:141]
	v_fmac_f64_e32 v[4:5], v[136:137], v[142:143]
	ds_read_b128 v[134:137], v138 offset:1584
	v_add_f64 v[4:5], v[160:161], v[4:5]
	v_fma_f64 v[160:161], v[26:27], v[146:147], -v[12:13]
	ds_read_b128 v[144:147], v138 offset:1600
	v_add_f64 v[4:5], v[4:5], v[14:15]
	s_waitcnt lgkmcnt(1)
	v_mul_f64 v[26:27], v[134:135], v[184:185]
	v_fmac_f64_e32 v[26:27], v[136:137], v[188:189]
	ds_read_b128 v[140:143], v138 offset:1616
	v_add_f64 v[4:5], v[4:5], v[26:27]
	s_waitcnt lgkmcnt(1)
	v_mul_f64 v[26:27], v[144:145], v[126:127]
	v_fmac_f64_e32 v[26:27], v[146:147], v[128:129]
	ds_read_b128 v[126:129], v138 offset:1632
	v_add_f64 v[4:5], v[4:5], v[26:27]
	s_waitcnt lgkmcnt(1)
	v_mul_f64 v[26:27], v[140:141], v[6:7]
	v_fmac_f64_e32 v[26:27], v[142:143], v[190:191]
	v_add_f64 v[4:5], v[4:5], v[26:27]
	s_waitcnt lgkmcnt(0)
	v_mul_f64 v[26:27], v[126:127], v[162:163]
	v_fmac_f64_e32 v[26:27], v[128:129], v[182:183]
	s_waitcnt vmcnt(10)
	v_mul_f64 v[110:111], v[122:123], v[10:11]
	v_add_f64 v[4:5], v[4:5], v[26:27]
	s_waitcnt vmcnt(8)
	v_fmac_f64_e32 v[110:111], v[124:125], v[120:121]
	s_waitcnt vmcnt(6)
	v_mul_f64 v[112:113], v[30:31], v[132:133]
	v_add_f64 v[4:5], v[4:5], v[110:111]
	v_fma_f64 v[110:111], v[156:157], v[36:37], -v[34:35]
	ds_read_b128 v[34:37], v138 offset:1680
	buffer_load_dword v157, off, s[0:3], 0 offset:716
	buffer_load_dword v156, off, s[0:3], 0 offset:712
	s_waitcnt vmcnt(6)
	v_fmac_f64_e32 v[112:113], v[32:33], v[20:21]
	v_add_f64 v[112:113], v[4:5], v[112:113]
	buffer_load_dword v163, off, s[0:3], 0 offset:708
	buffer_load_dword v162, off, s[0:3], 0 offset:704
	v_mul_f64 v[4:5], v[166:167], v[38:39]
	v_fma_f64 v[182:183], v[164:165], v[40:41], -v[4:5]
	buffer_load_dword v158, off, s[0:3], 0 offset:744
	buffer_load_dword v26, off, s[0:3], 0 offset:736
	buffer_load_dword v165, off, s[0:3], 0 offset:732
	buffer_load_dword v164, off, s[0:3], 0 offset:728
	buffer_load_dword v167, off, s[0:3], 0 offset:724
	buffer_load_dword v166, off, s[0:3], 0 offset:720
	buffer_load_dword v159, off, s[0:3], 0 offset:748
	buffer_load_dword v27, off, s[0:3], 0 offset:740
	v_mul_f64 v[38:39], v[170:171], v[56:57]
	v_fma_f64 v[22:23], v[168:169], v[58:59], -v[38:39]
	ds_read_b128 v[38:41], v138 offset:1696
	buffer_load_dword v169, off, s[0:3], 0 offset:764
	buffer_load_dword v168, off, s[0:3], 0 offset:760
	;; [unrolled: 1-line block ×8, first 2 shown]
	s_waitcnt vmcnt(22) lgkmcnt(1)
	v_mul_f64 v[8:9], v[34:35], v[148:149]
	s_waitcnt vmcnt(20)
	v_fmac_f64_e32 v[8:9], v[36:37], v[0:1]
	v_add_f64 v[8:9], v[112:113], v[8:9]
	v_mul_f64 v[14:15], v[178:179], v[118:119]
	buffer_load_dword v179, off, s[0:3], 0 offset:796
	buffer_load_dword v178, off, s[0:3], 0 offset:792
	;; [unrolled: 1-line block ×8, first 2 shown]
	v_accvgpr_write_b32 a213, v191
	v_accvgpr_write_b32 a212, v190
	v_fma_f64 v[14:15], v[176:177], v[186:187], -v[14:15]
	buffer_load_dword v176, off, s[0:3], 0 offset:840
	buffer_load_dword v189, off, s[0:3], 0 offset:828
	;; [unrolled: 1-line block ×8, first 2 shown]
	v_mul_f64 v[12:13], v[48:49], v[50:51]
	v_mul_f64 v[44:45], v[44:45], v[60:61]
	v_accvgpr_write_b32 a217, v11
	v_fma_f64 v[16:17], v[46:47], v[104:105], -v[12:13]
	v_fma_f64 v[12:13], v[42:43], v[62:63], -v[44:45]
	v_mul_f64 v[42:43], v[194:195], v[64:65]
	v_accvgpr_write_b32 a216, v10
	v_fma_f64 v[10:11], v[192:193], v[70:71], -v[42:43]
	buffer_load_dword v193, off, s[0:3], 0 offset:860
	buffer_load_dword v192, off, s[0:3], 0 offset:856
	;; [unrolled: 1-line block ×4, first 2 shown]
	v_accvgpr_write_b32 a223, v21
	v_mul_f64 v[42:43], v[202:203], v[208:209]
	v_accvgpr_write_b32 a222, v20
	v_mul_f64 v[20:21], v[198:199], v[248:249]
	v_fma_f64 v[248:249], v[200:201], v[210:211], -v[42:43]
	buffer_load_dword v198, off, s[0:3], 0 offset:872
	buffer_load_dword v200, off, s[0:3], 0 offset:864
	;; [unrolled: 1-line block ×4, first 2 shown]
	v_mul_f64 v[42:43], v[206:207], v[252:253]
	v_fma_f64 v[20:21], v[196:197], v[250:251], -v[20:21]
	v_fma_f64 v[254:255], v[204:205], v[254:255], -v[42:43]
	buffer_load_dword v197, off, s[0:3], 0 offset:908
	buffer_load_dword v203, off, s[0:3], 0 offset:892
	;; [unrolled: 1-line block ×12, first 2 shown]
	ds_read_b128 v[42:45], v138 offset:1712
	v_mul_f64 v[46:47], v[214:215], v[96:97]
	v_fma_f64 v[250:251], v[212:213], v[98:99], -v[46:47]
	v_mul_f64 v[46:47], v[218:219], v[100:101]
	buffer_load_dword v212, off, s[0:3], 0 offset:936
	buffer_load_dword v214, off, s[0:3], 0 offset:928
	buffer_load_dword v213, off, s[0:3], 0 offset:940
	buffer_load_dword v215, off, s[0:3], 0 offset:932
	v_fma_f64 v[6:7], v[216:217], v[102:103], -v[46:47]
	ds_read_b128 v[46:49], v138 offset:1728
	v_fma_f64 v[4:5], v[220:221], v[86:87], -v[54:55]
	ds_read_b128 v[54:57], v138 offset:1760
	ds_read_b128 v[58:61], v138 offset:1776
	v_mul_f64 v[66:67], v[230:231], v[66:67]
	v_fma_f64 v[2:3], v[228:229], v[68:69], -v[66:67]
	ds_read_b128 v[66:69], v138 offset:1808
	v_mul_f64 v[70:71], v[234:235], v[72:73]
	v_fma_f64 v[232:233], v[232:233], v[74:75], -v[70:71]
	ds_read_b128 v[70:73], v138 offset:1824
	ds_read_b128 v[74:77], v138 offset:1840
	v_mul_f64 v[90:91], v[246:247], v[90:91]
	v_fma_f64 v[252:253], v[244:245], v[92:93], -v[90:91]
	v_accvgpr_write_b32 a219, v121
	v_accvgpr_write_b32 a218, v120
	v_add_f64 v[120:121], v[130:131], 0
	v_add_f64 v[120:121], v[120:121], v[160:161]
	;; [unrolled: 1-line block ×9, first 2 shown]
	ds_read_b128 v[90:93], v138 offset:1904
	v_add_f64 v[16:17], v[18:19], v[16:17]
	v_add_f64 v[12:13], v[16:17], v[12:13]
	;; [unrolled: 1-line block ×5, first 2 shown]
	v_accvgpr_write_b32 a221, v133
	v_add_f64 v[10:11], v[10:11], v[248:249]
	v_accvgpr_write_b32 a220, v132
	s_waitcnt vmcnt(58) lgkmcnt(8)
	v_mul_f64 v[50:51], v[38:39], v[156:157]
	v_pk_mov_b32 v[132:133], v[0:1], v[0:1] op_sel:[0,1]
	v_add_f64 v[10:11], v[10:11], v[254:255]
	s_waitcnt vmcnt(56)
	v_fmac_f64_e32 v[50:51], v[40:41], v[162:163]
	v_add_f64 v[8:9], v[8:9], v[50:51]
	v_add_f64 v[10:11], v[10:11], v[250:251]
	s_waitcnt vmcnt(52) lgkmcnt(7)
	v_mul_f64 v[50:51], v[42:43], v[164:165]
	s_waitcnt vmcnt(50)
	v_fmac_f64_e32 v[50:51], v[44:45], v[166:167]
	v_add_f64 v[8:9], v[8:9], v[50:51]
	s_waitcnt vmcnt(49) lgkmcnt(6)
	v_mul_f64 v[50:51], v[46:47], v[158:159]
	s_waitcnt vmcnt(48)
	v_fmac_f64_e32 v[50:51], v[48:49], v[26:27]
	v_add_f64 v[8:9], v[8:9], v[50:51]
	ds_read_b128 v[50:53], v138 offset:1744
	s_waitcnt vmcnt(41) lgkmcnt(6)
	v_mul_f64 v[62:63], v[54:55], v[170:171]
	s_waitcnt vmcnt(40)
	v_fmac_f64_e32 v[62:63], v[56:57], v[174:175]
	s_waitcnt vmcnt(38) lgkmcnt(5)
	v_mul_f64 v[28:29], v[58:59], v[178:179]
	s_waitcnt vmcnt(36)
	v_fmac_f64_e32 v[28:29], v[60:61], v[112:113]
	s_waitcnt lgkmcnt(0)
	v_mul_f64 v[24:25], v[50:51], v[168:169]
	v_fmac_f64_e32 v[24:25], v[52:53], v[172:173]
	v_add_f64 v[8:9], v[8:9], v[24:25]
	v_add_f64 v[8:9], v[8:9], v[62:63]
	ds_read_b128 v[62:65], v138 offset:1792
	v_add_f64 v[8:9], v[8:9], v[28:29]
	v_mul_f64 v[24:25], v[226:227], v[88:89]
	v_fma_f64 v[24:25], v[224:225], v[94:95], -v[24:25]
	v_add_f64 v[6:7], v[10:11], v[6:7]
	s_waitcnt vmcnt(34) lgkmcnt(0)
	v_mul_f64 v[28:29], v[62:63], v[118:119]
	s_waitcnt vmcnt(32)
	v_fmac_f64_e32 v[28:29], v[64:65], v[184:185]
	v_add_f64 v[8:9], v[8:9], v[28:29]
	s_waitcnt vmcnt(29)
	v_mul_f64 v[28:29], v[66:67], v[188:189]
	s_waitcnt vmcnt(27)
	v_fmac_f64_e32 v[28:29], v[68:69], v[190:191]
	v_add_f64 v[8:9], v[8:9], v[28:29]
	s_waitcnt vmcnt(25)
	v_mul_f64 v[28:29], v[70:71], v[176:177]
	s_waitcnt vmcnt(24)
	v_fmac_f64_e32 v[28:29], v[72:73], v[186:187]
	v_add_f64 v[8:9], v[8:9], v[28:29]
	v_mul_f64 v[28:29], v[238:239], v[78:79]
	v_fma_f64 v[28:29], v[236:237], v[80:81], -v[28:29]
	ds_read_b128 v[78:81], v138 offset:1856
	s_waitcnt vmcnt(22)
	v_mul_f64 v[86:87], v[74:75], v[192:193]
	s_waitcnt vmcnt(20)
	v_fmac_f64_e32 v[86:87], v[76:77], v[194:195]
	v_add_f64 v[86:87], v[8:9], v[86:87]
	v_mul_f64 v[8:9], v[242:243], v[82:83]
	v_fma_f64 v[8:9], v[240:241], v[84:85], -v[8:9]
	ds_read_b128 v[82:85], v138 offset:1872
	s_waitcnt vmcnt(17) lgkmcnt(1)
	v_mul_f64 v[88:89], v[78:79], v[198:199]
	s_waitcnt vmcnt(16)
	v_fmac_f64_e32 v[88:89], v[80:81], v[200:201]
	v_add_f64 v[94:95], v[86:87], v[88:89]
	ds_read_b128 v[86:89], v138 offset:1888
	s_waitcnt vmcnt(13) lgkmcnt(1)
	v_mul_f64 v[96:97], v[82:83], v[202:203]
	s_waitcnt vmcnt(11)
	v_fmac_f64_e32 v[96:97], v[84:85], v[208:209]
	v_add_f64 v[94:95], v[94:95], v[96:97]
	v_add_f64 v[4:5], v[6:7], v[4:5]
	s_waitcnt vmcnt(10) lgkmcnt(0)
	v_mul_f64 v[96:97], v[86:87], v[196:197]
	s_waitcnt vmcnt(8)
	v_fmac_f64_e32 v[96:97], v[88:89], v[206:207]
	v_add_f64 v[94:95], v[94:95], v[96:97]
	s_waitcnt vmcnt(6)
	v_mul_f64 v[96:97], v[90:91], v[204:205]
	s_waitcnt vmcnt(4)
	v_fmac_f64_e32 v[96:97], v[92:93], v[210:211]
	v_add_f64 v[98:99], v[94:95], v[96:97]
	ds_read_b128 v[94:97], v138 offset:1920
	buffer_load_dword v217, off, s[0:3], 0 offset:956
	buffer_load_dword v216, off, s[0:3], 0 offset:952
	buffer_load_dword v219, off, s[0:3], 0 offset:948
	buffer_load_dword v218, off, s[0:3], 0 offset:944
	v_add_f64 v[4:5], v[4:5], v[24:25]
	v_add_f64 v[2:3], v[4:5], v[2:3]
	v_add_f64 v[2:3], v[2:3], v[232:233]
	s_waitcnt vmcnt(5) lgkmcnt(0)
	v_mul_f64 v[100:101], v[94:95], v[212:213]
	s_waitcnt vmcnt(4)
	v_fmac_f64_e32 v[100:101], v[96:97], v[214:215]
	v_add_f64 v[102:103], v[98:99], v[100:101]
	ds_read_b128 v[98:101], v138 offset:1936
	buffer_load_dword v220, off, s[0:3], 0 offset:968
	buffer_load_dword v221, off, s[0:3], 0 offset:972
	buffer_load_dword v222, off, s[0:3], 0 offset:960
	buffer_load_dword v223, off, s[0:3], 0 offset:964
	v_add_f64 v[254:255], v[2:3], v[28:29]
	v_add_f64 v[2:3], v[254:255], v[8:9]
	v_accvgpr_read_b32 v4, a190
	v_accvgpr_read_b32 v8, a224
	v_accvgpr_read_b32 v5, a191
	v_accvgpr_read_b32 v10, a226
	v_accvgpr_read_b32 v11, a227
	v_accvgpr_read_b32 v6, a192
	v_accvgpr_read_b32 v9, a225
	v_mul_f64 v[4:5], v[10:11], v[4:5]
	v_accvgpr_read_b32 v7, a193
	v_add_f64 v[2:3], v[2:3], v[252:253]
	v_fma_f64 v[4:5], v[8:9], v[6:7], -v[4:5]
	v_add_f64 v[2:3], v[2:3], v[4:5]
	v_accvgpr_read_b32 v6, a194
	v_accvgpr_read_b32 v4, a198
	;; [unrolled: 1-line block ×5, first 2 shown]
	v_mul_f64 v[4:5], v[8:9], v[4:5]
	v_accvgpr_read_b32 v8, a200
	v_accvgpr_read_b32 v7, a195
	;; [unrolled: 1-line block ×3, first 2 shown]
	v_fma_f64 v[4:5], v[6:7], v[8:9], -v[4:5]
	v_accvgpr_read_b32 v6, a202
	v_add_f64 v[2:3], v[2:3], v[4:5]
	v_mul_f64 v[4:5], v[136:137], v[154:155]
	v_accvgpr_read_b32 v7, a203
	v_fma_f64 v[4:5], v[134:135], v[6:7], -v[4:5]
	v_add_f64 v[2:3], v[2:3], v[4:5]
	v_accvgpr_read_b32 v4, a204
	v_accvgpr_read_b32 v5, a205
	v_accvgpr_read_b32 v6, a206
	v_mul_f64 v[4:5], v[146:147], v[4:5]
	v_accvgpr_read_b32 v7, a207
	v_fma_f64 v[4:5], v[144:145], v[6:7], -v[4:5]
	v_add_f64 v[2:3], v[2:3], v[4:5]
	v_accvgpr_read_b32 v4, a214
	v_accvgpr_read_b32 v5, a215
	v_accvgpr_read_b32 v6, a212
	;; [unrolled: 7-line block ×5, first 2 shown]
	v_mul_f64 v[4:5], v[32:33], v[4:5]
	v_accvgpr_read_b32 v7, a223
	v_fma_f64 v[4:5], v[30:31], v[6:7], -v[4:5]
	v_add_f64 v[2:3], v[2:3], v[4:5]
	v_mul_f64 v[4:5], v[36:37], v[148:149]
	v_fma_f64 v[4:5], v[34:35], v[132:133], -v[4:5]
	v_add_f64 v[2:3], v[2:3], v[4:5]
	v_mul_f64 v[4:5], v[40:41], v[156:157]
	s_waitcnt vmcnt(6) lgkmcnt(0)
	v_mul_f64 v[104:105], v[98:99], v[216:217]
	v_fma_f64 v[4:5], v[38:39], v[162:163], -v[4:5]
	s_waitcnt vmcnt(4)
	v_fmac_f64_e32 v[104:105], v[100:101], v[218:219]
	v_add_f64 v[114:115], v[102:103], v[104:105]
	ds_read_b128 v[102:105], v138 offset:1952
	buffer_load_dword v225, off, s[0:3], 0 offset:988
	buffer_load_dword v224, off, s[0:3], 0 offset:984
	buffer_load_dword v227, off, s[0:3], 0 offset:980
	buffer_load_dword v226, off, s[0:3], 0 offset:976
	ds_read_b128 v[236:239], v138 offset:1968
	buffer_load_dword v228, off, s[0:3], 0 offset:1000
	buffer_load_dword v229, off, s[0:3], 0 offset:1004
	buffer_load_dword v230, off, s[0:3], 0 offset:992
	buffer_load_dword v231, off, s[0:3], 0 offset:996
	;; [unrolled: 5-line block ×3, first 2 shown]
	s_waitcnt vmcnt(14) lgkmcnt(2)
	v_mul_f64 v[116:117], v[102:103], v[220:221]
	s_waitcnt vmcnt(12)
	v_fmac_f64_e32 v[116:117], v[104:105], v[222:223]
	v_add_f64 v[114:115], v[114:115], v[116:117]
	v_add_f64 v[2:3], v[2:3], v[4:5]
	v_mul_f64 v[4:5], v[44:45], v[164:165]
	v_fma_f64 v[4:5], v[42:43], v[166:167], -v[4:5]
	v_add_f64 v[2:3], v[2:3], v[4:5]
	v_mul_f64 v[4:5], v[48:49], v[158:159]
	v_fma_f64 v[4:5], v[46:47], v[26:27], -v[4:5]
	;; [unrolled: 3-line block ×16, first 2 shown]
	v_add_f64 v[2:3], v[2:3], v[4:5]
	s_waitcnt vmcnt(10) lgkmcnt(1)
	v_mul_f64 v[116:117], v[236:237], v[224:225]
	v_mul_f64 v[4:5], v[238:239], v[224:225]
	s_waitcnt vmcnt(8)
	v_fmac_f64_e32 v[116:117], v[238:239], v[226:227]
	v_add_f64 v[114:115], v[114:115], v[116:117]
	s_waitcnt vmcnt(6) lgkmcnt(0)
	v_mul_f64 v[116:117], v[240:241], v[228:229]
	s_waitcnt vmcnt(4)
	v_fmac_f64_e32 v[116:117], v[242:243], v[230:231]
	v_add_f64 v[246:247], v[114:115], v[116:117]
	ds_read_b128 v[114:117], v138 offset:2000
	v_fma_f64 v[4:5], v[236:237], v[226:227], -v[4:5]
	v_add_f64 v[2:3], v[2:3], v[4:5]
	v_mul_f64 v[4:5], v[242:243], v[228:229]
	v_fma_f64 v[4:5], v[240:241], v[230:231], -v[4:5]
	s_waitcnt vmcnt(2) lgkmcnt(0)
	v_mul_f64 v[0:1], v[114:115], v[234:235]
	s_waitcnt vmcnt(0)
	v_fmac_f64_e32 v[0:1], v[116:117], v[244:245]
	v_add_f64 v[0:1], v[246:247], v[0:1]
	buffer_load_dword v248, off, s[0:3], 0 offset:144
	buffer_load_dword v249, off, s[0:3], 0 offset:148
	;; [unrolled: 1-line block ×4, first 2 shown]
	v_add_f64 v[2:3], v[2:3], v[4:5]
	v_mul_f64 v[4:5], v[116:117], v[234:235]
	v_fma_f64 v[4:5], v[114:115], v[244:245], -v[4:5]
	v_add_f64 v[2:3], v[2:3], v[4:5]
	s_waitcnt vmcnt(2)
	v_add_f64 v[2:3], v[248:249], -v[2:3]
	s_waitcnt vmcnt(0)
	v_add_f64 v[0:1], v[246:247], -v[0:1]
	buffer_store_dword v3, off, s[0:3], 0 offset:148
	buffer_store_dword v2, off, s[0:3], 0 offset:144
	;; [unrolled: 1-line block ×4, first 2 shown]
	v_accvgpr_read_b32 v0, a188
	v_cmp_lt_u32_e32 vcc, 7, v0
	s_and_saveexec_b64 s[4:5], vcc
	s_cbranch_execz .LBB62_389
; %bb.388:
	v_accvgpr_read_b32 v0, a181
	buffer_load_dword v2, v0, s[0:3], 0 offen
	buffer_load_dword v3, v0, s[0:3], 0 offen offset:4
	buffer_load_dword v4, v0, s[0:3], 0 offen offset:8
	;; [unrolled: 1-line block ×3, first 2 shown]
	v_mov_b32_e32 v0, 0
	v_accvgpr_read_b32 v1, a189
	buffer_store_dword v0, off, s[0:3], 0 offset:128
	buffer_store_dword v0, off, s[0:3], 0 offset:132
	;; [unrolled: 1-line block ×4, first 2 shown]
	s_waitcnt vmcnt(4)
	ds_write_b128 v1, v[2:5]
.LBB62_389:
	s_or_b64 exec, exec, s[4:5]
	s_waitcnt lgkmcnt(0)
	; wave barrier
	s_waitcnt lgkmcnt(0)
	buffer_load_dword v2, off, s[0:3], 0 offset:144
	buffer_load_dword v3, off, s[0:3], 0 offset:148
	;; [unrolled: 1-line block ×42, first 2 shown]
	v_mov_b32_e32 v92, 0
	buffer_load_dword v83, off, s[0:3], 0 offset:292
	buffer_load_dword v82, off, s[0:3], 0 offset:288
	buffer_load_dword v55, off, s[0:3], 0 offset:348
	buffer_load_dword v54, off, s[0:3], 0 offset:344
	buffer_load_dword v53, off, s[0:3], 0 offset:340
	buffer_load_dword v52, off, s[0:3], 0 offset:336
	buffer_load_dword v73, off, s[0:3], 0 offset:332
	ds_read_b128 v[10:13], v92 offset:1136
	ds_read_b128 v[22:25], v92 offset:1152
	;; [unrolled: 1-line block ×11, first 2 shown]
	s_waitcnt vmcnt(45) lgkmcnt(10)
	v_mul_f64 v[56:57], v[10:11], v[4:5]
	v_fmac_f64_e32 v[56:57], v[12:13], v[2:3]
	v_add_f64 v[56:57], v[56:57], 0
	v_mul_f64 v[4:5], v[12:13], v[4:5]
	s_waitcnt vmcnt(41) lgkmcnt(9)
	v_mul_f64 v[58:59], v[22:23], v[8:9]
	v_fmac_f64_e32 v[58:59], v[24:25], v[138:139]
	s_waitcnt vmcnt(39) lgkmcnt(8)
	v_mul_f64 v[60:61], v[98:99], v[14:15]
	v_add_f64 v[56:57], v[56:57], v[58:59]
	s_waitcnt vmcnt(37) lgkmcnt(6)
	v_mul_f64 v[64:65], v[106:107], v[26:27]
	v_fma_f64 v[136:137], v[10:11], v[2:3], -v[4:5]
	s_waitcnt vmcnt(35)
	v_fmac_f64_e32 v[64:65], v[108:109], v[28:29]
	v_mul_f64 v[8:9], v[24:25], v[8:9]
	s_waitcnt vmcnt(33)
	v_mul_f64 v[62:63], v[102:103], v[18:19]
	v_mul_f64 v[14:15], v[100:101], v[14:15]
	s_waitcnt vmcnt(31) lgkmcnt(4)
	v_mul_f64 v[68:69], v[114:115], v[34:35]
	v_mul_f64 v[18:19], v[104:105], v[18:19]
	s_waitcnt vmcnt(29)
	v_fmac_f64_e32 v[68:69], v[116:117], v[36:37]
	v_mul_f64 v[26:27], v[108:109], v[26:27]
	s_waitcnt vmcnt(27)
	v_mul_f64 v[66:67], v[110:111], v[30:31]
	v_mul_f64 v[34:35], v[116:117], v[34:35]
	s_waitcnt vmcnt(25) lgkmcnt(2)
	v_mul_f64 v[74:75], v[166:167], v[38:39]
	s_waitcnt vmcnt(22)
	v_mul_f64 v[70:71], v[162:163], v[44:45]
	s_waitcnt vmcnt(20) lgkmcnt(1)
	v_mul_f64 v[118:119], v[172:173], v[42:43]
	s_waitcnt vmcnt(18)
	v_fmac_f64_e32 v[60:61], v[100:101], v[16:17]
	v_add_f64 v[56:57], v[56:57], v[60:61]
	s_waitcnt vmcnt(16)
	v_fmac_f64_e32 v[62:63], v[104:105], v[20:21]
	v_add_f64 v[56:57], v[56:57], v[62:63]
	;; [unrolled: 3-line block ×3, first 2 shown]
	v_add_f64 v[56:57], v[56:57], v[66:67]
	s_waitcnt vmcnt(12)
	v_fmac_f64_e32 v[70:71], v[164:165], v[46:47]
	v_add_f64 v[56:57], v[56:57], v[68:69]
	s_waitcnt vmcnt(11)
	v_fmac_f64_e32 v[74:75], v[168:169], v[40:41]
	v_add_f64 v[56:57], v[56:57], v[70:71]
	v_add_f64 v[140:141], v[56:57], v[74:75]
	buffer_load_dword v72, off, s[0:3], 0 offset:328
	buffer_load_dword v201, off, s[0:3], 0 offset:324
	;; [unrolled: 1-line block ×53, first 2 shown]
	s_waitcnt vmcnt(58)
	v_fmac_f64_e32 v[118:119], v[174:175], v[82:83]
	v_add_f64 v[118:119], v[140:141], v[118:119]
	s_waitcnt lgkmcnt(0)
	v_mul_f64 v[140:141], v[176:177], v[48:49]
	v_fmac_f64_e32 v[140:141], v[178:179], v[50:51]
	v_add_f64 v[118:119], v[118:119], v[140:141]
	v_fma_f64 v[100:101], v[106:107], v[28:29], -v[26:27]
	s_waitcnt vmcnt(0)
	v_pk_mov_b32 v[142:143], v[0:1], v[0:1] op_sel:[0,1]
	buffer_load_dword v1, off, s[0:3], 0 offset:564
	buffer_load_dword v0, off, s[0:3], 0 offset:560
	;; [unrolled: 1-line block ×8, first 2 shown]
	v_accvgpr_write_b32 a195, v143
	v_accvgpr_write_b32 a194, v142
	s_waitcnt vmcnt(6)
	v_pk_mov_b32 v[150:151], v[0:1], v[0:1] op_sel:[0,1]
	s_waitcnt vmcnt(0)
	v_pk_mov_b32 v[122:123], v[120:121], v[120:121] op_sel:[0,1]
	buffer_load_dword v121, off, s[0:3], 0 offset:596
	buffer_load_dword v120, off, s[0:3], 0 offset:592
	v_accvgpr_write_b32 a197, v151
	v_accvgpr_write_b32 a196, v150
	;; [unrolled: 1-line block ×4, first 2 shown]
	s_waitcnt vmcnt(0)
	v_pk_mov_b32 v[124:125], v[120:121], v[120:121] op_sel:[0,1]
	buffer_load_dword v121, off, s[0:3], 0 offset:588
	buffer_load_dword v120, off, s[0:3], 0 offset:584
	v_accvgpr_write_b32 a213, v125
	v_accvgpr_write_b32 a212, v124
	s_waitcnt vmcnt(0)
	v_pk_mov_b32 v[130:131], v[120:121], v[120:121] op_sel:[0,1]
	buffer_load_dword v121, off, s[0:3], 0 offset:580
	buffer_load_dword v120, off, s[0:3], 0 offset:576
	v_accvgpr_write_b32 a203, v131
	v_accvgpr_write_b32 a202, v130
	;; [unrolled: 6-line block ×5, first 2 shown]
	s_waitcnt vmcnt(0)
	v_pk_mov_b32 v[134:135], v[120:121], v[120:121] op_sel:[0,1]
	buffer_load_dword v121, off, s[0:3], 0 offset:612
	buffer_load_dword v120, off, s[0:3], 0 offset:608
	ds_read_b128 v[180:183], v92 offset:1312
	ds_read_b128 v[184:187], v92 offset:1328
	;; [unrolled: 1-line block ×7, first 2 shown]
	s_waitcnt lgkmcnt(6)
	v_mul_f64 v[140:141], v[180:181], v[72:73]
	v_fmac_f64_e32 v[140:141], v[182:183], v[200:201]
	v_add_f64 v[118:119], v[118:119], v[140:141]
	s_waitcnt lgkmcnt(5)
	v_mul_f64 v[140:141], v[184:185], v[54:55]
	v_fmac_f64_e32 v[140:141], v[186:187], v[52:53]
	v_add_f64 v[118:119], v[118:119], v[140:141]
	;; [unrolled: 4-line block ×4, first 2 shown]
	s_waitcnt lgkmcnt(2)
	v_mul_f64 v[140:141], v[196:197], v[252:253]
	v_fmac_f64_e32 v[140:141], v[198:199], v[254:255]
	s_waitcnt lgkmcnt(1)
	v_mul_f64 v[144:145], v[206:207], v[250:251]
	v_add_f64 v[118:119], v[118:119], v[140:141]
	v_fmac_f64_e32 v[144:145], v[208:209], v[96:97]
	s_waitcnt lgkmcnt(0)
	v_mul_f64 v[146:147], v[212:213], v[84:85]
	v_add_f64 v[118:119], v[118:119], v[144:145]
	v_fmac_f64_e32 v[146:147], v[214:215], v[94:95]
	v_add_f64 v[118:119], v[118:119], v[146:147]
	v_accvgpr_write_b32 a219, v135
	v_accvgpr_write_b32 a218, v134
	s_waitcnt vmcnt(0)
	v_pk_mov_b32 v[154:155], v[120:121], v[120:121] op_sel:[0,1]
	buffer_load_dword v121, off, s[0:3], 0 offset:652
	buffer_load_dword v120, off, s[0:3], 0 offset:648
	v_accvgpr_write_b32 a221, v155
	v_accvgpr_write_b32 a220, v154
	s_waitcnt vmcnt(0)
	v_pk_mov_b32 v[156:157], v[120:121], v[120:121] op_sel:[0,1]
	buffer_load_dword v121, off, s[0:3], 0 offset:644
	buffer_load_dword v120, off, s[0:3], 0 offset:640
	ds_read_b128 v[216:219], v92 offset:1424
	v_accvgpr_write_b32 a223, v157
	v_accvgpr_write_b32 a222, v156
	s_waitcnt lgkmcnt(0)
	v_mul_f64 v[148:149], v[216:217], v[56:57]
	v_fmac_f64_e32 v[148:149], v[218:219], v[58:59]
	v_add_f64 v[118:119], v[118:119], v[148:149]
	s_waitcnt vmcnt(0)
	v_pk_mov_b32 v[158:159], v[120:121], v[120:121] op_sel:[0,1]
	buffer_load_dword v120, off, s[0:3], 0 offset:664
	buffer_load_dword v121, off, s[0:3], 0 offset:668
	v_accvgpr_write_b32 a225, v159
	v_accvgpr_write_b32 a224, v158
	s_waitcnt vmcnt(0)
	v_pk_mov_b32 v[160:161], v[120:121], v[120:121] op_sel:[0,1]
	buffer_load_dword v120, off, s[0:3], 0 offset:656
	buffer_load_dword v121, off, s[0:3], 0 offset:660
	ds_read_b128 v[220:223], v92 offset:1440
	ds_read_b128 v[224:227], v92 offset:1456
	;; [unrolled: 1-line block ×4, first 2 shown]
	v_accvgpr_write_b32 a227, v161
	s_waitcnt lgkmcnt(3)
	v_mul_f64 v[148:149], v[220:221], v[60:61]
	v_fmac_f64_e32 v[148:149], v[222:223], v[70:71]
	v_add_f64 v[118:119], v[118:119], v[148:149]
	s_waitcnt lgkmcnt(2)
	v_mul_f64 v[148:149], v[224:225], v[62:63]
	v_fmac_f64_e32 v[148:149], v[226:227], v[64:65]
	s_waitcnt lgkmcnt(1)
	v_mul_f64 v[152:153], v[228:229], v[66:67]
	v_add_f64 v[118:119], v[118:119], v[148:149]
	v_fmac_f64_e32 v[152:153], v[230:231], v[68:69]
	v_add_f64 v[118:119], v[118:119], v[152:153]
	s_waitcnt lgkmcnt(0)
	v_mul_f64 v[152:153], v[232:233], v[74:75]
	v_fmac_f64_e32 v[152:153], v[234:235], v[76:77]
	v_add_f64 v[118:119], v[118:119], v[152:153]
	v_accvgpr_write_b32 a226, v160
	v_mul_f64 v[66:67], v[230:231], v[66:67]
	s_waitcnt vmcnt(0)
	v_pk_mov_b32 v[170:171], v[120:121], v[120:121] op_sel:[0,1]
	buffer_load_dword v1, off, s[0:3], 0 offset:684
	buffer_load_dword v0, off, s[0:3], 0 offset:680
	;; [unrolled: 1-line block ×4, first 2 shown]
	ds_read_b128 v[236:239], v92 offset:1504
	ds_read_b128 v[240:243], v92 offset:1520
	;; [unrolled: 1-line block ×5, first 2 shown]
	s_waitcnt lgkmcnt(4)
	v_mul_f64 v[152:153], v[236:237], v[78:79]
	v_fmac_f64_e32 v[152:153], v[238:239], v[80:81]
	v_add_f64 v[118:119], v[118:119], v[152:153]
	s_waitcnt lgkmcnt(3)
	v_mul_f64 v[152:153], v[240:241], v[86:87]
	v_fmac_f64_e32 v[152:153], v[242:243], v[88:89]
	s_waitcnt lgkmcnt(2)
	v_mul_f64 v[4:5], v[244:245], v[90:91]
	v_add_f64 v[118:119], v[118:119], v[152:153]
	v_fmac_f64_e32 v[4:5], v[246:247], v[6:7]
	v_add_f64 v[4:5], v[118:119], v[4:5]
	v_fma_f64 v[118:119], v[22:23], v[138:139], -v[8:9]
	s_waitcnt lgkmcnt(1)
	v_pk_mov_b32 v[24:25], v[12:13], v[12:13] op_sel:[0,1]
	v_pk_mov_b32 v[22:23], v[10:11], v[10:11] op_sel:[0,1]
	ds_read_b128 v[138:141], v92 offset:1568
	v_mul_f64 v[10:11], v[22:23], v[142:143]
	v_fmac_f64_e32 v[10:11], v[24:25], v[150:151]
	v_add_f64 v[4:5], v[4:5], v[10:11]
	ds_read_b128 v[8:11], v92 offset:1584
	v_accvgpr_write_b32 a193, v25
	ds_read_b128 v[148:151], v92 offset:1600
	v_accvgpr_write_b32 a192, v24
	v_accvgpr_write_b32 a191, v23
	;; [unrolled: 1-line block ×3, first 2 shown]
	s_waitcnt lgkmcnt(2)
	v_mul_f64 v[22:23], v[138:139], v[130:131]
	v_fmac_f64_e32 v[22:23], v[140:141], v[132:133]
	v_accvgpr_write_b32 a201, v141
	v_accvgpr_write_b32 a200, v140
	;; [unrolled: 1-line block ×4, first 2 shown]
	v_add_f64 v[4:5], v[4:5], v[22:23]
	s_waitcnt lgkmcnt(1)
	v_mul_f64 v[22:23], v[8:9], v[122:123]
	ds_read_b128 v[140:143], v92 offset:1632
	ds_read_b128 v[130:133], v92 offset:1648
	v_fmac_f64_e32 v[22:23], v[10:11], v[124:125]
	v_add_f64 v[4:5], v[4:5], v[22:23]
	s_waitcnt lgkmcnt(2)
	v_mul_f64 v[22:23], v[148:149], v[134:135]
	v_fmac_f64_e32 v[22:23], v[150:151], v[154:155]
	v_add_f64 v[4:5], v[4:5], v[22:23]
	v_mul_f64 v[22:23], v[144:145], v[126:127]
	v_fma_f64 v[152:153], v[98:99], v[16:17], -v[14:15]
	v_fma_f64 v[98:99], v[102:103], v[20:21], -v[18:19]
	v_fmac_f64_e32 v[22:23], v[146:147], v[128:129]
	s_waitcnt lgkmcnt(1)
	v_mul_f64 v[102:103], v[140:141], v[156:157]
	ds_read_b128 v[124:127], v92 offset:1664
	buffer_load_dword v129, off, s[0:3], 0 offset:700
	buffer_load_dword v128, off, s[0:3], 0 offset:696
	v_fmac_f64_e32 v[102:103], v[142:143], v[158:159]
	buffer_load_dword v159, off, s[0:3], 0 offset:692
	buffer_load_dword v158, off, s[0:3], 0 offset:688
	s_waitcnt lgkmcnt(1)
	v_mul_f64 v[106:107], v[130:131], v[160:161]
	buffer_load_dword v138, off, s[0:3], 0 offset:728
	buffer_load_dword v122, off, s[0:3], 0 offset:720
	;; [unrolled: 1-line block ×4, first 2 shown]
	v_accvgpr_write_b32 a209, v11
	v_accvgpr_write_b32 a208, v10
	;; [unrolled: 1-line block ×4, first 2 shown]
	v_mul_f64 v[10:11], v[164:165], v[44:45]
	buffer_load_dword v165, off, s[0:3], 0 offset:708
	buffer_load_dword v164, off, s[0:3], 0 offset:704
	;; [unrolled: 1-line block ×4, first 2 shown]
	v_add_f64 v[4:5], v[4:5], v[22:23]
	v_add_f64 v[102:103], v[4:5], v[102:103]
	v_mul_f64 v[4:5], v[112:113], v[30:31]
	v_accvgpr_write_b32 a229, v171
	v_fma_f64 v[30:31], v[114:115], v[36:37], -v[34:35]
	v_mul_f64 v[34:35], v[168:169], v[38:39]
	v_fmac_f64_e32 v[106:107], v[132:133], v[170:171]
	v_accvgpr_write_b32 a228, v170
	v_fma_f64 v[26:27], v[162:163], v[46:47], -v[10:11]
	v_fma_f64 v[22:23], v[166:167], v[40:41], -v[34:35]
	buffer_load_dword v162, off, s[0:3], 0 offset:760
	buffer_load_dword v167, off, s[0:3], 0 offset:748
	;; [unrolled: 1-line block ×8, first 2 shown]
	v_mul_f64 v[8:9], v[174:175], v[42:43]
	v_mul_f64 v[34:35], v[178:179], v[48:49]
	v_fma_f64 v[18:19], v[172:173], v[82:83], -v[8:9]
	v_fma_f64 v[14:15], v[176:177], v[50:51], -v[34:35]
	v_mul_f64 v[16:17], v[182:183], v[72:73]
	buffer_load_dword v173, off, s[0:3], 0 offset:796
	buffer_load_dword v177, off, s[0:3], 0 offset:780
	;; [unrolled: 1-line block ×6, first 2 shown]
	v_fma_f64 v[16:17], v[180:181], v[200:201], -v[16:17]
	buffer_load_dword v181, off, s[0:3], 0 offset:788
	buffer_load_dword v180, off, s[0:3], 0 offset:784
	v_mul_f64 v[34:35], v[186:187], v[54:55]
	v_fma_f64 v[200:201], v[184:185], v[52:53], -v[34:35]
	buffer_load_dword v174, off, s[0:3], 0 offset:824
	buffer_load_dword v185, off, s[0:3], 0 offset:812
	;; [unrolled: 1-line block ×8, first 2 shown]
	v_mul_f64 v[42:43], v[190:191], v[210:211]
	ds_read_b128 v[38:41], v92 offset:1680
	ds_read_b128 v[34:37], v92 offset:1696
	v_fma_f64 v[248:249], v[188:189], v[248:249], -v[42:43]
	buffer_load_dword v189, off, s[0:3], 0 offset:844
	buffer_load_dword v188, off, s[0:3], 0 offset:840
	;; [unrolled: 1-line block ×4, first 2 shown]
	v_mul_f64 v[42:43], v[194:195], v[202:203]
	v_fma_f64 v[12:13], v[192:193], v[204:205], -v[42:43]
	buffer_load_dword v192, off, s[0:3], 0 offset:856
	buffer_load_dword v194, off, s[0:3], 0 offset:848
	buffer_load_dword v193, off, s[0:3], 0 offset:860
	buffer_load_dword v195, off, s[0:3], 0 offset:852
	v_mul_f64 v[42:43], v[198:199], v[252:253]
	v_fma_f64 v[252:253], v[196:197], v[254:255], -v[42:43]
	buffer_load_dword v199, off, s[0:3], 0 offset:876
	buffer_load_dword v198, off, s[0:3], 0 offset:872
	;; [unrolled: 1-line block ×8, first 2 shown]
	v_mul_f64 v[42:43], v[208:209], v[250:251]
	v_fma_f64 v[250:251], v[206:207], v[96:97], -v[42:43]
	buffer_load_dword v196, off, s[0:3], 0 offset:920
	buffer_load_dword v209, off, s[0:3], 0 offset:908
	;; [unrolled: 1-line block ×8, first 2 shown]
	s_waitcnt vmcnt(62) lgkmcnt(2)
	v_mul_f64 v[44:45], v[124:125], v[0:1]
	v_add_f64 v[102:103], v[102:103], v[106:107]
	s_waitcnt vmcnt(60)
	v_fmac_f64_e32 v[44:45], v[126:127], v[120:121]
	v_mul_f64 v[42:43], v[214:215], v[84:85]
	v_add_f64 v[46:47], v[102:103], v[44:45]
	v_fma_f64 v[10:11], v[212:213], v[94:95], -v[42:43]
	ds_read_b128 v[42:45], v92 offset:1712
	v_mul_f64 v[50:51], v[218:219], v[56:57]
	v_fma_f64 v[102:103], v[216:217], v[58:59], -v[50:51]
	ds_read_b128 v[50:53], v92 offset:1744
	v_fma_f64 v[134:135], v[228:229], v[68:69], -v[66:67]
	ds_read_b128 v[66:69], v92 offset:1808
	v_mul_f64 v[78:79], v[238:239], v[78:79]
	v_fma_f64 v[104:105], v[110:111], v[32:33], -v[4:5]
	v_fma_f64 v[4:5], v[236:237], v[80:81], -v[78:79]
	ds_read_b128 v[78:81], v92 offset:1856
	v_mul_f64 v[86:87], v[242:243], v[86:87]
	v_fma_f64 v[2:3], v[240:241], v[88:89], -v[86:87]
	ds_read_b128 v[154:157], v92 offset:1904
	ds_read_b128 v[86:89], v92 offset:1888
	s_waitcnt vmcnt(58) lgkmcnt(7)
	v_mul_f64 v[48:49], v[38:39], v[128:129]
	s_waitcnt vmcnt(56)
	v_fmac_f64_e32 v[48:49], v[40:41], v[158:159]
	v_add_f64 v[20:21], v[46:47], v[48:49]
	s_waitcnt vmcnt(52) lgkmcnt(6)
	v_mul_f64 v[46:47], v[34:35], v[160:161]
	s_waitcnt vmcnt(50)
	v_fmac_f64_e32 v[46:47], v[36:37], v[164:165]
	v_add_f64 v[20:21], v[20:21], v[46:47]
	;; [unrolled: 5-line block ×3, first 2 shown]
	ds_read_b128 v[46:49], v92 offset:1728
	s_waitcnt vmcnt(45) lgkmcnt(0)
	v_mul_f64 v[54:55], v[46:47], v[166:167]
	s_waitcnt vmcnt(43)
	v_fmac_f64_e32 v[54:55], v[48:49], v[170:171]
	v_add_f64 v[20:21], v[20:21], v[54:55]
	v_mul_f64 v[54:55], v[222:223], v[60:61]
	v_fma_f64 v[8:9], v[220:221], v[70:71], -v[54:55]
	ds_read_b128 v[54:57], v92 offset:1760
	ds_read_b128 v[58:61], v92 offset:1776
	s_waitcnt vmcnt(41)
	v_mul_f64 v[24:25], v[50:51], v[162:163]
	s_waitcnt vmcnt(40)
	v_fmac_f64_e32 v[24:25], v[52:53], v[168:169]
	v_add_f64 v[20:21], v[20:21], v[24:25]
	v_mul_f64 v[24:25], v[226:227], v[62:63]
	v_fma_f64 v[24:25], v[224:225], v[64:65], -v[24:25]
	ds_read_b128 v[62:65], v92 offset:1792
	s_waitcnt vmcnt(37) lgkmcnt(2)
	v_mul_f64 v[70:71], v[54:55], v[176:177]
	s_waitcnt vmcnt(35)
	v_fmac_f64_e32 v[70:71], v[56:57], v[178:179]
	v_add_f64 v[20:21], v[20:21], v[70:71]
	s_waitcnt vmcnt(34) lgkmcnt(1)
	v_mul_f64 v[70:71], v[58:59], v[172:173]
	s_waitcnt vmcnt(32)
	v_fmac_f64_e32 v[70:71], v[60:61], v[180:181]
	v_add_f64 v[20:21], v[20:21], v[70:71]
	ds_read_b128 v[70:73], v92 offset:1824
	s_waitcnt vmcnt(29) lgkmcnt(1)
	v_mul_f64 v[28:29], v[62:63], v[184:185]
	s_waitcnt vmcnt(27)
	v_fmac_f64_e32 v[28:29], v[64:65], v[186:187]
	v_add_f64 v[20:21], v[20:21], v[28:29]
	s_waitcnt vmcnt(25)
	v_mul_f64 v[28:29], v[66:67], v[174:175]
	s_waitcnt vmcnt(24)
	v_fmac_f64_e32 v[28:29], v[68:69], v[182:183]
	v_add_f64 v[20:21], v[20:21], v[28:29]
	v_mul_f64 v[28:29], v[234:235], v[74:75]
	v_fma_f64 v[28:29], v[232:233], v[76:77], -v[28:29]
	ds_read_b128 v[74:77], v92 offset:1840
	s_waitcnt vmcnt(22) lgkmcnt(1)
	v_mul_f64 v[82:83], v[70:71], v[188:189]
	s_waitcnt vmcnt(20)
	v_fmac_f64_e32 v[82:83], v[72:73], v[190:191]
	v_add_f64 v[20:21], v[20:21], v[82:83]
	s_waitcnt vmcnt(14)
	v_mul_f64 v[32:33], v[78:79], v[198:199]
	s_waitcnt lgkmcnt(0)
	v_mul_f64 v[82:83], v[74:75], v[192:193]
	v_fmac_f64_e32 v[82:83], v[76:77], v[194:195]
	v_add_f64 v[20:21], v[20:21], v[82:83]
	ds_read_b128 v[82:85], v92 offset:1872
	s_waitcnt vmcnt(12)
	v_fmac_f64_e32 v[32:33], v[80:81], v[202:203]
	v_add_f64 v[32:33], v[20:21], v[32:33]
	buffer_load_dword v213, off, s[0:3], 0 offset:940
	buffer_load_dword v212, off, s[0:3], 0 offset:936
	;; [unrolled: 1-line block ×4, first 2 shown]
	v_mul_f64 v[20:21], v[246:247], v[90:91]
	s_waitcnt vmcnt(14) lgkmcnt(0)
	v_mul_f64 v[94:95], v[82:83], v[254:255]
	s_waitcnt vmcnt(12)
	v_fmac_f64_e32 v[94:95], v[84:85], v[204:205]
	v_add_f64 v[32:33], v[32:33], v[94:95]
	s_waitcnt vmcnt(9)
	v_mul_f64 v[94:95], v[86:87], v[208:209]
	s_waitcnt vmcnt(7)
	v_fmac_f64_e32 v[94:95], v[88:89], v[210:211]
	v_add_f64 v[32:33], v[32:33], v[94:95]
	s_waitcnt vmcnt(5)
	v_mul_f64 v[94:95], v[154:155], v[196:197]
	s_waitcnt vmcnt(4)
	v_fmac_f64_e32 v[94:95], v[156:157], v[206:207]
	v_add_f64 v[32:33], v[32:33], v[94:95]
	ds_read_b128 v[94:97], v92 offset:1920
	buffer_load_dword v216, off, s[0:3], 0 offset:952
	buffer_load_dword v217, off, s[0:3], 0 offset:956
	buffer_load_dword v218, off, s[0:3], 0 offset:944
	buffer_load_dword v219, off, s[0:3], 0 offset:948
	ds_read_b128 v[236:239], v92 offset:1936
	buffer_load_dword v221, off, s[0:3], 0 offset:972
	buffer_load_dword v220, off, s[0:3], 0 offset:968
	buffer_load_dword v223, off, s[0:3], 0 offset:964
	buffer_load_dword v222, off, s[0:3], 0 offset:960
	;; [unrolled: 5-line block ×3, first 2 shown]
	v_fma_f64 v[20:21], v[244:245], v[6:7], -v[20:21]
	s_waitcnt vmcnt(14) lgkmcnt(2)
	v_mul_f64 v[106:107], v[94:95], v[212:213]
	s_waitcnt vmcnt(12)
	v_fmac_f64_e32 v[106:107], v[96:97], v[214:215]
	v_add_f64 v[32:33], v[32:33], v[106:107]
	s_waitcnt vmcnt(10) lgkmcnt(1)
	v_mul_f64 v[106:107], v[236:237], v[216:217]
	s_waitcnt vmcnt(8)
	v_fmac_f64_e32 v[106:107], v[238:239], v[218:219]
	v_add_f64 v[32:33], v[32:33], v[106:107]
	;; [unrolled: 5-line block ×3, first 2 shown]
	ds_read_b128 v[106:109], v92 offset:1968
	buffer_load_dword v229, off, s[0:3], 0 offset:1004
	buffer_load_dword v228, off, s[0:3], 0 offset:1000
	;; [unrolled: 1-line block ×4, first 2 shown]
	s_waitcnt vmcnt(6) lgkmcnt(0)
	v_mul_f64 v[110:111], v[106:107], v[224:225]
	s_waitcnt vmcnt(4)
	v_fmac_f64_e32 v[110:111], v[108:109], v[226:227]
	v_add_f64 v[32:33], v[32:33], v[110:111]
	ds_read_b128 v[110:113], v92 offset:1984
	buffer_load_dword v234, off, s[0:3], 0 offset:1016
	buffer_load_dword v235, off, s[0:3], 0 offset:1020
	;; [unrolled: 1-line block ×4, first 2 shown]
	s_waitcnt vmcnt(6) lgkmcnt(0)
	v_mul_f64 v[114:115], v[110:111], v[228:229]
	s_waitcnt vmcnt(4)
	v_fmac_f64_e32 v[114:115], v[112:113], v[230:231]
	v_add_f64 v[32:33], v[32:33], v[114:115]
	ds_read_b128 v[114:117], v92 offset:2000
	s_waitcnt vmcnt(2) lgkmcnt(0)
	v_mul_f64 v[232:233], v[114:115], v[234:235]
	s_waitcnt vmcnt(0)
	v_fmac_f64_e32 v[232:233], v[116:117], v[244:245]
	v_add_f64 v[232:233], v[32:33], v[232:233]
	v_add_f64 v[32:33], v[136:137], 0
	v_add_f64 v[32:33], v[32:33], v[118:119]
	v_add_f64 v[32:33], v[32:33], v[152:153]
	v_add_f64 v[32:33], v[32:33], v[98:99]
	v_add_f64 v[32:33], v[32:33], v[100:101]
	v_add_f64 v[32:33], v[32:33], v[104:105]
	v_add_f64 v[30:31], v[32:33], v[30:31]
	v_add_f64 v[26:27], v[30:31], v[26:27]
	v_add_f64 v[22:23], v[26:27], v[22:23]
	v_add_f64 v[18:19], v[22:23], v[18:19]
	v_add_f64 v[14:15], v[18:19], v[14:15]
	v_add_f64 v[14:15], v[14:15], v[16:17]
	v_add_f64 v[14:15], v[14:15], v[200:201]
	v_add_f64 v[14:15], v[14:15], v[248:249]
	v_add_f64 v[12:13], v[14:15], v[12:13]
	v_add_f64 v[12:13], v[12:13], v[252:253]
	v_add_f64 v[12:13], v[12:13], v[250:251]
	v_add_f64 v[10:11], v[12:13], v[10:11]
	v_add_f64 v[10:11], v[10:11], v[102:103]
	v_add_f64 v[8:9], v[10:11], v[8:9]
	v_add_f64 v[8:9], v[8:9], v[24:25]
	buffer_load_dword v248, off, s[0:3], 0 offset:128
	buffer_load_dword v249, off, s[0:3], 0 offset:132
	v_add_f64 v[6:7], v[8:9], v[134:135]
	buffer_load_dword v246, off, s[0:3], 0 offset:136
	buffer_load_dword v247, off, s[0:3], 0 offset:140
	v_add_f64 v[6:7], v[6:7], v[28:29]
	v_add_f64 v[4:5], v[6:7], v[4:5]
	;; [unrolled: 1-line block ×3, first 2 shown]
	v_accvgpr_read_b32 v6, a190
	v_accvgpr_read_b32 v4, a194
	;; [unrolled: 1-line block ×5, first 2 shown]
	v_mul_f64 v[4:5], v[8:9], v[4:5]
	v_accvgpr_read_b32 v8, a196
	v_accvgpr_read_b32 v7, a191
	;; [unrolled: 1-line block ×3, first 2 shown]
	v_add_f64 v[2:3], v[252:253], v[20:21]
	v_fma_f64 v[4:5], v[6:7], v[8:9], -v[4:5]
	v_add_f64 v[2:3], v[2:3], v[4:5]
	v_accvgpr_read_b32 v6, a198
	v_accvgpr_read_b32 v4, a202
	;; [unrolled: 1-line block ×5, first 2 shown]
	v_mul_f64 v[4:5], v[8:9], v[4:5]
	v_accvgpr_read_b32 v8, a204
	v_accvgpr_read_b32 v7, a199
	;; [unrolled: 1-line block ×3, first 2 shown]
	v_fma_f64 v[4:5], v[6:7], v[8:9], -v[4:5]
	v_add_f64 v[2:3], v[2:3], v[4:5]
	v_accvgpr_read_b32 v6, a206
	v_accvgpr_read_b32 v4, a210
	;; [unrolled: 1-line block ×5, first 2 shown]
	v_mul_f64 v[4:5], v[8:9], v[4:5]
	v_accvgpr_read_b32 v8, a212
	v_accvgpr_read_b32 v7, a207
	;; [unrolled: 1-line block ×3, first 2 shown]
	v_fma_f64 v[4:5], v[6:7], v[8:9], -v[4:5]
	v_add_f64 v[2:3], v[2:3], v[4:5]
	v_accvgpr_read_b32 v4, a218
	v_accvgpr_read_b32 v5, a219
	v_accvgpr_read_b32 v6, a220
	v_mul_f64 v[4:5], v[150:151], v[4:5]
	v_accvgpr_read_b32 v7, a221
	v_fma_f64 v[4:5], v[148:149], v[6:7], -v[4:5]
	v_add_f64 v[2:3], v[2:3], v[4:5]
	v_accvgpr_read_b32 v4, a214
	v_accvgpr_read_b32 v5, a215
	v_accvgpr_read_b32 v6, a216
	v_mul_f64 v[4:5], v[146:147], v[4:5]
	v_accvgpr_read_b32 v7, a217
	;; [unrolled: 7-line block ×4, first 2 shown]
	v_fma_f64 v[4:5], v[130:131], v[6:7], -v[4:5]
	v_add_f64 v[2:3], v[2:3], v[4:5]
	v_mul_f64 v[4:5], v[126:127], v[0:1]
	v_fma_f64 v[4:5], v[124:125], v[120:121], -v[4:5]
	v_add_f64 v[2:3], v[2:3], v[4:5]
	v_mul_f64 v[4:5], v[40:41], v[128:129]
	;; [unrolled: 3-line block ×22, first 2 shown]
	v_fma_f64 v[4:5], v[114:115], v[244:245], -v[4:5]
	v_add_f64 v[2:3], v[2:3], v[4:5]
	v_accvgpr_read_b32 v0, a188
	s_waitcnt vmcnt(2)
	v_add_f64 v[2:3], v[248:249], -v[2:3]
	v_cmp_lt_u32_e32 vcc, 6, v0
	s_waitcnt vmcnt(0)
	v_add_f64 v[4:5], v[246:247], -v[232:233]
	buffer_store_dword v3, off, s[0:3], 0 offset:132
	buffer_store_dword v2, off, s[0:3], 0 offset:128
	;; [unrolled: 1-line block ×4, first 2 shown]
	s_and_saveexec_b64 s[4:5], vcc
	s_cbranch_execz .LBB62_391
; %bb.390:
	v_accvgpr_read_b32 v0, a182
	buffer_load_dword v2, v0, s[0:3], 0 offen
	buffer_load_dword v3, v0, s[0:3], 0 offen offset:4
	buffer_load_dword v4, v0, s[0:3], 0 offen offset:8
	;; [unrolled: 1-line block ×3, first 2 shown]
	v_accvgpr_read_b32 v0, a189
	buffer_store_dword v92, off, s[0:3], 0 offset:112
	buffer_store_dword v92, off, s[0:3], 0 offset:116
	;; [unrolled: 1-line block ×4, first 2 shown]
	s_waitcnt vmcnt(4)
	ds_write_b128 v0, v[2:5]
.LBB62_391:
	s_or_b64 exec, exec, s[4:5]
	s_waitcnt lgkmcnt(0)
	; wave barrier
	s_waitcnt lgkmcnt(0)
	buffer_load_dword v4, off, s[0:3], 0 offset:128
	buffer_load_dword v5, off, s[0:3], 0 offset:132
	;; [unrolled: 1-line block ×42, first 2 shown]
	ds_read_b128 v[102:105], v92 offset:1120
	ds_read_b128 v[106:109], v92 offset:1136
	;; [unrolled: 1-line block ×10, first 2 shown]
	buffer_load_dword v169, off, s[0:3], 0 offset:276
	buffer_load_dword v168, off, s[0:3], 0 offset:272
	ds_read_b128 v[38:41], v92 offset:1280
	buffer_load_dword v87, off, s[0:3], 0 offset:332
	buffer_load_dword v86, off, s[0:3], 0 offset:328
	;; [unrolled: 1-line block ×6, first 2 shown]
	s_waitcnt vmcnt(46) lgkmcnt(10)
	v_mul_f64 v[56:57], v[102:103], v[10:11]
	v_fmac_f64_e32 v[56:57], v[104:105], v[4:5]
	v_add_f64 v[56:57], v[56:57], 0
	v_mul_f64 v[10:11], v[104:105], v[10:11]
	s_waitcnt vmcnt(42) lgkmcnt(9)
	v_mul_f64 v[58:59], v[106:107], v[8:9]
	v_fmac_f64_e32 v[58:59], v[108:109], v[2:3]
	s_waitcnt vmcnt(40) lgkmcnt(8)
	v_mul_f64 v[62:63], v[110:111], v[6:7]
	v_add_f64 v[56:57], v[56:57], v[58:59]
	s_waitcnt vmcnt(38) lgkmcnt(6)
	v_mul_f64 v[66:67], v[152:153], v[14:15]
	v_mul_f64 v[8:9], v[108:109], v[8:9]
	s_waitcnt vmcnt(36)
	v_fmac_f64_e32 v[66:67], v[154:155], v[252:253]
	v_fma_f64 v[236:237], v[106:107], v[2:3], -v[8:9]
	s_waitcnt vmcnt(34)
	v_mul_f64 v[64:65], v[114:115], v[144:145]
	v_mul_f64 v[6:7], v[112:113], v[6:7]
	s_waitcnt vmcnt(32) lgkmcnt(4)
	v_mul_f64 v[70:71], v[160:161], v[26:27]
	v_mul_f64 v[14:15], v[154:155], v[14:15]
	s_waitcnt vmcnt(30)
	v_fmac_f64_e32 v[70:71], v[162:163], v[28:29]
	v_fma_f64 v[252:253], v[152:153], v[252:253], -v[14:15]
	s_waitcnt vmcnt(28)
	v_mul_f64 v[68:69], v[156:157], v[18:19]
	v_mul_f64 v[26:27], v[162:163], v[26:27]
	s_waitcnt vmcnt(26) lgkmcnt(2)
	v_mul_f64 v[74:75], v[42:43], v[46:47]
	v_mul_f64 v[18:19], v[158:159], v[18:19]
	s_waitcnt vmcnt(23)
	v_mul_f64 v[72:73], v[164:165], v[30:31]
	s_waitcnt vmcnt(21) lgkmcnt(1)
	v_mul_f64 v[118:119], v[34:35], v[50:51]
	s_waitcnt vmcnt(19)
	v_fmac_f64_e32 v[62:63], v[112:113], v[24:25]
	v_add_f64 v[56:57], v[56:57], v[62:63]
	s_waitcnt vmcnt(17)
	v_fmac_f64_e32 v[64:65], v[116:117], v[22:23]
	v_add_f64 v[56:57], v[56:57], v[64:65]
	;; [unrolled: 3-line block ×3, first 2 shown]
	v_add_f64 v[56:57], v[56:57], v[68:69]
	s_waitcnt vmcnt(13)
	v_fmac_f64_e32 v[72:73], v[166:167], v[32:33]
	v_add_f64 v[56:57], v[56:57], v[70:71]
	s_waitcnt vmcnt(12)
	v_fmac_f64_e32 v[74:75], v[44:45], v[48:49]
	v_add_f64 v[56:57], v[56:57], v[72:73]
	v_add_f64 v[136:137], v[56:57], v[74:75]
	buffer_load_dword v177, off, s[0:3], 0 offset:308
	buffer_load_dword v176, off, s[0:3], 0 offset:304
	;; [unrolled: 1-line block ×60, first 2 shown]
	s_waitcnt vmcnt(62)
	v_fmac_f64_e32 v[118:119], v[36:37], v[168:169]
	v_add_f64 v[118:119], v[136:137], v[118:119]
	s_waitcnt lgkmcnt(0)
	v_mul_f64 v[136:137], v[38:39], v[52:53]
	v_fmac_f64_e32 v[136:137], v[40:41], v[54:55]
	v_add_f64 v[118:119], v[118:119], v[136:137]
	v_fma_f64 v[250:251], v[110:111], v[24:25], -v[6:7]
	v_mul_f64 v[40:41], v[40:41], v[52:53]
	v_mul_f64 v[44:45], v[44:45], v[46:47]
	s_waitcnt vmcnt(0)
	v_pk_mov_b32 v[120:121], v[0:1], v[0:1] op_sel:[0,1]
	buffer_load_dword v1, off, s[0:3], 0 offset:580
	buffer_load_dword v0, off, s[0:3], 0 offset:576
	v_accvgpr_write_b32 a207, v121
	v_accvgpr_write_b32 a206, v120
	s_waitcnt vmcnt(0)
	v_pk_mov_b32 v[122:123], v[0:1], v[0:1] op_sel:[0,1]
	buffer_load_dword v1, off, s[0:3], 0 offset:572
	buffer_load_dword v0, off, s[0:3], 0 offset:568
	v_accvgpr_write_b32 a209, v123
	v_accvgpr_write_b32 a208, v122
	;; [unrolled: 6-line block ×4, first 2 shown]
	s_waitcnt vmcnt(0)
	v_pk_mov_b32 v[124:125], v[0:1], v[0:1] op_sel:[0,1]
	buffer_load_dword v1, off, s[0:3], 0 offset:612
	buffer_load_dword v0, off, s[0:3], 0 offset:608
	;; [unrolled: 1-line block ×4, first 2 shown]
	v_accvgpr_write_b32 a215, v125
	v_accvgpr_write_b32 a214, v124
	s_waitcnt vmcnt(2)
	v_accvgpr_write_b32 a217, v1
	v_accvgpr_write_b32 a216, v0
	s_waitcnt vmcnt(0)
	v_pk_mov_b32 v[142:143], v[128:129], v[128:129] op_sel:[0,1]
	buffer_load_dword v129, off, s[0:3], 0 offset:596
	buffer_load_dword v128, off, s[0:3], 0 offset:592
	ds_read_b128 v[172:175], v92 offset:1296
	ds_read_b128 v[180:183], v92 offset:1312
	;; [unrolled: 1-line block ×9, first 2 shown]
	buffer_load_dword v133, off, s[0:3], 0 offset:636
	buffer_load_dword v132, off, s[0:3], 0 offset:632
	s_waitcnt lgkmcnt(8)
	v_mul_f64 v[136:137], v[172:173], v[98:99]
	v_fmac_f64_e32 v[136:137], v[174:175], v[176:177]
	v_add_f64 v[118:119], v[118:119], v[136:137]
	s_waitcnt lgkmcnt(7)
	v_mul_f64 v[136:137], v[180:181], v[86:87]
	v_fmac_f64_e32 v[136:137], v[182:183], v[60:61]
	v_add_f64 v[118:119], v[118:119], v[136:137]
	;; [unrolled: 4-line block ×9, first 2 shown]
	v_accvgpr_write_b32 a211, v143
	v_accvgpr_write_b32 a210, v142
	v_mul_f64 v[46:47], v[218:219], v[88:89]
	s_waitcnt vmcnt(2)
	v_accvgpr_write_b32 a213, v129
	v_accvgpr_write_b32 a212, v128
	s_waitcnt vmcnt(0)
	v_pk_mov_b32 v[178:179], v[132:133], v[132:133] op_sel:[0,1]
	buffer_load_dword v133, off, s[0:3], 0 offset:628
	buffer_load_dword v132, off, s[0:3], 0 offset:624
	ds_read_b128 v[220:223], v92 offset:1440
	buffer_load_dword v16, off, s[0:3], 0 offset:648
	buffer_load_dword v136, off, s[0:3], 0 offset:640
	;; [unrolled: 1-line block ×4, first 2 shown]
	ds_read_b128 v[224:227], v92 offset:1456
	buffer_load_dword v135, off, s[0:3], 0 offset:684
	buffer_load_dword v13, off, s[0:3], 0 offset:668
	;; [unrolled: 1-line block ×8, first 2 shown]
	ds_read_b128 v[228:231], v92 offset:1472
	ds_read_b128 v[232:235], v92 offset:1488
	s_waitcnt lgkmcnt(3)
	v_mul_f64 v[170:171], v[220:221], v[56:57]
	v_fmac_f64_e32 v[170:171], v[222:223], v[58:59]
	v_add_f64 v[118:119], v[118:119], v[170:171]
	s_waitcnt lgkmcnt(2)
	v_mul_f64 v[170:171], v[224:225], v[62:63]
	v_fmac_f64_e32 v[170:171], v[226:227], v[64:65]
	v_add_f64 v[118:119], v[118:119], v[170:171]
	;; [unrolled: 4-line block ×3, first 2 shown]
	s_waitcnt lgkmcnt(0)
	v_mul_f64 v[170:171], v[232:233], v[70:71]
	ds_read_b128 v[238:241], v92 offset:1504
	v_fmac_f64_e32 v[170:171], v[234:235], v[72:73]
	v_add_f64 v[170:171], v[118:119], v[170:171]
	v_fma_f64 v[118:119], v[102:103], v[4:5], -v[10:11]
	ds_read_b128 v[102:105], v92 offset:1520
	ds_read_b128 v[106:109], v92 offset:1536
	;; [unrolled: 1-line block ×3, first 2 shown]
	s_waitcnt lgkmcnt(3)
	v_mul_f64 v[4:5], v[238:239], v[78:79]
	v_fmac_f64_e32 v[4:5], v[240:241], v[80:81]
	v_add_f64 v[2:3], v[170:171], v[4:5]
	s_waitcnt lgkmcnt(2)
	v_mul_f64 v[4:5], v[102:103], v[82:83]
	v_fmac_f64_e32 v[4:5], v[104:105], v[84:85]
	v_add_f64 v[2:3], v[2:3], v[4:5]
	;; [unrolled: 4-line block ×3, first 2 shown]
	ds_read_b128 v[2:5], v92 offset:1552
	ds_read_b128 v[152:155], v92 offset:1600
	v_mul_f64 v[10:11], v[116:117], v[144:145]
	s_waitcnt lgkmcnt(2)
	v_accvgpr_write_b32 a201, v9
	v_accvgpr_write_b32 a200, v8
	s_waitcnt lgkmcnt(1)
	v_mul_f64 v[24:25], v[2:3], v[126:127]
	v_accvgpr_write_b32 a193, v5
	v_fmac_f64_e32 v[24:25], v[4:5], v[130:131]
	v_accvgpr_write_b32 a192, v4
	v_accvgpr_write_b32 a191, v3
	;; [unrolled: 1-line block ×3, first 2 shown]
	ds_read_b128 v[2:5], v92 offset:1584
	v_fma_f64 v[126:127], v[114:115], v[22:23], -v[10:11]
	v_add_f64 v[22:23], v[170:171], v[24:25]
	v_mul_f64 v[24:25], v[6:7], v[120:121]
	v_fmac_f64_e32 v[24:25], v[8:9], v[122:123]
	s_waitcnt lgkmcnt(0)
	v_accvgpr_write_b32 a205, v5
	v_add_f64 v[22:23], v[22:23], v[24:25]
	v_mul_f64 v[24:25], v[2:3], v[142:143]
	v_accvgpr_write_b32 a204, v4
	v_accvgpr_write_b32 a203, v3
	;; [unrolled: 1-line block ×3, first 2 shown]
	buffer_load_dword v151, off, s[0:3], 0 offset:700
	buffer_load_dword v150, off, s[0:3], 0 offset:696
	;; [unrolled: 1-line block ×4, first 2 shown]
	ds_read_b128 v[146:149], v92 offset:1616
	v_fmac_f64_e32 v[24:25], v[4:5], v[128:129]
	ds_read_b128 v[128:131], v92 offset:1632
	ds_read_b128 v[142:145], v92 offset:1648
	v_add_f64 v[4:5], v[22:23], v[24:25]
	v_mul_f64 v[22:23], v[152:153], v[124:125]
	ds_read_b128 v[122:125], v92 offset:1664
	v_fmac_f64_e32 v[22:23], v[154:155], v[0:1]
	v_add_f64 v[4:5], v[4:5], v[22:23]
	s_waitcnt lgkmcnt(3)
	v_mul_f64 v[22:23], v[146:147], v[178:179]
	v_accvgpr_write_b32 a199, v7
	v_accvgpr_write_b32 a198, v6
	v_mul_f64 v[8:9], v[36:37], v[50:51]
	v_fma_f64 v[116:117], v[156:157], v[20:21], -v[18:19]
	v_fma_f64 v[156:157], v[160:161], v[28:29], -v[26:27]
	;; [unrolled: 1-line block ×3, first 2 shown]
	v_accvgpr_write_b32 a219, v179
	v_accvgpr_write_b32 a218, v178
	v_fma_f64 v[24:25], v[38:39], v[54:55], -v[40:41]
	v_mul_f64 v[38:39], v[182:183], v[86:87]
	v_fma_f64 v[18:19], v[180:181], v[60:61], -v[38:39]
	v_mul_f64 v[38:39], v[186:187], v[208:209]
	v_fma_f64 v[28:29], v[42:43], v[48:49], -v[44:45]
	s_waitcnt vmcnt(9) lgkmcnt(1)
	v_mul_f64 v[114:115], v[142:143], v[12:13]
	v_fmac_f64_e32 v[22:23], v[148:149], v[132:133]
	v_accvgpr_write_b32 a221, v133
	v_mul_f64 v[110:111], v[128:129], v[16:17]
	v_accvgpr_write_b32 a220, v132
	v_add_f64 v[4:5], v[4:5], v[22:23]
	v_fmac_f64_e32 v[110:111], v[130:131], v[136:137]
	buffer_load_dword v132, off, s[0:3], 0 offset:712
	v_add_f64 v[110:111], v[4:5], v[110:111]
	s_waitcnt vmcnt(8)
	v_fmac_f64_e32 v[114:115], v[144:145], v[138:139]
	buffer_load_dword v120, off, s[0:3], 0 offset:704
	buffer_load_dword v133, off, s[0:3], 0 offset:716
	;; [unrolled: 1-line block ×3, first 2 shown]
	v_add_f64 v[110:111], v[110:111], v[114:115]
	s_waitcnt vmcnt(10) lgkmcnt(0)
	v_mul_f64 v[114:115], v[122:123], v[134:135]
	s_waitcnt vmcnt(8)
	v_fmac_f64_e32 v[114:115], v[124:125], v[140:141]
	v_mul_f64 v[4:5], v[166:167], v[30:31]
	v_add_f64 v[110:111], v[110:111], v[114:115]
	buffer_load_dword v114, off, s[0:3], 0 offset:744
	v_fma_f64 v[112:113], v[164:165], v[32:33], -v[4:5]
	buffer_load_dword v165, off, s[0:3], 0 offset:732
	buffer_load_dword v164, off, s[0:3], 0 offset:728
	;; [unrolled: 1-line block ×7, first 2 shown]
	v_accvgpr_write_b32 a229, v13
	v_accvgpr_write_b32 a228, v12
	v_mul_f64 v[12:13], v[174:175], v[98:99]
	ds_read_b128 v[34:37], v92 offset:1680
	buffer_load_dword v169, off, s[0:3], 0 offset:764
	buffer_load_dword v168, off, s[0:3], 0 offset:760
	;; [unrolled: 1-line block ×4, first 2 shown]
	v_fma_f64 v[22:23], v[172:173], v[176:177], -v[12:13]
	buffer_load_dword v173, off, s[0:3], 0 offset:780
	buffer_load_dword v172, off, s[0:3], 0 offset:776
	;; [unrolled: 1-line block ×8, first 2 shown]
	v_accvgpr_write_b32 a223, v17
	buffer_load_dword v180, off, s[0:3], 0 offset:808
	v_accvgpr_write_b32 a222, v16
	v_fma_f64 v[16:17], v[184:185], v[210:211], -v[38:39]
	buffer_load_dword v184, off, s[0:3], 0 offset:800
	buffer_load_dword v181, off, s[0:3], 0 offset:812
	;; [unrolled: 1-line block ×3, first 2 shown]
	v_mul_f64 v[38:39], v[190:191], v[200:201]
	v_fma_f64 v[14:15], v[188:189], v[206:207], -v[38:39]
	buffer_load_dword v182, off, s[0:3], 0 offset:840
	buffer_load_dword v189, off, s[0:3], 0 offset:828
	;; [unrolled: 1-line block ×8, first 2 shown]
	v_mul_f64 v[38:39], v[194:195], v[242:243]
	v_fma_f64 v[244:245], v[192:193], v[244:245], -v[38:39]
	buffer_load_dword v193, off, s[0:3], 0 offset:860
	buffer_load_dword v192, off, s[0:3], 0 offset:856
	;; [unrolled: 1-line block ×4, first 2 shown]
	v_mul_f64 v[38:39], v[198:199], v[96:97]
	buffer_load_dword v199, off, s[0:3], 0 offset:876
	buffer_load_dword v198, off, s[0:3], 0 offset:872
	;; [unrolled: 1-line block ×4, first 2 shown]
	v_fma_f64 v[12:13], v[196:197], v[100:101], -v[38:39]
	v_mul_f64 v[38:39], v[204:205], v[246:247]
	v_fma_f64 v[248:249], v[202:203], v[248:249], -v[38:39]
	buffer_load_dword v196, off, s[0:3], 0 offset:904
	buffer_load_dword v205, off, s[0:3], 0 offset:892
	;; [unrolled: 1-line block ×12, first 2 shown]
	ds_read_b128 v[38:41], v92 offset:1696
	v_mul_f64 v[42:43], v[214:215], v[74:75]
	v_fma_f64 v[10:11], v[216:217], v[94:95], -v[46:47]
	ds_read_b128 v[46:49], v92 offset:1728
	v_mul_f64 v[54:55], v[222:223], v[56:57]
	v_fma_f64 v[8:9], v[220:221], v[58:59], -v[54:55]
	;; [unrolled: 3-line block ×3, first 2 shown]
	v_mul_f64 v[66:67], v[230:231], v[66:67]
	s_waitcnt vmcnt(58) lgkmcnt(3)
	v_mul_f64 v[20:21], v[34:35], v[150:151]
	v_fma_f64 v[4:5], v[228:229], v[68:69], -v[66:67]
	s_waitcnt vmcnt(56)
	v_fmac_f64_e32 v[20:21], v[36:37], v[2:3]
	v_add_f64 v[20:21], v[110:111], v[20:21]
	v_fma_f64 v[110:111], v[212:213], v[76:77], -v[42:43]
	ds_read_b128 v[42:45], v92 offset:1712
	v_mul_f64 v[70:71], v[234:235], v[70:71]
	v_fma_f64 v[232:233], v[232:233], v[72:73], -v[70:71]
	ds_read_b128 v[70:73], v92 offset:1824
	v_accvgpr_write_b32 a227, v135
	v_mul_f64 v[78:79], v[240:241], v[78:79]
	ds_read_b128 v[58:61], v92 offset:1776
	v_accvgpr_write_b32 a226, v134
	v_pk_mov_b32 v[134:135], v[2:3], v[2:3] op_sel:[0,1]
	v_fma_f64 v[2:3], v[238:239], v[80:81], -v[78:79]
	ds_read_b128 v[78:81], v92 offset:1856
	v_mul_f64 v[82:83], v[104:105], v[82:83]
	v_fma_f64 v[246:247], v[102:103], v[84:85], -v[82:83]
	v_mul_f64 v[90:91], v[108:109], v[90:91]
	v_fma_f64 v[238:239], v[106:107], v[254:255], -v[90:91]
	v_add_f64 v[118:119], v[118:119], 0
	ds_read_b128 v[66:69], v92 offset:1808
	v_add_f64 v[118:119], v[118:119], v[236:237]
	v_add_f64 v[118:119], v[118:119], v[250:251]
	;; [unrolled: 1-line block ×10, first 2 shown]
	ds_read_b128 v[82:85], v92 offset:1872
	v_add_f64 v[22:23], v[24:25], v[22:23]
	v_add_f64 v[18:19], v[22:23], v[18:19]
	s_waitcnt vmcnt(53) lgkmcnt(8)
	v_mul_f64 v[50:51], v[38:39], v[132:133]
	s_waitcnt vmcnt(52)
	v_fmac_f64_e32 v[50:51], v[40:41], v[120:121]
	v_add_f64 v[20:21], v[20:21], v[50:51]
	v_add_f64 v[16:17], v[18:19], v[16:17]
	s_waitcnt vmcnt(49) lgkmcnt(5)
	v_mul_f64 v[50:51], v[42:43], v[164:165]
	v_add_f64 v[14:15], v[16:17], v[14:15]
	s_waitcnt vmcnt(47)
	v_fmac_f64_e32 v[50:51], v[44:45], v[166:167]
	v_add_f64 v[20:21], v[20:21], v[50:51]
	s_waitcnt vmcnt(45)
	v_mul_f64 v[50:51], v[46:47], v[114:115]
	s_waitcnt vmcnt(44)
	v_fmac_f64_e32 v[50:51], v[48:49], v[162:163]
	v_add_f64 v[20:21], v[20:21], v[50:51]
	ds_read_b128 v[50:53], v92 offset:1744
	ds_read_b128 v[30:33], v92 offset:1904
	v_add_f64 v[14:15], v[14:15], v[244:245]
	v_add_f64 v[12:13], v[14:15], v[12:13]
	;; [unrolled: 1-line block ×3, first 2 shown]
	s_waitcnt vmcnt(42) lgkmcnt(1)
	v_mul_f64 v[74:75], v[50:51], v[168:169]
	s_waitcnt vmcnt(40)
	v_fmac_f64_e32 v[74:75], v[52:53], v[170:171]
	s_waitcnt vmcnt(38)
	v_mul_f64 v[62:63], v[54:55], v[172:173]
	v_add_f64 v[20:21], v[20:21], v[74:75]
	s_waitcnt vmcnt(36)
	v_fmac_f64_e32 v[62:63], v[56:57], v[176:177]
	v_add_f64 v[20:21], v[20:21], v[62:63]
	s_waitcnt vmcnt(34)
	v_mul_f64 v[62:63], v[58:59], v[174:175]
	s_waitcnt vmcnt(32)
	v_fmac_f64_e32 v[62:63], v[60:61], v[178:179]
	v_add_f64 v[20:21], v[20:21], v[62:63]
	ds_read_b128 v[62:65], v92 offset:1792
	s_waitcnt vmcnt(9)
	v_mul_f64 v[94:95], v[82:83], v[204:205]
	s_waitcnt vmcnt(7)
	v_fmac_f64_e32 v[94:95], v[84:85], v[208:209]
	v_add_f64 v[12:13], v[12:13], v[110:111]
	v_add_f64 v[10:11], v[12:13], v[10:11]
	s_waitcnt lgkmcnt(0)
	v_mul_f64 v[74:75], v[62:63], v[180:181]
	v_fmac_f64_e32 v[74:75], v[64:65], v[184:185]
	v_add_f64 v[20:21], v[20:21], v[74:75]
	v_mul_f64 v[74:75], v[66:67], v[188:189]
	v_fmac_f64_e32 v[74:75], v[68:69], v[190:191]
	v_add_f64 v[20:21], v[20:21], v[74:75]
	;; [unrolled: 3-line block ×3, first 2 shown]
	ds_read_b128 v[74:77], v92 offset:1840
	v_add_f64 v[8:9], v[10:11], v[8:9]
	v_add_f64 v[6:7], v[8:9], v[6:7]
	;; [unrolled: 1-line block ×4, first 2 shown]
	s_waitcnt lgkmcnt(0)
	v_mul_f64 v[86:87], v[74:75], v[192:193]
	v_fmac_f64_e32 v[86:87], v[76:77], v[194:195]
	v_add_f64 v[20:21], v[20:21], v[86:87]
	v_mul_f64 v[86:87], v[78:79], v[198:199]
	v_fmac_f64_e32 v[86:87], v[80:81], v[200:201]
	v_add_f64 v[20:21], v[20:21], v[86:87]
	ds_read_b128 v[86:89], v92 offset:1888
	buffer_load_dword v212, off, s[0:3], 0 offset:936
	buffer_load_dword v213, off, s[0:3], 0 offset:940
	;; [unrolled: 1-line block ×4, first 2 shown]
	v_add_f64 v[20:21], v[20:21], v[94:95]
	v_add_f64 v[254:255], v[4:5], v[2:3]
	v_accvgpr_read_b32 v6, a190
	s_waitcnt vmcnt(9) lgkmcnt(0)
	v_mul_f64 v[94:95], v[86:87], v[196:197]
	s_waitcnt vmcnt(8)
	v_fmac_f64_e32 v[94:95], v[88:89], v[202:203]
	v_add_f64 v[20:21], v[20:21], v[94:95]
	s_waitcnt vmcnt(6)
	v_mul_f64 v[94:95], v[30:31], v[206:207]
	s_waitcnt vmcnt(4)
	v_fmac_f64_e32 v[94:95], v[32:33], v[210:211]
	v_add_f64 v[20:21], v[20:21], v[94:95]
	ds_read_b128 v[94:97], v92 offset:1920
	buffer_load_dword v217, off, s[0:3], 0 offset:956
	buffer_load_dword v216, off, s[0:3], 0 offset:952
	;; [unrolled: 1-line block ×4, first 2 shown]
	v_accvgpr_read_b32 v4, a194
	v_accvgpr_read_b32 v8, a192
	;; [unrolled: 1-line block ×4, first 2 shown]
	v_mul_f64 v[4:5], v[8:9], v[4:5]
	v_accvgpr_read_b32 v8, a196
	v_add_f64 v[2:3], v[254:255], v[246:247]
	v_accvgpr_read_b32 v7, a191
	v_accvgpr_read_b32 v9, a197
	v_add_f64 v[2:3], v[2:3], v[238:239]
	v_fma_f64 v[4:5], v[6:7], v[8:9], -v[4:5]
	v_add_f64 v[2:3], v[2:3], v[4:5]
	v_accvgpr_read_b32 v6, a198
	v_accvgpr_read_b32 v4, a206
	;; [unrolled: 1-line block ×5, first 2 shown]
	v_mul_f64 v[4:5], v[8:9], v[4:5]
	v_accvgpr_read_b32 v8, a208
	v_accvgpr_read_b32 v7, a199
	v_accvgpr_read_b32 v9, a209
	v_fma_f64 v[4:5], v[6:7], v[8:9], -v[4:5]
	v_add_f64 v[2:3], v[2:3], v[4:5]
	v_accvgpr_read_b32 v6, a202
	v_accvgpr_read_b32 v4, a210
	;; [unrolled: 1-line block ×5, first 2 shown]
	v_mul_f64 v[4:5], v[8:9], v[4:5]
	v_accvgpr_read_b32 v8, a212
	v_accvgpr_read_b32 v7, a203
	;; [unrolled: 1-line block ×3, first 2 shown]
	v_fma_f64 v[4:5], v[6:7], v[8:9], -v[4:5]
	v_add_f64 v[2:3], v[2:3], v[4:5]
	v_accvgpr_read_b32 v4, a214
	v_accvgpr_read_b32 v5, a215
	;; [unrolled: 1-line block ×3, first 2 shown]
	v_mul_f64 v[4:5], v[154:155], v[4:5]
	v_accvgpr_read_b32 v7, a217
	v_fma_f64 v[4:5], v[152:153], v[6:7], -v[4:5]
	v_add_f64 v[2:3], v[2:3], v[4:5]
	v_accvgpr_read_b32 v4, a218
	v_accvgpr_read_b32 v5, a219
	;; [unrolled: 1-line block ×3, first 2 shown]
	v_mul_f64 v[4:5], v[148:149], v[4:5]
	v_accvgpr_read_b32 v7, a221
	v_accvgpr_write_b32 a225, v137
	v_fma_f64 v[4:5], v[146:147], v[6:7], -v[4:5]
	v_accvgpr_write_b32 a224, v136
	v_add_f64 v[2:3], v[2:3], v[4:5]
	v_accvgpr_read_b32 v4, a222
	v_accvgpr_read_b32 v5, a223
	;; [unrolled: 1-line block ×3, first 2 shown]
	v_mul_f64 v[4:5], v[130:131], v[4:5]
	v_accvgpr_read_b32 v7, a225
	v_fma_f64 v[4:5], v[128:129], v[6:7], -v[4:5]
	v_add_f64 v[2:3], v[2:3], v[4:5]
	v_accvgpr_read_b32 v4, a228
	v_accvgpr_read_b32 v5, a229
	v_pk_mov_b32 v[136:137], v[138:139], v[138:139] op_sel:[0,1]
	v_mul_f64 v[4:5], v[144:145], v[4:5]
	v_fma_f64 v[4:5], v[142:143], v[136:137], -v[4:5]
	v_add_f64 v[2:3], v[2:3], v[4:5]
	v_accvgpr_read_b32 v4, a226
	v_accvgpr_read_b32 v5, a227
	v_mul_f64 v[4:5], v[124:125], v[4:5]
	s_waitcnt vmcnt(6) lgkmcnt(0)
	v_mul_f64 v[98:99], v[94:95], v[212:213]
	v_fma_f64 v[4:5], v[122:123], v[140:141], -v[4:5]
	s_waitcnt vmcnt(4)
	v_fmac_f64_e32 v[98:99], v[96:97], v[214:215]
	v_add_f64 v[20:21], v[20:21], v[98:99]
	ds_read_b128 v[98:101], v92 offset:1936
	buffer_load_dword v220, off, s[0:3], 0 offset:968
	buffer_load_dword v221, off, s[0:3], 0 offset:972
	;; [unrolled: 1-line block ×4, first 2 shown]
	v_add_f64 v[2:3], v[2:3], v[4:5]
	v_mul_f64 v[4:5], v[36:37], v[150:151]
	v_fma_f64 v[4:5], v[34:35], v[134:135], -v[4:5]
	v_add_f64 v[2:3], v[2:3], v[4:5]
	v_mul_f64 v[4:5], v[40:41], v[132:133]
	s_waitcnt vmcnt(6) lgkmcnt(0)
	v_mul_f64 v[102:103], v[98:99], v[216:217]
	v_fma_f64 v[4:5], v[38:39], v[120:121], -v[4:5]
	s_waitcnt vmcnt(4)
	v_fmac_f64_e32 v[102:103], v[100:101], v[218:219]
	v_add_f64 v[20:21], v[20:21], v[102:103]
	ds_read_b128 v[102:105], v92 offset:1952
	buffer_load_dword v225, off, s[0:3], 0 offset:988
	buffer_load_dword v224, off, s[0:3], 0 offset:984
	;; [unrolled: 1-line block ×4, first 2 shown]
	v_add_f64 v[2:3], v[2:3], v[4:5]
	v_mul_f64 v[4:5], v[44:45], v[164:165]
	v_fma_f64 v[4:5], v[42:43], v[166:167], -v[4:5]
	v_add_f64 v[2:3], v[2:3], v[4:5]
	v_mul_f64 v[4:5], v[48:49], v[114:115]
	v_fma_f64 v[4:5], v[46:47], v[162:163], -v[4:5]
	;; [unrolled: 3-line block ×15, first 2 shown]
	v_add_f64 v[2:3], v[2:3], v[4:5]
	s_waitcnt vmcnt(6) lgkmcnt(0)
	v_mul_f64 v[106:107], v[102:103], v[220:221]
	v_mul_f64 v[4:5], v[104:105], v[220:221]
	s_waitcnt vmcnt(4)
	v_fmac_f64_e32 v[106:107], v[104:105], v[222:223]
	v_add_f64 v[20:21], v[20:21], v[106:107]
	ds_read_b128 v[106:109], v92 offset:1968
	buffer_load_dword v228, off, s[0:3], 0 offset:1000
	buffer_load_dword v229, off, s[0:3], 0 offset:1004
	;; [unrolled: 1-line block ×4, first 2 shown]
	ds_read_b128 v[240:243], v92 offset:1984
	v_fma_f64 v[4:5], v[102:103], v[222:223], -v[4:5]
	v_add_f64 v[2:3], v[2:3], v[4:5]
	s_waitcnt vmcnt(6) lgkmcnt(1)
	v_mul_f64 v[158:159], v[106:107], v[224:225]
	v_mul_f64 v[4:5], v[108:109], v[224:225]
	s_waitcnt vmcnt(4)
	v_fmac_f64_e32 v[158:159], v[108:109], v[226:227]
	v_add_f64 v[20:21], v[20:21], v[158:159]
	v_fma_f64 v[4:5], v[106:107], v[226:227], -v[4:5]
	v_add_f64 v[2:3], v[2:3], v[4:5]
	s_waitcnt vmcnt(2) lgkmcnt(0)
	v_mul_f64 v[158:159], v[240:241], v[228:229]
	v_mul_f64 v[4:5], v[242:243], v[228:229]
	s_waitcnt vmcnt(0)
	v_fmac_f64_e32 v[158:159], v[242:243], v[230:231]
	v_add_f64 v[0:1], v[20:21], v[158:159]
	buffer_load_dword v235, off, s[0:3], 0 offset:1020
	buffer_load_dword v234, off, s[0:3], 0 offset:1016
	;; [unrolled: 1-line block ×4, first 2 shown]
	ds_read_b128 v[158:161], v92 offset:2000
	buffer_load_dword v250, off, s[0:3], 0 offset:112
	buffer_load_dword v251, off, s[0:3], 0 offset:116
	;; [unrolled: 1-line block ×4, first 2 shown]
	v_fma_f64 v[4:5], v[240:241], v[230:231], -v[4:5]
	v_add_f64 v[2:3], v[2:3], v[4:5]
	s_waitcnt vmcnt(6) lgkmcnt(0)
	v_mul_f64 v[138:139], v[158:159], v[234:235]
	v_mul_f64 v[4:5], v[160:161], v[234:235]
	s_waitcnt vmcnt(4)
	v_fmac_f64_e32 v[138:139], v[160:161], v[20:21]
	v_fma_f64 v[4:5], v[158:159], v[20:21], -v[4:5]
	v_add_f64 v[0:1], v[0:1], v[138:139]
	v_add_f64 v[2:3], v[2:3], v[4:5]
	s_waitcnt vmcnt(2)
	v_add_f64 v[2:3], v[250:251], -v[2:3]
	s_waitcnt vmcnt(0)
	v_add_f64 v[0:1], v[248:249], -v[0:1]
	buffer_store_dword v3, off, s[0:3], 0 offset:116
	buffer_store_dword v2, off, s[0:3], 0 offset:112
	;; [unrolled: 1-line block ×4, first 2 shown]
	v_accvgpr_read_b32 v0, a188
	v_cmp_lt_u32_e32 vcc, 5, v0
	s_and_saveexec_b64 s[4:5], vcc
	s_cbranch_execz .LBB62_393
; %bb.392:
	v_accvgpr_read_b32 v0, a183
	buffer_load_dword v2, v0, s[0:3], 0 offen
	buffer_load_dword v3, v0, s[0:3], 0 offen offset:4
	buffer_load_dword v4, v0, s[0:3], 0 offen offset:8
	;; [unrolled: 1-line block ×3, first 2 shown]
	v_mov_b32_e32 v0, 0
	v_accvgpr_read_b32 v1, a189
	buffer_store_dword v0, off, s[0:3], 0 offset:96
	buffer_store_dword v0, off, s[0:3], 0 offset:100
	;; [unrolled: 1-line block ×4, first 2 shown]
	s_waitcnt vmcnt(4)
	ds_write_b128 v1, v[2:5]
.LBB62_393:
	s_or_b64 exec, exec, s[4:5]
	s_waitcnt lgkmcnt(0)
	; wave barrier
	s_waitcnt lgkmcnt(0)
	buffer_load_dword v6, off, s[0:3], 0 offset:112
	buffer_load_dword v7, off, s[0:3], 0 offset:116
	;; [unrolled: 1-line block ×42, first 2 shown]
	v_mov_b32_e32 v236, 0
	buffer_load_dword v91, off, s[0:3], 0 offset:260
	buffer_load_dword v90, off, s[0:3], 0 offset:256
	;; [unrolled: 1-line block ×7, first 2 shown]
	ds_read_b128 v[104:107], v236 offset:1104
	ds_read_b128 v[108:111], v236 offset:1120
	;; [unrolled: 1-line block ×11, first 2 shown]
	s_waitcnt vmcnt(45) lgkmcnt(10)
	v_mul_f64 v[52:53], v[104:105], v[10:11]
	v_fmac_f64_e32 v[52:53], v[106:107], v[6:7]
	v_add_f64 v[52:53], v[52:53], 0
	v_mul_f64 v[10:11], v[106:107], v[10:11]
	s_waitcnt vmcnt(41) lgkmcnt(9)
	v_mul_f64 v[54:55], v[108:109], v[8:9]
	v_fmac_f64_e32 v[54:55], v[110:111], v[4:5]
	s_waitcnt vmcnt(39) lgkmcnt(8)
	v_mul_f64 v[56:57], v[112:113], v[2:3]
	v_add_f64 v[52:53], v[52:53], v[54:55]
	s_waitcnt vmcnt(37) lgkmcnt(6)
	v_mul_f64 v[60:61], v[156:157], v[234:235]
	v_fma_f64 v[6:7], v[104:105], v[6:7], -v[10:11]
	s_waitcnt vmcnt(35)
	v_fmac_f64_e32 v[60:61], v[158:159], v[140:141]
	v_mul_f64 v[8:9], v[110:111], v[8:9]
	s_waitcnt vmcnt(33)
	v_mul_f64 v[58:59], v[152:153], v[146:147]
	v_accvgpr_write_b32 a227, v7
	s_waitcnt vmcnt(31) lgkmcnt(4)
	v_mul_f64 v[64:65], v[164:165], v[22:23]
	v_fma_f64 v[4:5], v[108:109], v[4:5], -v[8:9]
	s_waitcnt vmcnt(29)
	v_fmac_f64_e32 v[64:65], v[166:167], v[150:151]
	v_accvgpr_write_b32 a226, v6
	s_waitcnt vmcnt(27)
	v_mul_f64 v[62:63], v[160:161], v[18:19]
	v_accvgpr_write_b32 a229, v5
	s_waitcnt vmcnt(25) lgkmcnt(2)
	v_mul_f64 v[70:71], v[172:173], v[30:31]
	v_accvgpr_write_b32 a228, v4
	v_mul_f64 v[2:3], v[114:115], v[2:3]
	s_waitcnt vmcnt(22)
	v_mul_f64 v[66:67], v[168:169], v[26:27]
	v_mul_f64 v[10:11], v[158:159], v[234:235]
	s_waitcnt vmcnt(20) lgkmcnt(1)
	v_mul_f64 v[116:117], v[176:177], v[38:39]
	v_mul_f64 v[26:27], v[170:171], v[26:27]
	s_waitcnt vmcnt(18)
	v_fmac_f64_e32 v[56:57], v[114:115], v[44:45]
	v_add_f64 v[52:53], v[52:53], v[56:57]
	s_waitcnt vmcnt(16)
	v_fmac_f64_e32 v[58:59], v[154:155], v[40:41]
	v_add_f64 v[52:53], v[52:53], v[58:59]
	s_waitcnt vmcnt(14)
	v_fmac_f64_e32 v[62:63], v[162:163], v[148:149]
	v_add_f64 v[52:53], v[52:53], v[60:61]
	v_add_f64 v[52:53], v[52:53], v[62:63]
	s_waitcnt vmcnt(12)
	v_fmac_f64_e32 v[66:67], v[170:171], v[28:29]
	v_add_f64 v[52:53], v[52:53], v[64:65]
	s_waitcnt vmcnt(11)
	v_fmac_f64_e32 v[70:71], v[174:175], v[32:33]
	v_add_f64 v[52:53], v[52:53], v[66:67]
	v_add_f64 v[118:119], v[52:53], v[70:71]
	buffer_load_dword v68, off, s[0:3], 0 offset:296
	buffer_load_dword v233, off, s[0:3], 0 offset:292
	;; [unrolled: 1-line block ×69, first 2 shown]
	s_waitcnt vmcnt(62)
	v_fmac_f64_e32 v[116:117], v[178:179], v[90:91]
	v_add_f64 v[116:117], v[118:119], v[116:117]
	s_waitcnt lgkmcnt(0)
	v_mul_f64 v[118:119], v[34:35], v[42:43]
	v_fmac_f64_e32 v[118:119], v[36:37], v[46:47]
	v_add_f64 v[116:117], v[116:117], v[118:119]
	v_fma_f64 v[142:143], v[112:113], v[44:45], -v[2:3]
	v_mul_f64 v[2:3], v[154:155], v[146:147]
	v_fma_f64 v[254:255], v[152:153], v[40:41], -v[2:3]
	v_mul_f64 v[36:37], v[36:37], v[42:43]
	v_mul_f64 v[38:39], v[178:179], v[38:39]
	v_accvgpr_read_b32 v235, a229
	v_accvgpr_read_b32 v234, a228
	s_waitcnt vmcnt(6)
	v_accvgpr_write_b32 a197, v15
	v_accvgpr_write_b32 a196, v14
	v_pk_mov_b32 v[138:139], v[0:1], v[0:1] op_sel:[0,1]
	s_waitcnt vmcnt(0)
	v_pk_mov_b32 v[124:125], v[120:121], v[120:121] op_sel:[0,1]
	buffer_load_dword v121, off, s[0:3], 0 offset:596
	buffer_load_dword v120, off, s[0:3], 0 offset:592
	v_accvgpr_write_b32 a195, v139
	v_accvgpr_write_b32 a194, v138
	;; [unrolled: 1-line block ×4, first 2 shown]
	s_waitcnt vmcnt(0)
	v_pk_mov_b32 v[126:127], v[120:121], v[120:121] op_sel:[0,1]
	buffer_load_dword v121, off, s[0:3], 0 offset:588
	buffer_load_dword v120, off, s[0:3], 0 offset:584
	v_accvgpr_write_b32 a209, v127
	v_accvgpr_write_b32 a208, v126
	s_waitcnt vmcnt(0)
	v_pk_mov_b32 v[128:129], v[120:121], v[120:121] op_sel:[0,1]
	buffer_load_dword v121, off, s[0:3], 0 offset:580
	buffer_load_dword v120, off, s[0:3], 0 offset:576
	ds_read_b128 v[180:183], v236 offset:1280
	ds_read_b128 v[184:187], v236 offset:1296
	ds_read_b128 v[188:191], v236 offset:1312
	ds_read_b128 v[192:195], v236 offset:1328
	ds_read_b128 v[196:199], v236 offset:1344
	ds_read_b128 v[200:203], v236 offset:1360
	ds_read_b128 v[204:207], v236 offset:1376
	ds_read_b128 v[208:211], v236 offset:1392
	ds_read_b128 v[212:215], v236 offset:1408
	ds_read_b128 v[216:219], v236 offset:1424
	s_waitcnt lgkmcnt(9)
	v_mul_f64 v[118:119], v[180:181], v[68:69]
	v_fmac_f64_e32 v[118:119], v[182:183], v[232:233]
	v_add_f64 v[116:117], v[116:117], v[118:119]
	s_waitcnt lgkmcnt(8)
	v_mul_f64 v[118:119], v[184:185], v[48:49]
	v_fmac_f64_e32 v[118:119], v[186:187], v[50:51]
	v_add_f64 v[116:117], v[116:117], v[118:119]
	;; [unrolled: 4-line block ×10, first 2 shown]
	v_accvgpr_write_b32 a203, v129
	v_accvgpr_write_b32 a202, v128
	s_waitcnt vmcnt(0)
	v_pk_mov_b32 v[130:131], v[120:121], v[120:121] op_sel:[0,1]
	buffer_load_dword v121, off, s[0:3], 0 offset:620
	buffer_load_dword v120, off, s[0:3], 0 offset:616
	v_accvgpr_write_b32 a205, v131
	v_accvgpr_write_b32 a204, v130
	s_waitcnt vmcnt(0)
	v_pk_mov_b32 v[132:133], v[120:121], v[120:121] op_sel:[0,1]
	buffer_load_dword v121, off, s[0:3], 0 offset:612
	buffer_load_dword v120, off, s[0:3], 0 offset:608
	ds_read_b128 v[220:223], v236 offset:1440
	v_accvgpr_write_b32 a211, v133
	v_accvgpr_write_b32 a210, v132
	s_waitcnt lgkmcnt(0)
	v_mul_f64 v[118:119], v[220:221], v[56:57]
	v_fmac_f64_e32 v[118:119], v[222:223], v[66:67]
	v_add_f64 v[116:117], v[116:117], v[118:119]
	s_waitcnt vmcnt(0)
	v_pk_mov_b32 v[134:135], v[120:121], v[120:121] op_sel:[0,1]
	buffer_load_dword v120, off, s[0:3], 0 offset:632
	buffer_load_dword v122, off, s[0:3], 0 offset:624
	;; [unrolled: 1-line block ×4, first 2 shown]
	ds_read_b128 v[224:227], v236 offset:1456
	buffer_load_dword v13, off, s[0:3], 0 offset:668
	buffer_load_dword v17, off, s[0:3], 0 offset:652
	;; [unrolled: 1-line block ×12, first 2 shown]
	ds_read_b128 v[228:231], v236 offset:1472
	ds_read_b128 v[104:107], v236 offset:1488
	;; [unrolled: 1-line block ×4, first 2 shown]
	s_waitcnt lgkmcnt(4)
	v_mul_f64 v[118:119], v[224:225], v[58:59]
	v_fmac_f64_e32 v[118:119], v[226:227], v[60:61]
	s_waitcnt lgkmcnt(3)
	v_mul_f64 v[6:7], v[228:229], v[62:63]
	v_add_f64 v[116:117], v[116:117], v[118:119]
	v_fmac_f64_e32 v[6:7], v[230:231], v[64:65]
	v_add_f64 v[4:5], v[116:117], v[6:7]
	s_waitcnt lgkmcnt(2)
	v_mul_f64 v[6:7], v[104:105], v[70:71]
	v_fmac_f64_e32 v[6:7], v[106:107], v[72:73]
	v_add_f64 v[4:5], v[4:5], v[6:7]
	s_waitcnt lgkmcnt(1)
	v_mul_f64 v[6:7], v[108:109], v[74:75]
	ds_read_b128 v[112:115], v236 offset:1536
	v_fmac_f64_e32 v[6:7], v[110:111], v[76:77]
	v_add_f64 v[6:7], v[4:5], v[6:7]
	ds_read_b128 v[2:5], v236 offset:1552
	s_waitcnt lgkmcnt(2)
	v_mul_f64 v[8:9], v[238:239], v[82:83]
	v_fmac_f64_e32 v[8:9], v[240:241], v[84:85]
	v_add_f64 v[6:7], v[6:7], v[8:9]
	s_waitcnt lgkmcnt(1)
	v_mul_f64 v[8:9], v[112:113], v[86:87]
	v_fmac_f64_e32 v[8:9], v[114:115], v[88:89]
	v_add_f64 v[6:7], v[6:7], v[8:9]
	;; [unrolled: 4-line block ×3, first 2 shown]
	ds_read_b128 v[6:9], v236 offset:1568
	v_mul_f64 v[14:15], v[162:163], v[18:19]
	v_fma_f64 v[152:153], v[160:161], v[148:149], -v[14:15]
	ds_read_b128 v[146:149], v236 offset:1600
	v_accvgpr_write_b32 a193, v5
	v_accvgpr_write_b32 a192, v4
	;; [unrolled: 1-line block ×6, first 2 shown]
	v_fma_f64 v[116:117], v[168:169], v[28:29], -v[26:27]
	v_mul_f64 v[62:63], v[230:231], v[62:63]
	v_mul_f64 v[74:75], v[110:111], v[74:75]
	s_waitcnt vmcnt(9)
	v_accvgpr_write_b32 a219, v17
	v_accvgpr_write_b32 a218, v16
	s_waitcnt vmcnt(4)
	v_accvgpr_write_b32 a223, v21
	v_pk_mov_b32 v[136:137], v[120:121], v[120:121] op_sel:[0,1]
	v_fma_f64 v[120:121], v[156:157], v[140:141], -v[10:11]
	ds_read_b128 v[138:141], v236 offset:1584
	s_waitcnt lgkmcnt(2)
	v_mul_f64 v[4:5], v[6:7], v[128:129]
	v_fmac_f64_e32 v[4:5], v[8:9], v[130:131]
	v_add_f64 v[4:5], v[40:41], v[4:5]
	v_accvgpr_write_b32 a201, v9
	s_waitcnt lgkmcnt(0)
	v_mul_f64 v[18:19], v[138:139], v[124:125]
	v_fmac_f64_e32 v[18:19], v[140:141], v[126:127]
	v_add_f64 v[4:5], v[4:5], v[18:19]
	v_mul_f64 v[18:19], v[146:147], v[132:133]
	v_fmac_f64_e32 v[18:19], v[148:149], v[134:135]
	v_add_f64 v[40:41], v[4:5], v[18:19]
	v_mul_f64 v[4:5], v[166:167], v[22:23]
	ds_read_b128 v[132:135], v236 offset:1616
	v_fma_f64 v[118:119], v[164:165], v[150:151], -v[4:5]
	buffer_load_dword v150, off, s[0:3], 0 offset:696
	buffer_load_dword v151, off, s[0:3], 0 offset:700
	v_accvgpr_write_b32 a200, v8
	v_accvgpr_write_b32 a199, v7
	;; [unrolled: 1-line block ×3, first 2 shown]
	ds_read_b128 v[128:131], v236 offset:1632
	buffer_load_dword v154, off, s[0:3], 0 offset:688
	buffer_load_dword v155, off, s[0:3], 0 offset:692
	v_mul_f64 v[8:9], v[174:175], v[30:31]
	ds_read_b128 v[124:127], v236 offset:1648
	v_fma_f64 v[26:27], v[172:173], v[32:33], -v[8:9]
	ds_read_b128 v[30:33], v236 offset:1664
	buffer_load_dword v157, off, s[0:3], 0 offset:716
	buffer_load_dword v156, off, s[0:3], 0 offset:712
	;; [unrolled: 1-line block ×16, first 2 shown]
	s_waitcnt lgkmcnt(3)
	v_mul_f64 v[22:23], v[132:133], v[136:137]
	v_fmac_f64_e32 v[22:23], v[134:135], v[122:123]
	v_fma_f64 v[18:19], v[34:35], v[46:47], -v[36:37]
	v_mul_f64 v[34:35], v[182:183], v[68:69]
	v_add_f64 v[40:41], v[40:41], v[22:23]
	v_fma_f64 v[22:23], v[176:177], v[90:91], -v[38:39]
	v_fma_f64 v[232:233], v[180:181], v[232:233], -v[34:35]
	ds_read_b128 v[34:37], v236 offset:1680
	buffer_load_dword v168, off, s[0:3], 0 offset:792
	buffer_load_dword v175, off, s[0:3], 0 offset:780
	;; [unrolled: 1-line block ×5, first 2 shown]
	v_mul_f64 v[38:39], v[186:187], v[48:49]
	buffer_load_dword v178, off, s[0:3], 0 offset:784
	buffer_load_dword v169, off, s[0:3], 0 offset:796
	;; [unrolled: 1-line block ×3, first 2 shown]
	v_fma_f64 v[180:181], v[184:185], v[50:51], -v[38:39]
	v_mul_f64 v[38:39], v[190:191], v[244:245]
	s_waitcnt lgkmcnt(3)
	v_mul_f64 v[44:45], v[128:129], v[16:17]
	v_fma_f64 v[16:17], v[188:189], v[246:247], -v[38:39]
	v_mul_f64 v[38:39], v[194:195], v[242:243]
	buffer_load_dword v243, off, s[0:3], 0 offset:812
	buffer_load_dword v242, off, s[0:3], 0 offset:808
	buffer_load_dword v183, off, s[0:3], 0 offset:804
	buffer_load_dword v182, off, s[0:3], 0 offset:800
	buffer_load_dword v186, off, s[0:3], 0 offset:824
	buffer_load_dword v188, off, s[0:3], 0 offset:816
	buffer_load_dword v187, off, s[0:3], 0 offset:828
	buffer_load_dword v189, off, s[0:3], 0 offset:820
	v_fma_f64 v[14:15], v[192:193], v[102:103], -v[38:39]
	buffer_load_dword v185, off, s[0:3], 0 offset:860
	buffer_load_dword v191, off, s[0:3], 0 offset:844
	;; [unrolled: 1-line block ×8, first 2 shown]
	v_fmac_f64_e32 v[44:45], v[130:131], v[144:145]
	v_add_f64 v[40:41], v[40:41], v[44:45]
	s_waitcnt lgkmcnt(2)
	v_mul_f64 v[44:45], v[124:125], v[12:13]
	v_fmac_f64_e32 v[44:45], v[126:127], v[20:21]
	v_add_f64 v[40:41], v[40:41], v[44:45]
	s_waitcnt vmcnt(46) lgkmcnt(1)
	v_mul_f64 v[44:45], v[30:31], v[24:25]
	v_mul_f64 v[38:39], v[198:199], v[250:251]
	s_waitcnt vmcnt(44)
	v_fmac_f64_e32 v[44:45], v[32:33], v[0:1]
	v_fma_f64 v[250:251], v[196:197], v[252:253], -v[38:39]
	v_mul_f64 v[38:39], v[202:203], v[248:249]
	v_add_f64 v[44:45], v[40:41], v[44:45]
	v_fma_f64 v[248:249], v[200:201], v[100:101], -v[38:39]
	ds_read_b128 v[38:41], v236 offset:1696
	buffer_load_dword v197, off, s[0:3], 0 offset:876
	buffer_load_dword v196, off, s[0:3], 0 offset:872
	;; [unrolled: 1-line block ×4, first 2 shown]
	v_accvgpr_write_b32 a217, v123
	v_mul_f64 v[46:47], v[206:207], v[96:97]
	v_accvgpr_write_b32 a216, v122
	v_pk_mov_b32 v[122:123], v[12:13], v[12:13] op_sel:[0,1]
	v_fma_f64 v[12:13], v[204:205], v[98:99], -v[46:47]
	buffer_load_dword v200, off, s[0:3], 0 offset:888
	buffer_load_dword v202, off, s[0:3], 0 offset:880
	;; [unrolled: 1-line block ×8, first 2 shown]
	v_mul_f64 v[46:47], v[210:211], v[80:81]
	v_fma_f64 v[10:11], v[208:209], v[94:95], -v[46:47]
	buffer_load_dword v208, off, s[0:3], 0 offset:920
	buffer_load_dword v210, off, s[0:3], 0 offset:912
	;; [unrolled: 1-line block ×4, first 2 shown]
	v_accvgpr_write_b32 a222, v20
	v_mul_f64 v[46:47], v[218:219], v[52:53]
	v_fma_f64 v[252:253], v[216:217], v[54:55], -v[46:47]
	v_mul_f64 v[50:51], v[222:223], v[56:57]
	v_fma_f64 v[6:7], v[220:221], v[66:67], -v[50:51]
	ds_read_b128 v[50:53], v236 offset:1744
	v_accvgpr_write_b32 a221, v25
	v_accvgpr_write_b32 a220, v24
	ds_read_b128 v[46:49], v236 offset:1728
	v_fma_f64 v[4:5], v[228:229], v[64:65], -v[62:63]
	v_accvgpr_write_b32 a215, v137
	v_accvgpr_write_b32 a214, v136
	v_fma_f64 v[136:137], v[108:109], v[76:77], -v[74:75]
	ds_read_b128 v[74:77], v236 offset:1840
	ds_read_b128 v[62:65], v236 offset:1792
	s_waitcnt vmcnt(58) lgkmcnt(5)
	v_mul_f64 v[42:43], v[34:35], v[150:151]
	s_waitcnt vmcnt(56)
	v_fmac_f64_e32 v[42:43], v[36:37], v[154:155]
	v_add_f64 v[42:43], v[44:45], v[42:43]
	v_mul_f64 v[44:45], v[214:215], v[78:79]
	s_waitcnt vmcnt(54) lgkmcnt(4)
	v_mul_f64 v[20:21], v[38:39], v[156:157]
	v_fma_f64 v[8:9], v[212:213], v[92:93], -v[44:45]
	s_waitcnt vmcnt(52)
	v_fmac_f64_e32 v[20:21], v[40:41], v[158:159]
	v_add_f64 v[20:21], v[42:43], v[20:21]
	ds_read_b128 v[42:45], v236 offset:1712
	s_waitcnt vmcnt(45) lgkmcnt(3)
	v_mul_f64 v[24:25], v[46:47], v[166:167]
	s_waitcnt vmcnt(43)
	v_fmac_f64_e32 v[24:25], v[48:49], v[172:173]
	s_waitcnt lgkmcnt(0)
	v_mul_f64 v[54:55], v[42:43], v[160:161]
	v_fmac_f64_e32 v[54:55], v[44:45], v[162:163]
	v_add_f64 v[20:21], v[20:21], v[54:55]
	v_add_f64 v[20:21], v[20:21], v[24:25]
	ds_read_b128 v[54:57], v236 offset:1760
	s_waitcnt vmcnt(42)
	v_mul_f64 v[24:25], v[50:51], v[164:165]
	s_waitcnt vmcnt(40)
	v_fmac_f64_e32 v[24:25], v[52:53], v[170:171]
	v_add_f64 v[20:21], v[20:21], v[24:25]
	v_mul_f64 v[24:25], v[226:227], v[58:59]
	v_fma_f64 v[24:25], v[224:225], v[60:61], -v[24:25]
	ds_read_b128 v[58:61], v236 offset:1776
	s_waitcnt vmcnt(37) lgkmcnt(1)
	v_mul_f64 v[66:67], v[54:55], v[174:175]
	s_waitcnt vmcnt(35)
	v_fmac_f64_e32 v[66:67], v[56:57], v[176:177]
	v_add_f64 v[20:21], v[20:21], v[66:67]
	ds_read_b128 v[66:69], v236 offset:1808
	s_waitcnt vmcnt(33) lgkmcnt(1)
	v_mul_f64 v[28:29], v[58:59], v[168:169]
	s_waitcnt vmcnt(32)
	v_fmac_f64_e32 v[28:29], v[60:61], v[178:179]
	v_add_f64 v[20:21], v[20:21], v[28:29]
	s_waitcnt vmcnt(30)
	v_mul_f64 v[28:29], v[62:63], v[242:243]
	s_waitcnt vmcnt(28)
	v_fmac_f64_e32 v[28:29], v[64:65], v[182:183]
	v_add_f64 v[20:21], v[20:21], v[28:29]
	v_mul_f64 v[28:29], v[106:107], v[70:71]
	v_fma_f64 v[28:29], v[104:105], v[72:73], -v[28:29]
	ds_read_b128 v[70:73], v236 offset:1824
	s_waitcnt vmcnt(25) lgkmcnt(1)
	v_mul_f64 v[78:79], v[66:67], v[186:187]
	s_waitcnt vmcnt(24)
	v_fmac_f64_e32 v[78:79], v[68:69], v[188:189]
	v_add_f64 v[20:21], v[20:21], v[78:79]
	s_waitcnt vmcnt(21) lgkmcnt(0)
	v_mul_f64 v[78:79], v[70:71], v[190:191]
	s_waitcnt vmcnt(19)
	v_fmac_f64_e32 v[78:79], v[72:73], v[194:195]
	v_add_f64 v[20:21], v[20:21], v[78:79]
	s_waitcnt vmcnt(18)
	v_mul_f64 v[78:79], v[74:75], v[184:185]
	s_waitcnt vmcnt(16)
	v_fmac_f64_e32 v[78:79], v[76:77], v[192:193]
	v_add_f64 v[90:91], v[20:21], v[78:79]
	ds_read_b128 v[78:81], v236 offset:1856
	v_mul_f64 v[20:21], v[240:241], v[82:83]
	v_fma_f64 v[2:3], v[238:239], v[84:85], -v[20:21]
	ds_read_b128 v[82:85], v236 offset:1872
	v_mul_f64 v[20:21], v[114:115], v[86:87]
	v_fma_f64 v[20:21], v[112:113], v[88:89], -v[20:21]
	ds_read_b128 v[86:89], v236 offset:1888
	s_waitcnt vmcnt(14) lgkmcnt(2)
	v_mul_f64 v[92:93], v[78:79], v[196:197]
	s_waitcnt vmcnt(12)
	v_fmac_f64_e32 v[92:93], v[80:81], v[198:199]
	v_add_f64 v[90:91], v[90:91], v[92:93]
	s_waitcnt vmcnt(9) lgkmcnt(1)
	v_mul_f64 v[92:93], v[82:83], v[200:201]
	s_waitcnt vmcnt(8)
	v_fmac_f64_e32 v[92:93], v[84:85], v[202:203]
	v_add_f64 v[90:91], v[90:91], v[92:93]
	s_waitcnt vmcnt(6) lgkmcnt(0)
	v_mul_f64 v[92:93], v[86:87], v[204:205]
	s_waitcnt vmcnt(4)
	v_fmac_f64_e32 v[92:93], v[88:89], v[206:207]
	v_add_f64 v[94:95], v[90:91], v[92:93]
	ds_read_b128 v[90:93], v236 offset:1904
	buffer_load_dword v213, off, s[0:3], 0 offset:940
	buffer_load_dword v212, off, s[0:3], 0 offset:936
	buffer_load_dword v215, off, s[0:3], 0 offset:932
	buffer_load_dword v214, off, s[0:3], 0 offset:928
	v_accvgpr_write_b32 a225, v21
	v_accvgpr_write_b32 a224, v20
	s_waitcnt vmcnt(5) lgkmcnt(0)
	v_mul_f64 v[96:97], v[90:91], v[208:209]
	s_waitcnt vmcnt(4)
	v_fmac_f64_e32 v[96:97], v[92:93], v[210:211]
	v_add_f64 v[98:99], v[94:95], v[96:97]
	ds_read_b128 v[94:97], v236 offset:1920
	buffer_load_dword v216, off, s[0:3], 0 offset:952
	buffer_load_dword v217, off, s[0:3], 0 offset:956
	buffer_load_dword v218, off, s[0:3], 0 offset:944
	buffer_load_dword v219, off, s[0:3], 0 offset:948
	s_waitcnt vmcnt(6) lgkmcnt(0)
	v_mul_f64 v[100:101], v[94:95], v[212:213]
	s_waitcnt vmcnt(4)
	v_fmac_f64_e32 v[100:101], v[96:97], v[214:215]
	v_add_f64 v[102:103], v[98:99], v[100:101]
	ds_read_b128 v[98:101], v236 offset:1936
	buffer_load_dword v221, off, s[0:3], 0 offset:972
	buffer_load_dword v220, off, s[0:3], 0 offset:968
	buffer_load_dword v223, off, s[0:3], 0 offset:964
	buffer_load_dword v222, off, s[0:3], 0 offset:960
	;; [unrolled: 10-line block ×5, first 2 shown]
	s_waitcnt vmcnt(6) lgkmcnt(0)
	v_mul_f64 v[238:239], v[110:111], v[228:229]
	s_waitcnt vmcnt(4)
	v_fmac_f64_e32 v[238:239], v[112:113], v[230:231]
	v_add_f64 v[114:115], v[114:115], v[238:239]
	ds_read_b128 v[238:241], v236 offset:2000
	s_waitcnt vmcnt(2) lgkmcnt(0)
	v_mul_f64 v[20:21], v[238:239], v[244:245]
	s_waitcnt vmcnt(0)
	v_fmac_f64_e32 v[20:21], v[240:241], v[246:247]
	v_add_f64 v[114:115], v[114:115], v[20:21]
	v_accvgpr_read_b32 v20, a226
	v_accvgpr_read_b32 v21, a227
	v_add_f64 v[20:21], v[20:21], 0
	v_add_f64 v[20:21], v[20:21], v[234:235]
	;; [unrolled: 1-line block ×22, first 2 shown]
	buffer_load_dword v250, off, s[0:3], 0 offset:96
	buffer_load_dword v251, off, s[0:3], 0 offset:100
	v_add_f64 v[6:7], v[6:7], v[24:25]
	buffer_load_dword v248, off, s[0:3], 0 offset:104
	buffer_load_dword v249, off, s[0:3], 0 offset:108
	v_add_f64 v[4:5], v[6:7], v[4:5]
	v_add_f64 v[4:5], v[4:5], v[28:29]
	;; [unrolled: 1-line block ×4, first 2 shown]
	v_accvgpr_read_b32 v6, a190
	v_accvgpr_read_b32 v4, a194
	;; [unrolled: 1-line block ×6, first 2 shown]
	v_mul_f64 v[4:5], v[8:9], v[4:5]
	v_accvgpr_read_b32 v8, a196
	v_accvgpr_read_b32 v3, a225
	;; [unrolled: 1-line block ×4, first 2 shown]
	v_add_f64 v[2:3], v[234:235], v[2:3]
	v_fma_f64 v[4:5], v[6:7], v[8:9], -v[4:5]
	v_add_f64 v[2:3], v[2:3], v[4:5]
	v_accvgpr_read_b32 v6, a198
	v_accvgpr_read_b32 v4, a202
	;; [unrolled: 1-line block ×5, first 2 shown]
	v_mul_f64 v[4:5], v[8:9], v[4:5]
	v_accvgpr_read_b32 v8, a204
	v_accvgpr_read_b32 v7, a199
	;; [unrolled: 1-line block ×3, first 2 shown]
	v_fma_f64 v[4:5], v[6:7], v[8:9], -v[4:5]
	v_add_f64 v[2:3], v[2:3], v[4:5]
	v_accvgpr_read_b32 v4, a206
	v_accvgpr_read_b32 v5, a207
	v_accvgpr_read_b32 v6, a208
	v_mul_f64 v[4:5], v[140:141], v[4:5]
	v_accvgpr_read_b32 v7, a209
	v_fma_f64 v[4:5], v[138:139], v[6:7], -v[4:5]
	v_add_f64 v[2:3], v[2:3], v[4:5]
	v_accvgpr_read_b32 v4, a210
	v_accvgpr_read_b32 v5, a211
	v_accvgpr_read_b32 v6, a212
	v_mul_f64 v[4:5], v[148:149], v[4:5]
	v_accvgpr_read_b32 v7, a213
	;; [unrolled: 7-line block ×3, first 2 shown]
	v_fma_f64 v[4:5], v[132:133], v[6:7], -v[4:5]
	v_add_f64 v[2:3], v[2:3], v[4:5]
	v_accvgpr_read_b32 v4, a218
	v_accvgpr_read_b32 v5, a219
	v_mul_f64 v[4:5], v[130:131], v[4:5]
	v_fma_f64 v[4:5], v[128:129], v[144:145], -v[4:5]
	v_accvgpr_read_b32 v6, a222
	v_add_f64 v[2:3], v[2:3], v[4:5]
	v_mul_f64 v[4:5], v[126:127], v[122:123]
	v_accvgpr_read_b32 v7, a223
	v_fma_f64 v[4:5], v[124:125], v[6:7], -v[4:5]
	v_add_f64 v[2:3], v[2:3], v[4:5]
	v_accvgpr_read_b32 v4, a220
	v_accvgpr_read_b32 v5, a221
	v_mul_f64 v[4:5], v[32:33], v[4:5]
	v_fma_f64 v[4:5], v[30:31], v[0:1], -v[4:5]
	v_add_f64 v[2:3], v[2:3], v[4:5]
	v_mul_f64 v[4:5], v[36:37], v[150:151]
	v_fma_f64 v[4:5], v[34:35], v[154:155], -v[4:5]
	v_add_f64 v[2:3], v[2:3], v[4:5]
	;; [unrolled: 3-line block ×22, first 2 shown]
	v_accvgpr_read_b32 v0, a188
	s_waitcnt vmcnt(2)
	v_add_f64 v[2:3], v[250:251], -v[2:3]
	v_cmp_lt_u32_e32 vcc, 4, v0
	s_waitcnt vmcnt(0)
	v_add_f64 v[4:5], v[248:249], -v[114:115]
	buffer_store_dword v3, off, s[0:3], 0 offset:100
	buffer_store_dword v2, off, s[0:3], 0 offset:96
	buffer_store_dword v5, off, s[0:3], 0 offset:108
	buffer_store_dword v4, off, s[0:3], 0 offset:104
	s_and_saveexec_b64 s[4:5], vcc
	s_cbranch_execz .LBB62_395
; %bb.394:
	v_accvgpr_read_b32 v0, a184
	buffer_load_dword v2, v0, s[0:3], 0 offen
	buffer_load_dword v3, v0, s[0:3], 0 offen offset:4
	buffer_load_dword v4, v0, s[0:3], 0 offen offset:8
	;; [unrolled: 1-line block ×3, first 2 shown]
	v_accvgpr_read_b32 v0, a189
	buffer_store_dword v236, off, s[0:3], 0 offset:80
	buffer_store_dword v236, off, s[0:3], 0 offset:84
	;; [unrolled: 1-line block ×4, first 2 shown]
	s_waitcnt vmcnt(4)
	ds_write_b128 v0, v[2:5]
.LBB62_395:
	s_or_b64 exec, exec, s[4:5]
	s_waitcnt lgkmcnt(0)
	; wave barrier
	s_waitcnt lgkmcnt(0)
	buffer_load_dword v6, off, s[0:3], 0 offset:96
	buffer_load_dword v7, off, s[0:3], 0 offset:100
	;; [unrolled: 1-line block ×42, first 2 shown]
	ds_read_b128 v[104:107], v236 offset:1088
	ds_read_b128 v[108:111], v236 offset:1104
	;; [unrolled: 1-line block ×10, first 2 shown]
	buffer_load_dword v99, off, s[0:3], 0 offset:244
	buffer_load_dword v98, off, s[0:3], 0 offset:240
	ds_read_b128 v[38:41], v236 offset:1248
	buffer_load_dword v85, off, s[0:3], 0 offset:300
	buffer_load_dword v84, off, s[0:3], 0 offset:296
	buffer_load_dword v91, off, s[0:3], 0 offset:292
	buffer_load_dword v90, off, s[0:3], 0 offset:288
	buffer_load_dword v97, off, s[0:3], 0 offset:284
	buffer_load_dword v96, off, s[0:3], 0 offset:280
	s_waitcnt vmcnt(46) lgkmcnt(10)
	v_mul_f64 v[52:53], v[104:105], v[10:11]
	v_fmac_f64_e32 v[52:53], v[106:107], v[6:7]
	v_add_f64 v[52:53], v[52:53], 0
	v_mul_f64 v[10:11], v[106:107], v[10:11]
	s_waitcnt vmcnt(42) lgkmcnt(9)
	v_mul_f64 v[54:55], v[108:109], v[8:9]
	v_fmac_f64_e32 v[54:55], v[110:111], v[4:5]
	s_waitcnt vmcnt(40) lgkmcnt(8)
	v_mul_f64 v[56:57], v[112:113], v[2:3]
	v_add_f64 v[52:53], v[52:53], v[54:55]
	s_waitcnt vmcnt(38) lgkmcnt(6)
	v_mul_f64 v[60:61], v[148:149], v[146:147]
	v_fma_f64 v[234:235], v[104:105], v[6:7], -v[10:11]
	s_waitcnt vmcnt(36)
	v_fmac_f64_e32 v[60:61], v[150:151], v[14:15]
	v_mul_f64 v[8:9], v[110:111], v[8:9]
	s_waitcnt vmcnt(34)
	v_mul_f64 v[58:59], v[116:117], v[230:231]
	v_mul_f64 v[2:3], v[114:115], v[2:3]
	s_waitcnt vmcnt(32) lgkmcnt(4)
	v_mul_f64 v[64:65], v[156:157], v[18:19]
	s_waitcnt vmcnt(30)
	v_fmac_f64_e32 v[64:65], v[158:159], v[20:21]
	s_waitcnt vmcnt(28)
	v_mul_f64 v[62:63], v[152:153], v[22:23]
	v_mul_f64 v[10:11], v[154:155], v[22:23]
	s_waitcnt vmcnt(26) lgkmcnt(2)
	v_mul_f64 v[68:69], v[164:165], v[26:27]
	s_waitcnt vmcnt(23)
	v_mul_f64 v[66:67], v[160:161], v[24:25]
	s_waitcnt vmcnt(21) lgkmcnt(1)
	v_mul_f64 v[128:129], v[30:31], v[34:35]
	s_waitcnt vmcnt(19)
	v_fmac_f64_e32 v[56:57], v[114:115], v[46:47]
	v_add_f64 v[52:53], v[52:53], v[56:57]
	s_waitcnt vmcnt(17)
	v_fmac_f64_e32 v[58:59], v[118:119], v[228:229]
	v_add_f64 v[52:53], v[52:53], v[58:59]
	;; [unrolled: 3-line block ×3, first 2 shown]
	v_add_f64 v[52:53], v[52:53], v[62:63]
	s_waitcnt vmcnt(13)
	v_fmac_f64_e32 v[66:67], v[162:163], v[36:37]
	v_add_f64 v[52:53], v[52:53], v[64:65]
	s_waitcnt vmcnt(12)
	v_fmac_f64_e32 v[68:69], v[166:167], v[28:29]
	v_add_f64 v[52:53], v[52:53], v[66:67]
	v_add_f64 v[130:131], v[52:53], v[68:69]
	buffer_load_dword v205, off, s[0:3], 0 offset:276
	buffer_load_dword v204, off, s[0:3], 0 offset:272
	;; [unrolled: 1-line block ×68, first 2 shown]
	s_waitcnt vmcnt(62)
	v_fmac_f64_e32 v[128:129], v[32:33], v[98:99]
	v_add_f64 v[128:129], v[130:131], v[128:129]
	s_waitcnt lgkmcnt(0)
	v_mul_f64 v[130:131], v[38:39], v[48:49]
	v_fmac_f64_e32 v[130:131], v[40:41], v[50:51]
	v_add_f64 v[128:129], v[128:129], v[130:131]
	v_fma_f64 v[238:239], v[112:113], v[46:47], -v[2:3]
	v_mul_f64 v[32:33], v[32:33], v[34:35]
	v_mul_f64 v[40:41], v[40:41], v[48:49]
	s_waitcnt vmcnt(0)
	v_pk_mov_b32 v[120:121], v[0:1], v[0:1] op_sel:[0,1]
	buffer_load_dword v1, off, s[0:3], 0 offset:580
	buffer_load_dword v0, off, s[0:3], 0 offset:576
	;; [unrolled: 1-line block ×4, first 2 shown]
	v_accvgpr_write_b32 a203, v121
	v_accvgpr_write_b32 a202, v120
	s_waitcnt vmcnt(2)
	v_accvgpr_write_b32 a205, v1
	v_accvgpr_write_b32 a204, v0
	s_waitcnt vmcnt(0)
	v_pk_mov_b32 v[124:125], v[122:123], v[122:123] op_sel:[0,1]
	buffer_load_dword v123, off, s[0:3], 0 offset:564
	buffer_load_dword v122, off, s[0:3], 0 offset:560
	ds_read_b128 v[168:171], v236 offset:1264
	ds_read_b128 v[172:175], v236 offset:1280
	;; [unrolled: 1-line block ×6, first 2 shown]
	s_waitcnt lgkmcnt(5)
	v_mul_f64 v[130:131], v[168:169], v[96:97]
	v_fmac_f64_e32 v[130:131], v[170:171], v[204:205]
	v_add_f64 v[128:129], v[128:129], v[130:131]
	s_waitcnt lgkmcnt(4)
	v_mul_f64 v[130:131], v[172:173], v[84:85]
	v_fmac_f64_e32 v[130:131], v[174:175], v[90:91]
	v_add_f64 v[128:129], v[128:129], v[130:131]
	;; [unrolled: 4-line block ×3, first 2 shown]
	s_waitcnt lgkmcnt(2)
	v_mul_f64 v[130:131], v[180:181], v[206:207]
	v_fmac_f64_e32 v[130:131], v[182:183], v[232:233]
	ds_read_b128 v[192:195], v236 offset:1360
	ds_read_b128 v[196:199], v236 offset:1376
	v_add_f64 v[128:129], v[128:129], v[130:131]
	s_waitcnt lgkmcnt(3)
	v_mul_f64 v[130:131], v[184:185], v[250:251]
	v_fmac_f64_e32 v[130:131], v[186:187], v[252:253]
	v_add_f64 v[128:129], v[128:129], v[130:131]
	s_waitcnt lgkmcnt(2)
	v_mul_f64 v[130:131], v[188:189], v[246:247]
	v_fmac_f64_e32 v[130:131], v[190:191], v[248:249]
	ds_read_b128 v[200:203], v236 offset:1392
	ds_read_b128 v[208:211], v236 offset:1408
	v_add_f64 v[128:129], v[128:129], v[130:131]
	s_waitcnt lgkmcnt(3)
	v_mul_f64 v[130:131], v[192:193], v[254:255]
	v_fmac_f64_e32 v[130:131], v[194:195], v[44:45]
	v_add_f64 v[128:129], v[128:129], v[130:131]
	s_waitcnt lgkmcnt(2)
	v_mul_f64 v[130:131], v[196:197], v[92:93]
	v_fmac_f64_e32 v[130:131], v[198:199], v[94:95]
	;; [unrolled: 4-line block ×3, first 2 shown]
	v_add_f64 v[136:137], v[128:129], v[130:131]
	ds_read_b128 v[212:215], v236 offset:1424
	buffer_load_dword v126, off, s[0:3], 0 offset:616
	buffer_load_dword v129, off, s[0:3], 0 offset:604
	;; [unrolled: 1-line block ×3, first 2 shown]
	s_waitcnt lgkmcnt(1)
	v_mul_f64 v[138:139], v[208:209], v[60:61]
	v_fmac_f64_e32 v[138:139], v[210:211], v[70:71]
	v_add_f64 v[220:221], v[136:137], v[138:139]
	s_waitcnt lgkmcnt(0)
	v_mul_f64 v[222:223], v[212:213], v[72:73]
	v_fmac_f64_e32 v[222:223], v[214:215], v[82:83]
	v_add_f64 v[220:221], v[220:221], v[222:223]
	v_fma_f64 v[136:137], v[108:109], v[4:5], -v[8:9]
	v_mul_f64 v[8:9], v[150:151], v[146:147]
	v_fma_f64 v[240:241], v[148:149], v[14:15], -v[8:9]
	v_accvgpr_write_b32 a195, v125
	v_accvgpr_write_b32 a194, v124
	v_mul_f64 v[14:15], v[158:159], v[18:19]
	v_fma_f64 v[150:151], v[156:157], v[20:21], -v[14:15]
	s_waitcnt vmcnt(3)
	v_accvgpr_write_b32 a197, v123
	v_accvgpr_write_b32 a196, v122
	s_waitcnt vmcnt(0)
	v_pk_mov_b32 v[130:131], v[128:129], v[128:129] op_sel:[0,1]
	buffer_load_dword v141, off, s[0:3], 0 offset:596
	buffer_load_dword v140, off, s[0:3], 0 offset:592
	;; [unrolled: 1-line block ×5, first 2 shown]
	ds_read_b128 v[216:219], v236 offset:1440
	buffer_load_dword v133, off, s[0:3], 0 offset:652
	buffer_load_dword v135, off, s[0:3], 0 offset:636
	;; [unrolled: 1-line block ×3, first 2 shown]
	v_accvgpr_write_b32 a211, v131
	v_accvgpr_write_b32 a210, v130
	s_waitcnt lgkmcnt(0)
	v_mul_f64 v[222:223], v[216:217], v[52:53]
	v_fmac_f64_e32 v[222:223], v[218:219], v[54:55]
	v_add_f64 v[224:225], v[220:221], v[222:223]
	s_waitcnt vmcnt(4)
	v_accvgpr_write_b32 a213, v127
	s_waitcnt vmcnt(3)
	v_accvgpr_write_b32 a215, v129
	v_accvgpr_write_b32 a214, v128
	s_waitcnt vmcnt(0)
	v_pk_mov_b32 v[144:145], v[134:135], v[134:135] op_sel:[0,1]
	buffer_load_dword v135, off, s[0:3], 0 offset:628
	buffer_load_dword v134, off, s[0:3], 0 offset:624
	buffer_load_dword v132, off, s[0:3], 0 offset:648
	buffer_load_dword v17, off, s[0:3], 0 offset:644
	buffer_load_dword v16, off, s[0:3], 0 offset:640
	buffer_load_dword v13, off, s[0:3], 0 offset:668
	buffer_load_dword v12, off, s[0:3], 0 offset:664
	buffer_load_dword v143, off, s[0:3], 0 offset:660
	buffer_load_dword v142, off, s[0:3], 0 offset:656
	ds_read_b128 v[220:223], v236 offset:1456
	ds_read_b128 v[104:107], v236 offset:1472
	;; [unrolled: 1-line block ×5, first 2 shown]
	s_waitcnt lgkmcnt(4)
	v_mul_f64 v[6:7], v[220:221], v[56:57]
	v_fmac_f64_e32 v[6:7], v[222:223], v[58:59]
	v_add_f64 v[4:5], v[224:225], v[6:7]
	ds_read_b128 v[224:227], v236 offset:1504
	s_waitcnt lgkmcnt(4)
	v_mul_f64 v[6:7], v[104:105], v[62:63]
	v_fmac_f64_e32 v[6:7], v[106:107], v[64:65]
	v_add_f64 v[4:5], v[4:5], v[6:7]
	s_waitcnt lgkmcnt(3)
	v_mul_f64 v[6:7], v[108:109], v[66:67]
	v_fmac_f64_e32 v[6:7], v[110:111], v[68:69]
	s_waitcnt lgkmcnt(0)
	v_mul_f64 v[2:3], v[224:225], v[74:75]
	v_add_f64 v[4:5], v[4:5], v[6:7]
	v_fmac_f64_e32 v[2:3], v[226:227], v[76:77]
	v_add_f64 v[2:3], v[4:5], v[2:3]
	v_mul_f64 v[4:5], v[118:119], v[230:231]
	v_fma_f64 v[118:119], v[116:117], v[228:229], -v[4:5]
	ds_read_b128 v[228:231], v236 offset:1536
	v_mul_f64 v[4:5], v[112:113], v[78:79]
	v_fmac_f64_e32 v[4:5], v[114:115], v[80:81]
	v_accvgpr_read_b32 v146, a190
	v_add_f64 v[6:7], v[2:3], v[4:5]
	s_waitcnt lgkmcnt(0)
	v_mul_f64 v[8:9], v[228:229], v[86:87]
	v_fmac_f64_e32 v[8:9], v[230:231], v[88:89]
	v_accvgpr_read_b32 v147, a191
	v_add_f64 v[6:7], v[6:7], v[8:9]
	v_accvgpr_read_b32 v148, a192
	v_accvgpr_read_b32 v149, a193
	v_mul_f64 v[8:9], v[146:147], v[124:125]
	v_fmac_f64_e32 v[8:9], v[148:149], v[122:123]
	v_add_f64 v[46:47], v[6:7], v[8:9]
	v_fma_f64 v[116:117], v[152:153], v[42:43], -v[10:11]
	v_accvgpr_write_b32 a212, v126
	v_accvgpr_write_b32 a221, v145
	;; [unrolled: 1-line block ×3, first 2 shown]
	s_waitcnt vmcnt(4)
	v_accvgpr_write_b32 a229, v17
	v_accvgpr_write_b32 a228, v16
	s_waitcnt vmcnt(2)
	v_accvgpr_write_b32 a227, v13
	v_pk_mov_b32 v[138:139], v[132:133], v[132:133] op_sel:[0,1]
	buffer_load_dword v132, off, s[0:3], 0 offset:680
	buffer_load_dword v133, off, s[0:3], 0 offset:684
	ds_read_b128 v[4:7], v236 offset:1568
	ds_read_b128 v[122:125], v236 offset:1584
	;; [unrolled: 1-line block ×3, first 2 shown]
	v_accvgpr_write_b32 a226, v12
	v_accvgpr_write_b32 a225, v139
	s_waitcnt lgkmcnt(2)
	v_pk_mov_b32 v[8:9], v[6:7], v[6:7] op_sel:[0,1]
	v_pk_mov_b32 v[6:7], v[4:5], v[4:5] op_sel:[0,1]
	v_mul_f64 v[4:5], v[6:7], v[120:121]
	v_accvgpr_write_b32 a201, v9
	v_fmac_f64_e32 v[4:5], v[8:9], v[0:1]
	v_accvgpr_write_b32 a200, v8
	v_accvgpr_write_b32 a199, v7
	;; [unrolled: 1-line block ×3, first 2 shown]
	ds_read_b128 v[6:9], v236 offset:1600
	s_waitcnt lgkmcnt(2)
	v_mul_f64 v[18:19], v[122:123], v[130:131]
	v_add_f64 v[4:5], v[46:47], v[4:5]
	v_fmac_f64_e32 v[18:19], v[124:125], v[140:141]
	v_add_f64 v[4:5], v[4:5], v[18:19]
	s_waitcnt lgkmcnt(0)
	v_mul_f64 v[18:19], v[6:7], v[126:127]
	v_fmac_f64_e32 v[18:19], v[8:9], v[128:129]
	v_accvgpr_write_b32 a219, v125
	v_accvgpr_write_b32 a218, v124
	v_accvgpr_write_b32 a217, v123
	v_accvgpr_write_b32 a216, v122
	v_add_f64 v[42:43], v[4:5], v[18:19]
	v_mul_f64 v[4:5], v[162:163], v[24:25]
	v_fma_f64 v[46:47], v[160:161], v[36:37], -v[4:5]
	v_mul_f64 v[36:37], v[146:147], v[144:145]
	v_fmac_f64_e32 v[36:37], v[148:149], v[134:135]
	v_add_f64 v[36:37], v[42:43], v[36:37]
	v_accvgpr_write_b32 a209, v9
	v_accvgpr_write_b32 a208, v8
	;; [unrolled: 1-line block ×4, first 2 shown]
	v_mul_f64 v[8:9], v[166:167], v[26:27]
	v_fma_f64 v[18:19], v[38:39], v[50:51], -v[40:41]
	v_mul_f64 v[38:39], v[174:175], v[84:85]
	v_fma_f64 v[14:15], v[172:173], v[90:91], -v[38:39]
	v_mul_f64 v[38:39], v[178:179], v[242:243]
	v_mul_f64 v[40:41], v[186:187], v[250:251]
	v_fma_f64 v[250:251], v[184:185], v[252:253], -v[40:41]
	v_mul_f64 v[40:41], v[190:191], v[246:247]
	v_fma_f64 v[10:11], v[188:189], v[248:249], -v[40:41]
	v_mul_f64 v[40:41], v[194:195], v[254:255]
	v_fma_f64 v[254:255], v[192:193], v[44:45], -v[40:41]
	v_mul_f64 v[40:41], v[198:199], v[92:93]
	v_fma_f64 v[22:23], v[164:165], v[28:29], -v[8:9]
	v_fma_f64 v[8:9], v[196:197], v[94:95], -v[40:41]
	v_mul_f64 v[40:41], v[202:203], v[100:101]
	v_fma_f64 v[6:7], v[200:201], v[102:103], -v[40:41]
	v_fma_f64 v[164:165], v[30:31], v[98:99], -v[32:33]
	v_mul_f64 v[26:27], v[222:223], v[56:57]
	v_accvgpr_write_b32 a224, v138
	v_accvgpr_write_b32 a223, v135
	;; [unrolled: 1-line block ×3, first 2 shown]
	s_waitcnt vmcnt(0)
	v_pk_mov_b32 v[2:3], v[132:133], v[132:133] op_sel:[0,1]
	buffer_load_dword v132, off, s[0:3], 0 offset:672
	buffer_load_dword v133, off, s[0:3], 0 offset:676
	ds_read_b128 v[128:131], v236 offset:1632
	ds_read_b128 v[124:127], v236 offset:1648
	v_pk_mov_b32 v[134:135], v[2:3], v[2:3] op_sel:[0,1]
	s_waitcnt lgkmcnt(1)
	v_mul_f64 v[42:43], v[128:129], v[138:139]
	v_fmac_f64_e32 v[42:43], v[130:131], v[16:17]
	v_add_f64 v[36:37], v[36:37], v[42:43]
	s_waitcnt lgkmcnt(0)
	v_mul_f64 v[42:43], v[124:125], v[12:13]
	v_fmac_f64_e32 v[42:43], v[126:127], v[142:143]
	v_add_f64 v[42:43], v[36:37], v[42:43]
	ds_read_b128 v[34:37], v236 offset:1664
	ds_read_b128 v[120:123], v236 offset:1680
	buffer_load_dword v152, off, s[0:3], 0 offset:712
	buffer_load_dword v157, off, s[0:3], 0 offset:700
	;; [unrolled: 1-line block ×10, first 2 shown]
	v_mul_f64 v[12:13], v[170:171], v[96:97]
	v_fma_f64 v[16:17], v[168:169], v[204:205], -v[12:13]
	buffer_load_dword v169, off, s[0:3], 0 offset:732
	buffer_load_dword v168, off, s[0:3], 0 offset:728
	;; [unrolled: 1-line block ×14, first 2 shown]
	v_fma_f64 v[12:13], v[176:177], v[244:245], -v[38:39]
	buffer_load_dword v177, off, s[0:3], 0 offset:796
	buffer_load_dword v176, off, s[0:3], 0 offset:792
	;; [unrolled: 1-line block ×4, first 2 shown]
	v_mul_f64 v[38:39], v[182:183], v[206:207]
	buffer_load_dword v182, off, s[0:3], 0 offset:808
	buffer_load_dword v184, off, s[0:3], 0 offset:800
	;; [unrolled: 1-line block ×4, first 2 shown]
	v_fma_f64 v[232:233], v[180:181], v[232:233], -v[38:39]
	buffer_load_dword v181, off, s[0:3], 0 offset:844
	buffer_load_dword v187, off, s[0:3], 0 offset:828
	;; [unrolled: 1-line block ×12, first 2 shown]
	s_waitcnt lgkmcnt(1)
	v_mul_f64 v[38:39], v[34:35], v[2:3]
	buffer_load_dword v198, off, s[0:3], 0 offset:872
	buffer_load_dword v200, off, s[0:3], 0 offset:864
	;; [unrolled: 1-line block ×12, first 2 shown]
	v_fma_f64 v[138:139], v[220:221], v[58:59], -v[26:27]
	s_waitcnt vmcnt(56)
	v_fmac_f64_e32 v[38:39], v[36:37], v[132:133]
	v_add_f64 v[20:21], v[42:43], v[38:39]
	v_mul_f64 v[38:39], v[210:211], v[60:61]
	v_fma_f64 v[248:249], v[208:209], v[70:71], -v[38:39]
	buffer_load_dword v209, off, s[0:3], 0 offset:924
	buffer_load_dword v208, off, s[0:3], 0 offset:920
	;; [unrolled: 1-line block ×4, first 2 shown]
	ds_read_b128 v[38:41], v236 offset:1696
	ds_read_b128 v[30:33], v236 offset:1728
	;; [unrolled: 1-line block ×4, first 2 shown]
	s_waitcnt vmcnt(57) lgkmcnt(4)
	v_mul_f64 v[42:43], v[120:121], v[156:157]
	s_waitcnt vmcnt(55)
	v_fmac_f64_e32 v[42:43], v[122:123], v[158:159]
	v_add_f64 v[20:21], v[20:21], v[42:43]
	v_mul_f64 v[42:43], v[214:215], v[72:73]
	v_fma_f64 v[4:5], v[212:213], v[82:83], -v[42:43]
	ds_read_b128 v[42:45], v236 offset:1712
	s_waitcnt vmcnt(53) lgkmcnt(4)
	v_mul_f64 v[24:25], v[38:39], v[152:153]
	s_waitcnt vmcnt(52)
	v_fmac_f64_e32 v[24:25], v[40:41], v[160:161]
	v_add_f64 v[20:21], v[20:21], v[24:25]
	v_mul_f64 v[24:25], v[218:219], v[52:53]
	ds_read_b128 v[50:53], v236 offset:1744
	v_fma_f64 v[28:29], v[216:217], v[54:55], -v[24:25]
	s_waitcnt vmcnt(48) lgkmcnt(1)
	v_mul_f64 v[24:25], v[42:43], v[168:169]
	s_waitcnt vmcnt(46)
	v_fmac_f64_e32 v[24:25], v[44:45], v[170:171]
	ds_read_b128 v[54:57], v236 offset:1760
	v_add_f64 v[20:21], v[20:21], v[24:25]
	v_mul_f64 v[24:25], v[30:31], v[154:155]
	s_waitcnt vmcnt(44)
	v_fmac_f64_e32 v[24:25], v[32:33], v[166:167]
	v_add_f64 v[20:21], v[20:21], v[24:25]
	s_waitcnt vmcnt(40) lgkmcnt(1)
	v_mul_f64 v[24:25], v[50:51], v[172:173]
	s_waitcnt vmcnt(38)
	v_fmac_f64_e32 v[24:25], v[52:53], v[174:175]
	v_add_f64 v[20:21], v[20:21], v[24:25]
	s_waitcnt vmcnt(37) lgkmcnt(0)
	v_mul_f64 v[24:25], v[54:55], v[162:163]
	s_waitcnt vmcnt(36)
	v_fmac_f64_e32 v[24:25], v[56:57], v[242:243]
	v_add_f64 v[20:21], v[20:21], v[24:25]
	v_mul_f64 v[24:25], v[106:107], v[62:63]
	v_fma_f64 v[252:253], v[104:105], v[64:65], -v[24:25]
	ds_read_b128 v[62:65], v236 offset:1792
	s_waitcnt vmcnt(34)
	v_mul_f64 v[24:25], v[58:59], v[176:177]
	s_waitcnt vmcnt(32)
	v_fmac_f64_e32 v[24:25], v[60:61], v[178:179]
	v_add_f64 v[20:21], v[20:21], v[24:25]
	v_mul_f64 v[24:25], v[110:111], v[66:67]
	v_fma_f64 v[2:3], v[108:109], v[68:69], -v[24:25]
	ds_read_b128 v[66:69], v236 offset:1808
	s_waitcnt vmcnt(29) lgkmcnt(1)
	v_mul_f64 v[24:25], v[62:63], v[182:183]
	s_waitcnt vmcnt(28)
	v_fmac_f64_e32 v[24:25], v[64:65], v[184:185]
	v_add_f64 v[20:21], v[20:21], v[24:25]
	ds_read_b128 v[70:73], v236 offset:1824
	v_mul_f64 v[24:25], v[226:227], v[74:75]
	v_fma_f64 v[48:49], v[224:225], v[76:77], -v[24:25]
	ds_read_b128 v[74:77], v236 offset:1840
	s_waitcnt vmcnt(25) lgkmcnt(2)
	v_mul_f64 v[24:25], v[66:67], v[186:187]
	s_waitcnt vmcnt(23)
	v_fmac_f64_e32 v[24:25], v[68:69], v[192:193]
	v_add_f64 v[20:21], v[20:21], v[24:25]
	s_waitcnt vmcnt(22) lgkmcnt(1)
	v_mul_f64 v[24:25], v[70:71], v[180:181]
	s_waitcnt vmcnt(20)
	v_fmac_f64_e32 v[24:25], v[72:73], v[190:191]
	s_waitcnt vmcnt(18) lgkmcnt(0)
	v_mul_f64 v[26:27], v[74:75], v[188:189]
	v_add_f64 v[24:25], v[20:21], v[24:25]
	s_waitcnt vmcnt(16)
	v_fmac_f64_e32 v[26:27], v[76:77], v[194:195]
	v_mul_f64 v[20:21], v[114:115], v[78:79]
	v_add_f64 v[24:25], v[24:25], v[26:27]
	v_mul_f64 v[26:27], v[230:231], v[86:87]
	v_fma_f64 v[20:21], v[112:113], v[80:81], -v[20:21]
	ds_read_b128 v[82:85], v236 offset:1856
	ds_read_b128 v[78:81], v236 offset:1872
	v_fma_f64 v[114:115], v[228:229], v[88:89], -v[26:27]
	ds_read_b128 v[86:89], v236 offset:1888
	buffer_load_dword v212, off, s[0:3], 0 offset:936
	buffer_load_dword v213, off, s[0:3], 0 offset:940
	buffer_load_dword v214, off, s[0:3], 0 offset:928
	buffer_load_dword v215, off, s[0:3], 0 offset:932
	ds_read_b128 v[94:97], v236 offset:1920
	buffer_load_dword v217, off, s[0:3], 0 offset:956
	buffer_load_dword v216, off, s[0:3], 0 offset:952
	buffer_load_dword v219, off, s[0:3], 0 offset:948
	buffer_load_dword v218, off, s[0:3], 0 offset:944
	;; [unrolled: 5-line block ×6, first 2 shown]
	s_waitcnt vmcnt(37) lgkmcnt(7)
	v_mul_f64 v[26:27], v[82:83], v[198:199]
	s_waitcnt vmcnt(36)
	v_fmac_f64_e32 v[26:27], v[84:85], v[200:201]
	v_add_f64 v[24:25], v[24:25], v[26:27]
	s_waitcnt vmcnt(33) lgkmcnt(6)
	v_mul_f64 v[26:27], v[78:79], v[204:205]
	s_waitcnt vmcnt(31)
	v_fmac_f64_e32 v[26:27], v[80:81], v[206:207]
	v_add_f64 v[24:25], v[24:25], v[26:27]
	;; [unrolled: 5-line block ×3, first 2 shown]
	s_waitcnt vmcnt(26)
	v_mul_f64 v[26:27], v[90:91], v[208:209]
	s_waitcnt vmcnt(24)
	v_fmac_f64_e32 v[26:27], v[92:93], v[210:211]
	v_add_f64 v[24:25], v[24:25], v[26:27]
	s_waitcnt vmcnt(22) lgkmcnt(4)
	v_mul_f64 v[26:27], v[94:95], v[212:213]
	s_waitcnt vmcnt(20)
	v_fmac_f64_e32 v[26:27], v[96:97], v[214:215]
	v_add_f64 v[24:25], v[24:25], v[26:27]
	s_waitcnt vmcnt(18) lgkmcnt(3)
	;; [unrolled: 5-line block ×5, first 2 shown]
	v_mul_f64 v[26:27], v[110:111], v[228:229]
	s_waitcnt vmcnt(4)
	v_fmac_f64_e32 v[26:27], v[112:113], v[230:231]
	v_add_f64 v[0:1], v[24:25], v[26:27]
	ds_read_b128 v[24:27], v236 offset:2000
	s_waitcnt vmcnt(2) lgkmcnt(0)
	v_mul_f64 v[144:145], v[24:25], v[244:245]
	s_waitcnt vmcnt(0)
	v_fmac_f64_e32 v[144:145], v[26:27], v[246:247]
	v_add_f64 v[0:1], v[0:1], v[144:145]
	v_add_f64 v[144:145], v[234:235], 0
	;; [unrolled: 1-line block ×23, first 2 shown]
	buffer_load_dword v254, off, s[0:3], 0 offset:80
	buffer_load_dword v255, off, s[0:3], 0 offset:84
	;; [unrolled: 1-line block ×4, first 2 shown]
	v_add_f64 v[4:5], v[4:5], v[28:29]
	v_add_f64 v[4:5], v[4:5], v[138:139]
	;; [unrolled: 1-line block ×4, first 2 shown]
	v_accvgpr_read_b32 v6, a190
	v_accvgpr_read_b32 v4, a194
	;; [unrolled: 1-line block ×5, first 2 shown]
	v_add_f64 v[234:235], v[2:3], v[48:49]
	v_mul_f64 v[4:5], v[8:9], v[4:5]
	v_accvgpr_read_b32 v8, a196
	v_add_f64 v[2:3], v[234:235], v[20:21]
	v_accvgpr_read_b32 v7, a191
	v_accvgpr_read_b32 v9, a197
	v_add_f64 v[2:3], v[2:3], v[114:115]
	v_fma_f64 v[4:5], v[6:7], v[8:9], -v[4:5]
	v_add_f64 v[2:3], v[2:3], v[4:5]
	v_accvgpr_read_b32 v6, a198
	v_accvgpr_read_b32 v4, a202
	v_accvgpr_read_b32 v8, a200
	v_accvgpr_read_b32 v9, a201
	v_accvgpr_read_b32 v5, a203
	v_mul_f64 v[4:5], v[8:9], v[4:5]
	v_accvgpr_read_b32 v8, a204
	v_accvgpr_read_b32 v7, a199
	;; [unrolled: 1-line block ×3, first 2 shown]
	v_fma_f64 v[4:5], v[6:7], v[8:9], -v[4:5]
	v_add_f64 v[2:3], v[2:3], v[4:5]
	v_accvgpr_read_b32 v4, a210
	v_accvgpr_read_b32 v6, a216
	;; [unrolled: 1-line block ×6, first 2 shown]
	v_mul_f64 v[4:5], v[8:9], v[4:5]
	v_fma_f64 v[4:5], v[6:7], v[140:141], -v[4:5]
	v_add_f64 v[2:3], v[2:3], v[4:5]
	v_accvgpr_read_b32 v6, a206
	v_accvgpr_read_b32 v4, a212
	;; [unrolled: 1-line block ×5, first 2 shown]
	v_mul_f64 v[4:5], v[8:9], v[4:5]
	v_accvgpr_read_b32 v8, a214
	v_accvgpr_read_b32 v7, a207
	;; [unrolled: 1-line block ×3, first 2 shown]
	v_fma_f64 v[4:5], v[6:7], v[8:9], -v[4:5]
	v_add_f64 v[2:3], v[2:3], v[4:5]
	v_accvgpr_read_b32 v4, a220
	v_accvgpr_read_b32 v5, a221
	;; [unrolled: 1-line block ×3, first 2 shown]
	v_mul_f64 v[4:5], v[148:149], v[4:5]
	v_accvgpr_read_b32 v7, a223
	v_fma_f64 v[4:5], v[146:147], v[6:7], -v[4:5]
	v_add_f64 v[2:3], v[2:3], v[4:5]
	v_accvgpr_read_b32 v4, a224
	v_accvgpr_read_b32 v5, a225
	;; [unrolled: 1-line block ×3, first 2 shown]
	v_mul_f64 v[4:5], v[130:131], v[4:5]
	v_accvgpr_read_b32 v7, a229
	v_fma_f64 v[4:5], v[128:129], v[6:7], -v[4:5]
	v_add_f64 v[2:3], v[2:3], v[4:5]
	v_accvgpr_read_b32 v4, a226
	v_accvgpr_read_b32 v5, a227
	v_mul_f64 v[4:5], v[126:127], v[4:5]
	v_fma_f64 v[4:5], v[124:125], v[142:143], -v[4:5]
	v_add_f64 v[2:3], v[2:3], v[4:5]
	v_mul_f64 v[4:5], v[36:37], v[134:135]
	v_fma_f64 v[4:5], v[34:35], v[132:133], -v[4:5]
	v_add_f64 v[2:3], v[2:3], v[4:5]
	;; [unrolled: 3-line block ×23, first 2 shown]
	s_waitcnt vmcnt(2)
	v_add_f64 v[2:3], v[254:255], -v[2:3]
	s_waitcnt vmcnt(0)
	v_add_f64 v[0:1], v[250:251], -v[0:1]
	buffer_store_dword v3, off, s[0:3], 0 offset:84
	buffer_store_dword v2, off, s[0:3], 0 offset:80
	;; [unrolled: 1-line block ×4, first 2 shown]
	v_accvgpr_read_b32 v0, a188
	v_cmp_lt_u32_e32 vcc, 3, v0
	s_and_saveexec_b64 s[4:5], vcc
	s_cbranch_execz .LBB62_397
; %bb.396:
	v_accvgpr_read_b32 v0, a185
	buffer_load_dword v2, v0, s[0:3], 0 offen
	buffer_load_dword v3, v0, s[0:3], 0 offen offset:4
	buffer_load_dword v4, v0, s[0:3], 0 offen offset:8
	;; [unrolled: 1-line block ×3, first 2 shown]
	v_mov_b32_e32 v0, 0
	v_accvgpr_read_b32 v1, a189
	buffer_store_dword v0, off, s[0:3], 0 offset:64
	buffer_store_dword v0, off, s[0:3], 0 offset:68
	;; [unrolled: 1-line block ×4, first 2 shown]
	s_waitcnt vmcnt(4)
	ds_write_b128 v1, v[2:5]
.LBB62_397:
	s_or_b64 exec, exec, s[4:5]
	s_waitcnt lgkmcnt(0)
	; wave barrier
	s_waitcnt lgkmcnt(0)
	buffer_load_dword v0, off, s[0:3], 0 offset:80
	buffer_load_dword v1, off, s[0:3], 0 offset:84
	;; [unrolled: 1-line block ×54, first 2 shown]
	v_mov_b32_e32 v240, 0
	ds_read_b128 v[116:119], v240 offset:1072
	ds_read_b128 v[140:143], v240 offset:1088
	;; [unrolled: 1-line block ×9, first 2 shown]
	s_waitcnt vmcnt(50) lgkmcnt(8)
	v_mul_f64 v[2:3], v[116:117], v[10:11]
	v_fmac_f64_e32 v[2:3], v[118:119], v[0:1]
	v_add_f64 v[2:3], v[2:3], 0
	v_mul_f64 v[10:11], v[118:119], v[10:11]
	s_waitcnt vmcnt(46) lgkmcnt(7)
	v_mul_f64 v[4:5], v[140:141], v[6:7]
	v_fmac_f64_e32 v[4:5], v[142:143], v[20:21]
	s_waitcnt vmcnt(44) lgkmcnt(6)
	v_mul_f64 v[46:47], v[144:145], v[252:253]
	v_add_f64 v[2:3], v[2:3], v[4:5]
	s_waitcnt vmcnt(42) lgkmcnt(4)
	v_mul_f64 v[56:57], v[152:153], v[242:243]
	v_fma_f64 v[0:1], v[116:117], v[0:1], -v[10:11]
	s_waitcnt vmcnt(40)
	v_fmac_f64_e32 v[56:57], v[154:155], v[8:9]
	v_accvgpr_write_b32 a231, v1
	s_waitcnt vmcnt(38)
	v_mul_f64 v[50:51], v[148:149], v[78:79]
	v_accvgpr_write_b32 a230, v0
	s_waitcnt vmcnt(36) lgkmcnt(2)
	v_mul_f64 v[60:61], v[160:161], v[136:137]
	s_waitcnt vmcnt(34)
	v_fmac_f64_e32 v[60:61], v[162:163], v[18:19]
	s_waitcnt vmcnt(32)
	v_mul_f64 v[58:59], v[156:157], v[28:29]
	v_mul_f64 v[10:11], v[158:159], v[28:29]
	s_waitcnt vmcnt(30) lgkmcnt(1)
	v_mul_f64 v[80:81], v[164:165], v[22:23]
	s_waitcnt vmcnt(28)
	v_fmac_f64_e32 v[46:47], v[146:147], v[138:139]
	v_add_f64 v[2:3], v[2:3], v[46:47]
	s_waitcnt vmcnt(26)
	v_fmac_f64_e32 v[50:51], v[150:151], v[122:123]
	v_add_f64 v[2:3], v[2:3], v[50:51]
	;; [unrolled: 3-line block ×3, first 2 shown]
	v_add_f64 v[2:3], v[2:3], v[58:59]
	v_add_f64 v[2:3], v[2:3], v[60:61]
	buffer_load_dword v111, off, s[0:3], 0 offset:308
	buffer_load_dword v110, off, s[0:3], 0 offset:304
	buffer_load_dword v31, off, s[0:3], 0 offset:300
	buffer_load_dword v30, off, s[0:3], 0 offset:296
	buffer_load_dword v33, off, s[0:3], 0 offset:292
	buffer_load_dword v32, off, s[0:3], 0 offset:288
	buffer_load_dword v95, off, s[0:3], 0 offset:348
	buffer_load_dword v94, off, s[0:3], 0 offset:344
	buffer_load_dword v99, off, s[0:3], 0 offset:340
	buffer_load_dword v98, off, s[0:3], 0 offset:336
	buffer_load_dword v35, off, s[0:3], 0 offset:332
	buffer_load_dword v34, off, s[0:3], 0 offset:328
	buffer_load_dword v115, off, s[0:3], 0 offset:324
	buffer_load_dword v114, off, s[0:3], 0 offset:320
	buffer_load_dword v93, off, s[0:3], 0 offset:380
	buffer_load_dword v92, off, s[0:3], 0 offset:376
	buffer_load_dword v97, off, s[0:3], 0 offset:372
	buffer_load_dword v96, off, s[0:3], 0 offset:368
	buffer_load_dword v109, off, s[0:3], 0 offset:364
	buffer_load_dword v108, off, s[0:3], 0 offset:360
	buffer_load_dword v113, off, s[0:3], 0 offset:356
	buffer_load_dword v112, off, s[0:3], 0 offset:352
	buffer_load_dword v91, off, s[0:3], 0 offset:412
	buffer_load_dword v90, off, s[0:3], 0 offset:408
	buffer_load_dword v85, off, s[0:3], 0 offset:404
	buffer_load_dword v84, off, s[0:3], 0 offset:400
	buffer_load_dword v103, off, s[0:3], 0 offset:396
	buffer_load_dword v102, off, s[0:3], 0 offset:392
	buffer_load_dword v107, off, s[0:3], 0 offset:388
	buffer_load_dword v106, off, s[0:3], 0 offset:384
	buffer_load_dword v47, off, s[0:3], 0 offset:444
	buffer_load_dword v46, off, s[0:3], 0 offset:440
	buffer_load_dword v51, off, s[0:3], 0 offset:436
	buffer_load_dword v50, off, s[0:3], 0 offset:432
	buffer_load_dword v69, off, s[0:3], 0 offset:428
	buffer_load_dword v68, off, s[0:3], 0 offset:424
	buffer_load_dword v83, off, s[0:3], 0 offset:420
	buffer_load_dword v82, off, s[0:3], 0 offset:416
	buffer_load_dword v59, off, s[0:3], 0 offset:476
	buffer_load_dword v58, off, s[0:3], 0 offset:472
	buffer_load_dword v61, off, s[0:3], 0 offset:468
	buffer_load_dword v60, off, s[0:3], 0 offset:464
	buffer_load_dword v57, off, s[0:3], 0 offset:460
	buffer_load_dword v56, off, s[0:3], 0 offset:456
	buffer_load_dword v67, off, s[0:3], 0 offset:452
	buffer_load_dword v66, off, s[0:3], 0 offset:448
	buffer_load_dword v71, off, s[0:3], 0 offset:508
	buffer_load_dword v70, off, s[0:3], 0 offset:504
	buffer_load_dword v73, off, s[0:3], 0 offset:500
	buffer_load_dword v72, off, s[0:3], 0 offset:496
	buffer_load_dword v63, off, s[0:3], 0 offset:492
	buffer_load_dword v62, off, s[0:3], 0 offset:488
	buffer_load_dword v65, off, s[0:3], 0 offset:484
	buffer_load_dword v64, off, s[0:3], 0 offset:480
	buffer_load_dword v233, off, s[0:3], 0 offset:540
	buffer_load_dword v232, off, s[0:3], 0 offset:536
	buffer_load_dword v25, off, s[0:3], 0 offset:532
	buffer_load_dword v24, off, s[0:3], 0 offset:528
	buffer_load_dword v75, off, s[0:3], 0 offset:524
	buffer_load_dword v74, off, s[0:3], 0 offset:520
	buffer_load_dword v77, off, s[0:3], 0 offset:516
	buffer_load_dword v76, off, s[0:3], 0 offset:512
	ds_read_b128 v[172:175], v240 offset:1216
	ds_read_b128 v[176:179], v240 offset:1232
	s_waitcnt vmcnt(62)
	v_fmac_f64_e32 v[80:81], v[166:167], v[26:27]
	v_add_f64 v[2:3], v[2:3], v[80:81]
	s_waitcnt lgkmcnt(2)
	v_mul_f64 v[80:81], v[168:169], v[234:235]
	v_fmac_f64_e32 v[80:81], v[170:171], v[36:37]
	ds_read_b128 v[180:183], v240 offset:1248
	ds_read_b128 v[184:187], v240 offset:1264
	v_add_f64 v[2:3], v[2:3], v[80:81]
	s_waitcnt lgkmcnt(3)
	v_mul_f64 v[80:81], v[172:173], v[42:43]
	v_fmac_f64_e32 v[80:81], v[174:175], v[44:45]
	v_add_f64 v[2:3], v[2:3], v[80:81]
	s_waitcnt lgkmcnt(2)
	v_mul_f64 v[80:81], v[176:177], v[38:39]
	v_fmac_f64_e32 v[80:81], v[178:179], v[40:41]
	ds_read_b128 v[188:191], v240 offset:1280
	ds_read_b128 v[192:195], v240 offset:1296
	v_add_f64 v[2:3], v[2:3], v[80:81]
	s_waitcnt lgkmcnt(3)
	v_mul_f64 v[80:81], v[180:181], v[86:87]
	v_fmac_f64_e32 v[80:81], v[182:183], v[88:89]
	v_add_f64 v[2:3], v[2:3], v[80:81]
	s_waitcnt lgkmcnt(2)
	v_mul_f64 v[80:81], v[184:185], v[52:53]
	v_fmac_f64_e32 v[80:81], v[186:187], v[54:55]
	ds_read_b128 v[196:199], v240 offset:1312
	ds_read_b128 v[200:203], v240 offset:1328
	v_add_f64 v[2:3], v[2:3], v[80:81]
	s_waitcnt vmcnt(58) lgkmcnt(3)
	v_mul_f64 v[80:81], v[188:189], v[30:31]
	s_waitcnt vmcnt(56)
	v_fmac_f64_e32 v[80:81], v[190:191], v[32:33]
	v_add_f64 v[2:3], v[2:3], v[80:81]
	s_waitcnt lgkmcnt(2)
	v_mul_f64 v[80:81], v[192:193], v[48:49]
	v_fmac_f64_e32 v[80:81], v[194:195], v[110:111]
	ds_read_b128 v[204:207], v240 offset:1344
	ds_read_b128 v[208:211], v240 offset:1360
	v_add_f64 v[2:3], v[2:3], v[80:81]
	s_waitcnt vmcnt(50) lgkmcnt(3)
	v_mul_f64 v[80:81], v[196:197], v[34:35]
	s_waitcnt vmcnt(48)
	;; [unrolled: 11-line block ×3, first 2 shown]
	v_fmac_f64_e32 v[80:81], v[206:207], v[112:113]
	v_add_f64 v[2:3], v[2:3], v[80:81]
	s_waitcnt lgkmcnt(2)
	v_mul_f64 v[80:81], v[208:209], v[92:93]
	v_fmac_f64_e32 v[80:81], v[210:211], v[96:97]
	v_add_f64 v[2:3], v[2:3], v[80:81]
	s_waitcnt vmcnt(34) lgkmcnt(1)
	v_mul_f64 v[80:81], v[212:213], v[102:103]
	s_waitcnt vmcnt(32)
	v_fmac_f64_e32 v[80:81], v[214:215], v[106:107]
	v_add_f64 v[2:3], v[2:3], v[80:81]
	s_waitcnt lgkmcnt(0)
	v_mul_f64 v[80:81], v[216:217], v[90:91]
	v_fmac_f64_e32 v[80:81], v[218:219], v[84:85]
	buffer_load_dword v15, off, s[0:3], 0 offset:572
	buffer_load_dword v101, off, s[0:3], 0 offset:556
	;; [unrolled: 1-line block ×8, first 2 shown]
	ds_read_b128 v[220:223], v240 offset:1408
	v_add_f64 v[2:3], v[2:3], v[80:81]
	buffer_load_dword v81, off, s[0:3], 0 offset:588
	buffer_load_dword v80, off, s[0:3], 0 offset:584
	v_mul_f64 v[30:31], v[190:191], v[30:31]
	s_waitcnt vmcnt(4)
	v_accvgpr_write_b32 a195, v15
	v_accvgpr_write_b32 a194, v14
	s_waitcnt vmcnt(2)
	v_accvgpr_write_b32 a197, v135
	v_accvgpr_write_b32 a196, v134
	s_waitcnt vmcnt(0)
	v_pk_mov_b32 v[126:127], v[80:81], v[80:81] op_sel:[0,1]
	buffer_load_dword v81, off, s[0:3], 0 offset:580
	buffer_load_dword v80, off, s[0:3], 0 offset:576
	ds_read_b128 v[224:227], v240 offset:1424
	v_accvgpr_write_b32 a203, v127
	v_accvgpr_write_b32 a202, v126
	s_waitcnt vmcnt(0)
	v_pk_mov_b32 v[130:131], v[80:81], v[80:81] op_sel:[0,1]
	buffer_load_dword v81, off, s[0:3], 0 offset:604
	buffer_load_dword v80, off, s[0:3], 0 offset:600
	;; [unrolled: 1-line block ×8, first 2 shown]
	ds_read_b128 v[228:231], v240 offset:1440
	buffer_load_dword v4, off, s[0:3], 0 offset:632
	buffer_load_dword v128, off, s[0:3], 0 offset:624
	;; [unrolled: 1-line block ×4, first 2 shown]
	ds_read_b128 v[244:247], v240 offset:1456
	ds_read_b128 v[248:251], v240 offset:1472
	v_accvgpr_write_b32 a205, v131
	v_accvgpr_write_b32 a204, v130
	s_waitcnt lgkmcnt(1)
	v_mul_f64 v[0:1], v[244:245], v[58:59]
	v_fmac_f64_e32 v[0:1], v[246:247], v[60:61]
	v_mul_f64 v[58:59], v[246:247], v[58:59]
	s_waitcnt vmcnt(8)
	v_accvgpr_write_b32 a219, v17
	v_accvgpr_write_b32 a218, v16
	s_waitcnt vmcnt(6)
	v_accvgpr_write_b32 a217, v13
	v_pk_mov_b32 v[132:133], v[80:81], v[80:81] op_sel:[0,1]
	v_mul_f64 v[80:81], v[220:221], v[68:69]
	v_fmac_f64_e32 v[80:81], v[222:223], v[82:83]
	v_add_f64 v[2:3], v[2:3], v[80:81]
	v_mul_f64 v[80:81], v[224:225], v[46:47]
	v_fmac_f64_e32 v[80:81], v[226:227], v[50:51]
	v_add_f64 v[2:3], v[2:3], v[80:81]
	;; [unrolled: 3-line block ×3, first 2 shown]
	v_add_f64 v[0:1], v[2:3], v[0:1]
	v_mul_f64 v[2:3], v[142:143], v[6:7]
	v_fma_f64 v[2:3], v[140:141], v[20:21], -v[2:3]
	buffer_load_dword v21, off, s[0:3], 0 offset:668
	buffer_load_dword v119, off, s[0:3], 0 offset:652
	;; [unrolled: 1-line block ×8, first 2 shown]
	v_accvgpr_write_b32 a233, v3
	v_accvgpr_write_b32 a232, v2
	v_mul_f64 v[2:3], v[146:147], v[252:253]
	ds_read_b128 v[252:255], v240 offset:1488
	v_mul_f64 v[6:7], v[150:151], v[78:79]
	ds_read_b128 v[78:81], v240 offset:1504
	v_fma_f64 v[144:145], v[144:145], v[138:139], -v[2:3]
	s_waitcnt lgkmcnt(2)
	v_mul_f64 v[2:3], v[248:249], v[62:63]
	v_fmac_f64_e32 v[2:3], v[250:251], v[64:65]
	v_add_f64 v[0:1], v[0:1], v[2:3]
	s_waitcnt lgkmcnt(1)
	v_mul_f64 v[2:3], v[252:253], v[70:71]
	v_fmac_f64_e32 v[2:3], v[254:255], v[72:73]
	v_add_f64 v[0:1], v[0:1], v[2:3]
	s_waitcnt lgkmcnt(0)
	v_mul_f64 v[2:3], v[78:79], v[74:75]
	v_fmac_f64_e32 v[2:3], v[80:81], v[76:77]
	ds_read_b128 v[140:143], v240 offset:1520
	v_fma_f64 v[138:139], v[148:149], v[122:123], -v[6:7]
	v_add_f64 v[6:7], v[0:1], v[2:3]
	v_mul_f64 v[0:1], v[154:155], v[242:243]
	v_fma_f64 v[150:151], v[152:153], v[8:9], -v[0:1]
	ds_read_b128 v[0:3], v240 offset:1536
	v_fma_f64 v[242:243], v[156:157], v[120:121], -v[10:11]
	ds_read_b128 v[120:123], v240 offset:1552
	ds_read_b128 v[146:149], v240 offset:1568
	s_waitcnt lgkmcnt(3)
	v_mul_f64 v[8:9], v[140:141], v[232:233]
	v_fmac_f64_e32 v[8:9], v[142:143], v[24:25]
	v_add_f64 v[6:7], v[6:7], v[8:9]
	s_waitcnt lgkmcnt(2)
	v_mul_f64 v[8:9], v[0:1], v[100:101]
	v_fmac_f64_e32 v[8:9], v[2:3], v[104:105]
	v_add_f64 v[6:7], v[6:7], v[8:9]
	s_waitcnt lgkmcnt(1)
	v_mul_f64 v[8:9], v[120:121], v[14:15]
	v_fmac_f64_e32 v[8:9], v[122:123], v[134:135]
	v_mul_f64 v[10:11], v[162:163], v[136:137]
	ds_read_b128 v[134:137], v240 offset:1584
	ds_read_b128 v[152:155], v240 offset:1600
	v_accvgpr_write_b32 a193, v123
	v_accvgpr_write_b32 a192, v122
	;; [unrolled: 1-line block ×4, first 2 shown]
	v_fma_f64 v[122:123], v[160:161], v[18:19], -v[10:11]
	s_waitcnt lgkmcnt(1)
	v_mul_f64 v[18:19], v[134:135], v[132:133]
	v_accvgpr_write_b32 a209, v137
	v_fmac_f64_e32 v[18:19], v[136:137], v[16:17]
	v_accvgpr_write_b32 a208, v136
	v_accvgpr_write_b32 a207, v135
	v_accvgpr_write_b32 a206, v134
	ds_read_b128 v[134:137], v240 offset:1616
	v_add_f64 v[28:29], v[6:7], v[8:9]
	v_mul_f64 v[8:9], v[146:147], v[126:127]
	v_fmac_f64_e32 v[8:9], v[148:149], v[130:131]
	v_accvgpr_write_b32 a201, v149
	v_mul_f64 v[14:15], v[166:167], v[22:23]
	v_add_f64 v[8:9], v[28:29], v[8:9]
	v_accvgpr_write_b32 a200, v148
	v_accvgpr_write_b32 a199, v147
	;; [unrolled: 1-line block ×3, first 2 shown]
	v_fma_f64 v[148:149], v[164:165], v[26:27], -v[14:15]
	ds_read_b128 v[14:17], v240 offset:1632
	v_add_f64 v[8:9], v[8:9], v[18:19]
	s_waitcnt lgkmcnt(2)
	v_mul_f64 v[18:19], v[152:153], v[12:13]
	v_accvgpr_write_b32 a213, v155
	s_waitcnt vmcnt(12)
	v_accvgpr_write_b32 a221, v125
	s_waitcnt vmcnt(9) lgkmcnt(1)
	v_mul_f64 v[26:27], v[134:135], v[4:5]
	v_fmac_f64_e32 v[18:19], v[154:155], v[124:125]
	v_accvgpr_write_b32 a212, v154
	v_accvgpr_write_b32 a211, v153
	;; [unrolled: 1-line block ×4, first 2 shown]
	s_waitcnt vmcnt(8)
	v_fmac_f64_e32 v[26:27], v[136:137], v[128:129]
	v_pk_mov_b32 v[146:147], v[128:129], v[128:129] op_sel:[0,1]
	buffer_load_dword v129, off, s[0:3], 0 offset:700
	buffer_load_dword v128, off, s[0:3], 0 offset:696
	buffer_load_dword v125, off, s[0:3], 0 offset:692
	buffer_load_dword v124, off, s[0:3], 0 offset:688
	buffer_load_dword v155, off, s[0:3], 0 offset:684
	buffer_load_dword v154, off, s[0:3], 0 offset:680
	buffer_load_dword v159, off, s[0:3], 0 offset:676
	buffer_load_dword v158, off, s[0:3], 0 offset:672
	buffer_load_dword v152, off, s[0:3], 0 offset:728
	buffer_load_dword v157, off, s[0:3], 0 offset:716
	buffer_load_dword v156, off, s[0:3], 0 offset:712
	buffer_load_dword v161, off, s[0:3], 0 offset:708
	buffer_load_dword v160, off, s[0:3], 0 offset:704
	v_accvgpr_write_b32 a215, v133
	v_accvgpr_write_b32 a214, v132
	ds_read_b128 v[130:133], v240 offset:1648
	buffer_load_dword v162, off, s[0:3], 0 offset:720
	buffer_load_dword v153, off, s[0:3], 0 offset:732
	;; [unrolled: 1-line block ×3, first 2 shown]
	v_mul_f64 v[22:23], v[170:171], v[234:235]
	v_fma_f64 v[234:235], v[168:169], v[36:37], -v[22:23]
	buffer_load_dword v165, off, s[0:3], 0 offset:764
	buffer_load_dword v167, off, s[0:3], 0 offset:748
	;; [unrolled: 1-line block ×8, first 2 shown]
	v_add_f64 v[8:9], v[8:9], v[18:19]
	v_add_f64 v[36:37], v[8:9], v[26:27]
	v_mul_f64 v[26:27], v[174:175], v[42:43]
	v_accvgpr_write_b32 a216, v12
	v_fma_f64 v[116:117], v[172:173], v[44:45], -v[26:27]
	v_mul_f64 v[12:13], v[178:179], v[38:39]
	v_mul_f64 v[26:27], v[182:183], v[86:87]
	v_fma_f64 v[18:19], v[176:177], v[40:41], -v[12:13]
	v_fma_f64 v[176:177], v[180:181], v[88:89], -v[26:27]
	;; [unrolled: 1-line block ×3, first 2 shown]
	ds_read_b128 v[30:33], v240 offset:1664
	buffer_load_dword v173, off, s[0:3], 0 offset:780
	buffer_load_dword v172, off, s[0:3], 0 offset:776
	buffer_load_dword v175, off, s[0:3], 0 offset:772
	buffer_load_dword v174, off, s[0:3], 0 offset:768
	s_waitcnt vmcnt(33) lgkmcnt(2)
	v_mul_f64 v[38:39], v[14:15], v[118:119]
	v_accvgpr_write_b32 a227, v17
	s_waitcnt vmcnt(31)
	v_fmac_f64_e32 v[38:39], v[16:17], v[236:237]
	v_accvgpr_write_b32 a226, v16
	v_accvgpr_write_b32 a225, v15
	;; [unrolled: 1-line block ×3, first 2 shown]
	v_mul_f64 v[16:17], v[198:199], v[34:35]
	v_fma_f64 v[16:17], v[196:197], v[114:115], -v[16:17]
	buffer_load_dword v115, off, s[0:3], 0 offset:796
	buffer_load_dword v114, off, s[0:3], 0 offset:792
	;; [unrolled: 1-line block ×8, first 2 shown]
	v_add_f64 v[36:37], v[36:37], v[38:39]
	s_waitcnt vmcnt(38) lgkmcnt(1)
	v_mul_f64 v[38:39], v[130:131], v[20:21]
	s_waitcnt vmcnt(36)
	v_fmac_f64_e32 v[38:39], v[132:133], v[238:239]
	v_add_f64 v[42:43], v[36:37], v[38:39]
	v_mul_f64 v[36:37], v[186:187], v[52:53]
	v_fma_f64 v[86:87], v[184:185], v[54:55], -v[36:37]
	buffer_load_dword v184, off, s[0:3], 0 offset:824
	buffer_load_dword v186, off, s[0:3], 0 offset:816
	;; [unrolled: 1-line block ×8, first 2 shown]
	v_mul_f64 v[36:37], v[194:195], v[48:49]
	buffer_load_dword v195, off, s[0:3], 0 offset:860
	buffer_load_dword v194, off, s[0:3], 0 offset:856
	;; [unrolled: 1-line block ×4, first 2 shown]
	v_mul_f64 v[34:35], v[202:203], v[94:95]
	v_mul_f64 v[22:23], v[206:207], v[108:109]
	v_fma_f64 v[14:15], v[192:193], v[110:111], -v[36:37]
	v_fma_f64 v[12:13], v[200:201], v[98:99], -v[34:35]
	v_fma_f64 v[22:23], v[204:205], v[112:113], -v[22:23]
	buffer_load_dword v193, off, s[0:3], 0 offset:892
	buffer_load_dword v199, off, s[0:3], 0 offset:876
	;; [unrolled: 1-line block ×12, first 2 shown]
	v_mul_f64 v[34:35], v[210:211], v[92:93]
	v_fma_f64 v[208:209], v[208:209], v[96:97], -v[34:35]
	v_mul_f64 v[34:35], v[214:215], v[102:103]
	v_fma_f64 v[210:211], v[212:213], v[106:107], -v[34:35]
	;; [unrolled: 2-line block ×3, first 2 shown]
	ds_read_b128 v[34:37], v240 offset:1680
	v_mul_f64 v[38:39], v[222:223], v[68:69]
	v_fma_f64 v[126:127], v[220:221], v[82:83], -v[38:39]
	ds_read_b128 v[38:41], v240 offset:1696
	v_mul_f64 v[46:47], v[226:227], v[46:47]
	v_fma_f64 v[8:9], v[224:225], v[50:51], -v[46:47]
	ds_read_b128 v[46:49], v240 offset:1728
	v_mul_f64 v[50:51], v[230:231], v[56:57]
	v_accvgpr_write_b32 a229, v21
	v_fma_f64 v[212:213], v[228:229], v[66:67], -v[50:51]
	ds_read_b128 v[50:53], v240 offset:1744
	v_accvgpr_write_b32 a228, v20
	v_fma_f64 v[6:7], v[244:245], v[60:61], -v[58:59]
	ds_read_b128 v[58:61], v240 offset:1776
	v_mul_f64 v[62:63], v[250:251], v[62:63]
	v_fma_f64 v[120:121], v[248:249], v[64:65], -v[62:63]
	ds_read_b128 v[62:65], v240 offset:1792
	v_mul_f64 v[70:71], v[254:255], v[70:71]
	;; [unrolled: 3-line block ×3, first 2 shown]
	v_fma_f64 v[252:253], v[78:79], v[76:77], -v[74:75]
	ds_read_b128 v[74:77], v240 offset:1840
	v_accvgpr_write_b32 a223, v5
	s_waitcnt vmcnt(54) lgkmcnt(8)
	v_mul_f64 v[44:45], v[30:31], v[154:155]
	v_accvgpr_write_b32 a222, v4
	s_waitcnt vmcnt(52)
	v_fmac_f64_e32 v[44:45], v[32:33], v[158:159]
	v_add_f64 v[42:43], v[42:43], v[44:45]
	s_waitcnt lgkmcnt(7)
	v_mul_f64 v[44:45], v[34:35], v[128:129]
	v_fmac_f64_e32 v[44:45], v[36:37], v[124:125]
	v_add_f64 v[42:43], v[42:43], v[44:45]
	s_waitcnt vmcnt(49) lgkmcnt(6)
	v_mul_f64 v[44:45], v[38:39], v[156:157]
	s_waitcnt vmcnt(47)
	v_fmac_f64_e32 v[44:45], v[40:41], v[160:161]
	v_add_f64 v[54:55], v[42:43], v[44:45]
	ds_read_b128 v[42:45], v240 offset:1712
	buffer_load_dword v254, off, s[0:3], 0 offset:920
	v_mul_f64 v[2:3], v[2:3], v[100:101]
	v_fma_f64 v[248:249], v[0:1], v[104:105], -v[2:3]
	s_waitcnt vmcnt(46) lgkmcnt(0)
	v_mul_f64 v[20:21], v[42:43], v[152:153]
	s_waitcnt vmcnt(45)
	v_fmac_f64_e32 v[20:21], v[44:45], v[162:163]
	v_add_f64 v[20:21], v[54:55], v[20:21]
	s_waitcnt vmcnt(42)
	v_mul_f64 v[54:55], v[46:47], v[166:167]
	s_waitcnt vmcnt(40)
	v_fmac_f64_e32 v[54:55], v[48:49], v[170:171]
	v_add_f64 v[20:21], v[20:21], v[54:55]
	s_waitcnt vmcnt(39)
	v_mul_f64 v[54:55], v[50:51], v[164:165]
	s_waitcnt vmcnt(37)
	v_fmac_f64_e32 v[54:55], v[52:53], v[168:169]
	v_add_f64 v[20:21], v[20:21], v[54:55]
	ds_read_b128 v[54:57], v240 offset:1760
	s_waitcnt vmcnt(35) lgkmcnt(0)
	v_mul_f64 v[66:67], v[54:55], v[172:173]
	s_waitcnt vmcnt(33)
	v_fmac_f64_e32 v[66:67], v[56:57], v[174:175]
	v_add_f64 v[20:21], v[20:21], v[66:67]
	s_waitcnt vmcnt(31)
	v_mul_f64 v[66:67], v[58:59], v[114:115]
	s_waitcnt vmcnt(29)
	v_fmac_f64_e32 v[66:67], v[60:61], v[180:181]
	v_add_f64 v[20:21], v[20:21], v[66:67]
	s_waitcnt vmcnt(27)
	v_mul_f64 v[66:67], v[62:63], v[178:179]
	s_waitcnt vmcnt(25)
	v_fmac_f64_e32 v[66:67], v[64:65], v[182:183]
	v_add_f64 v[20:21], v[20:21], v[66:67]
	ds_read_b128 v[66:69], v240 offset:1808
	s_waitcnt vmcnt(19)
	v_mul_f64 v[78:79], v[70:71], v[188:189]
	s_waitcnt vmcnt(17)
	v_fmac_f64_e32 v[78:79], v[72:73], v[190:191]
	s_waitcnt lgkmcnt(0)
	v_mul_f64 v[82:83], v[66:67], v[184:185]
	v_fmac_f64_e32 v[82:83], v[68:69], v[186:187]
	v_add_f64 v[20:21], v[20:21], v[82:83]
	v_add_f64 v[20:21], v[20:21], v[78:79]
	v_mul_f64 v[78:79], v[142:143], v[232:233]
	v_fma_f64 v[4:5], v[140:141], v[24:25], -v[78:79]
	ds_read_b128 v[78:81], v240 offset:1856
	s_waitcnt vmcnt(15)
	v_mul_f64 v[26:27], v[74:75], v[194:195]
	s_waitcnt vmcnt(13)
	v_fmac_f64_e32 v[26:27], v[76:77], v[196:197]
	v_add_f64 v[20:21], v[20:21], v[26:27]
	ds_read_b128 v[82:85], v240 offset:1872
	ds_read_b128 v[140:143], v240 offset:1888
	s_waitcnt vmcnt(10) lgkmcnt(2)
	v_mul_f64 v[0:1], v[78:79], v[198:199]
	buffer_load_dword v26, off, s[0:3], 0 offset:912
	buffer_load_dword v255, off, s[0:3], 0 offset:924
	;; [unrolled: 1-line block ×3, first 2 shown]
	s_waitcnt vmcnt(11)
	v_fmac_f64_e32 v[0:1], v[80:81], v[204:205]
	v_add_f64 v[0:1], v[20:21], v[0:1]
	ds_read_b128 v[90:93], v240 offset:1904
	buffer_load_dword v21, off, s[0:3], 0 offset:940
	buffer_load_dword v20, off, s[0:3], 0 offset:936
	buffer_load_dword v215, off, s[0:3], 0 offset:932
	buffer_load_dword v214, off, s[0:3], 0 offset:928
	ds_read_b128 v[94:97], v240 offset:1920
	buffer_load_dword v216, off, s[0:3], 0 offset:952
	buffer_load_dword v217, off, s[0:3], 0 offset:956
	buffer_load_dword v218, off, s[0:3], 0 offset:944
	buffer_load_dword v219, off, s[0:3], 0 offset:948
	;; [unrolled: 5-line block ×6, first 2 shown]
	s_waitcnt vmcnt(34) lgkmcnt(7)
	v_mul_f64 v[2:3], v[82:83], v[192:193]
	s_waitcnt vmcnt(32)
	v_fmac_f64_e32 v[2:3], v[84:85], v[202:203]
	v_add_f64 v[0:1], v[0:1], v[2:3]
	s_waitcnt vmcnt(30) lgkmcnt(6)
	v_mul_f64 v[2:3], v[140:141], v[200:201]
	s_waitcnt vmcnt(28)
	v_fmac_f64_e32 v[2:3], v[142:143], v[206:207]
	v_add_f64 v[0:1], v[0:1], v[2:3]
	v_accvgpr_read_b32 v24, a230
	v_accvgpr_read_b32 v25, a231
	s_waitcnt vmcnt(25) lgkmcnt(5)
	v_mul_f64 v[2:3], v[90:91], v[254:255]
	s_waitcnt vmcnt(24)
	v_fmac_f64_e32 v[2:3], v[92:93], v[26:27]
	v_add_f64 v[0:1], v[0:1], v[2:3]
	s_waitcnt vmcnt(22) lgkmcnt(4)
	v_mul_f64 v[2:3], v[94:95], v[20:21]
	s_waitcnt vmcnt(20)
	v_fmac_f64_e32 v[2:3], v[96:97], v[214:215]
	v_add_f64 v[0:1], v[0:1], v[2:3]
	;; [unrolled: 5-line block ×6, first 2 shown]
	ds_read_b128 v[0:3], v240 offset:2000
	s_waitcnt vmcnt(2) lgkmcnt(0)
	v_mul_f64 v[232:233], v[0:1], v[244:245]
	s_waitcnt vmcnt(0)
	v_fmac_f64_e32 v[232:233], v[2:3], v[246:247]
	v_add_f64 v[232:233], v[28:29], v[232:233]
	v_add_f64 v[28:29], v[24:25], 0
	v_accvgpr_read_b32 v24, a232
	v_accvgpr_read_b32 v25, a233
	v_add_f64 v[28:29], v[28:29], v[24:25]
	v_add_f64 v[28:29], v[28:29], v[144:145]
	;; [unrolled: 1-line block ×27, first 2 shown]
	buffer_load_dword v252, off, s[0:3], 0 offset:64
	buffer_load_dword v253, off, s[0:3], 0 offset:68
	;; [unrolled: 1-line block ×4, first 2 shown]
	v_add_f64 v[4:5], v[6:7], v[4:5]
	v_accvgpr_read_b32 v8, a190
	v_accvgpr_read_b32 v6, a194
	;; [unrolled: 1-line block ×5, first 2 shown]
	v_mul_f64 v[6:7], v[10:11], v[6:7]
	v_accvgpr_read_b32 v10, a196
	v_accvgpr_read_b32 v9, a191
	;; [unrolled: 1-line block ×3, first 2 shown]
	v_add_f64 v[4:5], v[4:5], v[248:249]
	v_fma_f64 v[6:7], v[8:9], v[10:11], -v[6:7]
	v_add_f64 v[4:5], v[4:5], v[6:7]
	v_accvgpr_read_b32 v8, a198
	v_accvgpr_read_b32 v6, a202
	v_accvgpr_read_b32 v10, a200
	v_accvgpr_read_b32 v11, a201
	v_accvgpr_read_b32 v7, a203
	v_mul_f64 v[6:7], v[10:11], v[6:7]
	v_accvgpr_read_b32 v10, a204
	v_accvgpr_read_b32 v9, a199
	v_accvgpr_read_b32 v11, a205
	v_fma_f64 v[6:7], v[8:9], v[10:11], -v[6:7]
	v_add_f64 v[4:5], v[4:5], v[6:7]
	v_accvgpr_read_b32 v8, a206
	v_accvgpr_read_b32 v6, a214
	v_accvgpr_read_b32 v10, a208
	v_accvgpr_read_b32 v11, a209
	v_accvgpr_read_b32 v7, a215
	v_mul_f64 v[6:7], v[10:11], v[6:7]
	v_accvgpr_read_b32 v10, a218
	v_accvgpr_read_b32 v9, a207
	v_accvgpr_read_b32 v11, a219
	;; [unrolled: 11-line block ×3, first 2 shown]
	v_fma_f64 v[6:7], v[8:9], v[10:11], -v[6:7]
	v_add_f64 v[4:5], v[4:5], v[6:7]
	v_accvgpr_read_b32 v6, a222
	v_accvgpr_read_b32 v7, a223
	v_mul_f64 v[6:7], v[136:137], v[6:7]
	v_accvgpr_read_b32 v8, a224
	v_fma_f64 v[6:7], v[134:135], v[146:147], -v[6:7]
	v_accvgpr_read_b32 v10, a226
	v_accvgpr_read_b32 v11, a227
	v_add_f64 v[4:5], v[4:5], v[6:7]
	v_accvgpr_read_b32 v9, a225
	v_mul_f64 v[6:7], v[10:11], v[118:119]
	v_fma_f64 v[6:7], v[8:9], v[236:237], -v[6:7]
	v_add_f64 v[4:5], v[4:5], v[6:7]
	v_accvgpr_read_b32 v6, a228
	v_accvgpr_read_b32 v7, a229
	v_mul_f64 v[6:7], v[132:133], v[6:7]
	v_fma_f64 v[6:7], v[130:131], v[238:239], -v[6:7]
	v_add_f64 v[4:5], v[4:5], v[6:7]
	v_mul_f64 v[6:7], v[32:33], v[154:155]
	v_fma_f64 v[6:7], v[30:31], v[158:159], -v[6:7]
	v_add_f64 v[4:5], v[4:5], v[6:7]
	;; [unrolled: 3-line block ×21, first 2 shown]
	v_mul_f64 v[6:7], v[112:113], v[228:229]
	v_fma_f64 v[6:7], v[110:111], v[230:231], -v[6:7]
	v_mul_f64 v[2:3], v[2:3], v[244:245]
	v_add_f64 v[4:5], v[4:5], v[6:7]
	v_fma_f64 v[0:1], v[0:1], v[246:247], -v[2:3]
	v_add_f64 v[0:1], v[4:5], v[0:1]
	s_waitcnt vmcnt(2)
	v_add_f64 v[0:1], v[252:253], -v[0:1]
	s_waitcnt vmcnt(0)
	v_add_f64 v[2:3], v[250:251], -v[232:233]
	buffer_store_dword v1, off, s[0:3], 0 offset:68
	buffer_store_dword v0, off, s[0:3], 0 offset:64
	;; [unrolled: 1-line block ×4, first 2 shown]
	v_accvgpr_read_b32 v0, a188
	v_cmp_lt_u32_e32 vcc, 2, v0
	s_and_saveexec_b64 s[4:5], vcc
	s_cbranch_execz .LBB62_399
; %bb.398:
	v_accvgpr_read_b32 v3, a186
	buffer_load_dword v0, v3, s[0:3], 0 offen
	buffer_load_dword v1, v3, s[0:3], 0 offen offset:4
	buffer_load_dword v2, v3, s[0:3], 0 offen offset:8
	s_nop 0
	buffer_load_dword v3, v3, s[0:3], 0 offen offset:12
	v_accvgpr_read_b32 v4, a189
	buffer_store_dword v240, off, s[0:3], 0 offset:48
	buffer_store_dword v240, off, s[0:3], 0 offset:52
	;; [unrolled: 1-line block ×4, first 2 shown]
	s_waitcnt vmcnt(4)
	ds_write_b128 v4, v[0:3]
.LBB62_399:
	s_or_b64 exec, exec, s[4:5]
	s_waitcnt lgkmcnt(0)
	; wave barrier
	s_waitcnt lgkmcnt(0)
	buffer_load_dword v54, off, s[0:3], 0 offset:64
	buffer_load_dword v55, off, s[0:3], 0 offset:68
	;; [unrolled: 1-line block ×36, first 2 shown]
	ds_read_b128 v[34:37], v240 offset:1056
	ds_read_b128 v[30:33], v240 offset:1072
	;; [unrolled: 1-line block ×9, first 2 shown]
	buffer_load_dword v83, off, s[0:3], 0 offset:236
	buffer_load_dword v82, off, s[0:3], 0 offset:232
	;; [unrolled: 1-line block ×19, first 2 shown]
	s_waitcnt vmcnt(51) lgkmcnt(8)
	v_mul_f64 v[0:1], v[34:35], v[56:57]
	v_fmac_f64_e32 v[0:1], v[36:37], v[54:55]
	v_add_f64 v[0:1], v[0:1], 0
	s_waitcnt vmcnt(47) lgkmcnt(7)
	v_mul_f64 v[2:3], v[30:31], v[66:67]
	v_fmac_f64_e32 v[2:3], v[32:33], v[64:65]
	s_waitcnt vmcnt(45) lgkmcnt(6)
	v_mul_f64 v[4:5], v[26:27], v[68:69]
	v_add_f64 v[0:1], v[0:1], v[2:3]
	s_waitcnt vmcnt(43) lgkmcnt(4)
	v_mul_f64 v[8:9], v[18:19], v[134:135]
	s_waitcnt vmcnt(41)
	v_fmac_f64_e32 v[8:9], v[20:21], v[154:155]
	s_waitcnt vmcnt(39)
	v_mul_f64 v[6:7], v[22:23], v[128:129]
	s_waitcnt vmcnt(37) lgkmcnt(2)
	v_mul_f64 v[12:13], v[120:121], v[130:131]
	s_waitcnt vmcnt(35)
	v_fmac_f64_e32 v[12:13], v[122:123], v[58:59]
	s_waitcnt vmcnt(33)
	v_mul_f64 v[10:11], v[14:15], v[236:237]
	s_waitcnt vmcnt(31) lgkmcnt(1)
	v_mul_f64 v[38:39], v[124:125], v[156:157]
	s_waitcnt vmcnt(29)
	v_fmac_f64_e32 v[4:5], v[28:29], v[70:71]
	v_add_f64 v[0:1], v[0:1], v[4:5]
	s_waitcnt vmcnt(27)
	v_fmac_f64_e32 v[6:7], v[24:25], v[144:145]
	v_add_f64 v[0:1], v[0:1], v[6:7]
	;; [unrolled: 3-line block ×3, first 2 shown]
	v_add_f64 v[0:1], v[0:1], v[10:11]
	v_add_f64 v[0:1], v[0:1], v[12:13]
	buffer_load_dword v112, off, s[0:3], 0 offset:288
	buffer_load_dword v13, off, s[0:3], 0 offset:284
	;; [unrolled: 1-line block ×61, first 2 shown]
	ds_read_b128 v[150:153], v240 offset:1200
	ds_read_b128 v[166:169], v240 offset:1216
	s_waitcnt vmcnt(62)
	v_fmac_f64_e32 v[38:39], v[126:127], v[62:63]
	s_waitcnt lgkmcnt(2)
	v_mul_f64 v[2:3], v[252:253], v[60:61]
	v_add_f64 v[0:1], v[0:1], v[38:39]
	v_fmac_f64_e32 v[2:3], v[254:255], v[72:73]
	ds_read_b128 v[192:195], v240 offset:1232
	ds_read_b128 v[200:203], v240 offset:1248
	v_add_f64 v[0:1], v[0:1], v[2:3]
	s_waitcnt lgkmcnt(3)
	v_mul_f64 v[2:3], v[150:151], v[94:95]
	v_fmac_f64_e32 v[2:3], v[152:153], v[96:97]
	v_add_f64 v[0:1], v[0:1], v[2:3]
	s_waitcnt lgkmcnt(2)
	v_mul_f64 v[2:3], v[166:167], v[82:83]
	v_fmac_f64_e32 v[2:3], v[168:169], v[84:85]
	ds_read_b128 v[204:207], v240 offset:1264
	ds_read_b128 v[214:217], v240 offset:1280
	v_add_f64 v[0:1], v[0:1], v[2:3]
	s_waitcnt lgkmcnt(3)
	v_mul_f64 v[2:3], v[192:193], v[158:159]
	v_fmac_f64_e32 v[2:3], v[194:195], v[164:165]
	v_add_f64 v[0:1], v[0:1], v[2:3]
	s_waitcnt lgkmcnt(2)
	v_mul_f64 v[2:3], v[200:201], v[160:161]
	v_fmac_f64_e32 v[2:3], v[202:203], v[162:163]
	ds_read_b128 v[218:221], v240 offset:1296
	ds_read_b128 v[222:225], v240 offset:1312
	v_add_f64 v[0:1], v[0:1], v[2:3]
	s_waitcnt vmcnt(58) lgkmcnt(3)
	v_mul_f64 v[2:3], v[204:205], v[12:13]
	s_waitcnt vmcnt(56)
	v_fmac_f64_e32 v[2:3], v[206:207], v[174:175]
	v_add_f64 v[0:1], v[0:1], v[2:3]
	s_waitcnt lgkmcnt(2)
	v_mul_f64 v[2:3], v[214:215], v[110:111]
	v_fmac_f64_e32 v[2:3], v[216:217], v[112:113]
	ds_read_b128 v[226:229], v240 offset:1328
	ds_read_b128 v[230:233], v240 offset:1344
	v_add_f64 v[0:1], v[0:1], v[2:3]
	s_waitcnt vmcnt(50) lgkmcnt(3)
	v_mul_f64 v[2:3], v[218:219], v[170:171]
	s_waitcnt vmcnt(48)
	;; [unrolled: 11-line block ×3, first 2 shown]
	v_fmac_f64_e32 v[2:3], v[228:229], v[182:183]
	v_add_f64 v[0:1], v[0:1], v[2:3]
	s_waitcnt lgkmcnt(2)
	v_mul_f64 v[2:3], v[230:231], v[184:185]
	v_fmac_f64_e32 v[2:3], v[232:233], v[186:187]
	ds_read_b128 v[38:41], v240 offset:1392
	v_add_f64 v[0:1], v[0:1], v[2:3]
	s_waitcnt vmcnt(34) lgkmcnt(2)
	v_mul_f64 v[2:3], v[244:245], v[188:189]
	s_waitcnt vmcnt(32)
	v_fmac_f64_e32 v[2:3], v[246:247], v[190:191]
	buffer_load_dword v119, off, s[0:3], 0 offset:540
	buffer_load_dword v118, off, s[0:3], 0 offset:536
	;; [unrolled: 1-line block ×4, first 2 shown]
	ds_read_b128 v[42:45], v240 offset:1408
	v_add_f64 v[0:1], v[0:1], v[2:3]
	s_waitcnt lgkmcnt(2)
	v_mul_f64 v[2:3], v[248:249], v[114:115]
	v_fmac_f64_e32 v[2:3], v[250:251], v[116:117]
	v_add_f64 v[0:1], v[0:1], v[2:3]
	s_waitcnt vmcnt(30) lgkmcnt(1)
	v_mul_f64 v[2:3], v[38:39], v[196:197]
	s_waitcnt vmcnt(28)
	v_fmac_f64_e32 v[2:3], v[40:41], v[198:199]
	v_add_f64 v[0:1], v[0:1], v[2:3]
	s_waitcnt lgkmcnt(0)
	v_mul_f64 v[2:3], v[42:43], v[102:103]
	v_fmac_f64_e32 v[2:3], v[44:45], v[104:105]
	buffer_load_dword v211, off, s[0:3], 0 offset:556
	buffer_load_dword v210, off, s[0:3], 0 offset:552
	ds_read_b128 v[46:49], v240 offset:1424
	buffer_load_dword v213, off, s[0:3], 0 offset:548
	buffer_load_dword v212, off, s[0:3], 0 offset:544
	v_add_f64 v[0:1], v[0:1], v[2:3]
	ds_read_b128 v[50:53], v240 offset:1440
	buffer_load_dword v3, off, s[0:3], 0 offset:572
	buffer_load_dword v2, off, s[0:3], 0 offset:568
	;; [unrolled: 1-line block ×12, first 2 shown]
	v_mul_f64 v[8:9], v[16:17], v[236:237]
	v_fma_f64 v[236:237], v[14:15], v[242:243], -v[8:9]
	v_mul_f64 v[16:17], v[122:123], v[130:131]
	v_fma_f64 v[242:243], v[120:121], v[58:59], -v[16:17]
	v_mul_f64 v[12:13], v[206:207], v[12:13]
	v_mul_f64 v[40:41], v[40:41], v[196:197]
	s_waitcnt vmcnt(6)
	v_accvgpr_write_b32 a207, v139
	v_accvgpr_write_b32 a206, v138
	s_waitcnt vmcnt(4)
	v_accvgpr_write_b32 a211, v149
	v_accvgpr_write_b32 a210, v148
	v_pk_mov_b32 v[146:147], v[2:3], v[2:3] op_sel:[0,1]
	s_waitcnt lgkmcnt(1)
	v_mul_f64 v[2:3], v[46:47], v[106:107]
	v_fmac_f64_e32 v[2:3], v[48:49], v[108:109]
	v_add_f64 v[0:1], v[0:1], v[2:3]
	v_mul_f64 v[2:3], v[36:37], v[56:57]
	v_fma_f64 v[2:3], v[34:35], v[54:55], -v[2:3]
	v_accvgpr_write_b32 a229, v3
	v_accvgpr_write_b32 a228, v2
	buffer_load_dword v2, off, s[0:3], 0 offset:616
	buffer_load_dword v4, off, s[0:3], 0 offset:608
	;; [unrolled: 1-line block ×3, first 2 shown]
	ds_read_b128 v[54:57], v240 offset:1456
	buffer_load_dword v5, off, s[0:3], 0 offset:612
	v_accvgpr_write_b32 a195, v147
	s_waitcnt vmcnt(6)
	v_accvgpr_write_b32 a209, v141
	v_accvgpr_write_b32 a194, v146
	;; [unrolled: 1-line block ×3, first 2 shown]
	s_waitcnt vmcnt(4)
	v_accvgpr_write_b32 a213, v143
	v_accvgpr_write_b32 a212, v142
	;; [unrolled: 1-line block ×4, first 2 shown]
	s_waitcnt vmcnt(1)
	v_pk_mov_b32 v[34:35], v[2:3], v[2:3] op_sel:[0,1]
	s_waitcnt lgkmcnt(1)
	v_mul_f64 v[2:3], v[50:51], v[90:91]
	v_fmac_f64_e32 v[2:3], v[52:53], v[92:93]
	v_add_f64 v[0:1], v[0:1], v[2:3]
	v_mul_f64 v[2:3], v[32:33], v[66:67]
	v_fma_f64 v[2:3], v[30:31], v[64:65], -v[2:3]
	ds_read_b128 v[64:67], v240 offset:1472
	v_accvgpr_write_b32 a231, v3
	v_accvgpr_write_b32 a230, v2
	s_waitcnt lgkmcnt(1)
	v_mul_f64 v[2:3], v[54:55], v[98:99]
	v_fmac_f64_e32 v[2:3], v[56:57], v[100:101]
	v_add_f64 v[0:1], v[0:1], v[2:3]
	v_mul_f64 v[2:3], v[28:29], v[68:69]
	v_fma_f64 v[2:3], v[26:27], v[70:71], -v[2:3]
	v_accvgpr_write_b32 a233, v3
	v_accvgpr_write_b32 a232, v2
	buffer_load_dword v3, off, s[0:3], 0 offset:636
	buffer_load_dword v2, off, s[0:3], 0 offset:632
	s_waitcnt vmcnt(2)
	v_pk_mov_b32 v[36:37], v[4:5], v[4:5] op_sel:[0,1]
	v_mul_f64 v[4:5], v[24:25], v[128:129]
	v_fma_f64 v[238:239], v[22:23], v[144:145], -v[4:5]
	v_mul_f64 v[24:25], v[168:169], v[82:83]
	v_accvgpr_write_b32 a217, v37
	v_accvgpr_write_b32 a215, v35
	;; [unrolled: 1-line block ×4, first 2 shown]
	v_mul_f64 v[52:53], v[52:53], v[90:91]
	v_mul_f64 v[56:57], v[56:57], v[98:99]
	s_waitcnt vmcnt(0)
	v_pk_mov_b32 v[26:27], v[2:3], v[2:3] op_sel:[0,1]
	buffer_load_dword v3, off, s[0:3], 0 offset:628
	buffer_load_dword v2, off, s[0:3], 0 offset:624
	ds_read_b128 v[68:71], v240 offset:1488
	buffer_load_dword v5, off, s[0:3], 0 offset:652
	buffer_load_dword v4, off, s[0:3], 0 offset:648
	;; [unrolled: 1-line block ×8, first 2 shown]
	v_accvgpr_write_b32 a219, v27
	s_waitcnt lgkmcnt(0)
	v_mul_f64 v[6:7], v[68:69], v[86:87]
	v_fmac_f64_e32 v[6:7], v[70:71], v[88:89]
	v_accvgpr_write_b32 a218, v26
	ds_read_b128 v[8:11], v240 offset:1520
	s_waitcnt vmcnt(8)
	v_pk_mov_b32 v[28:29], v[2:3], v[2:3] op_sel:[0,1]
	v_mul_f64 v[2:3], v[64:65], v[78:79]
	v_fmac_f64_e32 v[2:3], v[66:67], v[80:81]
	s_waitcnt vmcnt(6)
	v_pk_mov_b32 v[144:145], v[4:5], v[4:5] op_sel:[0,1]
	v_add_f64 v[4:5], v[0:1], v[2:3]
	v_mul_f64 v[0:1], v[20:21], v[134:135]
	v_fma_f64 v[134:135], v[18:19], v[154:155], -v[0:1]
	ds_read_b128 v[0:3], v240 offset:1504
	v_add_f64 v[4:5], v[4:5], v[6:7]
	v_accvgpr_write_b32 a221, v29
	v_accvgpr_write_b32 a220, v28
	s_waitcnt vmcnt(0)
	v_accvgpr_write_b32 a227, v133
	s_waitcnt lgkmcnt(0)
	v_mul_f64 v[6:7], v[0:1], v[74:75]
	v_fmac_f64_e32 v[6:7], v[2:3], v[76:77]
	v_add_f64 v[4:5], v[4:5], v[6:7]
	v_mul_f64 v[6:7], v[8:9], v[118:119]
	v_fmac_f64_e32 v[6:7], v[10:11], v[208:209]
	v_add_f64 v[14:15], v[4:5], v[6:7]
	ds_read_b128 v[4:7], v240 offset:1536
	buffer_load_dword v19, off, s[0:3], 0 offset:684
	buffer_load_dword v18, off, s[0:3], 0 offset:680
	ds_read_b128 v[20:23], v240 offset:1552
	ds_read_b128 v[120:123], v240 offset:1568
	v_accvgpr_write_b32 a226, v132
	s_waitcnt lgkmcnt(2)
	v_mul_f64 v[16:17], v[4:5], v[210:211]
	v_fmac_f64_e32 v[16:17], v[6:7], v[212:213]
	s_waitcnt lgkmcnt(1)
	v_accvgpr_write_b32 a193, v23
	v_accvgpr_write_b32 a192, v22
	;; [unrolled: 1-line block ×4, first 2 shown]
	v_add_f64 v[14:15], v[14:15], v[16:17]
	v_mul_f64 v[16:17], v[126:127], v[156:157]
	v_fma_f64 v[32:33], v[124:125], v[62:63], -v[16:17]
	s_waitcnt lgkmcnt(0)
	v_accvgpr_write_b32 a201, v123
	v_accvgpr_write_b32 a200, v122
	;; [unrolled: 1-line block ×6, first 2 shown]
	v_mul_f64 v[62:63], v[66:67], v[78:79]
	v_mul_f64 v[2:3], v[2:3], v[74:75]
	v_fma_f64 v[0:1], v[0:1], v[76:77], -v[2:3]
	v_mul_f64 v[10:11], v[10:11], v[118:119]
	v_mul_f64 v[6:7], v[6:7], v[210:211]
	v_accvgpr_write_b32 a225, v129
	v_accvgpr_write_b32 a224, v128
	s_waitcnt vmcnt(0)
	v_pk_mov_b32 v[58:59], v[18:19], v[18:19] op_sel:[0,1]
	v_mul_f64 v[18:19], v[20:21], v[146:147]
	v_mul_f64 v[20:21], v[254:255], v[60:61]
	v_fmac_f64_e32 v[18:19], v[22:23], v[136:137]
	v_fma_f64 v[154:155], v[252:253], v[72:73], -v[20:21]
	ds_read_b128 v[20:23], v240 offset:1584
	v_add_f64 v[14:15], v[14:15], v[18:19]
	v_mul_f64 v[18:19], v[120:121], v[138:139]
	v_fmac_f64_e32 v[18:19], v[122:123], v[148:149]
	ds_read_b128 v[146:149], v240 offset:1600
	v_add_f64 v[14:15], v[14:15], v[18:19]
	s_waitcnt lgkmcnt(1)
	v_mul_f64 v[18:19], v[20:21], v[140:141]
	ds_read_b128 v[138:141], v240 offset:1616
	buffer_load_dword v125, off, s[0:3], 0 offset:676
	buffer_load_dword v124, off, s[0:3], 0 offset:672
	v_fmac_f64_e32 v[18:19], v[22:23], v[142:143]
	v_add_f64 v[14:15], v[14:15], v[18:19]
	v_mul_f64 v[18:19], v[152:153], v[94:95]
	buffer_load_dword v130, off, s[0:3], 0 offset:712
	buffer_load_dword v142, off, s[0:3], 0 offset:704
	;; [unrolled: 1-line block ×4, first 2 shown]
	v_fma_f64 v[94:95], v[150:151], v[96:97], -v[18:19]
	v_fma_f64 v[96:97], v[166:167], v[84:85], -v[24:25]
	v_mul_f64 v[24:25], v[194:195], v[158:159]
	buffer_load_dword v159, off, s[0:3], 0 offset:692
	buffer_load_dword v158, off, s[0:3], 0 offset:688
	;; [unrolled: 1-line block ×4, first 2 shown]
	v_fma_f64 v[30:31], v[192:193], v[164:165], -v[24:25]
	s_waitcnt lgkmcnt(0)
	v_mul_f64 v[24:25], v[138:139], v[26:27]
	v_mul_f64 v[26:27], v[202:203], v[160:161]
	ds_read_b128 v[120:123], v240 offset:1632
	ds_read_b128 v[150:153], v240 offset:1648
	v_fma_f64 v[126:127], v[200:201], v[162:163], -v[26:27]
	ds_read_b128 v[252:255], v240 offset:1664
	buffer_load_dword v161, off, s[0:3], 0 offset:732
	buffer_load_dword v160, off, s[0:3], 0 offset:728
	;; [unrolled: 1-line block ×4, first 2 shown]
	v_accvgpr_write_b32 a205, v23
	v_accvgpr_write_b32 a204, v22
	;; [unrolled: 1-line block ×4, first 2 shown]
	v_mul_f64 v[22:23], v[146:147], v[34:35]
	v_fmac_f64_e32 v[22:23], v[148:149], v[36:37]
	v_add_f64 v[22:23], v[14:15], v[22:23]
	v_fmac_f64_e32 v[24:25], v[140:141], v[28:29]
	s_waitcnt lgkmcnt(2)
	v_mul_f64 v[36:37], v[120:121], v[144:145]
	v_add_f64 v[34:35], v[22:23], v[24:25]
	v_fmac_f64_e32 v[36:37], v[122:123], v[128:129]
	v_add_f64 v[34:35], v[34:35], v[36:37]
	s_waitcnt lgkmcnt(1)
	v_mul_f64 v[36:37], v[150:151], v[234:235]
	buffer_load_dword v167, off, s[0:3], 0 offset:748
	buffer_load_dword v166, off, s[0:3], 0 offset:744
	;; [unrolled: 1-line block ×4, first 2 shown]
	v_fmac_f64_e32 v[36:37], v[152:153], v[132:133]
	v_add_f64 v[34:35], v[34:35], v[36:37]
	v_mul_f64 v[36:37], v[216:217], v[110:111]
	v_fma_f64 v[82:83], v[214:215], v[112:113], -v[36:37]
	v_mul_f64 v[36:37], v[220:221], v[170:171]
	v_fma_f64 v[28:29], v[204:205], v[174:175], -v[12:13]
	v_fma_f64 v[84:85], v[218:219], v[172:173], -v[36:37]
	buffer_load_dword v165, off, s[0:3], 0 offset:780
	buffer_load_dword v164, off, s[0:3], 0 offset:776
	buffer_load_dword v173, off, s[0:3], 0 offset:764
	buffer_load_dword v172, off, s[0:3], 0 offset:760
	buffer_load_dword v175, off, s[0:3], 0 offset:756
	buffer_load_dword v174, off, s[0:3], 0 offset:752
	buffer_load_dword v171, off, s[0:3], 0 offset:772
	buffer_load_dword v170, off, s[0:3], 0 offset:768
	v_mul_f64 v[36:37], v[224:225], v[176:177]
	v_fma_f64 v[214:215], v[222:223], v[178:179], -v[36:37]
	s_waitcnt lgkmcnt(0)
	v_mul_f64 v[36:37], v[252:253], v[58:59]
	v_pk_mov_b32 v[132:133], v[58:59], v[58:59] op_sel:[0,1]
	v_mul_f64 v[58:59], v[228:229], v[180:181]
	v_fma_f64 v[22:23], v[226:227], v[182:183], -v[58:59]
	buffer_load_dword v177, off, s[0:3], 0 offset:796
	buffer_load_dword v176, off, s[0:3], 0 offset:792
	;; [unrolled: 1-line block ×8, first 2 shown]
	v_mul_f64 v[26:27], v[232:233], v[184:185]
	v_mul_f64 v[58:59], v[246:247], v[188:189]
	v_fma_f64 v[26:27], v[230:231], v[186:187], -v[26:27]
	v_fma_f64 v[244:245], v[244:245], v[190:191], -v[58:59]
	buffer_load_dword v185, off, s[0:3], 0 offset:844
	buffer_load_dword v187, off, s[0:3], 0 offset:828
	;; [unrolled: 1-line block ×12, first 2 shown]
	v_mul_f64 v[58:59], v[250:251], v[114:115]
	v_fma_f64 v[20:21], v[248:249], v[116:117], -v[58:59]
	v_fma_f64 v[18:19], v[38:39], v[198:199], -v[40:41]
	buffer_load_dword v199, off, s[0:3], 0 offset:876
	buffer_load_dword v198, off, s[0:3], 0 offset:872
	;; [unrolled: 1-line block ×12, first 2 shown]
	v_mul_f64 v[38:39], v[44:45], v[102:103]
	v_fma_f64 v[16:17], v[42:43], v[104:105], -v[38:39]
	ds_read_b128 v[38:41], v240 offset:1696
	v_mul_f64 v[42:43], v[48:49], v[106:107]
	v_fma_f64 v[144:145], v[46:47], v[108:109], -v[42:43]
	ds_read_b128 v[42:45], v240 offset:1712
	v_fma_f64 v[14:15], v[50:51], v[92:93], -v[52:53]
	ds_read_b128 v[50:53], v240 offset:1744
	v_fma_f64 v[248:249], v[54:55], v[100:101], -v[56:57]
	ds_read_b128 v[54:57], v240 offset:1760
	v_fma_f64 v[12:13], v[64:65], v[80:81], -v[62:63]
	ds_read_b128 v[62:65], v240 offset:1792
	ds_read_b128 v[74:77], v240 offset:1840
	v_fma_f64 v[250:251], v[4:5], v[212:213], -v[6:7]
	s_waitcnt vmcnt(56)
	v_fmac_f64_e32 v[36:37], v[254:255], v[124:125]
	v_add_f64 v[58:59], v[34:35], v[36:37]
	ds_read_b128 v[34:37], v240 offset:1680
	s_waitcnt vmcnt(52) lgkmcnt(0)
	v_mul_f64 v[60:61], v[34:35], v[156:157]
	s_waitcnt vmcnt(50)
	v_fmac_f64_e32 v[60:61], v[36:37], v[158:159]
	s_waitcnt vmcnt(49)
	v_mul_f64 v[48:49], v[38:39], v[130:131]
	v_add_f64 v[46:47], v[58:59], v[60:61]
	s_waitcnt vmcnt(48)
	v_fmac_f64_e32 v[48:49], v[40:41], v[142:143]
	v_add_f64 v[46:47], v[46:47], v[48:49]
	s_waitcnt vmcnt(46)
	v_mul_f64 v[48:49], v[42:43], v[160:161]
	s_waitcnt vmcnt(44)
	v_fmac_f64_e32 v[48:49], v[44:45], v[162:163]
	v_add_f64 v[58:59], v[46:47], v[48:49]
	ds_read_b128 v[46:49], v240 offset:1728
	s_waitcnt vmcnt(42) lgkmcnt(0)
	v_mul_f64 v[24:25], v[46:47], v[166:167]
	s_waitcnt vmcnt(40)
	v_fmac_f64_e32 v[24:25], v[48:49], v[168:169]
	v_add_f64 v[24:25], v[58:59], v[24:25]
	s_waitcnt vmcnt(36)
	v_mul_f64 v[58:59], v[50:51], v[172:173]
	s_waitcnt vmcnt(34)
	v_fmac_f64_e32 v[58:59], v[52:53], v[174:175]
	v_add_f64 v[24:25], v[24:25], v[58:59]
	v_mul_f64 v[58:59], v[54:55], v[164:165]
	s_waitcnt vmcnt(32)
	v_fmac_f64_e32 v[58:59], v[56:57], v[170:171]
	v_add_f64 v[24:25], v[24:25], v[58:59]
	ds_read_b128 v[58:61], v240 offset:1776
	s_waitcnt vmcnt(30) lgkmcnt(0)
	v_mul_f64 v[66:67], v[58:59], v[176:177]
	s_waitcnt vmcnt(28)
	v_fmac_f64_e32 v[66:67], v[60:61], v[182:183]
	v_add_f64 v[24:25], v[24:25], v[66:67]
	v_mul_f64 v[66:67], v[70:71], v[86:87]
	v_fma_f64 v[136:137], v[68:69], v[88:89], -v[66:67]
	ds_read_b128 v[66:69], v240 offset:1808
	s_waitcnt vmcnt(25)
	v_mul_f64 v[70:71], v[62:63], v[178:179]
	s_waitcnt vmcnt(24)
	v_fmac_f64_e32 v[70:71], v[64:65], v[180:181]
	v_add_f64 v[24:25], v[24:25], v[70:71]
	ds_read_b128 v[70:73], v240 offset:1824
	s_waitcnt vmcnt(21) lgkmcnt(1)
	v_mul_f64 v[2:3], v[66:67], v[186:187]
	s_waitcnt vmcnt(19)
	v_fmac_f64_e32 v[2:3], v[68:69], v[192:193]
	v_add_f64 v[2:3], v[24:25], v[2:3]
	ds_read_b128 v[86:89], v240 offset:1888
	s_waitcnt vmcnt(18) lgkmcnt(1)
	v_mul_f64 v[24:25], v[70:71], v[184:185]
	s_waitcnt vmcnt(16)
	v_fmac_f64_e32 v[24:25], v[72:73], v[190:191]
	v_add_f64 v[2:3], v[2:3], v[24:25]
	v_fma_f64 v[24:25], v[8:9], v[208:209], -v[10:11]
	ds_read_b128 v[8:11], v240 offset:1856
	s_waitcnt vmcnt(14)
	v_mul_f64 v[78:79], v[74:75], v[188:189]
	s_waitcnt vmcnt(12)
	v_fmac_f64_e32 v[78:79], v[76:77], v[194:195]
	v_add_f64 v[2:3], v[2:3], v[78:79]
	ds_read_b128 v[78:81], v240 offset:1872
	buffer_load_dword v209, off, s[0:3], 0 offset:924
	buffer_load_dword v208, off, s[0:3], 0 offset:920
	;; [unrolled: 1-line block ×4, first 2 shown]
	s_waitcnt vmcnt(14) lgkmcnt(1)
	v_mul_f64 v[4:5], v[8:9], v[198:199]
	s_waitcnt vmcnt(12)
	v_fmac_f64_e32 v[4:5], v[10:11], v[200:201]
	ds_read_b128 v[90:93], v240 offset:1904
	buffer_load_dword v212, off, s[0:3], 0 offset:936
	buffer_load_dword v213, off, s[0:3], 0 offset:940
	;; [unrolled: 1-line block ×4, first 2 shown]
	v_add_f64 v[2:3], v[2:3], v[4:5]
	s_waitcnt vmcnt(13) lgkmcnt(1)
	v_mul_f64 v[4:5], v[78:79], v[204:205]
	s_waitcnt vmcnt(11)
	v_fmac_f64_e32 v[4:5], v[80:81], v[206:207]
	v_add_f64 v[2:3], v[2:3], v[4:5]
	s_waitcnt vmcnt(9)
	v_mul_f64 v[4:5], v[86:87], v[196:197]
	s_waitcnt vmcnt(8)
	v_fmac_f64_e32 v[4:5], v[88:89], v[202:203]
	v_add_f64 v[2:3], v[2:3], v[4:5]
	v_mul_f64 v[10:11], v[10:11], v[198:199]
	v_fma_f64 v[8:9], v[8:9], v[200:201], -v[10:11]
	v_mul_f64 v[10:11], v[80:81], v[204:205]
	v_fma_f64 v[10:11], v[78:79], v[206:207], -v[10:11]
	s_waitcnt vmcnt(6) lgkmcnt(0)
	v_mul_f64 v[4:5], v[90:91], v[208:209]
	s_waitcnt vmcnt(4)
	v_fmac_f64_e32 v[4:5], v[92:93], v[210:211]
	v_add_f64 v[2:3], v[2:3], v[4:5]
	ds_read_b128 v[4:7], v240 offset:1920
	buffer_load_dword v217, off, s[0:3], 0 offset:956
	buffer_load_dword v216, off, s[0:3], 0 offset:952
	;; [unrolled: 1-line block ×4, first 2 shown]
	s_waitcnt vmcnt(6) lgkmcnt(0)
	v_mul_f64 v[98:99], v[4:5], v[212:213]
	s_waitcnt vmcnt(4)
	v_fmac_f64_e32 v[98:99], v[6:7], v[118:119]
	v_add_f64 v[2:3], v[2:3], v[98:99]
	ds_read_b128 v[98:101], v240 offset:1936
	buffer_load_dword v220, off, s[0:3], 0 offset:968
	buffer_load_dword v221, off, s[0:3], 0 offset:972
	;; [unrolled: 1-line block ×4, first 2 shown]
	v_mul_f64 v[6:7], v[6:7], v[212:213]
	v_fma_f64 v[4:5], v[4:5], v[118:119], -v[6:7]
	s_waitcnt vmcnt(6) lgkmcnt(0)
	v_mul_f64 v[102:103], v[98:99], v[216:217]
	v_mul_f64 v[6:7], v[100:101], v[216:217]
	s_waitcnt vmcnt(4)
	v_fmac_f64_e32 v[102:103], v[100:101], v[218:219]
	v_add_f64 v[2:3], v[2:3], v[102:103]
	ds_read_b128 v[102:105], v240 offset:1952
	buffer_load_dword v225, off, s[0:3], 0 offset:988
	buffer_load_dword v224, off, s[0:3], 0 offset:984
	;; [unrolled: 1-line block ×4, first 2 shown]
	v_fma_f64 v[6:7], v[98:99], v[218:219], -v[6:7]
	s_waitcnt vmcnt(6) lgkmcnt(0)
	v_mul_f64 v[106:107], v[102:103], v[220:221]
	s_waitcnt vmcnt(4)
	v_fmac_f64_e32 v[106:107], v[104:105], v[222:223]
	v_add_f64 v[2:3], v[2:3], v[106:107]
	ds_read_b128 v[106:109], v240 offset:1968
	buffer_load_dword v228, off, s[0:3], 0 offset:1000
	buffer_load_dword v229, off, s[0:3], 0 offset:1004
	;; [unrolled: 1-line block ×4, first 2 shown]
	s_waitcnt vmcnt(6) lgkmcnt(0)
	v_mul_f64 v[110:111], v[106:107], v[224:225]
	s_waitcnt vmcnt(4)
	v_fmac_f64_e32 v[110:111], v[108:109], v[226:227]
	v_add_f64 v[2:3], v[2:3], v[110:111]
	ds_read_b128 v[110:113], v240 offset:1984
	buffer_load_dword v233, off, s[0:3], 0 offset:1020
	buffer_load_dword v232, off, s[0:3], 0 offset:1016
	;; [unrolled: 1-line block ×4, first 2 shown]
	s_waitcnt vmcnt(6) lgkmcnt(0)
	v_mul_f64 v[114:115], v[110:111], v[228:229]
	s_waitcnt vmcnt(4)
	v_fmac_f64_e32 v[114:115], v[112:113], v[230:231]
	v_add_f64 v[2:3], v[2:3], v[114:115]
	ds_read_b128 v[114:117], v240 offset:2000
	v_accvgpr_read_b32 v241, a231
	v_accvgpr_read_b32 v240, a230
	s_waitcnt vmcnt(2) lgkmcnt(0)
	v_mul_f64 v[128:129], v[114:115], v[232:233]
	s_waitcnt vmcnt(0)
	v_fmac_f64_e32 v[128:129], v[116:117], v[246:247]
	v_add_f64 v[128:129], v[2:3], v[128:129]
	v_accvgpr_read_b32 v2, a228
	v_accvgpr_read_b32 v3, a229
	v_add_f64 v[2:3], v[2:3], 0
	v_add_f64 v[2:3], v[2:3], v[240:241]
	v_accvgpr_read_b32 v241, a233
	v_accvgpr_read_b32 v240, a232
	v_add_f64 v[2:3], v[2:3], v[240:241]
	v_add_f64 v[2:3], v[2:3], v[238:239]
	v_add_f64 v[2:3], v[2:3], v[134:135]
	v_add_f64 v[2:3], v[2:3], v[236:237]
	v_add_f64 v[2:3], v[2:3], v[242:243]
	v_add_f64 v[2:3], v[2:3], v[32:33]
	v_add_f64 v[2:3], v[2:3], v[154:155]
	v_add_f64 v[2:3], v[2:3], v[94:95]
	v_add_f64 v[2:3], v[2:3], v[96:97]
	v_add_f64 v[2:3], v[2:3], v[30:31]
	v_add_f64 v[2:3], v[2:3], v[126:127]
	v_add_f64 v[2:3], v[2:3], v[28:29]
	v_add_f64 v[2:3], v[2:3], v[82:83]
	v_add_f64 v[2:3], v[2:3], v[84:85]
	v_add_f64 v[2:3], v[2:3], v[214:215]
	v_add_f64 v[2:3], v[2:3], v[22:23]
	v_add_f64 v[2:3], v[2:3], v[26:27]
	v_add_f64 v[2:3], v[2:3], v[244:245]
	v_add_f64 v[2:3], v[2:3], v[20:21]
	v_add_f64 v[2:3], v[2:3], v[18:19]
	v_add_f64 v[2:3], v[2:3], v[16:17]
	v_add_f64 v[2:3], v[2:3], v[144:145]
	v_add_f64 v[2:3], v[2:3], v[14:15]
	v_add_f64 v[2:3], v[2:3], v[248:249]
	v_add_f64 v[2:3], v[2:3], v[12:13]
	v_add_f64 v[2:3], v[2:3], v[136:137]
	v_add_f64 v[12:13], v[2:3], v[0:1]
	buffer_load_dword v2, off, s[0:3], 0 offset:48
	buffer_load_dword v3, off, s[0:3], 0 offset:52
	;; [unrolled: 1-line block ×4, first 2 shown]
	v_accvgpr_read_b32 v16, a190
	v_accvgpr_read_b32 v14, a194
	;; [unrolled: 1-line block ×5, first 2 shown]
	v_mul_f64 v[14:15], v[18:19], v[14:15]
	v_accvgpr_read_b32 v18, a196
	v_add_f64 v[12:13], v[12:13], v[24:25]
	v_accvgpr_read_b32 v17, a191
	v_accvgpr_read_b32 v19, a197
	v_add_f64 v[12:13], v[12:13], v[250:251]
	v_fma_f64 v[14:15], v[16:17], v[18:19], -v[14:15]
	v_add_f64 v[12:13], v[12:13], v[14:15]
	v_accvgpr_read_b32 v16, a198
	v_accvgpr_read_b32 v14, a206
	;; [unrolled: 1-line block ×5, first 2 shown]
	v_mul_f64 v[14:15], v[18:19], v[14:15]
	v_accvgpr_read_b32 v18, a210
	v_accvgpr_read_b32 v17, a199
	;; [unrolled: 1-line block ×3, first 2 shown]
	v_fma_f64 v[14:15], v[16:17], v[18:19], -v[14:15]
	v_add_f64 v[12:13], v[12:13], v[14:15]
	v_accvgpr_read_b32 v16, a202
	v_accvgpr_read_b32 v14, a208
	v_accvgpr_read_b32 v18, a204
	v_accvgpr_read_b32 v19, a205
	v_accvgpr_read_b32 v15, a209
	v_mul_f64 v[14:15], v[18:19], v[14:15]
	v_accvgpr_read_b32 v18, a212
	v_accvgpr_read_b32 v17, a203
	v_accvgpr_read_b32 v19, a213
	v_fma_f64 v[14:15], v[16:17], v[18:19], -v[14:15]
	v_add_f64 v[12:13], v[12:13], v[14:15]
	v_accvgpr_read_b32 v14, a214
	v_accvgpr_read_b32 v15, a215
	v_accvgpr_read_b32 v16, a216
	v_mul_f64 v[14:15], v[148:149], v[14:15]
	v_accvgpr_read_b32 v17, a217
	v_fma_f64 v[14:15], v[146:147], v[16:17], -v[14:15]
	v_add_f64 v[12:13], v[12:13], v[14:15]
	v_accvgpr_read_b32 v14, a218
	v_accvgpr_read_b32 v15, a219
	v_accvgpr_read_b32 v16, a220
	v_mul_f64 v[14:15], v[140:141], v[14:15]
	v_accvgpr_read_b32 v17, a221
	;; [unrolled: 7-line block ×3, first 2 shown]
	v_fma_f64 v[14:15], v[120:121], v[16:17], -v[14:15]
	v_accvgpr_read_b32 v16, a226
	v_add_f64 v[12:13], v[12:13], v[14:15]
	v_mul_f64 v[14:15], v[152:153], v[234:235]
	v_accvgpr_read_b32 v17, a227
	v_fma_f64 v[14:15], v[150:151], v[16:17], -v[14:15]
	v_add_f64 v[12:13], v[12:13], v[14:15]
	v_mul_f64 v[14:15], v[254:255], v[132:133]
	v_fma_f64 v[14:15], v[252:253], v[124:125], -v[14:15]
	v_add_f64 v[12:13], v[12:13], v[14:15]
	v_mul_f64 v[14:15], v[36:37], v[156:157]
	v_fma_f64 v[14:15], v[34:35], v[158:159], -v[14:15]
	v_add_f64 v[12:13], v[12:13], v[14:15]
	v_mul_f64 v[14:15], v[40:41], v[130:131]
	v_fma_f64 v[14:15], v[38:39], v[142:143], -v[14:15]
	v_add_f64 v[12:13], v[12:13], v[14:15]
	v_mul_f64 v[14:15], v[44:45], v[160:161]
	v_fma_f64 v[14:15], v[42:43], v[162:163], -v[14:15]
	v_add_f64 v[12:13], v[12:13], v[14:15]
	v_mul_f64 v[14:15], v[48:49], v[166:167]
	v_fma_f64 v[14:15], v[46:47], v[168:169], -v[14:15]
	v_add_f64 v[12:13], v[12:13], v[14:15]
	v_mul_f64 v[14:15], v[52:53], v[172:173]
	v_fma_f64 v[14:15], v[50:51], v[174:175], -v[14:15]
	v_add_f64 v[12:13], v[12:13], v[14:15]
	v_mul_f64 v[14:15], v[56:57], v[164:165]
	v_fma_f64 v[14:15], v[54:55], v[170:171], -v[14:15]
	v_add_f64 v[12:13], v[12:13], v[14:15]
	v_mul_f64 v[14:15], v[60:61], v[176:177]
	v_fma_f64 v[14:15], v[58:59], v[182:183], -v[14:15]
	v_add_f64 v[12:13], v[12:13], v[14:15]
	v_mul_f64 v[14:15], v[64:65], v[178:179]
	v_fma_f64 v[14:15], v[62:63], v[180:181], -v[14:15]
	v_add_f64 v[12:13], v[12:13], v[14:15]
	v_mul_f64 v[14:15], v[68:69], v[186:187]
	v_fma_f64 v[14:15], v[66:67], v[192:193], -v[14:15]
	v_add_f64 v[12:13], v[12:13], v[14:15]
	v_mul_f64 v[14:15], v[72:73], v[184:185]
	v_fma_f64 v[14:15], v[70:71], v[190:191], -v[14:15]
	v_add_f64 v[12:13], v[12:13], v[14:15]
	v_mul_f64 v[14:15], v[76:77], v[188:189]
	v_fma_f64 v[14:15], v[74:75], v[194:195], -v[14:15]
	v_add_f64 v[12:13], v[12:13], v[14:15]
	v_add_f64 v[8:9], v[12:13], v[8:9]
	;; [unrolled: 1-line block ×3, first 2 shown]
	v_mul_f64 v[10:11], v[88:89], v[196:197]
	v_fma_f64 v[10:11], v[86:87], v[202:203], -v[10:11]
	v_add_f64 v[8:9], v[8:9], v[10:11]
	v_mul_f64 v[10:11], v[92:93], v[208:209]
	v_fma_f64 v[10:11], v[90:91], v[210:211], -v[10:11]
	v_add_f64 v[8:9], v[8:9], v[10:11]
	v_add_f64 v[4:5], v[8:9], v[4:5]
	;; [unrolled: 1-line block ×3, first 2 shown]
	v_mul_f64 v[6:7], v[104:105], v[220:221]
	v_fma_f64 v[6:7], v[102:103], v[222:223], -v[6:7]
	v_add_f64 v[4:5], v[4:5], v[6:7]
	v_mul_f64 v[6:7], v[108:109], v[224:225]
	v_fma_f64 v[6:7], v[106:107], v[226:227], -v[6:7]
	v_add_f64 v[4:5], v[4:5], v[6:7]
	;; [unrolled: 3-line block ×4, first 2 shown]
	s_waitcnt vmcnt(2)
	v_add_f64 v[2:3], v[2:3], -v[4:5]
	s_waitcnt vmcnt(0)
	v_add_f64 v[0:1], v[0:1], -v[128:129]
	buffer_store_dword v3, off, s[0:3], 0 offset:52
	buffer_store_dword v2, off, s[0:3], 0 offset:48
	;; [unrolled: 1-line block ×4, first 2 shown]
	v_accvgpr_read_b32 v0, a188
	v_cmp_lt_u32_e32 vcc, 1, v0
	s_and_saveexec_b64 s[4:5], vcc
	s_cbranch_execz .LBB62_401
; %bb.400:
	v_accvgpr_read_b32 v3, a187
	buffer_load_dword v0, v3, s[0:3], 0 offen
	buffer_load_dword v1, v3, s[0:3], 0 offen offset:4
	buffer_load_dword v2, v3, s[0:3], 0 offen offset:8
	s_nop 0
	buffer_load_dword v3, v3, s[0:3], 0 offen offset:12
	v_mov_b32_e32 v4, 0
	v_accvgpr_read_b32 v5, a189
	buffer_store_dword v4, off, s[0:3], 0 offset:32
	buffer_store_dword v4, off, s[0:3], 0 offset:36
	;; [unrolled: 1-line block ×4, first 2 shown]
	s_waitcnt vmcnt(4)
	ds_write_b128 v5, v[0:3]
.LBB62_401:
	s_or_b64 exec, exec, s[4:5]
	s_waitcnt lgkmcnt(0)
	; wave barrier
	s_waitcnt lgkmcnt(0)
	buffer_load_dword v2, off, s[0:3], 0 offset:48
	buffer_load_dword v3, off, s[0:3], 0 offset:52
	;; [unrolled: 1-line block ×18, first 2 shown]
	v_mov_b32_e32 v234, 0
	s_waitcnt vmcnt(0)
	v_pk_mov_b32 v[24:25], v[6:7], v[6:7] op_sel:[0,1]
	buffer_load_dword v21, off, s[0:3], 0 offset:148
	buffer_load_dword v20, off, s[0:3], 0 offset:144
	;; [unrolled: 1-line block ×36, first 2 shown]
	ds_read_b128 v[128:131], v234 offset:1040
	ds_read_b128 v[132:135], v234 offset:1056
	;; [unrolled: 1-line block ×9, first 2 shown]
	s_waitcnt lgkmcnt(7)
	v_mul_f64 v[14:15], v[132:133], v[0:1]
	s_waitcnt lgkmcnt(6)
	v_mul_f64 v[16:17], v[136:137], v[230:231]
	v_fmac_f64_e32 v[14:15], v[134:135], v[66:67]
	s_waitcnt lgkmcnt(5)
	v_mul_f64 v[38:39], v[142:143], v[8:9]
	s_waitcnt lgkmcnt(4)
	v_mul_f64 v[40:41], v[148:149], v[98:99]
	v_fmac_f64_e32 v[40:41], v[150:151], v[4:5]
	s_waitcnt lgkmcnt(2)
	v_mul_f64 v[44:45], v[160:161], v[24:25]
	v_accvgpr_write_b32 a193, v25
	v_accvgpr_write_b32 a192, v24
	v_mul_f64 v[0:1], v[134:135], v[0:1]
	v_fma_f64 v[0:1], v[132:133], v[66:67], -v[0:1]
	v_accvgpr_write_b32 a243, v1
	v_accvgpr_write_b32 a242, v0
	v_mul_f64 v[0:1], v[138:139], v[230:231]
	s_waitcnt vmcnt(28)
	v_fmac_f64_e32 v[16:17], v[138:139], v[30:31]
	v_fma_f64 v[0:1], v[136:137], v[30:31], -v[0:1]
	s_waitcnt vmcnt(26)
	v_fmac_f64_e32 v[38:39], v[144:145], v[28:29]
	v_accvgpr_write_b32 a245, v1
	v_accvgpr_write_b32 a244, v0
	v_fmac_f64_e32 v[44:45], v[162:163], v[20:21]
	v_mul_f64 v[0:1], v[144:145], v[8:9]
	v_mul_f64 v[42:43], v[152:153], v[6:7]
	s_waitcnt vmcnt(24)
	v_fmac_f64_e32 v[42:43], v[154:155], v[96:97]
	v_pk_mov_b32 v[22:23], v[12:13], v[12:13] op_sel:[0,1]
	v_mul_f64 v[12:13], v[128:129], v[10:11]
	v_fmac_f64_e32 v[12:13], v[130:131], v[2:3]
	v_add_f64 v[12:13], v[12:13], 0
	v_add_f64 v[12:13], v[12:13], v[14:15]
	;; [unrolled: 1-line block ×7, first 2 shown]
	buffer_load_dword v109, off, s[0:3], 0 offset:276
	buffer_load_dword v108, off, s[0:3], 0 offset:272
	;; [unrolled: 1-line block ×62, first 2 shown]
	ds_read_b128 v[174:177], v234 offset:1184
	ds_read_b128 v[178:181], v234 offset:1200
	s_waitcnt lgkmcnt(3)
	v_mul_f64 v[68:69], v[166:167], v[22:23]
	s_waitcnt vmcnt(62)
	v_fmac_f64_e32 v[68:69], v[168:169], v[18:19]
	s_waitcnt lgkmcnt(2)
	v_mul_f64 v[14:15], v[170:171], v[250:251]
	v_add_f64 v[12:13], v[12:13], v[68:69]
	v_fmac_f64_e32 v[14:15], v[172:173], v[232:233]
	ds_read_b128 v[182:185], v234 offset:1216
	ds_read_b128 v[186:189], v234 offset:1232
	v_add_f64 v[12:13], v[12:13], v[14:15]
	s_waitcnt lgkmcnt(3)
	v_mul_f64 v[14:15], v[174:175], v[124:125]
	v_fmac_f64_e32 v[14:15], v[176:177], v[126:127]
	v_add_f64 v[12:13], v[12:13], v[14:15]
	s_waitcnt lgkmcnt(2)
	v_mul_f64 v[14:15], v[178:179], v[34:35]
	v_fmac_f64_e32 v[14:15], v[180:181], v[248:249]
	ds_read_b128 v[190:193], v234 offset:1248
	ds_read_b128 v[194:197], v234 offset:1264
	v_add_f64 v[12:13], v[12:13], v[14:15]
	s_waitcnt lgkmcnt(3)
	v_mul_f64 v[14:15], v[182:183], v[92:93]
	v_fmac_f64_e32 v[14:15], v[184:185], v[94:95]
	v_add_f64 v[12:13], v[12:13], v[14:15]
	s_waitcnt lgkmcnt(2)
	v_mul_f64 v[14:15], v[186:187], v[74:75]
	v_fmac_f64_e32 v[14:15], v[188:189], v[76:77]
	ds_read_b128 v[198:201], v234 offset:1280
	ds_read_b128 v[206:209], v234 offset:1296
	v_add_f64 v[12:13], v[12:13], v[14:15]
	s_waitcnt vmcnt(58) lgkmcnt(3)
	v_mul_f64 v[14:15], v[190:191], v[26:27]
	s_waitcnt vmcnt(56)
	v_fmac_f64_e32 v[14:15], v[192:193], v[238:239]
	v_add_f64 v[12:13], v[12:13], v[14:15]
	s_waitcnt lgkmcnt(2)
	v_mul_f64 v[14:15], v[194:195], v[62:63]
	v_fmac_f64_e32 v[14:15], v[196:197], v[108:109]
	ds_read_b128 v[210:213], v234 offset:1312
	ds_read_b128 v[214:217], v234 offset:1328
	v_add_f64 v[12:13], v[12:13], v[14:15]
	s_waitcnt vmcnt(50) lgkmcnt(3)
	v_mul_f64 v[14:15], v[198:199], v[158:159]
	s_waitcnt vmcnt(48)
	;; [unrolled: 11-line block ×4, first 2 shown]
	v_fmac_f64_e32 v[14:15], v[220:221], v[16:17]
	v_add_f64 v[12:13], v[12:13], v[14:15]
	s_waitcnt lgkmcnt(2)
	v_mul_f64 v[14:15], v[222:223], v[80:81]
	v_fmac_f64_e32 v[14:15], v[224:225], v[86:87]
	v_add_f64 v[12:13], v[12:13], v[14:15]
	s_waitcnt vmcnt(26) lgkmcnt(1)
	v_mul_f64 v[14:15], v[226:227], v[84:85]
	s_waitcnt vmcnt(24)
	v_fmac_f64_e32 v[14:15], v[228:229], v[90:91]
	v_add_f64 v[12:13], v[12:13], v[14:15]
	s_waitcnt lgkmcnt(0)
	v_mul_f64 v[14:15], v[120:121], v[78:79]
	v_fmac_f64_e32 v[14:15], v[122:123], v[72:73]
	ds_read_b128 v[244:247], v234 offset:1408
	buffer_load_dword v203, off, s[0:3], 0 offset:524
	buffer_load_dword v202, off, s[0:3], 0 offset:520
	;; [unrolled: 1-line block ×4, first 2 shown]
	v_add_f64 v[38:39], v[12:13], v[14:15]
	ds_read_b128 v[12:15], v234 offset:1424
	buffer_load_dword v111, off, s[0:3], 0 offset:540
	buffer_load_dword v110, off, s[0:3], 0 offset:536
	;; [unrolled: 1-line block ×10, first 2 shown]
	v_accvgpr_write_b32 a191, v23
	v_accvgpr_write_b32 a190, v22
	v_mul_f64 v[10:11], v[130:131], v[10:11]
	v_fma_f64 v[2:3], v[128:129], v[2:3], -v[10:11]
	s_waitcnt vmcnt(32) lgkmcnt(1)
	v_mul_f64 v[40:41], v[244:245], v[64:65]
	v_accvgpr_write_b32 a241, v3
	s_waitcnt vmcnt(30)
	v_fmac_f64_e32 v[40:41], v[246:247], v[70:71]
	v_accvgpr_write_b32 a240, v2
	s_waitcnt lgkmcnt(0)
	v_mul_f64 v[2:3], v[12:13], v[46:47]
	v_add_f64 v[38:39], v[38:39], v[40:41]
	v_fmac_f64_e32 v[2:3], v[14:15], v[48:49]
	v_add_f64 v[2:3], v[38:39], v[2:3]
	v_fma_f64 v[136:137], v[142:143], v[28:29], -v[0:1]
	v_mul_f64 v[0:1], v[150:151], v[98:99]
	v_fma_f64 v[134:135], v[148:149], v[4:5], -v[0:1]
	v_mul_f64 v[0:1], v[154:155], v[6:7]
	v_fma_f64 v[142:143], v[152:153], v[96:97], -v[0:1]
	v_accvgpr_read_b32 v0, a192
	v_accvgpr_read_b32 v1, a193
	v_mul_f64 v[74:75], v[188:189], v[74:75]
	v_mul_f64 v[26:27], v[192:193], v[26:27]
	;; [unrolled: 1-line block ×3, first 2 shown]
	v_fma_f64 v[82:83], v[214:215], v[88:89], -v[82:83]
	v_mul_f64 v[88:89], v[220:221], v[44:45]
	v_mul_f64 v[84:85], v[228:229], v[84:85]
	;; [unrolled: 1-line block ×4, first 2 shown]
	v_fma_f64 v[90:91], v[226:227], v[90:91], -v[84:85]
	v_fma_f64 v[120:121], v[120:121], v[72:73], -v[78:79]
	v_mul_f64 v[64:65], v[246:247], v[64:65]
	v_mul_f64 v[80:81], v[224:225], v[80:81]
	v_fma_f64 v[80:81], v[222:223], v[86:87], -v[80:81]
	v_mul_f64 v[14:15], v[14:15], v[46:47]
	v_fma_f64 v[62:63], v[194:195], v[108:109], -v[62:63]
	v_fma_f64 v[194:195], v[218:219], v[16:17], -v[88:89]
	s_waitcnt vmcnt(0)
	v_pk_mov_b32 v[146:147], v[42:43], v[42:43] op_sel:[0,1]
	buffer_load_dword v25, off, s[0:3], 0 offset:564
	buffer_load_dword v24, off, s[0:3], 0 offset:560
	;; [unrolled: 1-line block ×6, first 2 shown]
	ds_read_b128 v[252:255], v234 offset:1440
	buffer_load_dword v130, off, s[0:3], 0 offset:600
	buffer_load_dword v236, off, s[0:3], 0 offset:592
	;; [unrolled: 1-line block ×8, first 2 shown]
	ds_read_b128 v[66:69], v234 offset:1456
	v_accvgpr_write_b32 a199, v147
	s_waitcnt lgkmcnt(1)
	v_mul_f64 v[10:11], v[252:253], v[50:51]
	v_fmac_f64_e32 v[10:11], v[254:255], v[52:53]
	v_add_f64 v[10:11], v[2:3], v[10:11]
	buffer_load_dword v3, off, s[0:3], 0 offset:636
	buffer_load_dword v2, off, s[0:3], 0 offset:632
	s_waitcnt lgkmcnt(0)
	v_mul_f64 v[4:5], v[66:67], v[54:55]
	v_fmac_f64_e32 v[4:5], v[68:69], v[36:37]
	v_add_f64 v[4:5], v[10:11], v[4:5]
	v_accvgpr_write_b32 a198, v146
	v_mul_f64 v[46:47], v[254:255], v[50:51]
	v_fma_f64 v[252:253], v[252:253], v[52:53], -v[46:47]
	v_mul_f64 v[54:55], v[68:69], v[54:55]
	v_fma_f64 v[254:255], v[66:67], v[36:37], -v[54:55]
	v_accvgpr_read_b32 v54, a242
	v_accvgpr_read_b32 v55, a243
	s_waitcnt vmcnt(14)
	v_accvgpr_write_b32 a203, v25
	v_accvgpr_write_b32 a202, v24
	s_waitcnt vmcnt(12)
	v_accvgpr_write_b32 a201, v23
	v_accvgpr_write_b32 a200, v22
	;; [unrolled: 3-line block ×4, first 2 shown]
	s_waitcnt vmcnt(4)
	v_accvgpr_write_b32 a220, v242
	s_waitcnt vmcnt(2)
	v_accvgpr_write_b32 a218, v240
	v_accvgpr_write_b32 a221, v243
	;; [unrolled: 1-line block ×4, first 2 shown]
	s_waitcnt vmcnt(0)
	v_pk_mov_b32 v[138:139], v[2:3], v[2:3] op_sel:[0,1]
	buffer_load_dword v3, off, s[0:3], 0 offset:628
	buffer_load_dword v2, off, s[0:3], 0 offset:624
	;; [unrolled: 1-line block ×10, first 2 shown]
	ds_read_b128 v[38:41], v234 offset:1472
	ds_read_b128 v[28:31], v234 offset:1488
	;; [unrolled: 1-line block ×5, first 2 shown]
	s_waitcnt lgkmcnt(4)
	v_mul_f64 v[6:7], v[38:39], v[32:33]
	v_fmac_f64_e32 v[6:7], v[40:41], v[60:61]
	v_add_f64 v[4:5], v[4:5], v[6:7]
	s_waitcnt lgkmcnt(3)
	v_mul_f64 v[6:7], v[28:29], v[140:141]
	v_fmac_f64_e32 v[6:7], v[30:31], v[118:119]
	v_add_f64 v[8:9], v[4:5], v[6:7]
	v_mul_f64 v[4:5], v[162:163], v[0:1]
	v_fma_f64 v[132:133], v[160:161], v[20:21], -v[4:5]
	ds_read_b128 v[4:7], v234 offset:1520
	s_waitcnt lgkmcnt(3)
	v_mul_f64 v[10:11], v[96:97], v[202:203]
	v_accvgpr_read_b32 v0, a190
	v_fmac_f64_e32 v[10:11], v[98:99], v[204:205]
	v_accvgpr_read_b32 v1, a191
	v_add_f64 v[20:21], v[8:9], v[10:11]
	v_mul_f64 v[8:9], v[168:169], v[0:1]
	v_fma_f64 v[144:145], v[166:167], v[18:19], -v[8:9]
	ds_read_b128 v[8:11], v234 offset:1536
	s_waitcnt lgkmcnt(1)
	v_mul_f64 v[18:19], v[4:5], v[110:111]
	v_fmac_f64_e32 v[18:19], v[6:7], v[114:115]
	v_add_f64 v[18:19], v[20:21], v[18:19]
	v_mul_f64 v[20:21], v[172:173], v[250:251]
	v_fma_f64 v[128:129], v[170:171], v[232:233], -v[20:21]
	s_waitcnt lgkmcnt(0)
	v_mul_f64 v[20:21], v[8:9], v[112:113]
	v_fmac_f64_e32 v[20:21], v[10:11], v[116:117]
	v_add_f64 v[18:19], v[18:19], v[20:21]
	v_mul_f64 v[20:21], v[148:149], v[146:147]
	v_fmac_f64_e32 v[20:21], v[150:151], v[24:25]
	v_accvgpr_write_b32 a193, v151
	v_accvgpr_write_b32 a192, v150
	;; [unrolled: 1-line block ×4, first 2 shown]
	v_add_f64 v[18:19], v[18:19], v[20:21]
	ds_read_b128 v[146:149], v234 offset:1600
	v_mul_f64 v[20:21], v[152:153], v[22:23]
	v_mul_f64 v[22:23], v[176:177], v[124:125]
	v_fma_f64 v[250:251], v[174:175], v[126:127], -v[22:23]
	ds_read_b128 v[22:25], v234 offset:1584
	v_fmac_f64_e32 v[20:21], v[154:155], v[42:43]
	v_add_f64 v[18:19], v[18:19], v[20:21]
	v_mul_f64 v[20:21], v[180:181], v[34:35]
	v_fma_f64 v[42:43], v[178:179], v[248:249], -v[20:21]
	s_waitcnt lgkmcnt(0)
	v_pk_mov_b32 v[20:21], v[22:23], v[22:23] op_sel:[0,1]
	v_pk_mov_b32 v[22:23], v[24:25], v[24:25] op_sel:[0,1]
	v_mul_f64 v[24:25], v[20:21], v[130:131]
	v_fmac_f64_e32 v[24:25], v[22:23], v[236:237]
	v_add_f64 v[124:125], v[18:19], v[24:25]
	v_mul_f64 v[18:19], v[184:185], v[92:93]
	v_mul_f64 v[92:93], v[146:147], v[242:243]
	v_fmac_f64_e32 v[92:93], v[148:149], v[240:241]
	buffer_load_dword v1, off, s[0:3], 0 offset:684
	buffer_load_dword v0, off, s[0:3], 0 offset:680
	;; [unrolled: 1-line block ×4, first 2 shown]
	v_fma_f64 v[24:25], v[182:183], v[94:95], -v[18:19]
	buffer_load_dword v19, off, s[0:3], 0 offset:676
	buffer_load_dword v18, off, s[0:3], 0 offset:672
	;; [unrolled: 1-line block ×3, first 2 shown]
	v_add_f64 v[92:93], v[124:125], v[92:93]
	ds_read_b128 v[124:127], v234 offset:1616
	v_accvgpr_write_b32 a217, v149
	v_accvgpr_write_b32 a216, v148
	;; [unrolled: 1-line block ×4, first 2 shown]
	ds_read_b128 v[146:149], v234 offset:1632
	v_accvgpr_write_b32 a209, v23
	ds_read_b128 v[240:243], v234 offset:1648
	v_accvgpr_write_b32 a208, v22
	v_accvgpr_write_b32 a207, v21
	;; [unrolled: 1-line block ×3, first 2 shown]
	v_fma_f64 v[22:23], v[186:187], v[76:77], -v[74:75]
	s_waitcnt lgkmcnt(2)
	v_mul_f64 v[74:75], v[124:125], v[138:139]
	v_accvgpr_write_b32 a197, v155
	v_accvgpr_write_b32 a196, v154
	;; [unrolled: 1-line block ×4, first 2 shown]
	ds_read_b128 v[152:155], v234 offset:1664
	buffer_load_dword v237, off, s[0:3], 0 offset:692
	s_waitcnt vmcnt(16)
	v_fmac_f64_e32 v[74:75], v[126:127], v[2:3]
	v_add_f64 v[74:75], v[92:93], v[74:75]
	s_waitcnt vmcnt(13) lgkmcnt(2)
	v_mul_f64 v[92:93], v[146:147], v[156:157]
	s_waitcnt vmcnt(11)
	v_fmac_f64_e32 v[92:93], v[148:149], v[56:57]
	v_accvgpr_write_b32 a233, v149
	v_add_f64 v[74:75], v[74:75], v[92:93]
	s_waitcnt vmcnt(10) lgkmcnt(1)
	v_mul_f64 v[92:93], v[240:241], v[230:231]
	s_waitcnt vmcnt(8)
	v_accvgpr_write_b32 a237, v59
	v_accvgpr_write_b32 a232, v148
	;; [unrolled: 1-line block ×4, first 2 shown]
	v_fmac_f64_e32 v[92:93], v[242:243], v[58:59]
	v_accvgpr_write_b32 a236, v58
	buffer_load_dword v147, off, s[0:3], 0 offset:716
	buffer_load_dword v146, off, s[0:3], 0 offset:712
	;; [unrolled: 1-line block ×6, first 2 shown]
	v_fma_f64 v[76:77], v[190:191], v[238:239], -v[26:27]
	v_add_f64 v[74:75], v[74:75], v[92:93]
	v_mul_f64 v[92:93], v[200:201], v[158:159]
	buffer_load_dword v159, off, s[0:3], 0 offset:724
	buffer_load_dword v158, off, s[0:3], 0 offset:720
	;; [unrolled: 1-line block ×3, first 2 shown]
	v_accvgpr_write_b32 a225, v127
	v_accvgpr_write_b32 a210, v130
	;; [unrolled: 1-line block ×5, first 2 shown]
	buffer_load_dword v27, off, s[0:3], 0 offset:748
	buffer_load_dword v26, off, s[0:3], 0 offset:744
	;; [unrolled: 1-line block ×27, first 2 shown]
	v_fma_f64 v[198:199], v[198:199], v[164:165], -v[92:93]
	v_mul_f64 v[92:93], v[208:209], v[100:101]
	buffer_load_dword v123, off, s[0:3], 0 offset:860
	buffer_load_dword v122, off, s[0:3], 0 offset:856
	;; [unrolled: 1-line block ×12, first 2 shown]
	ds_read_b128 v[148:151], v234 offset:1680
	v_fma_f64 v[92:93], v[206:207], v[102:103], -v[92:93]
	v_fma_f64 v[206:207], v[244:245], v[70:71], -v[64:65]
	buffer_load_dword v65, off, s[0:3], 0 offset:908
	buffer_load_dword v64, off, s[0:3], 0 offset:904
	;; [unrolled: 1-line block ×4, first 2 shown]
	ds_read_b128 v[244:247], v234 offset:1696
	ds_read_b128 v[164:167], v234 offset:1712
	v_fma_f64 v[20:21], v[12:13], v[48:49], -v[14:15]
	ds_read_b128 v[46:49], v234 offset:1728
	ds_read_b128 v[160:163], v234 offset:1760
	;; [unrolled: 1-line block ×3, first 2 shown]
	v_mul_f64 v[40:41], v[40:41], v[32:33]
	v_accvgpr_write_b32 a229, v3
	v_accvgpr_write_b32 a228, v2
	;; [unrolled: 1-line block ×3, first 2 shown]
	v_mul_f64 v[2:3], v[30:31], v[140:141]
	v_accvgpr_write_b32 a238, v56
	v_mul_f64 v[16:17], v[98:99], v[202:203]
	v_fma_f64 v[16:17], v[96:97], v[204:205], -v[16:17]
	ds_read_b128 v[30:33], v234 offset:1856
	v_mul_f64 v[94:95], v[212:213], v[104:105]
	v_fma_f64 v[192:193], v[210:211], v[106:107], -v[94:95]
	v_accvgpr_write_b32 a235, v157
	v_accvgpr_write_b32 a234, v156
	;; [unrolled: 1-line block ×4, first 2 shown]
	s_waitcnt vmcnt(58) lgkmcnt(7)
	v_mul_f64 v[86:87], v[152:153], v[0:1]
	v_pk_mov_b32 v[156:157], v[0:1], v[0:1] op_sel:[0,1]
	s_waitcnt vmcnt(54)
	v_fmac_f64_e32 v[86:87], v[154:155], v[18:19]
	s_waitcnt vmcnt(53) lgkmcnt(6)
	v_mul_f64 v[72:73], v[148:149], v[232:233]
	v_add_f64 v[70:71], v[74:75], v[86:87]
	v_fma_f64 v[74:75], v[38:39], v[60:61], -v[40:41]
	v_pk_mov_b32 v[56:57], v[18:19], v[18:19] op_sel:[0,1]
	v_fma_f64 v[18:19], v[28:29], v[118:119], -v[2:3]
	ds_read_b128 v[86:89], v234 offset:1888
	ds_read_b128 v[168:171], v234 offset:1840
	s_waitcnt vmcnt(52)
	v_fmac_f64_e32 v[72:73], v[150:151], v[236:237]
	v_add_f64 v[70:71], v[70:71], v[72:73]
	s_waitcnt vmcnt(50) lgkmcnt(7)
	v_mul_f64 v[14:15], v[244:245], v[146:147]
	s_waitcnt vmcnt(48)
	v_fmac_f64_e32 v[14:15], v[246:247], v[58:59]
	v_add_f64 v[14:15], v[70:71], v[14:15]
	s_waitcnt vmcnt(46) lgkmcnt(6)
	v_mul_f64 v[50:51], v[164:165], v[34:35]
	ds_read_b128 v[70:73], v234 offset:1824
	s_waitcnt vmcnt(44)
	v_fmac_f64_e32 v[50:51], v[166:167], v[158:159]
	v_add_f64 v[14:15], v[14:15], v[50:51]
	ds_read_b128 v[50:53], v234 offset:1744
	s_waitcnt vmcnt(41) lgkmcnt(7)
	v_mul_f64 v[66:67], v[46:47], v[26:27]
	s_waitcnt vmcnt(39)
	v_fmac_f64_e32 v[66:67], v[48:49], v[172:173]
	v_add_f64 v[14:15], v[14:15], v[66:67]
	s_waitcnt vmcnt(33) lgkmcnt(6)
	v_mul_f64 v[38:39], v[160:161], v[176:177]
	s_waitcnt lgkmcnt(0)
	v_mul_f64 v[66:67], v[50:51], v[238:239]
	v_fmac_f64_e32 v[66:67], v[52:53], v[126:127]
	v_add_f64 v[14:15], v[14:15], v[66:67]
	s_waitcnt vmcnt(31)
	v_fmac_f64_e32 v[38:39], v[162:163], v[178:179]
	v_add_f64 v[14:15], v[14:15], v[38:39]
	s_waitcnt vmcnt(29)
	v_mul_f64 v[38:39], v[180:181], v[130:131]
	s_waitcnt vmcnt(28)
	v_fmac_f64_e32 v[38:39], v[182:183], v[174:175]
	v_add_f64 v[14:15], v[14:15], v[38:39]
	ds_read_b128 v[38:41], v234 offset:1792
	ds_read_b128 v[66:69], v234 offset:1808
	s_waitcnt vmcnt(26) lgkmcnt(1)
	v_mul_f64 v[2:3], v[38:39], v[44:45]
	s_waitcnt vmcnt(24)
	v_fmac_f64_e32 v[2:3], v[40:41], v[124:125]
	v_add_f64 v[2:3], v[14:15], v[2:3]
	s_waitcnt vmcnt(22) lgkmcnt(0)
	v_mul_f64 v[14:15], v[66:67], v[184:185]
	s_waitcnt vmcnt(20)
	v_fmac_f64_e32 v[14:15], v[68:69], v[188:189]
	v_add_f64 v[2:3], v[2:3], v[14:15]
	s_waitcnt vmcnt(18)
	v_mul_f64 v[14:15], v[70:71], v[186:187]
	s_waitcnt vmcnt(16)
	v_fmac_f64_e32 v[14:15], v[72:73], v[190:191]
	v_add_f64 v[14:15], v[2:3], v[14:15]
	v_mul_f64 v[2:3], v[6:7], v[110:111]
	v_fma_f64 v[12:13], v[4:5], v[114:115], -v[2:3]
	v_mul_f64 v[2:3], v[10:11], v[112:113]
	v_fma_f64 v[2:3], v[8:9], v[116:117], -v[2:3]
	ds_read_b128 v[8:11], v234 offset:1872
	buffer_load_dword v202, off, s[0:3], 0 offset:920
	buffer_load_dword v203, off, s[0:3], 0 offset:924
	;; [unrolled: 1-line block ×4, first 2 shown]
	s_waitcnt vmcnt(18)
	v_mul_f64 v[4:5], v[168:169], v[122:123]
	s_waitcnt vmcnt(16)
	v_fmac_f64_e32 v[4:5], v[170:171], v[226:227]
	s_waitcnt vmcnt(13)
	v_mul_f64 v[6:7], v[30:31], v[196:197]
	v_add_f64 v[4:5], v[14:15], v[4:5]
	s_waitcnt vmcnt(11)
	v_fmac_f64_e32 v[6:7], v[32:33], v[248:249]
	v_add_f64 v[4:5], v[4:5], v[6:7]
	s_waitcnt vmcnt(9) lgkmcnt(0)
	v_mul_f64 v[6:7], v[8:9], v[78:79]
	s_waitcnt vmcnt(8)
	v_fmac_f64_e32 v[6:7], v[10:11], v[84:85]
	v_add_f64 v[4:5], v[4:5], v[6:7]
	s_waitcnt vmcnt(6)
	v_mul_f64 v[6:7], v[86:87], v[64:65]
	s_waitcnt vmcnt(4)
	v_fmac_f64_e32 v[6:7], v[88:89], v[200:201]
	v_add_f64 v[14:15], v[4:5], v[6:7]
	ds_read_b128 v[4:7], v234 offset:1904
	s_waitcnt vmcnt(2) lgkmcnt(0)
	v_mul_f64 v[94:95], v[4:5], v[202:203]
	s_waitcnt vmcnt(0)
	v_fmac_f64_e32 v[94:95], v[6:7], v[204:205]
	v_add_f64 v[98:99], v[14:15], v[94:95]
	buffer_load_dword v15, off, s[0:3], 0 offset:940
	buffer_load_dword v14, off, s[0:3], 0 offset:936
	;; [unrolled: 1-line block ×4, first 2 shown]
	ds_read_b128 v[94:97], v234 offset:1920
	buffer_load_dword v210, off, s[0:3], 0 offset:952
	buffer_load_dword v211, off, s[0:3], 0 offset:956
	buffer_load_dword v212, off, s[0:3], 0 offset:944
	buffer_load_dword v213, off, s[0:3], 0 offset:948
	s_waitcnt vmcnt(6) lgkmcnt(0)
	v_mul_f64 v[100:101], v[94:95], v[14:15]
	s_waitcnt vmcnt(4)
	v_fmac_f64_e32 v[100:101], v[96:97], v[208:209]
	v_add_f64 v[102:103], v[98:99], v[100:101]
	ds_read_b128 v[98:101], v234 offset:1936
	buffer_load_dword v215, off, s[0:3], 0 offset:972
	buffer_load_dword v214, off, s[0:3], 0 offset:968
	buffer_load_dword v217, off, s[0:3], 0 offset:964
	buffer_load_dword v216, off, s[0:3], 0 offset:960
	s_waitcnt vmcnt(6) lgkmcnt(0)
	v_mul_f64 v[104:105], v[98:99], v[210:211]
	s_waitcnt vmcnt(4)
	v_fmac_f64_e32 v[104:105], v[100:101], v[212:213]
	v_add_f64 v[106:107], v[102:103], v[104:105]
	;; [unrolled: 10-line block ×5, first 2 shown]
	ds_read_b128 v[114:117], v234 offset:2000
	s_waitcnt vmcnt(2) lgkmcnt(0)
	v_mul_f64 v[138:139], v[114:115], v[228:229]
	s_waitcnt vmcnt(0)
	v_fmac_f64_e32 v[138:139], v[116:117], v[28:29]
	v_add_f64 v[36:37], v[0:1], v[138:139]
	v_accvgpr_read_b32 v0, a240
	v_accvgpr_read_b32 v1, a241
	v_add_f64 v[0:1], v[0:1], 0
	v_add_f64 v[0:1], v[0:1], v[54:55]
	v_accvgpr_read_b32 v54, a244
	v_accvgpr_read_b32 v55, a245
	v_add_f64 v[0:1], v[0:1], v[54:55]
	v_add_f64 v[0:1], v[0:1], v[136:137]
	;; [unrolled: 1-line block ×25, first 2 shown]
	buffer_load_dword v254, off, s[0:3], 0 offset:32
	buffer_load_dword v255, off, s[0:3], 0 offset:36
	;; [unrolled: 1-line block ×4, first 2 shown]
	v_add_f64 v[0:1], v[0:1], v[74:75]
	v_add_f64 v[0:1], v[0:1], v[18:19]
	;; [unrolled: 1-line block ×5, first 2 shown]
	v_accvgpr_read_b32 v16, a190
	v_accvgpr_read_b32 v2, a198
	v_accvgpr_read_b32 v18, a192
	v_accvgpr_read_b32 v19, a193
	v_accvgpr_read_b32 v3, a199
	v_accvgpr_read_b32 v12, a202
	v_accvgpr_read_b32 v17, a191
	v_mul_f64 v[2:3], v[18:19], v[2:3]
	v_accvgpr_read_b32 v13, a203
	v_fma_f64 v[2:3], v[16:17], v[12:13], -v[2:3]
	v_add_f64 v[0:1], v[0:1], v[2:3]
	v_accvgpr_read_b32 v16, a194
	v_accvgpr_read_b32 v2, a200
	v_accvgpr_read_b32 v18, a196
	v_accvgpr_read_b32 v19, a197
	v_accvgpr_read_b32 v3, a201
	v_accvgpr_read_b32 v12, a204
	v_accvgpr_read_b32 v17, a195
	v_mul_f64 v[2:3], v[18:19], v[2:3]
	v_accvgpr_read_b32 v13, a205
	v_fma_f64 v[2:3], v[16:17], v[12:13], -v[2:3]
	v_add_f64 v[0:1], v[0:1], v[2:3]
	;; [unrolled: 11-line block ×5, first 2 shown]
	v_accvgpr_read_b32 v16, a230
	v_accvgpr_read_b32 v2, a234
	v_accvgpr_read_b32 v18, a232
	v_accvgpr_read_b32 v19, a233
	v_accvgpr_read_b32 v3, a235
	v_accvgpr_read_b32 v12, a238
	v_accvgpr_read_b32 v17, a231
	v_mul_f64 v[2:3], v[18:19], v[2:3]
	v_accvgpr_read_b32 v13, a239
	v_fma_f64 v[2:3], v[16:17], v[12:13], -v[2:3]
	v_accvgpr_read_b32 v12, a236
	v_add_f64 v[0:1], v[0:1], v[2:3]
	v_mul_f64 v[2:3], v[242:243], v[230:231]
	v_accvgpr_read_b32 v13, a237
	v_fma_f64 v[2:3], v[240:241], v[12:13], -v[2:3]
	v_add_f64 v[0:1], v[0:1], v[2:3]
	v_mul_f64 v[2:3], v[154:155], v[156:157]
	v_fma_f64 v[2:3], v[152:153], v[56:57], -v[2:3]
	v_add_f64 v[0:1], v[0:1], v[2:3]
	v_mul_f64 v[2:3], v[150:151], v[232:233]
	;; [unrolled: 3-line block ×22, first 2 shown]
	v_fma_f64 v[2:3], v[114:115], v[28:29], -v[2:3]
	v_add_f64 v[0:1], v[0:1], v[2:3]
	s_waitcnt vmcnt(2)
	v_add_f64 v[0:1], v[254:255], -v[0:1]
	s_waitcnt vmcnt(0)
	v_add_f64 v[2:3], v[252:253], -v[36:37]
	buffer_store_dword v1, off, s[0:3], 0 offset:36
	buffer_store_dword v0, off, s[0:3], 0 offset:32
	;; [unrolled: 1-line block ×4, first 2 shown]
	v_accvgpr_read_b32 v0, a188
	v_cmp_ne_u32_e32 vcc, 0, v0
	s_and_saveexec_b64 s[4:5], vcc
	s_cbranch_execz .LBB62_403
; %bb.402:
	buffer_load_dword v0, off, s[0:3], 0 offset:16
	buffer_load_dword v1, off, s[0:3], 0 offset:20
	;; [unrolled: 1-line block ×4, first 2 shown]
	v_accvgpr_read_b32 v4, a189
	buffer_store_dword v234, off, s[0:3], 0 offset:16
	buffer_store_dword v234, off, s[0:3], 0 offset:20
	;; [unrolled: 1-line block ×4, first 2 shown]
	s_waitcnt vmcnt(4)
	ds_write_b128 v4, v[0:3]
.LBB62_403:
	s_or_b64 exec, exec, s[4:5]
	s_waitcnt lgkmcnt(0)
	; wave barrier
	s_waitcnt lgkmcnt(0)
	buffer_load_dword v0, off, s[0:3], 0 offset:32
	buffer_load_dword v1, off, s[0:3], 0 offset:36
	;; [unrolled: 1-line block ×12, first 2 shown]
	s_and_b64 vcc, exec, s[22:23]
	s_waitcnt vmcnt(0)
	v_pk_mov_b32 v[26:27], v[6:7], v[6:7] op_sel:[0,1]
	buffer_load_dword v239, off, s[0:3], 0 offset:100
	buffer_load_dword v238, off, s[0:3], 0 offset:96
	;; [unrolled: 1-line block ×30, first 2 shown]
	ds_read_b128 v[116:119], v234 offset:1024
	ds_read_b128 v[120:123], v234 offset:1040
	;; [unrolled: 1-line block ×10, first 2 shown]
	buffer_load_dword v135, off, s[0:3], 0 offset:180
	buffer_load_dword v134, off, s[0:3], 0 offset:176
	ds_read_b128 v[244:247], v234 offset:1184
	buffer_load_dword v87, off, s[0:3], 0 offset:236
	buffer_load_dword v86, off, s[0:3], 0 offset:232
	;; [unrolled: 1-line block ×6, first 2 shown]
	s_waitcnt lgkmcnt(10)
	v_mul_f64 v[8:9], v[116:117], v[4:5]
	s_waitcnt lgkmcnt(9)
	v_mul_f64 v[10:11], v[120:121], v[2:3]
	v_fmac_f64_e32 v[8:9], v[118:119], v[0:1]
	s_waitcnt lgkmcnt(8)
	v_mul_f64 v[12:13], v[124:125], v[16:17]
	v_fmac_f64_e32 v[10:11], v[122:123], v[24:25]
	v_add_f64 v[8:9], v[8:9], 0
	v_add_f64 v[8:9], v[8:9], v[10:11]
	s_waitcnt lgkmcnt(6)
	v_mul_f64 v[36:37], v[136:137], v[26:27]
	v_mul_f64 v[4:5], v[118:119], v[4:5]
	v_fma_f64 v[0:1], v[116:117], v[0:1], -v[4:5]
	v_accvgpr_write_b32 a237, v1
	v_accvgpr_write_b32 a236, v0
	v_mul_f64 v[0:1], v[122:123], v[2:3]
	v_fma_f64 v[0:1], v[120:121], v[24:25], -v[0:1]
	v_accvgpr_write_b32 a239, v1
	v_accvgpr_write_b32 a238, v0
	v_mul_f64 v[0:1], v[126:127], v[16:17]
	v_accvgpr_write_b32 a189, v27
	v_accvgpr_write_b32 a188, v26
	s_waitcnt vmcnt(36)
	v_fmac_f64_e32 v[36:37], v[138:139], v[238:239]
	s_waitcnt vmcnt(34)
	v_mul_f64 v[14:15], v[128:129], v[218:219]
	s_waitcnt vmcnt(32) lgkmcnt(4)
	v_mul_f64 v[40:41], v[160:161], v[236:237]
	s_waitcnt vmcnt(30)
	v_fmac_f64_e32 v[40:41], v[162:163], v[240:241]
	s_waitcnt vmcnt(28)
	v_mul_f64 v[38:39], v[148:149], v[6:7]
	v_mul_f64 v[6:7], v[150:151], v[6:7]
	s_waitcnt vmcnt(26) lgkmcnt(2)
	v_mul_f64 v[44:45], v[168:169], v[228:229]
	v_mul_f64 v[118:119], v[170:171], v[228:229]
	s_waitcnt vmcnt(23)
	v_mul_f64 v[42:43], v[164:165], v[34:35]
	s_waitcnt vmcnt(21) lgkmcnt(1)
	v_mul_f64 v[68:69], v[20:21], v[18:19]
	s_waitcnt vmcnt(19)
	v_fmac_f64_e32 v[12:13], v[126:127], v[74:75]
	v_add_f64 v[8:9], v[8:9], v[12:13]
	s_waitcnt vmcnt(17)
	v_fmac_f64_e32 v[14:15], v[130:131], v[56:57]
	v_add_f64 v[8:9], v[8:9], v[14:15]
	;; [unrolled: 3-line block ×3, first 2 shown]
	v_add_f64 v[8:9], v[8:9], v[38:39]
	s_waitcnt vmcnt(13)
	v_fmac_f64_e32 v[42:43], v[166:167], v[230:231]
	v_add_f64 v[8:9], v[8:9], v[40:41]
	s_waitcnt vmcnt(12)
	v_fmac_f64_e32 v[44:45], v[170:171], v[242:243]
	v_add_f64 v[8:9], v[8:9], v[42:43]
	v_add_f64 v[8:9], v[8:9], v[44:45]
	buffer_load_dword v253, off, s[0:3], 0 offset:212
	buffer_load_dword v252, off, s[0:3], 0 offset:208
	;; [unrolled: 1-line block ×74, first 2 shown]
	ds_read_b128 v[172:175], v234 offset:1200
	ds_read_b128 v[176:179], v234 offset:1216
	s_waitcnt vmcnt(62)
	v_fmac_f64_e32 v[68:69], v[22:23], v[134:135]
	s_waitcnt lgkmcnt(2)
	v_mul_f64 v[10:11], v[244:245], v[72:73]
	v_add_f64 v[8:9], v[8:9], v[68:69]
	v_fmac_f64_e32 v[10:11], v[246:247], v[76:77]
	ds_read_b128 v[180:183], v234 offset:1232
	ds_read_b128 v[184:187], v234 offset:1248
	v_add_f64 v[8:9], v[8:9], v[10:11]
	s_waitcnt lgkmcnt(3)
	v_mul_f64 v[10:11], v[172:173], v[104:105]
	v_fmac_f64_e32 v[10:11], v[174:175], v[252:253]
	v_add_f64 v[8:9], v[8:9], v[10:11]
	s_waitcnt lgkmcnt(2)
	v_mul_f64 v[10:11], v[176:177], v[86:87]
	v_fmac_f64_e32 v[10:11], v[178:179], v[88:89]
	ds_read_b128 v[188:191], v234 offset:1264
	ds_read_b128 v[192:195], v234 offset:1280
	v_add_f64 v[8:9], v[8:9], v[10:11]
	s_waitcnt lgkmcnt(3)
	v_mul_f64 v[10:11], v[180:181], v[232:233]
	v_fmac_f64_e32 v[10:11], v[182:183], v[28:29]
	v_add_f64 v[8:9], v[8:9], v[10:11]
	s_waitcnt lgkmcnt(2)
	v_mul_f64 v[10:11], v[184:185], v[140:141]
	v_fmac_f64_e32 v[10:11], v[186:187], v[142:143]
	ds_read_b128 v[196:199], v234 offset:1296
	ds_read_b128 v[200:203], v234 offset:1312
	v_add_f64 v[8:9], v[8:9], v[10:11]
	s_waitcnt vmcnt(58) lgkmcnt(3)
	v_mul_f64 v[10:11], v[188:189], v[44:45]
	s_waitcnt vmcnt(56)
	v_fmac_f64_e32 v[10:11], v[190:191], v[30:31]
	v_add_f64 v[8:9], v[8:9], v[10:11]
	s_waitcnt lgkmcnt(2)
	v_mul_f64 v[10:11], v[192:193], v[110:111]
	v_fmac_f64_e32 v[10:11], v[194:195], v[146:147]
	ds_read_b128 v[204:207], v234 offset:1328
	ds_read_b128 v[208:211], v234 offset:1344
	v_add_f64 v[8:9], v[8:9], v[10:11]
	s_waitcnt vmcnt(50) lgkmcnt(3)
	v_mul_f64 v[10:11], v[196:197], v[32:33]
	s_waitcnt vmcnt(48)
	;; [unrolled: 11-line block ×4, first 2 shown]
	v_fmac_f64_e32 v[10:11], v[214:215], v[94:95]
	v_add_f64 v[8:9], v[8:9], v[10:11]
	s_waitcnt lgkmcnt(2)
	v_mul_f64 v[10:11], v[220:221], v[78:79]
	v_fmac_f64_e32 v[10:11], v[222:223], v[80:81]
	v_add_f64 v[8:9], v[8:9], v[10:11]
	s_waitcnt vmcnt(26) lgkmcnt(1)
	v_mul_f64 v[10:11], v[40:41], v[82:83]
	s_waitcnt vmcnt(24)
	v_fmac_f64_e32 v[10:11], v[42:43], v[84:85]
	v_add_f64 v[8:9], v[8:9], v[10:11]
	s_waitcnt lgkmcnt(0)
	v_mul_f64 v[10:11], v[36:37], v[48:49]
	v_fmac_f64_e32 v[10:11], v[38:39], v[50:51]
	ds_read_b128 v[68:71], v234 offset:1424
	buffer_load_dword v96, off, s[0:3], 0 offset:552
	buffer_load_dword v109, off, s[0:3], 0 offset:540
	;; [unrolled: 1-line block ×8, first 2 shown]
	v_add_f64 v[12:13], v[8:9], v[10:11]
	buffer_load_dword v9, off, s[0:3], 0 offset:572
	buffer_load_dword v8, off, s[0:3], 0 offset:568
	v_fma_f64 v[0:1], v[124:125], v[74:75], -v[0:1]
	v_accvgpr_write_b32 a241, v1
	v_accvgpr_write_b32 a240, v0
	v_mul_f64 v[74:75], v[162:163], v[236:237]
	v_fma_f64 v[236:237], v[160:161], v[240:241], -v[74:75]
	v_mul_f64 v[22:23], v[22:23], v[18:19]
	v_fma_f64 v[134:135], v[20:21], v[134:135], -v[22:23]
	;; [unrolled: 2-line block ×3, first 2 shown]
	v_fma_f64 v[118:119], v[168:169], v[242:243], -v[118:119]
	v_mul_f64 v[90:91], v[210:211], v[90:91]
	v_mul_f64 v[78:79], v[222:223], v[78:79]
	v_mul_f64 v[42:43], v[42:43], v[82:83]
	v_mul_f64 v[38:39], v[38:39], v[48:49]
	v_fma_f64 v[82:83], v[36:37], v[50:51], -v[38:39]
	s_waitcnt vmcnt(0)
	v_pk_mov_b32 v[248:249], v[8:9], v[8:9] op_sel:[0,1]
	buffer_load_dword v9, off, s[0:3], 0 offset:564
	buffer_load_dword v8, off, s[0:3], 0 offset:560
	;; [unrolled: 1-line block ×10, first 2 shown]
	v_accvgpr_write_b32 a192, v248
	v_accvgpr_write_b32 a193, v249
	s_waitcnt vmcnt(4)
	v_accvgpr_write_b32 a208, v224
	v_accvgpr_write_b32 a209, v225
	v_pk_mov_b32 v[254:255], v[8:9], v[8:9] op_sel:[0,1]
	v_pk_mov_b32 v[122:123], v[2:3], v[2:3] op_sel:[0,1]
	ds_read_b128 v[8:11], v234 offset:1440
	buffer_load_dword v0, off, s[0:3], 0 offset:616
	buffer_load_dword v2, off, s[0:3], 0 offset:608
	;; [unrolled: 1-line block ×4, first 2 shown]
	ds_read_b128 v[24:27], v234 offset:1456
	v_accvgpr_write_b32 a194, v254
	v_accvgpr_write_b32 a205, v123
	;; [unrolled: 1-line block ×4, first 2 shown]
	s_waitcnt vmcnt(6)
	v_accvgpr_write_b32 a207, v133
	v_accvgpr_write_b32 a206, v132
	s_waitcnt vmcnt(4)
	v_accvgpr_write_b32 a210, v250
	v_accvgpr_write_b32 a211, v251
	s_waitcnt vmcnt(1)
	v_pk_mov_b32 v[120:121], v[0:1], v[0:1] op_sel:[0,1]
	s_waitcnt vmcnt(0)
	v_pk_mov_b32 v[124:125], v[2:3], v[2:3] op_sel:[0,1]
	v_mul_f64 v[2:3], v[130:131], v[218:219]
	v_fma_f64 v[2:3], v[128:129], v[56:57], -v[2:3]
	v_accvgpr_write_b32 a243, v3
	v_accvgpr_write_b32 a242, v2
	buffer_load_dword v3, off, s[0:3], 0 offset:636
	buffer_load_dword v2, off, s[0:3], 0 offset:632
	s_waitcnt lgkmcnt(2)
	v_mul_f64 v[0:1], v[68:69], v[60:61]
	v_fmac_f64_e32 v[0:1], v[70:71], v[62:63]
	v_add_f64 v[0:1], v[12:13], v[0:1]
	v_fma_f64 v[56:57], v[148:149], v[156:157], -v[6:7]
	s_waitcnt lgkmcnt(0)
	v_mul_f64 v[6:7], v[24:25], v[52:53]
	v_fmac_f64_e32 v[6:7], v[26:27], v[54:55]
	v_accvgpr_write_b32 a217, v121
	v_accvgpr_write_b32 a216, v120
	v_accvgpr_write_b32 a219, v125
	v_accvgpr_write_b32 a218, v124
	s_waitcnt vmcnt(0)
	v_pk_mov_b32 v[126:127], v[2:3], v[2:3] op_sel:[0,1]
	buffer_load_dword v3, off, s[0:3], 0 offset:628
	buffer_load_dword v2, off, s[0:3], 0 offset:624
	v_accvgpr_write_b32 a225, v127
	v_accvgpr_write_b32 a224, v126
	s_waitcnt vmcnt(0)
	v_pk_mov_b32 v[128:129], v[2:3], v[2:3] op_sel:[0,1]
	v_mul_f64 v[2:3], v[8:9], v[58:59]
	v_fmac_f64_e32 v[2:3], v[10:11], v[46:47]
	v_add_f64 v[4:5], v[0:1], v[2:3]
	buffer_load_dword v2, off, s[0:3], 0 offset:648
	buffer_load_dword v3, off, s[0:3], 0 offset:652
	v_accvgpr_read_b32 v0, a188
	v_accvgpr_read_b32 v1, a189
	v_mul_f64 v[0:1], v[138:139], v[0:1]
	v_fma_f64 v[130:131], v[136:137], v[238:239], -v[0:1]
	buffer_load_dword v0, off, s[0:3], 0 offset:640
	buffer_load_dword v1, off, s[0:3], 0 offset:644
	ds_read_b128 v[14:17], v234 offset:1472
	ds_read_b128 v[136:139], v234 offset:1488
	v_add_f64 v[4:5], v[4:5], v[6:7]
	v_accvgpr_write_b32 a227, v129
	v_accvgpr_write_b32 a226, v128
	s_waitcnt lgkmcnt(1)
	v_mul_f64 v[6:7], v[14:15], v[144:145]
	v_fmac_f64_e32 v[6:7], v[16:17], v[226:227]
	v_add_f64 v[4:5], v[4:5], v[6:7]
	s_waitcnt lgkmcnt(0)
	v_mul_f64 v[6:7], v[136:137], v[64:65]
	v_fmac_f64_e32 v[6:7], v[138:139], v[66:67]
	v_add_f64 v[74:75], v[4:5], v[6:7]
	v_mul_f64 v[4:5], v[166:167], v[34:35]
	v_fma_f64 v[240:241], v[164:165], v[230:231], -v[4:5]
	v_mul_f64 v[10:11], v[10:11], v[58:59]
	s_waitcnt vmcnt(2)
	v_pk_mov_b32 v[218:219], v[2:3], v[2:3] op_sel:[0,1]
	buffer_load_dword v3, off, s[0:3], 0 offset:668
	buffer_load_dword v2, off, s[0:3], 0 offset:664
	v_accvgpr_write_b32 a229, v219
	v_accvgpr_write_b32 a228, v218
	s_waitcnt vmcnt(2)
	v_accvgpr_write_b32 a231, v1
	v_accvgpr_write_b32 a230, v0
	s_waitcnt vmcnt(0)
	v_pk_mov_b32 v[12:13], v[2:3], v[2:3] op_sel:[0,1]
	buffer_load_dword v3, off, s[0:3], 0 offset:660
	buffer_load_dword v2, off, s[0:3], 0 offset:656
	ds_read_b128 v[148:151], v234 offset:1504
	ds_read_b128 v[4:7], v234 offset:1520
	;; [unrolled: 1-line block ×4, first 2 shown]
	v_accvgpr_write_b32 a233, v13
	s_waitcnt lgkmcnt(3)
	v_mul_f64 v[116:117], v[148:149], v[216:217]
	v_fmac_f64_e32 v[116:117], v[150:151], v[152:153]
	v_add_f64 v[34:35], v[74:75], v[116:117]
	s_waitcnt lgkmcnt(2)
	v_mul_f64 v[74:75], v[4:5], v[108:109]
	v_fmac_f64_e32 v[74:75], v[6:7], v[112:113]
	s_waitcnt lgkmcnt(0)
	v_mul_f64 v[20:21], v[164:165], v[248:249]
	v_accvgpr_write_b32 a191, v167
	v_add_f64 v[34:35], v[34:35], v[74:75]
	v_mul_f64 v[74:75], v[160:161], v[96:97]
	v_fmac_f64_e32 v[20:21], v[166:167], v[254:255]
	v_accvgpr_write_b32 a190, v166
	v_accvgpr_write_b32 a189, v165
	;; [unrolled: 1-line block ×3, first 2 shown]
	ds_read_b128 v[164:167], v234 offset:1568
	v_fmac_f64_e32 v[74:75], v[162:163], v[106:107]
	v_add_f64 v[34:35], v[34:35], v[74:75]
	ds_read_b128 v[72:75], v234 offset:1584
	v_add_f64 v[18:19], v[34:35], v[20:21]
	s_waitcnt lgkmcnt(1)
	v_mul_f64 v[20:21], v[164:165], v[122:123]
	v_fmac_f64_e32 v[20:21], v[166:167], v[224:225]
	v_add_f64 v[18:19], v[18:19], v[20:21]
	s_waitcnt lgkmcnt(0)
	v_mul_f64 v[20:21], v[72:73], v[132:133]
	v_accvgpr_write_b32 a203, v75
	v_fmac_f64_e32 v[20:21], v[74:75], v[250:251]
	v_accvgpr_write_b32 a202, v74
	v_accvgpr_write_b32 a201, v73
	;; [unrolled: 1-line block ×3, first 2 shown]
	ds_read_b128 v[74:77], v234 offset:1600
	v_add_f64 v[18:19], v[18:19], v[20:21]
	v_mul_f64 v[20:21], v[174:175], v[104:105]
	buffer_load_dword v249, off, s[0:3], 0 offset:684
	buffer_load_dword v248, off, s[0:3], 0 offset:680
	v_fma_f64 v[72:73], v[172:173], v[252:253], -v[20:21]
	s_waitcnt lgkmcnt(0)
	v_mul_f64 v[20:21], v[74:75], v[120:121]
	ds_read_b128 v[120:123], v234 offset:1616
	ds_read_b128 v[252:255], v234 offset:1632
	;; [unrolled: 1-line block ×3, first 2 shown]
	buffer_load_dword v243, off, s[0:3], 0 offset:676
	buffer_load_dword v242, off, s[0:3], 0 offset:672
	v_fmac_f64_e32 v[20:21], v[76:77], v[124:125]
	v_accvgpr_write_b32 a215, v77
	v_add_f64 v[18:19], v[18:19], v[20:21]
	v_mul_f64 v[20:21], v[178:179], v[86:87]
	v_accvgpr_write_b32 a214, v76
	v_accvgpr_write_b32 a213, v75
	;; [unrolled: 1-line block ×3, first 2 shown]
	v_fma_f64 v[74:75], v[176:177], v[88:89], -v[20:21]
	s_waitcnt lgkmcnt(2)
	v_mul_f64 v[20:21], v[120:121], v[126:127]
	v_fmac_f64_e32 v[20:21], v[122:123], v[128:129]
	v_add_f64 v[18:19], v[18:19], v[20:21]
	v_mul_f64 v[20:21], v[182:183], v[232:233]
	v_fma_f64 v[76:77], v[180:181], v[28:29], -v[20:21]
	s_waitcnt lgkmcnt(1)
	v_mul_f64 v[20:21], v[252:253], v[218:219]
	v_fmac_f64_e32 v[20:21], v[254:255], v[0:1]
	v_add_f64 v[86:87], v[18:19], v[20:21]
	v_mul_f64 v[18:19], v[186:187], v[140:141]
	buffer_load_dword v156, off, s[0:3], 0 offset:712
	v_fma_f64 v[178:179], v[184:185], v[142:143], -v[18:19]
	buffer_load_dword v224, off, s[0:3], 0 offset:704
	buffer_load_dword v219, off, s[0:3], 0 offset:700
	;; [unrolled: 1-line block ×7, first 2 shown]
	v_mul_f64 v[18:19], v[190:191], v[44:45]
	v_accvgpr_write_b32 a199, v167
	v_fma_f64 v[88:89], v[188:189], v[30:31], -v[18:19]
	v_mul_f64 v[18:19], v[194:195], v[110:111]
	v_accvgpr_write_b32 a198, v166
	v_accvgpr_write_b32 a197, v165
	;; [unrolled: 1-line block ×4, first 2 shown]
	v_fma_f64 v[166:167], v[192:193], v[146:147], -v[18:19]
	buffer_load_dword v146, off, s[0:3], 0 offset:744
	v_accvgpr_write_b32 a222, v122
	v_accvgpr_write_b32 a221, v121
	;; [unrolled: 1-line block ×3, first 2 shown]
	buffer_load_dword v121, off, s[0:3], 0 offset:732
	buffer_load_dword v120, off, s[0:3], 0 offset:728
	;; [unrolled: 1-line block ×7, first 2 shown]
	v_mul_f64 v[18:19], v[198:199], v[32:33]
	v_fma_f64 v[194:195], v[196:197], v[154:155], -v[18:19]
	ds_read_b128 v[28:31], v234 offset:1664
	buffer_load_dword v155, off, s[0:3], 0 offset:764
	buffer_load_dword v154, off, s[0:3], 0 offset:760
	;; [unrolled: 1-line block ×4, first 2 shown]
	v_mul_f64 v[18:19], v[202:203], v[100:101]
	v_fma_f64 v[196:197], v[200:201], v[102:103], -v[18:19]
	v_mul_f64 v[18:19], v[206:207], v[114:115]
	v_fma_f64 v[198:199], v[204:205], v[158:159], -v[18:19]
	buffer_load_dword v159, off, s[0:3], 0 offset:780
	buffer_load_dword v158, off, s[0:3], 0 offset:776
	;; [unrolled: 1-line block ×9, first 2 shown]
	ds_read_b128 v[32:35], v234 offset:1680
	buffer_load_dword v170, off, s[0:3], 0 offset:800
	buffer_load_dword v169, off, s[0:3], 0 offset:812
	;; [unrolled: 1-line block ×3, first 2 shown]
	v_fma_f64 v[200:201], v[208:209], v[92:93], -v[90:91]
	v_mul_f64 v[90:91], v[214:215], v[98:99]
	v_fma_f64 v[92:93], v[212:213], v[94:95], -v[90:91]
	buffer_load_dword v90, off, s[0:3], 0 offset:840
	buffer_load_dword v175, off, s[0:3], 0 offset:828
	;; [unrolled: 1-line block ×8, first 2 shown]
	v_fma_f64 v[190:191], v[220:221], v[80:81], -v[78:79]
	buffer_load_dword v79, off, s[0:3], 0 offset:860
	buffer_load_dword v78, off, s[0:3], 0 offset:856
	;; [unrolled: 1-line block ×4, first 2 shown]
	s_waitcnt lgkmcnt(2)
	v_mul_f64 v[104:105], v[244:245], v[12:13]
	s_waitcnt vmcnt(48)
	v_fmac_f64_e32 v[104:105], v[246:247], v[2:3]
	buffer_load_dword v183, off, s[0:3], 0 offset:876
	buffer_load_dword v182, off, s[0:3], 0 offset:872
	;; [unrolled: 1-line block ×8, first 2 shown]
	v_add_f64 v[86:87], v[86:87], v[104:105]
	v_fma_f64 v[80:81], v[40:41], v[84:85], -v[42:43]
	v_fma_f64 v[132:133], v[8:9], v[46:47], -v[10:11]
	v_accvgpr_write_b32 a232, v12
	v_accvgpr_write_b32 a235, v3
	;; [unrolled: 1-line block ×3, first 2 shown]
	v_mul_f64 v[2:3], v[16:17], v[144:145]
	v_mul_f64 v[6:7], v[6:7], v[108:109]
	s_waitcnt vmcnt(54) lgkmcnt(1)
	v_mul_f64 v[94:95], v[28:29], v[248:249]
	s_waitcnt vmcnt(52)
	v_fmac_f64_e32 v[94:95], v[30:31], v[242:243]
	v_add_f64 v[40:41], v[86:87], v[94:95]
	buffer_load_dword v94, off, s[0:3], 0 offset:904
	buffer_load_dword v192, off, s[0:3], 0 offset:896
	;; [unrolled: 1-line block ×4, first 2 shown]
	ds_read_b128 v[44:47], v234 offset:1728
	ds_read_b128 v[122:125], v234 offset:1776
	;; [unrolled: 1-line block ×4, first 2 shown]
	s_waitcnt vmcnt(52) lgkmcnt(4)
	v_mul_f64 v[36:37], v[32:33], v[218:219]
	s_waitcnt vmcnt(50)
	v_fmac_f64_e32 v[36:37], v[34:35], v[142:143]
	v_add_f64 v[48:49], v[40:41], v[36:37]
	ds_read_b128 v[36:39], v234 offset:1696
	v_mul_f64 v[40:41], v[70:71], v[60:61]
	v_fma_f64 v[228:229], v[68:69], v[62:63], -v[40:41]
	ds_read_b128 v[40:43], v234 offset:1712
	ds_read_b128 v[60:63], v234 offset:1792
	s_waitcnt vmcnt(49) lgkmcnt(2)
	v_mul_f64 v[50:51], v[36:37], v[156:157]
	s_waitcnt vmcnt(48)
	v_fmac_f64_e32 v[50:51], v[38:39], v[224:225]
	v_add_f64 v[8:9], v[48:49], v[50:51]
	ds_read_b128 v[48:51], v234 offset:1744
	s_waitcnt vmcnt(45) lgkmcnt(2)
	v_mul_f64 v[10:11], v[40:41], v[120:121]
	ds_read_b128 v[68:71], v234 offset:1824
	s_waitcnt vmcnt(43)
	v_fmac_f64_e32 v[10:11], v[42:43], v[128:129]
	v_add_f64 v[8:9], v[8:9], v[10:11]
	s_waitcnt vmcnt(41)
	v_mul_f64 v[10:11], v[44:45], v[146:147]
	s_waitcnt vmcnt(40)
	v_fmac_f64_e32 v[10:11], v[46:47], v[140:141]
	v_add_f64 v[8:9], v[8:9], v[10:11]
	v_mul_f64 v[10:11], v[26:27], v[52:53]
	v_fma_f64 v[232:233], v[24:25], v[54:55], -v[10:11]
	ds_read_b128 v[24:27], v234 offset:1840
	ds_read_b128 v[52:55], v234 offset:1760
	s_waitcnt vmcnt(38) lgkmcnt(3)
	v_mul_f64 v[12:13], v[48:49], v[154:155]
	s_waitcnt vmcnt(36)
	v_fmac_f64_e32 v[12:13], v[50:51], v[230:231]
	v_add_f64 v[0:1], v[8:9], v[12:13]
	v_fma_f64 v[10:11], v[14:15], v[226:227], -v[2:3]
	s_waitcnt vmcnt(34) lgkmcnt(0)
	v_mul_f64 v[8:9], v[52:53], v[158:159]
	s_waitcnt vmcnt(32)
	v_fmac_f64_e32 v[8:9], v[54:55], v[126:127]
	v_add_f64 v[0:1], v[0:1], v[8:9]
	s_waitcnt vmcnt(30)
	v_mul_f64 v[8:9], v[122:123], v[116:117]
	s_waitcnt vmcnt(28)
	v_fmac_f64_e32 v[8:9], v[124:125], v[164:165]
	v_add_f64 v[0:1], v[0:1], v[8:9]
	v_mul_f64 v[8:9], v[138:139], v[64:65]
	v_fma_f64 v[2:3], v[136:137], v[66:67], -v[8:9]
	ds_read_b128 v[64:67], v234 offset:1808
	s_waitcnt vmcnt(25)
	v_mul_f64 v[8:9], v[60:61], v[168:169]
	s_waitcnt vmcnt(24)
	v_fmac_f64_e32 v[8:9], v[62:63], v[170:171]
	v_add_f64 v[0:1], v[0:1], v[8:9]
	v_mul_f64 v[12:13], v[150:151], v[216:217]
	s_waitcnt vmcnt(21) lgkmcnt(0)
	v_mul_f64 v[8:9], v[64:65], v[174:175]
	s_waitcnt vmcnt(19)
	v_fmac_f64_e32 v[8:9], v[66:67], v[176:177]
	v_add_f64 v[0:1], v[0:1], v[8:9]
	s_waitcnt vmcnt(17)
	v_mul_f64 v[8:9], v[68:69], v[90:91]
	v_fma_f64 v[12:13], v[148:149], v[152:153], -v[12:13]
	s_waitcnt vmcnt(16)
	v_fmac_f64_e32 v[8:9], v[70:71], v[172:173]
	v_fma_f64 v[152:153], v[4:5], v[112:113], -v[6:7]
	v_mul_f64 v[6:7], v[162:163], v[96:97]
	v_add_f64 v[0:1], v[0:1], v[8:9]
	v_fma_f64 v[8:9], v[160:161], v[106:107], -v[6:7]
	ds_read_b128 v[160:163], v234 offset:1872
	s_waitcnt vmcnt(14)
	v_mul_f64 v[4:5], v[24:25], v[78:79]
	s_waitcnt vmcnt(12)
	v_fmac_f64_e32 v[4:5], v[26:27], v[180:181]
	v_add_f64 v[0:1], v[0:1], v[4:5]
	s_waitcnt vmcnt(10)
	v_mul_f64 v[4:5], v[18:19], v[182:183]
	s_waitcnt vmcnt(8)
	v_fmac_f64_e32 v[4:5], v[20:21], v[186:187]
	v_add_f64 v[0:1], v[0:1], v[4:5]
	s_waitcnt vmcnt(6) lgkmcnt(0)
	v_mul_f64 v[4:5], v[160:161], v[184:185]
	s_waitcnt vmcnt(4)
	v_fmac_f64_e32 v[4:5], v[162:163], v[188:189]
	v_add_f64 v[0:1], v[0:1], v[4:5]
	v_accvgpr_read_b32 v14, a236
	v_accvgpr_read_b32 v15, a237
	s_waitcnt vmcnt(1)
	v_mul_f64 v[4:5], v[84:85], v[94:95]
	s_waitcnt vmcnt(0)
	v_fmac_f64_e32 v[4:5], v[86:87], v[192:193]
	v_add_f64 v[96:97], v[0:1], v[4:5]
	buffer_load_dword v1, off, s[0:3], 0 offset:924
	buffer_load_dword v0, off, s[0:3], 0 offset:920
	;; [unrolled: 1-line block ×4, first 2 shown]
	ds_read_b128 v[4:7], v234 offset:1904
	buffer_load_dword v138, off, s[0:3], 0 offset:936
	buffer_load_dword v139, off, s[0:3], 0 offset:940
	;; [unrolled: 1-line block ×4, first 2 shown]
	ds_read_b128 v[148:151], v234 offset:1920
	buffer_load_dword v203, off, s[0:3], 0 offset:956
	buffer_load_dword v202, off, s[0:3], 0 offset:952
	buffer_load_dword v205, off, s[0:3], 0 offset:948
	buffer_load_dword v204, off, s[0:3], 0 offset:944
	s_waitcnt vmcnt(10) lgkmcnt(1)
	v_mul_f64 v[98:99], v[4:5], v[0:1]
	v_mul_f64 v[0:1], v[6:7], v[0:1]
	s_waitcnt vmcnt(8)
	v_fmac_f64_e32 v[98:99], v[6:7], v[136:137]
	v_add_f64 v[96:97], v[96:97], v[98:99]
	s_waitcnt vmcnt(6) lgkmcnt(0)
	v_mul_f64 v[98:99], v[148:149], v[138:139]
	s_waitcnt vmcnt(4)
	v_fmac_f64_e32 v[98:99], v[150:151], v[144:145]
	v_add_f64 v[100:101], v[96:97], v[98:99]
	ds_read_b128 v[96:99], v234 offset:1936
	buffer_load_dword v206, off, s[0:3], 0 offset:968
	buffer_load_dword v207, off, s[0:3], 0 offset:972
	buffer_load_dword v208, off, s[0:3], 0 offset:960
	buffer_load_dword v209, off, s[0:3], 0 offset:964
	v_fma_f64 v[0:1], v[4:5], v[136:137], -v[0:1]
	s_waitcnt vmcnt(6) lgkmcnt(0)
	v_mul_f64 v[102:103], v[96:97], v[202:203]
	s_waitcnt vmcnt(4)
	v_fmac_f64_e32 v[102:103], v[98:99], v[204:205]
	v_add_f64 v[104:105], v[100:101], v[102:103]
	ds_read_b128 v[100:103], v234 offset:1952
	buffer_load_dword v211, off, s[0:3], 0 offset:988
	buffer_load_dword v210, off, s[0:3], 0 offset:984
	buffer_load_dword v213, off, s[0:3], 0 offset:980
	buffer_load_dword v212, off, s[0:3], 0 offset:976
	s_waitcnt vmcnt(6) lgkmcnt(0)
	v_mul_f64 v[106:107], v[100:101], v[206:207]
	s_waitcnt vmcnt(4)
	v_fmac_f64_e32 v[106:107], v[102:103], v[208:209]
	v_add_f64 v[108:109], v[104:105], v[106:107]
	ds_read_b128 v[104:107], v234 offset:1968
	buffer_load_dword v214, off, s[0:3], 0 offset:1000
	buffer_load_dword v215, off, s[0:3], 0 offset:1004
	buffer_load_dword v216, off, s[0:3], 0 offset:992
	buffer_load_dword v217, off, s[0:3], 0 offset:996
	;; [unrolled: 10-line block ×3, first 2 shown]
	s_waitcnt vmcnt(6) lgkmcnt(0)
	v_mul_f64 v[114:115], v[108:109], v[214:215]
	s_waitcnt vmcnt(4)
	v_fmac_f64_e32 v[114:115], v[110:111], v[216:217]
	v_add_f64 v[226:227], v[112:113], v[114:115]
	ds_read_b128 v[112:115], v234 offset:2000
	s_waitcnt vmcnt(2) lgkmcnt(0)
	v_mul_f64 v[250:251], v[112:113], v[220:221]
	s_waitcnt vmcnt(0)
	v_fmac_f64_e32 v[250:251], v[114:115], v[222:223]
	v_add_f64 v[58:59], v[226:227], v[250:251]
	v_add_f64 v[226:227], v[14:15], 0
	v_accvgpr_read_b32 v14, a238
	v_accvgpr_read_b32 v15, a239
	v_add_f64 v[226:227], v[226:227], v[14:15]
	v_accvgpr_read_b32 v14, a240
	v_accvgpr_read_b32 v15, a241
	v_add_f64 v[226:227], v[226:227], v[14:15]
	v_accvgpr_read_b32 v14, a242
	v_accvgpr_read_b32 v15, a243
	v_add_f64 v[226:227], v[226:227], v[14:15]
	v_add_f64 v[226:227], v[226:227], v[130:131]
	v_add_f64 v[226:227], v[226:227], v[56:57]
	v_add_f64 v[226:227], v[226:227], v[236:237]
	v_add_f64 v[226:227], v[226:227], v[240:241]
	v_add_f64 v[118:119], v[226:227], v[118:119]
	v_add_f64 v[118:119], v[118:119], v[134:135]
	v_add_f64 v[22:23], v[118:119], v[22:23]
	v_add_f64 v[22:23], v[22:23], v[72:73]
	v_add_f64 v[22:23], v[22:23], v[74:75]
	v_add_f64 v[22:23], v[22:23], v[76:77]
	v_add_f64 v[22:23], v[22:23], v[178:179]
	v_add_f64 v[22:23], v[22:23], v[88:89]
	v_add_f64 v[22:23], v[22:23], v[166:167]
	v_add_f64 v[22:23], v[22:23], v[194:195]
	v_add_f64 v[22:23], v[22:23], v[196:197]
	v_add_f64 v[22:23], v[22:23], v[198:199]
	v_add_f64 v[22:23], v[22:23], v[200:201]
	v_add_f64 v[22:23], v[22:23], v[92:93]
	v_add_f64 v[22:23], v[22:23], v[190:191]
	v_add_f64 v[22:23], v[22:23], v[80:81]
	v_add_f64 v[22:23], v[22:23], v[82:83]
	v_add_f64 v[16:17], v[22:23], v[228:229]
	v_add_f64 v[16:17], v[16:17], v[132:133]
	v_add_f64 v[14:15], v[16:17], v[232:233]
	v_add_f64 v[10:11], v[14:15], v[10:11]
	v_add_f64 v[2:3], v[10:11], v[2:3]
	buffer_load_dword v14, off, s[0:3], 0 offset:16
	buffer_load_dword v15, off, s[0:3], 0 offset:20
	v_add_f64 v[232:233], v[2:3], v[12:13]
	buffer_load_dword v228, off, s[0:3], 0 offset:24
	buffer_load_dword v229, off, s[0:3], 0 offset:28
	v_add_f64 v[2:3], v[232:233], v[152:153]
	v_add_f64 v[2:3], v[2:3], v[8:9]
	v_accvgpr_read_b32 v10, a188
	v_accvgpr_read_b32 v8, a192
	v_accvgpr_read_b32 v12, a190
	v_accvgpr_read_b32 v13, a191
	v_accvgpr_read_b32 v9, a193
	v_mul_f64 v[8:9], v[12:13], v[8:9]
	v_accvgpr_read_b32 v12, a194
	v_accvgpr_read_b32 v11, a189
	v_accvgpr_read_b32 v13, a195
	v_fma_f64 v[8:9], v[10:11], v[12:13], -v[8:9]
	v_add_f64 v[2:3], v[2:3], v[8:9]
	v_accvgpr_read_b32 v10, a196
	v_accvgpr_read_b32 v8, a204
	v_accvgpr_read_b32 v12, a198
	v_accvgpr_read_b32 v13, a199
	v_accvgpr_read_b32 v9, a205
	v_mul_f64 v[8:9], v[12:13], v[8:9]
	v_accvgpr_read_b32 v12, a208
	v_accvgpr_read_b32 v11, a197
	v_accvgpr_read_b32 v13, a209
	v_fma_f64 v[8:9], v[10:11], v[12:13], -v[8:9]
	;; [unrolled: 11-line block ×5, first 2 shown]
	v_add_f64 v[2:3], v[2:3], v[8:9]
	v_accvgpr_read_b32 v8, a228
	v_accvgpr_read_b32 v9, a229
	;; [unrolled: 1-line block ×3, first 2 shown]
	v_mul_f64 v[8:9], v[254:255], v[8:9]
	v_accvgpr_read_b32 v11, a231
	v_fma_f64 v[8:9], v[252:253], v[10:11], -v[8:9]
	v_add_f64 v[2:3], v[2:3], v[8:9]
	v_accvgpr_read_b32 v8, a232
	v_accvgpr_read_b32 v9, a233
	;; [unrolled: 1-line block ×3, first 2 shown]
	v_mul_f64 v[8:9], v[246:247], v[8:9]
	v_accvgpr_read_b32 v11, a235
	v_fma_f64 v[8:9], v[244:245], v[10:11], -v[8:9]
	v_add_f64 v[2:3], v[2:3], v[8:9]
	v_mul_f64 v[8:9], v[30:31], v[248:249]
	v_fma_f64 v[8:9], v[28:29], v[242:243], -v[8:9]
	v_add_f64 v[2:3], v[2:3], v[8:9]
	v_mul_f64 v[8:9], v[34:35], v[218:219]
	;; [unrolled: 3-line block ×15, first 2 shown]
	v_fma_f64 v[8:9], v[84:85], v[192:193], -v[8:9]
	v_add_f64 v[2:3], v[2:3], v[8:9]
	v_add_f64 v[0:1], v[2:3], v[0:1]
	v_mul_f64 v[2:3], v[150:151], v[138:139]
	v_fma_f64 v[2:3], v[148:149], v[144:145], -v[2:3]
	v_add_f64 v[0:1], v[0:1], v[2:3]
	v_mul_f64 v[2:3], v[98:99], v[202:203]
	v_fma_f64 v[2:3], v[96:97], v[204:205], -v[2:3]
	;; [unrolled: 3-line block ×6, first 2 shown]
	v_add_f64 v[0:1], v[0:1], v[2:3]
	s_waitcnt vmcnt(2)
	v_add_f64 v[0:1], v[14:15], -v[0:1]
	s_waitcnt vmcnt(0)
	v_add_f64 v[2:3], v[228:229], -v[58:59]
	buffer_store_dword v1, off, s[0:3], 0 offset:20
	buffer_store_dword v0, off, s[0:3], 0 offset:16
	;; [unrolled: 1-line block ×4, first 2 shown]
	s_cbranch_vccz .LBB62_529
; %bb.404:
	v_pk_mov_b32 v[0:1], s[20:21], s[20:21] op_sel:[0,1]
	flat_load_dword v0, v[0:1] offset:244
	s_waitcnt vmcnt(0) lgkmcnt(0)
	v_add_u32_e32 v0, -1, v0
	v_cmp_ne_u32_e32 vcc, 61, v0
	s_and_saveexec_b64 s[4:5], vcc
	s_cbranch_execz .LBB62_406
; %bb.405:
	v_mov_b32_e32 v1, 16
	v_accvgpr_read_b32 v9, a127
	v_lshl_add_u32 v0, v0, 4, v1
	buffer_load_dword v1, v9, s[0:3], 0 offen offset:4
	buffer_load_dword v2, v9, s[0:3], 0 offen offset:8
	buffer_load_dword v3, v9, s[0:3], 0 offen offset:12
	buffer_load_dword v4, v0, s[0:3], 0 offen
	buffer_load_dword v5, v0, s[0:3], 0 offen offset:4
	buffer_load_dword v6, v0, s[0:3], 0 offen offset:8
	buffer_load_dword v7, v0, s[0:3], 0 offen offset:12
	buffer_load_dword v8, v9, s[0:3], 0 offen
	s_waitcnt vmcnt(4)
	buffer_store_dword v4, v9, s[0:3], 0 offen
	s_waitcnt vmcnt(4)
	buffer_store_dword v5, v9, s[0:3], 0 offen offset:4
	s_waitcnt vmcnt(4)
	buffer_store_dword v6, v9, s[0:3], 0 offen offset:8
	s_waitcnt vmcnt(4)
	buffer_store_dword v7, v9, s[0:3], 0 offen offset:12
	buffer_store_dword v3, v0, s[0:3], 0 offen offset:12
	buffer_store_dword v2, v0, s[0:3], 0 offen offset:8
	buffer_store_dword v1, v0, s[0:3], 0 offen offset:4
	s_waitcnt vmcnt(7)
	buffer_store_dword v8, v0, s[0:3], 0 offen
.LBB62_406:
	s_or_b64 exec, exec, s[4:5]
	v_pk_mov_b32 v[0:1], s[20:21], s[20:21] op_sel:[0,1]
	flat_load_dword v0, v[0:1] offset:240
	s_waitcnt vmcnt(0) lgkmcnt(0)
	v_add_u32_e32 v0, -1, v0
	v_cmp_ne_u32_e32 vcc, 60, v0
	s_and_saveexec_b64 s[4:5], vcc
	s_cbranch_execz .LBB62_408
; %bb.407:
	v_mov_b32_e32 v1, 16
	v_accvgpr_read_b32 v9, a128
	v_lshl_add_u32 v0, v0, 4, v1
	buffer_load_dword v1, v9, s[0:3], 0 offen offset:4
	buffer_load_dword v2, v9, s[0:3], 0 offen offset:8
	buffer_load_dword v3, v9, s[0:3], 0 offen offset:12
	buffer_load_dword v4, v0, s[0:3], 0 offen
	buffer_load_dword v5, v0, s[0:3], 0 offen offset:4
	buffer_load_dword v6, v0, s[0:3], 0 offen offset:8
	buffer_load_dword v7, v0, s[0:3], 0 offen offset:12
	buffer_load_dword v8, v9, s[0:3], 0 offen
	s_waitcnt vmcnt(4)
	buffer_store_dword v4, v9, s[0:3], 0 offen
	s_waitcnt vmcnt(4)
	buffer_store_dword v5, v9, s[0:3], 0 offen offset:4
	s_waitcnt vmcnt(4)
	buffer_store_dword v6, v9, s[0:3], 0 offen offset:8
	s_waitcnt vmcnt(4)
	buffer_store_dword v7, v9, s[0:3], 0 offen offset:12
	buffer_store_dword v3, v0, s[0:3], 0 offen offset:12
	buffer_store_dword v2, v0, s[0:3], 0 offen offset:8
	buffer_store_dword v1, v0, s[0:3], 0 offen offset:4
	s_waitcnt vmcnt(7)
	buffer_store_dword v8, v0, s[0:3], 0 offen
.LBB62_408:
	s_or_b64 exec, exec, s[4:5]
	v_pk_mov_b32 v[0:1], s[20:21], s[20:21] op_sel:[0,1]
	flat_load_dword v0, v[0:1] offset:236
	s_waitcnt vmcnt(0) lgkmcnt(0)
	v_add_u32_e32 v0, -1, v0
	v_cmp_ne_u32_e32 vcc, 59, v0
	s_and_saveexec_b64 s[4:5], vcc
	s_cbranch_execz .LBB62_410
; %bb.409:
	v_mov_b32_e32 v1, 16
	v_accvgpr_read_b32 v9, a129
	v_lshl_add_u32 v0, v0, 4, v1
	buffer_load_dword v1, v9, s[0:3], 0 offen offset:4
	buffer_load_dword v2, v9, s[0:3], 0 offen offset:8
	buffer_load_dword v3, v9, s[0:3], 0 offen offset:12
	buffer_load_dword v4, v0, s[0:3], 0 offen
	buffer_load_dword v5, v0, s[0:3], 0 offen offset:4
	buffer_load_dword v6, v0, s[0:3], 0 offen offset:8
	buffer_load_dword v7, v0, s[0:3], 0 offen offset:12
	buffer_load_dword v8, v9, s[0:3], 0 offen
	s_waitcnt vmcnt(4)
	buffer_store_dword v4, v9, s[0:3], 0 offen
	s_waitcnt vmcnt(4)
	buffer_store_dword v5, v9, s[0:3], 0 offen offset:4
	s_waitcnt vmcnt(4)
	buffer_store_dword v6, v9, s[0:3], 0 offen offset:8
	s_waitcnt vmcnt(4)
	buffer_store_dword v7, v9, s[0:3], 0 offen offset:12
	buffer_store_dword v3, v0, s[0:3], 0 offen offset:12
	buffer_store_dword v2, v0, s[0:3], 0 offen offset:8
	buffer_store_dword v1, v0, s[0:3], 0 offen offset:4
	s_waitcnt vmcnt(7)
	buffer_store_dword v8, v0, s[0:3], 0 offen
.LBB62_410:
	s_or_b64 exec, exec, s[4:5]
	v_pk_mov_b32 v[0:1], s[20:21], s[20:21] op_sel:[0,1]
	flat_load_dword v0, v[0:1] offset:232
	s_waitcnt vmcnt(0) lgkmcnt(0)
	v_add_u32_e32 v0, -1, v0
	v_cmp_ne_u32_e32 vcc, 58, v0
	s_and_saveexec_b64 s[4:5], vcc
	s_cbranch_execz .LBB62_412
; %bb.411:
	v_mov_b32_e32 v1, 16
	v_accvgpr_read_b32 v9, a130
	v_lshl_add_u32 v0, v0, 4, v1
	buffer_load_dword v1, v9, s[0:3], 0 offen offset:4
	buffer_load_dword v2, v9, s[0:3], 0 offen offset:8
	buffer_load_dword v3, v9, s[0:3], 0 offen offset:12
	buffer_load_dword v4, v0, s[0:3], 0 offen
	buffer_load_dword v5, v0, s[0:3], 0 offen offset:4
	buffer_load_dword v6, v0, s[0:3], 0 offen offset:8
	buffer_load_dword v7, v0, s[0:3], 0 offen offset:12
	buffer_load_dword v8, v9, s[0:3], 0 offen
	s_waitcnt vmcnt(4)
	buffer_store_dword v4, v9, s[0:3], 0 offen
	s_waitcnt vmcnt(4)
	buffer_store_dword v5, v9, s[0:3], 0 offen offset:4
	s_waitcnt vmcnt(4)
	buffer_store_dword v6, v9, s[0:3], 0 offen offset:8
	s_waitcnt vmcnt(4)
	buffer_store_dword v7, v9, s[0:3], 0 offen offset:12
	buffer_store_dword v3, v0, s[0:3], 0 offen offset:12
	buffer_store_dword v2, v0, s[0:3], 0 offen offset:8
	buffer_store_dword v1, v0, s[0:3], 0 offen offset:4
	s_waitcnt vmcnt(7)
	buffer_store_dword v8, v0, s[0:3], 0 offen
.LBB62_412:
	s_or_b64 exec, exec, s[4:5]
	v_pk_mov_b32 v[0:1], s[20:21], s[20:21] op_sel:[0,1]
	flat_load_dword v0, v[0:1] offset:228
	s_waitcnt vmcnt(0) lgkmcnt(0)
	v_add_u32_e32 v0, -1, v0
	v_cmp_ne_u32_e32 vcc, 57, v0
	s_and_saveexec_b64 s[4:5], vcc
	s_cbranch_execz .LBB62_414
; %bb.413:
	v_mov_b32_e32 v1, 16
	v_accvgpr_read_b32 v9, a131
	v_lshl_add_u32 v0, v0, 4, v1
	buffer_load_dword v1, v9, s[0:3], 0 offen offset:4
	buffer_load_dword v2, v9, s[0:3], 0 offen offset:8
	buffer_load_dword v3, v9, s[0:3], 0 offen offset:12
	buffer_load_dword v4, v0, s[0:3], 0 offen
	buffer_load_dword v5, v0, s[0:3], 0 offen offset:4
	buffer_load_dword v6, v0, s[0:3], 0 offen offset:8
	buffer_load_dword v7, v0, s[0:3], 0 offen offset:12
	buffer_load_dword v8, v9, s[0:3], 0 offen
	s_waitcnt vmcnt(4)
	buffer_store_dword v4, v9, s[0:3], 0 offen
	s_waitcnt vmcnt(4)
	buffer_store_dword v5, v9, s[0:3], 0 offen offset:4
	s_waitcnt vmcnt(4)
	buffer_store_dword v6, v9, s[0:3], 0 offen offset:8
	s_waitcnt vmcnt(4)
	buffer_store_dword v7, v9, s[0:3], 0 offen offset:12
	buffer_store_dword v3, v0, s[0:3], 0 offen offset:12
	buffer_store_dword v2, v0, s[0:3], 0 offen offset:8
	buffer_store_dword v1, v0, s[0:3], 0 offen offset:4
	s_waitcnt vmcnt(7)
	buffer_store_dword v8, v0, s[0:3], 0 offen
.LBB62_414:
	s_or_b64 exec, exec, s[4:5]
	v_pk_mov_b32 v[0:1], s[20:21], s[20:21] op_sel:[0,1]
	flat_load_dword v0, v[0:1] offset:224
	s_waitcnt vmcnt(0) lgkmcnt(0)
	v_add_u32_e32 v0, -1, v0
	v_cmp_ne_u32_e32 vcc, 56, v0
	s_and_saveexec_b64 s[4:5], vcc
	s_cbranch_execz .LBB62_416
; %bb.415:
	v_mov_b32_e32 v1, 16
	v_accvgpr_read_b32 v9, a132
	v_lshl_add_u32 v0, v0, 4, v1
	buffer_load_dword v1, v9, s[0:3], 0 offen offset:4
	buffer_load_dword v2, v9, s[0:3], 0 offen offset:8
	buffer_load_dword v3, v9, s[0:3], 0 offen offset:12
	buffer_load_dword v4, v0, s[0:3], 0 offen
	buffer_load_dword v5, v0, s[0:3], 0 offen offset:4
	buffer_load_dword v6, v0, s[0:3], 0 offen offset:8
	buffer_load_dword v7, v0, s[0:3], 0 offen offset:12
	buffer_load_dword v8, v9, s[0:3], 0 offen
	s_waitcnt vmcnt(4)
	buffer_store_dword v4, v9, s[0:3], 0 offen
	s_waitcnt vmcnt(4)
	buffer_store_dword v5, v9, s[0:3], 0 offen offset:4
	s_waitcnt vmcnt(4)
	buffer_store_dword v6, v9, s[0:3], 0 offen offset:8
	s_waitcnt vmcnt(4)
	buffer_store_dword v7, v9, s[0:3], 0 offen offset:12
	buffer_store_dword v3, v0, s[0:3], 0 offen offset:12
	buffer_store_dword v2, v0, s[0:3], 0 offen offset:8
	buffer_store_dword v1, v0, s[0:3], 0 offen offset:4
	s_waitcnt vmcnt(7)
	buffer_store_dword v8, v0, s[0:3], 0 offen
.LBB62_416:
	s_or_b64 exec, exec, s[4:5]
	v_pk_mov_b32 v[0:1], s[20:21], s[20:21] op_sel:[0,1]
	flat_load_dword v0, v[0:1] offset:220
	s_waitcnt vmcnt(0) lgkmcnt(0)
	v_add_u32_e32 v0, -1, v0
	v_cmp_ne_u32_e32 vcc, 55, v0
	s_and_saveexec_b64 s[4:5], vcc
	s_cbranch_execz .LBB62_418
; %bb.417:
	v_mov_b32_e32 v1, 16
	v_accvgpr_read_b32 v9, a133
	v_lshl_add_u32 v0, v0, 4, v1
	buffer_load_dword v1, v9, s[0:3], 0 offen offset:4
	buffer_load_dword v2, v9, s[0:3], 0 offen offset:8
	buffer_load_dword v3, v9, s[0:3], 0 offen offset:12
	buffer_load_dword v4, v0, s[0:3], 0 offen
	buffer_load_dword v5, v0, s[0:3], 0 offen offset:4
	buffer_load_dword v6, v0, s[0:3], 0 offen offset:8
	buffer_load_dword v7, v0, s[0:3], 0 offen offset:12
	buffer_load_dword v8, v9, s[0:3], 0 offen
	s_waitcnt vmcnt(4)
	buffer_store_dword v4, v9, s[0:3], 0 offen
	s_waitcnt vmcnt(4)
	buffer_store_dword v5, v9, s[0:3], 0 offen offset:4
	s_waitcnt vmcnt(4)
	buffer_store_dword v6, v9, s[0:3], 0 offen offset:8
	s_waitcnt vmcnt(4)
	buffer_store_dword v7, v9, s[0:3], 0 offen offset:12
	buffer_store_dword v3, v0, s[0:3], 0 offen offset:12
	buffer_store_dword v2, v0, s[0:3], 0 offen offset:8
	buffer_store_dword v1, v0, s[0:3], 0 offen offset:4
	s_waitcnt vmcnt(7)
	buffer_store_dword v8, v0, s[0:3], 0 offen
.LBB62_418:
	s_or_b64 exec, exec, s[4:5]
	v_pk_mov_b32 v[0:1], s[20:21], s[20:21] op_sel:[0,1]
	flat_load_dword v0, v[0:1] offset:216
	s_waitcnt vmcnt(0) lgkmcnt(0)
	v_add_u32_e32 v0, -1, v0
	v_cmp_ne_u32_e32 vcc, 54, v0
	s_and_saveexec_b64 s[4:5], vcc
	s_cbranch_execz .LBB62_420
; %bb.419:
	v_mov_b32_e32 v1, 16
	v_accvgpr_read_b32 v9, a134
	v_lshl_add_u32 v0, v0, 4, v1
	buffer_load_dword v1, v9, s[0:3], 0 offen offset:4
	buffer_load_dword v2, v9, s[0:3], 0 offen offset:8
	buffer_load_dword v3, v9, s[0:3], 0 offen offset:12
	buffer_load_dword v4, v0, s[0:3], 0 offen
	buffer_load_dword v5, v0, s[0:3], 0 offen offset:4
	buffer_load_dword v6, v0, s[0:3], 0 offen offset:8
	buffer_load_dword v7, v0, s[0:3], 0 offen offset:12
	buffer_load_dword v8, v9, s[0:3], 0 offen
	s_waitcnt vmcnt(4)
	buffer_store_dword v4, v9, s[0:3], 0 offen
	s_waitcnt vmcnt(4)
	buffer_store_dword v5, v9, s[0:3], 0 offen offset:4
	s_waitcnt vmcnt(4)
	buffer_store_dword v6, v9, s[0:3], 0 offen offset:8
	s_waitcnt vmcnt(4)
	buffer_store_dword v7, v9, s[0:3], 0 offen offset:12
	buffer_store_dword v3, v0, s[0:3], 0 offen offset:12
	buffer_store_dword v2, v0, s[0:3], 0 offen offset:8
	buffer_store_dword v1, v0, s[0:3], 0 offen offset:4
	s_waitcnt vmcnt(7)
	buffer_store_dword v8, v0, s[0:3], 0 offen
.LBB62_420:
	s_or_b64 exec, exec, s[4:5]
	v_pk_mov_b32 v[0:1], s[20:21], s[20:21] op_sel:[0,1]
	flat_load_dword v0, v[0:1] offset:212
	s_waitcnt vmcnt(0) lgkmcnt(0)
	v_add_u32_e32 v0, -1, v0
	v_cmp_ne_u32_e32 vcc, 53, v0
	s_and_saveexec_b64 s[4:5], vcc
	s_cbranch_execz .LBB62_422
; %bb.421:
	v_mov_b32_e32 v1, 16
	v_accvgpr_read_b32 v9, a135
	v_lshl_add_u32 v0, v0, 4, v1
	buffer_load_dword v1, v9, s[0:3], 0 offen offset:4
	buffer_load_dword v2, v9, s[0:3], 0 offen offset:8
	buffer_load_dword v3, v9, s[0:3], 0 offen offset:12
	buffer_load_dword v4, v0, s[0:3], 0 offen
	buffer_load_dword v5, v0, s[0:3], 0 offen offset:4
	buffer_load_dword v6, v0, s[0:3], 0 offen offset:8
	buffer_load_dword v7, v0, s[0:3], 0 offen offset:12
	buffer_load_dword v8, v9, s[0:3], 0 offen
	s_waitcnt vmcnt(4)
	buffer_store_dword v4, v9, s[0:3], 0 offen
	s_waitcnt vmcnt(4)
	buffer_store_dword v5, v9, s[0:3], 0 offen offset:4
	s_waitcnt vmcnt(4)
	buffer_store_dword v6, v9, s[0:3], 0 offen offset:8
	s_waitcnt vmcnt(4)
	buffer_store_dword v7, v9, s[0:3], 0 offen offset:12
	buffer_store_dword v3, v0, s[0:3], 0 offen offset:12
	buffer_store_dword v2, v0, s[0:3], 0 offen offset:8
	buffer_store_dword v1, v0, s[0:3], 0 offen offset:4
	s_waitcnt vmcnt(7)
	buffer_store_dword v8, v0, s[0:3], 0 offen
.LBB62_422:
	s_or_b64 exec, exec, s[4:5]
	v_pk_mov_b32 v[0:1], s[20:21], s[20:21] op_sel:[0,1]
	flat_load_dword v0, v[0:1] offset:208
	s_waitcnt vmcnt(0) lgkmcnt(0)
	v_add_u32_e32 v0, -1, v0
	v_cmp_ne_u32_e32 vcc, 52, v0
	s_and_saveexec_b64 s[4:5], vcc
	s_cbranch_execz .LBB62_424
; %bb.423:
	v_mov_b32_e32 v1, 16
	v_accvgpr_read_b32 v9, a136
	v_lshl_add_u32 v0, v0, 4, v1
	buffer_load_dword v1, v9, s[0:3], 0 offen offset:4
	buffer_load_dword v2, v9, s[0:3], 0 offen offset:8
	buffer_load_dword v3, v9, s[0:3], 0 offen offset:12
	buffer_load_dword v4, v0, s[0:3], 0 offen
	buffer_load_dword v5, v0, s[0:3], 0 offen offset:4
	buffer_load_dword v6, v0, s[0:3], 0 offen offset:8
	buffer_load_dword v7, v0, s[0:3], 0 offen offset:12
	buffer_load_dword v8, v9, s[0:3], 0 offen
	s_waitcnt vmcnt(4)
	buffer_store_dword v4, v9, s[0:3], 0 offen
	s_waitcnt vmcnt(4)
	buffer_store_dword v5, v9, s[0:3], 0 offen offset:4
	s_waitcnt vmcnt(4)
	buffer_store_dword v6, v9, s[0:3], 0 offen offset:8
	s_waitcnt vmcnt(4)
	buffer_store_dword v7, v9, s[0:3], 0 offen offset:12
	buffer_store_dword v3, v0, s[0:3], 0 offen offset:12
	buffer_store_dword v2, v0, s[0:3], 0 offen offset:8
	buffer_store_dword v1, v0, s[0:3], 0 offen offset:4
	s_waitcnt vmcnt(7)
	buffer_store_dword v8, v0, s[0:3], 0 offen
.LBB62_424:
	s_or_b64 exec, exec, s[4:5]
	v_pk_mov_b32 v[0:1], s[20:21], s[20:21] op_sel:[0,1]
	flat_load_dword v0, v[0:1] offset:204
	s_waitcnt vmcnt(0) lgkmcnt(0)
	v_add_u32_e32 v0, -1, v0
	v_cmp_ne_u32_e32 vcc, 51, v0
	s_and_saveexec_b64 s[4:5], vcc
	s_cbranch_execz .LBB62_426
; %bb.425:
	v_mov_b32_e32 v1, 16
	v_accvgpr_read_b32 v9, a137
	v_lshl_add_u32 v0, v0, 4, v1
	buffer_load_dword v1, v9, s[0:3], 0 offen offset:4
	buffer_load_dword v2, v9, s[0:3], 0 offen offset:8
	buffer_load_dword v3, v9, s[0:3], 0 offen offset:12
	buffer_load_dword v4, v0, s[0:3], 0 offen
	buffer_load_dword v5, v0, s[0:3], 0 offen offset:4
	buffer_load_dword v6, v0, s[0:3], 0 offen offset:8
	buffer_load_dword v7, v0, s[0:3], 0 offen offset:12
	buffer_load_dword v8, v9, s[0:3], 0 offen
	s_waitcnt vmcnt(4)
	buffer_store_dword v4, v9, s[0:3], 0 offen
	s_waitcnt vmcnt(4)
	buffer_store_dword v5, v9, s[0:3], 0 offen offset:4
	s_waitcnt vmcnt(4)
	buffer_store_dword v6, v9, s[0:3], 0 offen offset:8
	s_waitcnt vmcnt(4)
	buffer_store_dword v7, v9, s[0:3], 0 offen offset:12
	buffer_store_dword v3, v0, s[0:3], 0 offen offset:12
	buffer_store_dword v2, v0, s[0:3], 0 offen offset:8
	buffer_store_dword v1, v0, s[0:3], 0 offen offset:4
	s_waitcnt vmcnt(7)
	buffer_store_dword v8, v0, s[0:3], 0 offen
.LBB62_426:
	s_or_b64 exec, exec, s[4:5]
	v_pk_mov_b32 v[0:1], s[20:21], s[20:21] op_sel:[0,1]
	flat_load_dword v0, v[0:1] offset:200
	s_waitcnt vmcnt(0) lgkmcnt(0)
	v_add_u32_e32 v0, -1, v0
	v_cmp_ne_u32_e32 vcc, 50, v0
	s_and_saveexec_b64 s[4:5], vcc
	s_cbranch_execz .LBB62_428
; %bb.427:
	v_mov_b32_e32 v1, 16
	v_accvgpr_read_b32 v9, a138
	v_lshl_add_u32 v0, v0, 4, v1
	buffer_load_dword v1, v9, s[0:3], 0 offen offset:4
	buffer_load_dword v2, v9, s[0:3], 0 offen offset:8
	buffer_load_dword v3, v9, s[0:3], 0 offen offset:12
	buffer_load_dword v4, v0, s[0:3], 0 offen
	buffer_load_dword v5, v0, s[0:3], 0 offen offset:4
	buffer_load_dword v6, v0, s[0:3], 0 offen offset:8
	buffer_load_dword v7, v0, s[0:3], 0 offen offset:12
	buffer_load_dword v8, v9, s[0:3], 0 offen
	s_waitcnt vmcnt(4)
	buffer_store_dword v4, v9, s[0:3], 0 offen
	s_waitcnt vmcnt(4)
	buffer_store_dword v5, v9, s[0:3], 0 offen offset:4
	s_waitcnt vmcnt(4)
	buffer_store_dword v6, v9, s[0:3], 0 offen offset:8
	s_waitcnt vmcnt(4)
	buffer_store_dword v7, v9, s[0:3], 0 offen offset:12
	buffer_store_dword v3, v0, s[0:3], 0 offen offset:12
	buffer_store_dword v2, v0, s[0:3], 0 offen offset:8
	buffer_store_dword v1, v0, s[0:3], 0 offen offset:4
	s_waitcnt vmcnt(7)
	buffer_store_dword v8, v0, s[0:3], 0 offen
.LBB62_428:
	s_or_b64 exec, exec, s[4:5]
	v_pk_mov_b32 v[0:1], s[20:21], s[20:21] op_sel:[0,1]
	flat_load_dword v0, v[0:1] offset:196
	s_waitcnt vmcnt(0) lgkmcnt(0)
	v_add_u32_e32 v0, -1, v0
	v_cmp_ne_u32_e32 vcc, 49, v0
	s_and_saveexec_b64 s[4:5], vcc
	s_cbranch_execz .LBB62_430
; %bb.429:
	v_mov_b32_e32 v1, 16
	v_accvgpr_read_b32 v9, a139
	v_lshl_add_u32 v0, v0, 4, v1
	buffer_load_dword v1, v9, s[0:3], 0 offen offset:4
	buffer_load_dword v2, v9, s[0:3], 0 offen offset:8
	buffer_load_dword v3, v9, s[0:3], 0 offen offset:12
	buffer_load_dword v4, v0, s[0:3], 0 offen
	buffer_load_dword v5, v0, s[0:3], 0 offen offset:4
	buffer_load_dword v6, v0, s[0:3], 0 offen offset:8
	buffer_load_dword v7, v0, s[0:3], 0 offen offset:12
	buffer_load_dword v8, v9, s[0:3], 0 offen
	s_waitcnt vmcnt(4)
	buffer_store_dword v4, v9, s[0:3], 0 offen
	s_waitcnt vmcnt(4)
	buffer_store_dword v5, v9, s[0:3], 0 offen offset:4
	s_waitcnt vmcnt(4)
	buffer_store_dword v6, v9, s[0:3], 0 offen offset:8
	s_waitcnt vmcnt(4)
	buffer_store_dword v7, v9, s[0:3], 0 offen offset:12
	buffer_store_dword v3, v0, s[0:3], 0 offen offset:12
	buffer_store_dword v2, v0, s[0:3], 0 offen offset:8
	buffer_store_dword v1, v0, s[0:3], 0 offen offset:4
	s_waitcnt vmcnt(7)
	buffer_store_dword v8, v0, s[0:3], 0 offen
.LBB62_430:
	s_or_b64 exec, exec, s[4:5]
	v_pk_mov_b32 v[0:1], s[20:21], s[20:21] op_sel:[0,1]
	flat_load_dword v0, v[0:1] offset:192
	s_waitcnt vmcnt(0) lgkmcnt(0)
	v_add_u32_e32 v0, -1, v0
	v_cmp_ne_u32_e32 vcc, 48, v0
	s_and_saveexec_b64 s[4:5], vcc
	s_cbranch_execz .LBB62_432
; %bb.431:
	v_mov_b32_e32 v1, 16
	v_accvgpr_read_b32 v9, a140
	v_lshl_add_u32 v0, v0, 4, v1
	buffer_load_dword v1, v9, s[0:3], 0 offen offset:4
	buffer_load_dword v2, v9, s[0:3], 0 offen offset:8
	buffer_load_dword v3, v9, s[0:3], 0 offen offset:12
	buffer_load_dword v4, v0, s[0:3], 0 offen
	buffer_load_dword v5, v0, s[0:3], 0 offen offset:4
	buffer_load_dword v6, v0, s[0:3], 0 offen offset:8
	buffer_load_dword v7, v0, s[0:3], 0 offen offset:12
	buffer_load_dword v8, v9, s[0:3], 0 offen
	s_waitcnt vmcnt(4)
	buffer_store_dword v4, v9, s[0:3], 0 offen
	s_waitcnt vmcnt(4)
	buffer_store_dword v5, v9, s[0:3], 0 offen offset:4
	s_waitcnt vmcnt(4)
	buffer_store_dword v6, v9, s[0:3], 0 offen offset:8
	s_waitcnt vmcnt(4)
	buffer_store_dword v7, v9, s[0:3], 0 offen offset:12
	buffer_store_dword v3, v0, s[0:3], 0 offen offset:12
	buffer_store_dword v2, v0, s[0:3], 0 offen offset:8
	buffer_store_dword v1, v0, s[0:3], 0 offen offset:4
	s_waitcnt vmcnt(7)
	buffer_store_dword v8, v0, s[0:3], 0 offen
.LBB62_432:
	s_or_b64 exec, exec, s[4:5]
	v_pk_mov_b32 v[0:1], s[20:21], s[20:21] op_sel:[0,1]
	flat_load_dword v0, v[0:1] offset:188
	s_waitcnt vmcnt(0) lgkmcnt(0)
	v_add_u32_e32 v0, -1, v0
	v_cmp_ne_u32_e32 vcc, 47, v0
	s_and_saveexec_b64 s[4:5], vcc
	s_cbranch_execz .LBB62_434
; %bb.433:
	v_mov_b32_e32 v1, 16
	v_accvgpr_read_b32 v9, a141
	v_lshl_add_u32 v0, v0, 4, v1
	buffer_load_dword v1, v9, s[0:3], 0 offen offset:4
	buffer_load_dword v2, v9, s[0:3], 0 offen offset:8
	buffer_load_dword v3, v9, s[0:3], 0 offen offset:12
	buffer_load_dword v4, v0, s[0:3], 0 offen
	buffer_load_dword v5, v0, s[0:3], 0 offen offset:4
	buffer_load_dword v6, v0, s[0:3], 0 offen offset:8
	buffer_load_dword v7, v0, s[0:3], 0 offen offset:12
	buffer_load_dword v8, v9, s[0:3], 0 offen
	s_waitcnt vmcnt(4)
	buffer_store_dword v4, v9, s[0:3], 0 offen
	s_waitcnt vmcnt(4)
	buffer_store_dword v5, v9, s[0:3], 0 offen offset:4
	s_waitcnt vmcnt(4)
	buffer_store_dword v6, v9, s[0:3], 0 offen offset:8
	s_waitcnt vmcnt(4)
	buffer_store_dword v7, v9, s[0:3], 0 offen offset:12
	buffer_store_dword v3, v0, s[0:3], 0 offen offset:12
	buffer_store_dword v2, v0, s[0:3], 0 offen offset:8
	buffer_store_dword v1, v0, s[0:3], 0 offen offset:4
	s_waitcnt vmcnt(7)
	buffer_store_dword v8, v0, s[0:3], 0 offen
.LBB62_434:
	s_or_b64 exec, exec, s[4:5]
	v_pk_mov_b32 v[0:1], s[20:21], s[20:21] op_sel:[0,1]
	flat_load_dword v0, v[0:1] offset:184
	s_waitcnt vmcnt(0) lgkmcnt(0)
	v_add_u32_e32 v0, -1, v0
	v_cmp_ne_u32_e32 vcc, 46, v0
	s_and_saveexec_b64 s[4:5], vcc
	s_cbranch_execz .LBB62_436
; %bb.435:
	v_mov_b32_e32 v1, 16
	v_accvgpr_read_b32 v9, a142
	v_lshl_add_u32 v0, v0, 4, v1
	buffer_load_dword v1, v9, s[0:3], 0 offen offset:4
	buffer_load_dword v2, v9, s[0:3], 0 offen offset:8
	buffer_load_dword v3, v9, s[0:3], 0 offen offset:12
	buffer_load_dword v4, v0, s[0:3], 0 offen
	buffer_load_dword v5, v0, s[0:3], 0 offen offset:4
	buffer_load_dword v6, v0, s[0:3], 0 offen offset:8
	buffer_load_dword v7, v0, s[0:3], 0 offen offset:12
	buffer_load_dword v8, v9, s[0:3], 0 offen
	s_waitcnt vmcnt(4)
	buffer_store_dword v4, v9, s[0:3], 0 offen
	s_waitcnt vmcnt(4)
	buffer_store_dword v5, v9, s[0:3], 0 offen offset:4
	s_waitcnt vmcnt(4)
	buffer_store_dword v6, v9, s[0:3], 0 offen offset:8
	s_waitcnt vmcnt(4)
	buffer_store_dword v7, v9, s[0:3], 0 offen offset:12
	buffer_store_dword v3, v0, s[0:3], 0 offen offset:12
	buffer_store_dword v2, v0, s[0:3], 0 offen offset:8
	buffer_store_dword v1, v0, s[0:3], 0 offen offset:4
	s_waitcnt vmcnt(7)
	buffer_store_dword v8, v0, s[0:3], 0 offen
.LBB62_436:
	s_or_b64 exec, exec, s[4:5]
	v_pk_mov_b32 v[0:1], s[20:21], s[20:21] op_sel:[0,1]
	flat_load_dword v0, v[0:1] offset:180
	s_waitcnt vmcnt(0) lgkmcnt(0)
	v_add_u32_e32 v0, -1, v0
	v_cmp_ne_u32_e32 vcc, 45, v0
	s_and_saveexec_b64 s[4:5], vcc
	s_cbranch_execz .LBB62_438
; %bb.437:
	v_mov_b32_e32 v1, 16
	v_accvgpr_read_b32 v9, a143
	v_lshl_add_u32 v0, v0, 4, v1
	buffer_load_dword v1, v9, s[0:3], 0 offen offset:4
	buffer_load_dword v2, v9, s[0:3], 0 offen offset:8
	buffer_load_dword v3, v9, s[0:3], 0 offen offset:12
	buffer_load_dword v4, v0, s[0:3], 0 offen
	buffer_load_dword v5, v0, s[0:3], 0 offen offset:4
	buffer_load_dword v6, v0, s[0:3], 0 offen offset:8
	buffer_load_dword v7, v0, s[0:3], 0 offen offset:12
	buffer_load_dword v8, v9, s[0:3], 0 offen
	s_waitcnt vmcnt(4)
	buffer_store_dword v4, v9, s[0:3], 0 offen
	s_waitcnt vmcnt(4)
	buffer_store_dword v5, v9, s[0:3], 0 offen offset:4
	s_waitcnt vmcnt(4)
	buffer_store_dword v6, v9, s[0:3], 0 offen offset:8
	s_waitcnt vmcnt(4)
	buffer_store_dword v7, v9, s[0:3], 0 offen offset:12
	buffer_store_dword v3, v0, s[0:3], 0 offen offset:12
	buffer_store_dword v2, v0, s[0:3], 0 offen offset:8
	buffer_store_dword v1, v0, s[0:3], 0 offen offset:4
	s_waitcnt vmcnt(7)
	buffer_store_dword v8, v0, s[0:3], 0 offen
.LBB62_438:
	s_or_b64 exec, exec, s[4:5]
	v_pk_mov_b32 v[0:1], s[20:21], s[20:21] op_sel:[0,1]
	flat_load_dword v0, v[0:1] offset:176
	s_waitcnt vmcnt(0) lgkmcnt(0)
	v_add_u32_e32 v0, -1, v0
	v_cmp_ne_u32_e32 vcc, 44, v0
	s_and_saveexec_b64 s[4:5], vcc
	s_cbranch_execz .LBB62_440
; %bb.439:
	v_mov_b32_e32 v1, 16
	v_accvgpr_read_b32 v9, a144
	v_lshl_add_u32 v0, v0, 4, v1
	buffer_load_dword v1, v9, s[0:3], 0 offen offset:4
	buffer_load_dword v2, v9, s[0:3], 0 offen offset:8
	buffer_load_dword v3, v9, s[0:3], 0 offen offset:12
	buffer_load_dword v4, v0, s[0:3], 0 offen
	buffer_load_dword v5, v0, s[0:3], 0 offen offset:4
	buffer_load_dword v6, v0, s[0:3], 0 offen offset:8
	buffer_load_dword v7, v0, s[0:3], 0 offen offset:12
	buffer_load_dword v8, v9, s[0:3], 0 offen
	s_waitcnt vmcnt(4)
	buffer_store_dword v4, v9, s[0:3], 0 offen
	s_waitcnt vmcnt(4)
	buffer_store_dword v5, v9, s[0:3], 0 offen offset:4
	s_waitcnt vmcnt(4)
	buffer_store_dword v6, v9, s[0:3], 0 offen offset:8
	s_waitcnt vmcnt(4)
	buffer_store_dword v7, v9, s[0:3], 0 offen offset:12
	buffer_store_dword v3, v0, s[0:3], 0 offen offset:12
	buffer_store_dword v2, v0, s[0:3], 0 offen offset:8
	buffer_store_dword v1, v0, s[0:3], 0 offen offset:4
	s_waitcnt vmcnt(7)
	buffer_store_dword v8, v0, s[0:3], 0 offen
.LBB62_440:
	s_or_b64 exec, exec, s[4:5]
	v_pk_mov_b32 v[0:1], s[20:21], s[20:21] op_sel:[0,1]
	flat_load_dword v0, v[0:1] offset:172
	s_waitcnt vmcnt(0) lgkmcnt(0)
	v_add_u32_e32 v0, -1, v0
	v_cmp_ne_u32_e32 vcc, 43, v0
	s_and_saveexec_b64 s[4:5], vcc
	s_cbranch_execz .LBB62_442
; %bb.441:
	v_mov_b32_e32 v1, 16
	v_accvgpr_read_b32 v9, a145
	v_lshl_add_u32 v0, v0, 4, v1
	buffer_load_dword v1, v9, s[0:3], 0 offen offset:4
	buffer_load_dword v2, v9, s[0:3], 0 offen offset:8
	buffer_load_dword v3, v9, s[0:3], 0 offen offset:12
	buffer_load_dword v4, v0, s[0:3], 0 offen
	buffer_load_dword v5, v0, s[0:3], 0 offen offset:4
	buffer_load_dword v6, v0, s[0:3], 0 offen offset:8
	buffer_load_dword v7, v0, s[0:3], 0 offen offset:12
	buffer_load_dword v8, v9, s[0:3], 0 offen
	s_waitcnt vmcnt(4)
	buffer_store_dword v4, v9, s[0:3], 0 offen
	s_waitcnt vmcnt(4)
	buffer_store_dword v5, v9, s[0:3], 0 offen offset:4
	s_waitcnt vmcnt(4)
	buffer_store_dword v6, v9, s[0:3], 0 offen offset:8
	s_waitcnt vmcnt(4)
	buffer_store_dword v7, v9, s[0:3], 0 offen offset:12
	buffer_store_dword v3, v0, s[0:3], 0 offen offset:12
	buffer_store_dword v2, v0, s[0:3], 0 offen offset:8
	buffer_store_dword v1, v0, s[0:3], 0 offen offset:4
	s_waitcnt vmcnt(7)
	buffer_store_dword v8, v0, s[0:3], 0 offen
.LBB62_442:
	s_or_b64 exec, exec, s[4:5]
	v_pk_mov_b32 v[0:1], s[20:21], s[20:21] op_sel:[0,1]
	flat_load_dword v0, v[0:1] offset:168
	s_waitcnt vmcnt(0) lgkmcnt(0)
	v_add_u32_e32 v0, -1, v0
	v_cmp_ne_u32_e32 vcc, 42, v0
	s_and_saveexec_b64 s[4:5], vcc
	s_cbranch_execz .LBB62_444
; %bb.443:
	v_mov_b32_e32 v1, 16
	v_accvgpr_read_b32 v9, a146
	v_lshl_add_u32 v0, v0, 4, v1
	buffer_load_dword v1, v9, s[0:3], 0 offen offset:4
	buffer_load_dword v2, v9, s[0:3], 0 offen offset:8
	buffer_load_dword v3, v9, s[0:3], 0 offen offset:12
	buffer_load_dword v4, v0, s[0:3], 0 offen
	buffer_load_dword v5, v0, s[0:3], 0 offen offset:4
	buffer_load_dword v6, v0, s[0:3], 0 offen offset:8
	buffer_load_dword v7, v0, s[0:3], 0 offen offset:12
	buffer_load_dword v8, v9, s[0:3], 0 offen
	s_waitcnt vmcnt(4)
	buffer_store_dword v4, v9, s[0:3], 0 offen
	s_waitcnt vmcnt(4)
	buffer_store_dword v5, v9, s[0:3], 0 offen offset:4
	s_waitcnt vmcnt(4)
	buffer_store_dword v6, v9, s[0:3], 0 offen offset:8
	s_waitcnt vmcnt(4)
	buffer_store_dword v7, v9, s[0:3], 0 offen offset:12
	buffer_store_dword v3, v0, s[0:3], 0 offen offset:12
	buffer_store_dword v2, v0, s[0:3], 0 offen offset:8
	buffer_store_dword v1, v0, s[0:3], 0 offen offset:4
	s_waitcnt vmcnt(7)
	buffer_store_dword v8, v0, s[0:3], 0 offen
.LBB62_444:
	s_or_b64 exec, exec, s[4:5]
	v_pk_mov_b32 v[0:1], s[20:21], s[20:21] op_sel:[0,1]
	flat_load_dword v0, v[0:1] offset:164
	s_waitcnt vmcnt(0) lgkmcnt(0)
	v_add_u32_e32 v0, -1, v0
	v_cmp_ne_u32_e32 vcc, 41, v0
	s_and_saveexec_b64 s[4:5], vcc
	s_cbranch_execz .LBB62_446
; %bb.445:
	v_mov_b32_e32 v1, 16
	v_accvgpr_read_b32 v9, a147
	v_lshl_add_u32 v0, v0, 4, v1
	buffer_load_dword v1, v9, s[0:3], 0 offen offset:4
	buffer_load_dword v2, v9, s[0:3], 0 offen offset:8
	buffer_load_dword v3, v9, s[0:3], 0 offen offset:12
	buffer_load_dword v4, v0, s[0:3], 0 offen
	buffer_load_dword v5, v0, s[0:3], 0 offen offset:4
	buffer_load_dword v6, v0, s[0:3], 0 offen offset:8
	buffer_load_dword v7, v0, s[0:3], 0 offen offset:12
	buffer_load_dword v8, v9, s[0:3], 0 offen
	s_waitcnt vmcnt(4)
	buffer_store_dword v4, v9, s[0:3], 0 offen
	s_waitcnt vmcnt(4)
	buffer_store_dword v5, v9, s[0:3], 0 offen offset:4
	s_waitcnt vmcnt(4)
	buffer_store_dword v6, v9, s[0:3], 0 offen offset:8
	s_waitcnt vmcnt(4)
	buffer_store_dword v7, v9, s[0:3], 0 offen offset:12
	buffer_store_dword v3, v0, s[0:3], 0 offen offset:12
	buffer_store_dword v2, v0, s[0:3], 0 offen offset:8
	buffer_store_dword v1, v0, s[0:3], 0 offen offset:4
	s_waitcnt vmcnt(7)
	buffer_store_dword v8, v0, s[0:3], 0 offen
.LBB62_446:
	s_or_b64 exec, exec, s[4:5]
	v_pk_mov_b32 v[0:1], s[20:21], s[20:21] op_sel:[0,1]
	flat_load_dword v0, v[0:1] offset:160
	s_waitcnt vmcnt(0) lgkmcnt(0)
	v_add_u32_e32 v0, -1, v0
	v_cmp_ne_u32_e32 vcc, 40, v0
	s_and_saveexec_b64 s[4:5], vcc
	s_cbranch_execz .LBB62_448
; %bb.447:
	v_mov_b32_e32 v1, 16
	v_accvgpr_read_b32 v9, a148
	v_lshl_add_u32 v0, v0, 4, v1
	buffer_load_dword v1, v9, s[0:3], 0 offen offset:4
	buffer_load_dword v2, v9, s[0:3], 0 offen offset:8
	buffer_load_dword v3, v9, s[0:3], 0 offen offset:12
	buffer_load_dword v4, v0, s[0:3], 0 offen
	buffer_load_dword v5, v0, s[0:3], 0 offen offset:4
	buffer_load_dword v6, v0, s[0:3], 0 offen offset:8
	buffer_load_dword v7, v0, s[0:3], 0 offen offset:12
	buffer_load_dword v8, v9, s[0:3], 0 offen
	s_waitcnt vmcnt(4)
	buffer_store_dword v4, v9, s[0:3], 0 offen
	s_waitcnt vmcnt(4)
	buffer_store_dword v5, v9, s[0:3], 0 offen offset:4
	s_waitcnt vmcnt(4)
	buffer_store_dword v6, v9, s[0:3], 0 offen offset:8
	s_waitcnt vmcnt(4)
	buffer_store_dword v7, v9, s[0:3], 0 offen offset:12
	buffer_store_dword v3, v0, s[0:3], 0 offen offset:12
	buffer_store_dword v2, v0, s[0:3], 0 offen offset:8
	buffer_store_dword v1, v0, s[0:3], 0 offen offset:4
	s_waitcnt vmcnt(7)
	buffer_store_dword v8, v0, s[0:3], 0 offen
.LBB62_448:
	s_or_b64 exec, exec, s[4:5]
	v_pk_mov_b32 v[0:1], s[20:21], s[20:21] op_sel:[0,1]
	flat_load_dword v0, v[0:1] offset:156
	s_waitcnt vmcnt(0) lgkmcnt(0)
	v_add_u32_e32 v0, -1, v0
	v_cmp_ne_u32_e32 vcc, 39, v0
	s_and_saveexec_b64 s[4:5], vcc
	s_cbranch_execz .LBB62_450
; %bb.449:
	v_mov_b32_e32 v1, 16
	v_accvgpr_read_b32 v9, a149
	v_lshl_add_u32 v0, v0, 4, v1
	buffer_load_dword v1, v9, s[0:3], 0 offen offset:4
	buffer_load_dword v2, v9, s[0:3], 0 offen offset:8
	buffer_load_dword v3, v9, s[0:3], 0 offen offset:12
	buffer_load_dword v4, v0, s[0:3], 0 offen
	buffer_load_dword v5, v0, s[0:3], 0 offen offset:4
	buffer_load_dword v6, v0, s[0:3], 0 offen offset:8
	buffer_load_dword v7, v0, s[0:3], 0 offen offset:12
	buffer_load_dword v8, v9, s[0:3], 0 offen
	s_waitcnt vmcnt(4)
	buffer_store_dword v4, v9, s[0:3], 0 offen
	s_waitcnt vmcnt(4)
	buffer_store_dword v5, v9, s[0:3], 0 offen offset:4
	s_waitcnt vmcnt(4)
	buffer_store_dword v6, v9, s[0:3], 0 offen offset:8
	s_waitcnt vmcnt(4)
	buffer_store_dword v7, v9, s[0:3], 0 offen offset:12
	buffer_store_dword v3, v0, s[0:3], 0 offen offset:12
	buffer_store_dword v2, v0, s[0:3], 0 offen offset:8
	buffer_store_dword v1, v0, s[0:3], 0 offen offset:4
	s_waitcnt vmcnt(7)
	buffer_store_dword v8, v0, s[0:3], 0 offen
.LBB62_450:
	s_or_b64 exec, exec, s[4:5]
	v_pk_mov_b32 v[0:1], s[20:21], s[20:21] op_sel:[0,1]
	flat_load_dword v0, v[0:1] offset:152
	s_waitcnt vmcnt(0) lgkmcnt(0)
	v_add_u32_e32 v0, -1, v0
	v_cmp_ne_u32_e32 vcc, 38, v0
	s_and_saveexec_b64 s[4:5], vcc
	s_cbranch_execz .LBB62_452
; %bb.451:
	v_mov_b32_e32 v1, 16
	v_accvgpr_read_b32 v9, a150
	v_lshl_add_u32 v0, v0, 4, v1
	buffer_load_dword v1, v9, s[0:3], 0 offen offset:4
	buffer_load_dword v2, v9, s[0:3], 0 offen offset:8
	buffer_load_dword v3, v9, s[0:3], 0 offen offset:12
	buffer_load_dword v4, v0, s[0:3], 0 offen
	buffer_load_dword v5, v0, s[0:3], 0 offen offset:4
	buffer_load_dword v6, v0, s[0:3], 0 offen offset:8
	buffer_load_dword v7, v0, s[0:3], 0 offen offset:12
	buffer_load_dword v8, v9, s[0:3], 0 offen
	s_waitcnt vmcnt(4)
	buffer_store_dword v4, v9, s[0:3], 0 offen
	s_waitcnt vmcnt(4)
	buffer_store_dword v5, v9, s[0:3], 0 offen offset:4
	s_waitcnt vmcnt(4)
	buffer_store_dword v6, v9, s[0:3], 0 offen offset:8
	s_waitcnt vmcnt(4)
	buffer_store_dword v7, v9, s[0:3], 0 offen offset:12
	buffer_store_dword v3, v0, s[0:3], 0 offen offset:12
	buffer_store_dword v2, v0, s[0:3], 0 offen offset:8
	buffer_store_dword v1, v0, s[0:3], 0 offen offset:4
	s_waitcnt vmcnt(7)
	buffer_store_dword v8, v0, s[0:3], 0 offen
.LBB62_452:
	s_or_b64 exec, exec, s[4:5]
	v_pk_mov_b32 v[0:1], s[20:21], s[20:21] op_sel:[0,1]
	flat_load_dword v0, v[0:1] offset:148
	s_waitcnt vmcnt(0) lgkmcnt(0)
	v_add_u32_e32 v0, -1, v0
	v_cmp_ne_u32_e32 vcc, 37, v0
	s_and_saveexec_b64 s[4:5], vcc
	s_cbranch_execz .LBB62_454
; %bb.453:
	v_mov_b32_e32 v1, 16
	v_accvgpr_read_b32 v9, a151
	v_lshl_add_u32 v0, v0, 4, v1
	buffer_load_dword v1, v9, s[0:3], 0 offen offset:4
	buffer_load_dword v2, v9, s[0:3], 0 offen offset:8
	buffer_load_dword v3, v9, s[0:3], 0 offen offset:12
	buffer_load_dword v4, v0, s[0:3], 0 offen
	buffer_load_dword v5, v0, s[0:3], 0 offen offset:4
	buffer_load_dword v6, v0, s[0:3], 0 offen offset:8
	buffer_load_dword v7, v0, s[0:3], 0 offen offset:12
	buffer_load_dword v8, v9, s[0:3], 0 offen
	s_waitcnt vmcnt(4)
	buffer_store_dword v4, v9, s[0:3], 0 offen
	s_waitcnt vmcnt(4)
	buffer_store_dword v5, v9, s[0:3], 0 offen offset:4
	s_waitcnt vmcnt(4)
	buffer_store_dword v6, v9, s[0:3], 0 offen offset:8
	s_waitcnt vmcnt(4)
	buffer_store_dword v7, v9, s[0:3], 0 offen offset:12
	buffer_store_dword v3, v0, s[0:3], 0 offen offset:12
	buffer_store_dword v2, v0, s[0:3], 0 offen offset:8
	buffer_store_dword v1, v0, s[0:3], 0 offen offset:4
	s_waitcnt vmcnt(7)
	buffer_store_dword v8, v0, s[0:3], 0 offen
.LBB62_454:
	s_or_b64 exec, exec, s[4:5]
	v_pk_mov_b32 v[0:1], s[20:21], s[20:21] op_sel:[0,1]
	flat_load_dword v0, v[0:1] offset:144
	s_waitcnt vmcnt(0) lgkmcnt(0)
	v_add_u32_e32 v0, -1, v0
	v_cmp_ne_u32_e32 vcc, 36, v0
	s_and_saveexec_b64 s[4:5], vcc
	s_cbranch_execz .LBB62_456
; %bb.455:
	v_mov_b32_e32 v1, 16
	v_accvgpr_read_b32 v9, a152
	v_lshl_add_u32 v0, v0, 4, v1
	buffer_load_dword v1, v9, s[0:3], 0 offen offset:4
	buffer_load_dword v2, v9, s[0:3], 0 offen offset:8
	buffer_load_dword v3, v9, s[0:3], 0 offen offset:12
	buffer_load_dword v4, v0, s[0:3], 0 offen
	buffer_load_dword v5, v0, s[0:3], 0 offen offset:4
	buffer_load_dword v6, v0, s[0:3], 0 offen offset:8
	buffer_load_dword v7, v0, s[0:3], 0 offen offset:12
	buffer_load_dword v8, v9, s[0:3], 0 offen
	s_waitcnt vmcnt(4)
	buffer_store_dword v4, v9, s[0:3], 0 offen
	s_waitcnt vmcnt(4)
	buffer_store_dword v5, v9, s[0:3], 0 offen offset:4
	s_waitcnt vmcnt(4)
	buffer_store_dword v6, v9, s[0:3], 0 offen offset:8
	s_waitcnt vmcnt(4)
	buffer_store_dword v7, v9, s[0:3], 0 offen offset:12
	buffer_store_dword v3, v0, s[0:3], 0 offen offset:12
	buffer_store_dword v2, v0, s[0:3], 0 offen offset:8
	buffer_store_dword v1, v0, s[0:3], 0 offen offset:4
	s_waitcnt vmcnt(7)
	buffer_store_dword v8, v0, s[0:3], 0 offen
.LBB62_456:
	s_or_b64 exec, exec, s[4:5]
	v_pk_mov_b32 v[0:1], s[20:21], s[20:21] op_sel:[0,1]
	flat_load_dword v0, v[0:1] offset:140
	s_waitcnt vmcnt(0) lgkmcnt(0)
	v_add_u32_e32 v0, -1, v0
	v_cmp_ne_u32_e32 vcc, 35, v0
	s_and_saveexec_b64 s[4:5], vcc
	s_cbranch_execz .LBB62_458
; %bb.457:
	v_mov_b32_e32 v1, 16
	v_accvgpr_read_b32 v9, a153
	v_lshl_add_u32 v0, v0, 4, v1
	buffer_load_dword v1, v9, s[0:3], 0 offen offset:4
	buffer_load_dword v2, v9, s[0:3], 0 offen offset:8
	buffer_load_dword v3, v9, s[0:3], 0 offen offset:12
	buffer_load_dword v4, v0, s[0:3], 0 offen
	buffer_load_dword v5, v0, s[0:3], 0 offen offset:4
	buffer_load_dword v6, v0, s[0:3], 0 offen offset:8
	buffer_load_dword v7, v0, s[0:3], 0 offen offset:12
	buffer_load_dword v8, v9, s[0:3], 0 offen
	s_waitcnt vmcnt(4)
	buffer_store_dword v4, v9, s[0:3], 0 offen
	s_waitcnt vmcnt(4)
	buffer_store_dword v5, v9, s[0:3], 0 offen offset:4
	s_waitcnt vmcnt(4)
	buffer_store_dword v6, v9, s[0:3], 0 offen offset:8
	s_waitcnt vmcnt(4)
	buffer_store_dword v7, v9, s[0:3], 0 offen offset:12
	buffer_store_dword v3, v0, s[0:3], 0 offen offset:12
	buffer_store_dword v2, v0, s[0:3], 0 offen offset:8
	buffer_store_dword v1, v0, s[0:3], 0 offen offset:4
	s_waitcnt vmcnt(7)
	buffer_store_dword v8, v0, s[0:3], 0 offen
.LBB62_458:
	s_or_b64 exec, exec, s[4:5]
	v_pk_mov_b32 v[0:1], s[20:21], s[20:21] op_sel:[0,1]
	flat_load_dword v0, v[0:1] offset:136
	s_waitcnt vmcnt(0) lgkmcnt(0)
	v_add_u32_e32 v0, -1, v0
	v_cmp_ne_u32_e32 vcc, 34, v0
	s_and_saveexec_b64 s[4:5], vcc
	s_cbranch_execz .LBB62_460
; %bb.459:
	v_mov_b32_e32 v1, 16
	v_accvgpr_read_b32 v9, a154
	v_lshl_add_u32 v0, v0, 4, v1
	buffer_load_dword v1, v9, s[0:3], 0 offen offset:4
	buffer_load_dword v2, v9, s[0:3], 0 offen offset:8
	buffer_load_dword v3, v9, s[0:3], 0 offen offset:12
	buffer_load_dword v4, v0, s[0:3], 0 offen
	buffer_load_dword v5, v0, s[0:3], 0 offen offset:4
	buffer_load_dword v6, v0, s[0:3], 0 offen offset:8
	buffer_load_dword v7, v0, s[0:3], 0 offen offset:12
	buffer_load_dword v8, v9, s[0:3], 0 offen
	s_waitcnt vmcnt(4)
	buffer_store_dword v4, v9, s[0:3], 0 offen
	s_waitcnt vmcnt(4)
	buffer_store_dword v5, v9, s[0:3], 0 offen offset:4
	s_waitcnt vmcnt(4)
	buffer_store_dword v6, v9, s[0:3], 0 offen offset:8
	s_waitcnt vmcnt(4)
	buffer_store_dword v7, v9, s[0:3], 0 offen offset:12
	buffer_store_dword v3, v0, s[0:3], 0 offen offset:12
	buffer_store_dword v2, v0, s[0:3], 0 offen offset:8
	buffer_store_dword v1, v0, s[0:3], 0 offen offset:4
	s_waitcnt vmcnt(7)
	buffer_store_dword v8, v0, s[0:3], 0 offen
.LBB62_460:
	s_or_b64 exec, exec, s[4:5]
	v_pk_mov_b32 v[0:1], s[20:21], s[20:21] op_sel:[0,1]
	flat_load_dword v0, v[0:1] offset:132
	s_waitcnt vmcnt(0) lgkmcnt(0)
	v_add_u32_e32 v0, -1, v0
	v_cmp_ne_u32_e32 vcc, 33, v0
	s_and_saveexec_b64 s[4:5], vcc
	s_cbranch_execz .LBB62_462
; %bb.461:
	v_mov_b32_e32 v1, 16
	v_accvgpr_read_b32 v9, a155
	v_lshl_add_u32 v0, v0, 4, v1
	buffer_load_dword v1, v9, s[0:3], 0 offen offset:4
	buffer_load_dword v2, v9, s[0:3], 0 offen offset:8
	buffer_load_dword v3, v9, s[0:3], 0 offen offset:12
	buffer_load_dword v4, v0, s[0:3], 0 offen
	buffer_load_dword v5, v0, s[0:3], 0 offen offset:4
	buffer_load_dword v6, v0, s[0:3], 0 offen offset:8
	buffer_load_dword v7, v0, s[0:3], 0 offen offset:12
	buffer_load_dword v8, v9, s[0:3], 0 offen
	s_waitcnt vmcnt(4)
	buffer_store_dword v4, v9, s[0:3], 0 offen
	s_waitcnt vmcnt(4)
	buffer_store_dword v5, v9, s[0:3], 0 offen offset:4
	s_waitcnt vmcnt(4)
	buffer_store_dword v6, v9, s[0:3], 0 offen offset:8
	s_waitcnt vmcnt(4)
	buffer_store_dword v7, v9, s[0:3], 0 offen offset:12
	buffer_store_dword v3, v0, s[0:3], 0 offen offset:12
	buffer_store_dword v2, v0, s[0:3], 0 offen offset:8
	buffer_store_dword v1, v0, s[0:3], 0 offen offset:4
	s_waitcnt vmcnt(7)
	buffer_store_dword v8, v0, s[0:3], 0 offen
.LBB62_462:
	s_or_b64 exec, exec, s[4:5]
	v_pk_mov_b32 v[0:1], s[20:21], s[20:21] op_sel:[0,1]
	flat_load_dword v0, v[0:1] offset:128
	s_waitcnt vmcnt(0) lgkmcnt(0)
	v_add_u32_e32 v0, -1, v0
	v_cmp_ne_u32_e32 vcc, 32, v0
	s_and_saveexec_b64 s[4:5], vcc
	s_cbranch_execz .LBB62_464
; %bb.463:
	v_mov_b32_e32 v1, 16
	v_accvgpr_read_b32 v9, a156
	v_lshl_add_u32 v0, v0, 4, v1
	buffer_load_dword v1, v9, s[0:3], 0 offen offset:4
	buffer_load_dword v2, v9, s[0:3], 0 offen offset:8
	buffer_load_dword v3, v9, s[0:3], 0 offen offset:12
	buffer_load_dword v4, v0, s[0:3], 0 offen
	buffer_load_dword v5, v0, s[0:3], 0 offen offset:4
	buffer_load_dword v6, v0, s[0:3], 0 offen offset:8
	buffer_load_dword v7, v0, s[0:3], 0 offen offset:12
	buffer_load_dword v8, v9, s[0:3], 0 offen
	s_waitcnt vmcnt(4)
	buffer_store_dword v4, v9, s[0:3], 0 offen
	s_waitcnt vmcnt(4)
	buffer_store_dword v5, v9, s[0:3], 0 offen offset:4
	s_waitcnt vmcnt(4)
	buffer_store_dword v6, v9, s[0:3], 0 offen offset:8
	s_waitcnt vmcnt(4)
	buffer_store_dword v7, v9, s[0:3], 0 offen offset:12
	buffer_store_dword v3, v0, s[0:3], 0 offen offset:12
	buffer_store_dword v2, v0, s[0:3], 0 offen offset:8
	buffer_store_dword v1, v0, s[0:3], 0 offen offset:4
	s_waitcnt vmcnt(7)
	buffer_store_dword v8, v0, s[0:3], 0 offen
.LBB62_464:
	s_or_b64 exec, exec, s[4:5]
	v_pk_mov_b32 v[0:1], s[20:21], s[20:21] op_sel:[0,1]
	flat_load_dword v0, v[0:1] offset:124
	s_waitcnt vmcnt(0) lgkmcnt(0)
	v_add_u32_e32 v0, -1, v0
	v_cmp_ne_u32_e32 vcc, 31, v0
	s_and_saveexec_b64 s[4:5], vcc
	s_cbranch_execz .LBB62_466
; %bb.465:
	v_mov_b32_e32 v1, 16
	v_accvgpr_read_b32 v9, a157
	v_lshl_add_u32 v0, v0, 4, v1
	buffer_load_dword v1, v9, s[0:3], 0 offen offset:4
	buffer_load_dword v2, v9, s[0:3], 0 offen offset:8
	buffer_load_dword v3, v9, s[0:3], 0 offen offset:12
	buffer_load_dword v4, v0, s[0:3], 0 offen
	buffer_load_dword v5, v0, s[0:3], 0 offen offset:4
	buffer_load_dword v6, v0, s[0:3], 0 offen offset:8
	buffer_load_dword v7, v0, s[0:3], 0 offen offset:12
	buffer_load_dword v8, v9, s[0:3], 0 offen
	s_waitcnt vmcnt(4)
	buffer_store_dword v4, v9, s[0:3], 0 offen
	s_waitcnt vmcnt(4)
	buffer_store_dword v5, v9, s[0:3], 0 offen offset:4
	s_waitcnt vmcnt(4)
	buffer_store_dword v6, v9, s[0:3], 0 offen offset:8
	s_waitcnt vmcnt(4)
	buffer_store_dword v7, v9, s[0:3], 0 offen offset:12
	buffer_store_dword v3, v0, s[0:3], 0 offen offset:12
	buffer_store_dword v2, v0, s[0:3], 0 offen offset:8
	buffer_store_dword v1, v0, s[0:3], 0 offen offset:4
	s_waitcnt vmcnt(7)
	buffer_store_dword v8, v0, s[0:3], 0 offen
.LBB62_466:
	s_or_b64 exec, exec, s[4:5]
	v_pk_mov_b32 v[0:1], s[20:21], s[20:21] op_sel:[0,1]
	flat_load_dword v0, v[0:1] offset:120
	s_waitcnt vmcnt(0) lgkmcnt(0)
	v_add_u32_e32 v0, -1, v0
	v_cmp_ne_u32_e32 vcc, 30, v0
	s_and_saveexec_b64 s[4:5], vcc
	s_cbranch_execz .LBB62_468
; %bb.467:
	v_mov_b32_e32 v1, 16
	v_accvgpr_read_b32 v9, a158
	v_lshl_add_u32 v0, v0, 4, v1
	buffer_load_dword v1, v9, s[0:3], 0 offen offset:4
	buffer_load_dword v2, v9, s[0:3], 0 offen offset:8
	buffer_load_dword v3, v9, s[0:3], 0 offen offset:12
	buffer_load_dword v4, v0, s[0:3], 0 offen
	buffer_load_dword v5, v0, s[0:3], 0 offen offset:4
	buffer_load_dword v6, v0, s[0:3], 0 offen offset:8
	buffer_load_dword v7, v0, s[0:3], 0 offen offset:12
	buffer_load_dword v8, v9, s[0:3], 0 offen
	s_waitcnt vmcnt(4)
	buffer_store_dword v4, v9, s[0:3], 0 offen
	s_waitcnt vmcnt(4)
	buffer_store_dword v5, v9, s[0:3], 0 offen offset:4
	s_waitcnt vmcnt(4)
	buffer_store_dword v6, v9, s[0:3], 0 offen offset:8
	s_waitcnt vmcnt(4)
	buffer_store_dword v7, v9, s[0:3], 0 offen offset:12
	buffer_store_dword v3, v0, s[0:3], 0 offen offset:12
	buffer_store_dword v2, v0, s[0:3], 0 offen offset:8
	buffer_store_dword v1, v0, s[0:3], 0 offen offset:4
	s_waitcnt vmcnt(7)
	buffer_store_dword v8, v0, s[0:3], 0 offen
.LBB62_468:
	s_or_b64 exec, exec, s[4:5]
	v_pk_mov_b32 v[0:1], s[20:21], s[20:21] op_sel:[0,1]
	flat_load_dword v0, v[0:1] offset:116
	s_waitcnt vmcnt(0) lgkmcnt(0)
	v_add_u32_e32 v0, -1, v0
	v_cmp_ne_u32_e32 vcc, 29, v0
	s_and_saveexec_b64 s[4:5], vcc
	s_cbranch_execz .LBB62_470
; %bb.469:
	v_mov_b32_e32 v1, 16
	v_accvgpr_read_b32 v9, a159
	v_lshl_add_u32 v0, v0, 4, v1
	buffer_load_dword v1, v9, s[0:3], 0 offen offset:4
	buffer_load_dword v2, v9, s[0:3], 0 offen offset:8
	buffer_load_dword v3, v9, s[0:3], 0 offen offset:12
	buffer_load_dword v4, v0, s[0:3], 0 offen
	buffer_load_dword v5, v0, s[0:3], 0 offen offset:4
	buffer_load_dword v6, v0, s[0:3], 0 offen offset:8
	buffer_load_dword v7, v0, s[0:3], 0 offen offset:12
	buffer_load_dword v8, v9, s[0:3], 0 offen
	s_waitcnt vmcnt(4)
	buffer_store_dword v4, v9, s[0:3], 0 offen
	s_waitcnt vmcnt(4)
	buffer_store_dword v5, v9, s[0:3], 0 offen offset:4
	s_waitcnt vmcnt(4)
	buffer_store_dword v6, v9, s[0:3], 0 offen offset:8
	s_waitcnt vmcnt(4)
	buffer_store_dword v7, v9, s[0:3], 0 offen offset:12
	buffer_store_dword v3, v0, s[0:3], 0 offen offset:12
	buffer_store_dword v2, v0, s[0:3], 0 offen offset:8
	buffer_store_dword v1, v0, s[0:3], 0 offen offset:4
	s_waitcnt vmcnt(7)
	buffer_store_dword v8, v0, s[0:3], 0 offen
.LBB62_470:
	s_or_b64 exec, exec, s[4:5]
	v_pk_mov_b32 v[0:1], s[20:21], s[20:21] op_sel:[0,1]
	flat_load_dword v0, v[0:1] offset:112
	s_waitcnt vmcnt(0) lgkmcnt(0)
	v_add_u32_e32 v0, -1, v0
	v_cmp_ne_u32_e32 vcc, 28, v0
	s_and_saveexec_b64 s[4:5], vcc
	s_cbranch_execz .LBB62_472
; %bb.471:
	v_mov_b32_e32 v1, 16
	v_accvgpr_read_b32 v9, a160
	v_lshl_add_u32 v0, v0, 4, v1
	buffer_load_dword v1, v9, s[0:3], 0 offen offset:4
	buffer_load_dword v2, v9, s[0:3], 0 offen offset:8
	buffer_load_dword v3, v9, s[0:3], 0 offen offset:12
	buffer_load_dword v4, v0, s[0:3], 0 offen
	buffer_load_dword v5, v0, s[0:3], 0 offen offset:4
	buffer_load_dword v6, v0, s[0:3], 0 offen offset:8
	buffer_load_dword v7, v0, s[0:3], 0 offen offset:12
	buffer_load_dword v8, v9, s[0:3], 0 offen
	s_waitcnt vmcnt(4)
	buffer_store_dword v4, v9, s[0:3], 0 offen
	s_waitcnt vmcnt(4)
	buffer_store_dword v5, v9, s[0:3], 0 offen offset:4
	s_waitcnt vmcnt(4)
	buffer_store_dword v6, v9, s[0:3], 0 offen offset:8
	s_waitcnt vmcnt(4)
	buffer_store_dword v7, v9, s[0:3], 0 offen offset:12
	buffer_store_dword v3, v0, s[0:3], 0 offen offset:12
	buffer_store_dword v2, v0, s[0:3], 0 offen offset:8
	buffer_store_dword v1, v0, s[0:3], 0 offen offset:4
	s_waitcnt vmcnt(7)
	buffer_store_dword v8, v0, s[0:3], 0 offen
.LBB62_472:
	s_or_b64 exec, exec, s[4:5]
	v_pk_mov_b32 v[0:1], s[20:21], s[20:21] op_sel:[0,1]
	flat_load_dword v0, v[0:1] offset:108
	s_waitcnt vmcnt(0) lgkmcnt(0)
	v_add_u32_e32 v0, -1, v0
	v_cmp_ne_u32_e32 vcc, 27, v0
	s_and_saveexec_b64 s[4:5], vcc
	s_cbranch_execz .LBB62_474
; %bb.473:
	v_mov_b32_e32 v1, 16
	v_accvgpr_read_b32 v9, a161
	v_lshl_add_u32 v0, v0, 4, v1
	buffer_load_dword v1, v9, s[0:3], 0 offen offset:4
	buffer_load_dword v2, v9, s[0:3], 0 offen offset:8
	buffer_load_dword v3, v9, s[0:3], 0 offen offset:12
	buffer_load_dword v4, v0, s[0:3], 0 offen
	buffer_load_dword v5, v0, s[0:3], 0 offen offset:4
	buffer_load_dword v6, v0, s[0:3], 0 offen offset:8
	buffer_load_dword v7, v0, s[0:3], 0 offen offset:12
	buffer_load_dword v8, v9, s[0:3], 0 offen
	s_waitcnt vmcnt(4)
	buffer_store_dword v4, v9, s[0:3], 0 offen
	s_waitcnt vmcnt(4)
	buffer_store_dword v5, v9, s[0:3], 0 offen offset:4
	s_waitcnt vmcnt(4)
	buffer_store_dword v6, v9, s[0:3], 0 offen offset:8
	s_waitcnt vmcnt(4)
	buffer_store_dword v7, v9, s[0:3], 0 offen offset:12
	buffer_store_dword v3, v0, s[0:3], 0 offen offset:12
	buffer_store_dword v2, v0, s[0:3], 0 offen offset:8
	buffer_store_dword v1, v0, s[0:3], 0 offen offset:4
	s_waitcnt vmcnt(7)
	buffer_store_dword v8, v0, s[0:3], 0 offen
.LBB62_474:
	s_or_b64 exec, exec, s[4:5]
	v_pk_mov_b32 v[0:1], s[20:21], s[20:21] op_sel:[0,1]
	flat_load_dword v0, v[0:1] offset:104
	s_waitcnt vmcnt(0) lgkmcnt(0)
	v_add_u32_e32 v0, -1, v0
	v_cmp_ne_u32_e32 vcc, 26, v0
	s_and_saveexec_b64 s[4:5], vcc
	s_cbranch_execz .LBB62_476
; %bb.475:
	v_mov_b32_e32 v1, 16
	v_accvgpr_read_b32 v9, a162
	v_lshl_add_u32 v0, v0, 4, v1
	buffer_load_dword v1, v9, s[0:3], 0 offen offset:4
	buffer_load_dword v2, v9, s[0:3], 0 offen offset:8
	buffer_load_dword v3, v9, s[0:3], 0 offen offset:12
	buffer_load_dword v4, v0, s[0:3], 0 offen
	buffer_load_dword v5, v0, s[0:3], 0 offen offset:4
	buffer_load_dword v6, v0, s[0:3], 0 offen offset:8
	buffer_load_dword v7, v0, s[0:3], 0 offen offset:12
	buffer_load_dword v8, v9, s[0:3], 0 offen
	s_waitcnt vmcnt(4)
	buffer_store_dword v4, v9, s[0:3], 0 offen
	s_waitcnt vmcnt(4)
	buffer_store_dword v5, v9, s[0:3], 0 offen offset:4
	s_waitcnt vmcnt(4)
	buffer_store_dword v6, v9, s[0:3], 0 offen offset:8
	s_waitcnt vmcnt(4)
	buffer_store_dword v7, v9, s[0:3], 0 offen offset:12
	buffer_store_dword v3, v0, s[0:3], 0 offen offset:12
	buffer_store_dword v2, v0, s[0:3], 0 offen offset:8
	buffer_store_dword v1, v0, s[0:3], 0 offen offset:4
	s_waitcnt vmcnt(7)
	buffer_store_dword v8, v0, s[0:3], 0 offen
.LBB62_476:
	s_or_b64 exec, exec, s[4:5]
	v_pk_mov_b32 v[0:1], s[20:21], s[20:21] op_sel:[0,1]
	flat_load_dword v0, v[0:1] offset:100
	s_waitcnt vmcnt(0) lgkmcnt(0)
	v_add_u32_e32 v0, -1, v0
	v_cmp_ne_u32_e32 vcc, 25, v0
	s_and_saveexec_b64 s[4:5], vcc
	s_cbranch_execz .LBB62_478
; %bb.477:
	v_mov_b32_e32 v1, 16
	v_accvgpr_read_b32 v9, a163
	v_lshl_add_u32 v0, v0, 4, v1
	buffer_load_dword v1, v9, s[0:3], 0 offen offset:4
	buffer_load_dword v2, v9, s[0:3], 0 offen offset:8
	buffer_load_dword v3, v9, s[0:3], 0 offen offset:12
	buffer_load_dword v4, v0, s[0:3], 0 offen
	buffer_load_dword v5, v0, s[0:3], 0 offen offset:4
	buffer_load_dword v6, v0, s[0:3], 0 offen offset:8
	buffer_load_dword v7, v0, s[0:3], 0 offen offset:12
	buffer_load_dword v8, v9, s[0:3], 0 offen
	s_waitcnt vmcnt(4)
	buffer_store_dword v4, v9, s[0:3], 0 offen
	s_waitcnt vmcnt(4)
	buffer_store_dword v5, v9, s[0:3], 0 offen offset:4
	s_waitcnt vmcnt(4)
	buffer_store_dword v6, v9, s[0:3], 0 offen offset:8
	s_waitcnt vmcnt(4)
	buffer_store_dword v7, v9, s[0:3], 0 offen offset:12
	buffer_store_dword v3, v0, s[0:3], 0 offen offset:12
	buffer_store_dword v2, v0, s[0:3], 0 offen offset:8
	buffer_store_dword v1, v0, s[0:3], 0 offen offset:4
	s_waitcnt vmcnt(7)
	buffer_store_dword v8, v0, s[0:3], 0 offen
.LBB62_478:
	s_or_b64 exec, exec, s[4:5]
	v_pk_mov_b32 v[0:1], s[20:21], s[20:21] op_sel:[0,1]
	flat_load_dword v0, v[0:1] offset:96
	s_waitcnt vmcnt(0) lgkmcnt(0)
	v_add_u32_e32 v0, -1, v0
	v_cmp_ne_u32_e32 vcc, 24, v0
	s_and_saveexec_b64 s[4:5], vcc
	s_cbranch_execz .LBB62_480
; %bb.479:
	v_mov_b32_e32 v1, 16
	v_accvgpr_read_b32 v9, a164
	v_lshl_add_u32 v0, v0, 4, v1
	buffer_load_dword v1, v9, s[0:3], 0 offen offset:4
	buffer_load_dword v2, v9, s[0:3], 0 offen offset:8
	buffer_load_dword v3, v9, s[0:3], 0 offen offset:12
	buffer_load_dword v4, v0, s[0:3], 0 offen
	buffer_load_dword v5, v0, s[0:3], 0 offen offset:4
	buffer_load_dword v6, v0, s[0:3], 0 offen offset:8
	buffer_load_dword v7, v0, s[0:3], 0 offen offset:12
	buffer_load_dword v8, v9, s[0:3], 0 offen
	s_waitcnt vmcnt(4)
	buffer_store_dword v4, v9, s[0:3], 0 offen
	s_waitcnt vmcnt(4)
	buffer_store_dword v5, v9, s[0:3], 0 offen offset:4
	s_waitcnt vmcnt(4)
	buffer_store_dword v6, v9, s[0:3], 0 offen offset:8
	s_waitcnt vmcnt(4)
	buffer_store_dword v7, v9, s[0:3], 0 offen offset:12
	buffer_store_dword v3, v0, s[0:3], 0 offen offset:12
	buffer_store_dword v2, v0, s[0:3], 0 offen offset:8
	buffer_store_dword v1, v0, s[0:3], 0 offen offset:4
	s_waitcnt vmcnt(7)
	buffer_store_dword v8, v0, s[0:3], 0 offen
.LBB62_480:
	s_or_b64 exec, exec, s[4:5]
	v_pk_mov_b32 v[0:1], s[20:21], s[20:21] op_sel:[0,1]
	flat_load_dword v0, v[0:1] offset:92
	s_waitcnt vmcnt(0) lgkmcnt(0)
	v_add_u32_e32 v0, -1, v0
	v_cmp_ne_u32_e32 vcc, 23, v0
	s_and_saveexec_b64 s[4:5], vcc
	s_cbranch_execz .LBB62_482
; %bb.481:
	v_mov_b32_e32 v1, 16
	v_accvgpr_read_b32 v9, a165
	v_lshl_add_u32 v0, v0, 4, v1
	buffer_load_dword v1, v9, s[0:3], 0 offen offset:4
	buffer_load_dword v2, v9, s[0:3], 0 offen offset:8
	buffer_load_dword v3, v9, s[0:3], 0 offen offset:12
	buffer_load_dword v4, v0, s[0:3], 0 offen
	buffer_load_dword v5, v0, s[0:3], 0 offen offset:4
	buffer_load_dword v6, v0, s[0:3], 0 offen offset:8
	buffer_load_dword v7, v0, s[0:3], 0 offen offset:12
	buffer_load_dword v8, v9, s[0:3], 0 offen
	s_waitcnt vmcnt(4)
	buffer_store_dword v4, v9, s[0:3], 0 offen
	s_waitcnt vmcnt(4)
	buffer_store_dword v5, v9, s[0:3], 0 offen offset:4
	s_waitcnt vmcnt(4)
	buffer_store_dword v6, v9, s[0:3], 0 offen offset:8
	s_waitcnt vmcnt(4)
	buffer_store_dword v7, v9, s[0:3], 0 offen offset:12
	buffer_store_dword v3, v0, s[0:3], 0 offen offset:12
	buffer_store_dword v2, v0, s[0:3], 0 offen offset:8
	buffer_store_dword v1, v0, s[0:3], 0 offen offset:4
	s_waitcnt vmcnt(7)
	buffer_store_dword v8, v0, s[0:3], 0 offen
.LBB62_482:
	s_or_b64 exec, exec, s[4:5]
	v_pk_mov_b32 v[0:1], s[20:21], s[20:21] op_sel:[0,1]
	flat_load_dword v0, v[0:1] offset:88
	s_waitcnt vmcnt(0) lgkmcnt(0)
	v_add_u32_e32 v0, -1, v0
	v_cmp_ne_u32_e32 vcc, 22, v0
	s_and_saveexec_b64 s[4:5], vcc
	s_cbranch_execz .LBB62_484
; %bb.483:
	v_mov_b32_e32 v1, 16
	v_accvgpr_read_b32 v9, a166
	v_lshl_add_u32 v0, v0, 4, v1
	buffer_load_dword v1, v9, s[0:3], 0 offen offset:4
	buffer_load_dword v2, v9, s[0:3], 0 offen offset:8
	buffer_load_dword v3, v9, s[0:3], 0 offen offset:12
	buffer_load_dword v4, v0, s[0:3], 0 offen
	buffer_load_dword v5, v0, s[0:3], 0 offen offset:4
	buffer_load_dword v6, v0, s[0:3], 0 offen offset:8
	buffer_load_dword v7, v0, s[0:3], 0 offen offset:12
	buffer_load_dword v8, v9, s[0:3], 0 offen
	s_waitcnt vmcnt(4)
	buffer_store_dword v4, v9, s[0:3], 0 offen
	s_waitcnt vmcnt(4)
	buffer_store_dword v5, v9, s[0:3], 0 offen offset:4
	s_waitcnt vmcnt(4)
	buffer_store_dword v6, v9, s[0:3], 0 offen offset:8
	s_waitcnt vmcnt(4)
	buffer_store_dword v7, v9, s[0:3], 0 offen offset:12
	buffer_store_dword v3, v0, s[0:3], 0 offen offset:12
	buffer_store_dword v2, v0, s[0:3], 0 offen offset:8
	buffer_store_dword v1, v0, s[0:3], 0 offen offset:4
	s_waitcnt vmcnt(7)
	buffer_store_dword v8, v0, s[0:3], 0 offen
.LBB62_484:
	s_or_b64 exec, exec, s[4:5]
	v_pk_mov_b32 v[0:1], s[20:21], s[20:21] op_sel:[0,1]
	flat_load_dword v0, v[0:1] offset:84
	s_waitcnt vmcnt(0) lgkmcnt(0)
	v_add_u32_e32 v0, -1, v0
	v_cmp_ne_u32_e32 vcc, 21, v0
	s_and_saveexec_b64 s[4:5], vcc
	s_cbranch_execz .LBB62_486
; %bb.485:
	v_mov_b32_e32 v1, 16
	v_accvgpr_read_b32 v9, a167
	v_lshl_add_u32 v0, v0, 4, v1
	buffer_load_dword v1, v9, s[0:3], 0 offen offset:4
	buffer_load_dword v2, v9, s[0:3], 0 offen offset:8
	buffer_load_dword v3, v9, s[0:3], 0 offen offset:12
	buffer_load_dword v4, v0, s[0:3], 0 offen
	buffer_load_dword v5, v0, s[0:3], 0 offen offset:4
	buffer_load_dword v6, v0, s[0:3], 0 offen offset:8
	buffer_load_dword v7, v0, s[0:3], 0 offen offset:12
	buffer_load_dword v8, v9, s[0:3], 0 offen
	s_waitcnt vmcnt(4)
	buffer_store_dword v4, v9, s[0:3], 0 offen
	s_waitcnt vmcnt(4)
	buffer_store_dword v5, v9, s[0:3], 0 offen offset:4
	s_waitcnt vmcnt(4)
	buffer_store_dword v6, v9, s[0:3], 0 offen offset:8
	s_waitcnt vmcnt(4)
	buffer_store_dword v7, v9, s[0:3], 0 offen offset:12
	buffer_store_dword v3, v0, s[0:3], 0 offen offset:12
	buffer_store_dword v2, v0, s[0:3], 0 offen offset:8
	buffer_store_dword v1, v0, s[0:3], 0 offen offset:4
	s_waitcnt vmcnt(7)
	buffer_store_dword v8, v0, s[0:3], 0 offen
.LBB62_486:
	s_or_b64 exec, exec, s[4:5]
	v_pk_mov_b32 v[0:1], s[20:21], s[20:21] op_sel:[0,1]
	flat_load_dword v0, v[0:1] offset:80
	s_waitcnt vmcnt(0) lgkmcnt(0)
	v_add_u32_e32 v0, -1, v0
	v_cmp_ne_u32_e32 vcc, 20, v0
	s_and_saveexec_b64 s[4:5], vcc
	s_cbranch_execz .LBB62_488
; %bb.487:
	v_mov_b32_e32 v1, 16
	v_accvgpr_read_b32 v9, a168
	v_lshl_add_u32 v0, v0, 4, v1
	buffer_load_dword v1, v9, s[0:3], 0 offen offset:4
	buffer_load_dword v2, v9, s[0:3], 0 offen offset:8
	buffer_load_dword v3, v9, s[0:3], 0 offen offset:12
	buffer_load_dword v4, v0, s[0:3], 0 offen
	buffer_load_dword v5, v0, s[0:3], 0 offen offset:4
	buffer_load_dword v6, v0, s[0:3], 0 offen offset:8
	buffer_load_dword v7, v0, s[0:3], 0 offen offset:12
	buffer_load_dword v8, v9, s[0:3], 0 offen
	s_waitcnt vmcnt(4)
	buffer_store_dword v4, v9, s[0:3], 0 offen
	s_waitcnt vmcnt(4)
	buffer_store_dword v5, v9, s[0:3], 0 offen offset:4
	s_waitcnt vmcnt(4)
	buffer_store_dword v6, v9, s[0:3], 0 offen offset:8
	s_waitcnt vmcnt(4)
	buffer_store_dword v7, v9, s[0:3], 0 offen offset:12
	buffer_store_dword v3, v0, s[0:3], 0 offen offset:12
	buffer_store_dword v2, v0, s[0:3], 0 offen offset:8
	buffer_store_dword v1, v0, s[0:3], 0 offen offset:4
	s_waitcnt vmcnt(7)
	buffer_store_dword v8, v0, s[0:3], 0 offen
.LBB62_488:
	s_or_b64 exec, exec, s[4:5]
	v_pk_mov_b32 v[0:1], s[20:21], s[20:21] op_sel:[0,1]
	flat_load_dword v0, v[0:1] offset:76
	s_waitcnt vmcnt(0) lgkmcnt(0)
	v_add_u32_e32 v0, -1, v0
	v_cmp_ne_u32_e32 vcc, 19, v0
	s_and_saveexec_b64 s[4:5], vcc
	s_cbranch_execz .LBB62_490
; %bb.489:
	v_mov_b32_e32 v1, 16
	v_accvgpr_read_b32 v9, a169
	v_lshl_add_u32 v0, v0, 4, v1
	buffer_load_dword v1, v9, s[0:3], 0 offen offset:4
	buffer_load_dword v2, v9, s[0:3], 0 offen offset:8
	buffer_load_dword v3, v9, s[0:3], 0 offen offset:12
	buffer_load_dword v4, v0, s[0:3], 0 offen
	buffer_load_dword v5, v0, s[0:3], 0 offen offset:4
	buffer_load_dword v6, v0, s[0:3], 0 offen offset:8
	buffer_load_dword v7, v0, s[0:3], 0 offen offset:12
	buffer_load_dword v8, v9, s[0:3], 0 offen
	s_waitcnt vmcnt(4)
	buffer_store_dword v4, v9, s[0:3], 0 offen
	s_waitcnt vmcnt(4)
	buffer_store_dword v5, v9, s[0:3], 0 offen offset:4
	s_waitcnt vmcnt(4)
	buffer_store_dword v6, v9, s[0:3], 0 offen offset:8
	s_waitcnt vmcnt(4)
	buffer_store_dword v7, v9, s[0:3], 0 offen offset:12
	buffer_store_dword v3, v0, s[0:3], 0 offen offset:12
	buffer_store_dword v2, v0, s[0:3], 0 offen offset:8
	buffer_store_dword v1, v0, s[0:3], 0 offen offset:4
	s_waitcnt vmcnt(7)
	buffer_store_dword v8, v0, s[0:3], 0 offen
.LBB62_490:
	s_or_b64 exec, exec, s[4:5]
	v_pk_mov_b32 v[0:1], s[20:21], s[20:21] op_sel:[0,1]
	flat_load_dword v0, v[0:1] offset:72
	s_waitcnt vmcnt(0) lgkmcnt(0)
	v_add_u32_e32 v0, -1, v0
	v_cmp_ne_u32_e32 vcc, 18, v0
	s_and_saveexec_b64 s[4:5], vcc
	s_cbranch_execz .LBB62_492
; %bb.491:
	v_mov_b32_e32 v1, 16
	v_accvgpr_read_b32 v9, a170
	v_lshl_add_u32 v0, v0, 4, v1
	buffer_load_dword v1, v9, s[0:3], 0 offen offset:4
	buffer_load_dword v2, v9, s[0:3], 0 offen offset:8
	buffer_load_dword v3, v9, s[0:3], 0 offen offset:12
	buffer_load_dword v4, v0, s[0:3], 0 offen
	buffer_load_dword v5, v0, s[0:3], 0 offen offset:4
	buffer_load_dword v6, v0, s[0:3], 0 offen offset:8
	buffer_load_dword v7, v0, s[0:3], 0 offen offset:12
	buffer_load_dword v8, v9, s[0:3], 0 offen
	s_waitcnt vmcnt(4)
	buffer_store_dword v4, v9, s[0:3], 0 offen
	s_waitcnt vmcnt(4)
	buffer_store_dword v5, v9, s[0:3], 0 offen offset:4
	s_waitcnt vmcnt(4)
	buffer_store_dword v6, v9, s[0:3], 0 offen offset:8
	s_waitcnt vmcnt(4)
	buffer_store_dword v7, v9, s[0:3], 0 offen offset:12
	buffer_store_dword v3, v0, s[0:3], 0 offen offset:12
	buffer_store_dword v2, v0, s[0:3], 0 offen offset:8
	buffer_store_dword v1, v0, s[0:3], 0 offen offset:4
	s_waitcnt vmcnt(7)
	buffer_store_dword v8, v0, s[0:3], 0 offen
.LBB62_492:
	s_or_b64 exec, exec, s[4:5]
	v_pk_mov_b32 v[0:1], s[20:21], s[20:21] op_sel:[0,1]
	flat_load_dword v0, v[0:1] offset:68
	s_waitcnt vmcnt(0) lgkmcnt(0)
	v_add_u32_e32 v0, -1, v0
	v_cmp_ne_u32_e32 vcc, 17, v0
	s_and_saveexec_b64 s[4:5], vcc
	s_cbranch_execz .LBB62_494
; %bb.493:
	v_mov_b32_e32 v1, 16
	v_accvgpr_read_b32 v9, a171
	v_lshl_add_u32 v0, v0, 4, v1
	buffer_load_dword v1, v9, s[0:3], 0 offen offset:4
	buffer_load_dword v2, v9, s[0:3], 0 offen offset:8
	buffer_load_dword v3, v9, s[0:3], 0 offen offset:12
	buffer_load_dword v4, v0, s[0:3], 0 offen
	buffer_load_dword v5, v0, s[0:3], 0 offen offset:4
	buffer_load_dword v6, v0, s[0:3], 0 offen offset:8
	buffer_load_dword v7, v0, s[0:3], 0 offen offset:12
	buffer_load_dword v8, v9, s[0:3], 0 offen
	s_waitcnt vmcnt(4)
	buffer_store_dword v4, v9, s[0:3], 0 offen
	s_waitcnt vmcnt(4)
	buffer_store_dword v5, v9, s[0:3], 0 offen offset:4
	s_waitcnt vmcnt(4)
	buffer_store_dword v6, v9, s[0:3], 0 offen offset:8
	s_waitcnt vmcnt(4)
	buffer_store_dword v7, v9, s[0:3], 0 offen offset:12
	buffer_store_dword v3, v0, s[0:3], 0 offen offset:12
	buffer_store_dword v2, v0, s[0:3], 0 offen offset:8
	buffer_store_dword v1, v0, s[0:3], 0 offen offset:4
	s_waitcnt vmcnt(7)
	buffer_store_dword v8, v0, s[0:3], 0 offen
.LBB62_494:
	s_or_b64 exec, exec, s[4:5]
	v_pk_mov_b32 v[0:1], s[20:21], s[20:21] op_sel:[0,1]
	flat_load_dword v0, v[0:1] offset:64
	s_waitcnt vmcnt(0) lgkmcnt(0)
	v_add_u32_e32 v0, -1, v0
	v_cmp_ne_u32_e32 vcc, 16, v0
	s_and_saveexec_b64 s[4:5], vcc
	s_cbranch_execz .LBB62_496
; %bb.495:
	v_mov_b32_e32 v1, 16
	v_accvgpr_read_b32 v9, a172
	v_lshl_add_u32 v0, v0, 4, v1
	buffer_load_dword v1, v9, s[0:3], 0 offen offset:4
	buffer_load_dword v2, v9, s[0:3], 0 offen offset:8
	buffer_load_dword v3, v9, s[0:3], 0 offen offset:12
	buffer_load_dword v4, v0, s[0:3], 0 offen
	buffer_load_dword v5, v0, s[0:3], 0 offen offset:4
	buffer_load_dword v6, v0, s[0:3], 0 offen offset:8
	buffer_load_dword v7, v0, s[0:3], 0 offen offset:12
	buffer_load_dword v8, v9, s[0:3], 0 offen
	s_waitcnt vmcnt(4)
	buffer_store_dword v4, v9, s[0:3], 0 offen
	s_waitcnt vmcnt(4)
	buffer_store_dword v5, v9, s[0:3], 0 offen offset:4
	s_waitcnt vmcnt(4)
	buffer_store_dword v6, v9, s[0:3], 0 offen offset:8
	s_waitcnt vmcnt(4)
	buffer_store_dword v7, v9, s[0:3], 0 offen offset:12
	buffer_store_dword v3, v0, s[0:3], 0 offen offset:12
	buffer_store_dword v2, v0, s[0:3], 0 offen offset:8
	buffer_store_dword v1, v0, s[0:3], 0 offen offset:4
	s_waitcnt vmcnt(7)
	buffer_store_dword v8, v0, s[0:3], 0 offen
.LBB62_496:
	s_or_b64 exec, exec, s[4:5]
	v_pk_mov_b32 v[0:1], s[20:21], s[20:21] op_sel:[0,1]
	flat_load_dword v0, v[0:1] offset:60
	s_waitcnt vmcnt(0) lgkmcnt(0)
	v_add_u32_e32 v0, -1, v0
	v_cmp_ne_u32_e32 vcc, 15, v0
	s_and_saveexec_b64 s[4:5], vcc
	s_cbranch_execz .LBB62_498
; %bb.497:
	v_mov_b32_e32 v1, 16
	v_accvgpr_read_b32 v9, a173
	v_lshl_add_u32 v0, v0, 4, v1
	buffer_load_dword v1, v9, s[0:3], 0 offen offset:4
	buffer_load_dword v2, v9, s[0:3], 0 offen offset:8
	buffer_load_dword v3, v9, s[0:3], 0 offen offset:12
	buffer_load_dword v4, v0, s[0:3], 0 offen
	buffer_load_dword v5, v0, s[0:3], 0 offen offset:4
	buffer_load_dword v6, v0, s[0:3], 0 offen offset:8
	buffer_load_dword v7, v0, s[0:3], 0 offen offset:12
	buffer_load_dword v8, v9, s[0:3], 0 offen
	s_waitcnt vmcnt(4)
	buffer_store_dword v4, v9, s[0:3], 0 offen
	s_waitcnt vmcnt(4)
	buffer_store_dword v5, v9, s[0:3], 0 offen offset:4
	s_waitcnt vmcnt(4)
	buffer_store_dword v6, v9, s[0:3], 0 offen offset:8
	s_waitcnt vmcnt(4)
	buffer_store_dword v7, v9, s[0:3], 0 offen offset:12
	buffer_store_dword v3, v0, s[0:3], 0 offen offset:12
	buffer_store_dword v2, v0, s[0:3], 0 offen offset:8
	buffer_store_dword v1, v0, s[0:3], 0 offen offset:4
	s_waitcnt vmcnt(7)
	buffer_store_dword v8, v0, s[0:3], 0 offen
.LBB62_498:
	s_or_b64 exec, exec, s[4:5]
	v_pk_mov_b32 v[0:1], s[20:21], s[20:21] op_sel:[0,1]
	flat_load_dword v0, v[0:1] offset:56
	s_waitcnt vmcnt(0) lgkmcnt(0)
	v_add_u32_e32 v0, -1, v0
	v_cmp_ne_u32_e32 vcc, 14, v0
	s_and_saveexec_b64 s[4:5], vcc
	s_cbranch_execz .LBB62_500
; %bb.499:
	v_mov_b32_e32 v1, 16
	v_accvgpr_read_b32 v9, a174
	v_lshl_add_u32 v0, v0, 4, v1
	buffer_load_dword v1, v9, s[0:3], 0 offen offset:4
	buffer_load_dword v2, v9, s[0:3], 0 offen offset:8
	buffer_load_dword v3, v9, s[0:3], 0 offen offset:12
	buffer_load_dword v4, v0, s[0:3], 0 offen
	buffer_load_dword v5, v0, s[0:3], 0 offen offset:4
	buffer_load_dword v6, v0, s[0:3], 0 offen offset:8
	buffer_load_dword v7, v0, s[0:3], 0 offen offset:12
	buffer_load_dword v8, v9, s[0:3], 0 offen
	s_waitcnt vmcnt(4)
	buffer_store_dword v4, v9, s[0:3], 0 offen
	s_waitcnt vmcnt(4)
	buffer_store_dword v5, v9, s[0:3], 0 offen offset:4
	s_waitcnt vmcnt(4)
	buffer_store_dword v6, v9, s[0:3], 0 offen offset:8
	s_waitcnt vmcnt(4)
	buffer_store_dword v7, v9, s[0:3], 0 offen offset:12
	buffer_store_dword v3, v0, s[0:3], 0 offen offset:12
	buffer_store_dword v2, v0, s[0:3], 0 offen offset:8
	buffer_store_dword v1, v0, s[0:3], 0 offen offset:4
	s_waitcnt vmcnt(7)
	buffer_store_dword v8, v0, s[0:3], 0 offen
.LBB62_500:
	s_or_b64 exec, exec, s[4:5]
	v_pk_mov_b32 v[0:1], s[20:21], s[20:21] op_sel:[0,1]
	flat_load_dword v0, v[0:1] offset:52
	s_waitcnt vmcnt(0) lgkmcnt(0)
	v_add_u32_e32 v0, -1, v0
	v_cmp_ne_u32_e32 vcc, 13, v0
	s_and_saveexec_b64 s[4:5], vcc
	s_cbranch_execz .LBB62_502
; %bb.501:
	v_mov_b32_e32 v1, 16
	v_accvgpr_read_b32 v9, a175
	v_lshl_add_u32 v0, v0, 4, v1
	buffer_load_dword v1, v9, s[0:3], 0 offen offset:4
	buffer_load_dword v2, v9, s[0:3], 0 offen offset:8
	buffer_load_dword v3, v9, s[0:3], 0 offen offset:12
	buffer_load_dword v4, v0, s[0:3], 0 offen
	buffer_load_dword v5, v0, s[0:3], 0 offen offset:4
	buffer_load_dword v6, v0, s[0:3], 0 offen offset:8
	buffer_load_dword v7, v0, s[0:3], 0 offen offset:12
	buffer_load_dword v8, v9, s[0:3], 0 offen
	s_waitcnt vmcnt(4)
	buffer_store_dword v4, v9, s[0:3], 0 offen
	s_waitcnt vmcnt(4)
	buffer_store_dword v5, v9, s[0:3], 0 offen offset:4
	s_waitcnt vmcnt(4)
	buffer_store_dword v6, v9, s[0:3], 0 offen offset:8
	s_waitcnt vmcnt(4)
	buffer_store_dword v7, v9, s[0:3], 0 offen offset:12
	buffer_store_dword v3, v0, s[0:3], 0 offen offset:12
	buffer_store_dword v2, v0, s[0:3], 0 offen offset:8
	buffer_store_dword v1, v0, s[0:3], 0 offen offset:4
	s_waitcnt vmcnt(7)
	buffer_store_dword v8, v0, s[0:3], 0 offen
.LBB62_502:
	s_or_b64 exec, exec, s[4:5]
	v_pk_mov_b32 v[0:1], s[20:21], s[20:21] op_sel:[0,1]
	flat_load_dword v0, v[0:1] offset:48
	s_waitcnt vmcnt(0) lgkmcnt(0)
	v_add_u32_e32 v0, -1, v0
	v_cmp_ne_u32_e32 vcc, 12, v0
	s_and_saveexec_b64 s[4:5], vcc
	s_cbranch_execz .LBB62_504
; %bb.503:
	v_mov_b32_e32 v1, 16
	v_accvgpr_read_b32 v9, a176
	v_lshl_add_u32 v0, v0, 4, v1
	buffer_load_dword v1, v9, s[0:3], 0 offen offset:4
	buffer_load_dword v2, v9, s[0:3], 0 offen offset:8
	buffer_load_dword v3, v9, s[0:3], 0 offen offset:12
	buffer_load_dword v4, v0, s[0:3], 0 offen
	buffer_load_dword v5, v0, s[0:3], 0 offen offset:4
	buffer_load_dword v6, v0, s[0:3], 0 offen offset:8
	buffer_load_dword v7, v0, s[0:3], 0 offen offset:12
	buffer_load_dword v8, v9, s[0:3], 0 offen
	s_waitcnt vmcnt(4)
	buffer_store_dword v4, v9, s[0:3], 0 offen
	s_waitcnt vmcnt(4)
	buffer_store_dword v5, v9, s[0:3], 0 offen offset:4
	s_waitcnt vmcnt(4)
	buffer_store_dword v6, v9, s[0:3], 0 offen offset:8
	s_waitcnt vmcnt(4)
	buffer_store_dword v7, v9, s[0:3], 0 offen offset:12
	buffer_store_dword v3, v0, s[0:3], 0 offen offset:12
	buffer_store_dword v2, v0, s[0:3], 0 offen offset:8
	buffer_store_dword v1, v0, s[0:3], 0 offen offset:4
	s_waitcnt vmcnt(7)
	buffer_store_dword v8, v0, s[0:3], 0 offen
.LBB62_504:
	s_or_b64 exec, exec, s[4:5]
	v_pk_mov_b32 v[0:1], s[20:21], s[20:21] op_sel:[0,1]
	flat_load_dword v0, v[0:1] offset:44
	s_waitcnt vmcnt(0) lgkmcnt(0)
	v_add_u32_e32 v0, -1, v0
	v_cmp_ne_u32_e32 vcc, 11, v0
	s_and_saveexec_b64 s[4:5], vcc
	s_cbranch_execz .LBB62_506
; %bb.505:
	v_mov_b32_e32 v1, 16
	v_accvgpr_read_b32 v9, a177
	v_lshl_add_u32 v0, v0, 4, v1
	buffer_load_dword v1, v9, s[0:3], 0 offen offset:4
	buffer_load_dword v2, v9, s[0:3], 0 offen offset:8
	buffer_load_dword v3, v9, s[0:3], 0 offen offset:12
	buffer_load_dword v4, v0, s[0:3], 0 offen
	buffer_load_dword v5, v0, s[0:3], 0 offen offset:4
	buffer_load_dword v6, v0, s[0:3], 0 offen offset:8
	buffer_load_dword v7, v0, s[0:3], 0 offen offset:12
	buffer_load_dword v8, v9, s[0:3], 0 offen
	s_waitcnt vmcnt(4)
	buffer_store_dword v4, v9, s[0:3], 0 offen
	s_waitcnt vmcnt(4)
	buffer_store_dword v5, v9, s[0:3], 0 offen offset:4
	s_waitcnt vmcnt(4)
	buffer_store_dword v6, v9, s[0:3], 0 offen offset:8
	s_waitcnt vmcnt(4)
	buffer_store_dword v7, v9, s[0:3], 0 offen offset:12
	buffer_store_dword v3, v0, s[0:3], 0 offen offset:12
	buffer_store_dword v2, v0, s[0:3], 0 offen offset:8
	buffer_store_dword v1, v0, s[0:3], 0 offen offset:4
	s_waitcnt vmcnt(7)
	buffer_store_dword v8, v0, s[0:3], 0 offen
.LBB62_506:
	s_or_b64 exec, exec, s[4:5]
	v_pk_mov_b32 v[0:1], s[20:21], s[20:21] op_sel:[0,1]
	flat_load_dword v0, v[0:1] offset:40
	s_waitcnt vmcnt(0) lgkmcnt(0)
	v_add_u32_e32 v0, -1, v0
	v_cmp_ne_u32_e32 vcc, 10, v0
	s_and_saveexec_b64 s[4:5], vcc
	s_cbranch_execz .LBB62_508
; %bb.507:
	v_mov_b32_e32 v1, 16
	v_accvgpr_read_b32 v9, a178
	v_lshl_add_u32 v0, v0, 4, v1
	buffer_load_dword v1, v9, s[0:3], 0 offen offset:4
	buffer_load_dword v2, v9, s[0:3], 0 offen offset:8
	buffer_load_dword v3, v9, s[0:3], 0 offen offset:12
	buffer_load_dword v4, v0, s[0:3], 0 offen
	buffer_load_dword v5, v0, s[0:3], 0 offen offset:4
	buffer_load_dword v6, v0, s[0:3], 0 offen offset:8
	buffer_load_dword v7, v0, s[0:3], 0 offen offset:12
	buffer_load_dword v8, v9, s[0:3], 0 offen
	s_waitcnt vmcnt(4)
	buffer_store_dword v4, v9, s[0:3], 0 offen
	s_waitcnt vmcnt(4)
	buffer_store_dword v5, v9, s[0:3], 0 offen offset:4
	s_waitcnt vmcnt(4)
	buffer_store_dword v6, v9, s[0:3], 0 offen offset:8
	s_waitcnt vmcnt(4)
	buffer_store_dword v7, v9, s[0:3], 0 offen offset:12
	buffer_store_dword v3, v0, s[0:3], 0 offen offset:12
	buffer_store_dword v2, v0, s[0:3], 0 offen offset:8
	buffer_store_dword v1, v0, s[0:3], 0 offen offset:4
	s_waitcnt vmcnt(7)
	buffer_store_dword v8, v0, s[0:3], 0 offen
.LBB62_508:
	s_or_b64 exec, exec, s[4:5]
	v_pk_mov_b32 v[0:1], s[20:21], s[20:21] op_sel:[0,1]
	flat_load_dword v0, v[0:1] offset:36
	s_waitcnt vmcnt(0) lgkmcnt(0)
	v_add_u32_e32 v0, -1, v0
	v_cmp_ne_u32_e32 vcc, 9, v0
	s_and_saveexec_b64 s[4:5], vcc
	s_cbranch_execz .LBB62_510
; %bb.509:
	v_mov_b32_e32 v1, 16
	v_accvgpr_read_b32 v9, a179
	v_lshl_add_u32 v0, v0, 4, v1
	buffer_load_dword v1, v9, s[0:3], 0 offen offset:4
	buffer_load_dword v2, v9, s[0:3], 0 offen offset:8
	buffer_load_dword v3, v9, s[0:3], 0 offen offset:12
	buffer_load_dword v4, v0, s[0:3], 0 offen
	buffer_load_dword v5, v0, s[0:3], 0 offen offset:4
	buffer_load_dword v6, v0, s[0:3], 0 offen offset:8
	buffer_load_dword v7, v0, s[0:3], 0 offen offset:12
	buffer_load_dword v8, v9, s[0:3], 0 offen
	s_waitcnt vmcnt(4)
	buffer_store_dword v4, v9, s[0:3], 0 offen
	s_waitcnt vmcnt(4)
	buffer_store_dword v5, v9, s[0:3], 0 offen offset:4
	s_waitcnt vmcnt(4)
	buffer_store_dword v6, v9, s[0:3], 0 offen offset:8
	s_waitcnt vmcnt(4)
	buffer_store_dword v7, v9, s[0:3], 0 offen offset:12
	buffer_store_dword v3, v0, s[0:3], 0 offen offset:12
	buffer_store_dword v2, v0, s[0:3], 0 offen offset:8
	buffer_store_dword v1, v0, s[0:3], 0 offen offset:4
	s_waitcnt vmcnt(7)
	buffer_store_dword v8, v0, s[0:3], 0 offen
.LBB62_510:
	s_or_b64 exec, exec, s[4:5]
	v_pk_mov_b32 v[0:1], s[20:21], s[20:21] op_sel:[0,1]
	flat_load_dword v0, v[0:1] offset:32
	s_waitcnt vmcnt(0) lgkmcnt(0)
	v_add_u32_e32 v0, -1, v0
	v_cmp_ne_u32_e32 vcc, 8, v0
	s_and_saveexec_b64 s[4:5], vcc
	s_cbranch_execz .LBB62_512
; %bb.511:
	v_mov_b32_e32 v1, 16
	v_accvgpr_read_b32 v9, a180
	v_lshl_add_u32 v0, v0, 4, v1
	buffer_load_dword v1, v9, s[0:3], 0 offen offset:4
	buffer_load_dword v2, v9, s[0:3], 0 offen offset:8
	buffer_load_dword v3, v9, s[0:3], 0 offen offset:12
	buffer_load_dword v4, v0, s[0:3], 0 offen
	buffer_load_dword v5, v0, s[0:3], 0 offen offset:4
	buffer_load_dword v6, v0, s[0:3], 0 offen offset:8
	buffer_load_dword v7, v0, s[0:3], 0 offen offset:12
	buffer_load_dword v8, v9, s[0:3], 0 offen
	s_waitcnt vmcnt(4)
	buffer_store_dword v4, v9, s[0:3], 0 offen
	s_waitcnt vmcnt(4)
	buffer_store_dword v5, v9, s[0:3], 0 offen offset:4
	s_waitcnt vmcnt(4)
	buffer_store_dword v6, v9, s[0:3], 0 offen offset:8
	s_waitcnt vmcnt(4)
	buffer_store_dword v7, v9, s[0:3], 0 offen offset:12
	buffer_store_dword v3, v0, s[0:3], 0 offen offset:12
	buffer_store_dword v2, v0, s[0:3], 0 offen offset:8
	buffer_store_dword v1, v0, s[0:3], 0 offen offset:4
	s_waitcnt vmcnt(7)
	buffer_store_dword v8, v0, s[0:3], 0 offen
.LBB62_512:
	s_or_b64 exec, exec, s[4:5]
	v_pk_mov_b32 v[0:1], s[20:21], s[20:21] op_sel:[0,1]
	flat_load_dword v0, v[0:1] offset:28
	s_waitcnt vmcnt(0) lgkmcnt(0)
	v_add_u32_e32 v0, -1, v0
	v_cmp_ne_u32_e32 vcc, 7, v0
	s_and_saveexec_b64 s[4:5], vcc
	s_cbranch_execz .LBB62_514
; %bb.513:
	v_mov_b32_e32 v1, 16
	v_accvgpr_read_b32 v9, a181
	v_lshl_add_u32 v0, v0, 4, v1
	buffer_load_dword v1, v9, s[0:3], 0 offen offset:4
	buffer_load_dword v2, v9, s[0:3], 0 offen offset:8
	buffer_load_dword v3, v9, s[0:3], 0 offen offset:12
	buffer_load_dword v4, v0, s[0:3], 0 offen
	buffer_load_dword v5, v0, s[0:3], 0 offen offset:4
	buffer_load_dword v6, v0, s[0:3], 0 offen offset:8
	buffer_load_dword v7, v0, s[0:3], 0 offen offset:12
	buffer_load_dword v8, v9, s[0:3], 0 offen
	s_waitcnt vmcnt(4)
	buffer_store_dword v4, v9, s[0:3], 0 offen
	s_waitcnt vmcnt(4)
	buffer_store_dword v5, v9, s[0:3], 0 offen offset:4
	s_waitcnt vmcnt(4)
	buffer_store_dword v6, v9, s[0:3], 0 offen offset:8
	s_waitcnt vmcnt(4)
	buffer_store_dword v7, v9, s[0:3], 0 offen offset:12
	buffer_store_dword v3, v0, s[0:3], 0 offen offset:12
	buffer_store_dword v2, v0, s[0:3], 0 offen offset:8
	buffer_store_dword v1, v0, s[0:3], 0 offen offset:4
	s_waitcnt vmcnt(7)
	buffer_store_dword v8, v0, s[0:3], 0 offen
.LBB62_514:
	s_or_b64 exec, exec, s[4:5]
	v_pk_mov_b32 v[0:1], s[20:21], s[20:21] op_sel:[0,1]
	flat_load_dword v0, v[0:1] offset:24
	s_waitcnt vmcnt(0) lgkmcnt(0)
	v_add_u32_e32 v0, -1, v0
	v_cmp_ne_u32_e32 vcc, 6, v0
	s_and_saveexec_b64 s[4:5], vcc
	s_cbranch_execz .LBB62_516
; %bb.515:
	v_mov_b32_e32 v1, 16
	v_accvgpr_read_b32 v9, a182
	v_lshl_add_u32 v0, v0, 4, v1
	buffer_load_dword v1, v9, s[0:3], 0 offen offset:4
	buffer_load_dword v2, v9, s[0:3], 0 offen offset:8
	buffer_load_dword v3, v9, s[0:3], 0 offen offset:12
	buffer_load_dword v4, v0, s[0:3], 0 offen
	buffer_load_dword v5, v0, s[0:3], 0 offen offset:4
	buffer_load_dword v6, v0, s[0:3], 0 offen offset:8
	buffer_load_dword v7, v0, s[0:3], 0 offen offset:12
	buffer_load_dword v8, v9, s[0:3], 0 offen
	s_waitcnt vmcnt(4)
	buffer_store_dword v4, v9, s[0:3], 0 offen
	s_waitcnt vmcnt(4)
	buffer_store_dword v5, v9, s[0:3], 0 offen offset:4
	s_waitcnt vmcnt(4)
	buffer_store_dword v6, v9, s[0:3], 0 offen offset:8
	s_waitcnt vmcnt(4)
	buffer_store_dword v7, v9, s[0:3], 0 offen offset:12
	buffer_store_dword v3, v0, s[0:3], 0 offen offset:12
	buffer_store_dword v2, v0, s[0:3], 0 offen offset:8
	buffer_store_dword v1, v0, s[0:3], 0 offen offset:4
	s_waitcnt vmcnt(7)
	buffer_store_dword v8, v0, s[0:3], 0 offen
.LBB62_516:
	s_or_b64 exec, exec, s[4:5]
	v_pk_mov_b32 v[0:1], s[20:21], s[20:21] op_sel:[0,1]
	flat_load_dword v0, v[0:1] offset:20
	s_waitcnt vmcnt(0) lgkmcnt(0)
	v_add_u32_e32 v0, -1, v0
	v_cmp_ne_u32_e32 vcc, 5, v0
	s_and_saveexec_b64 s[4:5], vcc
	s_cbranch_execz .LBB62_518
; %bb.517:
	v_mov_b32_e32 v1, 16
	v_accvgpr_read_b32 v9, a183
	v_lshl_add_u32 v0, v0, 4, v1
	buffer_load_dword v1, v9, s[0:3], 0 offen offset:4
	buffer_load_dword v2, v9, s[0:3], 0 offen offset:8
	buffer_load_dword v3, v9, s[0:3], 0 offen offset:12
	buffer_load_dword v4, v0, s[0:3], 0 offen
	buffer_load_dword v5, v0, s[0:3], 0 offen offset:4
	buffer_load_dword v6, v0, s[0:3], 0 offen offset:8
	buffer_load_dword v7, v0, s[0:3], 0 offen offset:12
	buffer_load_dword v8, v9, s[0:3], 0 offen
	s_waitcnt vmcnt(4)
	buffer_store_dword v4, v9, s[0:3], 0 offen
	s_waitcnt vmcnt(4)
	buffer_store_dword v5, v9, s[0:3], 0 offen offset:4
	s_waitcnt vmcnt(4)
	buffer_store_dword v6, v9, s[0:3], 0 offen offset:8
	s_waitcnt vmcnt(4)
	buffer_store_dword v7, v9, s[0:3], 0 offen offset:12
	buffer_store_dword v3, v0, s[0:3], 0 offen offset:12
	buffer_store_dword v2, v0, s[0:3], 0 offen offset:8
	buffer_store_dword v1, v0, s[0:3], 0 offen offset:4
	s_waitcnt vmcnt(7)
	buffer_store_dword v8, v0, s[0:3], 0 offen
.LBB62_518:
	s_or_b64 exec, exec, s[4:5]
	v_pk_mov_b32 v[0:1], s[20:21], s[20:21] op_sel:[0,1]
	flat_load_dword v0, v[0:1] offset:16
	s_waitcnt vmcnt(0) lgkmcnt(0)
	v_add_u32_e32 v0, -1, v0
	v_cmp_ne_u32_e32 vcc, 4, v0
	s_and_saveexec_b64 s[4:5], vcc
	s_cbranch_execz .LBB62_520
; %bb.519:
	v_mov_b32_e32 v1, 16
	v_accvgpr_read_b32 v9, a184
	v_lshl_add_u32 v0, v0, 4, v1
	buffer_load_dword v1, v9, s[0:3], 0 offen offset:4
	buffer_load_dword v2, v9, s[0:3], 0 offen offset:8
	buffer_load_dword v3, v9, s[0:3], 0 offen offset:12
	buffer_load_dword v4, v0, s[0:3], 0 offen
	buffer_load_dword v5, v0, s[0:3], 0 offen offset:4
	buffer_load_dword v6, v0, s[0:3], 0 offen offset:8
	buffer_load_dword v7, v0, s[0:3], 0 offen offset:12
	buffer_load_dword v8, v9, s[0:3], 0 offen
	s_waitcnt vmcnt(4)
	buffer_store_dword v4, v9, s[0:3], 0 offen
	s_waitcnt vmcnt(4)
	buffer_store_dword v5, v9, s[0:3], 0 offen offset:4
	s_waitcnt vmcnt(4)
	buffer_store_dword v6, v9, s[0:3], 0 offen offset:8
	s_waitcnt vmcnt(4)
	buffer_store_dword v7, v9, s[0:3], 0 offen offset:12
	buffer_store_dword v3, v0, s[0:3], 0 offen offset:12
	buffer_store_dword v2, v0, s[0:3], 0 offen offset:8
	buffer_store_dword v1, v0, s[0:3], 0 offen offset:4
	s_waitcnt vmcnt(7)
	buffer_store_dword v8, v0, s[0:3], 0 offen
.LBB62_520:
	s_or_b64 exec, exec, s[4:5]
	v_pk_mov_b32 v[0:1], s[20:21], s[20:21] op_sel:[0,1]
	flat_load_dword v0, v[0:1] offset:12
	s_waitcnt vmcnt(0) lgkmcnt(0)
	v_add_u32_e32 v0, -1, v0
	v_cmp_ne_u32_e32 vcc, 3, v0
	s_and_saveexec_b64 s[4:5], vcc
	s_cbranch_execz .LBB62_522
; %bb.521:
	v_mov_b32_e32 v1, 16
	v_accvgpr_read_b32 v9, a185
	v_lshl_add_u32 v0, v0, 4, v1
	buffer_load_dword v1, v9, s[0:3], 0 offen offset:4
	buffer_load_dword v2, v9, s[0:3], 0 offen offset:8
	buffer_load_dword v3, v9, s[0:3], 0 offen offset:12
	buffer_load_dword v4, v0, s[0:3], 0 offen
	buffer_load_dword v5, v0, s[0:3], 0 offen offset:4
	buffer_load_dword v6, v0, s[0:3], 0 offen offset:8
	buffer_load_dword v7, v0, s[0:3], 0 offen offset:12
	buffer_load_dword v8, v9, s[0:3], 0 offen
	s_waitcnt vmcnt(4)
	buffer_store_dword v4, v9, s[0:3], 0 offen
	s_waitcnt vmcnt(4)
	buffer_store_dword v5, v9, s[0:3], 0 offen offset:4
	s_waitcnt vmcnt(4)
	buffer_store_dword v6, v9, s[0:3], 0 offen offset:8
	s_waitcnt vmcnt(4)
	buffer_store_dword v7, v9, s[0:3], 0 offen offset:12
	buffer_store_dword v3, v0, s[0:3], 0 offen offset:12
	buffer_store_dword v2, v0, s[0:3], 0 offen offset:8
	buffer_store_dword v1, v0, s[0:3], 0 offen offset:4
	s_waitcnt vmcnt(7)
	buffer_store_dword v8, v0, s[0:3], 0 offen
.LBB62_522:
	s_or_b64 exec, exec, s[4:5]
	v_pk_mov_b32 v[0:1], s[20:21], s[20:21] op_sel:[0,1]
	flat_load_dword v0, v[0:1] offset:8
	s_waitcnt vmcnt(0) lgkmcnt(0)
	v_add_u32_e32 v0, -1, v0
	v_cmp_ne_u32_e32 vcc, 2, v0
	s_and_saveexec_b64 s[4:5], vcc
	s_cbranch_execz .LBB62_524
; %bb.523:
	v_mov_b32_e32 v1, 16
	v_accvgpr_read_b32 v9, a186
	v_lshl_add_u32 v0, v0, 4, v1
	buffer_load_dword v1, v9, s[0:3], 0 offen offset:4
	buffer_load_dword v2, v9, s[0:3], 0 offen offset:8
	buffer_load_dword v3, v9, s[0:3], 0 offen offset:12
	buffer_load_dword v4, v0, s[0:3], 0 offen
	buffer_load_dword v5, v0, s[0:3], 0 offen offset:4
	buffer_load_dword v6, v0, s[0:3], 0 offen offset:8
	buffer_load_dword v7, v0, s[0:3], 0 offen offset:12
	buffer_load_dword v8, v9, s[0:3], 0 offen
	s_waitcnt vmcnt(4)
	buffer_store_dword v4, v9, s[0:3], 0 offen
	s_waitcnt vmcnt(4)
	buffer_store_dword v5, v9, s[0:3], 0 offen offset:4
	s_waitcnt vmcnt(4)
	buffer_store_dword v6, v9, s[0:3], 0 offen offset:8
	s_waitcnt vmcnt(4)
	buffer_store_dword v7, v9, s[0:3], 0 offen offset:12
	buffer_store_dword v3, v0, s[0:3], 0 offen offset:12
	buffer_store_dword v2, v0, s[0:3], 0 offen offset:8
	buffer_store_dword v1, v0, s[0:3], 0 offen offset:4
	s_waitcnt vmcnt(7)
	buffer_store_dword v8, v0, s[0:3], 0 offen
.LBB62_524:
	s_or_b64 exec, exec, s[4:5]
	v_pk_mov_b32 v[0:1], s[20:21], s[20:21] op_sel:[0,1]
	flat_load_dword v0, v[0:1] offset:4
	s_waitcnt vmcnt(0) lgkmcnt(0)
	v_add_u32_e32 v0, -1, v0
	v_cmp_ne_u32_e32 vcc, 1, v0
	s_and_saveexec_b64 s[4:5], vcc
	s_cbranch_execz .LBB62_526
; %bb.525:
	v_mov_b32_e32 v1, 16
	v_accvgpr_read_b32 v9, a187
	v_lshl_add_u32 v0, v0, 4, v1
	buffer_load_dword v1, v9, s[0:3], 0 offen offset:4
	buffer_load_dword v2, v9, s[0:3], 0 offen offset:8
	buffer_load_dword v3, v9, s[0:3], 0 offen offset:12
	buffer_load_dword v4, v0, s[0:3], 0 offen
	buffer_load_dword v5, v0, s[0:3], 0 offen offset:4
	buffer_load_dword v6, v0, s[0:3], 0 offen offset:8
	buffer_load_dword v7, v0, s[0:3], 0 offen offset:12
	buffer_load_dword v8, v9, s[0:3], 0 offen
	s_waitcnt vmcnt(4)
	buffer_store_dword v4, v9, s[0:3], 0 offen
	s_waitcnt vmcnt(4)
	buffer_store_dword v5, v9, s[0:3], 0 offen offset:4
	s_waitcnt vmcnt(4)
	buffer_store_dword v6, v9, s[0:3], 0 offen offset:8
	s_waitcnt vmcnt(4)
	buffer_store_dword v7, v9, s[0:3], 0 offen offset:12
	buffer_store_dword v3, v0, s[0:3], 0 offen offset:12
	buffer_store_dword v2, v0, s[0:3], 0 offen offset:8
	buffer_store_dword v1, v0, s[0:3], 0 offen offset:4
	s_waitcnt vmcnt(7)
	buffer_store_dword v8, v0, s[0:3], 0 offen
.LBB62_526:
	s_or_b64 exec, exec, s[4:5]
	v_pk_mov_b32 v[0:1], s[20:21], s[20:21] op_sel:[0,1]
	flat_load_dword v0, v[0:1]
	s_waitcnt vmcnt(0) lgkmcnt(0)
	v_add_u32_e32 v0, -1, v0
	v_cmp_ne_u32_e32 vcc, 0, v0
	s_and_saveexec_b64 s[4:5], vcc
	s_cbranch_execz .LBB62_528
; %bb.527:
	v_mov_b32_e32 v1, 16
	v_lshl_add_u32 v0, v0, 4, v1
	buffer_load_dword v1, v0, s[0:3], 0 offen
	buffer_load_dword v2, v0, s[0:3], 0 offen offset:4
	buffer_load_dword v3, v0, s[0:3], 0 offen offset:8
	;; [unrolled: 1-line block ×3, first 2 shown]
	buffer_load_dword v5, off, s[0:3], 0 offset:28
	buffer_load_dword v6, off, s[0:3], 0 offset:24
	;; [unrolled: 1-line block ×4, first 2 shown]
	s_waitcnt vmcnt(7)
	buffer_store_dword v1, off, s[0:3], 0 offset:16
	s_waitcnt vmcnt(7)
	buffer_store_dword v2, off, s[0:3], 0 offset:20
	;; [unrolled: 2-line block ×4, first 2 shown]
	s_waitcnt vmcnt(7)
	buffer_store_dword v5, v0, s[0:3], 0 offen offset:12
	s_waitcnt vmcnt(7)
	buffer_store_dword v6, v0, s[0:3], 0 offen offset:8
	;; [unrolled: 2-line block ×3, first 2 shown]
	s_waitcnt vmcnt(7)
	buffer_store_dword v8, v0, s[0:3], 0 offen
.LBB62_528:
	s_or_b64 exec, exec, s[4:5]
.LBB62_529:
	buffer_load_dword v0, off, s[0:3], 0 offset:16
	buffer_load_dword v1, off, s[0:3], 0 offset:20
	;; [unrolled: 1-line block ×4, first 2 shown]
	v_accvgpr_read_b32 v5, a1
	v_accvgpr_read_b32 v4, a0
	s_waitcnt vmcnt(0)
	global_store_dwordx4 v[4:5], v[0:3], off
	s_nop 0
	v_accvgpr_read_b32 v3, a187
	buffer_load_dword v0, v3, s[0:3], 0 offen
	buffer_load_dword v1, v3, s[0:3], 0 offen offset:4
	buffer_load_dword v2, v3, s[0:3], 0 offen offset:8
	s_nop 0
	buffer_load_dword v3, v3, s[0:3], 0 offen offset:12
	v_accvgpr_read_b32 v5, a3
	v_accvgpr_read_b32 v4, a2
	s_waitcnt vmcnt(0)
	global_store_dwordx4 v[4:5], v[0:3], off
	s_nop 0
	v_accvgpr_read_b32 v3, a186
	buffer_load_dword v0, v3, s[0:3], 0 offen
	buffer_load_dword v1, v3, s[0:3], 0 offen offset:4
	buffer_load_dword v2, v3, s[0:3], 0 offen offset:8
	s_nop 0
	buffer_load_dword v3, v3, s[0:3], 0 offen offset:12
	;; [unrolled: 11-line block ×21, first 2 shown]
	v_accvgpr_read_b32 v4, a42
	v_accvgpr_read_b32 v5, a43
	s_waitcnt vmcnt(0)
	global_store_dwordx4 v[4:5], v[0:3], off
	v_accvgpr_read_b32 v4, a166
	buffer_load_dword v0, v4, s[0:3], 0 offen
	buffer_load_dword v1, v4, s[0:3], 0 offen offset:4
	buffer_load_dword v2, v4, s[0:3], 0 offen offset:8
	buffer_load_dword v3, v4, s[0:3], 0 offen offset:12
	v_accvgpr_read_b32 v4, a44
	v_accvgpr_read_b32 v5, a45
	s_waitcnt vmcnt(0)
	global_store_dwordx4 v[4:5], v[0:3], off
	v_accvgpr_read_b32 v4, a165
	buffer_load_dword v0, v4, s[0:3], 0 offen
	buffer_load_dword v1, v4, s[0:3], 0 offen offset:4
	buffer_load_dword v2, v4, s[0:3], 0 offen offset:8
	buffer_load_dword v3, v4, s[0:3], 0 offen offset:12
	v_accvgpr_read_b32 v4, a46
	v_accvgpr_read_b32 v5, a47
	s_waitcnt vmcnt(0)
	global_store_dwordx4 v[4:5], v[0:3], off
	v_accvgpr_read_b32 v4, a164
	buffer_load_dword v0, v4, s[0:3], 0 offen
	buffer_load_dword v1, v4, s[0:3], 0 offen offset:4
	buffer_load_dword v2, v4, s[0:3], 0 offen offset:8
	buffer_load_dword v3, v4, s[0:3], 0 offen offset:12
	v_accvgpr_read_b32 v4, a48
	v_accvgpr_read_b32 v5, a49
	s_waitcnt vmcnt(0)
	global_store_dwordx4 v[4:5], v[0:3], off
	v_accvgpr_read_b32 v4, a163
	buffer_load_dword v0, v4, s[0:3], 0 offen
	buffer_load_dword v1, v4, s[0:3], 0 offen offset:4
	buffer_load_dword v2, v4, s[0:3], 0 offen offset:8
	buffer_load_dword v3, v4, s[0:3], 0 offen offset:12
	v_accvgpr_read_b32 v4, a50
	v_accvgpr_read_b32 v5, a51
	s_waitcnt vmcnt(0)
	global_store_dwordx4 v[4:5], v[0:3], off
	v_accvgpr_read_b32 v4, a162
	buffer_load_dword v0, v4, s[0:3], 0 offen
	buffer_load_dword v1, v4, s[0:3], 0 offen offset:4
	buffer_load_dword v2, v4, s[0:3], 0 offen offset:8
	buffer_load_dword v3, v4, s[0:3], 0 offen offset:12
	v_accvgpr_read_b32 v4, a52
	v_accvgpr_read_b32 v5, a53
	s_waitcnt vmcnt(0)
	global_store_dwordx4 v[4:5], v[0:3], off
	v_accvgpr_read_b32 v4, a161
	buffer_load_dword v0, v4, s[0:3], 0 offen
	buffer_load_dword v1, v4, s[0:3], 0 offen offset:4
	buffer_load_dword v2, v4, s[0:3], 0 offen offset:8
	buffer_load_dword v3, v4, s[0:3], 0 offen offset:12
	v_accvgpr_read_b32 v4, a54
	v_accvgpr_read_b32 v5, a55
	s_waitcnt vmcnt(0)
	global_store_dwordx4 v[4:5], v[0:3], off
	v_accvgpr_read_b32 v4, a160
	buffer_load_dword v0, v4, s[0:3], 0 offen
	buffer_load_dword v1, v4, s[0:3], 0 offen offset:4
	buffer_load_dword v2, v4, s[0:3], 0 offen offset:8
	buffer_load_dword v3, v4, s[0:3], 0 offen offset:12
	v_accvgpr_read_b32 v4, a56
	v_accvgpr_read_b32 v5, a57
	s_waitcnt vmcnt(0)
	global_store_dwordx4 v[4:5], v[0:3], off
	v_accvgpr_read_b32 v4, a159
	buffer_load_dword v0, v4, s[0:3], 0 offen
	buffer_load_dword v1, v4, s[0:3], 0 offen offset:4
	buffer_load_dword v2, v4, s[0:3], 0 offen offset:8
	buffer_load_dword v3, v4, s[0:3], 0 offen offset:12
	v_accvgpr_read_b32 v4, a58
	v_accvgpr_read_b32 v5, a59
	s_waitcnt vmcnt(0)
	global_store_dwordx4 v[4:5], v[0:3], off
	v_accvgpr_read_b32 v4, a158
	buffer_load_dword v0, v4, s[0:3], 0 offen
	buffer_load_dword v1, v4, s[0:3], 0 offen offset:4
	buffer_load_dword v2, v4, s[0:3], 0 offen offset:8
	buffer_load_dword v3, v4, s[0:3], 0 offen offset:12
	v_accvgpr_read_b32 v4, a60
	v_accvgpr_read_b32 v5, a61
	s_waitcnt vmcnt(0)
	global_store_dwordx4 v[4:5], v[0:3], off
	v_accvgpr_read_b32 v4, a157
	buffer_load_dword v0, v4, s[0:3], 0 offen
	buffer_load_dword v1, v4, s[0:3], 0 offen offset:4
	buffer_load_dword v2, v4, s[0:3], 0 offen offset:8
	buffer_load_dword v3, v4, s[0:3], 0 offen offset:12
	v_accvgpr_read_b32 v4, a62
	v_accvgpr_read_b32 v5, a63
	s_waitcnt vmcnt(0)
	global_store_dwordx4 v[4:5], v[0:3], off
	v_accvgpr_read_b32 v4, a156
	buffer_load_dword v0, v4, s[0:3], 0 offen
	buffer_load_dword v1, v4, s[0:3], 0 offen offset:4
	buffer_load_dword v2, v4, s[0:3], 0 offen offset:8
	buffer_load_dword v3, v4, s[0:3], 0 offen offset:12
	v_accvgpr_read_b32 v4, a64
	v_accvgpr_read_b32 v5, a65
	s_waitcnt vmcnt(0)
	global_store_dwordx4 v[4:5], v[0:3], off
	v_accvgpr_read_b32 v4, a155
	buffer_load_dword v0, v4, s[0:3], 0 offen
	buffer_load_dword v1, v4, s[0:3], 0 offen offset:4
	buffer_load_dword v2, v4, s[0:3], 0 offen offset:8
	buffer_load_dword v3, v4, s[0:3], 0 offen offset:12
	v_accvgpr_read_b32 v4, a66
	v_accvgpr_read_b32 v5, a67
	s_waitcnt vmcnt(0)
	global_store_dwordx4 v[4:5], v[0:3], off
	v_accvgpr_read_b32 v4, a154
	buffer_load_dword v0, v4, s[0:3], 0 offen
	buffer_load_dword v1, v4, s[0:3], 0 offen offset:4
	buffer_load_dword v2, v4, s[0:3], 0 offen offset:8
	buffer_load_dword v3, v4, s[0:3], 0 offen offset:12
	v_accvgpr_read_b32 v4, a68
	v_accvgpr_read_b32 v5, a69
	s_waitcnt vmcnt(0)
	global_store_dwordx4 v[4:5], v[0:3], off
	v_accvgpr_read_b32 v4, a153
	buffer_load_dword v0, v4, s[0:3], 0 offen
	buffer_load_dword v1, v4, s[0:3], 0 offen offset:4
	buffer_load_dword v2, v4, s[0:3], 0 offen offset:8
	buffer_load_dword v3, v4, s[0:3], 0 offen offset:12
	v_accvgpr_read_b32 v4, a70
	v_accvgpr_read_b32 v5, a71
	s_waitcnt vmcnt(0)
	global_store_dwordx4 v[4:5], v[0:3], off
	v_accvgpr_read_b32 v4, a152
	buffer_load_dword v0, v4, s[0:3], 0 offen
	buffer_load_dword v1, v4, s[0:3], 0 offen offset:4
	buffer_load_dword v2, v4, s[0:3], 0 offen offset:8
	buffer_load_dword v3, v4, s[0:3], 0 offen offset:12
	v_accvgpr_read_b32 v4, a72
	v_accvgpr_read_b32 v5, a73
	s_waitcnt vmcnt(0)
	global_store_dwordx4 v[4:5], v[0:3], off
	v_accvgpr_read_b32 v4, a151
	buffer_load_dword v0, v4, s[0:3], 0 offen
	buffer_load_dword v1, v4, s[0:3], 0 offen offset:4
	buffer_load_dword v2, v4, s[0:3], 0 offen offset:8
	buffer_load_dword v3, v4, s[0:3], 0 offen offset:12
	v_accvgpr_read_b32 v4, a74
	v_accvgpr_read_b32 v5, a75
	s_waitcnt vmcnt(0)
	global_store_dwordx4 v[4:5], v[0:3], off
	v_accvgpr_read_b32 v4, a150
	buffer_load_dword v0, v4, s[0:3], 0 offen
	buffer_load_dword v1, v4, s[0:3], 0 offen offset:4
	buffer_load_dword v2, v4, s[0:3], 0 offen offset:8
	buffer_load_dword v3, v4, s[0:3], 0 offen offset:12
	v_accvgpr_read_b32 v4, a76
	v_accvgpr_read_b32 v5, a77
	s_waitcnt vmcnt(0)
	global_store_dwordx4 v[4:5], v[0:3], off
	v_accvgpr_read_b32 v4, a149
	buffer_load_dword v0, v4, s[0:3], 0 offen
	buffer_load_dword v1, v4, s[0:3], 0 offen offset:4
	buffer_load_dword v2, v4, s[0:3], 0 offen offset:8
	buffer_load_dword v3, v4, s[0:3], 0 offen offset:12
	v_accvgpr_read_b32 v4, a78
	v_accvgpr_read_b32 v5, a79
	s_waitcnt vmcnt(0)
	global_store_dwordx4 v[4:5], v[0:3], off
	v_accvgpr_read_b32 v4, a148
	buffer_load_dword v0, v4, s[0:3], 0 offen
	buffer_load_dword v1, v4, s[0:3], 0 offen offset:4
	buffer_load_dword v2, v4, s[0:3], 0 offen offset:8
	buffer_load_dword v3, v4, s[0:3], 0 offen offset:12
	v_accvgpr_read_b32 v4, a80
	v_accvgpr_read_b32 v5, a81
	s_waitcnt vmcnt(0)
	global_store_dwordx4 v[4:5], v[0:3], off
	v_accvgpr_read_b32 v4, a147
	buffer_load_dword v0, v4, s[0:3], 0 offen
	buffer_load_dword v1, v4, s[0:3], 0 offen offset:4
	buffer_load_dword v2, v4, s[0:3], 0 offen offset:8
	buffer_load_dword v3, v4, s[0:3], 0 offen offset:12
	v_accvgpr_read_b32 v4, a82
	v_accvgpr_read_b32 v5, a83
	s_waitcnt vmcnt(0)
	global_store_dwordx4 v[4:5], v[0:3], off
	v_accvgpr_read_b32 v4, a146
	buffer_load_dword v0, v4, s[0:3], 0 offen
	buffer_load_dword v1, v4, s[0:3], 0 offen offset:4
	buffer_load_dword v2, v4, s[0:3], 0 offen offset:8
	buffer_load_dword v3, v4, s[0:3], 0 offen offset:12
	v_accvgpr_read_b32 v4, a86
	v_accvgpr_read_b32 v5, a87
	s_waitcnt vmcnt(0)
	global_store_dwordx4 v[4:5], v[0:3], off
	v_accvgpr_read_b32 v4, a145
	buffer_load_dword v0, v4, s[0:3], 0 offen
	buffer_load_dword v1, v4, s[0:3], 0 offen offset:4
	buffer_load_dword v2, v4, s[0:3], 0 offen offset:8
	buffer_load_dword v3, v4, s[0:3], 0 offen offset:12
	v_accvgpr_read_b32 v4, a88
	v_accvgpr_read_b32 v5, a89
	s_waitcnt vmcnt(0)
	global_store_dwordx4 v[4:5], v[0:3], off
	v_accvgpr_read_b32 v4, a144
	buffer_load_dword v0, v4, s[0:3], 0 offen
	buffer_load_dword v1, v4, s[0:3], 0 offen offset:4
	buffer_load_dword v2, v4, s[0:3], 0 offen offset:8
	buffer_load_dword v3, v4, s[0:3], 0 offen offset:12
	v_accvgpr_read_b32 v4, a90
	v_accvgpr_read_b32 v5, a91
	s_waitcnt vmcnt(0)
	global_store_dwordx4 v[4:5], v[0:3], off
	v_accvgpr_read_b32 v4, a143
	buffer_load_dword v0, v4, s[0:3], 0 offen
	buffer_load_dword v1, v4, s[0:3], 0 offen offset:4
	buffer_load_dword v2, v4, s[0:3], 0 offen offset:8
	buffer_load_dword v3, v4, s[0:3], 0 offen offset:12
	v_accvgpr_read_b32 v4, a92
	v_accvgpr_read_b32 v5, a93
	s_waitcnt vmcnt(0)
	global_store_dwordx4 v[4:5], v[0:3], off
	v_accvgpr_read_b32 v4, a142
	buffer_load_dword v0, v4, s[0:3], 0 offen
	buffer_load_dword v1, v4, s[0:3], 0 offen offset:4
	buffer_load_dword v2, v4, s[0:3], 0 offen offset:8
	buffer_load_dword v3, v4, s[0:3], 0 offen offset:12
	v_accvgpr_read_b32 v4, a94
	v_accvgpr_read_b32 v5, a95
	s_waitcnt vmcnt(0)
	global_store_dwordx4 v[4:5], v[0:3], off
	v_accvgpr_read_b32 v4, a141
	buffer_load_dword v0, v4, s[0:3], 0 offen
	buffer_load_dword v1, v4, s[0:3], 0 offen offset:4
	buffer_load_dword v2, v4, s[0:3], 0 offen offset:8
	buffer_load_dword v3, v4, s[0:3], 0 offen offset:12
	v_accvgpr_read_b32 v4, a96
	v_accvgpr_read_b32 v5, a97
	s_waitcnt vmcnt(0)
	global_store_dwordx4 v[4:5], v[0:3], off
	v_accvgpr_read_b32 v4, a140
	buffer_load_dword v0, v4, s[0:3], 0 offen
	buffer_load_dword v1, v4, s[0:3], 0 offen offset:4
	buffer_load_dword v2, v4, s[0:3], 0 offen offset:8
	buffer_load_dword v3, v4, s[0:3], 0 offen offset:12
	v_accvgpr_read_b32 v4, a98
	v_accvgpr_read_b32 v5, a99
	s_waitcnt vmcnt(0)
	global_store_dwordx4 v[4:5], v[0:3], off
	v_accvgpr_read_b32 v4, a139
	buffer_load_dword v0, v4, s[0:3], 0 offen
	buffer_load_dword v1, v4, s[0:3], 0 offen offset:4
	buffer_load_dword v2, v4, s[0:3], 0 offen offset:8
	buffer_load_dword v3, v4, s[0:3], 0 offen offset:12
	v_accvgpr_read_b32 v4, a100
	v_accvgpr_read_b32 v5, a101
	s_waitcnt vmcnt(0)
	global_store_dwordx4 v[4:5], v[0:3], off
	v_accvgpr_read_b32 v4, a138
	buffer_load_dword v0, v4, s[0:3], 0 offen
	buffer_load_dword v1, v4, s[0:3], 0 offen offset:4
	buffer_load_dword v2, v4, s[0:3], 0 offen offset:8
	buffer_load_dword v3, v4, s[0:3], 0 offen offset:12
	v_accvgpr_read_b32 v4, a102
	v_accvgpr_read_b32 v5, a103
	s_waitcnt vmcnt(0)
	global_store_dwordx4 v[4:5], v[0:3], off
	v_accvgpr_read_b32 v4, a137
	buffer_load_dword v0, v4, s[0:3], 0 offen
	buffer_load_dword v1, v4, s[0:3], 0 offen offset:4
	buffer_load_dword v2, v4, s[0:3], 0 offen offset:8
	buffer_load_dword v3, v4, s[0:3], 0 offen offset:12
	v_accvgpr_read_b32 v4, a104
	v_accvgpr_read_b32 v5, a105
	s_waitcnt vmcnt(0)
	global_store_dwordx4 v[4:5], v[0:3], off
	v_accvgpr_read_b32 v4, a136
	buffer_load_dword v0, v4, s[0:3], 0 offen
	buffer_load_dword v1, v4, s[0:3], 0 offen offset:4
	buffer_load_dword v2, v4, s[0:3], 0 offen offset:8
	buffer_load_dword v3, v4, s[0:3], 0 offen offset:12
	v_accvgpr_read_b32 v4, a106
	v_accvgpr_read_b32 v5, a107
	s_waitcnt vmcnt(0)
	global_store_dwordx4 v[4:5], v[0:3], off
	v_accvgpr_read_b32 v4, a135
	buffer_load_dword v0, v4, s[0:3], 0 offen
	buffer_load_dword v1, v4, s[0:3], 0 offen offset:4
	buffer_load_dword v2, v4, s[0:3], 0 offen offset:8
	buffer_load_dword v3, v4, s[0:3], 0 offen offset:12
	v_accvgpr_read_b32 v4, a108
	v_accvgpr_read_b32 v5, a109
	s_waitcnt vmcnt(0)
	global_store_dwordx4 v[4:5], v[0:3], off
	v_accvgpr_read_b32 v4, a134
	buffer_load_dword v0, v4, s[0:3], 0 offen
	buffer_load_dword v1, v4, s[0:3], 0 offen offset:4
	buffer_load_dword v2, v4, s[0:3], 0 offen offset:8
	buffer_load_dword v3, v4, s[0:3], 0 offen offset:12
	v_accvgpr_read_b32 v4, a110
	v_accvgpr_read_b32 v5, a111
	s_waitcnt vmcnt(0)
	global_store_dwordx4 v[4:5], v[0:3], off
	v_accvgpr_read_b32 v4, a133
	buffer_load_dword v0, v4, s[0:3], 0 offen
	buffer_load_dword v1, v4, s[0:3], 0 offen offset:4
	buffer_load_dword v2, v4, s[0:3], 0 offen offset:8
	buffer_load_dword v3, v4, s[0:3], 0 offen offset:12
	v_accvgpr_read_b32 v4, a112
	v_accvgpr_read_b32 v5, a113
	s_waitcnt vmcnt(0)
	global_store_dwordx4 v[4:5], v[0:3], off
	v_accvgpr_read_b32 v4, a132
	buffer_load_dword v0, v4, s[0:3], 0 offen
	buffer_load_dword v1, v4, s[0:3], 0 offen offset:4
	buffer_load_dword v2, v4, s[0:3], 0 offen offset:8
	buffer_load_dword v3, v4, s[0:3], 0 offen offset:12
	v_accvgpr_read_b32 v4, a114
	v_accvgpr_read_b32 v5, a115
	s_waitcnt vmcnt(0)
	global_store_dwordx4 v[4:5], v[0:3], off
	v_accvgpr_read_b32 v4, a131
	buffer_load_dword v0, v4, s[0:3], 0 offen
	buffer_load_dword v1, v4, s[0:3], 0 offen offset:4
	buffer_load_dword v2, v4, s[0:3], 0 offen offset:8
	buffer_load_dword v3, v4, s[0:3], 0 offen offset:12
	v_accvgpr_read_b32 v4, a116
	v_accvgpr_read_b32 v5, a117
	s_waitcnt vmcnt(0)
	global_store_dwordx4 v[4:5], v[0:3], off
	v_accvgpr_read_b32 v4, a130
	buffer_load_dword v0, v4, s[0:3], 0 offen
	buffer_load_dword v1, v4, s[0:3], 0 offen offset:4
	buffer_load_dword v2, v4, s[0:3], 0 offen offset:8
	buffer_load_dword v3, v4, s[0:3], 0 offen offset:12
	v_accvgpr_read_b32 v4, a118
	v_accvgpr_read_b32 v5, a119
	s_waitcnt vmcnt(0)
	global_store_dwordx4 v[4:5], v[0:3], off
	v_accvgpr_read_b32 v4, a129
	buffer_load_dword v0, v4, s[0:3], 0 offen
	buffer_load_dword v1, v4, s[0:3], 0 offen offset:4
	buffer_load_dword v2, v4, s[0:3], 0 offen offset:8
	buffer_load_dword v3, v4, s[0:3], 0 offen offset:12
	v_accvgpr_read_b32 v4, a120
	v_accvgpr_read_b32 v5, a121
	s_waitcnt vmcnt(0)
	global_store_dwordx4 v[4:5], v[0:3], off
	v_accvgpr_read_b32 v4, a128
	buffer_load_dword v0, v4, s[0:3], 0 offen
	buffer_load_dword v1, v4, s[0:3], 0 offen offset:4
	buffer_load_dword v2, v4, s[0:3], 0 offen offset:8
	buffer_load_dword v3, v4, s[0:3], 0 offen offset:12
	v_accvgpr_read_b32 v4, a122
	v_accvgpr_read_b32 v5, a123
	s_waitcnt vmcnt(0)
	global_store_dwordx4 v[4:5], v[0:3], off
	v_accvgpr_read_b32 v4, a127
	buffer_load_dword v0, v4, s[0:3], 0 offen
	buffer_load_dword v1, v4, s[0:3], 0 offen offset:4
	buffer_load_dword v2, v4, s[0:3], 0 offen offset:8
	buffer_load_dword v3, v4, s[0:3], 0 offen offset:12
	v_accvgpr_read_b32 v4, a124
	v_accvgpr_read_b32 v5, a125
	s_waitcnt vmcnt(0)
	global_store_dwordx4 v[4:5], v[0:3], off
	v_accvgpr_read_b32 v4, a126
	buffer_load_dword v0, v4, s[0:3], 0 offen
	buffer_load_dword v1, v4, s[0:3], 0 offen offset:4
	buffer_load_dword v2, v4, s[0:3], 0 offen offset:8
	buffer_load_dword v3, v4, s[0:3], 0 offen offset:12
	v_accvgpr_read_b32 v4, a84
	v_accvgpr_read_b32 v5, a85
	s_waitcnt vmcnt(0)
	global_store_dwordx4 v[4:5], v[0:3], off
	s_endpgm
	.section	.rodata,"a",@progbits
	.p2align	6, 0x0
	.amdhsa_kernel _ZN9rocsolver6v33100L18getri_kernel_smallILi63E19rocblas_complex_numIdEPS3_EEvT1_iilPiilS6_bb
		.amdhsa_group_segment_fixed_size 2024
		.amdhsa_private_segment_fixed_size 1040
		.amdhsa_kernarg_size 60
		.amdhsa_user_sgpr_count 8
		.amdhsa_user_sgpr_private_segment_buffer 1
		.amdhsa_user_sgpr_dispatch_ptr 0
		.amdhsa_user_sgpr_queue_ptr 0
		.amdhsa_user_sgpr_kernarg_segment_ptr 1
		.amdhsa_user_sgpr_dispatch_id 0
		.amdhsa_user_sgpr_flat_scratch_init 1
		.amdhsa_user_sgpr_kernarg_preload_length 0
		.amdhsa_user_sgpr_kernarg_preload_offset 0
		.amdhsa_user_sgpr_private_segment_size 0
		.amdhsa_uses_dynamic_stack 0
		.amdhsa_system_sgpr_private_segment_wavefront_offset 1
		.amdhsa_system_sgpr_workgroup_id_x 1
		.amdhsa_system_sgpr_workgroup_id_y 0
		.amdhsa_system_sgpr_workgroup_id_z 0
		.amdhsa_system_sgpr_workgroup_info 0
		.amdhsa_system_vgpr_workitem_id 0
		.amdhsa_next_free_vgpr 502
		.amdhsa_next_free_sgpr 30
		.amdhsa_accum_offset 256
		.amdhsa_reserve_vcc 1
		.amdhsa_reserve_flat_scratch 1
		.amdhsa_float_round_mode_32 0
		.amdhsa_float_round_mode_16_64 0
		.amdhsa_float_denorm_mode_32 3
		.amdhsa_float_denorm_mode_16_64 3
		.amdhsa_dx10_clamp 1
		.amdhsa_ieee_mode 1
		.amdhsa_fp16_overflow 0
		.amdhsa_tg_split 0
		.amdhsa_exception_fp_ieee_invalid_op 0
		.amdhsa_exception_fp_denorm_src 0
		.amdhsa_exception_fp_ieee_div_zero 0
		.amdhsa_exception_fp_ieee_overflow 0
		.amdhsa_exception_fp_ieee_underflow 0
		.amdhsa_exception_fp_ieee_inexact 0
		.amdhsa_exception_int_div_zero 0
	.end_amdhsa_kernel
	.section	.text._ZN9rocsolver6v33100L18getri_kernel_smallILi63E19rocblas_complex_numIdEPS3_EEvT1_iilPiilS6_bb,"axG",@progbits,_ZN9rocsolver6v33100L18getri_kernel_smallILi63E19rocblas_complex_numIdEPS3_EEvT1_iilPiilS6_bb,comdat
.Lfunc_end62:
	.size	_ZN9rocsolver6v33100L18getri_kernel_smallILi63E19rocblas_complex_numIdEPS3_EEvT1_iilPiilS6_bb, .Lfunc_end62-_ZN9rocsolver6v33100L18getri_kernel_smallILi63E19rocblas_complex_numIdEPS3_EEvT1_iilPiilS6_bb
                                        ; -- End function
	.section	.AMDGPU.csdata,"",@progbits
; Kernel info:
; codeLenInByte = 246168
; NumSgprs: 36
; NumVgprs: 256
; NumAgprs: 246
; TotalNumVgprs: 502
; ScratchSize: 1040
; MemoryBound: 0
; FloatMode: 240
; IeeeMode: 1
; LDSByteSize: 2024 bytes/workgroup (compile time only)
; SGPRBlocks: 4
; VGPRBlocks: 62
; NumSGPRsForWavesPerEU: 36
; NumVGPRsForWavesPerEU: 502
; AccumOffset: 256
; Occupancy: 1
; WaveLimiterHint : 1
; COMPUTE_PGM_RSRC2:SCRATCH_EN: 1
; COMPUTE_PGM_RSRC2:USER_SGPR: 8
; COMPUTE_PGM_RSRC2:TRAP_HANDLER: 0
; COMPUTE_PGM_RSRC2:TGID_X_EN: 1
; COMPUTE_PGM_RSRC2:TGID_Y_EN: 0
; COMPUTE_PGM_RSRC2:TGID_Z_EN: 0
; COMPUTE_PGM_RSRC2:TIDIG_COMP_CNT: 0
; COMPUTE_PGM_RSRC3_GFX90A:ACCUM_OFFSET: 63
; COMPUTE_PGM_RSRC3_GFX90A:TG_SPLIT: 0
	.section	.text._ZN9rocsolver6v33100L18getri_kernel_smallILi64E19rocblas_complex_numIdEPS3_EEvT1_iilPiilS6_bb,"axG",@progbits,_ZN9rocsolver6v33100L18getri_kernel_smallILi64E19rocblas_complex_numIdEPS3_EEvT1_iilPiilS6_bb,comdat
	.globl	_ZN9rocsolver6v33100L18getri_kernel_smallILi64E19rocblas_complex_numIdEPS3_EEvT1_iilPiilS6_bb ; -- Begin function _ZN9rocsolver6v33100L18getri_kernel_smallILi64E19rocblas_complex_numIdEPS3_EEvT1_iilPiilS6_bb
	.p2align	8
	.type	_ZN9rocsolver6v33100L18getri_kernel_smallILi64E19rocblas_complex_numIdEPS3_EEvT1_iilPiilS6_bb,@function
_ZN9rocsolver6v33100L18getri_kernel_smallILi64E19rocblas_complex_numIdEPS3_EEvT1_iilPiilS6_bb: ; @_ZN9rocsolver6v33100L18getri_kernel_smallILi64E19rocblas_complex_numIdEPS3_EEvT1_iilPiilS6_bb
; %bb.0:
	s_add_u32 flat_scratch_lo, s6, s9
	s_addc_u32 flat_scratch_hi, s7, 0
	s_add_u32 s0, s0, s9
	v_mov_b32_e32 v254, v0
	s_addc_u32 s1, s1, 0
	v_cmp_gt_u32_e32 vcc, 64, v254
	s_and_saveexec_b64 s[6:7], vcc
	s_cbranch_execz .LBB63_282
; %bb.1:
	s_load_dword s10, s[4:5], 0x38
	s_load_dwordx4 s[16:19], s[4:5], 0x10
	s_load_dwordx4 s[12:15], s[4:5], 0x28
                                        ; implicit-def: $sgpr20_sgpr21
	s_waitcnt lgkmcnt(0)
	s_bitcmp1_b32 s10, 8
	s_cselect_b64 s[22:23], -1, 0
	s_ashr_i32 s9, s8, 31
	s_bfe_u32 s6, s10, 0x10008
	s_cmp_eq_u32 s6, 0
	s_cbranch_scc1 .LBB63_3
; %bb.2:
	s_load_dword s6, s[4:5], 0x20
	s_mul_i32 s7, s8, s13
	s_mul_hi_u32 s11, s8, s12
	s_mul_i32 s13, s9, s12
	s_add_i32 s11, s11, s7
	s_add_i32 s13, s11, s13
	s_mul_i32 s12, s8, s12
	s_waitcnt lgkmcnt(0)
	s_ashr_i32 s7, s6, 31
	s_lshl_b64 s[12:13], s[12:13], 2
	s_add_u32 s11, s18, s12
	s_addc_u32 s12, s19, s13
	s_lshl_b64 s[6:7], s[6:7], 2
	s_add_u32 s20, s11, s6
	s_addc_u32 s21, s12, s7
.LBB63_3:
	s_load_dwordx4 s[4:7], s[4:5], 0x0
	s_mul_i32 s11, s8, s17
	s_mul_hi_u32 s12, s8, s16
	s_add_i32 s11, s12, s11
	v_lshlrev_b32_e32 v94, 4, v254
	s_waitcnt lgkmcnt(0)
	s_ashr_i32 s13, s6, 31
	s_mov_b32 s12, s6
	s_mul_i32 s6, s9, s16
	s_add_i32 s17, s11, s6
	s_mul_i32 s16, s8, s16
	s_lshl_b64 s[16:17], s[16:17], 4
	s_add_u32 s6, s4, s16
	s_addc_u32 s11, s5, s17
	s_lshl_b64 s[4:5], s[12:13], 4
	s_add_u32 s4, s6, s4
	s_addc_u32 s5, s11, s5
	global_load_dwordx4 v[6:9], v94, s[4:5]
	v_mov_b32_e32 v4, s5
	v_add_co_u32_e32 v12, vcc, s4, v94
	s_ashr_i32 s13, s7, 31
	s_mov_b32 s12, s7
	v_addc_co_u32_e32 v13, vcc, 0, v4, vcc
	s_lshl_b64 s[12:13], s[12:13], 4
	s_add_i32 s6, s7, s7
	v_mov_b32_e32 v4, s13
	v_add_co_u32_e32 v10, vcc, s12, v12
	v_add_u32_e32 v2, s6, v254
	v_addc_co_u32_e32 v11, vcc, v13, v4, vcc
	v_ashrrev_i32_e32 v3, 31, v2
	global_load_dwordx4 v[96:99], v[10:11], off
	v_lshlrev_b64 v[0:1], 4, v[2:3]
	v_mov_b32_e32 v3, s5
	v_add_co_u32_e32 v0, vcc, s4, v0
	v_accvgpr_write_b32 a73, v13
	v_accvgpr_write_b32 a59, v11
	v_addc_co_u32_e32 v1, vcc, v3, v1, vcc
	v_accvgpr_write_b32 a72, v12
	v_accvgpr_write_b32 a58, v10
	global_load_dwordx4 v[10:13], v[0:1], off
	v_accvgpr_write_b32 a45, v1
	v_accvgpr_write_b32 a44, v0
	v_add_u32_e32 v0, s7, v2
	v_add_u32_e32 v100, s7, v0
	;; [unrolled: 1-line block ×61, first 2 shown]
	v_ashrrev_i32_e32 v3, 31, v2
	v_lshlrev_b64 v[2:3], 4, v[2:3]
	v_mov_b32_e32 v1, s5
	v_add_co_u32_e32 v2, vcc, s4, v2
	v_addc_co_u32_e32 v3, vcc, v1, v3, vcc
	v_ashrrev_i32_e32 v1, 31, v0
	v_accvgpr_write_b32 a0, v2
	v_lshlrev_b64 v[0:1], 4, v[0:1]
	v_accvgpr_write_b32 a1, v3
	global_load_dwordx4 v[2:5], v[2:3], off
	s_waitcnt vmcnt(3)
	buffer_store_dword v9, off, s[0:3], 0 offset:28
	buffer_store_dword v8, off, s[0:3], 0 offset:24
	;; [unrolled: 1-line block ×4, first 2 shown]
	s_waitcnt vmcnt(6)
	buffer_store_dword v99, off, s[0:3], 0 offset:44
	buffer_store_dword v98, off, s[0:3], 0 offset:40
	;; [unrolled: 1-line block ×4, first 2 shown]
	s_waitcnt vmcnt(9)
	buffer_store_dword v13, off, s[0:3], 0 offset:60
	v_mov_b32_e32 v6, s5
	v_add_co_u32_e32 v8, vcc, s4, v0
	v_addc_co_u32_e32 v9, vcc, v6, v1, vcc
	v_ashrrev_i32_e32 v101, 31, v100
	global_load_dwordx4 v[96:99], v[8:9], off
	v_lshlrev_b64 v[0:1], 4, v[100:101]
	v_add_co_u32_e32 v0, vcc, s4, v0
	v_addc_co_u32_e32 v1, vcc, v6, v1, vcc
	global_load_dwordx4 v[100:103], v[0:1], off
	v_accvgpr_write_b32 a121, v1
	v_ashrrev_i32_e32 v105, 31, v104
	v_accvgpr_write_b32 a127, v9
	v_accvgpr_write_b32 a120, v0
	v_lshlrev_b64 v[0:1], 4, v[104:105]
	v_accvgpr_write_b32 a126, v8
	v_add_co_u32_e32 v8, vcc, s4, v0
	v_addc_co_u32_e32 v9, vcc, v6, v1, vcc
	v_ashrrev_i32_e32 v107, 31, v106
	v_lshlrev_b64 v[0:1], 4, v[106:107]
	global_load_dwordx4 v[104:107], v[8:9], off
	v_add_co_u32_e32 v0, vcc, s4, v0
	v_addc_co_u32_e32 v1, vcc, v6, v1, vcc
	global_load_dwordx4 v[108:111], v[0:1], off
	v_accvgpr_write_b32 a113, v1
	v_ashrrev_i32_e32 v113, 31, v112
	v_accvgpr_write_b32 a123, v9
	v_accvgpr_write_b32 a112, v0
	v_lshlrev_b64 v[0:1], 4, v[112:113]
	v_accvgpr_write_b32 a122, v8
	v_add_co_u32_e32 v8, vcc, s4, v0
	v_addc_co_u32_e32 v9, vcc, v6, v1, vcc
	v_ashrrev_i32_e32 v115, 31, v114
	v_lshlrev_b64 v[0:1], 4, v[114:115]
	global_load_dwordx4 v[112:115], v[8:9], off
	;; [unrolled: 14-line block ×9, first 2 shown]
	v_add_co_u32_e32 v0, vcc, s4, v0
	v_addc_co_u32_e32 v1, vcc, v6, v1, vcc
	v_accvgpr_write_b32 a43, v9
	v_accvgpr_write_b32 a31, v1
	v_ashrrev_i32_e32 v93, 31, v92
	v_accvgpr_write_b32 a42, v8
	v_accvgpr_write_b32 a30, v0
	global_load_dwordx4 v[6:9], v[0:1], off
	v_lshlrev_b64 v[0:1], 4, v[92:93]
	buffer_store_dword v12, off, s[0:3], 0 offset:56
	buffer_store_dword v11, off, s[0:3], 0 offset:52
	buffer_store_dword v10, off, s[0:3], 0 offset:48
	s_waitcnt vmcnt(22)
	buffer_store_dword v99, off, s[0:3], 0 offset:76
	buffer_store_dword v98, off, s[0:3], 0 offset:72
	buffer_store_dword v97, off, s[0:3], 0 offset:68
	buffer_store_dword v96, off, s[0:3], 0 offset:64
	s_waitcnt vmcnt(25)
	buffer_store_dword v103, off, s[0:3], 0 offset:92
	;; [unrolled: 5-line block ×15, first 2 shown]
	buffer_store_dword v154, off, s[0:3], 0 offset:296
	buffer_store_dword v153, off, s[0:3], 0 offset:292
	;; [unrolled: 1-line block ×11, first 2 shown]
	s_waitcnt vmcnt(62)
	buffer_store_dword v167, off, s[0:3], 0 offset:348
	buffer_store_dword v166, off, s[0:3], 0 offset:344
	;; [unrolled: 1-line block ×9, first 2 shown]
	v_mov_b32_e32 v9, s5
	v_add_co_u32_e32 v10, vcc, s4, v0
	v_addc_co_u32_e32 v11, vcc, v9, v1, vcc
	v_ashrrev_i32_e32 v91, 31, v90
	v_lshlrev_b64 v[0:1], 4, v[90:91]
	global_load_dwordx4 v[90:93], v[10:11], off
	v_add_co_u32_e32 v0, vcc, s4, v0
	v_addc_co_u32_e32 v1, vcc, v9, v1, vcc
	global_load_dwordx4 v[96:99], v[0:1], off
	v_accvgpr_write_b32 a117, v1
	v_ashrrev_i32_e32 v89, 31, v88
	v_accvgpr_write_b32 a125, v11
	v_accvgpr_write_b32 a116, v0
	v_lshlrev_b64 v[0:1], 4, v[88:89]
	v_accvgpr_write_b32 a124, v10
	v_add_co_u32_e32 v10, vcc, s4, v0
	v_addc_co_u32_e32 v11, vcc, v9, v1, vcc
	v_ashrrev_i32_e32 v87, 31, v86
	v_lshlrev_b64 v[0:1], 4, v[86:87]
	global_load_dwordx4 v[86:89], v[10:11], off
	v_add_co_u32_e32 v0, vcc, s4, v0
	v_addc_co_u32_e32 v1, vcc, v9, v1, vcc
	global_load_dwordx4 v[100:103], v[0:1], off
	v_accvgpr_write_b32 a109, v1
	v_ashrrev_i32_e32 v85, 31, v84
	v_accvgpr_write_b32 a119, v11
	v_accvgpr_write_b32 a108, v0
	v_lshlrev_b64 v[0:1], 4, v[84:85]
	v_accvgpr_write_b32 a118, v10
	v_add_co_u32_e32 v10, vcc, s4, v0
	v_addc_co_u32_e32 v11, vcc, v9, v1, vcc
	v_ashrrev_i32_e32 v83, 31, v82
	v_lshlrev_b64 v[0:1], 4, v[82:83]
	global_load_dwordx4 v[82:85], v[10:11], off
	v_add_co_u32_e32 v0, vcc, s4, v0
	v_addc_co_u32_e32 v1, vcc, v9, v1, vcc
	global_load_dwordx4 v[104:107], v[0:1], off
	v_accvgpr_write_b32 a95, v1
	v_ashrrev_i32_e32 v81, 31, v80
	v_accvgpr_write_b32 a111, v11
	v_accvgpr_write_b32 a94, v0
	v_lshlrev_b64 v[0:1], 4, v[80:81]
	v_accvgpr_write_b32 a110, v10
	v_add_co_u32_e32 v10, vcc, s4, v0
	v_addc_co_u32_e32 v11, vcc, v9, v1, vcc
	v_ashrrev_i32_e32 v79, 31, v78
	v_lshlrev_b64 v[0:1], 4, v[78:79]
	global_load_dwordx4 v[78:81], v[10:11], off
	v_add_co_u32_e32 v0, vcc, s4, v0
	v_addc_co_u32_e32 v1, vcc, v9, v1, vcc
	global_load_dwordx4 v[108:111], v[0:1], off
	v_accvgpr_write_b32 a83, v1
	v_ashrrev_i32_e32 v77, 31, v76
	v_accvgpr_write_b32 a97, v11
	v_accvgpr_write_b32 a82, v0
	v_lshlrev_b64 v[0:1], 4, v[76:77]
	v_accvgpr_write_b32 a96, v10
	v_add_co_u32_e32 v10, vcc, s4, v0
	v_addc_co_u32_e32 v11, vcc, v9, v1, vcc
	v_ashrrev_i32_e32 v75, 31, v74
	v_lshlrev_b64 v[0:1], 4, v[74:75]
	global_load_dwordx4 v[74:77], v[10:11], off
	v_add_co_u32_e32 v0, vcc, s4, v0
	v_addc_co_u32_e32 v1, vcc, v9, v1, vcc
	global_load_dwordx4 v[112:115], v[0:1], off
	v_accvgpr_write_b32 a69, v1
	v_ashrrev_i32_e32 v73, 31, v72
	v_accvgpr_write_b32 a85, v11
	v_accvgpr_write_b32 a68, v0
	v_lshlrev_b64 v[0:1], 4, v[72:73]
	v_accvgpr_write_b32 a84, v10
	v_add_co_u32_e32 v10, vcc, s4, v0
	v_addc_co_u32_e32 v11, vcc, v9, v1, vcc
	v_ashrrev_i32_e32 v71, 31, v70
	v_lshlrev_b64 v[0:1], 4, v[70:71]
	global_load_dwordx4 v[70:73], v[10:11], off
	v_add_co_u32_e32 v0, vcc, s4, v0
	v_addc_co_u32_e32 v1, vcc, v9, v1, vcc
	global_load_dwordx4 v[116:119], v[0:1], off
	v_accvgpr_write_b32 a55, v1
	v_ashrrev_i32_e32 v69, 31, v68
	v_accvgpr_write_b32 a71, v11
	v_accvgpr_write_b32 a54, v0
	v_lshlrev_b64 v[0:1], 4, v[68:69]
	v_accvgpr_write_b32 a70, v10
	v_add_co_u32_e32 v10, vcc, s4, v0
	v_addc_co_u32_e32 v11, vcc, v9, v1, vcc
	v_ashrrev_i32_e32 v67, 31, v66
	v_lshlrev_b64 v[0:1], 4, v[66:67]
	global_load_dwordx4 v[66:69], v[10:11], off
	v_add_co_u32_e32 v0, vcc, s4, v0
	v_addc_co_u32_e32 v1, vcc, v9, v1, vcc
	global_load_dwordx4 v[120:123], v[0:1], off
	v_accvgpr_write_b32 a37, v1
	v_ashrrev_i32_e32 v65, 31, v64
	v_accvgpr_write_b32 a57, v11
	v_accvgpr_write_b32 a36, v0
	v_lshlrev_b64 v[0:1], 4, v[64:65]
	v_accvgpr_write_b32 a56, v10
	v_add_co_u32_e32 v10, vcc, s4, v0
	v_addc_co_u32_e32 v11, vcc, v9, v1, vcc
	v_ashrrev_i32_e32 v63, 31, v62
	v_lshlrev_b64 v[0:1], 4, v[62:63]
	global_load_dwordx4 v[62:65], v[10:11], off
	v_add_co_u32_e32 v0, vcc, s4, v0
	v_addc_co_u32_e32 v1, vcc, v9, v1, vcc
	global_load_dwordx4 v[124:127], v[0:1], off
	v_accvgpr_write_b32 a27, v1
	v_ashrrev_i32_e32 v61, 31, v60
	v_accvgpr_write_b32 a39, v11
	v_accvgpr_write_b32 a26, v0
	v_lshlrev_b64 v[0:1], 4, v[60:61]
	v_accvgpr_write_b32 a38, v10
	v_add_co_u32_e32 v10, vcc, s4, v0
	v_addc_co_u32_e32 v11, vcc, v9, v1, vcc
	v_ashrrev_i32_e32 v59, 31, v58
	v_lshlrev_b64 v[0:1], 4, v[58:59]
	global_load_dwordx4 v[58:61], v[10:11], off
	v_add_co_u32_e32 v0, vcc, s4, v0
	v_addc_co_u32_e32 v1, vcc, v9, v1, vcc
	global_load_dwordx4 v[128:131], v[0:1], off
	v_accvgpr_write_b32 a19, v1
	v_ashrrev_i32_e32 v57, 31, v56
	v_accvgpr_write_b32 a29, v11
	v_accvgpr_write_b32 a18, v0
	v_lshlrev_b64 v[0:1], 4, v[56:57]
	v_accvgpr_write_b32 a28, v10
	v_add_co_u32_e32 v10, vcc, s4, v0
	v_addc_co_u32_e32 v11, vcc, v9, v1, vcc
	v_ashrrev_i32_e32 v55, 31, v54
	v_lshlrev_b64 v[0:1], 4, v[54:55]
	global_load_dwordx4 v[54:57], v[10:11], off
	v_add_co_u32_e32 v0, vcc, s4, v0
	v_addc_co_u32_e32 v1, vcc, v9, v1, vcc
	v_accvgpr_write_b32 a21, v11
	v_accvgpr_write_b32 a13, v1
	v_ashrrev_i32_e32 v53, 31, v52
	v_accvgpr_write_b32 a20, v10
	v_accvgpr_write_b32 a12, v0
	global_load_dwordx4 v[10:13], v[0:1], off
	v_lshlrev_b64 v[0:1], 4, v[52:53]
	buffer_store_dword v8, off, s[0:3], 0 offset:376
	buffer_store_dword v7, off, s[0:3], 0 offset:372
	buffer_store_dword v6, off, s[0:3], 0 offset:368
	s_waitcnt vmcnt(22)
	buffer_store_dword v93, off, s[0:3], 0 offset:396
	buffer_store_dword v92, off, s[0:3], 0 offset:392
	buffer_store_dword v91, off, s[0:3], 0 offset:388
	buffer_store_dword v90, off, s[0:3], 0 offset:384
	s_waitcnt vmcnt(25)
	buffer_store_dword v99, off, s[0:3], 0 offset:412
	;; [unrolled: 5-line block ×15, first 2 shown]
	buffer_store_dword v64, off, s[0:3], 0 offset:616
	buffer_store_dword v63, off, s[0:3], 0 offset:612
	;; [unrolled: 1-line block ×11, first 2 shown]
	s_waitcnt vmcnt(62)
	buffer_store_dword v131, off, s[0:3], 0 offset:668
	buffer_store_dword v130, off, s[0:3], 0 offset:664
	;; [unrolled: 1-line block ×9, first 2 shown]
	v_mov_b32_e32 v6, s5
	v_add_co_u32_e32 v8, vcc, s4, v0
	v_ashrrev_i32_e32 v51, 31, v50
	v_addc_co_u32_e32 v9, vcc, v6, v1, vcc
	v_lshlrev_b64 v[0:1], 4, v[50:51]
	v_add_co_u32_e32 v0, vcc, s4, v0
	v_addc_co_u32_e32 v1, vcc, v6, v1, vcc
	v_accvgpr_write_b32 a103, v9
	v_accvgpr_write_b32 a91, v1
	v_ashrrev_i32_e32 v49, 31, v48
	v_accvgpr_write_b32 a102, v8
	global_load_dwordx4 v[6:9], v[8:9], off
	v_accvgpr_write_b32 a90, v0
	global_load_dwordx4 v[50:53], v[0:1], off
	v_lshlrev_b64 v[0:1], 4, v[48:49]
	v_mov_b32_e32 v13, s5
	v_add_co_u32_e32 v48, vcc, s4, v0
	v_ashrrev_i32_e32 v47, 31, v46
	v_addc_co_u32_e32 v49, vcc, v13, v1, vcc
	v_lshlrev_b64 v[0:1], 4, v[46:47]
	v_add_co_u32_e32 v0, vcc, s4, v0
	v_addc_co_u32_e32 v1, vcc, v13, v1, vcc
	v_accvgpr_write_b32 a93, v49
	v_accvgpr_write_b32 a79, v1
	v_ashrrev_i32_e32 v45, 31, v44
	v_accvgpr_write_b32 a92, v48
	global_load_dwordx4 v[46:49], v[48:49], off
	v_accvgpr_write_b32 a78, v0
	global_load_dwordx4 v[54:57], v[0:1], off
	v_lshlrev_b64 v[0:1], 4, v[44:45]
	v_add_co_u32_e32 v44, vcc, s4, v0
	v_ashrrev_i32_e32 v43, 31, v42
	v_addc_co_u32_e32 v45, vcc, v13, v1, vcc
	v_lshlrev_b64 v[0:1], 4, v[42:43]
	v_add_co_u32_e32 v0, vcc, s4, v0
	v_addc_co_u32_e32 v1, vcc, v13, v1, vcc
	v_accvgpr_write_b32 a81, v45
	v_accvgpr_write_b32 a63, v1
	v_ashrrev_i32_e32 v41, 31, v40
	v_accvgpr_write_b32 a80, v44
	global_load_dwordx4 v[42:45], v[44:45], off
	v_accvgpr_write_b32 a62, v0
	global_load_dwordx4 v[58:61], v[0:1], off
	v_lshlrev_b64 v[0:1], 4, v[40:41]
	;; [unrolled: 14-line block ×8, first 2 shown]
	v_add_co_u32_e32 v16, vcc, s4, v0
	v_ashrrev_i32_e32 v15, 31, v14
	v_addc_co_u32_e32 v17, vcc, v13, v1, vcc
	v_lshlrev_b64 v[0:1], 4, v[14:15]
	v_add_co_u32_e32 v0, vcc, s4, v0
	v_addc_co_u32_e32 v1, vcc, v13, v1, vcc
	v_accvgpr_write_b32 a6, v16
	v_accvgpr_write_b32 a3, v1
	;; [unrolled: 1-line block ×3, first 2 shown]
	global_load_dwordx4 v[14:17], v[16:17], off
	v_accvgpr_write_b32 a2, v0
	global_load_dwordx4 v[86:89], v[0:1], off
	v_mov_b32_e32 v0, 16
	v_add_u32_e32 v1, 16, v0
	v_accvgpr_write_b32 a190, v1
	v_add_u32_e32 v1, 0xc0, v0
	v_accvgpr_write_b32 a179, v1
	;; [unrolled: 2-line block ×61, first 2 shown]
	v_add_u32_e32 v1, 0x3e0, v0
	v_add_u32_e32 v0, 0x3f0, v0
	s_bitcmp0_b32 s10, 0
	v_accvgpr_write_b32 a129, v1
	v_accvgpr_write_b32 a128, v0
	s_mov_b64 s[6:7], -1
	buffer_store_dword v12, off, s[0:3], 0 offset:696
	buffer_store_dword v11, off, s[0:3], 0 offset:692
	buffer_store_dword v10, off, s[0:3], 0 offset:688
	s_waitcnt vmcnt(22)
	buffer_store_dword v9, off, s[0:3], 0 offset:716
	buffer_store_dword v8, off, s[0:3], 0 offset:712
	buffer_store_dword v7, off, s[0:3], 0 offset:708
	buffer_store_dword v6, off, s[0:3], 0 offset:704
	s_waitcnt vmcnt(25)
	buffer_store_dword v53, off, s[0:3], 0 offset:732
	;; [unrolled: 5-line block ×15, first 2 shown]
	buffer_store_dword v24, off, s[0:3], 0 offset:936
	buffer_store_dword v23, off, s[0:3], 0 offset:932
	buffer_store_dword v22, off, s[0:3], 0 offset:928
	buffer_store_dword v81, off, s[0:3], 0 offset:956
	buffer_store_dword v80, off, s[0:3], 0 offset:952
	buffer_store_dword v79, off, s[0:3], 0 offset:948
	buffer_store_dword v78, off, s[0:3], 0 offset:944
	buffer_store_dword v21, off, s[0:3], 0 offset:972
	buffer_store_dword v20, off, s[0:3], 0 offset:968
	buffer_store_dword v19, off, s[0:3], 0 offset:964
	buffer_store_dword v18, off, s[0:3], 0 offset:960
	s_waitcnt vmcnt(62)
	buffer_store_dword v85, off, s[0:3], 0 offset:988
	buffer_store_dword v84, off, s[0:3], 0 offset:984
	;; [unrolled: 1-line block ×16, first 2 shown]
	s_cbranch_scc1 .LBB63_280
; %bb.4:
	v_cmp_eq_u32_e64 s[4:5], 0, v254
	s_and_saveexec_b64 s[6:7], s[4:5]
	s_cbranch_execz .LBB63_6
; %bb.5:
	v_mov_b32_e32 v0, 0
	ds_write_b32 v0, v0 offset:2048
.LBB63_6:
	s_or_b64 exec, exec, s[6:7]
	v_mov_b32_e32 v0, 16
	v_lshl_add_u32 v10, v254, 4, v0
	s_waitcnt lgkmcnt(0)
	; wave barrier
	s_waitcnt lgkmcnt(0)
	buffer_load_dword v0, v10, s[0:3], 0 offen
	buffer_load_dword v1, v10, s[0:3], 0 offen offset:4
	buffer_load_dword v2, v10, s[0:3], 0 offen offset:8
	;; [unrolled: 1-line block ×3, first 2 shown]
	s_waitcnt vmcnt(2)
	v_cmp_eq_f64_e32 vcc, 0, v[0:1]
	s_waitcnt vmcnt(0)
	v_cmp_eq_f64_e64 s[6:7], 0, v[2:3]
	s_and_b64 s[6:7], vcc, s[6:7]
	s_and_saveexec_b64 s[10:11], s[6:7]
	s_cbranch_execz .LBB63_10
; %bb.7:
	v_mov_b32_e32 v0, 0
	ds_read_b32 v2, v0 offset:2048
	v_add_u32_e32 v1, 1, v254
	s_waitcnt lgkmcnt(0)
	v_readfirstlane_b32 s6, v2
	s_cmp_eq_u32 s6, 0
	s_cselect_b64 s[12:13], -1, 0
	v_cmp_gt_i32_e32 vcc, s6, v1
	s_or_b64 s[12:13], s[12:13], vcc
	s_and_b64 exec, exec, s[12:13]
	s_cbranch_execz .LBB63_10
; %bb.8:
	s_mov_b64 s[12:13], 0
	v_mov_b32_e32 v2, s6
.LBB63_9:                               ; =>This Inner Loop Header: Depth=1
	ds_cmpst_rtn_b32 v2, v0, v2, v1 offset:2048
	s_waitcnt lgkmcnt(0)
	v_cmp_ne_u32_e32 vcc, 0, v2
	v_cmp_le_i32_e64 s[6:7], v2, v1
	s_and_b64 s[6:7], vcc, s[6:7]
	s_and_b64 s[6:7], exec, s[6:7]
	s_or_b64 s[12:13], s[6:7], s[12:13]
	s_andn2_b64 exec, exec, s[12:13]
	s_cbranch_execnz .LBB63_9
.LBB63_10:
	s_or_b64 exec, exec, s[10:11]
	v_mov_b32_e32 v1, 0
	s_waitcnt lgkmcnt(0)
	; wave barrier
	ds_read_b32 v0, v1 offset:2048
	s_and_saveexec_b64 s[6:7], s[4:5]
	s_cbranch_execz .LBB63_12
; %bb.11:
	s_lshl_b64 s[10:11], s[8:9], 2
	s_add_u32 s10, s14, s10
	s_addc_u32 s11, s15, s11
	s_waitcnt lgkmcnt(0)
	global_store_dword v1, v0, s[10:11]
.LBB63_12:
	s_or_b64 exec, exec, s[6:7]
	s_waitcnt lgkmcnt(0)
	v_cmp_ne_u32_e32 vcc, 0, v0
	s_mov_b64 s[6:7], 0
	s_cbranch_vccnz .LBB63_280
; %bb.13:
	buffer_load_dword v1, v10, s[0:3], 0 offen offset:4
	buffer_load_dword v0, v10, s[0:3], 0 offen
	buffer_load_dword v7, v10, s[0:3], 0 offen offset:12
	buffer_load_dword v6, v10, s[0:3], 0 offen offset:8
                                        ; implicit-def: $vgpr8_vgpr9
	s_waitcnt vmcnt(3)
	v_xor_b32_e32 v3, 0x80000000, v1
	s_waitcnt vmcnt(2)
	v_cmp_gt_f64_e32 vcc, 0, v[0:1]
	s_waitcnt vmcnt(1)
	v_xor_b32_e32 v4, 0x80000000, v7
	v_cndmask_b32_e32 v3, v1, v3, vcc
	s_waitcnt vmcnt(0)
	v_cmp_gt_f64_e32 vcc, 0, v[6:7]
	v_mov_b32_e32 v2, v0
	v_cndmask_b32_e32 v5, v7, v4, vcc
	v_mov_b32_e32 v4, v6
	v_cmp_ngt_f64_e32 vcc, v[2:3], v[4:5]
                                        ; implicit-def: $vgpr4_vgpr5
	s_and_saveexec_b64 s[6:7], vcc
	s_xor_b64 s[6:7], exec, s[6:7]
	s_cbranch_execz .LBB63_15
; %bb.14:
	v_div_scale_f64 v[2:3], s[10:11], v[6:7], v[6:7], v[0:1]
	v_rcp_f64_e32 v[4:5], v[2:3]
	v_div_scale_f64 v[8:9], vcc, v[0:1], v[6:7], v[0:1]
	v_fma_f64 v[12:13], -v[2:3], v[4:5], 1.0
	v_fmac_f64_e32 v[4:5], v[4:5], v[12:13]
	v_fma_f64 v[12:13], -v[2:3], v[4:5], 1.0
	v_fmac_f64_e32 v[4:5], v[4:5], v[12:13]
	v_mul_f64 v[12:13], v[8:9], v[4:5]
	v_fma_f64 v[2:3], -v[2:3], v[12:13], v[8:9]
	v_div_fmas_f64 v[2:3], v[2:3], v[4:5], v[12:13]
	v_div_fixup_f64 v[2:3], v[2:3], v[6:7], v[0:1]
	v_fmac_f64_e32 v[6:7], v[0:1], v[2:3]
	v_div_scale_f64 v[0:1], s[10:11], v[6:7], v[6:7], 1.0
	v_rcp_f64_e32 v[4:5], v[0:1]
	v_fma_f64 v[8:9], -v[0:1], v[4:5], 1.0
	v_fmac_f64_e32 v[4:5], v[4:5], v[8:9]
	v_fma_f64 v[8:9], -v[0:1], v[4:5], 1.0
	v_fmac_f64_e32 v[4:5], v[4:5], v[8:9]
	v_div_scale_f64 v[8:9], vcc, 1.0, v[6:7], 1.0
	v_mul_f64 v[12:13], v[8:9], v[4:5]
	v_fma_f64 v[0:1], -v[0:1], v[12:13], v[8:9]
	s_nop 1
	v_div_fmas_f64 v[0:1], v[0:1], v[4:5], v[12:13]
	v_div_fixup_f64 v[4:5], v[0:1], v[6:7], 1.0
	v_mul_f64 v[8:9], v[2:3], v[4:5]
	v_xor_b32_e32 v5, 0x80000000, v5
	v_xor_b32_e32 v3, 0x80000000, v9
	v_mov_b32_e32 v2, v8
                                        ; implicit-def: $vgpr0_vgpr1
                                        ; implicit-def: $vgpr6_vgpr7
.LBB63_15:
	s_andn2_saveexec_b64 s[6:7], s[6:7]
	s_cbranch_execz .LBB63_17
; %bb.16:
	v_div_scale_f64 v[2:3], s[10:11], v[0:1], v[0:1], v[6:7]
	v_rcp_f64_e32 v[4:5], v[2:3]
	v_div_scale_f64 v[8:9], vcc, v[6:7], v[0:1], v[6:7]
	v_fma_f64 v[12:13], -v[2:3], v[4:5], 1.0
	v_fmac_f64_e32 v[4:5], v[4:5], v[12:13]
	v_fma_f64 v[12:13], -v[2:3], v[4:5], 1.0
	v_fmac_f64_e32 v[4:5], v[4:5], v[12:13]
	v_mul_f64 v[12:13], v[8:9], v[4:5]
	v_fma_f64 v[2:3], -v[2:3], v[12:13], v[8:9]
	v_div_fmas_f64 v[2:3], v[2:3], v[4:5], v[12:13]
	v_div_fixup_f64 v[4:5], v[2:3], v[0:1], v[6:7]
	v_fmac_f64_e32 v[0:1], v[6:7], v[4:5]
	v_div_scale_f64 v[2:3], s[10:11], v[0:1], v[0:1], 1.0
	v_rcp_f64_e32 v[6:7], v[2:3]
	v_fma_f64 v[8:9], -v[2:3], v[6:7], 1.0
	v_fmac_f64_e32 v[6:7], v[6:7], v[8:9]
	v_fma_f64 v[8:9], -v[2:3], v[6:7], 1.0
	v_fmac_f64_e32 v[6:7], v[6:7], v[8:9]
	v_div_scale_f64 v[8:9], vcc, 1.0, v[0:1], 1.0
	v_mul_f64 v[12:13], v[8:9], v[6:7]
	v_fma_f64 v[2:3], -v[2:3], v[12:13], v[8:9]
	s_nop 1
	v_div_fmas_f64 v[2:3], v[2:3], v[6:7], v[12:13]
	v_div_fixup_f64 v[8:9], v[2:3], v[0:1], 1.0
	v_xor_b32_e32 v3, 0x80000000, v9
	v_mov_b32_e32 v2, v8
	v_mul_f64 v[4:5], v[4:5], -v[8:9]
.LBB63_17:
	s_or_b64 exec, exec, s[6:7]
	buffer_store_dword v9, v10, s[0:3], 0 offen offset:4
	buffer_store_dword v8, v10, s[0:3], 0 offen
	buffer_store_dword v5, v10, s[0:3], 0 offen offset:12
	buffer_store_dword v4, v10, s[0:3], 0 offen offset:8
	v_accvgpr_read_b32 v0, a190
	buffer_load_dword v15, v0, s[0:3], 0 offen offset:12
	buffer_load_dword v14, v0, s[0:3], 0 offen offset:8
	;; [unrolled: 1-line block ×3, first 2 shown]
	buffer_load_dword v12, v0, s[0:3], 0 offen
	v_xor_b32_e32 v5, 0x80000000, v5
	v_or_b32_e32 v6, 0x400, v94
	ds_write_b128 v94, v[2:5]
	s_waitcnt vmcnt(0)
	ds_write_b128 v94, v[12:15] offset:1024
	s_waitcnt lgkmcnt(0)
	; wave barrier
	s_waitcnt lgkmcnt(0)
	s_and_saveexec_b64 s[6:7], s[4:5]
	s_cbranch_execz .LBB63_19
; %bb.18:
	buffer_load_dword v4, v10, s[0:3], 0 offen offset:8
	buffer_load_dword v5, v10, s[0:3], 0 offen offset:12
	buffer_load_dword v8, v10, s[0:3], 0 offen
	buffer_load_dword v9, v10, s[0:3], 0 offen offset:4
	ds_read_b128 v[0:3], v6
	v_mov_b32_e32 v7, 0
	ds_read_b128 v[12:15], v7 offset:16
	s_waitcnt vmcnt(2) lgkmcnt(1)
	v_mul_f64 v[16:17], v[2:3], v[4:5]
	v_mul_f64 v[4:5], v[0:1], v[4:5]
	s_waitcnt vmcnt(0)
	v_fmac_f64_e32 v[4:5], v[2:3], v[8:9]
	v_fma_f64 v[0:1], v[0:1], v[8:9], -v[16:17]
	v_add_f64 v[2:3], v[4:5], 0
	v_add_f64 v[0:1], v[0:1], 0
	s_waitcnt lgkmcnt(0)
	v_mul_f64 v[4:5], v[2:3], v[14:15]
	v_mul_f64 v[8:9], v[0:1], v[14:15]
	v_fma_f64 v[0:1], v[0:1], v[12:13], -v[4:5]
	v_fmac_f64_e32 v[8:9], v[2:3], v[12:13]
	buffer_store_dword v0, off, s[0:3], 0 offset:32
	buffer_store_dword v1, off, s[0:3], 0 offset:36
	;; [unrolled: 1-line block ×4, first 2 shown]
.LBB63_19:
	s_or_b64 exec, exec, s[6:7]
	v_accvgpr_read_b32 v3, a189
	s_waitcnt lgkmcnt(0)
	; wave barrier
	buffer_load_dword v0, v3, s[0:3], 0 offen
	buffer_load_dword v1, v3, s[0:3], 0 offen offset:4
	buffer_load_dword v2, v3, s[0:3], 0 offen offset:8
	s_nop 0
	buffer_load_dword v3, v3, s[0:3], 0 offen offset:12
	v_cmp_gt_u32_e32 vcc, 2, v254
	s_waitcnt vmcnt(0)
	ds_write_b128 v6, v[0:3]
	s_waitcnt lgkmcnt(0)
	; wave barrier
	s_waitcnt lgkmcnt(0)
	s_and_saveexec_b64 s[6:7], vcc
	s_cbranch_execz .LBB63_23
; %bb.20:
	buffer_load_dword v4, v10, s[0:3], 0 offen offset:8
	buffer_load_dword v5, v10, s[0:3], 0 offen offset:12
	buffer_load_dword v8, v10, s[0:3], 0 offen
	buffer_load_dword v9, v10, s[0:3], 0 offen offset:4
	ds_read_b128 v[0:3], v6
	s_waitcnt vmcnt(2) lgkmcnt(0)
	v_mul_f64 v[12:13], v[2:3], v[4:5]
	v_mul_f64 v[4:5], v[0:1], v[4:5]
	s_waitcnt vmcnt(0)
	v_fma_f64 v[0:1], v[0:1], v[8:9], -v[12:13]
	v_fmac_f64_e32 v[4:5], v[2:3], v[8:9]
	v_add_f64 v[2:3], v[0:1], 0
	v_add_f64 v[0:1], v[4:5], 0
	s_and_saveexec_b64 s[10:11], s[4:5]
	s_cbranch_execz .LBB63_22
; %bb.21:
	buffer_load_dword v4, off, s[0:3], 0 offset:40
	buffer_load_dword v5, off, s[0:3], 0 offset:44
	;; [unrolled: 1-line block ×4, first 2 shown]
	v_mov_b32_e32 v7, 0
	ds_read_b128 v[12:15], v7 offset:1040
	s_waitcnt vmcnt(2) lgkmcnt(0)
	v_mul_f64 v[16:17], v[12:13], v[4:5]
	v_mul_f64 v[4:5], v[14:15], v[4:5]
	s_waitcnt vmcnt(0)
	v_fmac_f64_e32 v[16:17], v[14:15], v[8:9]
	v_fma_f64 v[4:5], v[12:13], v[8:9], -v[4:5]
	v_add_f64 v[0:1], v[0:1], v[16:17]
	v_add_f64 v[2:3], v[2:3], v[4:5]
.LBB63_22:
	s_or_b64 exec, exec, s[10:11]
	v_mov_b32_e32 v4, 0
	ds_read_b128 v[12:15], v4 offset:32
	s_waitcnt lgkmcnt(0)
	v_mul_f64 v[4:5], v[0:1], v[14:15]
	v_mul_f64 v[8:9], v[2:3], v[14:15]
	v_fma_f64 v[2:3], v[2:3], v[12:13], -v[4:5]
	v_fmac_f64_e32 v[8:9], v[0:1], v[12:13]
	buffer_store_dword v3, off, s[0:3], 0 offset:52
	buffer_store_dword v2, off, s[0:3], 0 offset:48
	;; [unrolled: 1-line block ×4, first 2 shown]
.LBB63_23:
	s_or_b64 exec, exec, s[6:7]
	v_accvgpr_read_b32 v3, a188
	s_waitcnt lgkmcnt(0)
	; wave barrier
	buffer_load_dword v0, v3, s[0:3], 0 offen
	buffer_load_dword v1, v3, s[0:3], 0 offen offset:4
	buffer_load_dword v2, v3, s[0:3], 0 offen offset:8
	s_nop 0
	buffer_load_dword v3, v3, s[0:3], 0 offen offset:12
	v_cmp_gt_u32_e64 s[6:7], 3, v254
	v_add_u32_e32 v7, -1, v254
	s_waitcnt vmcnt(0)
	ds_write_b128 v6, v[0:3]
	s_waitcnt lgkmcnt(0)
	; wave barrier
	s_waitcnt lgkmcnt(0)
	s_and_saveexec_b64 s[10:11], s[6:7]
	s_cbranch_execz .LBB63_27
; %bb.24:
	v_pk_mov_b32 v[0:1], 0, 0
	v_add_u32_e32 v4, -1, v254
	v_or_b32_e32 v5, 0x400, v94
	v_add_u32_e32 v8, 16, v94
	s_mov_b64 s[12:13], 0
	v_pk_mov_b32 v[2:3], v[0:1], v[0:1] op_sel:[0,1]
.LBB63_25:                              ; =>This Inner Loop Header: Depth=1
	buffer_load_dword v16, v8, s[0:3], 0 offen offset:8
	buffer_load_dword v17, v8, s[0:3], 0 offen offset:12
	buffer_load_dword v18, v8, s[0:3], 0 offen
	buffer_load_dword v19, v8, s[0:3], 0 offen offset:4
	ds_read_b128 v[12:15], v5
	v_add_u32_e32 v4, 1, v4
	v_cmp_lt_u32_e64 s[6:7], 1, v4
	v_add_u32_e32 v5, 16, v5
	v_add_u32_e32 v8, 16, v8
	s_or_b64 s[12:13], s[6:7], s[12:13]
	s_waitcnt vmcnt(2) lgkmcnt(0)
	v_mul_f64 v[20:21], v[14:15], v[16:17]
	v_mul_f64 v[16:17], v[12:13], v[16:17]
	s_waitcnt vmcnt(0)
	v_fma_f64 v[12:13], v[12:13], v[18:19], -v[20:21]
	v_fmac_f64_e32 v[16:17], v[14:15], v[18:19]
	v_add_f64 v[2:3], v[2:3], v[12:13]
	v_add_f64 v[0:1], v[0:1], v[16:17]
	s_andn2_b64 exec, exec, s[12:13]
	s_cbranch_execnz .LBB63_25
; %bb.26:
	s_or_b64 exec, exec, s[12:13]
	v_mov_b32_e32 v4, 0
	ds_read_b128 v[12:15], v4 offset:48
	s_waitcnt lgkmcnt(0)
	v_mul_f64 v[4:5], v[0:1], v[14:15]
	v_mul_f64 v[8:9], v[2:3], v[14:15]
	v_fma_f64 v[2:3], v[2:3], v[12:13], -v[4:5]
	v_fmac_f64_e32 v[8:9], v[0:1], v[12:13]
	buffer_store_dword v3, off, s[0:3], 0 offset:68
	buffer_store_dword v2, off, s[0:3], 0 offset:64
	buffer_store_dword v9, off, s[0:3], 0 offset:76
	buffer_store_dword v8, off, s[0:3], 0 offset:72
.LBB63_27:
	s_or_b64 exec, exec, s[10:11]
	v_accvgpr_read_b32 v3, a187
	s_waitcnt lgkmcnt(0)
	; wave barrier
	buffer_load_dword v0, v3, s[0:3], 0 offen
	buffer_load_dword v1, v3, s[0:3], 0 offen offset:4
	buffer_load_dword v2, v3, s[0:3], 0 offen offset:8
	s_nop 0
	buffer_load_dword v3, v3, s[0:3], 0 offen offset:12
	v_cmp_gt_u32_e64 s[6:7], 4, v254
	s_waitcnt vmcnt(0)
	ds_write_b128 v6, v[0:3]
	s_waitcnt lgkmcnt(0)
	; wave barrier
	s_waitcnt lgkmcnt(0)
	s_and_saveexec_b64 s[12:13], s[6:7]
	s_cbranch_execz .LBB63_31
; %bb.28:
	v_pk_mov_b32 v[0:1], 0, 0
	v_add_u32_e32 v4, -1, v254
	v_or_b32_e32 v5, 0x400, v94
	v_add_u32_e32 v8, 16, v94
	s_mov_b64 s[16:17], 0
	v_pk_mov_b32 v[2:3], v[0:1], v[0:1] op_sel:[0,1]
.LBB63_29:                              ; =>This Inner Loop Header: Depth=1
	buffer_load_dword v16, v8, s[0:3], 0 offen offset:8
	buffer_load_dword v17, v8, s[0:3], 0 offen offset:12
	buffer_load_dword v18, v8, s[0:3], 0 offen
	buffer_load_dword v19, v8, s[0:3], 0 offen offset:4
	ds_read_b128 v[12:15], v5
	v_add_u32_e32 v4, 1, v4
	v_cmp_lt_u32_e64 s[10:11], 2, v4
	v_add_u32_e32 v5, 16, v5
	v_add_u32_e32 v8, 16, v8
	s_or_b64 s[16:17], s[10:11], s[16:17]
	s_waitcnt vmcnt(2) lgkmcnt(0)
	v_mul_f64 v[20:21], v[14:15], v[16:17]
	v_mul_f64 v[16:17], v[12:13], v[16:17]
	s_waitcnt vmcnt(0)
	v_fma_f64 v[12:13], v[12:13], v[18:19], -v[20:21]
	v_fmac_f64_e32 v[16:17], v[14:15], v[18:19]
	v_add_f64 v[2:3], v[2:3], v[12:13]
	v_add_f64 v[0:1], v[0:1], v[16:17]
	s_andn2_b64 exec, exec, s[16:17]
	s_cbranch_execnz .LBB63_29
; %bb.30:
	s_or_b64 exec, exec, s[16:17]
	v_mov_b32_e32 v4, 0
	ds_read_b128 v[12:15], v4 offset:64
	s_waitcnt lgkmcnt(0)
	v_mul_f64 v[4:5], v[0:1], v[14:15]
	v_mul_f64 v[8:9], v[2:3], v[14:15]
	v_fma_f64 v[2:3], v[2:3], v[12:13], -v[4:5]
	v_fmac_f64_e32 v[8:9], v[0:1], v[12:13]
	buffer_store_dword v3, off, s[0:3], 0 offset:84
	buffer_store_dword v2, off, s[0:3], 0 offset:80
	buffer_store_dword v9, off, s[0:3], 0 offset:92
	buffer_store_dword v8, off, s[0:3], 0 offset:88
.LBB63_31:
	s_or_b64 exec, exec, s[12:13]
	v_accvgpr_read_b32 v3, a186
	s_waitcnt lgkmcnt(0)
	; wave barrier
	buffer_load_dword v0, v3, s[0:3], 0 offen
	buffer_load_dword v1, v3, s[0:3], 0 offen offset:4
	buffer_load_dword v2, v3, s[0:3], 0 offen offset:8
	s_nop 0
	buffer_load_dword v3, v3, s[0:3], 0 offen offset:12
	v_cmp_gt_u32_e64 s[10:11], 5, v254
	;; [unrolled: 59-line block ×5, first 2 shown]
	s_waitcnt vmcnt(0)
	ds_write_b128 v6, v[0:3]
	s_waitcnt lgkmcnt(0)
	; wave barrier
	s_waitcnt lgkmcnt(0)
	s_and_saveexec_b64 s[16:17], s[12:13]
	s_cbranch_execz .LBB63_59
; %bb.44:
	buffer_load_dword v4, v10, s[0:3], 0 offen offset:8
	buffer_load_dword v5, v10, s[0:3], 0 offen offset:12
	buffer_load_dword v8, v10, s[0:3], 0 offen
	buffer_load_dword v9, v10, s[0:3], 0 offen offset:4
	ds_read_b128 v[0:3], v6
	v_cmp_ne_u32_e64 s[12:13], 7, v254
	s_waitcnt vmcnt(2) lgkmcnt(0)
	v_mul_f64 v[12:13], v[2:3], v[4:5]
	v_mul_f64 v[14:15], v[0:1], v[4:5]
	s_waitcnt vmcnt(0)
	v_fma_f64 v[0:1], v[0:1], v[8:9], -v[12:13]
	v_fmac_f64_e32 v[14:15], v[2:3], v[8:9]
	v_add_f64 v[4:5], v[0:1], 0
	v_add_f64 v[2:3], v[14:15], 0
	s_and_saveexec_b64 s[18:19], s[12:13]
	s_cbranch_execz .LBB63_58
; %bb.45:
	buffer_load_dword v0, v10, s[0:3], 0 offen offset:24
	buffer_load_dword v1, v10, s[0:3], 0 offen offset:28
	;; [unrolled: 1-line block ×4, first 2 shown]
	ds_read_b128 v[12:15], v6 offset:16
	s_waitcnt vmcnt(2) lgkmcnt(0)
	v_mul_f64 v[16:17], v[14:15], v[0:1]
	v_mul_f64 v[0:1], v[12:13], v[0:1]
	s_waitcnt vmcnt(0)
	v_fma_f64 v[12:13], v[12:13], v[8:9], -v[16:17]
	v_fmac_f64_e32 v[0:1], v[14:15], v[8:9]
	v_add_f64 v[4:5], v[4:5], v[12:13]
	v_add_f64 v[2:3], v[2:3], v[0:1]
	s_and_saveexec_b64 s[12:13], s[10:11]
	s_cbranch_execz .LBB63_57
; %bb.46:
	buffer_load_dword v0, v10, s[0:3], 0 offen offset:40
	buffer_load_dword v1, v10, s[0:3], 0 offen offset:44
	;; [unrolled: 1-line block ×4, first 2 shown]
	ds_read_b128 v[12:15], v6 offset:32
	v_cmp_ne_u32_e64 s[10:11], 5, v254
	s_waitcnt vmcnt(2) lgkmcnt(0)
	v_mul_f64 v[16:17], v[14:15], v[0:1]
	v_mul_f64 v[0:1], v[12:13], v[0:1]
	s_waitcnt vmcnt(0)
	v_fma_f64 v[12:13], v[12:13], v[8:9], -v[16:17]
	v_fmac_f64_e32 v[0:1], v[14:15], v[8:9]
	v_add_f64 v[4:5], v[4:5], v[12:13]
	v_add_f64 v[2:3], v[2:3], v[0:1]
	s_and_saveexec_b64 s[24:25], s[10:11]
	s_cbranch_execz .LBB63_56
; %bb.47:
	buffer_load_dword v0, v10, s[0:3], 0 offen offset:56
	buffer_load_dword v1, v10, s[0:3], 0 offen offset:60
	;; [unrolled: 1-line block ×4, first 2 shown]
	ds_read_b128 v[12:15], v6 offset:48
	s_waitcnt vmcnt(2) lgkmcnt(0)
	v_mul_f64 v[16:17], v[14:15], v[0:1]
	v_mul_f64 v[0:1], v[12:13], v[0:1]
	s_waitcnt vmcnt(0)
	v_fma_f64 v[12:13], v[12:13], v[8:9], -v[16:17]
	v_fmac_f64_e32 v[0:1], v[14:15], v[8:9]
	v_add_f64 v[4:5], v[4:5], v[12:13]
	v_add_f64 v[2:3], v[2:3], v[0:1]
	s_and_saveexec_b64 s[10:11], s[6:7]
	s_cbranch_execz .LBB63_55
; %bb.48:
	buffer_load_dword v0, v10, s[0:3], 0 offen offset:72
	buffer_load_dword v1, v10, s[0:3], 0 offen offset:76
	;; [unrolled: 1-line block ×4, first 2 shown]
	ds_read_b128 v[12:15], v6 offset:64
	v_cmp_ne_u32_e64 s[6:7], 3, v254
	s_waitcnt vmcnt(2) lgkmcnt(0)
	v_mul_f64 v[16:17], v[14:15], v[0:1]
	v_mul_f64 v[0:1], v[12:13], v[0:1]
	s_waitcnt vmcnt(0)
	v_fma_f64 v[12:13], v[12:13], v[8:9], -v[16:17]
	v_fmac_f64_e32 v[0:1], v[14:15], v[8:9]
	v_add_f64 v[4:5], v[4:5], v[12:13]
	v_add_f64 v[2:3], v[2:3], v[0:1]
	s_and_saveexec_b64 s[26:27], s[6:7]
	s_cbranch_execz .LBB63_54
; %bb.49:
	buffer_load_dword v0, v10, s[0:3], 0 offen offset:88
	buffer_load_dword v1, v10, s[0:3], 0 offen offset:92
	;; [unrolled: 1-line block ×4, first 2 shown]
	ds_read_b128 v[12:15], v6 offset:80
	s_waitcnt vmcnt(2) lgkmcnt(0)
	v_mul_f64 v[16:17], v[14:15], v[0:1]
	v_mul_f64 v[0:1], v[12:13], v[0:1]
	s_waitcnt vmcnt(0)
	v_fma_f64 v[12:13], v[12:13], v[8:9], -v[16:17]
	v_fmac_f64_e32 v[0:1], v[14:15], v[8:9]
	v_add_f64 v[4:5], v[4:5], v[12:13]
	v_add_f64 v[2:3], v[2:3], v[0:1]
	s_and_saveexec_b64 s[6:7], vcc
	s_cbranch_execz .LBB63_53
; %bb.50:
	buffer_load_dword v0, v10, s[0:3], 0 offen offset:104
	buffer_load_dword v1, v10, s[0:3], 0 offen offset:108
	;; [unrolled: 1-line block ×4, first 2 shown]
	ds_read_b128 v[12:15], v6 offset:96
	s_waitcnt vmcnt(2) lgkmcnt(0)
	v_mul_f64 v[16:17], v[14:15], v[0:1]
	v_mul_f64 v[0:1], v[12:13], v[0:1]
	s_waitcnt vmcnt(0)
	v_fma_f64 v[12:13], v[12:13], v[8:9], -v[16:17]
	v_fmac_f64_e32 v[0:1], v[14:15], v[8:9]
	v_add_f64 v[4:5], v[4:5], v[12:13]
	v_add_f64 v[2:3], v[2:3], v[0:1]
	s_and_saveexec_b64 s[28:29], s[4:5]
	s_cbranch_execz .LBB63_52
; %bb.51:
	buffer_load_dword v0, v10, s[0:3], 0 offen offset:120
	buffer_load_dword v1, v10, s[0:3], 0 offen offset:124
	;; [unrolled: 1-line block ×4, first 2 shown]
	ds_read_b128 v[8:11], v6 offset:112
	s_waitcnt vmcnt(2) lgkmcnt(0)
	v_mul_f64 v[14:15], v[10:11], v[0:1]
	v_mul_f64 v[0:1], v[8:9], v[0:1]
	s_waitcnt vmcnt(0)
	v_fma_f64 v[8:9], v[8:9], v[12:13], -v[14:15]
	v_fmac_f64_e32 v[0:1], v[10:11], v[12:13]
	v_add_f64 v[4:5], v[4:5], v[8:9]
	v_add_f64 v[2:3], v[2:3], v[0:1]
.LBB63_52:
	s_or_b64 exec, exec, s[28:29]
.LBB63_53:
	s_or_b64 exec, exec, s[6:7]
.LBB63_54:
	s_or_b64 exec, exec, s[26:27]
.LBB63_55:
	s_or_b64 exec, exec, s[10:11]
.LBB63_56:
	s_or_b64 exec, exec, s[24:25]
.LBB63_57:
	s_or_b64 exec, exec, s[12:13]
.LBB63_58:
	s_or_b64 exec, exec, s[18:19]
	v_mov_b32_e32 v0, 0
	ds_read_b128 v[8:11], v0 offset:128
	s_waitcnt lgkmcnt(0)
	v_mul_f64 v[0:1], v[2:3], v[10:11]
	v_mul_f64 v[10:11], v[4:5], v[10:11]
	v_fma_f64 v[0:1], v[4:5], v[8:9], -v[0:1]
	v_fmac_f64_e32 v[10:11], v[2:3], v[8:9]
	buffer_store_dword v1, off, s[0:3], 0 offset:148
	buffer_store_dword v0, off, s[0:3], 0 offset:144
	;; [unrolled: 1-line block ×4, first 2 shown]
.LBB63_59:
	s_or_b64 exec, exec, s[16:17]
	v_accvgpr_read_b32 v3, a182
	s_waitcnt lgkmcnt(0)
	; wave barrier
	buffer_load_dword v0, v3, s[0:3], 0 offen
	buffer_load_dword v1, v3, s[0:3], 0 offen offset:4
	buffer_load_dword v2, v3, s[0:3], 0 offen offset:8
	s_nop 0
	buffer_load_dword v3, v3, s[0:3], 0 offen offset:12
	v_cmp_gt_u32_e32 vcc, 9, v254
	s_waitcnt vmcnt(0)
	ds_write_b128 v6, v[0:3]
	s_waitcnt lgkmcnt(0)
	; wave barrier
	s_waitcnt lgkmcnt(0)
	s_and_saveexec_b64 s[4:5], vcc
	s_cbranch_execz .LBB63_63
; %bb.60:
	v_pk_mov_b32 v[0:1], 0, 0
	v_add_u32_e32 v4, -1, v254
	v_or_b32_e32 v5, 0x400, v94
	v_add_u32_e32 v8, 16, v94
	s_mov_b64 s[6:7], 0
	v_pk_mov_b32 v[2:3], v[0:1], v[0:1] op_sel:[0,1]
.LBB63_61:                              ; =>This Inner Loop Header: Depth=1
	buffer_load_dword v14, v8, s[0:3], 0 offen offset:8
	buffer_load_dword v15, v8, s[0:3], 0 offen offset:12
	buffer_load_dword v16, v8, s[0:3], 0 offen
	buffer_load_dword v17, v8, s[0:3], 0 offen offset:4
	ds_read_b128 v[10:13], v5
	v_add_u32_e32 v4, 1, v4
	v_cmp_lt_u32_e32 vcc, 7, v4
	v_add_u32_e32 v5, 16, v5
	v_add_u32_e32 v8, 16, v8
	s_or_b64 s[6:7], vcc, s[6:7]
	s_waitcnt vmcnt(2) lgkmcnt(0)
	v_mul_f64 v[18:19], v[12:13], v[14:15]
	v_mul_f64 v[14:15], v[10:11], v[14:15]
	s_waitcnt vmcnt(0)
	v_fma_f64 v[10:11], v[10:11], v[16:17], -v[18:19]
	v_fmac_f64_e32 v[14:15], v[12:13], v[16:17]
	v_add_f64 v[2:3], v[2:3], v[10:11]
	v_add_f64 v[0:1], v[0:1], v[14:15]
	s_andn2_b64 exec, exec, s[6:7]
	s_cbranch_execnz .LBB63_61
; %bb.62:
	s_or_b64 exec, exec, s[6:7]
	v_mov_b32_e32 v4, 0
	ds_read_b128 v[8:11], v4 offset:144
	s_waitcnt lgkmcnt(0)
	v_mul_f64 v[4:5], v[0:1], v[10:11]
	v_mul_f64 v[10:11], v[2:3], v[10:11]
	v_fma_f64 v[2:3], v[2:3], v[8:9], -v[4:5]
	v_fmac_f64_e32 v[10:11], v[0:1], v[8:9]
	buffer_store_dword v3, off, s[0:3], 0 offset:164
	buffer_store_dword v2, off, s[0:3], 0 offset:160
	buffer_store_dword v11, off, s[0:3], 0 offset:172
	buffer_store_dword v10, off, s[0:3], 0 offset:168
.LBB63_63:
	s_or_b64 exec, exec, s[4:5]
	v_accvgpr_read_b32 v3, a181
	s_waitcnt lgkmcnt(0)
	; wave barrier
	buffer_load_dword v0, v3, s[0:3], 0 offen
	buffer_load_dword v1, v3, s[0:3], 0 offen offset:4
	buffer_load_dword v2, v3, s[0:3], 0 offen offset:8
	s_nop 0
	buffer_load_dword v3, v3, s[0:3], 0 offen offset:12
	v_cmp_gt_u32_e32 vcc, 10, v254
	s_waitcnt vmcnt(0)
	ds_write_b128 v6, v[0:3]
	s_waitcnt lgkmcnt(0)
	; wave barrier
	s_waitcnt lgkmcnt(0)
	s_and_saveexec_b64 s[4:5], vcc
	s_cbranch_execz .LBB63_67
; %bb.64:
	v_pk_mov_b32 v[0:1], 0, 0
	v_add_u32_e32 v4, -1, v254
	v_or_b32_e32 v5, 0x400, v94
	v_add_u32_e32 v8, 16, v94
	s_mov_b64 s[6:7], 0
	v_pk_mov_b32 v[2:3], v[0:1], v[0:1] op_sel:[0,1]
.LBB63_65:                              ; =>This Inner Loop Header: Depth=1
	buffer_load_dword v14, v8, s[0:3], 0 offen offset:8
	buffer_load_dword v15, v8, s[0:3], 0 offen offset:12
	buffer_load_dword v16, v8, s[0:3], 0 offen
	buffer_load_dword v17, v8, s[0:3], 0 offen offset:4
	ds_read_b128 v[10:13], v5
	v_add_u32_e32 v4, 1, v4
	v_cmp_lt_u32_e32 vcc, 8, v4
	v_add_u32_e32 v5, 16, v5
	v_add_u32_e32 v8, 16, v8
	s_or_b64 s[6:7], vcc, s[6:7]
	s_waitcnt vmcnt(2) lgkmcnt(0)
	v_mul_f64 v[18:19], v[12:13], v[14:15]
	v_mul_f64 v[14:15], v[10:11], v[14:15]
	s_waitcnt vmcnt(0)
	v_fma_f64 v[10:11], v[10:11], v[16:17], -v[18:19]
	v_fmac_f64_e32 v[14:15], v[12:13], v[16:17]
	v_add_f64 v[2:3], v[2:3], v[10:11]
	v_add_f64 v[0:1], v[0:1], v[14:15]
	s_andn2_b64 exec, exec, s[6:7]
	s_cbranch_execnz .LBB63_65
; %bb.66:
	s_or_b64 exec, exec, s[6:7]
	v_mov_b32_e32 v4, 0
	ds_read_b128 v[8:11], v4 offset:160
	s_waitcnt lgkmcnt(0)
	v_mul_f64 v[4:5], v[0:1], v[10:11]
	v_mul_f64 v[10:11], v[2:3], v[10:11]
	v_fma_f64 v[2:3], v[2:3], v[8:9], -v[4:5]
	v_fmac_f64_e32 v[10:11], v[0:1], v[8:9]
	buffer_store_dword v3, off, s[0:3], 0 offset:180
	buffer_store_dword v2, off, s[0:3], 0 offset:176
	buffer_store_dword v11, off, s[0:3], 0 offset:188
	buffer_store_dword v10, off, s[0:3], 0 offset:184
.LBB63_67:
	;; [unrolled: 59-line block ×10, first 2 shown]
	s_or_b64 exec, exec, s[4:5]
	v_accvgpr_read_b32 v3, a172
	s_waitcnt lgkmcnt(0)
	; wave barrier
	buffer_load_dword v0, v3, s[0:3], 0 offen
	buffer_load_dword v1, v3, s[0:3], 0 offen offset:4
	buffer_load_dword v2, v3, s[0:3], 0 offen offset:8
	s_nop 0
	buffer_load_dword v3, v3, s[0:3], 0 offen offset:12
	v_cmp_gt_u32_e32 vcc, 19, v254
	s_waitcnt vmcnt(0)
	ds_write_b128 v6, v[0:3]
	s_waitcnt lgkmcnt(0)
	; wave barrier
	s_waitcnt lgkmcnt(0)
	s_and_saveexec_b64 s[4:5], vcc
	s_cbranch_execz .LBB63_103
; %bb.100:
	v_pk_mov_b32 v[0:1], 0, 0
	v_add_u32_e32 v4, -1, v254
	v_or_b32_e32 v5, 0x400, v94
	v_add_u32_e32 v8, 16, v94
	s_mov_b64 s[6:7], 0
	v_pk_mov_b32 v[2:3], v[0:1], v[0:1] op_sel:[0,1]
.LBB63_101:                             ; =>This Inner Loop Header: Depth=1
	buffer_load_dword v14, v8, s[0:3], 0 offen offset:8
	buffer_load_dword v15, v8, s[0:3], 0 offen offset:12
	buffer_load_dword v16, v8, s[0:3], 0 offen
	buffer_load_dword v17, v8, s[0:3], 0 offen offset:4
	ds_read_b128 v[10:13], v5
	v_add_u32_e32 v4, 1, v4
	v_cmp_lt_u32_e32 vcc, 17, v4
	v_add_u32_e32 v5, 16, v5
	v_add_u32_e32 v8, 16, v8
	s_or_b64 s[6:7], vcc, s[6:7]
	s_waitcnt vmcnt(2) lgkmcnt(0)
	v_mul_f64 v[18:19], v[12:13], v[14:15]
	v_mul_f64 v[14:15], v[10:11], v[14:15]
	s_waitcnt vmcnt(0)
	v_fma_f64 v[10:11], v[10:11], v[16:17], -v[18:19]
	v_fmac_f64_e32 v[14:15], v[12:13], v[16:17]
	v_add_f64 v[2:3], v[2:3], v[10:11]
	v_add_f64 v[0:1], v[0:1], v[14:15]
	s_andn2_b64 exec, exec, s[6:7]
	s_cbranch_execnz .LBB63_101
; %bb.102:
	s_or_b64 exec, exec, s[6:7]
	v_mov_b32_e32 v4, 0
	ds_read_b128 v[8:11], v4 offset:304
	s_waitcnt lgkmcnt(0)
	v_mul_f64 v[4:5], v[0:1], v[10:11]
	v_mul_f64 v[10:11], v[2:3], v[10:11]
	v_fma_f64 v[2:3], v[2:3], v[8:9], -v[4:5]
	v_fmac_f64_e32 v[10:11], v[0:1], v[8:9]
	buffer_store_dword v3, off, s[0:3], 0 offset:324
	buffer_store_dword v2, off, s[0:3], 0 offset:320
	buffer_store_dword v11, off, s[0:3], 0 offset:332
	buffer_store_dword v10, off, s[0:3], 0 offset:328
.LBB63_103:
	s_or_b64 exec, exec, s[4:5]
	v_accvgpr_read_b32 v3, a171
	s_waitcnt lgkmcnt(0)
	; wave barrier
	buffer_load_dword v0, v3, s[0:3], 0 offen
	buffer_load_dword v1, v3, s[0:3], 0 offen offset:4
	buffer_load_dword v2, v3, s[0:3], 0 offen offset:8
	s_nop 0
	buffer_load_dword v3, v3, s[0:3], 0 offen offset:12
	v_cmp_gt_u32_e32 vcc, 20, v254
	s_waitcnt vmcnt(0)
	ds_write_b128 v6, v[0:3]
	s_waitcnt lgkmcnt(0)
	; wave barrier
	s_waitcnt lgkmcnt(0)
	s_and_saveexec_b64 s[4:5], vcc
	s_cbranch_execz .LBB63_107
; %bb.104:
	v_pk_mov_b32 v[0:1], 0, 0
	v_add_u32_e32 v4, -1, v254
	v_or_b32_e32 v5, 0x400, v94
	v_add_u32_e32 v8, 16, v94
	s_mov_b64 s[6:7], 0
	v_pk_mov_b32 v[2:3], v[0:1], v[0:1] op_sel:[0,1]
.LBB63_105:                             ; =>This Inner Loop Header: Depth=1
	buffer_load_dword v14, v8, s[0:3], 0 offen offset:8
	buffer_load_dword v15, v8, s[0:3], 0 offen offset:12
	buffer_load_dword v16, v8, s[0:3], 0 offen
	buffer_load_dword v17, v8, s[0:3], 0 offen offset:4
	ds_read_b128 v[10:13], v5
	v_add_u32_e32 v4, 1, v4
	v_cmp_lt_u32_e32 vcc, 18, v4
	v_add_u32_e32 v5, 16, v5
	v_add_u32_e32 v8, 16, v8
	s_or_b64 s[6:7], vcc, s[6:7]
	s_waitcnt vmcnt(2) lgkmcnt(0)
	v_mul_f64 v[18:19], v[12:13], v[14:15]
	v_mul_f64 v[14:15], v[10:11], v[14:15]
	s_waitcnt vmcnt(0)
	v_fma_f64 v[10:11], v[10:11], v[16:17], -v[18:19]
	v_fmac_f64_e32 v[14:15], v[12:13], v[16:17]
	v_add_f64 v[2:3], v[2:3], v[10:11]
	v_add_f64 v[0:1], v[0:1], v[14:15]
	s_andn2_b64 exec, exec, s[6:7]
	s_cbranch_execnz .LBB63_105
; %bb.106:
	s_or_b64 exec, exec, s[6:7]
	v_mov_b32_e32 v4, 0
	ds_read_b128 v[8:11], v4 offset:320
	s_waitcnt lgkmcnt(0)
	v_mul_f64 v[4:5], v[0:1], v[10:11]
	v_mul_f64 v[10:11], v[2:3], v[10:11]
	v_fma_f64 v[2:3], v[2:3], v[8:9], -v[4:5]
	v_fmac_f64_e32 v[10:11], v[0:1], v[8:9]
	buffer_store_dword v3, off, s[0:3], 0 offset:340
	buffer_store_dword v2, off, s[0:3], 0 offset:336
	buffer_store_dword v11, off, s[0:3], 0 offset:348
	buffer_store_dword v10, off, s[0:3], 0 offset:344
.LBB63_107:
	;; [unrolled: 59-line block ×44, first 2 shown]
	s_or_b64 exec, exec, s[4:5]
	v_accvgpr_read_b32 v3, a128
	s_waitcnt lgkmcnt(0)
	; wave barrier
	buffer_load_dword v0, v3, s[0:3], 0 offen
	buffer_load_dword v1, v3, s[0:3], 0 offen offset:4
	buffer_load_dword v2, v3, s[0:3], 0 offen offset:8
	s_nop 0
	buffer_load_dword v3, v3, s[0:3], 0 offen offset:12
	v_cmp_ne_u32_e32 vcc, 63, v254
	s_waitcnt vmcnt(0)
	ds_write_b128 v6, v[0:3]
	s_waitcnt lgkmcnt(0)
	; wave barrier
	s_waitcnt lgkmcnt(0)
	s_and_saveexec_b64 s[4:5], vcc
	s_cbranch_execz .LBB63_279
; %bb.276:
	v_pk_mov_b32 v[0:1], 0, 0
	v_or_b32_e32 v4, 0x400, v94
	v_add_u32_e32 v5, 16, v94
	s_mov_b64 s[6:7], 0
	v_pk_mov_b32 v[2:3], v[0:1], v[0:1] op_sel:[0,1]
.LBB63_277:                             ; =>This Inner Loop Header: Depth=1
	buffer_load_dword v12, v5, s[0:3], 0 offen offset:8
	buffer_load_dword v13, v5, s[0:3], 0 offen offset:12
	buffer_load_dword v14, v5, s[0:3], 0 offen
	buffer_load_dword v15, v5, s[0:3], 0 offen offset:4
	ds_read_b128 v[8:11], v4
	v_add_u32_e32 v7, 1, v7
	v_cmp_lt_u32_e32 vcc, 61, v7
	v_add_u32_e32 v4, 16, v4
	v_add_u32_e32 v5, 16, v5
	s_or_b64 s[6:7], vcc, s[6:7]
	s_waitcnt vmcnt(2) lgkmcnt(0)
	v_mul_f64 v[16:17], v[10:11], v[12:13]
	v_mul_f64 v[12:13], v[8:9], v[12:13]
	s_waitcnt vmcnt(0)
	v_fma_f64 v[8:9], v[8:9], v[14:15], -v[16:17]
	v_fmac_f64_e32 v[12:13], v[10:11], v[14:15]
	v_add_f64 v[2:3], v[2:3], v[8:9]
	v_add_f64 v[0:1], v[0:1], v[12:13]
	s_andn2_b64 exec, exec, s[6:7]
	s_cbranch_execnz .LBB63_277
; %bb.278:
	s_or_b64 exec, exec, s[6:7]
	v_mov_b32_e32 v4, 0
	ds_read_b128 v[4:7], v4 offset:1008
	s_waitcnt lgkmcnt(0)
	v_mul_f64 v[8:9], v[0:1], v[6:7]
	v_mul_f64 v[6:7], v[2:3], v[6:7]
	v_fma_f64 v[2:3], v[2:3], v[4:5], -v[8:9]
	v_fmac_f64_e32 v[6:7], v[0:1], v[4:5]
	buffer_store_dword v3, off, s[0:3], 0 offset:1028
	buffer_store_dword v2, off, s[0:3], 0 offset:1024
	;; [unrolled: 1-line block ×4, first 2 shown]
.LBB63_279:
	s_or_b64 exec, exec, s[4:5]
	s_mov_b64 s[6:7], -1
	s_waitcnt lgkmcnt(0)
	; wave barrier
.LBB63_280:
	s_and_b64 vcc, exec, s[6:7]
	s_cbranch_vccz .LBB63_282
; %bb.281:
	s_lshl_b64 s[4:5], s[8:9], 2
	s_add_u32 s4, s14, s4
	s_addc_u32 s5, s15, s5
	v_mov_b32_e32 v0, 0
	global_load_dword v0, v0, s[4:5]
	s_waitcnt vmcnt(0)
	v_cmp_ne_u32_e32 vcc, 0, v0
	s_cbranch_vccz .LBB63_283
.LBB63_282:
	s_endpgm
.LBB63_283:
	v_mov_b32_e32 v0, 0x400
	v_lshl_or_b32 v0, v254, 4, v0
	v_accvgpr_write_b32 a192, v0
	v_cmp_eq_u32_e32 vcc, 63, v254
	s_and_saveexec_b64 s[4:5], vcc
	s_cbranch_execz .LBB63_285
; %bb.284:
	v_accvgpr_read_b32 v3, a129
	buffer_load_dword v0, v3, s[0:3], 0 offen
	buffer_load_dword v1, v3, s[0:3], 0 offen offset:4
	buffer_load_dword v2, v3, s[0:3], 0 offen offset:8
	s_nop 0
	buffer_load_dword v3, v3, s[0:3], 0 offen offset:12
	v_mov_b32_e32 v4, 0
	v_accvgpr_read_b32 v5, a192
	buffer_store_dword v4, off, s[0:3], 0 offset:1008
	buffer_store_dword v4, off, s[0:3], 0 offset:1012
	;; [unrolled: 1-line block ×4, first 2 shown]
	s_waitcnt vmcnt(4)
	ds_write_b128 v5, v[0:3]
.LBB63_285:
	s_or_b64 exec, exec, s[4:5]
	s_waitcnt lgkmcnt(0)
	; wave barrier
	s_waitcnt lgkmcnt(0)
	buffer_load_dword v6, off, s[0:3], 0 offset:1032
	buffer_load_dword v7, off, s[0:3], 0 offset:1036
	buffer_load_dword v8, off, s[0:3], 0 offset:1024
	buffer_load_dword v9, off, s[0:3], 0 offset:1028
	buffer_load_dword v10, off, s[0:3], 0 offset:1008
	buffer_load_dword v11, off, s[0:3], 0 offset:1012
	buffer_load_dword v12, off, s[0:3], 0 offset:1016
	buffer_load_dword v13, off, s[0:3], 0 offset:1020
	v_mov_b32_e32 v0, 0
	ds_read_b128 v[2:5], v0 offset:2032
	v_cmp_lt_u32_e32 vcc, 61, v254
	s_waitcnt vmcnt(6) lgkmcnt(0)
	v_mul_f64 v[14:15], v[2:3], v[6:7]
	v_mul_f64 v[6:7], v[4:5], v[6:7]
	s_waitcnt vmcnt(4)
	v_fma_f64 v[2:3], v[2:3], v[8:9], -v[6:7]
	v_fmac_f64_e32 v[14:15], v[4:5], v[8:9]
	v_add_f64 v[2:3], v[2:3], 0
	v_add_f64 v[4:5], v[14:15], 0
	s_waitcnt vmcnt(2)
	v_add_f64 v[2:3], v[10:11], -v[2:3]
	s_waitcnt vmcnt(0)
	v_add_f64 v[4:5], v[12:13], -v[4:5]
	buffer_store_dword v2, off, s[0:3], 0 offset:1008
	buffer_store_dword v3, off, s[0:3], 0 offset:1012
	buffer_store_dword v4, off, s[0:3], 0 offset:1016
	buffer_store_dword v5, off, s[0:3], 0 offset:1020
	s_and_saveexec_b64 s[4:5], vcc
	s_cbranch_execz .LBB63_287
; %bb.286:
	v_accvgpr_read_b32 v1, a130
	buffer_load_dword v2, v1, s[0:3], 0 offen
	buffer_load_dword v3, v1, s[0:3], 0 offen offset:4
	buffer_load_dword v4, v1, s[0:3], 0 offen offset:8
	;; [unrolled: 1-line block ×3, first 2 shown]
	v_accvgpr_read_b32 v1, a192
	buffer_store_dword v0, off, s[0:3], 0 offset:992
	buffer_store_dword v0, off, s[0:3], 0 offset:996
	;; [unrolled: 1-line block ×4, first 2 shown]
	s_waitcnt vmcnt(4)
	ds_write_b128 v1, v[2:5]
.LBB63_287:
	s_or_b64 exec, exec, s[4:5]
	s_waitcnt lgkmcnt(0)
	; wave barrier
	s_waitcnt lgkmcnt(0)
	buffer_load_dword v10, off, s[0:3], 0 offset:1016
	buffer_load_dword v11, off, s[0:3], 0 offset:1020
	;; [unrolled: 1-line block ×12, first 2 shown]
	ds_read_b128 v[2:5], v0 offset:2016
	ds_read_b128 v[6:9], v0 offset:2032
	v_cmp_lt_u32_e32 vcc, 60, v254
	s_waitcnt vmcnt(10) lgkmcnt(1)
	v_mul_f64 v[0:1], v[2:3], v[10:11]
	v_mul_f64 v[10:11], v[4:5], v[10:11]
	s_waitcnt vmcnt(8) lgkmcnt(0)
	v_mul_f64 v[22:23], v[6:7], v[12:13]
	v_mul_f64 v[12:13], v[8:9], v[12:13]
	s_waitcnt vmcnt(6)
	v_fma_f64 v[2:3], v[2:3], v[14:15], -v[10:11]
	v_fmac_f64_e32 v[0:1], v[4:5], v[14:15]
	s_waitcnt vmcnt(4)
	v_fma_f64 v[4:5], v[6:7], v[16:17], -v[12:13]
	v_add_f64 v[2:3], v[2:3], 0
	v_fmac_f64_e32 v[22:23], v[8:9], v[16:17]
	v_add_f64 v[0:1], v[0:1], 0
	v_add_f64 v[2:3], v[2:3], v[4:5]
	;; [unrolled: 1-line block ×3, first 2 shown]
	s_waitcnt vmcnt(2)
	v_add_f64 v[2:3], v[18:19], -v[2:3]
	s_waitcnt vmcnt(0)
	v_add_f64 v[0:1], v[20:21], -v[0:1]
	buffer_store_dword v2, off, s[0:3], 0 offset:992
	buffer_store_dword v3, off, s[0:3], 0 offset:996
	;; [unrolled: 1-line block ×4, first 2 shown]
	s_and_saveexec_b64 s[4:5], vcc
	s_cbranch_execz .LBB63_289
; %bb.288:
	v_accvgpr_read_b32 v3, a131
	buffer_load_dword v0, v3, s[0:3], 0 offen
	buffer_load_dword v1, v3, s[0:3], 0 offen offset:4
	buffer_load_dword v2, v3, s[0:3], 0 offen offset:8
	s_nop 0
	buffer_load_dword v3, v3, s[0:3], 0 offen offset:12
	v_mov_b32_e32 v4, 0
	v_accvgpr_read_b32 v5, a192
	buffer_store_dword v4, off, s[0:3], 0 offset:976
	buffer_store_dword v4, off, s[0:3], 0 offset:980
	;; [unrolled: 1-line block ×4, first 2 shown]
	s_waitcnt vmcnt(4)
	ds_write_b128 v5, v[0:3]
.LBB63_289:
	s_or_b64 exec, exec, s[4:5]
	s_waitcnt lgkmcnt(0)
	; wave barrier
	s_waitcnt lgkmcnt(0)
	buffer_load_dword v14, off, s[0:3], 0 offset:1000
	buffer_load_dword v15, off, s[0:3], 0 offset:1004
	;; [unrolled: 1-line block ×16, first 2 shown]
	v_mov_b32_e32 v0, 0
	ds_read_b128 v[2:5], v0 offset:2000
	ds_read_b128 v[6:9], v0 offset:2016
	;; [unrolled: 1-line block ×3, first 2 shown]
	v_cmp_lt_u32_e32 vcc, 59, v254
	s_waitcnt vmcnt(14) lgkmcnt(2)
	v_mul_f64 v[30:31], v[2:3], v[14:15]
	v_mul_f64 v[14:15], v[4:5], v[14:15]
	s_waitcnt vmcnt(12) lgkmcnt(1)
	v_mul_f64 v[32:33], v[6:7], v[16:17]
	v_mul_f64 v[16:17], v[8:9], v[16:17]
	s_waitcnt vmcnt(10) lgkmcnt(0)
	v_mul_f64 v[34:35], v[10:11], v[18:19]
	v_mul_f64 v[18:19], v[12:13], v[18:19]
	s_waitcnt vmcnt(8)
	v_fma_f64 v[2:3], v[2:3], v[20:21], -v[14:15]
	v_fmac_f64_e32 v[30:31], v[4:5], v[20:21]
	s_waitcnt vmcnt(6)
	v_fma_f64 v[4:5], v[6:7], v[22:23], -v[16:17]
	v_add_f64 v[2:3], v[2:3], 0
	v_fmac_f64_e32 v[32:33], v[8:9], v[22:23]
	s_waitcnt vmcnt(4)
	v_fma_f64 v[6:7], v[10:11], v[24:25], -v[18:19]
	v_add_f64 v[8:9], v[30:31], 0
	v_add_f64 v[2:3], v[2:3], v[4:5]
	v_fmac_f64_e32 v[34:35], v[12:13], v[24:25]
	v_add_f64 v[8:9], v[8:9], v[32:33]
	v_add_f64 v[2:3], v[2:3], v[6:7]
	;; [unrolled: 1-line block ×3, first 2 shown]
	s_waitcnt vmcnt(2)
	v_add_f64 v[2:3], v[26:27], -v[2:3]
	s_waitcnt vmcnt(0)
	v_add_f64 v[4:5], v[28:29], -v[4:5]
	buffer_store_dword v2, off, s[0:3], 0 offset:976
	buffer_store_dword v3, off, s[0:3], 0 offset:980
	;; [unrolled: 1-line block ×4, first 2 shown]
	s_and_saveexec_b64 s[4:5], vcc
	s_cbranch_execz .LBB63_291
; %bb.290:
	v_accvgpr_read_b32 v1, a132
	buffer_load_dword v2, v1, s[0:3], 0 offen
	buffer_load_dword v3, v1, s[0:3], 0 offen offset:4
	buffer_load_dword v4, v1, s[0:3], 0 offen offset:8
	buffer_load_dword v5, v1, s[0:3], 0 offen offset:12
	v_accvgpr_read_b32 v1, a192
	buffer_store_dword v0, off, s[0:3], 0 offset:960
	buffer_store_dword v0, off, s[0:3], 0 offset:964
	;; [unrolled: 1-line block ×4, first 2 shown]
	s_waitcnt vmcnt(4)
	ds_write_b128 v1, v[2:5]
.LBB63_291:
	s_or_b64 exec, exec, s[4:5]
	s_waitcnt lgkmcnt(0)
	; wave barrier
	s_waitcnt lgkmcnt(0)
	buffer_load_dword v18, off, s[0:3], 0 offset:984
	buffer_load_dword v19, off, s[0:3], 0 offset:988
	;; [unrolled: 1-line block ×20, first 2 shown]
	ds_read_b128 v[2:5], v0 offset:1984
	ds_read_b128 v[6:9], v0 offset:2000
	;; [unrolled: 1-line block ×4, first 2 shown]
	v_cmp_lt_u32_e32 vcc, 58, v254
	s_waitcnt vmcnt(18) lgkmcnt(3)
	v_mul_f64 v[0:1], v[2:3], v[18:19]
	v_mul_f64 v[18:19], v[4:5], v[18:19]
	s_waitcnt vmcnt(16) lgkmcnt(2)
	v_mul_f64 v[38:39], v[6:7], v[20:21]
	v_mul_f64 v[20:21], v[8:9], v[20:21]
	;; [unrolled: 3-line block ×4, first 2 shown]
	s_waitcnt vmcnt(10)
	v_fma_f64 v[2:3], v[2:3], v[26:27], -v[18:19]
	v_fmac_f64_e32 v[0:1], v[4:5], v[26:27]
	s_waitcnt vmcnt(8)
	v_fma_f64 v[4:5], v[6:7], v[28:29], -v[20:21]
	v_add_f64 v[2:3], v[2:3], 0
	v_fmac_f64_e32 v[38:39], v[8:9], v[28:29]
	s_waitcnt vmcnt(6)
	v_fma_f64 v[6:7], v[10:11], v[30:31], -v[22:23]
	v_add_f64 v[0:1], v[0:1], 0
	v_add_f64 v[2:3], v[2:3], v[4:5]
	v_fmac_f64_e32 v[40:41], v[12:13], v[30:31]
	s_waitcnt vmcnt(4)
	v_fma_f64 v[8:9], v[14:15], v[32:33], -v[24:25]
	v_add_f64 v[0:1], v[0:1], v[38:39]
	v_add_f64 v[2:3], v[2:3], v[6:7]
	v_fmac_f64_e32 v[42:43], v[16:17], v[32:33]
	v_add_f64 v[0:1], v[0:1], v[40:41]
	v_add_f64 v[2:3], v[2:3], v[8:9]
	;; [unrolled: 1-line block ×3, first 2 shown]
	s_waitcnt vmcnt(2)
	v_add_f64 v[2:3], v[34:35], -v[2:3]
	s_waitcnt vmcnt(0)
	v_add_f64 v[0:1], v[36:37], -v[0:1]
	buffer_store_dword v2, off, s[0:3], 0 offset:960
	buffer_store_dword v3, off, s[0:3], 0 offset:964
	;; [unrolled: 1-line block ×4, first 2 shown]
	s_and_saveexec_b64 s[4:5], vcc
	s_cbranch_execz .LBB63_293
; %bb.292:
	v_accvgpr_read_b32 v3, a133
	buffer_load_dword v0, v3, s[0:3], 0 offen
	buffer_load_dword v1, v3, s[0:3], 0 offen offset:4
	buffer_load_dword v2, v3, s[0:3], 0 offen offset:8
	s_nop 0
	buffer_load_dword v3, v3, s[0:3], 0 offen offset:12
	v_mov_b32_e32 v4, 0
	v_accvgpr_read_b32 v5, a192
	buffer_store_dword v4, off, s[0:3], 0 offset:944
	buffer_store_dword v4, off, s[0:3], 0 offset:948
	;; [unrolled: 1-line block ×4, first 2 shown]
	s_waitcnt vmcnt(4)
	ds_write_b128 v5, v[0:3]
.LBB63_293:
	s_or_b64 exec, exec, s[4:5]
	s_waitcnt lgkmcnt(0)
	; wave barrier
	s_waitcnt lgkmcnt(0)
	buffer_load_dword v22, off, s[0:3], 0 offset:968
	buffer_load_dword v23, off, s[0:3], 0 offset:972
	;; [unrolled: 1-line block ×24, first 2 shown]
	v_mov_b32_e32 v0, 0
	ds_read_b128 v[2:5], v0 offset:1968
	ds_read_b128 v[6:9], v0 offset:1984
	;; [unrolled: 1-line block ×5, first 2 shown]
	v_cmp_lt_u32_e32 vcc, 57, v254
	s_waitcnt vmcnt(22) lgkmcnt(4)
	v_mul_f64 v[46:47], v[2:3], v[22:23]
	v_mul_f64 v[22:23], v[4:5], v[22:23]
	s_waitcnt vmcnt(20) lgkmcnt(3)
	v_mul_f64 v[48:49], v[6:7], v[24:25]
	v_mul_f64 v[24:25], v[8:9], v[24:25]
	;; [unrolled: 3-line block ×4, first 2 shown]
	s_waitcnt vmcnt(13) lgkmcnt(0)
	v_mul_f64 v[54:55], v[18:19], v[28:29]
	s_waitcnt vmcnt(11)
	v_fma_f64 v[2:3], v[2:3], v[34:35], -v[22:23]
	v_fmac_f64_e32 v[46:47], v[4:5], v[34:35]
	s_waitcnt vmcnt(9)
	v_fma_f64 v[4:5], v[6:7], v[36:37], -v[24:25]
	v_add_f64 v[2:3], v[2:3], 0
	v_fmac_f64_e32 v[48:49], v[8:9], v[36:37]
	s_waitcnt vmcnt(7)
	v_fmac_f64_e32 v[50:51], v[12:13], v[38:39]
	v_fma_f64 v[6:7], v[10:11], v[38:39], -v[26:27]
	v_add_f64 v[12:13], v[46:47], 0
	v_add_f64 v[2:3], v[2:3], v[4:5]
	v_mul_f64 v[28:29], v[20:21], v[28:29]
	s_waitcnt vmcnt(5)
	v_fma_f64 v[8:9], v[14:15], v[40:41], -v[32:33]
	v_add_f64 v[12:13], v[12:13], v[48:49]
	v_add_f64 v[2:3], v[2:3], v[6:7]
	v_fmac_f64_e32 v[52:53], v[16:17], v[40:41]
	s_waitcnt vmcnt(4)
	v_fma_f64 v[10:11], v[18:19], v[30:31], -v[28:29]
	v_add_f64 v[4:5], v[12:13], v[50:51]
	v_add_f64 v[2:3], v[2:3], v[8:9]
	v_fmac_f64_e32 v[54:55], v[20:21], v[30:31]
	v_add_f64 v[4:5], v[4:5], v[52:53]
	v_add_f64 v[2:3], v[2:3], v[10:11]
	v_add_f64 v[4:5], v[4:5], v[54:55]
	s_waitcnt vmcnt(2)
	v_add_f64 v[2:3], v[42:43], -v[2:3]
	s_waitcnt vmcnt(0)
	v_add_f64 v[4:5], v[44:45], -v[4:5]
	buffer_store_dword v3, off, s[0:3], 0 offset:948
	buffer_store_dword v2, off, s[0:3], 0 offset:944
	;; [unrolled: 1-line block ×4, first 2 shown]
	s_and_saveexec_b64 s[4:5], vcc
	s_cbranch_execz .LBB63_295
; %bb.294:
	v_accvgpr_read_b32 v1, a134
	buffer_load_dword v2, v1, s[0:3], 0 offen
	buffer_load_dword v3, v1, s[0:3], 0 offen offset:4
	buffer_load_dword v4, v1, s[0:3], 0 offen offset:8
	;; [unrolled: 1-line block ×3, first 2 shown]
	v_accvgpr_read_b32 v1, a192
	buffer_store_dword v0, off, s[0:3], 0 offset:928
	buffer_store_dword v0, off, s[0:3], 0 offset:932
	;; [unrolled: 1-line block ×4, first 2 shown]
	s_waitcnt vmcnt(4)
	ds_write_b128 v1, v[2:5]
.LBB63_295:
	s_or_b64 exec, exec, s[4:5]
	s_waitcnt lgkmcnt(0)
	; wave barrier
	s_waitcnt lgkmcnt(0)
	ds_read_b128 v[14:17], v0 offset:1952
	ds_read_b128 v[10:13], v0 offset:1968
	ds_read_b128 v[6:9], v0 offset:1984
	ds_read_b128 v[2:5], v0 offset:2000
	buffer_load_dword v24, off, s[0:3], 0 offset:928
	buffer_load_dword v25, off, s[0:3], 0 offset:932
	;; [unrolled: 1-line block ×20, first 2 shown]
	v_cmp_lt_u32_e32 vcc, 56, v254
	s_waitcnt vmcnt(12) lgkmcnt(3)
	v_mul_f64 v[18:19], v[14:15], v[32:33]
	v_fmac_f64_e32 v[18:19], v[16:17], v[26:27]
	v_add_f64 v[18:19], v[18:19], 0
	v_mul_f64 v[16:17], v[16:17], v[32:33]
	s_waitcnt vmcnt(8) lgkmcnt(2)
	v_mul_f64 v[20:21], v[10:11], v[34:35]
	v_fmac_f64_e32 v[20:21], v[12:13], v[28:29]
	v_add_f64 v[18:19], v[18:19], v[20:21]
	v_fma_f64 v[14:15], v[14:15], v[26:27], -v[16:17]
	s_waitcnt vmcnt(4) lgkmcnt(1)
	v_mul_f64 v[20:21], v[6:7], v[38:39]
	v_fmac_f64_e32 v[20:21], v[8:9], v[30:31]
	v_add_f64 v[18:19], v[18:19], v[20:21]
	s_waitcnt vmcnt(0) lgkmcnt(0)
	v_mul_f64 v[20:21], v[2:3], v[42:43]
	v_fmac_f64_e32 v[20:21], v[4:5], v[40:41]
	v_add_f64 v[44:45], v[18:19], v[20:21]
	ds_read_b128 v[18:21], v0 offset:2016
	buffer_load_dword v37, off, s[0:3], 0 offset:1012
	buffer_load_dword v36, off, s[0:3], 0 offset:1008
	;; [unrolled: 1-line block ×4, first 2 shown]
	v_mul_f64 v[12:13], v[12:13], v[34:35]
	v_add_f64 v[14:15], v[14:15], 0
	v_fma_f64 v[10:11], v[10:11], v[28:29], -v[12:13]
	v_mul_f64 v[8:9], v[8:9], v[38:39]
	v_add_f64 v[10:11], v[14:15], v[10:11]
	v_fma_f64 v[6:7], v[6:7], v[30:31], -v[8:9]
	;; [unrolled: 3-line block ×3, first 2 shown]
	v_add_f64 v[2:3], v[6:7], v[2:3]
	s_waitcnt vmcnt(0) lgkmcnt(0)
	v_mul_f64 v[46:47], v[18:19], v[48:49]
	v_fmac_f64_e32 v[46:47], v[20:21], v[36:37]
	v_add_f64 v[50:51], v[44:45], v[46:47]
	ds_read_b128 v[44:47], v0 offset:2032
	buffer_load_dword v1, off, s[0:3], 0 offset:1028
	buffer_load_dword v0, off, s[0:3], 0 offset:1024
	;; [unrolled: 1-line block ×4, first 2 shown]
	v_mul_f64 v[4:5], v[20:21], v[48:49]
	v_fma_f64 v[4:5], v[18:19], v[36:37], -v[4:5]
	v_add_f64 v[2:3], v[2:3], v[4:5]
	s_waitcnt vmcnt(0) lgkmcnt(0)
	v_mul_f64 v[54:55], v[44:45], v[52:53]
	v_mul_f64 v[4:5], v[46:47], v[52:53]
	v_fmac_f64_e32 v[54:55], v[46:47], v[0:1]
	v_fma_f64 v[0:1], v[44:45], v[0:1], -v[4:5]
	v_add_f64 v[0:1], v[2:3], v[0:1]
	v_add_f64 v[50:51], v[50:51], v[54:55]
	v_add_f64 v[0:1], v[24:25], -v[0:1]
	v_add_f64 v[2:3], v[22:23], -v[50:51]
	buffer_store_dword v1, off, s[0:3], 0 offset:932
	buffer_store_dword v0, off, s[0:3], 0 offset:928
	;; [unrolled: 1-line block ×4, first 2 shown]
	s_and_saveexec_b64 s[4:5], vcc
	s_cbranch_execz .LBB63_297
; %bb.296:
	v_accvgpr_read_b32 v3, a135
	buffer_load_dword v0, v3, s[0:3], 0 offen
	buffer_load_dword v1, v3, s[0:3], 0 offen offset:4
	buffer_load_dword v2, v3, s[0:3], 0 offen offset:8
	s_nop 0
	buffer_load_dword v3, v3, s[0:3], 0 offen offset:12
	v_mov_b32_e32 v4, 0
	v_accvgpr_read_b32 v5, a192
	buffer_store_dword v4, off, s[0:3], 0 offset:912
	buffer_store_dword v4, off, s[0:3], 0 offset:916
	;; [unrolled: 1-line block ×4, first 2 shown]
	s_waitcnt vmcnt(4)
	ds_write_b128 v5, v[0:3]
.LBB63_297:
	s_or_b64 exec, exec, s[4:5]
	v_mov_b32_e32 v0, 0
	s_waitcnt lgkmcnt(0)
	; wave barrier
	s_waitcnt lgkmcnt(0)
	ds_read_b128 v[14:17], v0 offset:1936
	ds_read_b128 v[10:13], v0 offset:1952
	ds_read_b128 v[6:9], v0 offset:1968
	ds_read_b128 v[2:5], v0 offset:1984
	buffer_load_dword v28, off, s[0:3], 0 offset:912
	buffer_load_dword v29, off, s[0:3], 0 offset:916
	;; [unrolled: 1-line block ×20, first 2 shown]
	v_cmp_lt_u32_e32 vcc, 55, v254
	s_waitcnt vmcnt(12) lgkmcnt(3)
	v_mul_f64 v[18:19], v[14:15], v[36:37]
	v_fmac_f64_e32 v[18:19], v[16:17], v[30:31]
	v_add_f64 v[18:19], v[18:19], 0
	v_mul_f64 v[16:17], v[16:17], v[36:37]
	s_waitcnt vmcnt(8) lgkmcnt(2)
	v_mul_f64 v[20:21], v[10:11], v[38:39]
	v_fmac_f64_e32 v[20:21], v[12:13], v[32:33]
	v_add_f64 v[18:19], v[18:19], v[20:21]
	v_fma_f64 v[14:15], v[14:15], v[30:31], -v[16:17]
	s_waitcnt vmcnt(4) lgkmcnt(1)
	v_mul_f64 v[20:21], v[6:7], v[42:43]
	v_fmac_f64_e32 v[20:21], v[8:9], v[34:35]
	v_add_f64 v[18:19], v[18:19], v[20:21]
	s_waitcnt vmcnt(0) lgkmcnt(0)
	v_mul_f64 v[20:21], v[2:3], v[46:47]
	v_fmac_f64_e32 v[20:21], v[4:5], v[44:45]
	v_add_f64 v[22:23], v[18:19], v[20:21]
	ds_read_b128 v[18:21], v0 offset:2000
	buffer_load_dword v41, off, s[0:3], 0 offset:996
	buffer_load_dword v40, off, s[0:3], 0 offset:992
	;; [unrolled: 1-line block ×4, first 2 shown]
	ds_read_b128 v[50:53], v0 offset:2016
	buffer_load_dword v57, off, s[0:3], 0 offset:1012
	buffer_load_dword v56, off, s[0:3], 0 offset:1008
	;; [unrolled: 1-line block ×4, first 2 shown]
	v_mul_f64 v[12:13], v[12:13], v[38:39]
	v_add_f64 v[14:15], v[14:15], 0
	v_fma_f64 v[10:11], v[10:11], v[32:33], -v[12:13]
	v_mul_f64 v[8:9], v[8:9], v[42:43]
	v_add_f64 v[10:11], v[14:15], v[10:11]
	v_fma_f64 v[6:7], v[6:7], v[34:35], -v[8:9]
	;; [unrolled: 3-line block ×3, first 2 shown]
	v_add_f64 v[2:3], v[6:7], v[2:3]
	s_waitcnt vmcnt(4) lgkmcnt(1)
	v_mul_f64 v[24:25], v[18:19], v[54:55]
	v_fmac_f64_e32 v[24:25], v[20:21], v[40:41]
	v_add_f64 v[22:23], v[22:23], v[24:25]
	s_waitcnt vmcnt(0) lgkmcnt(0)
	v_mul_f64 v[24:25], v[50:51], v[58:59]
	v_fmac_f64_e32 v[24:25], v[52:53], v[56:57]
	v_add_f64 v[60:61], v[22:23], v[24:25]
	ds_read_b128 v[22:25], v0 offset:2032
	buffer_load_dword v49, off, s[0:3], 0 offset:1028
	buffer_load_dword v48, off, s[0:3], 0 offset:1024
	;; [unrolled: 1-line block ×4, first 2 shown]
	v_mul_f64 v[4:5], v[20:21], v[54:55]
	v_fma_f64 v[4:5], v[18:19], v[40:41], -v[4:5]
	v_add_f64 v[2:3], v[2:3], v[4:5]
	v_mul_f64 v[4:5], v[52:53], v[58:59]
	v_fma_f64 v[4:5], v[50:51], v[56:57], -v[4:5]
	v_add_f64 v[2:3], v[2:3], v[4:5]
	s_waitcnt vmcnt(0) lgkmcnt(0)
	v_mul_f64 v[4:5], v[24:25], v[62:63]
	v_mul_f64 v[64:65], v[22:23], v[62:63]
	v_fma_f64 v[4:5], v[22:23], v[48:49], -v[4:5]
	v_fmac_f64_e32 v[64:65], v[24:25], v[48:49]
	v_add_f64 v[2:3], v[2:3], v[4:5]
	v_add_f64 v[60:61], v[60:61], v[64:65]
	v_add_f64 v[2:3], v[28:29], -v[2:3]
	v_add_f64 v[4:5], v[26:27], -v[60:61]
	buffer_store_dword v3, off, s[0:3], 0 offset:916
	buffer_store_dword v2, off, s[0:3], 0 offset:912
	;; [unrolled: 1-line block ×4, first 2 shown]
	s_and_saveexec_b64 s[4:5], vcc
	s_cbranch_execz .LBB63_299
; %bb.298:
	v_accvgpr_read_b32 v1, a136
	buffer_load_dword v2, v1, s[0:3], 0 offen
	buffer_load_dword v3, v1, s[0:3], 0 offen offset:4
	buffer_load_dword v4, v1, s[0:3], 0 offen offset:8
	;; [unrolled: 1-line block ×3, first 2 shown]
	v_accvgpr_read_b32 v1, a192
	buffer_store_dword v0, off, s[0:3], 0 offset:896
	buffer_store_dword v0, off, s[0:3], 0 offset:900
	;; [unrolled: 1-line block ×4, first 2 shown]
	s_waitcnt vmcnt(4)
	ds_write_b128 v1, v[2:5]
.LBB63_299:
	s_or_b64 exec, exec, s[4:5]
	s_waitcnt lgkmcnt(0)
	; wave barrier
	s_waitcnt lgkmcnt(0)
	ds_read_b128 v[14:17], v0 offset:1920
	ds_read_b128 v[10:13], v0 offset:1936
	;; [unrolled: 1-line block ×4, first 2 shown]
	buffer_load_dword v36, off, s[0:3], 0 offset:896
	buffer_load_dword v37, off, s[0:3], 0 offset:900
	buffer_load_dword v34, off, s[0:3], 0 offset:904
	buffer_load_dword v35, off, s[0:3], 0 offset:908
	buffer_load_dword v38, off, s[0:3], 0 offset:912
	buffer_load_dword v39, off, s[0:3], 0 offset:916
	buffer_load_dword v44, off, s[0:3], 0 offset:920
	buffer_load_dword v45, off, s[0:3], 0 offset:924
	buffer_load_dword v40, off, s[0:3], 0 offset:928
	buffer_load_dword v41, off, s[0:3], 0 offset:932
	buffer_load_dword v46, off, s[0:3], 0 offset:936
	buffer_load_dword v47, off, s[0:3], 0 offset:940
	buffer_load_dword v42, off, s[0:3], 0 offset:944
	buffer_load_dword v43, off, s[0:3], 0 offset:948
	buffer_load_dword v50, off, s[0:3], 0 offset:952
	buffer_load_dword v51, off, s[0:3], 0 offset:956
	buffer_load_dword v53, off, s[0:3], 0 offset:964
	buffer_load_dword v52, off, s[0:3], 0 offset:960
	buffer_load_dword v55, off, s[0:3], 0 offset:972
	buffer_load_dword v54, off, s[0:3], 0 offset:968
	v_cmp_lt_u32_e32 vcc, 54, v254
	s_waitcnt vmcnt(12) lgkmcnt(3)
	v_mul_f64 v[18:19], v[14:15], v[44:45]
	v_fmac_f64_e32 v[18:19], v[16:17], v[38:39]
	v_add_f64 v[18:19], v[18:19], 0
	v_mul_f64 v[16:17], v[16:17], v[44:45]
	s_waitcnt vmcnt(8) lgkmcnt(2)
	v_mul_f64 v[20:21], v[10:11], v[46:47]
	v_fmac_f64_e32 v[20:21], v[12:13], v[40:41]
	v_add_f64 v[18:19], v[18:19], v[20:21]
	v_fma_f64 v[14:15], v[14:15], v[38:39], -v[16:17]
	s_waitcnt vmcnt(4) lgkmcnt(1)
	v_mul_f64 v[20:21], v[6:7], v[50:51]
	v_fmac_f64_e32 v[20:21], v[8:9], v[42:43]
	v_add_f64 v[18:19], v[18:19], v[20:21]
	s_waitcnt vmcnt(0) lgkmcnt(0)
	v_mul_f64 v[20:21], v[2:3], v[54:55]
	v_fmac_f64_e32 v[20:21], v[4:5], v[52:53]
	v_add_f64 v[22:23], v[18:19], v[20:21]
	ds_read_b128 v[18:21], v0 offset:1984
	buffer_load_dword v49, off, s[0:3], 0 offset:980
	buffer_load_dword v48, off, s[0:3], 0 offset:976
	;; [unrolled: 1-line block ×4, first 2 shown]
	ds_read_b128 v[30:33], v0 offset:2000
	buffer_load_dword v61, off, s[0:3], 0 offset:996
	buffer_load_dword v60, off, s[0:3], 0 offset:992
	;; [unrolled: 1-line block ×4, first 2 shown]
	v_mul_f64 v[12:13], v[12:13], v[46:47]
	v_add_f64 v[14:15], v[14:15], 0
	v_fma_f64 v[10:11], v[10:11], v[40:41], -v[12:13]
	v_mul_f64 v[8:9], v[8:9], v[50:51]
	v_add_f64 v[10:11], v[14:15], v[10:11]
	v_fma_f64 v[6:7], v[6:7], v[42:43], -v[8:9]
	;; [unrolled: 3-line block ×3, first 2 shown]
	v_add_f64 v[2:3], v[6:7], v[2:3]
	s_waitcnt vmcnt(4) lgkmcnt(1)
	v_mul_f64 v[24:25], v[18:19], v[64:65]
	v_fmac_f64_e32 v[24:25], v[20:21], v[48:49]
	v_add_f64 v[22:23], v[22:23], v[24:25]
	s_waitcnt vmcnt(0) lgkmcnt(0)
	v_mul_f64 v[24:25], v[30:31], v[62:63]
	v_fmac_f64_e32 v[24:25], v[32:33], v[60:61]
	v_add_f64 v[26:27], v[22:23], v[24:25]
	ds_read_b128 v[22:25], v0 offset:2016
	buffer_load_dword v57, off, s[0:3], 0 offset:1012
	buffer_load_dword v56, off, s[0:3], 0 offset:1008
	;; [unrolled: 1-line block ×4, first 2 shown]
	v_mul_f64 v[4:5], v[20:21], v[64:65]
	v_fma_f64 v[4:5], v[18:19], v[48:49], -v[4:5]
	v_add_f64 v[2:3], v[2:3], v[4:5]
	v_mul_f64 v[4:5], v[32:33], v[62:63]
	v_fma_f64 v[4:5], v[30:31], v[60:61], -v[4:5]
	v_add_f64 v[2:3], v[2:3], v[4:5]
	s_waitcnt vmcnt(0) lgkmcnt(0)
	v_mul_f64 v[28:29], v[22:23], v[66:67]
	v_fmac_f64_e32 v[28:29], v[24:25], v[56:57]
	v_add_f64 v[68:69], v[26:27], v[28:29]
	ds_read_b128 v[26:29], v0 offset:2032
	buffer_load_dword v59, off, s[0:3], 0 offset:1028
	buffer_load_dword v58, off, s[0:3], 0 offset:1024
	buffer_load_dword v1, off, s[0:3], 0 offset:1036
	buffer_load_dword v0, off, s[0:3], 0 offset:1032
	v_mul_f64 v[4:5], v[24:25], v[66:67]
	v_fma_f64 v[4:5], v[22:23], v[56:57], -v[4:5]
	v_add_f64 v[2:3], v[2:3], v[4:5]
	s_waitcnt vmcnt(0) lgkmcnt(0)
	v_mul_f64 v[70:71], v[26:27], v[0:1]
	v_mul_f64 v[0:1], v[28:29], v[0:1]
	v_fma_f64 v[0:1], v[26:27], v[58:59], -v[0:1]
	v_fmac_f64_e32 v[70:71], v[28:29], v[58:59]
	v_add_f64 v[0:1], v[2:3], v[0:1]
	v_add_f64 v[68:69], v[68:69], v[70:71]
	v_add_f64 v[0:1], v[36:37], -v[0:1]
	v_add_f64 v[2:3], v[34:35], -v[68:69]
	buffer_store_dword v1, off, s[0:3], 0 offset:900
	buffer_store_dword v0, off, s[0:3], 0 offset:896
	;; [unrolled: 1-line block ×4, first 2 shown]
	s_and_saveexec_b64 s[4:5], vcc
	s_cbranch_execz .LBB63_301
; %bb.300:
	v_accvgpr_read_b32 v3, a137
	buffer_load_dword v0, v3, s[0:3], 0 offen
	buffer_load_dword v1, v3, s[0:3], 0 offen offset:4
	buffer_load_dword v2, v3, s[0:3], 0 offen offset:8
	s_nop 0
	buffer_load_dword v3, v3, s[0:3], 0 offen offset:12
	v_mov_b32_e32 v4, 0
	v_accvgpr_read_b32 v5, a192
	buffer_store_dword v4, off, s[0:3], 0 offset:880
	buffer_store_dword v4, off, s[0:3], 0 offset:884
	;; [unrolled: 1-line block ×4, first 2 shown]
	s_waitcnt vmcnt(4)
	ds_write_b128 v5, v[0:3]
.LBB63_301:
	s_or_b64 exec, exec, s[4:5]
	v_mov_b32_e32 v80, 0
	s_waitcnt lgkmcnt(0)
	; wave barrier
	s_waitcnt lgkmcnt(0)
	ds_read_b128 v[18:21], v80 offset:1904
	ds_read_b128 v[14:17], v80 offset:1920
	;; [unrolled: 1-line block ×4, first 2 shown]
	buffer_load_dword v40, off, s[0:3], 0 offset:880
	buffer_load_dword v41, off, s[0:3], 0 offset:884
	;; [unrolled: 1-line block ×20, first 2 shown]
	v_cmp_lt_u32_e32 vcc, 53, v254
	s_waitcnt vmcnt(12) lgkmcnt(3)
	v_mul_f64 v[0:1], v[18:19], v[56:57]
	v_fmac_f64_e32 v[0:1], v[20:21], v[44:45]
	v_add_f64 v[0:1], v[0:1], 0
	v_mul_f64 v[20:21], v[20:21], v[56:57]
	s_waitcnt vmcnt(8) lgkmcnt(2)
	v_mul_f64 v[6:7], v[14:15], v[54:55]
	v_fmac_f64_e32 v[6:7], v[16:17], v[50:51]
	v_add_f64 v[0:1], v[0:1], v[6:7]
	v_fma_f64 v[18:19], v[18:19], v[44:45], -v[20:21]
	s_waitcnt vmcnt(4) lgkmcnt(1)
	v_mul_f64 v[6:7], v[10:11], v[52:53]
	v_fmac_f64_e32 v[6:7], v[12:13], v[48:49]
	v_add_f64 v[0:1], v[0:1], v[6:7]
	s_waitcnt vmcnt(0) lgkmcnt(0)
	v_mul_f64 v[6:7], v[2:3], v[58:59]
	v_fmac_f64_e32 v[6:7], v[4:5], v[46:47]
	v_add_f64 v[0:1], v[0:1], v[6:7]
	ds_read_b128 v[6:9], v80 offset:1968
	buffer_load_dword v43, off, s[0:3], 0 offset:964
	buffer_load_dword v42, off, s[0:3], 0 offset:960
	buffer_load_dword v61, off, s[0:3], 0 offset:972
	buffer_load_dword v60, off, s[0:3], 0 offset:968
	v_mul_f64 v[16:17], v[16:17], v[54:55]
	v_add_f64 v[18:19], v[18:19], 0
	v_fma_f64 v[14:15], v[14:15], v[50:51], -v[16:17]
	v_mul_f64 v[12:13], v[12:13], v[52:53]
	v_add_f64 v[14:15], v[18:19], v[14:15]
	v_fma_f64 v[10:11], v[10:11], v[48:49], -v[12:13]
	;; [unrolled: 3-line block ×3, first 2 shown]
	v_add_f64 v[2:3], v[10:11], v[2:3]
	s_waitcnt vmcnt(0) lgkmcnt(0)
	v_mul_f64 v[22:23], v[6:7], v[60:61]
	v_fmac_f64_e32 v[22:23], v[8:9], v[42:43]
	v_add_f64 v[0:1], v[0:1], v[22:23]
	ds_read_b128 v[22:25], v80 offset:1984
	buffer_load_dword v63, off, s[0:3], 0 offset:980
	buffer_load_dword v62, off, s[0:3], 0 offset:976
	buffer_load_dword v65, off, s[0:3], 0 offset:988
	buffer_load_dword v64, off, s[0:3], 0 offset:984
	v_mul_f64 v[4:5], v[8:9], v[60:61]
	v_fma_f64 v[4:5], v[6:7], v[42:43], -v[4:5]
	v_add_f64 v[2:3], v[2:3], v[4:5]
	s_waitcnt vmcnt(0) lgkmcnt(0)
	v_mul_f64 v[26:27], v[22:23], v[64:65]
	v_fmac_f64_e32 v[26:27], v[24:25], v[62:63]
	v_add_f64 v[0:1], v[0:1], v[26:27]
	ds_read_b128 v[26:29], v80 offset:2000
	buffer_load_dword v67, off, s[0:3], 0 offset:996
	buffer_load_dword v66, off, s[0:3], 0 offset:992
	buffer_load_dword v69, off, s[0:3], 0 offset:1004
	buffer_load_dword v68, off, s[0:3], 0 offset:1000
	v_mul_f64 v[4:5], v[24:25], v[64:65]
	v_fma_f64 v[4:5], v[22:23], v[62:63], -v[4:5]
	;; [unrolled: 12-line block ×4, first 2 shown]
	v_add_f64 v[2:3], v[2:3], v[4:5]
	s_waitcnt vmcnt(0) lgkmcnt(0)
	v_mul_f64 v[4:5], v[36:37], v[76:77]
	v_mul_f64 v[78:79], v[34:35], v[76:77]
	v_fma_f64 v[4:5], v[34:35], v[74:75], -v[4:5]
	v_fmac_f64_e32 v[78:79], v[36:37], v[74:75]
	v_add_f64 v[2:3], v[2:3], v[4:5]
	v_add_f64 v[0:1], v[0:1], v[78:79]
	v_add_f64 v[2:3], v[40:41], -v[2:3]
	v_add_f64 v[0:1], v[38:39], -v[0:1]
	buffer_store_dword v3, off, s[0:3], 0 offset:884
	buffer_store_dword v2, off, s[0:3], 0 offset:880
	;; [unrolled: 1-line block ×4, first 2 shown]
	s_and_saveexec_b64 s[4:5], vcc
	s_cbranch_execz .LBB63_303
; %bb.302:
	v_accvgpr_read_b32 v3, a138
	buffer_load_dword v0, v3, s[0:3], 0 offen
	buffer_load_dword v1, v3, s[0:3], 0 offen offset:4
	buffer_load_dword v2, v3, s[0:3], 0 offen offset:8
	s_nop 0
	buffer_load_dword v3, v3, s[0:3], 0 offen offset:12
	v_accvgpr_read_b32 v4, a192
	buffer_store_dword v80, off, s[0:3], 0 offset:864
	buffer_store_dword v80, off, s[0:3], 0 offset:868
	;; [unrolled: 1-line block ×4, first 2 shown]
	s_waitcnt vmcnt(4)
	ds_write_b128 v4, v[0:3]
.LBB63_303:
	s_or_b64 exec, exec, s[4:5]
	s_waitcnt lgkmcnt(0)
	; wave barrier
	s_waitcnt lgkmcnt(0)
	ds_read_b128 v[18:21], v80 offset:1888
	ds_read_b128 v[10:13], v80 offset:1904
	;; [unrolled: 1-line block ×4, first 2 shown]
	buffer_load_dword v44, off, s[0:3], 0 offset:864
	buffer_load_dword v45, off, s[0:3], 0 offset:868
	;; [unrolled: 1-line block ×20, first 2 shown]
	v_cmp_lt_u32_e32 vcc, 52, v254
	s_waitcnt vmcnt(12) lgkmcnt(3)
	v_mul_f64 v[0:1], v[18:19], v[62:63]
	v_fmac_f64_e32 v[0:1], v[20:21], v[58:59]
	v_add_f64 v[0:1], v[0:1], 0
	v_mul_f64 v[20:21], v[20:21], v[62:63]
	s_waitcnt vmcnt(8) lgkmcnt(2)
	v_mul_f64 v[14:15], v[10:11], v[60:61]
	v_fmac_f64_e32 v[14:15], v[12:13], v[56:57]
	v_add_f64 v[0:1], v[0:1], v[14:15]
	v_fma_f64 v[18:19], v[18:19], v[58:59], -v[20:21]
	s_waitcnt vmcnt(4) lgkmcnt(1)
	v_mul_f64 v[14:15], v[6:7], v[48:49]
	v_fmac_f64_e32 v[14:15], v[8:9], v[46:47]
	v_add_f64 v[0:1], v[0:1], v[14:15]
	s_waitcnt vmcnt(0) lgkmcnt(0)
	v_mul_f64 v[14:15], v[2:3], v[52:53]
	v_fmac_f64_e32 v[14:15], v[4:5], v[50:51]
	v_add_f64 v[0:1], v[0:1], v[14:15]
	ds_read_b128 v[14:17], v80 offset:1952
	buffer_load_dword v55, off, s[0:3], 0 offset:948
	buffer_load_dword v54, off, s[0:3], 0 offset:944
	;; [unrolled: 1-line block ×4, first 2 shown]
	v_mul_f64 v[12:13], v[12:13], v[60:61]
	v_add_f64 v[18:19], v[18:19], 0
	v_fma_f64 v[10:11], v[10:11], v[56:57], -v[12:13]
	v_mul_f64 v[8:9], v[8:9], v[48:49]
	v_add_f64 v[10:11], v[18:19], v[10:11]
	v_fma_f64 v[6:7], v[6:7], v[46:47], -v[8:9]
	v_mul_f64 v[4:5], v[4:5], v[52:53]
	v_add_f64 v[6:7], v[10:11], v[6:7]
	v_fma_f64 v[2:3], v[2:3], v[50:51], -v[4:5]
	v_add_f64 v[2:3], v[6:7], v[2:3]
	s_waitcnt vmcnt(0) lgkmcnt(0)
	v_mul_f64 v[22:23], v[14:15], v[64:65]
	v_fmac_f64_e32 v[22:23], v[16:17], v[54:55]
	v_add_f64 v[0:1], v[0:1], v[22:23]
	ds_read_b128 v[22:25], v80 offset:1968
	buffer_load_dword v67, off, s[0:3], 0 offset:964
	buffer_load_dword v66, off, s[0:3], 0 offset:960
	buffer_load_dword v69, off, s[0:3], 0 offset:972
	buffer_load_dword v68, off, s[0:3], 0 offset:968
	v_mul_f64 v[4:5], v[16:17], v[64:65]
	v_fma_f64 v[4:5], v[14:15], v[54:55], -v[4:5]
	v_add_f64 v[2:3], v[2:3], v[4:5]
	s_waitcnt vmcnt(0) lgkmcnt(0)
	v_mul_f64 v[26:27], v[22:23], v[68:69]
	v_fmac_f64_e32 v[26:27], v[24:25], v[66:67]
	v_add_f64 v[0:1], v[0:1], v[26:27]
	ds_read_b128 v[26:29], v80 offset:1984
	buffer_load_dword v71, off, s[0:3], 0 offset:980
	buffer_load_dword v70, off, s[0:3], 0 offset:976
	buffer_load_dword v73, off, s[0:3], 0 offset:988
	buffer_load_dword v72, off, s[0:3], 0 offset:984
	v_mul_f64 v[4:5], v[24:25], v[68:69]
	v_fma_f64 v[4:5], v[22:23], v[66:67], -v[4:5]
	;; [unrolled: 12-line block ×5, first 2 shown]
	v_add_f64 v[0:1], v[2:3], v[0:1]
	s_waitcnt vmcnt(0) lgkmcnt(0)
	v_mul_f64 v[2:3], v[40:41], v[84:85]
	v_mul_f64 v[86:87], v[38:39], v[84:85]
	v_fma_f64 v[2:3], v[38:39], v[80:81], -v[2:3]
	v_fmac_f64_e32 v[86:87], v[40:41], v[80:81]
	v_add_f64 v[0:1], v[0:1], v[2:3]
	v_add_f64 v[82:83], v[82:83], v[86:87]
	v_add_f64 v[0:1], v[44:45], -v[0:1]
	v_add_f64 v[2:3], v[42:43], -v[82:83]
	buffer_store_dword v1, off, s[0:3], 0 offset:868
	buffer_store_dword v0, off, s[0:3], 0 offset:864
	;; [unrolled: 1-line block ×4, first 2 shown]
	s_and_saveexec_b64 s[4:5], vcc
	s_cbranch_execz .LBB63_305
; %bb.304:
	v_accvgpr_read_b32 v3, a139
	buffer_load_dword v0, v3, s[0:3], 0 offen
	buffer_load_dword v1, v3, s[0:3], 0 offen offset:4
	buffer_load_dword v2, v3, s[0:3], 0 offen offset:8
	s_nop 0
	buffer_load_dword v3, v3, s[0:3], 0 offen offset:12
	v_mov_b32_e32 v4, 0
	v_accvgpr_read_b32 v5, a192
	buffer_store_dword v4, off, s[0:3], 0 offset:848
	buffer_store_dword v4, off, s[0:3], 0 offset:852
	buffer_store_dword v4, off, s[0:3], 0 offset:856
	buffer_store_dword v4, off, s[0:3], 0 offset:860
	s_waitcnt vmcnt(4)
	ds_write_b128 v5, v[0:3]
.LBB63_305:
	s_or_b64 exec, exec, s[4:5]
	v_mov_b32_e32 v94, 0
	s_waitcnt lgkmcnt(0)
	; wave barrier
	s_waitcnt lgkmcnt(0)
	ds_read_b128 v[14:17], v94 offset:1872
	ds_read_b128 v[10:13], v94 offset:1888
	;; [unrolled: 1-line block ×4, first 2 shown]
	buffer_load_dword v48, off, s[0:3], 0 offset:848
	buffer_load_dword v49, off, s[0:3], 0 offset:852
	;; [unrolled: 1-line block ×20, first 2 shown]
	v_cmp_lt_u32_e32 vcc, 51, v254
	s_waitcnt vmcnt(12) lgkmcnt(3)
	v_mul_f64 v[0:1], v[14:15], v[56:57]
	v_fmac_f64_e32 v[0:1], v[16:17], v[50:51]
	v_add_f64 v[0:1], v[0:1], 0
	v_mul_f64 v[16:17], v[16:17], v[56:57]
	s_waitcnt vmcnt(8) lgkmcnt(2)
	v_mul_f64 v[18:19], v[10:11], v[58:59]
	v_fmac_f64_e32 v[18:19], v[12:13], v[52:53]
	v_add_f64 v[0:1], v[0:1], v[18:19]
	v_fma_f64 v[14:15], v[14:15], v[50:51], -v[16:17]
	s_waitcnt vmcnt(4) lgkmcnt(1)
	v_mul_f64 v[18:19], v[6:7], v[60:61]
	v_fmac_f64_e32 v[18:19], v[8:9], v[54:55]
	v_add_f64 v[0:1], v[0:1], v[18:19]
	s_waitcnt vmcnt(0) lgkmcnt(0)
	v_mul_f64 v[18:19], v[2:3], v[64:65]
	v_fmac_f64_e32 v[18:19], v[4:5], v[62:63]
	v_add_f64 v[0:1], v[0:1], v[18:19]
	ds_read_b128 v[18:21], v94 offset:1936
	buffer_load_dword v67, off, s[0:3], 0 offset:932
	buffer_load_dword v66, off, s[0:3], 0 offset:928
	;; [unrolled: 1-line block ×4, first 2 shown]
	v_mul_f64 v[12:13], v[12:13], v[58:59]
	v_add_f64 v[14:15], v[14:15], 0
	v_fma_f64 v[10:11], v[10:11], v[52:53], -v[12:13]
	v_mul_f64 v[8:9], v[8:9], v[60:61]
	v_add_f64 v[10:11], v[14:15], v[10:11]
	v_fma_f64 v[6:7], v[6:7], v[54:55], -v[8:9]
	v_mul_f64 v[4:5], v[4:5], v[64:65]
	v_add_f64 v[6:7], v[10:11], v[6:7]
	v_fma_f64 v[2:3], v[2:3], v[62:63], -v[4:5]
	v_add_f64 v[2:3], v[6:7], v[2:3]
	s_waitcnt vmcnt(0) lgkmcnt(0)
	v_mul_f64 v[22:23], v[18:19], v[68:69]
	v_fmac_f64_e32 v[22:23], v[20:21], v[66:67]
	v_add_f64 v[0:1], v[0:1], v[22:23]
	ds_read_b128 v[22:25], v94 offset:1952
	buffer_load_dword v71, off, s[0:3], 0 offset:948
	buffer_load_dword v70, off, s[0:3], 0 offset:944
	buffer_load_dword v73, off, s[0:3], 0 offset:956
	buffer_load_dword v72, off, s[0:3], 0 offset:952
	v_mul_f64 v[4:5], v[20:21], v[68:69]
	v_fma_f64 v[4:5], v[18:19], v[66:67], -v[4:5]
	v_add_f64 v[2:3], v[2:3], v[4:5]
	s_waitcnt vmcnt(0) lgkmcnt(0)
	v_mul_f64 v[26:27], v[22:23], v[72:73]
	v_fmac_f64_e32 v[26:27], v[24:25], v[70:71]
	v_add_f64 v[0:1], v[0:1], v[26:27]
	ds_read_b128 v[26:29], v94 offset:1968
	buffer_load_dword v75, off, s[0:3], 0 offset:964
	buffer_load_dword v74, off, s[0:3], 0 offset:960
	buffer_load_dword v77, off, s[0:3], 0 offset:972
	buffer_load_dword v76, off, s[0:3], 0 offset:968
	v_mul_f64 v[4:5], v[24:25], v[72:73]
	v_fma_f64 v[4:5], v[22:23], v[70:71], -v[4:5]
	v_add_f64 v[2:3], v[2:3], v[4:5]
	s_waitcnt vmcnt(0) lgkmcnt(0)
	v_mul_f64 v[30:31], v[26:27], v[76:77]
	v_fmac_f64_e32 v[30:31], v[28:29], v[74:75]
	v_add_f64 v[0:1], v[0:1], v[30:31]
	ds_read_b128 v[30:33], v94 offset:1984
	buffer_load_dword v79, off, s[0:3], 0 offset:980
	buffer_load_dword v78, off, s[0:3], 0 offset:976
	buffer_load_dword v81, off, s[0:3], 0 offset:988
	buffer_load_dword v80, off, s[0:3], 0 offset:984
	v_mul_f64 v[4:5], v[28:29], v[76:77]
	v_fma_f64 v[4:5], v[26:27], v[74:75], -v[4:5]
	v_add_f64 v[2:3], v[2:3], v[4:5]
	s_waitcnt vmcnt(0) lgkmcnt(0)
	v_mul_f64 v[34:35], v[30:31], v[80:81]
	v_fmac_f64_e32 v[34:35], v[32:33], v[78:79]
	v_add_f64 v[0:1], v[0:1], v[34:35]
	ds_read_b128 v[34:37], v94 offset:2000
	buffer_load_dword v83, off, s[0:3], 0 offset:996
	buffer_load_dword v82, off, s[0:3], 0 offset:992
	buffer_load_dword v85, off, s[0:3], 0 offset:1004
	buffer_load_dword v84, off, s[0:3], 0 offset:1000
	v_mul_f64 v[4:5], v[32:33], v[80:81]
	v_fma_f64 v[4:5], v[30:31], v[78:79], -v[4:5]
	v_add_f64 v[2:3], v[2:3], v[4:5]
	s_waitcnt vmcnt(0) lgkmcnt(0)
	v_mul_f64 v[38:39], v[34:35], v[84:85]
	v_fmac_f64_e32 v[38:39], v[36:37], v[82:83]
	v_add_f64 v[0:1], v[0:1], v[38:39]
	ds_read_b128 v[38:41], v94 offset:2016
	buffer_load_dword v87, off, s[0:3], 0 offset:1012
	buffer_load_dword v86, off, s[0:3], 0 offset:1008
	buffer_load_dword v89, off, s[0:3], 0 offset:1020
	buffer_load_dword v88, off, s[0:3], 0 offset:1016
	v_mul_f64 v[4:5], v[36:37], v[84:85]
	v_fma_f64 v[4:5], v[34:35], v[82:83], -v[4:5]
	v_add_f64 v[2:3], v[2:3], v[4:5]
	s_waitcnt vmcnt(0) lgkmcnt(0)
	v_mul_f64 v[42:43], v[38:39], v[88:89]
	v_fmac_f64_e32 v[42:43], v[40:41], v[86:87]
	v_add_f64 v[0:1], v[0:1], v[42:43]
	ds_read_b128 v[42:45], v94 offset:2032
	buffer_load_dword v91, off, s[0:3], 0 offset:1028
	buffer_load_dword v90, off, s[0:3], 0 offset:1024
	buffer_load_dword v93, off, s[0:3], 0 offset:1036
	buffer_load_dword v92, off, s[0:3], 0 offset:1032
	v_mul_f64 v[4:5], v[40:41], v[88:89]
	v_fma_f64 v[4:5], v[38:39], v[86:87], -v[4:5]
	v_add_f64 v[2:3], v[2:3], v[4:5]
	s_waitcnt vmcnt(0) lgkmcnt(0)
	v_mul_f64 v[4:5], v[44:45], v[92:93]
	v_mul_f64 v[96:97], v[42:43], v[92:93]
	v_fma_f64 v[4:5], v[42:43], v[90:91], -v[4:5]
	v_fmac_f64_e32 v[96:97], v[44:45], v[90:91]
	v_add_f64 v[2:3], v[2:3], v[4:5]
	v_add_f64 v[0:1], v[0:1], v[96:97]
	v_add_f64 v[2:3], v[48:49], -v[2:3]
	v_add_f64 v[0:1], v[46:47], -v[0:1]
	buffer_store_dword v3, off, s[0:3], 0 offset:852
	buffer_store_dword v2, off, s[0:3], 0 offset:848
	;; [unrolled: 1-line block ×4, first 2 shown]
	s_and_saveexec_b64 s[4:5], vcc
	s_cbranch_execz .LBB63_307
; %bb.306:
	v_accvgpr_read_b32 v3, a140
	buffer_load_dword v0, v3, s[0:3], 0 offen
	buffer_load_dword v1, v3, s[0:3], 0 offen offset:4
	buffer_load_dword v2, v3, s[0:3], 0 offen offset:8
	s_nop 0
	buffer_load_dword v3, v3, s[0:3], 0 offen offset:12
	v_accvgpr_read_b32 v4, a192
	buffer_store_dword v94, off, s[0:3], 0 offset:832
	buffer_store_dword v94, off, s[0:3], 0 offset:836
	;; [unrolled: 1-line block ×4, first 2 shown]
	s_waitcnt vmcnt(4)
	ds_write_b128 v4, v[0:3]
.LBB63_307:
	s_or_b64 exec, exec, s[4:5]
	s_waitcnt lgkmcnt(0)
	; wave barrier
	s_waitcnt lgkmcnt(0)
	ds_read_b128 v[14:17], v94 offset:1856
	ds_read_b128 v[10:13], v94 offset:1872
	;; [unrolled: 1-line block ×4, first 2 shown]
	buffer_load_dword v48, off, s[0:3], 0 offset:832
	buffer_load_dword v49, off, s[0:3], 0 offset:836
	;; [unrolled: 1-line block ×20, first 2 shown]
	v_cmp_lt_u32_e32 vcc, 50, v254
	s_waitcnt vmcnt(12) lgkmcnt(3)
	v_mul_f64 v[0:1], v[14:15], v[56:57]
	v_fmac_f64_e32 v[0:1], v[16:17], v[50:51]
	v_add_f64 v[0:1], v[0:1], 0
	v_mul_f64 v[16:17], v[16:17], v[56:57]
	s_waitcnt vmcnt(8) lgkmcnt(2)
	v_mul_f64 v[18:19], v[10:11], v[58:59]
	v_fmac_f64_e32 v[18:19], v[12:13], v[52:53]
	v_add_f64 v[0:1], v[0:1], v[18:19]
	v_fma_f64 v[14:15], v[14:15], v[50:51], -v[16:17]
	s_waitcnt vmcnt(4) lgkmcnt(1)
	v_mul_f64 v[18:19], v[6:7], v[60:61]
	v_fmac_f64_e32 v[18:19], v[8:9], v[54:55]
	v_add_f64 v[0:1], v[0:1], v[18:19]
	s_waitcnt vmcnt(0) lgkmcnt(0)
	v_mul_f64 v[18:19], v[2:3], v[64:65]
	v_fmac_f64_e32 v[18:19], v[4:5], v[62:63]
	v_add_f64 v[0:1], v[0:1], v[18:19]
	ds_read_b128 v[18:21], v94 offset:1920
	buffer_load_dword v67, off, s[0:3], 0 offset:916
	buffer_load_dword v66, off, s[0:3], 0 offset:912
	;; [unrolled: 1-line block ×4, first 2 shown]
	v_mul_f64 v[12:13], v[12:13], v[58:59]
	v_add_f64 v[14:15], v[14:15], 0
	v_fma_f64 v[10:11], v[10:11], v[52:53], -v[12:13]
	v_mul_f64 v[8:9], v[8:9], v[60:61]
	v_add_f64 v[10:11], v[14:15], v[10:11]
	v_fma_f64 v[6:7], v[6:7], v[54:55], -v[8:9]
	;; [unrolled: 3-line block ×3, first 2 shown]
	v_add_f64 v[2:3], v[6:7], v[2:3]
	s_waitcnt vmcnt(0) lgkmcnt(0)
	v_mul_f64 v[22:23], v[18:19], v[68:69]
	v_fmac_f64_e32 v[22:23], v[20:21], v[66:67]
	v_add_f64 v[0:1], v[0:1], v[22:23]
	ds_read_b128 v[22:25], v94 offset:1936
	buffer_load_dword v71, off, s[0:3], 0 offset:932
	buffer_load_dword v70, off, s[0:3], 0 offset:928
	buffer_load_dword v73, off, s[0:3], 0 offset:940
	buffer_load_dword v72, off, s[0:3], 0 offset:936
	v_mul_f64 v[4:5], v[20:21], v[68:69]
	v_fma_f64 v[4:5], v[18:19], v[66:67], -v[4:5]
	v_add_f64 v[2:3], v[2:3], v[4:5]
	s_waitcnt vmcnt(0) lgkmcnt(0)
	v_mul_f64 v[26:27], v[22:23], v[72:73]
	v_fmac_f64_e32 v[26:27], v[24:25], v[70:71]
	v_add_f64 v[0:1], v[0:1], v[26:27]
	ds_read_b128 v[26:29], v94 offset:1952
	buffer_load_dword v75, off, s[0:3], 0 offset:948
	buffer_load_dword v74, off, s[0:3], 0 offset:944
	buffer_load_dword v77, off, s[0:3], 0 offset:956
	buffer_load_dword v76, off, s[0:3], 0 offset:952
	v_mul_f64 v[4:5], v[24:25], v[72:73]
	v_fma_f64 v[4:5], v[22:23], v[70:71], -v[4:5]
	;; [unrolled: 12-line block ×7, first 2 shown]
	v_add_f64 v[2:3], v[2:3], v[4:5]
	s_waitcnt vmcnt(0) lgkmcnt(0)
	v_mul_f64 v[4:5], v[96:97], v[100:101]
	v_mul_f64 v[102:103], v[94:95], v[100:101]
	v_fma_f64 v[4:5], v[94:95], v[98:99], -v[4:5]
	v_fmac_f64_e32 v[102:103], v[96:97], v[98:99]
	v_add_f64 v[2:3], v[2:3], v[4:5]
	v_add_f64 v[0:1], v[0:1], v[102:103]
	v_add_f64 v[2:3], v[48:49], -v[2:3]
	v_add_f64 v[0:1], v[46:47], -v[0:1]
	buffer_store_dword v3, off, s[0:3], 0 offset:836
	buffer_store_dword v2, off, s[0:3], 0 offset:832
	;; [unrolled: 1-line block ×4, first 2 shown]
	s_and_saveexec_b64 s[4:5], vcc
	s_cbranch_execz .LBB63_309
; %bb.308:
	v_accvgpr_read_b32 v3, a141
	buffer_load_dword v0, v3, s[0:3], 0 offen
	buffer_load_dword v1, v3, s[0:3], 0 offen offset:4
	buffer_load_dword v2, v3, s[0:3], 0 offen offset:8
	s_nop 0
	buffer_load_dword v3, v3, s[0:3], 0 offen offset:12
	v_mov_b32_e32 v4, 0
	v_accvgpr_read_b32 v5, a192
	buffer_store_dword v4, off, s[0:3], 0 offset:816
	buffer_store_dword v4, off, s[0:3], 0 offset:820
	;; [unrolled: 1-line block ×4, first 2 shown]
	s_waitcnt vmcnt(4)
	ds_write_b128 v5, v[0:3]
.LBB63_309:
	s_or_b64 exec, exec, s[4:5]
	s_waitcnt lgkmcnt(0)
	; wave barrier
	s_waitcnt lgkmcnt(0)
	buffer_load_dword v2, off, s[0:3], 0 offset:832
	buffer_load_dword v3, off, s[0:3], 0 offset:836
	;; [unrolled: 1-line block ×56, first 2 shown]
	v_mov_b32_e32 v0, 0
	ds_read_b128 v[30:33], v0 offset:1840
	ds_read_b128 v[34:37], v0 offset:1856
	;; [unrolled: 1-line block ×9, first 2 shown]
	v_cmp_lt_u32_e32 vcc, 49, v254
	s_waitcnt vmcnt(52) lgkmcnt(8)
	v_mul_f64 v[62:63], v[30:31], v[6:7]
	v_fmac_f64_e32 v[62:63], v[32:33], v[2:3]
	v_mul_f64 v[6:7], v[32:33], v[6:7]
	v_add_f64 v[62:63], v[62:63], 0
	s_waitcnt vmcnt(48) lgkmcnt(7)
	v_mul_f64 v[64:65], v[34:35], v[8:9]
	v_fmac_f64_e32 v[64:65], v[36:37], v[4:5]
	s_waitcnt vmcnt(46) lgkmcnt(6)
	v_mul_f64 v[66:67], v[38:39], v[10:11]
	v_fma_f64 v[2:3], v[30:31], v[2:3], -v[6:7]
	v_mul_f64 v[6:7], v[36:37], v[8:9]
	s_waitcnt vmcnt(44) lgkmcnt(5)
	v_mul_f64 v[68:69], v[42:43], v[12:13]
	v_add_f64 v[62:63], v[62:63], v[64:65]
	v_add_f64 v[2:3], v[2:3], 0
	v_fma_f64 v[4:5], v[34:35], v[4:5], -v[6:7]
	v_add_f64 v[2:3], v[2:3], v[4:5]
	v_mul_f64 v[4:5], v[40:41], v[10:11]
	s_waitcnt vmcnt(37) lgkmcnt(4)
	v_mul_f64 v[70:71], v[46:47], v[20:21]
	s_waitcnt lgkmcnt(3)
	v_mul_f64 v[72:73], v[50:51], v[18:19]
	s_waitcnt vmcnt(35)
	v_fmac_f64_e32 v[70:71], v[48:49], v[22:23]
	s_waitcnt lgkmcnt(2)
	v_mul_f64 v[74:75], v[54:55], v[14:15]
	s_waitcnt vmcnt(33)
	v_fmac_f64_e32 v[66:67], v[40:41], v[28:29]
	v_add_f64 v[62:63], v[62:63], v[66:67]
	s_waitcnt vmcnt(31)
	v_fmac_f64_e32 v[68:69], v[44:45], v[26:27]
	v_add_f64 v[62:63], v[62:63], v[68:69]
	v_fma_f64 v[4:5], v[38:39], v[28:29], -v[4:5]
	s_waitcnt vmcnt(29)
	v_fmac_f64_e32 v[72:73], v[52:53], v[24:25]
	v_add_f64 v[62:63], v[62:63], v[70:71]
	v_add_f64 v[2:3], v[2:3], v[4:5]
	v_mul_f64 v[4:5], v[44:45], v[12:13]
	s_waitcnt vmcnt(28)
	v_fmac_f64_e32 v[74:75], v[56:57], v[16:17]
	v_add_f64 v[62:63], v[62:63], v[72:73]
	v_fma_f64 v[4:5], v[42:43], v[26:27], -v[4:5]
	v_add_f64 v[66:67], v[62:63], v[74:75]
	ds_read_b128 v[62:65], v0 offset:1968
	s_waitcnt vmcnt(24) lgkmcnt(2)
	v_mul_f64 v[68:69], v[58:59], v[86:87]
	v_add_f64 v[2:3], v[2:3], v[4:5]
	v_mul_f64 v[4:5], v[48:49], v[20:21]
	s_waitcnt vmcnt(22)
	v_fmac_f64_e32 v[68:69], v[60:61], v[88:89]
	v_fma_f64 v[4:5], v[46:47], v[22:23], -v[4:5]
	v_add_f64 v[70:71], v[66:67], v[68:69]
	ds_read_b128 v[66:69], v0 offset:1984
	v_add_f64 v[2:3], v[2:3], v[4:5]
	v_mul_f64 v[4:5], v[52:53], v[18:19]
	v_fma_f64 v[4:5], v[50:51], v[24:25], -v[4:5]
	v_add_f64 v[2:3], v[2:3], v[4:5]
	v_mul_f64 v[4:5], v[56:57], v[14:15]
	s_waitcnt vmcnt(21) lgkmcnt(1)
	v_mul_f64 v[72:73], v[62:63], v[82:83]
	v_fma_f64 v[4:5], v[54:55], v[16:17], -v[4:5]
	s_waitcnt vmcnt(20)
	v_fmac_f64_e32 v[72:73], v[64:65], v[84:85]
	v_add_f64 v[2:3], v[2:3], v[4:5]
	v_mul_f64 v[4:5], v[60:61], v[86:87]
	v_add_f64 v[74:75], v[70:71], v[72:73]
	ds_read_b128 v[70:73], v0 offset:2000
	s_waitcnt vmcnt(16) lgkmcnt(1)
	v_mul_f64 v[76:77], v[66:67], v[94:95]
	v_fma_f64 v[4:5], v[58:59], v[88:89], -v[4:5]
	s_waitcnt vmcnt(14)
	v_fmac_f64_e32 v[76:77], v[68:69], v[96:97]
	v_add_f64 v[2:3], v[2:3], v[4:5]
	v_mul_f64 v[4:5], v[64:65], v[82:83]
	v_add_f64 v[110:111], v[74:75], v[76:77]
	ds_read_b128 v[74:77], v0 offset:2016
	v_fma_f64 v[4:5], v[62:63], v[84:85], -v[4:5]
	v_add_f64 v[2:3], v[2:3], v[4:5]
	v_mul_f64 v[4:5], v[68:69], v[94:95]
	v_fma_f64 v[4:5], v[66:67], v[96:97], -v[4:5]
	v_add_f64 v[2:3], v[2:3], v[4:5]
	s_waitcnt vmcnt(13) lgkmcnt(1)
	v_mul_f64 v[4:5], v[72:73], v[90:91]
	v_mul_f64 v[112:113], v[70:71], v[90:91]
	s_waitcnt vmcnt(12)
	v_fma_f64 v[4:5], v[70:71], v[92:93], -v[4:5]
	v_fmac_f64_e32 v[112:113], v[72:73], v[92:93]
	v_add_f64 v[2:3], v[2:3], v[4:5]
	s_waitcnt vmcnt(8) lgkmcnt(0)
	v_mul_f64 v[4:5], v[76:77], v[102:103]
	v_add_f64 v[110:111], v[110:111], v[112:113]
	v_mul_f64 v[112:113], v[74:75], v[102:103]
	s_waitcnt vmcnt(6)
	v_fma_f64 v[4:5], v[74:75], v[104:105], -v[4:5]
	v_fmac_f64_e32 v[112:113], v[76:77], v[104:105]
	v_add_f64 v[2:3], v[2:3], v[4:5]
	s_waitcnt vmcnt(5)
	v_mul_f64 v[4:5], v[80:81], v[98:99]
	v_add_f64 v[110:111], v[110:111], v[112:113]
	v_mul_f64 v[112:113], v[78:79], v[98:99]
	s_waitcnt vmcnt(4)
	v_fma_f64 v[4:5], v[78:79], v[100:101], -v[4:5]
	v_fmac_f64_e32 v[112:113], v[80:81], v[100:101]
	v_add_f64 v[2:3], v[2:3], v[4:5]
	v_add_f64 v[110:111], v[110:111], v[112:113]
	s_waitcnt vmcnt(2)
	v_add_f64 v[2:3], v[106:107], -v[2:3]
	s_waitcnt vmcnt(0)
	v_add_f64 v[4:5], v[108:109], -v[110:111]
	buffer_store_dword v3, off, s[0:3], 0 offset:820
	buffer_store_dword v2, off, s[0:3], 0 offset:816
	;; [unrolled: 1-line block ×4, first 2 shown]
	s_and_saveexec_b64 s[4:5], vcc
	s_cbranch_execz .LBB63_311
; %bb.310:
	v_accvgpr_read_b32 v1, a142
	buffer_load_dword v2, v1, s[0:3], 0 offen
	buffer_load_dword v3, v1, s[0:3], 0 offen offset:4
	buffer_load_dword v4, v1, s[0:3], 0 offen offset:8
	buffer_load_dword v5, v1, s[0:3], 0 offen offset:12
	v_accvgpr_read_b32 v1, a192
	buffer_store_dword v0, off, s[0:3], 0 offset:800
	buffer_store_dword v0, off, s[0:3], 0 offset:804
	;; [unrolled: 1-line block ×4, first 2 shown]
	s_waitcnt vmcnt(4)
	ds_write_b128 v1, v[2:5]
.LBB63_311:
	s_or_b64 exec, exec, s[4:5]
	s_waitcnt lgkmcnt(0)
	; wave barrier
	s_waitcnt lgkmcnt(0)
	buffer_load_dword v2, off, s[0:3], 0 offset:816
	buffer_load_dword v3, off, s[0:3], 0 offset:820
	;; [unrolled: 1-line block ×60, first 2 shown]
	ds_read_b128 v[30:33], v0 offset:1824
	ds_read_b128 v[34:37], v0 offset:1840
	;; [unrolled: 1-line block ×8, first 2 shown]
	v_cmp_lt_u32_e32 vcc, 48, v254
	ds_read_b128 v[82:85], v0 offset:2032
	s_waitcnt vmcnt(56) lgkmcnt(8)
	v_mul_f64 v[62:63], v[30:31], v[6:7]
	v_fmac_f64_e32 v[62:63], v[32:33], v[2:3]
	v_add_f64 v[62:63], v[62:63], 0
	v_mul_f64 v[6:7], v[32:33], v[6:7]
	s_waitcnt vmcnt(52) lgkmcnt(7)
	v_mul_f64 v[64:65], v[34:35], v[8:9]
	v_fmac_f64_e32 v[64:65], v[36:37], v[4:5]
	s_waitcnt vmcnt(50) lgkmcnt(6)
	v_mul_f64 v[66:67], v[38:39], v[10:11]
	v_add_f64 v[62:63], v[62:63], v[64:65]
	s_waitcnt vmcnt(48) lgkmcnt(4)
	v_mul_f64 v[70:71], v[46:47], v[12:13]
	v_fma_f64 v[2:3], v[30:31], v[2:3], -v[6:7]
	s_waitcnt vmcnt(46)
	v_fmac_f64_e32 v[70:71], v[48:49], v[14:15]
	v_mul_f64 v[6:7], v[36:37], v[8:9]
	s_waitcnt vmcnt(44)
	v_mul_f64 v[68:69], v[42:43], v[16:17]
	v_add_f64 v[2:3], v[2:3], 0
	v_fma_f64 v[4:5], v[34:35], v[4:5], -v[6:7]
	v_add_f64 v[2:3], v[2:3], v[4:5]
	s_waitcnt vmcnt(40) lgkmcnt(3)
	v_mul_f64 v[72:73], v[50:51], v[22:23]
	v_mul_f64 v[4:5], v[40:41], v[10:11]
	s_waitcnt vmcnt(38)
	v_fmac_f64_e32 v[66:67], v[40:41], v[28:29]
	v_add_f64 v[62:63], v[62:63], v[66:67]
	s_waitcnt vmcnt(36)
	v_fmac_f64_e32 v[68:69], v[44:45], v[26:27]
	v_add_f64 v[62:63], v[62:63], v[68:69]
	s_waitcnt vmcnt(34)
	v_fmac_f64_e32 v[72:73], v[52:53], v[24:25]
	v_add_f64 v[62:63], v[62:63], v[70:71]
	s_waitcnt vmcnt(33) lgkmcnt(2)
	v_mul_f64 v[64:65], v[54:55], v[18:19]
	v_add_f64 v[62:63], v[62:63], v[72:73]
	s_waitcnt vmcnt(32)
	v_fmac_f64_e32 v[64:65], v[56:57], v[20:21]
	v_add_f64 v[66:67], v[62:63], v[64:65]
	ds_read_b128 v[62:65], v0 offset:1952
	v_fma_f64 v[4:5], v[38:39], v[28:29], -v[4:5]
	v_add_f64 v[2:3], v[2:3], v[4:5]
	v_mul_f64 v[4:5], v[44:45], v[16:17]
	v_fma_f64 v[4:5], v[42:43], v[26:27], -v[4:5]
	s_waitcnt vmcnt(28) lgkmcnt(2)
	v_mul_f64 v[68:69], v[58:59], v[90:91]
	v_add_f64 v[2:3], v[2:3], v[4:5]
	v_mul_f64 v[4:5], v[48:49], v[12:13]
	s_waitcnt vmcnt(26)
	v_fmac_f64_e32 v[68:69], v[60:61], v[92:93]
	v_fma_f64 v[4:5], v[46:47], v[14:15], -v[4:5]
	v_add_f64 v[70:71], v[66:67], v[68:69]
	ds_read_b128 v[66:69], v0 offset:1968
	s_waitcnt vmcnt(25) lgkmcnt(1)
	v_mul_f64 v[72:73], v[62:63], v[86:87]
	v_add_f64 v[2:3], v[2:3], v[4:5]
	v_mul_f64 v[4:5], v[52:53], v[22:23]
	s_waitcnt vmcnt(24)
	v_fmac_f64_e32 v[72:73], v[64:65], v[88:89]
	v_fma_f64 v[4:5], v[50:51], v[24:25], -v[4:5]
	v_add_f64 v[74:75], v[70:71], v[72:73]
	ds_read_b128 v[70:73], v0 offset:1984
	v_add_f64 v[2:3], v[2:3], v[4:5]
	v_mul_f64 v[4:5], v[56:57], v[18:19]
	v_fma_f64 v[4:5], v[54:55], v[20:21], -v[4:5]
	v_add_f64 v[2:3], v[2:3], v[4:5]
	v_mul_f64 v[4:5], v[60:61], v[90:91]
	s_waitcnt vmcnt(20) lgkmcnt(1)
	v_mul_f64 v[76:77], v[66:67], v[98:99]
	v_fma_f64 v[4:5], v[58:59], v[92:93], -v[4:5]
	s_waitcnt vmcnt(18)
	v_fmac_f64_e32 v[76:77], v[68:69], v[100:101]
	v_add_f64 v[2:3], v[2:3], v[4:5]
	v_mul_f64 v[4:5], v[64:65], v[86:87]
	v_add_f64 v[78:79], v[74:75], v[76:77]
	ds_read_b128 v[74:77], v0 offset:2000
	s_waitcnt vmcnt(17) lgkmcnt(1)
	v_mul_f64 v[80:81], v[70:71], v[94:95]
	v_fma_f64 v[4:5], v[62:63], v[88:89], -v[4:5]
	s_waitcnt vmcnt(16)
	v_fmac_f64_e32 v[80:81], v[72:73], v[96:97]
	v_add_f64 v[2:3], v[2:3], v[4:5]
	v_mul_f64 v[4:5], v[68:69], v[98:99]
	v_add_f64 v[118:119], v[78:79], v[80:81]
	ds_read_b128 v[78:81], v0 offset:2016
	v_fma_f64 v[4:5], v[66:67], v[100:101], -v[4:5]
	v_add_f64 v[2:3], v[2:3], v[4:5]
	v_mul_f64 v[4:5], v[72:73], v[94:95]
	v_fma_f64 v[4:5], v[70:71], v[96:97], -v[4:5]
	v_add_f64 v[2:3], v[2:3], v[4:5]
	s_waitcnt vmcnt(12) lgkmcnt(1)
	v_mul_f64 v[4:5], v[76:77], v[106:107]
	v_mul_f64 v[120:121], v[74:75], v[106:107]
	s_waitcnt vmcnt(10)
	v_fma_f64 v[4:5], v[74:75], v[108:109], -v[4:5]
	v_fmac_f64_e32 v[120:121], v[76:77], v[108:109]
	v_add_f64 v[2:3], v[2:3], v[4:5]
	s_waitcnt vmcnt(9) lgkmcnt(0)
	v_mul_f64 v[4:5], v[80:81], v[102:103]
	v_add_f64 v[0:1], v[118:119], v[120:121]
	v_mul_f64 v[118:119], v[78:79], v[102:103]
	s_waitcnt vmcnt(8)
	v_fma_f64 v[4:5], v[78:79], v[104:105], -v[4:5]
	v_fmac_f64_e32 v[118:119], v[80:81], v[104:105]
	v_add_f64 v[2:3], v[2:3], v[4:5]
	s_waitcnt vmcnt(6)
	v_mul_f64 v[4:5], v[84:85], v[110:111]
	v_add_f64 v[0:1], v[0:1], v[118:119]
	v_mul_f64 v[118:119], v[82:83], v[110:111]
	s_waitcnt vmcnt(4)
	v_fma_f64 v[4:5], v[82:83], v[112:113], -v[4:5]
	v_fmac_f64_e32 v[118:119], v[84:85], v[112:113]
	v_add_f64 v[2:3], v[2:3], v[4:5]
	v_add_f64 v[0:1], v[0:1], v[118:119]
	s_waitcnt vmcnt(2)
	v_add_f64 v[2:3], v[114:115], -v[2:3]
	s_waitcnt vmcnt(0)
	v_add_f64 v[0:1], v[116:117], -v[0:1]
	buffer_store_dword v3, off, s[0:3], 0 offset:804
	buffer_store_dword v2, off, s[0:3], 0 offset:800
	buffer_store_dword v1, off, s[0:3], 0 offset:812
	buffer_store_dword v0, off, s[0:3], 0 offset:808
	s_and_saveexec_b64 s[4:5], vcc
	s_cbranch_execz .LBB63_313
; %bb.312:
	v_accvgpr_read_b32 v3, a143
	buffer_load_dword v0, v3, s[0:3], 0 offen
	buffer_load_dword v1, v3, s[0:3], 0 offen offset:4
	buffer_load_dword v2, v3, s[0:3], 0 offen offset:8
	s_nop 0
	buffer_load_dword v3, v3, s[0:3], 0 offen offset:12
	v_mov_b32_e32 v4, 0
	v_accvgpr_read_b32 v5, a192
	buffer_store_dword v4, off, s[0:3], 0 offset:784
	buffer_store_dword v4, off, s[0:3], 0 offset:788
	;; [unrolled: 1-line block ×4, first 2 shown]
	s_waitcnt vmcnt(4)
	ds_write_b128 v5, v[0:3]
.LBB63_313:
	s_or_b64 exec, exec, s[4:5]
	s_waitcnt lgkmcnt(0)
	; wave barrier
	s_waitcnt lgkmcnt(0)
	buffer_load_dword v2, off, s[0:3], 0 offset:800
	buffer_load_dword v3, off, s[0:3], 0 offset:804
	;; [unrolled: 1-line block ×64, first 2 shown]
	v_mov_b32_e32 v44, 0
	ds_read_b128 v[36:39], v44 offset:1808
	ds_read_b128 v[40:43], v44 offset:1824
	;; [unrolled: 1-line block ×7, first 2 shown]
	v_cmp_lt_u32_e32 vcc, 47, v254
	s_waitcnt vmcnt(60) lgkmcnt(6)
	v_mul_f64 v[62:63], v[36:37], v[4:5]
	v_fmac_f64_e32 v[62:63], v[38:39], v[2:3]
	s_waitcnt vmcnt(58) lgkmcnt(5)
	v_mul_f64 v[64:65], v[40:41], v[6:7]
	v_add_f64 v[62:63], v[62:63], 0
	s_waitcnt vmcnt(56) lgkmcnt(4)
	v_mul_f64 v[66:67], v[46:47], v[8:9]
	v_mul_f64 v[4:5], v[38:39], v[4:5]
	s_waitcnt vmcnt(54) lgkmcnt(2)
	v_mul_f64 v[70:71], v[54:55], v[10:11]
	v_fma_f64 v[2:3], v[36:37], v[2:3], -v[4:5]
	v_mul_f64 v[4:5], v[42:43], v[6:7]
	s_waitcnt vmcnt(51)
	v_mul_f64 v[68:69], v[50:51], v[14:15]
	v_add_f64 v[2:3], v[2:3], 0
	s_waitcnt vmcnt(49)
	v_fmac_f64_e32 v[64:65], v[42:43], v[20:21]
	v_add_f64 v[62:63], v[62:63], v[64:65]
	s_waitcnt vmcnt(47)
	v_fmac_f64_e32 v[66:67], v[48:49], v[18:19]
	;; [unrolled: 3-line block ×4, first 2 shown]
	v_add_f64 v[66:67], v[62:63], v[70:71]
	ds_read_b128 v[62:65], v44 offset:1904
	s_waitcnt vmcnt(40) lgkmcnt(2)
	v_mul_f64 v[68:69], v[58:59], v[26:27]
	v_fma_f64 v[4:5], v[40:41], v[20:21], -v[4:5]
	s_waitcnt vmcnt(38)
	v_fmac_f64_e32 v[68:69], v[60:61], v[28:29]
	v_add_f64 v[70:71], v[66:67], v[68:69]
	ds_read_b128 v[66:69], v44 offset:1920
	s_waitcnt vmcnt(37) lgkmcnt(1)
	v_mul_f64 v[72:73], v[62:63], v[22:23]
	s_waitcnt vmcnt(36)
	v_fmac_f64_e32 v[72:73], v[64:65], v[24:25]
	v_add_f64 v[74:75], v[70:71], v[72:73]
	ds_read_b128 v[70:73], v44 offset:1936
	s_waitcnt vmcnt(32) lgkmcnt(1)
	v_mul_f64 v[76:77], v[66:67], v[0:1]
	v_add_f64 v[2:3], v[2:3], v[4:5]
	v_mul_f64 v[4:5], v[48:49], v[8:9]
	s_waitcnt vmcnt(30)
	v_fmac_f64_e32 v[76:77], v[68:69], v[34:35]
	v_fma_f64 v[4:5], v[46:47], v[18:19], -v[4:5]
	v_add_f64 v[78:79], v[74:75], v[76:77]
	ds_read_b128 v[74:77], v44 offset:1952
	v_add_f64 v[2:3], v[2:3], v[4:5]
	v_mul_f64 v[4:5], v[52:53], v[14:15]
	v_fma_f64 v[4:5], v[50:51], v[16:17], -v[4:5]
	v_add_f64 v[2:3], v[2:3], v[4:5]
	v_mul_f64 v[4:5], v[56:57], v[10:11]
	s_waitcnt vmcnt(29) lgkmcnt(1)
	v_mul_f64 v[80:81], v[70:71], v[30:31]
	v_fma_f64 v[4:5], v[54:55], v[12:13], -v[4:5]
	s_waitcnt vmcnt(28)
	v_fmac_f64_e32 v[80:81], v[72:73], v[32:33]
	v_add_f64 v[2:3], v[2:3], v[4:5]
	v_mul_f64 v[4:5], v[60:61], v[26:27]
	v_add_f64 v[82:83], v[78:79], v[80:81]
	ds_read_b128 v[78:81], v44 offset:1968
	s_waitcnt vmcnt(24) lgkmcnt(1)
	v_mul_f64 v[84:85], v[74:75], v[102:103]
	v_fma_f64 v[4:5], v[58:59], v[28:29], -v[4:5]
	s_waitcnt vmcnt(22)
	v_fmac_f64_e32 v[84:85], v[76:77], v[104:105]
	v_add_f64 v[2:3], v[2:3], v[4:5]
	v_mul_f64 v[4:5], v[64:65], v[22:23]
	v_add_f64 v[86:87], v[82:83], v[84:85]
	ds_read_b128 v[82:85], v44 offset:1984
	v_fma_f64 v[4:5], v[62:63], v[24:25], -v[4:5]
	v_mul_f64 v[0:1], v[68:69], v[0:1]
	v_add_f64 v[2:3], v[2:3], v[4:5]
	v_fma_f64 v[0:1], v[66:67], v[34:35], -v[0:1]
	v_add_f64 v[0:1], v[2:3], v[0:1]
	v_mul_f64 v[2:3], v[72:73], v[30:31]
	s_waitcnt vmcnt(21) lgkmcnt(1)
	v_mul_f64 v[88:89], v[78:79], v[98:99]
	v_fma_f64 v[2:3], v[70:71], v[32:33], -v[2:3]
	s_waitcnt vmcnt(20)
	v_fmac_f64_e32 v[88:89], v[80:81], v[100:101]
	v_add_f64 v[0:1], v[0:1], v[2:3]
	v_mul_f64 v[2:3], v[76:77], v[102:103]
	v_add_f64 v[90:91], v[86:87], v[88:89]
	ds_read_b128 v[86:89], v44 offset:2000
	s_waitcnt vmcnt(16) lgkmcnt(1)
	v_mul_f64 v[92:93], v[82:83], v[110:111]
	v_fma_f64 v[2:3], v[74:75], v[104:105], -v[2:3]
	s_waitcnt vmcnt(14)
	v_fmac_f64_e32 v[92:93], v[84:85], v[112:113]
	v_add_f64 v[0:1], v[0:1], v[2:3]
	v_mul_f64 v[2:3], v[80:81], v[98:99]
	v_add_f64 v[126:127], v[90:91], v[92:93]
	ds_read_b128 v[90:93], v44 offset:2016
	v_fma_f64 v[2:3], v[78:79], v[100:101], -v[2:3]
	v_add_f64 v[0:1], v[0:1], v[2:3]
	v_mul_f64 v[2:3], v[84:85], v[110:111]
	v_fma_f64 v[2:3], v[82:83], v[112:113], -v[2:3]
	v_add_f64 v[0:1], v[0:1], v[2:3]
	s_waitcnt vmcnt(13) lgkmcnt(1)
	v_mul_f64 v[2:3], v[88:89], v[106:107]
	v_mul_f64 v[128:129], v[86:87], v[106:107]
	s_waitcnt vmcnt(12)
	v_fma_f64 v[2:3], v[86:87], v[108:109], -v[2:3]
	v_fmac_f64_e32 v[128:129], v[88:89], v[108:109]
	v_add_f64 v[0:1], v[0:1], v[2:3]
	s_waitcnt vmcnt(8) lgkmcnt(0)
	v_mul_f64 v[2:3], v[92:93], v[118:119]
	v_add_f64 v[126:127], v[126:127], v[128:129]
	v_mul_f64 v[128:129], v[90:91], v[118:119]
	s_waitcnt vmcnt(6)
	v_fma_f64 v[2:3], v[90:91], v[120:121], -v[2:3]
	v_fmac_f64_e32 v[128:129], v[92:93], v[120:121]
	v_add_f64 v[0:1], v[0:1], v[2:3]
	s_waitcnt vmcnt(5)
	v_mul_f64 v[2:3], v[96:97], v[114:115]
	v_add_f64 v[126:127], v[126:127], v[128:129]
	v_mul_f64 v[128:129], v[94:95], v[114:115]
	s_waitcnt vmcnt(4)
	v_fma_f64 v[2:3], v[94:95], v[116:117], -v[2:3]
	v_fmac_f64_e32 v[128:129], v[96:97], v[116:117]
	v_add_f64 v[0:1], v[0:1], v[2:3]
	v_add_f64 v[126:127], v[126:127], v[128:129]
	s_waitcnt vmcnt(2)
	v_add_f64 v[0:1], v[122:123], -v[0:1]
	s_waitcnt vmcnt(0)
	v_add_f64 v[2:3], v[124:125], -v[126:127]
	buffer_store_dword v1, off, s[0:3], 0 offset:788
	buffer_store_dword v0, off, s[0:3], 0 offset:784
	;; [unrolled: 1-line block ×4, first 2 shown]
	s_and_saveexec_b64 s[4:5], vcc
	s_cbranch_execz .LBB63_315
; %bb.314:
	v_accvgpr_read_b32 v3, a144
	buffer_load_dword v0, v3, s[0:3], 0 offen
	buffer_load_dword v1, v3, s[0:3], 0 offen offset:4
	buffer_load_dword v2, v3, s[0:3], 0 offen offset:8
	s_nop 0
	buffer_load_dword v3, v3, s[0:3], 0 offen offset:12
	v_accvgpr_read_b32 v4, a192
	buffer_store_dword v44, off, s[0:3], 0 offset:768
	buffer_store_dword v44, off, s[0:3], 0 offset:772
	buffer_store_dword v44, off, s[0:3], 0 offset:776
	buffer_store_dword v44, off, s[0:3], 0 offset:780
	s_waitcnt vmcnt(4)
	ds_write_b128 v4, v[0:3]
.LBB63_315:
	s_or_b64 exec, exec, s[4:5]
	s_waitcnt lgkmcnt(0)
	; wave barrier
	s_waitcnt lgkmcnt(0)
	buffer_load_dword v2, off, s[0:3], 0 offset:784
	buffer_load_dword v3, off, s[0:3], 0 offset:788
	;; [unrolled: 1-line block ×64, first 2 shown]
	ds_read_b128 v[46:49], v44 offset:1792
	ds_read_b128 v[50:53], v44 offset:1808
	;; [unrolled: 1-line block ×4, first 2 shown]
	buffer_load_dword v130, off, s[0:3], 0 offset:768
	buffer_load_dword v131, off, s[0:3], 0 offset:772
	;; [unrolled: 1-line block ×4, first 2 shown]
	v_cmp_lt_u32_e32 vcc, 46, v254
	ds_read_b128 v[106:109], v44 offset:2032
	s_waitcnt vmcnt(62) lgkmcnt(4)
	v_mul_f64 v[62:63], v[46:47], v[4:5]
	v_fmac_f64_e32 v[62:63], v[48:49], v[2:3]
	v_add_f64 v[62:63], v[62:63], 0
	s_waitcnt lgkmcnt(2)
	v_mul_f64 v[66:67], v[54:55], v[6:7]
	v_mul_f64 v[4:5], v[48:49], v[4:5]
	v_fma_f64 v[2:3], v[46:47], v[2:3], -v[4:5]
	s_waitcnt vmcnt(58) lgkmcnt(1)
	v_mul_f64 v[68:69], v[58:59], v[12:13]
	v_add_f64 v[2:3], v[2:3], 0
	s_waitcnt vmcnt(56)
	v_mul_f64 v[64:65], v[50:51], v[18:19]
	v_mul_f64 v[4:5], v[52:53], v[18:19]
	s_waitcnt vmcnt(53)
	v_fmac_f64_e32 v[66:67], v[56:57], v[16:17]
	s_waitcnt vmcnt(52)
	v_fmac_f64_e32 v[64:65], v[52:53], v[20:21]
	v_add_f64 v[70:71], v[62:63], v[64:65]
	ds_read_b128 v[62:65], v44 offset:1856
	v_add_f64 v[66:67], v[70:71], v[66:67]
	s_waitcnt vmcnt(50)
	v_fmac_f64_e32 v[68:69], v[60:61], v[14:15]
	v_add_f64 v[70:71], v[66:67], v[68:69]
	ds_read_b128 v[66:69], v44 offset:1872
	s_waitcnt vmcnt(49) lgkmcnt(1)
	v_mul_f64 v[72:73], v[62:63], v[8:9]
	s_waitcnt vmcnt(48)
	v_fmac_f64_e32 v[72:73], v[64:65], v[10:11]
	v_add_f64 v[74:75], v[70:71], v[72:73]
	ds_read_b128 v[70:73], v44 offset:1888
	s_waitcnt vmcnt(44) lgkmcnt(1)
	v_mul_f64 v[76:77], v[66:67], v[26:27]
	;; [unrolled: 6-line block ×3, first 2 shown]
	s_waitcnt vmcnt(40)
	v_fmac_f64_e32 v[80:81], v[72:73], v[24:25]
	v_add_f64 v[82:83], v[78:79], v[80:81]
	ds_read_b128 v[78:81], v44 offset:1920
	v_fma_f64 v[4:5], v[50:51], v[20:21], -v[4:5]
	s_waitcnt vmcnt(36) lgkmcnt(1)
	v_mul_f64 v[84:85], v[74:75], v[34:35]
	v_add_f64 v[2:3], v[2:3], v[4:5]
	v_mul_f64 v[4:5], v[56:57], v[6:7]
	s_waitcnt vmcnt(34)
	v_fmac_f64_e32 v[84:85], v[76:77], v[36:37]
	v_fma_f64 v[4:5], v[54:55], v[16:17], -v[4:5]
	v_add_f64 v[86:87], v[82:83], v[84:85]
	ds_read_b128 v[82:85], v44 offset:1936
	s_waitcnt vmcnt(33) lgkmcnt(1)
	v_mul_f64 v[88:89], v[78:79], v[30:31]
	v_add_f64 v[2:3], v[2:3], v[4:5]
	v_mul_f64 v[4:5], v[60:61], v[12:13]
	s_waitcnt vmcnt(32)
	v_fmac_f64_e32 v[88:89], v[80:81], v[32:33]
	v_fma_f64 v[4:5], v[58:59], v[14:15], -v[4:5]
	v_add_f64 v[90:91], v[86:87], v[88:89]
	ds_read_b128 v[86:89], v44 offset:1952
	v_add_f64 v[2:3], v[2:3], v[4:5]
	v_mul_f64 v[4:5], v[64:65], v[8:9]
	v_fma_f64 v[4:5], v[62:63], v[10:11], -v[4:5]
	v_add_f64 v[2:3], v[2:3], v[4:5]
	v_mul_f64 v[4:5], v[68:69], v[26:27]
	s_waitcnt vmcnt(28) lgkmcnt(1)
	v_mul_f64 v[92:93], v[82:83], v[40:41]
	v_fma_f64 v[4:5], v[66:67], v[28:29], -v[4:5]
	s_waitcnt vmcnt(26)
	v_fmac_f64_e32 v[92:93], v[84:85], v[42:43]
	v_add_f64 v[2:3], v[2:3], v[4:5]
	v_mul_f64 v[4:5], v[72:73], v[22:23]
	v_add_f64 v[94:95], v[90:91], v[92:93]
	ds_read_b128 v[90:93], v44 offset:1968
	s_waitcnt vmcnt(25) lgkmcnt(1)
	v_mul_f64 v[96:97], v[86:87], v[0:1]
	v_fma_f64 v[4:5], v[70:71], v[24:25], -v[4:5]
	s_waitcnt vmcnt(24)
	v_fmac_f64_e32 v[96:97], v[88:89], v[38:39]
	v_add_f64 v[2:3], v[2:3], v[4:5]
	v_mul_f64 v[4:5], v[76:77], v[34:35]
	v_add_f64 v[98:99], v[94:95], v[96:97]
	ds_read_b128 v[94:97], v44 offset:1984
	v_fma_f64 v[4:5], v[74:75], v[36:37], -v[4:5]
	v_add_f64 v[2:3], v[2:3], v[4:5]
	v_mul_f64 v[4:5], v[80:81], v[30:31]
	v_fma_f64 v[4:5], v[78:79], v[32:33], -v[4:5]
	s_waitcnt vmcnt(20) lgkmcnt(1)
	v_mul_f64 v[100:101], v[90:91], v[114:115]
	v_add_f64 v[2:3], v[2:3], v[4:5]
	v_mul_f64 v[4:5], v[84:85], v[40:41]
	s_waitcnt vmcnt(18)
	v_fmac_f64_e32 v[100:101], v[92:93], v[116:117]
	v_fma_f64 v[4:5], v[82:83], v[42:43], -v[4:5]
	v_mul_f64 v[0:1], v[88:89], v[0:1]
	v_add_f64 v[102:103], v[98:99], v[100:101]
	ds_read_b128 v[98:101], v44 offset:2000
	s_waitcnt vmcnt(17) lgkmcnt(1)
	v_mul_f64 v[104:105], v[94:95], v[110:111]
	v_add_f64 v[2:3], v[2:3], v[4:5]
	v_fma_f64 v[0:1], v[86:87], v[38:39], -v[0:1]
	s_waitcnt vmcnt(16)
	v_fmac_f64_e32 v[104:105], v[96:97], v[112:113]
	v_add_f64 v[0:1], v[2:3], v[0:1]
	v_mul_f64 v[2:3], v[92:93], v[114:115]
	v_add_f64 v[134:135], v[102:103], v[104:105]
	ds_read_b128 v[102:105], v44 offset:2016
	v_fma_f64 v[2:3], v[90:91], v[116:117], -v[2:3]
	v_add_f64 v[0:1], v[0:1], v[2:3]
	v_mul_f64 v[2:3], v[96:97], v[110:111]
	v_fma_f64 v[2:3], v[94:95], v[112:113], -v[2:3]
	v_add_f64 v[0:1], v[0:1], v[2:3]
	s_waitcnt vmcnt(12) lgkmcnt(1)
	v_mul_f64 v[2:3], v[100:101], v[122:123]
	v_mul_f64 v[136:137], v[98:99], v[122:123]
	s_waitcnt vmcnt(10)
	v_fma_f64 v[2:3], v[98:99], v[124:125], -v[2:3]
	v_fmac_f64_e32 v[136:137], v[100:101], v[124:125]
	v_add_f64 v[0:1], v[0:1], v[2:3]
	s_waitcnt vmcnt(9) lgkmcnt(0)
	v_mul_f64 v[2:3], v[104:105], v[118:119]
	v_add_f64 v[44:45], v[134:135], v[136:137]
	v_mul_f64 v[134:135], v[102:103], v[118:119]
	s_waitcnt vmcnt(8)
	v_fma_f64 v[2:3], v[102:103], v[120:121], -v[2:3]
	v_fmac_f64_e32 v[134:135], v[104:105], v[120:121]
	v_add_f64 v[0:1], v[0:1], v[2:3]
	s_waitcnt vmcnt(6)
	v_mul_f64 v[2:3], v[108:109], v[126:127]
	v_add_f64 v[44:45], v[44:45], v[134:135]
	v_mul_f64 v[134:135], v[106:107], v[126:127]
	s_waitcnt vmcnt(4)
	v_fma_f64 v[2:3], v[106:107], v[128:129], -v[2:3]
	v_fmac_f64_e32 v[134:135], v[108:109], v[128:129]
	v_add_f64 v[0:1], v[0:1], v[2:3]
	v_add_f64 v[44:45], v[44:45], v[134:135]
	s_waitcnt vmcnt(2)
	v_add_f64 v[0:1], v[130:131], -v[0:1]
	s_waitcnt vmcnt(0)
	v_add_f64 v[2:3], v[132:133], -v[44:45]
	buffer_store_dword v1, off, s[0:3], 0 offset:772
	buffer_store_dword v0, off, s[0:3], 0 offset:768
	;; [unrolled: 1-line block ×4, first 2 shown]
	s_and_saveexec_b64 s[4:5], vcc
	s_cbranch_execz .LBB63_317
; %bb.316:
	v_accvgpr_read_b32 v3, a145
	buffer_load_dword v0, v3, s[0:3], 0 offen
	buffer_load_dword v1, v3, s[0:3], 0 offen offset:4
	buffer_load_dword v2, v3, s[0:3], 0 offen offset:8
	s_nop 0
	buffer_load_dword v3, v3, s[0:3], 0 offen offset:12
	v_mov_b32_e32 v4, 0
	v_accvgpr_read_b32 v5, a192
	buffer_store_dword v4, off, s[0:3], 0 offset:752
	buffer_store_dword v4, off, s[0:3], 0 offset:756
	;; [unrolled: 1-line block ×4, first 2 shown]
	s_waitcnt vmcnt(4)
	ds_write_b128 v5, v[0:3]
.LBB63_317:
	s_or_b64 exec, exec, s[4:5]
	s_waitcnt lgkmcnt(0)
	; wave barrier
	s_waitcnt lgkmcnt(0)
	buffer_load_dword v2, off, s[0:3], 0 offset:768
	buffer_load_dword v3, off, s[0:3], 0 offset:772
	;; [unrolled: 1-line block ×68, first 2 shown]
	v_mov_b32_e32 v50, 0
	buffer_load_dword v138, off, s[0:3], 0 offset:752
	buffer_load_dword v139, off, s[0:3], 0 offset:756
	;; [unrolled: 1-line block ×3, first 2 shown]
	ds_read_b128 v[46:49], v50 offset:1776
	ds_read_b128 v[52:55], v50 offset:1792
	buffer_load_dword v141, off, s[0:3], 0 offset:764
	ds_read_b128 v[56:59], v50 offset:1808
	ds_read_b128 v[60:63], v50 offset:1824
	;; [unrolled: 1-line block ×3, first 2 shown]
	v_cmp_lt_u32_e32 vcc, 45, v254
	s_waitcnt vmcnt(62) lgkmcnt(4)
	v_mul_f64 v[64:65], v[46:47], v[6:7]
	v_fmac_f64_e32 v[64:65], v[48:49], v[2:3]
	v_add_f64 v[64:65], v[64:65], 0
	v_mul_f64 v[6:7], v[48:49], v[6:7]
	s_waitcnt lgkmcnt(3)
	v_mul_f64 v[66:67], v[52:53], v[10:11]
	v_fmac_f64_e32 v[66:67], v[54:55], v[4:5]
	v_add_f64 v[64:65], v[64:65], v[66:67]
	v_fma_f64 v[2:3], v[46:47], v[2:3], -v[6:7]
	s_waitcnt vmcnt(60) lgkmcnt(2)
	v_mul_f64 v[66:67], v[56:57], v[12:13]
	v_fmac_f64_e32 v[66:67], v[58:59], v[8:9]
	v_add_f64 v[68:69], v[64:65], v[66:67]
	ds_read_b128 v[64:67], v50 offset:1840
	s_waitcnt vmcnt(56) lgkmcnt(2)
	v_mul_f64 v[70:71], v[60:61], v[18:19]
	v_mul_f64 v[6:7], v[54:55], v[10:11]
	s_waitcnt vmcnt(54)
	v_fmac_f64_e32 v[70:71], v[62:63], v[20:21]
	v_add_f64 v[72:73], v[68:69], v[70:71]
	ds_read_b128 v[68:71], v50 offset:1856
	s_waitcnt vmcnt(53) lgkmcnt(1)
	v_mul_f64 v[74:75], v[64:65], v[14:15]
	s_waitcnt vmcnt(52)
	v_fmac_f64_e32 v[74:75], v[66:67], v[16:17]
	v_add_f64 v[76:77], v[72:73], v[74:75]
	ds_read_b128 v[72:75], v50 offset:1872
	s_waitcnt vmcnt(48) lgkmcnt(1)
	;; [unrolled: 6-line block ×4, first 2 shown]
	v_mul_f64 v[86:87], v[76:77], v[34:35]
	s_waitcnt vmcnt(38)
	v_fmac_f64_e32 v[86:87], v[78:79], v[36:37]
	v_add_f64 v[88:89], v[84:85], v[86:87]
	ds_read_b128 v[84:87], v50 offset:1920
	v_add_f64 v[2:3], v[2:3], 0
	v_fma_f64 v[4:5], v[52:53], v[4:5], -v[6:7]
	v_add_f64 v[2:3], v[2:3], v[4:5]
	v_mul_f64 v[4:5], v[58:59], v[12:13]
	v_fma_f64 v[4:5], v[56:57], v[8:9], -v[4:5]
	s_waitcnt vmcnt(37) lgkmcnt(1)
	v_mul_f64 v[90:91], v[80:81], v[30:31]
	v_add_f64 v[2:3], v[2:3], v[4:5]
	v_mul_f64 v[4:5], v[62:63], v[18:19]
	s_waitcnt vmcnt(36)
	v_fmac_f64_e32 v[90:91], v[82:83], v[32:33]
	v_fma_f64 v[4:5], v[60:61], v[20:21], -v[4:5]
	v_add_f64 v[92:93], v[88:89], v[90:91]
	ds_read_b128 v[88:91], v50 offset:1936
	s_waitcnt vmcnt(32) lgkmcnt(1)
	v_mul_f64 v[94:95], v[84:85], v[42:43]
	v_add_f64 v[2:3], v[2:3], v[4:5]
	v_mul_f64 v[4:5], v[66:67], v[14:15]
	s_waitcnt vmcnt(30)
	v_fmac_f64_e32 v[94:95], v[86:87], v[44:45]
	v_fma_f64 v[4:5], v[64:65], v[16:17], -v[4:5]
	v_add_f64 v[96:97], v[92:93], v[94:95]
	ds_read_b128 v[92:95], v50 offset:1952
	v_add_f64 v[2:3], v[2:3], v[4:5]
	v_mul_f64 v[4:5], v[70:71], v[26:27]
	v_fma_f64 v[4:5], v[68:69], v[28:29], -v[4:5]
	v_add_f64 v[2:3], v[2:3], v[4:5]
	v_mul_f64 v[4:5], v[74:75], v[22:23]
	s_waitcnt vmcnt(29) lgkmcnt(1)
	v_mul_f64 v[98:99], v[88:89], v[38:39]
	v_fma_f64 v[4:5], v[72:73], v[24:25], -v[4:5]
	s_waitcnt vmcnt(28)
	v_fmac_f64_e32 v[98:99], v[90:91], v[40:41]
	v_add_f64 v[2:3], v[2:3], v[4:5]
	v_mul_f64 v[4:5], v[78:79], v[34:35]
	v_add_f64 v[100:101], v[96:97], v[98:99]
	ds_read_b128 v[96:99], v50 offset:1968
	s_waitcnt vmcnt(24) lgkmcnt(1)
	v_mul_f64 v[102:103], v[92:93], v[118:119]
	v_fma_f64 v[4:5], v[76:77], v[36:37], -v[4:5]
	s_waitcnt vmcnt(22)
	v_fmac_f64_e32 v[102:103], v[94:95], v[120:121]
	v_add_f64 v[2:3], v[2:3], v[4:5]
	v_mul_f64 v[4:5], v[82:83], v[30:31]
	v_add_f64 v[104:105], v[100:101], v[102:103]
	ds_read_b128 v[100:103], v50 offset:1984
	v_fma_f64 v[4:5], v[80:81], v[32:33], -v[4:5]
	v_add_f64 v[2:3], v[2:3], v[4:5]
	v_mul_f64 v[4:5], v[86:87], v[42:43]
	v_fma_f64 v[4:5], v[84:85], v[44:45], -v[4:5]
	s_waitcnt vmcnt(21) lgkmcnt(1)
	v_mul_f64 v[106:107], v[96:97], v[0:1]
	v_add_f64 v[2:3], v[2:3], v[4:5]
	v_mul_f64 v[4:5], v[90:91], v[38:39]
	s_waitcnt vmcnt(20)
	v_fmac_f64_e32 v[106:107], v[98:99], v[116:117]
	v_fma_f64 v[4:5], v[88:89], v[40:41], -v[4:5]
	v_add_f64 v[108:109], v[104:105], v[106:107]
	ds_read_b128 v[104:107], v50 offset:2000
	s_waitcnt vmcnt(16) lgkmcnt(1)
	v_mul_f64 v[110:111], v[100:101], v[126:127]
	v_add_f64 v[2:3], v[2:3], v[4:5]
	v_mul_f64 v[4:5], v[94:95], v[118:119]
	s_waitcnt vmcnt(14)
	v_fmac_f64_e32 v[110:111], v[102:103], v[128:129]
	v_fma_f64 v[4:5], v[92:93], v[120:121], -v[4:5]
	v_mul_f64 v[0:1], v[98:99], v[0:1]
	v_add_f64 v[142:143], v[108:109], v[110:111]
	ds_read_b128 v[108:111], v50 offset:2016
	v_add_f64 v[2:3], v[2:3], v[4:5]
	v_fma_f64 v[0:1], v[96:97], v[116:117], -v[0:1]
	v_add_f64 v[0:1], v[2:3], v[0:1]
	v_mul_f64 v[2:3], v[102:103], v[126:127]
	v_fma_f64 v[2:3], v[100:101], v[128:129], -v[2:3]
	v_add_f64 v[0:1], v[0:1], v[2:3]
	s_waitcnt vmcnt(13) lgkmcnt(1)
	v_mul_f64 v[2:3], v[106:107], v[122:123]
	v_mul_f64 v[144:145], v[104:105], v[122:123]
	s_waitcnt vmcnt(12)
	v_fma_f64 v[2:3], v[104:105], v[124:125], -v[2:3]
	v_fmac_f64_e32 v[144:145], v[106:107], v[124:125]
	v_add_f64 v[0:1], v[0:1], v[2:3]
	s_waitcnt vmcnt(8) lgkmcnt(0)
	v_mul_f64 v[2:3], v[110:111], v[134:135]
	v_add_f64 v[142:143], v[142:143], v[144:145]
	v_mul_f64 v[144:145], v[108:109], v[134:135]
	s_waitcnt vmcnt(6)
	v_fma_f64 v[2:3], v[108:109], v[136:137], -v[2:3]
	v_fmac_f64_e32 v[144:145], v[110:111], v[136:137]
	v_add_f64 v[0:1], v[0:1], v[2:3]
	s_waitcnt vmcnt(5)
	v_mul_f64 v[2:3], v[114:115], v[130:131]
	v_add_f64 v[142:143], v[142:143], v[144:145]
	v_mul_f64 v[144:145], v[112:113], v[130:131]
	s_waitcnt vmcnt(4)
	v_fma_f64 v[2:3], v[112:113], v[132:133], -v[2:3]
	v_fmac_f64_e32 v[144:145], v[114:115], v[132:133]
	v_add_f64 v[0:1], v[0:1], v[2:3]
	v_add_f64 v[142:143], v[142:143], v[144:145]
	s_waitcnt vmcnt(2)
	v_add_f64 v[0:1], v[138:139], -v[0:1]
	s_waitcnt vmcnt(0)
	v_add_f64 v[2:3], v[140:141], -v[142:143]
	buffer_store_dword v1, off, s[0:3], 0 offset:756
	buffer_store_dword v0, off, s[0:3], 0 offset:752
	;; [unrolled: 1-line block ×4, first 2 shown]
	s_and_saveexec_b64 s[4:5], vcc
	s_cbranch_execz .LBB63_319
; %bb.318:
	v_accvgpr_read_b32 v3, a146
	buffer_load_dword v0, v3, s[0:3], 0 offen
	buffer_load_dword v1, v3, s[0:3], 0 offen offset:4
	buffer_load_dword v2, v3, s[0:3], 0 offen offset:8
	s_nop 0
	buffer_load_dword v3, v3, s[0:3], 0 offen offset:12
	v_accvgpr_read_b32 v4, a192
	buffer_store_dword v50, off, s[0:3], 0 offset:736
	buffer_store_dword v50, off, s[0:3], 0 offset:740
	;; [unrolled: 1-line block ×4, first 2 shown]
	s_waitcnt vmcnt(4)
	ds_write_b128 v4, v[0:3]
.LBB63_319:
	s_or_b64 exec, exec, s[4:5]
	s_waitcnt lgkmcnt(0)
	; wave barrier
	s_waitcnt lgkmcnt(0)
	buffer_load_dword v2, off, s[0:3], 0 offset:752
	buffer_load_dword v3, off, s[0:3], 0 offset:756
	;; [unrolled: 1-line block ×72, first 2 shown]
	ds_read_b128 v[52:55], v50 offset:1760
	buffer_load_dword v146, off, s[0:3], 0 offset:736
	buffer_load_dword v147, off, s[0:3], 0 offset:740
	;; [unrolled: 1-line block ×4, first 2 shown]
	ds_read_b128 v[56:59], v50 offset:1776
	ds_read_b128 v[60:63], v50 offset:1792
	;; [unrolled: 1-line block ×3, first 2 shown]
	v_cmp_lt_u32_e32 vcc, 44, v254
	ds_read_b128 v[120:123], v50 offset:2032
	s_waitcnt vmcnt(62) lgkmcnt(4)
	v_mul_f64 v[68:69], v[52:53], v[8:9]
	v_fmac_f64_e32 v[68:69], v[54:55], v[2:3]
	v_add_f64 v[68:69], v[68:69], 0
	v_mul_f64 v[8:9], v[54:55], v[8:9]
	s_waitcnt lgkmcnt(3)
	v_mul_f64 v[70:71], v[56:57], v[10:11]
	v_fmac_f64_e32 v[70:71], v[58:59], v[4:5]
	v_add_f64 v[68:69], v[68:69], v[70:71]
	v_fma_f64 v[2:3], v[52:53], v[2:3], -v[8:9]
	s_waitcnt lgkmcnt(2)
	v_mul_f64 v[70:71], v[60:61], v[12:13]
	v_fmac_f64_e32 v[70:71], v[62:63], v[6:7]
	v_add_f64 v[72:73], v[68:69], v[70:71]
	ds_read_b128 v[68:71], v50 offset:1824
	s_waitcnt vmcnt(60) lgkmcnt(2)
	v_mul_f64 v[74:75], v[64:65], v[18:19]
	v_mul_f64 v[8:9], v[58:59], v[10:11]
	s_waitcnt vmcnt(58)
	v_fmac_f64_e32 v[74:75], v[66:67], v[20:21]
	v_add_f64 v[76:77], v[72:73], v[74:75]
	ds_read_b128 v[72:75], v50 offset:1840
	s_waitcnt vmcnt(57) lgkmcnt(1)
	v_mul_f64 v[78:79], v[68:69], v[14:15]
	s_waitcnt vmcnt(56)
	v_fmac_f64_e32 v[78:79], v[70:71], v[16:17]
	v_add_f64 v[80:81], v[76:77], v[78:79]
	ds_read_b128 v[76:79], v50 offset:1856
	s_waitcnt vmcnt(52) lgkmcnt(1)
	;; [unrolled: 6-line block ×5, first 2 shown]
	v_mul_f64 v[94:95], v[84:85], v[30:31]
	v_add_f64 v[2:3], v[2:3], 0
	v_fma_f64 v[4:5], v[56:57], v[4:5], -v[8:9]
	s_waitcnt vmcnt(40)
	v_fmac_f64_e32 v[94:95], v[86:87], v[32:33]
	v_add_f64 v[2:3], v[2:3], v[4:5]
	v_mul_f64 v[4:5], v[62:63], v[12:13]
	v_add_f64 v[96:97], v[92:93], v[94:95]
	ds_read_b128 v[92:95], v50 offset:1920
	v_fma_f64 v[4:5], v[60:61], v[6:7], -v[4:5]
	v_add_f64 v[2:3], v[2:3], v[4:5]
	v_mul_f64 v[4:5], v[66:67], v[18:19]
	v_fma_f64 v[4:5], v[64:65], v[20:21], -v[4:5]
	s_waitcnt vmcnt(36) lgkmcnt(1)
	v_mul_f64 v[98:99], v[88:89], v[42:43]
	v_add_f64 v[2:3], v[2:3], v[4:5]
	v_mul_f64 v[4:5], v[70:71], v[14:15]
	s_waitcnt vmcnt(34)
	v_fmac_f64_e32 v[98:99], v[90:91], v[44:45]
	v_fma_f64 v[4:5], v[68:69], v[16:17], -v[4:5]
	v_add_f64 v[100:101], v[96:97], v[98:99]
	ds_read_b128 v[96:99], v50 offset:1936
	s_waitcnt vmcnt(33) lgkmcnt(1)
	v_mul_f64 v[102:103], v[92:93], v[38:39]
	v_add_f64 v[2:3], v[2:3], v[4:5]
	v_mul_f64 v[4:5], v[74:75], v[26:27]
	s_waitcnt vmcnt(32)
	v_fmac_f64_e32 v[102:103], v[94:95], v[40:41]
	v_fma_f64 v[4:5], v[72:73], v[28:29], -v[4:5]
	v_add_f64 v[104:105], v[100:101], v[102:103]
	ds_read_b128 v[100:103], v50 offset:1952
	v_add_f64 v[2:3], v[2:3], v[4:5]
	v_mul_f64 v[4:5], v[78:79], v[22:23]
	v_fma_f64 v[4:5], v[76:77], v[24:25], -v[4:5]
	v_add_f64 v[2:3], v[2:3], v[4:5]
	v_mul_f64 v[4:5], v[82:83], v[34:35]
	s_waitcnt vmcnt(28) lgkmcnt(1)
	v_mul_f64 v[106:107], v[96:97], v[48:49]
	v_fma_f64 v[4:5], v[80:81], v[36:37], -v[4:5]
	s_waitcnt vmcnt(26)
	v_fmac_f64_e32 v[106:107], v[98:99], v[124:125]
	v_add_f64 v[2:3], v[2:3], v[4:5]
	v_mul_f64 v[4:5], v[86:87], v[30:31]
	v_add_f64 v[108:109], v[104:105], v[106:107]
	ds_read_b128 v[104:107], v50 offset:1968
	s_waitcnt vmcnt(25) lgkmcnt(1)
	v_mul_f64 v[110:111], v[100:101], v[0:1]
	v_fma_f64 v[4:5], v[84:85], v[32:33], -v[4:5]
	s_waitcnt vmcnt(24)
	v_fmac_f64_e32 v[110:111], v[102:103], v[46:47]
	v_add_f64 v[2:3], v[2:3], v[4:5]
	v_mul_f64 v[4:5], v[90:91], v[42:43]
	v_add_f64 v[112:113], v[108:109], v[110:111]
	ds_read_b128 v[108:111], v50 offset:1984
	v_fma_f64 v[4:5], v[88:89], v[44:45], -v[4:5]
	v_add_f64 v[2:3], v[2:3], v[4:5]
	v_mul_f64 v[4:5], v[94:95], v[38:39]
	v_fma_f64 v[4:5], v[92:93], v[40:41], -v[4:5]
	s_waitcnt vmcnt(20) lgkmcnt(1)
	v_mul_f64 v[114:115], v[104:105], v[130:131]
	v_add_f64 v[2:3], v[2:3], v[4:5]
	v_mul_f64 v[4:5], v[98:99], v[48:49]
	s_waitcnt vmcnt(18)
	v_fmac_f64_e32 v[114:115], v[106:107], v[132:133]
	v_fma_f64 v[4:5], v[96:97], v[124:125], -v[4:5]
	v_mul_f64 v[0:1], v[102:103], v[0:1]
	v_add_f64 v[116:117], v[112:113], v[114:115]
	ds_read_b128 v[112:115], v50 offset:2000
	s_waitcnt vmcnt(17) lgkmcnt(1)
	v_mul_f64 v[118:119], v[108:109], v[126:127]
	v_add_f64 v[2:3], v[2:3], v[4:5]
	v_fma_f64 v[0:1], v[100:101], v[46:47], -v[0:1]
	s_waitcnt vmcnt(16)
	v_fmac_f64_e32 v[118:119], v[110:111], v[128:129]
	v_add_f64 v[0:1], v[2:3], v[0:1]
	v_mul_f64 v[2:3], v[106:107], v[130:131]
	v_add_f64 v[150:151], v[116:117], v[118:119]
	ds_read_b128 v[116:119], v50 offset:2016
	v_fma_f64 v[2:3], v[104:105], v[132:133], -v[2:3]
	v_add_f64 v[0:1], v[0:1], v[2:3]
	v_mul_f64 v[2:3], v[110:111], v[126:127]
	v_fma_f64 v[2:3], v[108:109], v[128:129], -v[2:3]
	v_add_f64 v[0:1], v[0:1], v[2:3]
	s_waitcnt vmcnt(12) lgkmcnt(1)
	v_mul_f64 v[2:3], v[114:115], v[138:139]
	v_mul_f64 v[152:153], v[112:113], v[138:139]
	s_waitcnt vmcnt(10)
	v_fma_f64 v[2:3], v[112:113], v[140:141], -v[2:3]
	v_fmac_f64_e32 v[152:153], v[114:115], v[140:141]
	v_add_f64 v[0:1], v[0:1], v[2:3]
	s_waitcnt vmcnt(9) lgkmcnt(0)
	v_mul_f64 v[2:3], v[118:119], v[134:135]
	v_add_f64 v[50:51], v[150:151], v[152:153]
	v_mul_f64 v[150:151], v[116:117], v[134:135]
	s_waitcnt vmcnt(8)
	v_fma_f64 v[2:3], v[116:117], v[136:137], -v[2:3]
	v_fmac_f64_e32 v[150:151], v[118:119], v[136:137]
	v_add_f64 v[0:1], v[0:1], v[2:3]
	s_waitcnt vmcnt(6)
	v_mul_f64 v[2:3], v[122:123], v[142:143]
	v_add_f64 v[50:51], v[50:51], v[150:151]
	v_mul_f64 v[150:151], v[120:121], v[142:143]
	s_waitcnt vmcnt(4)
	v_fma_f64 v[2:3], v[120:121], v[144:145], -v[2:3]
	v_fmac_f64_e32 v[150:151], v[122:123], v[144:145]
	v_add_f64 v[0:1], v[0:1], v[2:3]
	v_add_f64 v[50:51], v[50:51], v[150:151]
	s_waitcnt vmcnt(2)
	v_add_f64 v[0:1], v[146:147], -v[0:1]
	s_waitcnt vmcnt(0)
	v_add_f64 v[2:3], v[148:149], -v[50:51]
	buffer_store_dword v1, off, s[0:3], 0 offset:740
	buffer_store_dword v0, off, s[0:3], 0 offset:736
	;; [unrolled: 1-line block ×4, first 2 shown]
	s_and_saveexec_b64 s[4:5], vcc
	s_cbranch_execz .LBB63_321
; %bb.320:
	v_accvgpr_read_b32 v3, a147
	buffer_load_dword v0, v3, s[0:3], 0 offen
	buffer_load_dword v1, v3, s[0:3], 0 offen offset:4
	buffer_load_dword v2, v3, s[0:3], 0 offen offset:8
	s_nop 0
	buffer_load_dword v3, v3, s[0:3], 0 offen offset:12
	v_mov_b32_e32 v4, 0
	v_accvgpr_read_b32 v5, a192
	buffer_store_dword v4, off, s[0:3], 0 offset:720
	buffer_store_dword v4, off, s[0:3], 0 offset:724
	;; [unrolled: 1-line block ×4, first 2 shown]
	s_waitcnt vmcnt(4)
	ds_write_b128 v5, v[0:3]
.LBB63_321:
	s_or_b64 exec, exec, s[4:5]
	s_waitcnt lgkmcnt(0)
	; wave barrier
	s_waitcnt lgkmcnt(0)
	buffer_load_dword v2, off, s[0:3], 0 offset:736
	buffer_load_dword v3, off, s[0:3], 0 offset:740
	;; [unrolled: 1-line block ×76, first 2 shown]
	v_mov_b32_e32 v0, 0
	ds_read_b128 v[54:57], v0 offset:1744
	buffer_load_dword v154, off, s[0:3], 0 offset:720
	buffer_load_dword v155, off, s[0:3], 0 offset:724
	;; [unrolled: 1-line block ×4, first 2 shown]
	ds_read_b128 v[58:61], v0 offset:1760
	ds_read_b128 v[62:65], v0 offset:1776
	;; [unrolled: 1-line block ×4, first 2 shown]
	v_cmp_lt_u32_e32 vcc, 43, v254
	s_waitcnt vmcnt(62) lgkmcnt(4)
	v_mul_f64 v[70:71], v[54:55], v[8:9]
	v_fmac_f64_e32 v[70:71], v[56:57], v[2:3]
	v_add_f64 v[70:71], v[70:71], 0
	v_mul_f64 v[8:9], v[56:57], v[8:9]
	s_waitcnt lgkmcnt(3)
	v_mul_f64 v[72:73], v[58:59], v[10:11]
	v_fmac_f64_e32 v[72:73], v[60:61], v[4:5]
	v_add_f64 v[70:71], v[70:71], v[72:73]
	v_fma_f64 v[2:3], v[54:55], v[2:3], -v[8:9]
	s_waitcnt lgkmcnt(2)
	v_mul_f64 v[72:73], v[62:63], v[12:13]
	v_fmac_f64_e32 v[72:73], v[64:65], v[6:7]
	v_add_f64 v[74:75], v[70:71], v[72:73]
	ds_read_b128 v[70:73], v0 offset:1808
	s_waitcnt lgkmcnt(2)
	v_mul_f64 v[76:77], v[66:67], v[18:19]
	v_mul_f64 v[8:9], v[60:61], v[10:11]
	v_fmac_f64_e32 v[76:77], v[68:69], v[20:21]
	v_add_f64 v[78:79], v[74:75], v[76:77]
	ds_read_b128 v[74:77], v0 offset:1824
	s_waitcnt vmcnt(61) lgkmcnt(1)
	v_mul_f64 v[80:81], v[70:71], v[14:15]
	s_waitcnt vmcnt(60)
	v_fmac_f64_e32 v[80:81], v[72:73], v[16:17]
	v_add_f64 v[82:83], v[78:79], v[80:81]
	ds_read_b128 v[78:81], v0 offset:1840
	s_waitcnt vmcnt(56) lgkmcnt(1)
	v_mul_f64 v[84:85], v[74:75], v[26:27]
	s_waitcnt vmcnt(54)
	;; [unrolled: 6-line block ×4, first 2 shown]
	v_fmac_f64_e32 v[92:93], v[84:85], v[36:37]
	v_add_f64 v[94:95], v[90:91], v[92:93]
	ds_read_b128 v[90:93], v0 offset:1888
	v_add_f64 v[2:3], v[2:3], 0
	v_fma_f64 v[4:5], v[58:59], v[4:5], -v[8:9]
	s_waitcnt vmcnt(45) lgkmcnt(1)
	v_mul_f64 v[96:97], v[86:87], v[30:31]
	v_add_f64 v[2:3], v[2:3], v[4:5]
	v_mul_f64 v[4:5], v[64:65], v[12:13]
	s_waitcnt vmcnt(44)
	v_fmac_f64_e32 v[96:97], v[88:89], v[32:33]
	v_fma_f64 v[4:5], v[62:63], v[6:7], -v[4:5]
	v_add_f64 v[98:99], v[94:95], v[96:97]
	ds_read_b128 v[94:97], v0 offset:1904
	s_waitcnt vmcnt(40) lgkmcnt(1)
	v_mul_f64 v[100:101], v[90:91], v[42:43]
	v_add_f64 v[2:3], v[2:3], v[4:5]
	v_mul_f64 v[4:5], v[68:69], v[18:19]
	s_waitcnt vmcnt(38)
	v_fmac_f64_e32 v[100:101], v[92:93], v[44:45]
	v_fma_f64 v[4:5], v[66:67], v[20:21], -v[4:5]
	v_add_f64 v[102:103], v[98:99], v[100:101]
	ds_read_b128 v[98:101], v0 offset:1920
	v_add_f64 v[2:3], v[2:3], v[4:5]
	v_mul_f64 v[4:5], v[72:73], v[14:15]
	v_fma_f64 v[4:5], v[70:71], v[16:17], -v[4:5]
	v_add_f64 v[2:3], v[2:3], v[4:5]
	v_mul_f64 v[4:5], v[76:77], v[26:27]
	s_waitcnt vmcnt(37) lgkmcnt(1)
	v_mul_f64 v[104:105], v[94:95], v[38:39]
	v_fma_f64 v[4:5], v[74:75], v[28:29], -v[4:5]
	s_waitcnt vmcnt(36)
	v_fmac_f64_e32 v[104:105], v[96:97], v[40:41]
	v_add_f64 v[2:3], v[2:3], v[4:5]
	v_mul_f64 v[4:5], v[80:81], v[22:23]
	v_add_f64 v[106:107], v[102:103], v[104:105]
	ds_read_b128 v[102:105], v0 offset:1936
	s_waitcnt vmcnt(32) lgkmcnt(1)
	v_mul_f64 v[108:109], v[98:99], v[50:51]
	v_fma_f64 v[4:5], v[78:79], v[24:25], -v[4:5]
	s_waitcnt vmcnt(30)
	v_fmac_f64_e32 v[108:109], v[100:101], v[52:53]
	v_add_f64 v[2:3], v[2:3], v[4:5]
	v_mul_f64 v[4:5], v[84:85], v[34:35]
	v_add_f64 v[110:111], v[106:107], v[108:109]
	ds_read_b128 v[106:109], v0 offset:1952
	v_fma_f64 v[4:5], v[82:83], v[36:37], -v[4:5]
	v_add_f64 v[2:3], v[2:3], v[4:5]
	v_mul_f64 v[4:5], v[88:89], v[30:31]
	v_fma_f64 v[4:5], v[86:87], v[32:33], -v[4:5]
	s_waitcnt vmcnt(29) lgkmcnt(1)
	v_mul_f64 v[112:113], v[102:103], v[46:47]
	v_add_f64 v[2:3], v[2:3], v[4:5]
	v_mul_f64 v[4:5], v[92:93], v[42:43]
	s_waitcnt vmcnt(28)
	v_fmac_f64_e32 v[112:113], v[104:105], v[48:49]
	v_fma_f64 v[4:5], v[90:91], v[44:45], -v[4:5]
	v_add_f64 v[114:115], v[110:111], v[112:113]
	ds_read_b128 v[110:113], v0 offset:1968
	s_waitcnt vmcnt(24) lgkmcnt(1)
	v_mul_f64 v[116:117], v[106:107], v[134:135]
	v_add_f64 v[2:3], v[2:3], v[4:5]
	v_mul_f64 v[4:5], v[96:97], v[38:39]
	s_waitcnt vmcnt(22)
	v_fmac_f64_e32 v[116:117], v[108:109], v[136:137]
	v_fma_f64 v[4:5], v[94:95], v[40:41], -v[4:5]
	v_add_f64 v[118:119], v[114:115], v[116:117]
	ds_read_b128 v[114:117], v0 offset:1984
	v_add_f64 v[2:3], v[2:3], v[4:5]
	v_mul_f64 v[4:5], v[100:101], v[50:51]
	v_fma_f64 v[4:5], v[98:99], v[52:53], -v[4:5]
	v_add_f64 v[2:3], v[2:3], v[4:5]
	v_mul_f64 v[4:5], v[104:105], v[46:47]
	s_waitcnt vmcnt(21) lgkmcnt(1)
	v_mul_f64 v[120:121], v[110:111], v[130:131]
	v_fma_f64 v[4:5], v[102:103], v[48:49], -v[4:5]
	s_waitcnt vmcnt(20)
	v_fmac_f64_e32 v[120:121], v[112:113], v[132:133]
	v_add_f64 v[2:3], v[2:3], v[4:5]
	v_mul_f64 v[4:5], v[108:109], v[134:135]
	v_add_f64 v[122:123], v[118:119], v[120:121]
	ds_read_b128 v[118:121], v0 offset:2000
	s_waitcnt vmcnt(16) lgkmcnt(1)
	v_mul_f64 v[124:125], v[114:115], v[142:143]
	v_fma_f64 v[4:5], v[106:107], v[136:137], -v[4:5]
	s_waitcnt vmcnt(14)
	v_fmac_f64_e32 v[124:125], v[116:117], v[144:145]
	v_add_f64 v[2:3], v[2:3], v[4:5]
	v_mul_f64 v[4:5], v[112:113], v[130:131]
	v_add_f64 v[158:159], v[122:123], v[124:125]
	ds_read_b128 v[122:125], v0 offset:2016
	v_fma_f64 v[4:5], v[110:111], v[132:133], -v[4:5]
	v_add_f64 v[2:3], v[2:3], v[4:5]
	v_mul_f64 v[4:5], v[116:117], v[142:143]
	v_fma_f64 v[4:5], v[114:115], v[144:145], -v[4:5]
	v_add_f64 v[2:3], v[2:3], v[4:5]
	s_waitcnt vmcnt(13) lgkmcnt(1)
	v_mul_f64 v[4:5], v[120:121], v[138:139]
	v_mul_f64 v[160:161], v[118:119], v[138:139]
	s_waitcnt vmcnt(12)
	v_fma_f64 v[4:5], v[118:119], v[140:141], -v[4:5]
	v_fmac_f64_e32 v[160:161], v[120:121], v[140:141]
	v_add_f64 v[2:3], v[2:3], v[4:5]
	s_waitcnt vmcnt(8) lgkmcnt(0)
	v_mul_f64 v[4:5], v[124:125], v[150:151]
	v_add_f64 v[158:159], v[158:159], v[160:161]
	v_mul_f64 v[160:161], v[122:123], v[150:151]
	s_waitcnt vmcnt(6)
	v_fma_f64 v[4:5], v[122:123], v[152:153], -v[4:5]
	v_fmac_f64_e32 v[160:161], v[124:125], v[152:153]
	v_add_f64 v[2:3], v[2:3], v[4:5]
	s_waitcnt vmcnt(5)
	v_mul_f64 v[4:5], v[128:129], v[146:147]
	v_add_f64 v[158:159], v[158:159], v[160:161]
	v_mul_f64 v[160:161], v[126:127], v[146:147]
	s_waitcnt vmcnt(4)
	v_fma_f64 v[4:5], v[126:127], v[148:149], -v[4:5]
	v_fmac_f64_e32 v[160:161], v[128:129], v[148:149]
	v_add_f64 v[2:3], v[2:3], v[4:5]
	v_add_f64 v[158:159], v[158:159], v[160:161]
	s_waitcnt vmcnt(2)
	v_add_f64 v[2:3], v[154:155], -v[2:3]
	s_waitcnt vmcnt(0)
	v_add_f64 v[4:5], v[156:157], -v[158:159]
	buffer_store_dword v3, off, s[0:3], 0 offset:724
	buffer_store_dword v2, off, s[0:3], 0 offset:720
	;; [unrolled: 1-line block ×4, first 2 shown]
	s_and_saveexec_b64 s[4:5], vcc
	s_cbranch_execz .LBB63_323
; %bb.322:
	v_accvgpr_read_b32 v1, a148
	buffer_load_dword v2, v1, s[0:3], 0 offen
	buffer_load_dword v3, v1, s[0:3], 0 offen offset:4
	buffer_load_dword v4, v1, s[0:3], 0 offen offset:8
	;; [unrolled: 1-line block ×3, first 2 shown]
	v_accvgpr_read_b32 v1, a192
	buffer_store_dword v0, off, s[0:3], 0 offset:704
	buffer_store_dword v0, off, s[0:3], 0 offset:708
	;; [unrolled: 1-line block ×4, first 2 shown]
	s_waitcnt vmcnt(4)
	ds_write_b128 v1, v[2:5]
.LBB63_323:
	s_or_b64 exec, exec, s[4:5]
	s_waitcnt lgkmcnt(0)
	; wave barrier
	s_waitcnt lgkmcnt(0)
	buffer_load_dword v2, off, s[0:3], 0 offset:720
	buffer_load_dword v3, off, s[0:3], 0 offset:724
	;; [unrolled: 1-line block ×76, first 2 shown]
	ds_read_b128 v[54:57], v0 offset:1728
	buffer_load_dword v159, off, s[0:3], 0 offset:1036
	buffer_load_dword v158, off, s[0:3], 0 offset:1032
	;; [unrolled: 1-line block ×8, first 2 shown]
	ds_read_b128 v[58:61], v0 offset:1744
	ds_read_b128 v[62:65], v0 offset:1760
	;; [unrolled: 1-line block ×3, first 2 shown]
	v_cmp_lt_u32_e32 vcc, 42, v254
	ds_read_b128 v[130:133], v0 offset:2032
	s_waitcnt vmcnt(62) lgkmcnt(4)
	v_mul_f64 v[70:71], v[54:55], v[8:9]
	v_fmac_f64_e32 v[70:71], v[56:57], v[2:3]
	v_add_f64 v[70:71], v[70:71], 0
	v_mul_f64 v[8:9], v[56:57], v[8:9]
	s_waitcnt lgkmcnt(3)
	v_mul_f64 v[72:73], v[58:59], v[10:11]
	v_fmac_f64_e32 v[72:73], v[60:61], v[4:5]
	v_add_f64 v[70:71], v[70:71], v[72:73]
	v_fma_f64 v[2:3], v[54:55], v[2:3], -v[8:9]
	s_waitcnt lgkmcnt(2)
	v_mul_f64 v[72:73], v[62:63], v[12:13]
	v_fmac_f64_e32 v[72:73], v[64:65], v[6:7]
	v_add_f64 v[74:75], v[70:71], v[72:73]
	ds_read_b128 v[70:73], v0 offset:1792
	v_mul_f64 v[8:9], v[60:61], v[10:11]
	v_add_f64 v[2:3], v[2:3], 0
	s_waitcnt lgkmcnt(2)
	v_mul_f64 v[76:77], v[66:67], v[18:19]
	v_fma_f64 v[4:5], v[58:59], v[4:5], -v[8:9]
	v_fmac_f64_e32 v[76:77], v[68:69], v[20:21]
	v_add_f64 v[78:79], v[74:75], v[76:77]
	ds_read_b128 v[74:77], v0 offset:1808
	s_waitcnt lgkmcnt(1)
	v_mul_f64 v[80:81], v[70:71], v[14:15]
	v_fmac_f64_e32 v[80:81], v[72:73], v[16:17]
	v_add_f64 v[82:83], v[78:79], v[80:81]
	ds_read_b128 v[78:81], v0 offset:1824
	s_waitcnt vmcnt(58) lgkmcnt(1)
	v_mul_f64 v[84:85], v[74:75], v[26:27]
	s_waitcnt vmcnt(56)
	v_fmac_f64_e32 v[84:85], v[76:77], v[28:29]
	v_add_f64 v[86:87], v[82:83], v[84:85]
	ds_read_b128 v[82:85], v0 offset:1840
	s_waitcnt lgkmcnt(1)
	v_mul_f64 v[88:89], v[78:79], v[22:23]
	v_fmac_f64_e32 v[88:89], v[80:81], v[24:25]
	v_add_f64 v[90:91], v[86:87], v[88:89]
	ds_read_b128 v[86:89], v0 offset:1856
	s_waitcnt vmcnt(50) lgkmcnt(1)
	v_mul_f64 v[92:93], v[82:83], v[34:35]
	s_waitcnt vmcnt(48)
	v_fmac_f64_e32 v[92:93], v[84:85], v[36:37]
	v_add_f64 v[94:95], v[90:91], v[92:93]
	ds_read_b128 v[90:93], v0 offset:1872
	s_waitcnt lgkmcnt(1)
	v_mul_f64 v[96:97], v[86:87], v[30:31]
	v_fmac_f64_e32 v[96:97], v[88:89], v[32:33]
	v_add_f64 v[98:99], v[94:95], v[96:97]
	ds_read_b128 v[94:97], v0 offset:1888
	v_add_f64 v[2:3], v[2:3], v[4:5]
	v_mul_f64 v[4:5], v[64:65], v[12:13]
	v_fma_f64 v[4:5], v[62:63], v[6:7], -v[4:5]
	s_waitcnt vmcnt(42) lgkmcnt(1)
	v_mul_f64 v[100:101], v[90:91], v[42:43]
	v_add_f64 v[2:3], v[2:3], v[4:5]
	v_mul_f64 v[4:5], v[68:69], v[18:19]
	s_waitcnt vmcnt(40)
	v_fmac_f64_e32 v[100:101], v[92:93], v[44:45]
	v_fma_f64 v[4:5], v[66:67], v[20:21], -v[4:5]
	v_add_f64 v[102:103], v[98:99], v[100:101]
	ds_read_b128 v[98:101], v0 offset:1904
	s_waitcnt lgkmcnt(1)
	v_mul_f64 v[104:105], v[94:95], v[38:39]
	v_add_f64 v[2:3], v[2:3], v[4:5]
	v_mul_f64 v[4:5], v[72:73], v[14:15]
	v_fmac_f64_e32 v[104:105], v[96:97], v[40:41]
	v_fma_f64 v[4:5], v[70:71], v[16:17], -v[4:5]
	v_add_f64 v[106:107], v[102:103], v[104:105]
	ds_read_b128 v[102:105], v0 offset:1920
	v_add_f64 v[2:3], v[2:3], v[4:5]
	v_mul_f64 v[4:5], v[76:77], v[26:27]
	v_fma_f64 v[4:5], v[74:75], v[28:29], -v[4:5]
	v_add_f64 v[2:3], v[2:3], v[4:5]
	v_mul_f64 v[4:5], v[80:81], v[22:23]
	s_waitcnt vmcnt(34) lgkmcnt(1)
	v_mul_f64 v[108:109], v[98:99], v[50:51]
	v_fma_f64 v[4:5], v[78:79], v[24:25], -v[4:5]
	s_waitcnt vmcnt(32)
	v_fmac_f64_e32 v[108:109], v[100:101], v[52:53]
	v_add_f64 v[2:3], v[2:3], v[4:5]
	v_mul_f64 v[4:5], v[84:85], v[34:35]
	v_add_f64 v[110:111], v[106:107], v[108:109]
	ds_read_b128 v[106:109], v0 offset:1936
	s_waitcnt lgkmcnt(1)
	v_mul_f64 v[112:113], v[102:103], v[46:47]
	v_fma_f64 v[4:5], v[82:83], v[36:37], -v[4:5]
	v_fmac_f64_e32 v[112:113], v[104:105], v[48:49]
	v_add_f64 v[2:3], v[2:3], v[4:5]
	v_mul_f64 v[4:5], v[88:89], v[30:31]
	v_add_f64 v[114:115], v[110:111], v[112:113]
	ds_read_b128 v[110:113], v0 offset:1952
	v_fma_f64 v[4:5], v[86:87], v[32:33], -v[4:5]
	v_add_f64 v[2:3], v[2:3], v[4:5]
	v_mul_f64 v[4:5], v[92:93], v[42:43]
	v_fma_f64 v[4:5], v[90:91], v[44:45], -v[4:5]
	s_waitcnt vmcnt(26) lgkmcnt(1)
	v_mul_f64 v[116:117], v[106:107], v[138:139]
	v_add_f64 v[2:3], v[2:3], v[4:5]
	v_mul_f64 v[4:5], v[96:97], v[38:39]
	s_waitcnt vmcnt(24)
	v_fmac_f64_e32 v[116:117], v[108:109], v[140:141]
	v_fma_f64 v[4:5], v[94:95], v[40:41], -v[4:5]
	v_add_f64 v[118:119], v[114:115], v[116:117]
	ds_read_b128 v[114:117], v0 offset:1968
	s_waitcnt lgkmcnt(1)
	v_mul_f64 v[120:121], v[110:111], v[134:135]
	v_add_f64 v[2:3], v[2:3], v[4:5]
	v_mul_f64 v[4:5], v[100:101], v[50:51]
	v_fmac_f64_e32 v[120:121], v[112:113], v[136:137]
	v_fma_f64 v[4:5], v[98:99], v[52:53], -v[4:5]
	v_add_f64 v[122:123], v[118:119], v[120:121]
	ds_read_b128 v[118:121], v0 offset:1984
	v_add_f64 v[2:3], v[2:3], v[4:5]
	v_mul_f64 v[4:5], v[104:105], v[46:47]
	v_fma_f64 v[4:5], v[102:103], v[48:49], -v[4:5]
	v_add_f64 v[2:3], v[2:3], v[4:5]
	v_mul_f64 v[4:5], v[108:109], v[138:139]
	s_waitcnt vmcnt(18) lgkmcnt(1)
	v_mul_f64 v[124:125], v[114:115], v[146:147]
	v_fma_f64 v[4:5], v[106:107], v[140:141], -v[4:5]
	s_waitcnt vmcnt(16)
	v_fmac_f64_e32 v[124:125], v[116:117], v[148:149]
	v_add_f64 v[2:3], v[2:3], v[4:5]
	v_mul_f64 v[4:5], v[112:113], v[134:135]
	v_add_f64 v[126:127], v[122:123], v[124:125]
	ds_read_b128 v[122:125], v0 offset:2000
	s_waitcnt lgkmcnt(1)
	v_mul_f64 v[128:129], v[118:119], v[142:143]
	v_fma_f64 v[4:5], v[110:111], v[136:137], -v[4:5]
	v_fmac_f64_e32 v[128:129], v[120:121], v[144:145]
	v_add_f64 v[2:3], v[2:3], v[4:5]
	v_mul_f64 v[4:5], v[116:117], v[146:147]
	v_add_f64 v[166:167], v[126:127], v[128:129]
	ds_read_b128 v[126:129], v0 offset:2016
	v_fma_f64 v[4:5], v[114:115], v[148:149], -v[4:5]
	v_add_f64 v[2:3], v[2:3], v[4:5]
	v_mul_f64 v[4:5], v[120:121], v[142:143]
	v_fma_f64 v[4:5], v[118:119], v[144:145], -v[4:5]
	v_add_f64 v[2:3], v[2:3], v[4:5]
	s_waitcnt vmcnt(10) lgkmcnt(1)
	v_mul_f64 v[4:5], v[124:125], v[154:155]
	v_mul_f64 v[168:169], v[122:123], v[154:155]
	s_waitcnt vmcnt(8)
	v_fma_f64 v[4:5], v[122:123], v[156:157], -v[4:5]
	v_fmac_f64_e32 v[168:169], v[124:125], v[156:157]
	v_add_f64 v[2:3], v[2:3], v[4:5]
	s_waitcnt lgkmcnt(0)
	v_mul_f64 v[4:5], v[128:129], v[150:151]
	v_add_f64 v[0:1], v[166:167], v[168:169]
	v_mul_f64 v[166:167], v[126:127], v[150:151]
	v_fma_f64 v[4:5], v[126:127], v[152:153], -v[4:5]
	v_fmac_f64_e32 v[166:167], v[128:129], v[152:153]
	v_add_f64 v[2:3], v[2:3], v[4:5]
	s_waitcnt vmcnt(6)
	v_mul_f64 v[4:5], v[132:133], v[158:159]
	v_add_f64 v[0:1], v[0:1], v[166:167]
	v_mul_f64 v[166:167], v[130:131], v[158:159]
	s_waitcnt vmcnt(4)
	v_fma_f64 v[4:5], v[130:131], v[160:161], -v[4:5]
	v_fmac_f64_e32 v[166:167], v[132:133], v[160:161]
	v_add_f64 v[2:3], v[2:3], v[4:5]
	v_add_f64 v[0:1], v[0:1], v[166:167]
	s_waitcnt vmcnt(2)
	v_add_f64 v[2:3], v[162:163], -v[2:3]
	s_waitcnt vmcnt(0)
	v_add_f64 v[0:1], v[164:165], -v[0:1]
	buffer_store_dword v3, off, s[0:3], 0 offset:708
	buffer_store_dword v2, off, s[0:3], 0 offset:704
	;; [unrolled: 1-line block ×4, first 2 shown]
	s_and_saveexec_b64 s[4:5], vcc
	s_cbranch_execz .LBB63_325
; %bb.324:
	v_accvgpr_read_b32 v3, a149
	buffer_load_dword v0, v3, s[0:3], 0 offen
	buffer_load_dword v1, v3, s[0:3], 0 offen offset:4
	buffer_load_dword v2, v3, s[0:3], 0 offen offset:8
	s_nop 0
	buffer_load_dword v3, v3, s[0:3], 0 offen offset:12
	v_mov_b32_e32 v4, 0
	v_accvgpr_read_b32 v5, a192
	buffer_store_dword v4, off, s[0:3], 0 offset:688
	buffer_store_dword v4, off, s[0:3], 0 offset:692
	;; [unrolled: 1-line block ×4, first 2 shown]
	s_waitcnt vmcnt(4)
	ds_write_b128 v5, v[0:3]
.LBB63_325:
	s_or_b64 exec, exec, s[4:5]
	s_waitcnt lgkmcnt(0)
	; wave barrier
	s_waitcnt lgkmcnt(0)
	buffer_load_dword v4, off, s[0:3], 0 offset:688
	buffer_load_dword v5, off, s[0:3], 0 offset:692
	;; [unrolled: 1-line block ×84, first 2 shown]
	v_mov_b32_e32 v84, 0
	ds_read_b128 v[66:69], v84 offset:1712
	buffer_load_dword v171, off, s[0:3], 0 offset:1036
	buffer_load_dword v170, off, s[0:3], 0 offset:1032
	;; [unrolled: 1-line block ×4, first 2 shown]
	ds_read_b128 v[70:73], v84 offset:1728
	ds_read_b128 v[74:77], v84 offset:1744
	ds_read_b128 v[78:81], v84 offset:1760
	ds_read_b128 v[150:153], v84 offset:2032
	v_cmp_lt_u32_e32 vcc, 41, v254
	s_waitcnt vmcnt(62) lgkmcnt(4)
	v_mul_f64 v[86:87], v[66:67], v[12:13]
	v_fmac_f64_e32 v[86:87], v[68:69], v[6:7]
	s_waitcnt lgkmcnt(3)
	v_mul_f64 v[88:89], v[70:71], v[14:15]
	v_add_f64 v[86:87], v[86:87], 0
	v_fmac_f64_e32 v[88:89], v[72:73], v[8:9]
	v_add_f64 v[86:87], v[86:87], v[88:89]
	s_waitcnt lgkmcnt(2)
	v_mul_f64 v[88:89], v[74:75], v[16:17]
	v_fmac_f64_e32 v[88:89], v[76:77], v[10:11]
	v_add_f64 v[90:91], v[86:87], v[88:89]
	ds_read_b128 v[86:89], v84 offset:1776
	v_mul_f64 v[12:13], v[68:69], v[12:13]
	s_waitcnt lgkmcnt(2)
	v_mul_f64 v[92:93], v[78:79], v[22:23]
	v_fma_f64 v[6:7], v[66:67], v[6:7], -v[12:13]
	v_fmac_f64_e32 v[92:93], v[80:81], v[24:25]
	v_add_f64 v[94:95], v[90:91], v[92:93]
	ds_read_b128 v[90:93], v84 offset:1792
	s_waitcnt lgkmcnt(1)
	v_mul_f64 v[96:97], v[86:87], v[18:19]
	v_fmac_f64_e32 v[96:97], v[88:89], v[20:21]
	v_add_f64 v[98:99], v[94:95], v[96:97]
	ds_read_b128 v[94:97], v84 offset:1808
	s_waitcnt vmcnt(58) lgkmcnt(1)
	v_mul_f64 v[100:101], v[90:91], v[30:31]
	s_waitcnt vmcnt(56)
	v_fmac_f64_e32 v[100:101], v[92:93], v[32:33]
	v_add_f64 v[102:103], v[98:99], v[100:101]
	ds_read_b128 v[98:101], v84 offset:1824
	s_waitcnt lgkmcnt(1)
	v_mul_f64 v[104:105], v[94:95], v[26:27]
	v_fmac_f64_e32 v[104:105], v[96:97], v[28:29]
	v_add_f64 v[106:107], v[102:103], v[104:105]
	ds_read_b128 v[102:105], v84 offset:1840
	s_waitcnt vmcnt(50) lgkmcnt(1)
	v_mul_f64 v[108:109], v[98:99], v[38:39]
	s_waitcnt vmcnt(48)
	v_fmac_f64_e32 v[108:109], v[100:101], v[40:41]
	v_add_f64 v[110:111], v[106:107], v[108:109]
	ds_read_b128 v[106:109], v84 offset:1856
	s_waitcnt lgkmcnt(1)
	v_mul_f64 v[112:113], v[102:103], v[34:35]
	v_fmac_f64_e32 v[112:113], v[104:105], v[36:37]
	v_add_f64 v[114:115], v[110:111], v[112:113]
	ds_read_b128 v[110:113], v84 offset:1872
	s_waitcnt vmcnt(42) lgkmcnt(1)
	v_mul_f64 v[116:117], v[106:107], v[46:47]
	v_mul_f64 v[12:13], v[72:73], v[14:15]
	s_waitcnt vmcnt(40)
	v_fmac_f64_e32 v[116:117], v[108:109], v[48:49]
	v_add_f64 v[6:7], v[6:7], 0
	v_fma_f64 v[8:9], v[70:71], v[8:9], -v[12:13]
	v_add_f64 v[118:119], v[114:115], v[116:117]
	ds_read_b128 v[114:117], v84 offset:1888
	v_add_f64 v[6:7], v[6:7], v[8:9]
	v_mul_f64 v[8:9], v[76:77], v[16:17]
	v_fma_f64 v[8:9], v[74:75], v[10:11], -v[8:9]
	v_add_f64 v[6:7], v[6:7], v[8:9]
	v_mul_f64 v[8:9], v[80:81], v[22:23]
	s_waitcnt lgkmcnt(1)
	v_mul_f64 v[120:121], v[110:111], v[42:43]
	v_fma_f64 v[8:9], v[78:79], v[24:25], -v[8:9]
	v_fmac_f64_e32 v[120:121], v[112:113], v[44:45]
	v_add_f64 v[6:7], v[6:7], v[8:9]
	v_mul_f64 v[8:9], v[88:89], v[18:19]
	v_add_f64 v[122:123], v[118:119], v[120:121]
	ds_read_b128 v[118:121], v84 offset:1904
	s_waitcnt vmcnt(34) lgkmcnt(1)
	v_mul_f64 v[124:125], v[114:115], v[54:55]
	v_fma_f64 v[8:9], v[86:87], v[20:21], -v[8:9]
	s_waitcnt vmcnt(32)
	v_fmac_f64_e32 v[124:125], v[116:117], v[56:57]
	v_add_f64 v[6:7], v[6:7], v[8:9]
	v_mul_f64 v[8:9], v[92:93], v[30:31]
	v_add_f64 v[126:127], v[122:123], v[124:125]
	ds_read_b128 v[122:125], v84 offset:1920
	v_fma_f64 v[8:9], v[90:91], v[32:33], -v[8:9]
	v_add_f64 v[6:7], v[6:7], v[8:9]
	v_mul_f64 v[8:9], v[96:97], v[26:27]
	v_fma_f64 v[8:9], v[94:95], v[28:29], -v[8:9]
	s_waitcnt lgkmcnt(1)
	v_mul_f64 v[128:129], v[118:119], v[50:51]
	v_add_f64 v[6:7], v[6:7], v[8:9]
	v_mul_f64 v[8:9], v[100:101], v[38:39]
	v_fmac_f64_e32 v[128:129], v[120:121], v[52:53]
	v_fma_f64 v[8:9], v[98:99], v[40:41], -v[8:9]
	v_add_f64 v[130:131], v[126:127], v[128:129]
	ds_read_b128 v[126:129], v84 offset:1936
	s_waitcnt vmcnt(26) lgkmcnt(1)
	v_mul_f64 v[132:133], v[122:123], v[62:63]
	v_add_f64 v[6:7], v[6:7], v[8:9]
	v_mul_f64 v[8:9], v[104:105], v[34:35]
	s_waitcnt vmcnt(24)
	v_fmac_f64_e32 v[132:133], v[124:125], v[64:65]
	v_fma_f64 v[8:9], v[102:103], v[36:37], -v[8:9]
	v_add_f64 v[134:135], v[130:131], v[132:133]
	ds_read_b128 v[130:133], v84 offset:1952
	v_add_f64 v[6:7], v[6:7], v[8:9]
	v_mul_f64 v[8:9], v[108:109], v[46:47]
	v_fma_f64 v[8:9], v[106:107], v[48:49], -v[8:9]
	v_add_f64 v[6:7], v[6:7], v[8:9]
	v_mul_f64 v[8:9], v[112:113], v[42:43]
	s_waitcnt lgkmcnt(1)
	v_mul_f64 v[136:137], v[126:127], v[58:59]
	v_fma_f64 v[8:9], v[110:111], v[44:45], -v[8:9]
	v_fmac_f64_e32 v[136:137], v[128:129], v[60:61]
	v_add_f64 v[6:7], v[6:7], v[8:9]
	v_mul_f64 v[8:9], v[116:117], v[54:55]
	v_add_f64 v[138:139], v[134:135], v[136:137]
	ds_read_b128 v[134:137], v84 offset:1968
	s_waitcnt vmcnt(18) lgkmcnt(1)
	v_mul_f64 v[140:141], v[130:131], v[154:155]
	v_fma_f64 v[8:9], v[114:115], v[56:57], -v[8:9]
	s_waitcnt vmcnt(16)
	v_fmac_f64_e32 v[140:141], v[132:133], v[156:157]
	v_add_f64 v[6:7], v[6:7], v[8:9]
	v_mul_f64 v[8:9], v[120:121], v[50:51]
	v_add_f64 v[142:143], v[138:139], v[140:141]
	ds_read_b128 v[138:141], v84 offset:1984
	v_fma_f64 v[8:9], v[118:119], v[52:53], -v[8:9]
	v_add_f64 v[6:7], v[6:7], v[8:9]
	v_mul_f64 v[8:9], v[124:125], v[62:63]
	v_fma_f64 v[8:9], v[122:123], v[64:65], -v[8:9]
	s_waitcnt lgkmcnt(1)
	v_mul_f64 v[144:145], v[134:135], v[0:1]
	v_add_f64 v[6:7], v[6:7], v[8:9]
	v_mul_f64 v[8:9], v[128:129], v[58:59]
	v_fmac_f64_e32 v[144:145], v[136:137], v[82:83]
	v_fma_f64 v[8:9], v[126:127], v[60:61], -v[8:9]
	v_add_f64 v[146:147], v[142:143], v[144:145]
	ds_read_b128 v[142:145], v84 offset:2000
	s_waitcnt vmcnt(10) lgkmcnt(1)
	v_mul_f64 v[148:149], v[138:139], v[162:163]
	v_add_f64 v[6:7], v[6:7], v[8:9]
	v_mul_f64 v[8:9], v[132:133], v[154:155]
	s_waitcnt vmcnt(8)
	v_fmac_f64_e32 v[148:149], v[140:141], v[164:165]
	v_fma_f64 v[8:9], v[130:131], v[156:157], -v[8:9]
	v_mul_f64 v[0:1], v[136:137], v[0:1]
	v_add_f64 v[174:175], v[146:147], v[148:149]
	ds_read_b128 v[146:149], v84 offset:2016
	v_add_f64 v[6:7], v[6:7], v[8:9]
	v_fma_f64 v[0:1], v[134:135], v[82:83], -v[0:1]
	v_add_f64 v[0:1], v[6:7], v[0:1]
	v_mul_f64 v[6:7], v[140:141], v[162:163]
	v_fma_f64 v[6:7], v[138:139], v[164:165], -v[6:7]
	v_add_f64 v[0:1], v[0:1], v[6:7]
	s_waitcnt lgkmcnt(1)
	v_mul_f64 v[6:7], v[144:145], v[158:159]
	v_mul_f64 v[176:177], v[142:143], v[158:159]
	v_fma_f64 v[6:7], v[142:143], v[160:161], -v[6:7]
	v_fmac_f64_e32 v[176:177], v[144:145], v[160:161]
	v_add_f64 v[0:1], v[0:1], v[6:7]
	s_waitcnt vmcnt(6) lgkmcnt(0)
	v_mul_f64 v[6:7], v[148:149], v[166:167]
	v_add_f64 v[174:175], v[174:175], v[176:177]
	v_mul_f64 v[176:177], v[146:147], v[166:167]
	s_waitcnt vmcnt(4)
	v_fma_f64 v[6:7], v[146:147], v[168:169], -v[6:7]
	v_fmac_f64_e32 v[176:177], v[148:149], v[168:169]
	v_add_f64 v[0:1], v[0:1], v[6:7]
	s_waitcnt vmcnt(2)
	v_mul_f64 v[6:7], v[152:153], v[170:171]
	v_add_f64 v[174:175], v[174:175], v[176:177]
	v_mul_f64 v[176:177], v[150:151], v[170:171]
	s_waitcnt vmcnt(0)
	v_fma_f64 v[6:7], v[150:151], v[172:173], -v[6:7]
	v_fmac_f64_e32 v[176:177], v[152:153], v[172:173]
	v_add_f64 v[0:1], v[0:1], v[6:7]
	v_add_f64 v[174:175], v[174:175], v[176:177]
	v_add_f64 v[0:1], v[4:5], -v[0:1]
	v_add_f64 v[2:3], v[2:3], -v[174:175]
	buffer_store_dword v1, off, s[0:3], 0 offset:692
	buffer_store_dword v0, off, s[0:3], 0 offset:688
	;; [unrolled: 1-line block ×4, first 2 shown]
	s_and_saveexec_b64 s[4:5], vcc
	s_cbranch_execz .LBB63_327
; %bb.326:
	v_accvgpr_read_b32 v3, a150
	buffer_load_dword v0, v3, s[0:3], 0 offen
	buffer_load_dword v1, v3, s[0:3], 0 offen offset:4
	buffer_load_dword v2, v3, s[0:3], 0 offen offset:8
	s_nop 0
	buffer_load_dword v3, v3, s[0:3], 0 offen offset:12
	v_accvgpr_read_b32 v4, a192
	buffer_store_dword v84, off, s[0:3], 0 offset:672
	buffer_store_dword v84, off, s[0:3], 0 offset:676
	;; [unrolled: 1-line block ×4, first 2 shown]
	s_waitcnt vmcnt(4)
	ds_write_b128 v4, v[0:3]
.LBB63_327:
	s_or_b64 exec, exec, s[4:5]
	s_waitcnt lgkmcnt(0)
	; wave barrier
	s_waitcnt lgkmcnt(0)
	ds_read_b128 v[14:17], v84 offset:1696
	ds_read_b128 v[10:13], v84 offset:1712
	;; [unrolled: 1-line block ×4, first 2 shown]
	buffer_load_dword v20, off, s[0:3], 0 offset:672
	buffer_load_dword v21, off, s[0:3], 0 offset:676
	;; [unrolled: 1-line block ×92, first 2 shown]
	s_waitcnt vmcnt(62) lgkmcnt(3)
	v_mul_f64 v[86:87], v[14:15], v[28:29]
	v_fmac_f64_e32 v[86:87], v[16:17], v[22:23]
	s_waitcnt lgkmcnt(2)
	v_mul_f64 v[88:89], v[10:11], v[30:31]
	v_add_f64 v[86:87], v[86:87], 0
	v_fmac_f64_e32 v[88:89], v[12:13], v[24:25]
	v_add_f64 v[86:87], v[86:87], v[88:89]
	s_waitcnt lgkmcnt(1)
	v_mul_f64 v[88:89], v[6:7], v[32:33]
	v_fmac_f64_e32 v[88:89], v[8:9], v[26:27]
	v_add_f64 v[90:91], v[86:87], v[88:89]
	ds_read_b128 v[86:89], v84 offset:1760
	v_mul_f64 v[16:17], v[16:17], v[28:29]
	v_fma_f64 v[14:15], v[14:15], v[22:23], -v[16:17]
	s_waitcnt lgkmcnt(1)
	v_mul_f64 v[92:93], v[2:3], v[38:39]
	v_mul_f64 v[12:13], v[12:13], v[30:31]
	v_fmac_f64_e32 v[92:93], v[4:5], v[40:41]
	v_add_f64 v[94:95], v[90:91], v[92:93]
	ds_read_b128 v[90:93], v84 offset:1776
	s_waitcnt lgkmcnt(1)
	v_mul_f64 v[96:97], v[86:87], v[34:35]
	v_fmac_f64_e32 v[96:97], v[88:89], v[36:37]
	v_add_f64 v[98:99], v[94:95], v[96:97]
	ds_read_b128 v[94:97], v84 offset:1792
	s_waitcnt lgkmcnt(1)
	v_mul_f64 v[100:101], v[90:91], v[46:47]
	s_waitcnt vmcnt(60)
	v_fmac_f64_e32 v[100:101], v[92:93], v[48:49]
	v_add_f64 v[102:103], v[98:99], v[100:101]
	ds_read_b128 v[98:101], v84 offset:1808
	s_waitcnt lgkmcnt(1)
	v_mul_f64 v[104:105], v[94:95], v[42:43]
	v_fmac_f64_e32 v[104:105], v[96:97], v[44:45]
	v_add_f64 v[106:107], v[102:103], v[104:105]
	ds_read_b128 v[102:105], v84 offset:1824
	s_waitcnt vmcnt(54) lgkmcnt(1)
	v_mul_f64 v[108:109], v[98:99], v[54:55]
	s_waitcnt vmcnt(52)
	v_fmac_f64_e32 v[108:109], v[100:101], v[56:57]
	v_add_f64 v[110:111], v[106:107], v[108:109]
	ds_read_b128 v[106:109], v84 offset:1840
	s_waitcnt lgkmcnt(1)
	v_mul_f64 v[112:113], v[102:103], v[50:51]
	v_fmac_f64_e32 v[112:113], v[104:105], v[52:53]
	v_add_f64 v[114:115], v[110:111], v[112:113]
	ds_read_b128 v[110:113], v84 offset:1856
	s_waitcnt vmcnt(46) lgkmcnt(1)
	v_mul_f64 v[116:117], v[106:107], v[62:63]
	s_waitcnt vmcnt(44)
	v_fmac_f64_e32 v[116:117], v[108:109], v[64:65]
	v_add_f64 v[118:119], v[114:115], v[116:117]
	ds_read_b128 v[114:117], v84 offset:1872
	s_waitcnt lgkmcnt(1)
	v_mul_f64 v[120:121], v[110:111], v[58:59]
	v_fmac_f64_e32 v[120:121], v[112:113], v[60:61]
	v_add_f64 v[122:123], v[118:119], v[120:121]
	ds_read_b128 v[118:121], v84 offset:1888
	v_add_f64 v[14:15], v[14:15], 0
	v_fma_f64 v[10:11], v[10:11], v[24:25], -v[12:13]
	v_mul_f64 v[8:9], v[8:9], v[32:33]
	v_add_f64 v[10:11], v[14:15], v[10:11]
	v_fma_f64 v[6:7], v[6:7], v[26:27], -v[8:9]
	v_mul_f64 v[4:5], v[4:5], v[38:39]
	;; [unrolled: 3-line block ×3, first 2 shown]
	s_waitcnt vmcnt(38) lgkmcnt(1)
	v_mul_f64 v[124:125], v[114:115], v[70:71]
	v_add_f64 v[2:3], v[6:7], v[2:3]
	v_fma_f64 v[4:5], v[86:87], v[36:37], -v[4:5]
	s_waitcnt vmcnt(36)
	v_fmac_f64_e32 v[124:125], v[116:117], v[72:73]
	v_add_f64 v[2:3], v[2:3], v[4:5]
	v_mul_f64 v[4:5], v[92:93], v[46:47]
	v_add_f64 v[126:127], v[122:123], v[124:125]
	ds_read_b128 v[122:125], v84 offset:1904
	s_waitcnt lgkmcnt(1)
	v_mul_f64 v[128:129], v[118:119], v[66:67]
	v_fma_f64 v[4:5], v[90:91], v[48:49], -v[4:5]
	v_fmac_f64_e32 v[128:129], v[120:121], v[68:69]
	v_add_f64 v[2:3], v[2:3], v[4:5]
	v_mul_f64 v[4:5], v[96:97], v[42:43]
	v_add_f64 v[130:131], v[126:127], v[128:129]
	ds_read_b128 v[126:129], v84 offset:1920
	v_fma_f64 v[4:5], v[94:95], v[44:45], -v[4:5]
	v_add_f64 v[2:3], v[2:3], v[4:5]
	v_mul_f64 v[4:5], v[100:101], v[54:55]
	v_fma_f64 v[4:5], v[98:99], v[56:57], -v[4:5]
	s_waitcnt vmcnt(30) lgkmcnt(1)
	v_mul_f64 v[132:133], v[122:123], v[78:79]
	v_add_f64 v[2:3], v[2:3], v[4:5]
	v_mul_f64 v[4:5], v[104:105], v[50:51]
	s_waitcnt vmcnt(28)
	v_fmac_f64_e32 v[132:133], v[124:125], v[80:81]
	v_fma_f64 v[4:5], v[102:103], v[52:53], -v[4:5]
	v_add_f64 v[134:135], v[130:131], v[132:133]
	ds_read_b128 v[130:133], v84 offset:1936
	s_waitcnt lgkmcnt(1)
	v_mul_f64 v[136:137], v[126:127], v[74:75]
	v_add_f64 v[2:3], v[2:3], v[4:5]
	v_mul_f64 v[4:5], v[108:109], v[62:63]
	v_fmac_f64_e32 v[136:137], v[128:129], v[76:77]
	v_fma_f64 v[4:5], v[106:107], v[64:65], -v[4:5]
	v_add_f64 v[138:139], v[134:135], v[136:137]
	ds_read_b128 v[134:137], v84 offset:1952
	v_add_f64 v[2:3], v[2:3], v[4:5]
	v_mul_f64 v[4:5], v[112:113], v[58:59]
	v_fma_f64 v[4:5], v[110:111], v[60:61], -v[4:5]
	v_add_f64 v[2:3], v[2:3], v[4:5]
	v_mul_f64 v[4:5], v[116:117], v[70:71]
	s_waitcnt vmcnt(22) lgkmcnt(1)
	v_mul_f64 v[140:141], v[130:131], v[158:159]
	v_fma_f64 v[4:5], v[114:115], v[72:73], -v[4:5]
	s_waitcnt vmcnt(20)
	v_fmac_f64_e32 v[140:141], v[132:133], v[160:161]
	v_add_f64 v[2:3], v[2:3], v[4:5]
	v_mul_f64 v[4:5], v[120:121], v[66:67]
	v_add_f64 v[142:143], v[138:139], v[140:141]
	ds_read_b128 v[138:141], v84 offset:1968
	s_waitcnt lgkmcnt(1)
	v_mul_f64 v[144:145], v[134:135], v[0:1]
	v_fma_f64 v[4:5], v[118:119], v[68:69], -v[4:5]
	v_fmac_f64_e32 v[144:145], v[136:137], v[82:83]
	v_add_f64 v[2:3], v[2:3], v[4:5]
	v_mul_f64 v[4:5], v[124:125], v[78:79]
	v_add_f64 v[146:147], v[142:143], v[144:145]
	ds_read_b128 v[142:145], v84 offset:1984
	v_fma_f64 v[4:5], v[122:123], v[80:81], -v[4:5]
	v_add_f64 v[2:3], v[2:3], v[4:5]
	v_mul_f64 v[4:5], v[128:129], v[74:75]
	v_fma_f64 v[4:5], v[126:127], v[76:77], -v[4:5]
	s_waitcnt vmcnt(14) lgkmcnt(1)
	v_mul_f64 v[148:149], v[138:139], v[166:167]
	v_add_f64 v[2:3], v[2:3], v[4:5]
	v_mul_f64 v[4:5], v[132:133], v[158:159]
	s_waitcnt vmcnt(12)
	v_fmac_f64_e32 v[148:149], v[140:141], v[168:169]
	v_fma_f64 v[4:5], v[130:131], v[160:161], -v[4:5]
	v_mul_f64 v[0:1], v[136:137], v[0:1]
	v_add_f64 v[150:151], v[146:147], v[148:149]
	ds_read_b128 v[146:149], v84 offset:2000
	s_waitcnt lgkmcnt(1)
	v_mul_f64 v[152:153], v[142:143], v[162:163]
	v_add_f64 v[2:3], v[2:3], v[4:5]
	v_fma_f64 v[0:1], v[134:135], v[82:83], -v[0:1]
	v_fmac_f64_e32 v[152:153], v[144:145], v[164:165]
	v_add_f64 v[0:1], v[2:3], v[0:1]
	v_mul_f64 v[2:3], v[140:141], v[166:167]
	v_add_f64 v[182:183], v[150:151], v[152:153]
	ds_read_b128 v[150:153], v84 offset:2016
	ds_read_b128 v[154:157], v84 offset:2032
	v_fma_f64 v[2:3], v[138:139], v[168:169], -v[2:3]
	v_add_f64 v[0:1], v[0:1], v[2:3]
	v_mul_f64 v[2:3], v[144:145], v[162:163]
	v_fma_f64 v[2:3], v[142:143], v[164:165], -v[2:3]
	v_add_f64 v[0:1], v[0:1], v[2:3]
	s_waitcnt vmcnt(6) lgkmcnt(2)
	v_mul_f64 v[2:3], v[148:149], v[174:175]
	v_mul_f64 v[184:185], v[146:147], v[174:175]
	s_waitcnt vmcnt(4)
	v_fma_f64 v[2:3], v[146:147], v[176:177], -v[2:3]
	v_fmac_f64_e32 v[184:185], v[148:149], v[176:177]
	v_add_f64 v[0:1], v[0:1], v[2:3]
	s_waitcnt lgkmcnt(1)
	v_mul_f64 v[2:3], v[152:153], v[170:171]
	v_add_f64 v[84:85], v[182:183], v[184:185]
	v_mul_f64 v[182:183], v[150:151], v[170:171]
	v_fma_f64 v[2:3], v[150:151], v[172:173], -v[2:3]
	v_fmac_f64_e32 v[182:183], v[152:153], v[172:173]
	v_add_f64 v[0:1], v[0:1], v[2:3]
	s_waitcnt vmcnt(2) lgkmcnt(0)
	v_mul_f64 v[2:3], v[156:157], v[178:179]
	v_add_f64 v[84:85], v[84:85], v[182:183]
	v_mul_f64 v[182:183], v[154:155], v[178:179]
	s_waitcnt vmcnt(0)
	v_fma_f64 v[2:3], v[154:155], v[180:181], -v[2:3]
	v_fmac_f64_e32 v[182:183], v[156:157], v[180:181]
	v_add_f64 v[0:1], v[0:1], v[2:3]
	v_add_f64 v[84:85], v[84:85], v[182:183]
	v_add_f64 v[0:1], v[20:21], -v[0:1]
	v_cmp_lt_u32_e32 vcc, 40, v254
	v_add_f64 v[2:3], v[18:19], -v[84:85]
	buffer_store_dword v1, off, s[0:3], 0 offset:676
	buffer_store_dword v0, off, s[0:3], 0 offset:672
	;; [unrolled: 1-line block ×4, first 2 shown]
	s_and_saveexec_b64 s[4:5], vcc
	s_cbranch_execz .LBB63_329
; %bb.328:
	v_accvgpr_read_b32 v3, a151
	buffer_load_dword v0, v3, s[0:3], 0 offen
	buffer_load_dword v1, v3, s[0:3], 0 offen offset:4
	buffer_load_dword v2, v3, s[0:3], 0 offen offset:8
	s_nop 0
	buffer_load_dword v3, v3, s[0:3], 0 offen offset:12
	v_mov_b32_e32 v4, 0
	v_accvgpr_read_b32 v5, a192
	buffer_store_dword v4, off, s[0:3], 0 offset:656
	buffer_store_dword v4, off, s[0:3], 0 offset:660
	;; [unrolled: 1-line block ×4, first 2 shown]
	s_waitcnt vmcnt(4)
	ds_write_b128 v5, v[0:3]
.LBB63_329:
	s_or_b64 exec, exec, s[4:5]
	s_waitcnt lgkmcnt(0)
	; wave barrier
	s_waitcnt lgkmcnt(0)
	buffer_load_dword v9, off, s[0:3], 0 offset:684
	buffer_load_dword v6, off, s[0:3], 0 offset:696
	;; [unrolled: 1-line block ×64, first 2 shown]
	v_mov_b32_e32 v96, 0
	ds_read_b128 v[74:77], v96 offset:1680
	ds_read_b128 v[78:81], v96 offset:1696
	buffer_load_dword v67, off, s[0:3], 0 offset:940
	buffer_load_dword v66, off, s[0:3], 0 offset:936
	;; [unrolled: 1-line block ×8, first 2 shown]
	ds_read_b128 v[82:85], v96 offset:1712
	ds_read_b128 v[86:89], v96 offset:1728
	buffer_load_dword v95, off, s[0:3], 0 offset:972
	buffer_load_dword v94, off, s[0:3], 0 offset:968
	;; [unrolled: 1-line block ×24, first 2 shown]
	ds_read_b128 v[166:169], v96 offset:2032
	v_cmp_lt_u32_e32 vcc, 39, v254
	s_waitcnt vmcnt(62) lgkmcnt(1)
	v_mul_f64 v[98:99], v[86:87], v[22:23]
	v_fmac_f64_e32 v[98:99], v[88:89], v[24:25]
	v_mul_f64 v[90:91], v[78:79], v[6:7]
	v_mul_f64 v[0:1], v[74:75], v[8:9]
	;; [unrolled: 1-line block ×3, first 2 shown]
	v_fmac_f64_e32 v[0:1], v[76:77], v[10:11]
	v_add_f64 v[0:1], v[0:1], 0
	v_fma_f64 v[8:9], v[74:75], v[10:11], -v[8:9]
	v_mul_f64 v[6:7], v[80:81], v[6:7]
	v_add_f64 v[8:9], v[8:9], 0
	v_fmac_f64_e32 v[90:91], v[80:81], v[14:15]
	v_add_f64 v[0:1], v[0:1], v[90:91]
	v_mul_f64 v[90:91], v[82:83], v[16:17]
	v_fmac_f64_e32 v[90:91], v[84:85], v[12:13]
	v_add_f64 v[0:1], v[0:1], v[90:91]
	ds_read_b128 v[90:93], v96 offset:1744
	v_add_f64 v[0:1], v[0:1], v[98:99]
	ds_read_b128 v[98:101], v96 offset:1760
	v_fma_f64 v[6:7], v[78:79], v[14:15], -v[6:7]
	v_add_f64 v[6:7], v[8:9], v[6:7]
	s_waitcnt lgkmcnt(1)
	v_mul_f64 v[102:103], v[90:91], v[18:19]
	v_fmac_f64_e32 v[102:103], v[92:93], v[20:21]
	v_add_f64 v[0:1], v[0:1], v[102:103]
	ds_read_b128 v[102:105], v96 offset:1776
	s_waitcnt lgkmcnt(1)
	v_mul_f64 v[106:107], v[98:99], v[30:31]
	v_fmac_f64_e32 v[106:107], v[100:101], v[32:33]
	v_add_f64 v[0:1], v[0:1], v[106:107]
	ds_read_b128 v[106:109], v96 offset:1792
	;; [unrolled: 5-line block ×3, first 2 shown]
	s_waitcnt vmcnt(58) lgkmcnt(1)
	v_mul_f64 v[114:115], v[106:107], v[38:39]
	s_waitcnt vmcnt(56)
	v_fmac_f64_e32 v[114:115], v[108:109], v[40:41]
	v_add_f64 v[0:1], v[0:1], v[114:115]
	ds_read_b128 v[114:117], v96 offset:1824
	s_waitcnt lgkmcnt(1)
	v_mul_f64 v[118:119], v[110:111], v[34:35]
	v_fmac_f64_e32 v[118:119], v[112:113], v[36:37]
	v_add_f64 v[0:1], v[0:1], v[118:119]
	ds_read_b128 v[118:121], v96 offset:1840
	s_waitcnt vmcnt(50) lgkmcnt(1)
	v_mul_f64 v[122:123], v[114:115], v[46:47]
	s_waitcnt vmcnt(48)
	v_fmac_f64_e32 v[122:123], v[116:117], v[48:49]
	v_add_f64 v[0:1], v[0:1], v[122:123]
	ds_read_b128 v[122:125], v96 offset:1856
	v_mul_f64 v[8:9], v[84:85], v[16:17]
	s_waitcnt lgkmcnt(1)
	v_mul_f64 v[126:127], v[118:119], v[42:43]
	v_fma_f64 v[8:9], v[82:83], v[12:13], -v[8:9]
	v_fmac_f64_e32 v[126:127], v[120:121], v[44:45]
	v_add_f64 v[6:7], v[6:7], v[8:9]
	v_mul_f64 v[8:9], v[88:89], v[22:23]
	v_add_f64 v[0:1], v[0:1], v[126:127]
	ds_read_b128 v[126:129], v96 offset:1872
	s_waitcnt vmcnt(42) lgkmcnt(1)
	v_mul_f64 v[130:131], v[122:123], v[54:55]
	v_fma_f64 v[8:9], v[86:87], v[24:25], -v[8:9]
	s_waitcnt vmcnt(40)
	v_fmac_f64_e32 v[130:131], v[124:125], v[56:57]
	v_add_f64 v[6:7], v[6:7], v[8:9]
	v_mul_f64 v[8:9], v[92:93], v[18:19]
	v_add_f64 v[0:1], v[0:1], v[130:131]
	ds_read_b128 v[130:133], v96 offset:1888
	v_fma_f64 v[8:9], v[90:91], v[20:21], -v[8:9]
	v_add_f64 v[6:7], v[6:7], v[8:9]
	v_mul_f64 v[8:9], v[100:101], v[30:31]
	v_fma_f64 v[8:9], v[98:99], v[32:33], -v[8:9]
	s_waitcnt lgkmcnt(1)
	v_mul_f64 v[134:135], v[126:127], v[50:51]
	v_add_f64 v[6:7], v[6:7], v[8:9]
	v_mul_f64 v[8:9], v[104:105], v[26:27]
	v_fmac_f64_e32 v[134:135], v[128:129], v[52:53]
	v_fma_f64 v[8:9], v[102:103], v[28:29], -v[8:9]
	v_add_f64 v[0:1], v[0:1], v[134:135]
	ds_read_b128 v[134:137], v96 offset:1904
	s_waitcnt vmcnt(34) lgkmcnt(1)
	v_mul_f64 v[138:139], v[130:131], v[62:63]
	v_add_f64 v[6:7], v[6:7], v[8:9]
	v_mul_f64 v[8:9], v[108:109], v[38:39]
	s_waitcnt vmcnt(32)
	v_fmac_f64_e32 v[138:139], v[132:133], v[64:65]
	v_fma_f64 v[8:9], v[106:107], v[40:41], -v[8:9]
	v_add_f64 v[0:1], v[0:1], v[138:139]
	ds_read_b128 v[138:141], v96 offset:1920
	v_add_f64 v[6:7], v[6:7], v[8:9]
	v_mul_f64 v[8:9], v[112:113], v[34:35]
	v_fma_f64 v[8:9], v[110:111], v[36:37], -v[8:9]
	v_add_f64 v[6:7], v[6:7], v[8:9]
	v_mul_f64 v[8:9], v[116:117], v[46:47]
	s_waitcnt lgkmcnt(1)
	v_mul_f64 v[142:143], v[134:135], v[58:59]
	v_fma_f64 v[8:9], v[114:115], v[48:49], -v[8:9]
	v_fmac_f64_e32 v[142:143], v[136:137], v[60:61]
	v_add_f64 v[6:7], v[6:7], v[8:9]
	v_mul_f64 v[8:9], v[120:121], v[42:43]
	v_add_f64 v[0:1], v[0:1], v[142:143]
	ds_read_b128 v[142:145], v96 offset:1936
	s_waitcnt vmcnt(26) lgkmcnt(1)
	v_mul_f64 v[146:147], v[138:139], v[70:71]
	v_fma_f64 v[8:9], v[118:119], v[44:45], -v[8:9]
	s_waitcnt vmcnt(24)
	v_fmac_f64_e32 v[146:147], v[140:141], v[72:73]
	v_add_f64 v[6:7], v[6:7], v[8:9]
	v_mul_f64 v[8:9], v[124:125], v[54:55]
	v_add_f64 v[0:1], v[0:1], v[146:147]
	ds_read_b128 v[146:149], v96 offset:1952
	v_fma_f64 v[8:9], v[122:123], v[56:57], -v[8:9]
	v_add_f64 v[6:7], v[6:7], v[8:9]
	v_mul_f64 v[8:9], v[128:129], v[50:51]
	v_fma_f64 v[8:9], v[126:127], v[52:53], -v[8:9]
	s_waitcnt lgkmcnt(1)
	v_mul_f64 v[150:151], v[142:143], v[66:67]
	v_add_f64 v[6:7], v[6:7], v[8:9]
	v_mul_f64 v[8:9], v[132:133], v[62:63]
	v_fmac_f64_e32 v[150:151], v[144:145], v[68:69]
	v_fma_f64 v[8:9], v[130:131], v[64:65], -v[8:9]
	v_add_f64 v[0:1], v[0:1], v[150:151]
	ds_read_b128 v[150:153], v96 offset:1968
	s_waitcnt vmcnt(18) lgkmcnt(1)
	v_mul_f64 v[154:155], v[146:147], v[172:173]
	v_add_f64 v[6:7], v[6:7], v[8:9]
	v_mul_f64 v[8:9], v[136:137], v[58:59]
	s_waitcnt vmcnt(16)
	v_fmac_f64_e32 v[154:155], v[148:149], v[174:175]
	v_fma_f64 v[8:9], v[134:135], v[60:61], -v[8:9]
	v_add_f64 v[0:1], v[0:1], v[154:155]
	ds_read_b128 v[154:157], v96 offset:1984
	v_add_f64 v[6:7], v[6:7], v[8:9]
	v_mul_f64 v[8:9], v[140:141], v[70:71]
	v_fma_f64 v[8:9], v[138:139], v[72:73], -v[8:9]
	v_add_f64 v[6:7], v[6:7], v[8:9]
	v_mul_f64 v[8:9], v[144:145], v[66:67]
	s_waitcnt lgkmcnt(1)
	v_mul_f64 v[158:159], v[150:151], v[94:95]
	v_fma_f64 v[8:9], v[142:143], v[68:69], -v[8:9]
	v_fmac_f64_e32 v[158:159], v[152:153], v[170:171]
	v_add_f64 v[6:7], v[6:7], v[8:9]
	v_mul_f64 v[8:9], v[148:149], v[172:173]
	v_add_f64 v[0:1], v[0:1], v[158:159]
	ds_read_b128 v[158:161], v96 offset:2000
	s_waitcnt vmcnt(10) lgkmcnt(1)
	v_mul_f64 v[162:163], v[154:155], v[180:181]
	v_fma_f64 v[8:9], v[146:147], v[174:175], -v[8:9]
	s_waitcnt vmcnt(8)
	v_fmac_f64_e32 v[162:163], v[156:157], v[182:183]
	v_add_f64 v[6:7], v[6:7], v[8:9]
	v_mul_f64 v[8:9], v[152:153], v[94:95]
	v_add_f64 v[0:1], v[0:1], v[162:163]
	ds_read_b128 v[162:165], v96 offset:2016
	v_fma_f64 v[8:9], v[150:151], v[170:171], -v[8:9]
	v_add_f64 v[6:7], v[6:7], v[8:9]
	v_mul_f64 v[8:9], v[156:157], v[180:181]
	v_fma_f64 v[8:9], v[154:155], v[182:183], -v[8:9]
	v_add_f64 v[6:7], v[6:7], v[8:9]
	s_waitcnt lgkmcnt(1)
	v_mul_f64 v[8:9], v[160:161], v[176:177]
	v_mul_f64 v[192:193], v[158:159], v[176:177]
	v_fma_f64 v[8:9], v[158:159], v[178:179], -v[8:9]
	v_fmac_f64_e32 v[192:193], v[160:161], v[178:179]
	v_add_f64 v[6:7], v[6:7], v[8:9]
	s_waitcnt vmcnt(2) lgkmcnt(0)
	v_mul_f64 v[8:9], v[164:165], v[188:189]
	v_add_f64 v[0:1], v[0:1], v[192:193]
	v_mul_f64 v[192:193], v[162:163], v[188:189]
	s_waitcnt vmcnt(0)
	v_fma_f64 v[8:9], v[162:163], v[190:191], -v[8:9]
	v_fmac_f64_e32 v[192:193], v[164:165], v[190:191]
	v_add_f64 v[6:7], v[6:7], v[8:9]
	v_mul_f64 v[8:9], v[168:169], v[184:185]
	v_add_f64 v[0:1], v[0:1], v[192:193]
	v_mul_f64 v[192:193], v[166:167], v[184:185]
	v_fma_f64 v[8:9], v[166:167], v[186:187], -v[8:9]
	v_fmac_f64_e32 v[192:193], v[168:169], v[186:187]
	v_add_f64 v[6:7], v[6:7], v[8:9]
	v_add_f64 v[0:1], v[0:1], v[192:193]
	v_add_f64 v[4:5], v[4:5], -v[6:7]
	v_add_f64 v[0:1], v[2:3], -v[0:1]
	buffer_store_dword v5, off, s[0:3], 0 offset:660
	buffer_store_dword v4, off, s[0:3], 0 offset:656
	;; [unrolled: 1-line block ×4, first 2 shown]
	s_and_saveexec_b64 s[4:5], vcc
	s_cbranch_execz .LBB63_331
; %bb.330:
	v_accvgpr_read_b32 v3, a152
	buffer_load_dword v0, v3, s[0:3], 0 offen
	buffer_load_dword v1, v3, s[0:3], 0 offen offset:4
	buffer_load_dword v2, v3, s[0:3], 0 offen offset:8
	s_nop 0
	buffer_load_dword v3, v3, s[0:3], 0 offen offset:12
	v_accvgpr_read_b32 v4, a192
	buffer_store_dword v96, off, s[0:3], 0 offset:640
	buffer_store_dword v96, off, s[0:3], 0 offset:644
	;; [unrolled: 1-line block ×4, first 2 shown]
	s_waitcnt vmcnt(4)
	ds_write_b128 v4, v[0:3]
.LBB63_331:
	s_or_b64 exec, exec, s[4:5]
	s_waitcnt lgkmcnt(0)
	; wave barrier
	s_waitcnt lgkmcnt(0)
	buffer_load_dword v22, off, s[0:3], 0 offset:656
	buffer_load_dword v23, off, s[0:3], 0 offset:660
	;; [unrolled: 1-line block ×16, first 2 shown]
	ds_read_b128 v[2:5], v96 offset:1664
	ds_read_b128 v[6:9], v96 offset:1680
	;; [unrolled: 1-line block ×4, first 2 shown]
	buffer_load_dword v35, off, s[0:3], 0 offset:732
	buffer_load_dword v34, off, s[0:3], 0 offset:728
	;; [unrolled: 1-line block ×48, first 2 shown]
	v_cmp_lt_u32_e32 vcc, 38, v254
	s_waitcnt vmcnt(42) lgkmcnt(0)
	v_mul_f64 v[104:105], v[14:15], v[38:39]
	s_waitcnt vmcnt(40)
	v_fmac_f64_e32 v[104:105], v[16:17], v[40:41]
	v_mul_f64 v[0:1], v[2:3], v[24:25]
	v_fmac_f64_e32 v[0:1], v[4:5], v[22:23]
	v_add_f64 v[0:1], v[0:1], 0
	v_mul_f64 v[4:5], v[4:5], v[24:25]
	v_mul_f64 v[82:83], v[6:7], v[32:33]
	v_fma_f64 v[2:3], v[2:3], v[22:23], -v[4:5]
	v_mul_f64 v[98:99], v[10:11], v[26:27]
	v_fmac_f64_e32 v[98:99], v[12:13], v[30:31]
	v_fmac_f64_e32 v[82:83], v[8:9], v[28:29]
	v_add_f64 v[100:101], v[0:1], v[82:83]
	buffer_load_dword v83, off, s[0:3], 0 offset:924
	buffer_load_dword v82, off, s[0:3], 0 offset:920
	;; [unrolled: 1-line block ×32, first 2 shown]
	v_add_f64 v[102:103], v[100:101], v[98:99]
	ds_read_b128 v[98:101], v96 offset:1728
	buffer_load_dword v195, off, s[0:3], 0 offset:1036
	buffer_load_dword v194, off, s[0:3], 0 offset:1032
	;; [unrolled: 1-line block ×4, first 2 shown]
	v_add_f64 v[106:107], v[102:103], v[104:105]
	ds_read_b128 v[102:105], v96 offset:1744
	v_mul_f64 v[4:5], v[8:9], v[32:33]
	s_waitcnt lgkmcnt(1)
	v_mul_f64 v[108:109], v[98:99], v[34:35]
	v_fmac_f64_e32 v[108:109], v[100:101], v[36:37]
	v_add_f64 v[110:111], v[106:107], v[108:109]
	ds_read_b128 v[106:109], v96 offset:1760
	s_waitcnt vmcnt(62) lgkmcnt(1)
	v_mul_f64 v[112:113], v[102:103], v[46:47]
	v_fmac_f64_e32 v[112:113], v[104:105], v[48:49]
	v_add_f64 v[114:115], v[110:111], v[112:113]
	ds_read_b128 v[110:113], v96 offset:1776
	s_waitcnt lgkmcnt(1)
	v_mul_f64 v[116:117], v[106:107], v[42:43]
	v_fmac_f64_e32 v[116:117], v[108:109], v[44:45]
	v_add_f64 v[118:119], v[114:115], v[116:117]
	ds_read_b128 v[114:117], v96 offset:1792
	s_waitcnt lgkmcnt(1)
	v_mul_f64 v[120:121], v[110:111], v[54:55]
	s_waitcnt vmcnt(60)
	v_fmac_f64_e32 v[120:121], v[112:113], v[56:57]
	v_add_f64 v[122:123], v[118:119], v[120:121]
	ds_read_b128 v[118:121], v96 offset:1808
	s_waitcnt lgkmcnt(1)
	v_mul_f64 v[124:125], v[114:115], v[50:51]
	v_fmac_f64_e32 v[124:125], v[116:117], v[52:53]
	v_add_f64 v[126:127], v[122:123], v[124:125]
	ds_read_b128 v[122:125], v96 offset:1824
	s_waitcnt vmcnt(54) lgkmcnt(1)
	v_mul_f64 v[128:129], v[118:119], v[62:63]
	s_waitcnt vmcnt(52)
	v_fmac_f64_e32 v[128:129], v[120:121], v[64:65]
	v_add_f64 v[130:131], v[126:127], v[128:129]
	ds_read_b128 v[126:129], v96 offset:1840
	s_waitcnt lgkmcnt(1)
	v_mul_f64 v[132:133], v[122:123], v[58:59]
	v_fmac_f64_e32 v[132:133], v[124:125], v[60:61]
	v_add_f64 v[134:135], v[130:131], v[132:133]
	ds_read_b128 v[130:133], v96 offset:1856
	v_add_f64 v[2:3], v[2:3], 0
	v_fma_f64 v[4:5], v[6:7], v[28:29], -v[4:5]
	v_add_f64 v[2:3], v[2:3], v[4:5]
	v_mul_f64 v[4:5], v[12:13], v[26:27]
	v_fma_f64 v[4:5], v[10:11], v[30:31], -v[4:5]
	s_waitcnt vmcnt(46) lgkmcnt(1)
	v_mul_f64 v[136:137], v[126:127], v[70:71]
	v_add_f64 v[2:3], v[2:3], v[4:5]
	v_mul_f64 v[4:5], v[16:17], v[38:39]
	s_waitcnt vmcnt(44)
	v_fmac_f64_e32 v[136:137], v[128:129], v[72:73]
	v_fma_f64 v[4:5], v[14:15], v[40:41], -v[4:5]
	v_add_f64 v[138:139], v[134:135], v[136:137]
	ds_read_b128 v[134:137], v96 offset:1872
	s_waitcnt lgkmcnt(1)
	v_mul_f64 v[140:141], v[130:131], v[66:67]
	v_add_f64 v[2:3], v[2:3], v[4:5]
	v_mul_f64 v[4:5], v[100:101], v[34:35]
	v_fmac_f64_e32 v[140:141], v[132:133], v[68:69]
	v_fma_f64 v[4:5], v[98:99], v[36:37], -v[4:5]
	v_add_f64 v[142:143], v[138:139], v[140:141]
	ds_read_b128 v[138:141], v96 offset:1888
	v_add_f64 v[2:3], v[2:3], v[4:5]
	v_mul_f64 v[4:5], v[104:105], v[46:47]
	v_fma_f64 v[4:5], v[102:103], v[48:49], -v[4:5]
	v_add_f64 v[2:3], v[2:3], v[4:5]
	v_mul_f64 v[4:5], v[108:109], v[42:43]
	s_waitcnt vmcnt(38) lgkmcnt(1)
	v_mul_f64 v[144:145], v[134:135], v[78:79]
	v_fma_f64 v[4:5], v[106:107], v[44:45], -v[4:5]
	s_waitcnt vmcnt(36)
	v_fmac_f64_e32 v[144:145], v[136:137], v[80:81]
	v_add_f64 v[2:3], v[2:3], v[4:5]
	v_mul_f64 v[4:5], v[112:113], v[54:55]
	v_add_f64 v[146:147], v[142:143], v[144:145]
	ds_read_b128 v[142:145], v96 offset:1904
	s_waitcnt lgkmcnt(1)
	v_mul_f64 v[148:149], v[138:139], v[74:75]
	v_fma_f64 v[4:5], v[110:111], v[56:57], -v[4:5]
	v_fmac_f64_e32 v[148:149], v[140:141], v[76:77]
	v_add_f64 v[2:3], v[2:3], v[4:5]
	v_mul_f64 v[4:5], v[116:117], v[50:51]
	v_add_f64 v[150:151], v[146:147], v[148:149]
	ds_read_b128 v[146:149], v96 offset:1920
	v_fma_f64 v[4:5], v[114:115], v[52:53], -v[4:5]
	v_add_f64 v[2:3], v[2:3], v[4:5]
	v_mul_f64 v[4:5], v[120:121], v[62:63]
	v_fma_f64 v[4:5], v[118:119], v[64:65], -v[4:5]
	s_waitcnt vmcnt(30) lgkmcnt(1)
	v_mul_f64 v[152:153], v[142:143], v[86:87]
	v_add_f64 v[2:3], v[2:3], v[4:5]
	v_mul_f64 v[4:5], v[124:125], v[58:59]
	s_waitcnt vmcnt(28)
	v_fmac_f64_e32 v[152:153], v[144:145], v[88:89]
	v_fma_f64 v[4:5], v[122:123], v[60:61], -v[4:5]
	v_add_f64 v[154:155], v[150:151], v[152:153]
	ds_read_b128 v[150:153], v96 offset:1936
	s_waitcnt lgkmcnt(1)
	v_mul_f64 v[156:157], v[146:147], v[82:83]
	v_add_f64 v[2:3], v[2:3], v[4:5]
	v_mul_f64 v[4:5], v[128:129], v[70:71]
	v_fmac_f64_e32 v[156:157], v[148:149], v[84:85]
	v_fma_f64 v[4:5], v[126:127], v[72:73], -v[4:5]
	v_add_f64 v[158:159], v[154:155], v[156:157]
	ds_read_b128 v[154:157], v96 offset:1952
	v_add_f64 v[2:3], v[2:3], v[4:5]
	v_mul_f64 v[4:5], v[132:133], v[66:67]
	v_fma_f64 v[4:5], v[130:131], v[68:69], -v[4:5]
	v_add_f64 v[2:3], v[2:3], v[4:5]
	v_mul_f64 v[4:5], v[136:137], v[78:79]
	s_waitcnt vmcnt(22) lgkmcnt(1)
	v_mul_f64 v[160:161], v[150:151], v[92:93]
	v_fma_f64 v[4:5], v[134:135], v[80:81], -v[4:5]
	s_waitcnt vmcnt(20)
	v_fmac_f64_e32 v[160:161], v[152:153], v[94:95]
	v_add_f64 v[2:3], v[2:3], v[4:5]
	v_mul_f64 v[4:5], v[140:141], v[74:75]
	v_add_f64 v[162:163], v[158:159], v[160:161]
	ds_read_b128 v[158:161], v96 offset:1968
	s_waitcnt lgkmcnt(1)
	v_mul_f64 v[164:165], v[154:155], v[0:1]
	v_fma_f64 v[4:5], v[138:139], v[76:77], -v[4:5]
	v_fmac_f64_e32 v[164:165], v[156:157], v[90:91]
	v_add_f64 v[2:3], v[2:3], v[4:5]
	v_mul_f64 v[4:5], v[144:145], v[86:87]
	v_add_f64 v[166:167], v[162:163], v[164:165]
	ds_read_b128 v[162:165], v96 offset:1984
	v_fma_f64 v[4:5], v[142:143], v[88:89], -v[4:5]
	v_add_f64 v[2:3], v[2:3], v[4:5]
	v_mul_f64 v[4:5], v[148:149], v[82:83]
	v_fma_f64 v[4:5], v[146:147], v[84:85], -v[4:5]
	s_waitcnt vmcnt(14) lgkmcnt(1)
	v_mul_f64 v[168:169], v[158:159], v[182:183]
	v_add_f64 v[2:3], v[2:3], v[4:5]
	v_mul_f64 v[4:5], v[152:153], v[92:93]
	s_waitcnt vmcnt(12)
	v_fmac_f64_e32 v[168:169], v[160:161], v[184:185]
	v_fma_f64 v[4:5], v[150:151], v[94:95], -v[4:5]
	v_mul_f64 v[0:1], v[156:157], v[0:1]
	v_add_f64 v[170:171], v[166:167], v[168:169]
	ds_read_b128 v[166:169], v96 offset:2000
	s_waitcnt lgkmcnt(1)
	v_mul_f64 v[172:173], v[162:163], v[178:179]
	v_add_f64 v[2:3], v[2:3], v[4:5]
	v_fma_f64 v[0:1], v[154:155], v[90:91], -v[0:1]
	v_fmac_f64_e32 v[172:173], v[164:165], v[180:181]
	v_add_f64 v[0:1], v[2:3], v[0:1]
	v_mul_f64 v[2:3], v[160:161], v[182:183]
	v_add_f64 v[198:199], v[170:171], v[172:173]
	ds_read_b128 v[170:173], v96 offset:2016
	v_fma_f64 v[2:3], v[158:159], v[184:185], -v[2:3]
	v_add_f64 v[0:1], v[0:1], v[2:3]
	v_mul_f64 v[2:3], v[164:165], v[178:179]
	ds_read_b128 v[174:177], v96 offset:2032
	v_fma_f64 v[2:3], v[162:163], v[180:181], -v[2:3]
	v_add_f64 v[0:1], v[0:1], v[2:3]
	s_waitcnt vmcnt(6) lgkmcnt(2)
	v_mul_f64 v[2:3], v[168:169], v[190:191]
	v_mul_f64 v[200:201], v[166:167], v[190:191]
	s_waitcnt vmcnt(4)
	v_fma_f64 v[2:3], v[166:167], v[192:193], -v[2:3]
	v_fmac_f64_e32 v[200:201], v[168:169], v[192:193]
	v_add_f64 v[0:1], v[0:1], v[2:3]
	s_waitcnt lgkmcnt(1)
	v_mul_f64 v[2:3], v[172:173], v[186:187]
	v_add_f64 v[96:97], v[198:199], v[200:201]
	v_mul_f64 v[198:199], v[170:171], v[186:187]
	v_fma_f64 v[2:3], v[170:171], v[188:189], -v[2:3]
	v_fmac_f64_e32 v[198:199], v[172:173], v[188:189]
	v_add_f64 v[0:1], v[0:1], v[2:3]
	s_waitcnt vmcnt(2) lgkmcnt(0)
	v_mul_f64 v[2:3], v[176:177], v[194:195]
	v_add_f64 v[96:97], v[96:97], v[198:199]
	v_mul_f64 v[198:199], v[174:175], v[194:195]
	s_waitcnt vmcnt(0)
	v_fma_f64 v[2:3], v[174:175], v[196:197], -v[2:3]
	v_fmac_f64_e32 v[198:199], v[176:177], v[196:197]
	v_add_f64 v[0:1], v[0:1], v[2:3]
	v_add_f64 v[96:97], v[96:97], v[198:199]
	v_add_f64 v[0:1], v[20:21], -v[0:1]
	v_add_f64 v[2:3], v[18:19], -v[96:97]
	buffer_store_dword v1, off, s[0:3], 0 offset:644
	buffer_store_dword v0, off, s[0:3], 0 offset:640
	;; [unrolled: 1-line block ×4, first 2 shown]
	s_and_saveexec_b64 s[4:5], vcc
	s_cbranch_execz .LBB63_333
; %bb.332:
	v_accvgpr_read_b32 v3, a153
	buffer_load_dword v0, v3, s[0:3], 0 offen
	buffer_load_dword v1, v3, s[0:3], 0 offen offset:4
	buffer_load_dword v2, v3, s[0:3], 0 offen offset:8
	s_nop 0
	buffer_load_dword v3, v3, s[0:3], 0 offen offset:12
	v_mov_b32_e32 v4, 0
	v_accvgpr_read_b32 v5, a192
	buffer_store_dword v4, off, s[0:3], 0 offset:624
	buffer_store_dword v4, off, s[0:3], 0 offset:628
	;; [unrolled: 1-line block ×4, first 2 shown]
	s_waitcnt vmcnt(4)
	ds_write_b128 v5, v[0:3]
.LBB63_333:
	s_or_b64 exec, exec, s[4:5]
	s_waitcnt lgkmcnt(0)
	; wave barrier
	s_waitcnt lgkmcnt(0)
	buffer_load_dword v22, off, s[0:3], 0 offset:640
	buffer_load_dword v23, off, s[0:3], 0 offset:644
	;; [unrolled: 1-line block ×64, first 2 shown]
	v_mov_b32_e32 v112, 0
	ds_read_b128 v[18:21], v112 offset:1648
	ds_read_b128 v[14:17], v112 offset:1664
	;; [unrolled: 1-line block ×5, first 2 shown]
	v_cmp_lt_u32_e32 vcc, 37, v254
	s_waitcnt vmcnt(60) lgkmcnt(4)
	v_mul_f64 v[0:1], v[18:19], v[26:27]
	v_fmac_f64_e32 v[0:1], v[20:21], v[22:23]
	v_add_f64 v[0:1], v[0:1], 0
	v_mul_f64 v[20:21], v[20:21], v[26:27]
	s_waitcnt vmcnt(56) lgkmcnt(3)
	v_mul_f64 v[86:87], v[14:15], v[28:29]
	v_fmac_f64_e32 v[86:87], v[16:17], v[24:25]
	s_waitcnt vmcnt(54) lgkmcnt(2)
	v_mul_f64 v[88:89], v[10:11], v[30:31]
	v_add_f64 v[0:1], v[0:1], v[86:87]
	v_fma_f64 v[18:19], v[18:19], v[22:23], -v[20:21]
	v_mul_f64 v[16:17], v[16:17], v[28:29]
	s_waitcnt vmcnt(50) lgkmcnt(1)
	v_mul_f64 v[102:103], v[6:7], v[40:41]
	v_add_f64 v[18:19], v[18:19], 0
	s_waitcnt vmcnt(48)
	v_fmac_f64_e32 v[88:89], v[12:13], v[44:45]
	v_add_f64 v[0:1], v[0:1], v[88:89]
	buffer_load_dword v87, off, s[0:3], 0 offset:908
	buffer_load_dword v86, off, s[0:3], 0 offset:904
	;; [unrolled: 1-line block ×40, first 2 shown]
	s_waitcnt vmcnt(62)
	v_fmac_f64_e32 v[102:103], v[8:9], v[42:43]
	v_add_f64 v[0:1], v[0:1], v[102:103]
	ds_read_b128 v[102:105], v112 offset:1728
	s_waitcnt lgkmcnt(1)
	v_mul_f64 v[106:107], v[2:3], v[36:37]
	v_fmac_f64_e32 v[106:107], v[4:5], v[38:39]
	v_add_f64 v[0:1], v[0:1], v[106:107]
	ds_read_b128 v[106:109], v112 offset:1744
	s_waitcnt lgkmcnt(1)
	v_mul_f64 v[114:115], v[102:103], v[50:51]
	;; [unrolled: 5-line block ×5, first 2 shown]
	v_fmac_f64_e32 v[126:127], v[120:121], v[56:57]
	v_add_f64 v[0:1], v[0:1], v[126:127]
	ds_read_b128 v[126:129], v112 offset:1808
	s_waitcnt vmcnt(58) lgkmcnt(1)
	v_mul_f64 v[130:131], v[122:123], v[66:67]
	s_waitcnt vmcnt(56)
	v_fmac_f64_e32 v[130:131], v[124:125], v[68:69]
	v_add_f64 v[0:1], v[0:1], v[130:131]
	ds_read_b128 v[130:133], v112 offset:1824
	s_waitcnt lgkmcnt(1)
	v_mul_f64 v[134:135], v[126:127], v[62:63]
	v_fmac_f64_e32 v[134:135], v[128:129], v[64:65]
	v_add_f64 v[0:1], v[0:1], v[134:135]
	ds_read_b128 v[134:137], v112 offset:1840
	s_waitcnt vmcnt(50) lgkmcnt(1)
	v_mul_f64 v[138:139], v[130:131], v[74:75]
	s_waitcnt vmcnt(48)
	v_fmac_f64_e32 v[138:139], v[132:133], v[76:77]
	v_add_f64 v[0:1], v[0:1], v[138:139]
	ds_read_b128 v[138:141], v112 offset:1856
	v_fma_f64 v[14:15], v[14:15], v[24:25], -v[16:17]
	v_mul_f64 v[12:13], v[12:13], v[30:31]
	v_add_f64 v[14:15], v[18:19], v[14:15]
	v_fma_f64 v[10:11], v[10:11], v[44:45], -v[12:13]
	v_mul_f64 v[8:9], v[8:9], v[40:41]
	s_waitcnt lgkmcnt(1)
	v_mul_f64 v[142:143], v[134:135], v[70:71]
	v_add_f64 v[10:11], v[14:15], v[10:11]
	v_fma_f64 v[6:7], v[6:7], v[42:43], -v[8:9]
	v_mul_f64 v[4:5], v[4:5], v[36:37]
	v_fmac_f64_e32 v[142:143], v[136:137], v[72:73]
	v_add_f64 v[6:7], v[10:11], v[6:7]
	v_fma_f64 v[2:3], v[2:3], v[38:39], -v[4:5]
	v_mul_f64 v[4:5], v[104:105], v[50:51]
	v_add_f64 v[0:1], v[0:1], v[142:143]
	ds_read_b128 v[142:145], v112 offset:1872
	s_waitcnt vmcnt(42) lgkmcnt(1)
	v_mul_f64 v[146:147], v[138:139], v[82:83]
	v_add_f64 v[2:3], v[6:7], v[2:3]
	v_fma_f64 v[4:5], v[102:103], v[52:53], -v[4:5]
	s_waitcnt vmcnt(40)
	v_fmac_f64_e32 v[146:147], v[140:141], v[84:85]
	v_add_f64 v[2:3], v[2:3], v[4:5]
	v_mul_f64 v[4:5], v[108:109], v[46:47]
	v_add_f64 v[0:1], v[0:1], v[146:147]
	ds_read_b128 v[146:149], v112 offset:1888
	v_fma_f64 v[4:5], v[106:107], v[48:49], -v[4:5]
	v_add_f64 v[2:3], v[2:3], v[4:5]
	v_mul_f64 v[4:5], v[116:117], v[58:59]
	v_fma_f64 v[4:5], v[114:115], v[60:61], -v[4:5]
	s_waitcnt lgkmcnt(1)
	v_mul_f64 v[150:151], v[142:143], v[78:79]
	v_add_f64 v[2:3], v[2:3], v[4:5]
	v_mul_f64 v[4:5], v[120:121], v[54:55]
	v_fmac_f64_e32 v[150:151], v[144:145], v[80:81]
	v_fma_f64 v[4:5], v[118:119], v[56:57], -v[4:5]
	v_add_f64 v[0:1], v[0:1], v[150:151]
	ds_read_b128 v[150:153], v112 offset:1904
	s_waitcnt vmcnt(34) lgkmcnt(1)
	v_mul_f64 v[154:155], v[146:147], v[90:91]
	v_add_f64 v[2:3], v[2:3], v[4:5]
	v_mul_f64 v[4:5], v[124:125], v[66:67]
	s_waitcnt vmcnt(32)
	v_fmac_f64_e32 v[154:155], v[148:149], v[92:93]
	v_fma_f64 v[4:5], v[122:123], v[68:69], -v[4:5]
	v_add_f64 v[0:1], v[0:1], v[154:155]
	ds_read_b128 v[154:157], v112 offset:1920
	v_add_f64 v[2:3], v[2:3], v[4:5]
	v_mul_f64 v[4:5], v[128:129], v[62:63]
	v_fma_f64 v[4:5], v[126:127], v[64:65], -v[4:5]
	v_add_f64 v[2:3], v[2:3], v[4:5]
	v_mul_f64 v[4:5], v[132:133], v[74:75]
	s_waitcnt lgkmcnt(1)
	v_mul_f64 v[158:159], v[150:151], v[86:87]
	v_fma_f64 v[4:5], v[130:131], v[76:77], -v[4:5]
	v_fmac_f64_e32 v[158:159], v[152:153], v[88:89]
	v_add_f64 v[2:3], v[2:3], v[4:5]
	v_mul_f64 v[4:5], v[136:137], v[70:71]
	v_add_f64 v[0:1], v[0:1], v[158:159]
	ds_read_b128 v[158:161], v112 offset:1936
	s_waitcnt vmcnt(26) lgkmcnt(1)
	v_mul_f64 v[162:163], v[154:155], v[98:99]
	v_fma_f64 v[4:5], v[134:135], v[72:73], -v[4:5]
	s_waitcnt vmcnt(24)
	v_fmac_f64_e32 v[162:163], v[156:157], v[100:101]
	v_add_f64 v[2:3], v[2:3], v[4:5]
	v_mul_f64 v[4:5], v[140:141], v[82:83]
	v_add_f64 v[0:1], v[0:1], v[162:163]
	ds_read_b128 v[162:165], v112 offset:1952
	v_fma_f64 v[4:5], v[138:139], v[84:85], -v[4:5]
	v_add_f64 v[2:3], v[2:3], v[4:5]
	v_mul_f64 v[4:5], v[144:145], v[78:79]
	v_fma_f64 v[4:5], v[142:143], v[80:81], -v[4:5]
	s_waitcnt lgkmcnt(1)
	v_mul_f64 v[166:167], v[158:159], v[94:95]
	v_add_f64 v[2:3], v[2:3], v[4:5]
	v_mul_f64 v[4:5], v[148:149], v[90:91]
	v_fmac_f64_e32 v[166:167], v[160:161], v[96:97]
	v_fma_f64 v[4:5], v[146:147], v[92:93], -v[4:5]
	v_add_f64 v[0:1], v[0:1], v[166:167]
	ds_read_b128 v[166:169], v112 offset:1968
	s_waitcnt vmcnt(18) lgkmcnt(1)
	v_mul_f64 v[170:171], v[162:163], v[188:189]
	v_add_f64 v[2:3], v[2:3], v[4:5]
	v_mul_f64 v[4:5], v[152:153], v[86:87]
	s_waitcnt vmcnt(16)
	v_fmac_f64_e32 v[170:171], v[164:165], v[190:191]
	v_fma_f64 v[4:5], v[150:151], v[88:89], -v[4:5]
	v_add_f64 v[0:1], v[0:1], v[170:171]
	ds_read_b128 v[170:173], v112 offset:1984
	v_add_f64 v[2:3], v[2:3], v[4:5]
	v_mul_f64 v[4:5], v[156:157], v[98:99]
	v_fma_f64 v[4:5], v[154:155], v[100:101], -v[4:5]
	v_add_f64 v[2:3], v[2:3], v[4:5]
	v_mul_f64 v[4:5], v[160:161], v[94:95]
	s_waitcnt lgkmcnt(1)
	v_mul_f64 v[174:175], v[166:167], v[110:111]
	v_fma_f64 v[4:5], v[158:159], v[96:97], -v[4:5]
	v_fmac_f64_e32 v[174:175], v[168:169], v[186:187]
	v_add_f64 v[2:3], v[2:3], v[4:5]
	v_mul_f64 v[4:5], v[164:165], v[188:189]
	v_add_f64 v[0:1], v[0:1], v[174:175]
	ds_read_b128 v[174:177], v112 offset:2000
	s_waitcnt vmcnt(10) lgkmcnt(1)
	v_mul_f64 v[178:179], v[170:171], v[196:197]
	v_fma_f64 v[4:5], v[162:163], v[190:191], -v[4:5]
	s_waitcnt vmcnt(8)
	v_fmac_f64_e32 v[178:179], v[172:173], v[198:199]
	v_add_f64 v[2:3], v[2:3], v[4:5]
	v_mul_f64 v[4:5], v[168:169], v[110:111]
	v_add_f64 v[0:1], v[0:1], v[178:179]
	ds_read_b128 v[178:181], v112 offset:2016
	ds_read_b128 v[182:185], v112 offset:2032
	v_fma_f64 v[4:5], v[166:167], v[186:187], -v[4:5]
	v_add_f64 v[2:3], v[2:3], v[4:5]
	v_mul_f64 v[4:5], v[172:173], v[196:197]
	v_fma_f64 v[4:5], v[170:171], v[198:199], -v[4:5]
	v_add_f64 v[2:3], v[2:3], v[4:5]
	s_waitcnt lgkmcnt(2)
	v_mul_f64 v[4:5], v[176:177], v[192:193]
	v_mul_f64 v[208:209], v[174:175], v[192:193]
	v_fma_f64 v[4:5], v[174:175], v[194:195], -v[4:5]
	v_fmac_f64_e32 v[208:209], v[176:177], v[194:195]
	v_add_f64 v[2:3], v[2:3], v[4:5]
	s_waitcnt vmcnt(2) lgkmcnt(1)
	v_mul_f64 v[4:5], v[180:181], v[204:205]
	v_add_f64 v[0:1], v[0:1], v[208:209]
	v_mul_f64 v[208:209], v[178:179], v[204:205]
	s_waitcnt vmcnt(0)
	v_fma_f64 v[4:5], v[178:179], v[206:207], -v[4:5]
	v_fmac_f64_e32 v[208:209], v[180:181], v[206:207]
	v_add_f64 v[2:3], v[2:3], v[4:5]
	s_waitcnt lgkmcnt(0)
	v_mul_f64 v[4:5], v[184:185], v[200:201]
	v_add_f64 v[0:1], v[0:1], v[208:209]
	v_mul_f64 v[208:209], v[182:183], v[200:201]
	v_fma_f64 v[4:5], v[182:183], v[202:203], -v[4:5]
	v_fmac_f64_e32 v[208:209], v[184:185], v[202:203]
	v_add_f64 v[2:3], v[2:3], v[4:5]
	v_add_f64 v[0:1], v[0:1], v[208:209]
	v_add_f64 v[2:3], v[34:35], -v[2:3]
	v_add_f64 v[0:1], v[32:33], -v[0:1]
	buffer_store_dword v3, off, s[0:3], 0 offset:628
	buffer_store_dword v2, off, s[0:3], 0 offset:624
	;; [unrolled: 1-line block ×4, first 2 shown]
	s_and_saveexec_b64 s[4:5], vcc
	s_cbranch_execz .LBB63_335
; %bb.334:
	v_accvgpr_read_b32 v3, a154
	buffer_load_dword v0, v3, s[0:3], 0 offen
	buffer_load_dword v1, v3, s[0:3], 0 offen offset:4
	buffer_load_dword v2, v3, s[0:3], 0 offen offset:8
	s_nop 0
	buffer_load_dword v3, v3, s[0:3], 0 offen offset:12
	v_accvgpr_read_b32 v4, a192
	buffer_store_dword v112, off, s[0:3], 0 offset:608
	buffer_store_dword v112, off, s[0:3], 0 offset:612
	;; [unrolled: 1-line block ×4, first 2 shown]
	s_waitcnt vmcnt(4)
	ds_write_b128 v4, v[0:3]
.LBB63_335:
	s_or_b64 exec, exec, s[4:5]
	s_waitcnt lgkmcnt(0)
	; wave barrier
	s_waitcnt lgkmcnt(0)
	buffer_load_dword v26, off, s[0:3], 0 offset:624
	buffer_load_dword v27, off, s[0:3], 0 offset:628
	;; [unrolled: 1-line block ×24, first 2 shown]
	ds_read_b128 v[22:25], v112 offset:1632
	ds_read_b128 v[18:21], v112 offset:1648
	;; [unrolled: 1-line block ×6, first 2 shown]
	buffer_load_dword v51, off, s[0:3], 0 offset:732
	buffer_load_dword v50, off, s[0:3], 0 offset:728
	;; [unrolled: 1-line block ×40, first 2 shown]
	v_cmp_lt_u32_e32 vcc, 36, v254
	s_waitcnt vmcnt(34) lgkmcnt(0)
	v_mul_f64 v[120:121], v[14:15], v[54:55]
	s_waitcnt vmcnt(32)
	v_fmac_f64_e32 v[120:121], v[16:17], v[56:57]
	v_mul_f64 v[0:1], v[22:23], v[28:29]
	v_fmac_f64_e32 v[0:1], v[24:25], v[26:27]
	v_mul_f64 v[90:91], v[18:19], v[30:31]
	v_add_f64 v[0:1], v[0:1], 0
	v_mul_f64 v[92:93], v[10:11], v[32:33]
	v_mul_f64 v[24:25], v[24:25], v[28:29]
	;; [unrolled: 1-line block ×3, first 2 shown]
	v_fma_f64 v[22:23], v[22:23], v[26:27], -v[24:25]
	v_add_f64 v[22:23], v[22:23], 0
	v_mul_f64 v[94:95], v[6:7], v[42:43]
	v_fmac_f64_e32 v[90:91], v[20:21], v[48:49]
	v_add_f64 v[0:1], v[0:1], v[90:91]
	v_fmac_f64_e32 v[92:93], v[12:13], v[46:47]
	v_add_f64 v[0:1], v[0:1], v[92:93]
	;; [unrolled: 2-line block ×3, first 2 shown]
	buffer_load_dword v91, off, s[0:3], 0 offset:892
	buffer_load_dword v90, off, s[0:3], 0 offset:888
	;; [unrolled: 1-line block ×40, first 2 shown]
	v_fmac_f64_e32 v[114:115], v[4:5], v[40:41]
	v_add_f64 v[118:119], v[116:117], v[114:115]
	ds_read_b128 v[114:117], v112 offset:1728
	buffer_load_dword v211, off, s[0:3], 0 offset:1036
	buffer_load_dword v210, off, s[0:3], 0 offset:1032
	;; [unrolled: 1-line block ×4, first 2 shown]
	v_add_f64 v[122:123], v[118:119], v[120:121]
	ds_read_b128 v[118:121], v112 offset:1744
	v_mul_f64 v[20:21], v[20:21], v[30:31]
	s_waitcnt lgkmcnt(1)
	v_mul_f64 v[124:125], v[114:115], v[50:51]
	v_fmac_f64_e32 v[124:125], v[116:117], v[52:53]
	v_add_f64 v[126:127], v[122:123], v[124:125]
	ds_read_b128 v[122:125], v112 offset:1760
	s_waitcnt vmcnt(62) lgkmcnt(1)
	v_mul_f64 v[128:129], v[118:119], v[62:63]
	v_fmac_f64_e32 v[128:129], v[120:121], v[64:65]
	v_add_f64 v[130:131], v[126:127], v[128:129]
	ds_read_b128 v[126:129], v112 offset:1776
	s_waitcnt lgkmcnt(1)
	v_mul_f64 v[132:133], v[122:123], v[58:59]
	v_fmac_f64_e32 v[132:133], v[124:125], v[60:61]
	v_add_f64 v[134:135], v[130:131], v[132:133]
	ds_read_b128 v[130:133], v112 offset:1792
	s_waitcnt lgkmcnt(1)
	v_mul_f64 v[136:137], v[126:127], v[70:71]
	s_waitcnt vmcnt(60)
	v_fmac_f64_e32 v[136:137], v[128:129], v[72:73]
	v_add_f64 v[138:139], v[134:135], v[136:137]
	ds_read_b128 v[134:137], v112 offset:1808
	s_waitcnt lgkmcnt(1)
	v_mul_f64 v[140:141], v[130:131], v[66:67]
	v_fmac_f64_e32 v[140:141], v[132:133], v[68:69]
	v_add_f64 v[142:143], v[138:139], v[140:141]
	ds_read_b128 v[138:141], v112 offset:1824
	s_waitcnt vmcnt(54) lgkmcnt(1)
	v_mul_f64 v[144:145], v[134:135], v[78:79]
	s_waitcnt vmcnt(52)
	v_fmac_f64_e32 v[144:145], v[136:137], v[80:81]
	v_add_f64 v[146:147], v[142:143], v[144:145]
	ds_read_b128 v[142:145], v112 offset:1840
	s_waitcnt lgkmcnt(1)
	v_mul_f64 v[148:149], v[138:139], v[74:75]
	v_fmac_f64_e32 v[148:149], v[140:141], v[76:77]
	v_add_f64 v[150:151], v[146:147], v[148:149]
	ds_read_b128 v[146:149], v112 offset:1856
	v_fma_f64 v[18:19], v[18:19], v[48:49], -v[20:21]
	v_mul_f64 v[12:13], v[12:13], v[32:33]
	v_add_f64 v[18:19], v[22:23], v[18:19]
	v_fma_f64 v[10:11], v[10:11], v[46:47], -v[12:13]
	v_mul_f64 v[8:9], v[8:9], v[42:43]
	v_add_f64 v[10:11], v[18:19], v[10:11]
	v_fma_f64 v[6:7], v[6:7], v[44:45], -v[8:9]
	v_mul_f64 v[4:5], v[4:5], v[38:39]
	s_waitcnt vmcnt(46) lgkmcnt(1)
	v_mul_f64 v[152:153], v[142:143], v[86:87]
	v_add_f64 v[6:7], v[10:11], v[6:7]
	v_fma_f64 v[2:3], v[2:3], v[40:41], -v[4:5]
	v_mul_f64 v[4:5], v[16:17], v[54:55]
	s_waitcnt vmcnt(44)
	v_fmac_f64_e32 v[152:153], v[144:145], v[88:89]
	v_add_f64 v[2:3], v[6:7], v[2:3]
	v_fma_f64 v[4:5], v[14:15], v[56:57], -v[4:5]
	v_add_f64 v[154:155], v[150:151], v[152:153]
	ds_read_b128 v[150:153], v112 offset:1872
	s_waitcnt lgkmcnt(1)
	v_mul_f64 v[156:157], v[146:147], v[82:83]
	v_add_f64 v[2:3], v[2:3], v[4:5]
	v_mul_f64 v[4:5], v[116:117], v[50:51]
	v_fmac_f64_e32 v[156:157], v[148:149], v[84:85]
	v_fma_f64 v[4:5], v[114:115], v[52:53], -v[4:5]
	v_add_f64 v[158:159], v[154:155], v[156:157]
	ds_read_b128 v[154:157], v112 offset:1888
	v_add_f64 v[2:3], v[2:3], v[4:5]
	v_mul_f64 v[4:5], v[120:121], v[62:63]
	v_fma_f64 v[4:5], v[118:119], v[64:65], -v[4:5]
	v_add_f64 v[2:3], v[2:3], v[4:5]
	v_mul_f64 v[4:5], v[124:125], v[58:59]
	s_waitcnt vmcnt(38) lgkmcnt(1)
	v_mul_f64 v[160:161], v[150:151], v[94:95]
	v_fma_f64 v[4:5], v[122:123], v[60:61], -v[4:5]
	s_waitcnt vmcnt(36)
	v_fmac_f64_e32 v[160:161], v[152:153], v[96:97]
	v_add_f64 v[2:3], v[2:3], v[4:5]
	v_mul_f64 v[4:5], v[128:129], v[70:71]
	v_add_f64 v[162:163], v[158:159], v[160:161]
	ds_read_b128 v[158:161], v112 offset:1904
	s_waitcnt lgkmcnt(1)
	v_mul_f64 v[164:165], v[154:155], v[90:91]
	v_fma_f64 v[4:5], v[126:127], v[72:73], -v[4:5]
	v_fmac_f64_e32 v[164:165], v[156:157], v[92:93]
	v_add_f64 v[2:3], v[2:3], v[4:5]
	v_mul_f64 v[4:5], v[132:133], v[66:67]
	v_add_f64 v[166:167], v[162:163], v[164:165]
	ds_read_b128 v[162:165], v112 offset:1920
	v_fma_f64 v[4:5], v[130:131], v[68:69], -v[4:5]
	v_add_f64 v[2:3], v[2:3], v[4:5]
	v_mul_f64 v[4:5], v[136:137], v[78:79]
	v_fma_f64 v[4:5], v[134:135], v[80:81], -v[4:5]
	s_waitcnt vmcnt(30) lgkmcnt(1)
	v_mul_f64 v[168:169], v[158:159], v[102:103]
	v_add_f64 v[2:3], v[2:3], v[4:5]
	v_mul_f64 v[4:5], v[140:141], v[74:75]
	s_waitcnt vmcnt(28)
	v_fmac_f64_e32 v[168:169], v[160:161], v[104:105]
	v_fma_f64 v[4:5], v[138:139], v[76:77], -v[4:5]
	v_add_f64 v[170:171], v[166:167], v[168:169]
	ds_read_b128 v[166:169], v112 offset:1936
	s_waitcnt lgkmcnt(1)
	v_mul_f64 v[172:173], v[162:163], v[98:99]
	v_add_f64 v[2:3], v[2:3], v[4:5]
	v_mul_f64 v[4:5], v[144:145], v[86:87]
	v_fmac_f64_e32 v[172:173], v[164:165], v[100:101]
	v_fma_f64 v[4:5], v[142:143], v[88:89], -v[4:5]
	v_add_f64 v[174:175], v[170:171], v[172:173]
	ds_read_b128 v[170:173], v112 offset:1952
	v_add_f64 v[2:3], v[2:3], v[4:5]
	v_mul_f64 v[4:5], v[148:149], v[82:83]
	v_fma_f64 v[4:5], v[146:147], v[84:85], -v[4:5]
	v_add_f64 v[2:3], v[2:3], v[4:5]
	v_mul_f64 v[4:5], v[152:153], v[94:95]
	s_waitcnt vmcnt(22) lgkmcnt(1)
	v_mul_f64 v[176:177], v[166:167], v[0:1]
	v_fma_f64 v[4:5], v[150:151], v[96:97], -v[4:5]
	s_waitcnt vmcnt(20)
	v_fmac_f64_e32 v[176:177], v[168:169], v[110:111]
	v_add_f64 v[2:3], v[2:3], v[4:5]
	v_mul_f64 v[4:5], v[156:157], v[90:91]
	v_add_f64 v[178:179], v[174:175], v[176:177]
	ds_read_b128 v[174:177], v112 offset:1968
	s_waitcnt lgkmcnt(1)
	v_mul_f64 v[180:181], v[170:171], v[106:107]
	v_fma_f64 v[4:5], v[154:155], v[92:93], -v[4:5]
	v_fmac_f64_e32 v[180:181], v[172:173], v[108:109]
	v_add_f64 v[2:3], v[2:3], v[4:5]
	v_mul_f64 v[4:5], v[160:161], v[102:103]
	v_add_f64 v[182:183], v[178:179], v[180:181]
	ds_read_b128 v[178:181], v112 offset:1984
	v_fma_f64 v[4:5], v[158:159], v[104:105], -v[4:5]
	v_add_f64 v[2:3], v[2:3], v[4:5]
	v_mul_f64 v[4:5], v[164:165], v[98:99]
	v_fma_f64 v[4:5], v[162:163], v[100:101], -v[4:5]
	v_mul_f64 v[0:1], v[168:169], v[0:1]
	s_waitcnt vmcnt(14) lgkmcnt(1)
	v_mul_f64 v[184:185], v[174:175], v[198:199]
	v_add_f64 v[2:3], v[2:3], v[4:5]
	v_fma_f64 v[0:1], v[166:167], v[110:111], -v[0:1]
	s_waitcnt vmcnt(12)
	v_fmac_f64_e32 v[184:185], v[176:177], v[200:201]
	v_add_f64 v[0:1], v[2:3], v[0:1]
	v_mul_f64 v[2:3], v[172:173], v[106:107]
	v_add_f64 v[186:187], v[182:183], v[184:185]
	ds_read_b128 v[182:185], v112 offset:2000
	s_waitcnt lgkmcnt(1)
	v_mul_f64 v[188:189], v[178:179], v[194:195]
	v_fma_f64 v[2:3], v[170:171], v[108:109], -v[2:3]
	v_fmac_f64_e32 v[188:189], v[180:181], v[196:197]
	v_add_f64 v[0:1], v[0:1], v[2:3]
	v_mul_f64 v[2:3], v[176:177], v[198:199]
	v_add_f64 v[214:215], v[186:187], v[188:189]
	ds_read_b128 v[186:189], v112 offset:2016
	v_fma_f64 v[2:3], v[174:175], v[200:201], -v[2:3]
	v_add_f64 v[0:1], v[0:1], v[2:3]
	v_mul_f64 v[2:3], v[180:181], v[194:195]
	ds_read_b128 v[190:193], v112 offset:2032
	v_fma_f64 v[2:3], v[178:179], v[196:197], -v[2:3]
	v_add_f64 v[0:1], v[0:1], v[2:3]
	s_waitcnt vmcnt(6) lgkmcnt(2)
	v_mul_f64 v[2:3], v[184:185], v[206:207]
	v_mul_f64 v[216:217], v[182:183], v[206:207]
	s_waitcnt vmcnt(4)
	v_fma_f64 v[2:3], v[182:183], v[208:209], -v[2:3]
	v_fmac_f64_e32 v[216:217], v[184:185], v[208:209]
	v_add_f64 v[0:1], v[0:1], v[2:3]
	s_waitcnt lgkmcnt(1)
	v_mul_f64 v[2:3], v[188:189], v[202:203]
	v_add_f64 v[112:113], v[214:215], v[216:217]
	v_mul_f64 v[214:215], v[186:187], v[202:203]
	v_fma_f64 v[2:3], v[186:187], v[204:205], -v[2:3]
	v_fmac_f64_e32 v[214:215], v[188:189], v[204:205]
	v_add_f64 v[0:1], v[0:1], v[2:3]
	s_waitcnt vmcnt(2) lgkmcnt(0)
	v_mul_f64 v[2:3], v[192:193], v[210:211]
	v_add_f64 v[112:113], v[112:113], v[214:215]
	v_mul_f64 v[214:215], v[190:191], v[210:211]
	s_waitcnt vmcnt(0)
	v_fma_f64 v[2:3], v[190:191], v[212:213], -v[2:3]
	v_fmac_f64_e32 v[214:215], v[192:193], v[212:213]
	v_add_f64 v[0:1], v[0:1], v[2:3]
	v_add_f64 v[112:113], v[112:113], v[214:215]
	v_add_f64 v[0:1], v[36:37], -v[0:1]
	v_add_f64 v[2:3], v[34:35], -v[112:113]
	buffer_store_dword v1, off, s[0:3], 0 offset:612
	buffer_store_dword v0, off, s[0:3], 0 offset:608
	;; [unrolled: 1-line block ×4, first 2 shown]
	s_and_saveexec_b64 s[4:5], vcc
	s_cbranch_execz .LBB63_337
; %bb.336:
	v_accvgpr_read_b32 v3, a155
	buffer_load_dword v0, v3, s[0:3], 0 offen
	buffer_load_dword v1, v3, s[0:3], 0 offen offset:4
	buffer_load_dword v2, v3, s[0:3], 0 offen offset:8
	s_nop 0
	buffer_load_dword v3, v3, s[0:3], 0 offen offset:12
	v_mov_b32_e32 v4, 0
	v_accvgpr_read_b32 v5, a192
	buffer_store_dword v4, off, s[0:3], 0 offset:592
	buffer_store_dword v4, off, s[0:3], 0 offset:596
	;; [unrolled: 1-line block ×4, first 2 shown]
	s_waitcnt vmcnt(4)
	ds_write_b128 v5, v[0:3]
.LBB63_337:
	s_or_b64 exec, exec, s[4:5]
	s_waitcnt lgkmcnt(0)
	; wave barrier
	s_waitcnt lgkmcnt(0)
	buffer_load_dword v30, off, s[0:3], 0 offset:608
	buffer_load_dword v31, off, s[0:3], 0 offset:612
	;; [unrolled: 1-line block ×56, first 2 shown]
	v_mov_b32_e32 v134, 0
	ds_read_b128 v[26:29], v134 offset:1616
	ds_read_b128 v[22:25], v134 offset:1632
	ds_read_b128 v[18:21], v134 offset:1648
	ds_read_b128 v[14:17], v134 offset:1664
	ds_read_b128 v[10:13], v134 offset:1680
	ds_read_b128 v[6:9], v134 offset:1696
	ds_read_b128 v[2:5], v134 offset:1712
	v_cmp_lt_u32_e32 vcc, 35, v254
	s_waitcnt vmcnt(52) lgkmcnt(6)
	v_mul_f64 v[0:1], v[26:27], v[34:35]
	v_fmac_f64_e32 v[0:1], v[28:29], v[30:31]
	v_add_f64 v[0:1], v[0:1], 0
	v_mul_f64 v[28:29], v[28:29], v[34:35]
	s_waitcnt vmcnt(48) lgkmcnt(5)
	v_mul_f64 v[86:87], v[22:23], v[36:37]
	v_fmac_f64_e32 v[86:87], v[24:25], v[32:33]
	s_waitcnt vmcnt(46) lgkmcnt(4)
	v_mul_f64 v[88:89], v[18:19], v[38:39]
	v_add_f64 v[0:1], v[0:1], v[86:87]
	s_waitcnt vmcnt(44) lgkmcnt(2)
	v_mul_f64 v[92:93], v[10:11], v[40:41]
	v_fma_f64 v[26:27], v[26:27], v[30:31], -v[28:29]
	s_waitcnt vmcnt(42)
	v_fmac_f64_e32 v[92:93], v[12:13], v[42:43]
	v_mul_f64 v[24:25], v[24:25], v[36:37]
	s_waitcnt vmcnt(40)
	v_mul_f64 v[90:91], v[14:15], v[48:49]
	v_add_f64 v[26:27], v[26:27], 0
	v_fma_f64 v[22:23], v[22:23], v[32:33], -v[24:25]
	v_add_f64 v[22:23], v[26:27], v[22:23]
	s_waitcnt vmcnt(36) lgkmcnt(1)
	v_mul_f64 v[110:111], v[6:7], v[54:55]
	v_mul_f64 v[12:13], v[12:13], v[40:41]
	s_waitcnt vmcnt(34)
	v_fmac_f64_e32 v[88:89], v[20:21], v[60:61]
	v_add_f64 v[0:1], v[0:1], v[88:89]
	s_waitcnt vmcnt(32)
	v_fmac_f64_e32 v[90:91], v[16:17], v[58:59]
	v_add_f64 v[0:1], v[0:1], v[90:91]
	v_add_f64 v[116:117], v[0:1], v[92:93]
	buffer_load_dword v87, off, s[0:3], 0 offset:844
	buffer_load_dword v86, off, s[0:3], 0 offset:840
	;; [unrolled: 1-line block ×56, first 2 shown]
	ds_read_b128 v[122:125], v134 offset:1728
	ds_read_b128 v[126:129], v134 offset:1744
	v_mul_f64 v[20:21], v[20:21], v[38:39]
	s_waitcnt vmcnt(62)
	v_fmac_f64_e32 v[110:111], v[8:9], v[56:57]
	v_fma_f64 v[18:19], v[18:19], v[60:61], -v[20:21]
	v_mul_f64 v[16:17], v[16:17], v[48:49]
	v_add_f64 v[110:111], v[116:117], v[110:111]
	s_waitcnt lgkmcnt(2)
	v_mul_f64 v[116:117], v[2:3], v[50:51]
	v_add_f64 v[18:19], v[22:23], v[18:19]
	v_fma_f64 v[14:15], v[14:15], v[58:59], -v[16:17]
	v_fmac_f64_e32 v[116:117], v[4:5], v[52:53]
	ds_read_b128 v[130:133], v134 offset:1760
	ds_read_b128 v[136:139], v134 offset:1776
	v_add_f64 v[14:15], v[18:19], v[14:15]
	v_fma_f64 v[10:11], v[10:11], v[42:43], -v[12:13]
	v_mul_f64 v[8:9], v[8:9], v[54:55]
	v_add_f64 v[110:111], v[110:111], v[116:117]
	s_waitcnt lgkmcnt(3)
	v_mul_f64 v[116:117], v[122:123], v[66:67]
	v_add_f64 v[10:11], v[14:15], v[10:11]
	v_fma_f64 v[6:7], v[6:7], v[56:57], -v[8:9]
	v_mul_f64 v[4:5], v[4:5], v[50:51]
	v_fmac_f64_e32 v[116:117], v[124:125], v[68:69]
	v_add_f64 v[6:7], v[10:11], v[6:7]
	v_fma_f64 v[2:3], v[2:3], v[52:53], -v[4:5]
	v_mul_f64 v[4:5], v[124:125], v[66:67]
	v_add_f64 v[110:111], v[110:111], v[116:117]
	s_waitcnt lgkmcnt(2)
	v_mul_f64 v[116:117], v[126:127], v[62:63]
	v_add_f64 v[2:3], v[6:7], v[2:3]
	v_fma_f64 v[4:5], v[122:123], v[68:69], -v[4:5]
	v_fmac_f64_e32 v[116:117], v[128:129], v[64:65]
	ds_read_b128 v[140:143], v134 offset:1792
	ds_read_b128 v[144:147], v134 offset:1808
	v_add_f64 v[2:3], v[2:3], v[4:5]
	v_mul_f64 v[4:5], v[128:129], v[62:63]
	v_add_f64 v[110:111], v[110:111], v[116:117]
	s_waitcnt lgkmcnt(3)
	v_mul_f64 v[116:117], v[130:131], v[74:75]
	v_fma_f64 v[4:5], v[126:127], v[64:65], -v[4:5]
	v_fmac_f64_e32 v[116:117], v[132:133], v[76:77]
	v_add_f64 v[2:3], v[2:3], v[4:5]
	v_mul_f64 v[4:5], v[132:133], v[74:75]
	v_add_f64 v[110:111], v[110:111], v[116:117]
	s_waitcnt lgkmcnt(2)
	v_mul_f64 v[116:117], v[136:137], v[70:71]
	v_fma_f64 v[4:5], v[130:131], v[76:77], -v[4:5]
	v_fmac_f64_e32 v[116:117], v[138:139], v[72:73]
	ds_read_b128 v[148:151], v134 offset:1824
	ds_read_b128 v[152:155], v134 offset:1840
	v_add_f64 v[2:3], v[2:3], v[4:5]
	v_mul_f64 v[4:5], v[138:139], v[70:71]
	v_add_f64 v[110:111], v[110:111], v[116:117]
	s_waitcnt vmcnt(58) lgkmcnt(3)
	v_mul_f64 v[116:117], v[140:141], v[82:83]
	v_fma_f64 v[4:5], v[136:137], v[72:73], -v[4:5]
	s_waitcnt vmcnt(56)
	v_fmac_f64_e32 v[116:117], v[142:143], v[84:85]
	v_add_f64 v[2:3], v[2:3], v[4:5]
	v_mul_f64 v[4:5], v[142:143], v[82:83]
	v_add_f64 v[110:111], v[110:111], v[116:117]
	s_waitcnt lgkmcnt(2)
	v_mul_f64 v[116:117], v[144:145], v[78:79]
	v_fma_f64 v[4:5], v[140:141], v[84:85], -v[4:5]
	v_fmac_f64_e32 v[116:117], v[146:147], v[80:81]
	ds_read_b128 v[156:159], v134 offset:1856
	ds_read_b128 v[160:163], v134 offset:1872
	v_add_f64 v[2:3], v[2:3], v[4:5]
	v_mul_f64 v[4:5], v[146:147], v[78:79]
	v_add_f64 v[110:111], v[110:111], v[116:117]
	s_waitcnt vmcnt(50) lgkmcnt(3)
	v_mul_f64 v[116:117], v[148:149], v[90:91]
	v_fma_f64 v[4:5], v[144:145], v[80:81], -v[4:5]
	s_waitcnt vmcnt(48)
	;; [unrolled: 17-line block ×6, first 2 shown]
	v_fmac_f64_e32 v[116:117], v[182:183], v[208:209]
	v_add_f64 v[2:3], v[2:3], v[4:5]
	v_mul_f64 v[4:5], v[182:183], v[206:207]
	v_add_f64 v[110:111], v[110:111], v[116:117]
	s_waitcnt lgkmcnt(2)
	v_mul_f64 v[116:117], v[184:185], v[0:1]
	v_fma_f64 v[4:5], v[180:181], v[208:209], -v[4:5]
	v_mul_f64 v[0:1], v[186:187], v[0:1]
	ds_read_b128 v[196:199], v134 offset:2016
	ds_read_b128 v[200:203], v134 offset:2032
	v_add_f64 v[2:3], v[2:3], v[4:5]
	v_fma_f64 v[0:1], v[184:185], v[204:205], -v[0:1]
	v_fmac_f64_e32 v[116:117], v[186:187], v[204:205]
	v_add_f64 v[0:1], v[2:3], v[0:1]
	s_waitcnt vmcnt(10) lgkmcnt(3)
	v_mul_f64 v[2:3], v[190:191], v[214:215]
	v_add_f64 v[110:111], v[110:111], v[116:117]
	v_mul_f64 v[116:117], v[188:189], v[214:215]
	s_waitcnt vmcnt(8)
	v_fma_f64 v[2:3], v[188:189], v[216:217], -v[2:3]
	v_fmac_f64_e32 v[116:117], v[190:191], v[216:217]
	v_add_f64 v[0:1], v[0:1], v[2:3]
	s_waitcnt lgkmcnt(2)
	v_mul_f64 v[2:3], v[194:195], v[210:211]
	v_add_f64 v[110:111], v[110:111], v[116:117]
	v_mul_f64 v[116:117], v[192:193], v[210:211]
	v_fma_f64 v[2:3], v[192:193], v[212:213], -v[2:3]
	v_fmac_f64_e32 v[116:117], v[194:195], v[212:213]
	v_add_f64 v[0:1], v[0:1], v[2:3]
	s_waitcnt vmcnt(2) lgkmcnt(1)
	v_mul_f64 v[2:3], v[198:199], v[222:223]
	v_add_f64 v[110:111], v[110:111], v[116:117]
	v_mul_f64 v[116:117], v[196:197], v[222:223]
	s_waitcnt vmcnt(0)
	v_fma_f64 v[2:3], v[196:197], v[224:225], -v[2:3]
	v_fmac_f64_e32 v[116:117], v[198:199], v[224:225]
	v_add_f64 v[0:1], v[0:1], v[2:3]
	s_waitcnt lgkmcnt(0)
	v_mul_f64 v[2:3], v[202:203], v[218:219]
	v_add_f64 v[110:111], v[110:111], v[116:117]
	v_mul_f64 v[116:117], v[200:201], v[218:219]
	v_fma_f64 v[2:3], v[200:201], v[220:221], -v[2:3]
	v_fmac_f64_e32 v[116:117], v[202:203], v[220:221]
	v_add_f64 v[0:1], v[0:1], v[2:3]
	v_add_f64 v[110:111], v[110:111], v[116:117]
	v_add_f64 v[0:1], v[46:47], -v[0:1]
	v_add_f64 v[2:3], v[44:45], -v[110:111]
	buffer_store_dword v1, off, s[0:3], 0 offset:596
	buffer_store_dword v0, off, s[0:3], 0 offset:592
	buffer_store_dword v3, off, s[0:3], 0 offset:604
	buffer_store_dword v2, off, s[0:3], 0 offset:600
	s_and_saveexec_b64 s[4:5], vcc
	s_cbranch_execz .LBB63_339
; %bb.338:
	v_accvgpr_read_b32 v3, a156
	buffer_load_dword v0, v3, s[0:3], 0 offen
	buffer_load_dword v1, v3, s[0:3], 0 offen offset:4
	buffer_load_dword v2, v3, s[0:3], 0 offen offset:8
	s_nop 0
	buffer_load_dword v3, v3, s[0:3], 0 offen offset:12
	v_accvgpr_read_b32 v4, a192
	buffer_store_dword v134, off, s[0:3], 0 offset:576
	buffer_store_dword v134, off, s[0:3], 0 offset:580
	;; [unrolled: 1-line block ×4, first 2 shown]
	s_waitcnt vmcnt(4)
	ds_write_b128 v4, v[0:3]
.LBB63_339:
	s_or_b64 exec, exec, s[4:5]
	s_waitcnt lgkmcnt(0)
	; wave barrier
	s_waitcnt lgkmcnt(0)
	buffer_load_dword v34, off, s[0:3], 0 offset:592
	buffer_load_dword v35, off, s[0:3], 0 offset:596
	;; [unrolled: 1-line block ×32, first 2 shown]
	ds_read_b128 v[30:33], v134 offset:1600
	ds_read_b128 v[26:29], v134 offset:1616
	;; [unrolled: 1-line block ×8, first 2 shown]
	buffer_load_dword v67, off, s[0:3], 0 offset:732
	buffer_load_dword v66, off, s[0:3], 0 offset:728
	;; [unrolled: 1-line block ×24, first 2 shown]
	v_cmp_lt_u32_e32 vcc, 34, v254
	s_waitcnt vmcnt(52) lgkmcnt(7)
	v_mul_f64 v[0:1], v[30:31], v[38:39]
	v_fmac_f64_e32 v[0:1], v[32:33], v[34:35]
	v_add_f64 v[0:1], v[0:1], 0
	v_mul_f64 v[32:33], v[32:33], v[38:39]
	s_waitcnt vmcnt(48) lgkmcnt(6)
	v_mul_f64 v[90:91], v[26:27], v[40:41]
	v_fmac_f64_e32 v[90:91], v[28:29], v[36:37]
	s_waitcnt vmcnt(46) lgkmcnt(5)
	v_mul_f64 v[92:93], v[22:23], v[42:43]
	v_add_f64 v[0:1], v[0:1], v[90:91]
	s_waitcnt vmcnt(44) lgkmcnt(4)
	v_mul_f64 v[94:95], v[18:19], v[48:49]
	v_fma_f64 v[30:31], v[30:31], v[34:35], -v[32:33]
	s_waitcnt vmcnt(42) lgkmcnt(1)
	v_mul_f64 v[122:123], v[2:3], v[50:51]
	v_mul_f64 v[28:29], v[28:29], v[40:41]
	s_waitcnt vmcnt(18) lgkmcnt(0)
	v_mul_f64 v[138:139], v[14:15], v[70:71]
	v_mul_f64 v[98:99], v[6:7], v[54:55]
	s_waitcnt vmcnt(16)
	v_fmac_f64_e32 v[138:139], v[16:17], v[72:73]
	v_mul_f64 v[96:97], v[10:11], v[56:57]
	v_add_f64 v[30:31], v[30:31], 0
	v_fmac_f64_e32 v[96:97], v[12:13], v[58:59]
	v_fma_f64 v[26:27], v[26:27], v[36:37], -v[28:29]
	v_fmac_f64_e32 v[92:93], v[24:25], v[64:65]
	v_add_f64 v[0:1], v[0:1], v[92:93]
	v_fmac_f64_e32 v[94:95], v[20:21], v[62:63]
	v_add_f64 v[0:1], v[0:1], v[94:95]
	;; [unrolled: 2-line block ×3, first 2 shown]
	v_add_f64 v[124:125], v[0:1], v[98:99]
	buffer_load_dword v91, off, s[0:3], 0 offset:828
	buffer_load_dword v90, off, s[0:3], 0 offset:824
	;; [unrolled: 1-line block ×56, first 2 shown]
	v_fmac_f64_e32 v[122:123], v[4:5], v[52:53]
	v_add_f64 v[136:137], v[124:125], v[122:123]
	ds_read_b128 v[122:125], v134 offset:1728
	buffer_load_dword v227, off, s[0:3], 0 offset:1036
	buffer_load_dword v226, off, s[0:3], 0 offset:1032
	;; [unrolled: 1-line block ×4, first 2 shown]
	v_add_f64 v[140:141], v[136:137], v[138:139]
	ds_read_b128 v[136:139], v134 offset:1744
	v_mul_f64 v[24:25], v[24:25], v[42:43]
	s_waitcnt lgkmcnt(1)
	v_mul_f64 v[142:143], v[122:123], v[66:67]
	v_fmac_f64_e32 v[142:143], v[124:125], v[68:69]
	v_add_f64 v[144:145], v[140:141], v[142:143]
	ds_read_b128 v[140:143], v134 offset:1760
	s_waitcnt vmcnt(62) lgkmcnt(1)
	v_mul_f64 v[146:147], v[136:137], v[78:79]
	v_fmac_f64_e32 v[146:147], v[138:139], v[80:81]
	v_add_f64 v[148:149], v[144:145], v[146:147]
	ds_read_b128 v[144:147], v134 offset:1776
	s_waitcnt lgkmcnt(1)
	v_mul_f64 v[150:151], v[140:141], v[74:75]
	v_fmac_f64_e32 v[150:151], v[142:143], v[76:77]
	v_add_f64 v[152:153], v[148:149], v[150:151]
	ds_read_b128 v[148:151], v134 offset:1792
	s_waitcnt lgkmcnt(1)
	v_mul_f64 v[154:155], v[144:145], v[86:87]
	s_waitcnt vmcnt(60)
	v_fmac_f64_e32 v[154:155], v[146:147], v[88:89]
	v_add_f64 v[156:157], v[152:153], v[154:155]
	ds_read_b128 v[152:155], v134 offset:1808
	s_waitcnt lgkmcnt(1)
	v_mul_f64 v[158:159], v[148:149], v[82:83]
	v_fmac_f64_e32 v[158:159], v[150:151], v[84:85]
	v_add_f64 v[160:161], v[156:157], v[158:159]
	ds_read_b128 v[156:159], v134 offset:1824
	v_add_f64 v[26:27], v[30:31], v[26:27]
	v_fma_f64 v[22:23], v[22:23], v[64:65], -v[24:25]
	s_waitcnt vmcnt(54) lgkmcnt(1)
	v_mul_f64 v[162:163], v[152:153], v[94:95]
	v_mul_f64 v[20:21], v[20:21], v[48:49]
	s_waitcnt vmcnt(52)
	v_fmac_f64_e32 v[162:163], v[154:155], v[96:97]
	v_add_f64 v[164:165], v[160:161], v[162:163]
	ds_read_b128 v[160:163], v134 offset:1840
	s_waitcnt lgkmcnt(1)
	v_mul_f64 v[166:167], v[156:157], v[90:91]
	v_fmac_f64_e32 v[166:167], v[158:159], v[92:93]
	v_add_f64 v[168:169], v[164:165], v[166:167]
	ds_read_b128 v[164:167], v134 offset:1856
	v_add_f64 v[22:23], v[26:27], v[22:23]
	v_fma_f64 v[18:19], v[18:19], v[62:63], -v[20:21]
	v_mul_f64 v[12:13], v[12:13], v[56:57]
	v_add_f64 v[18:19], v[22:23], v[18:19]
	v_fma_f64 v[10:11], v[10:11], v[58:59], -v[12:13]
	v_mul_f64 v[8:9], v[8:9], v[54:55]
	;; [unrolled: 3-line block ×3, first 2 shown]
	s_waitcnt vmcnt(46) lgkmcnt(1)
	v_mul_f64 v[170:171], v[160:161], v[102:103]
	v_add_f64 v[6:7], v[10:11], v[6:7]
	v_fma_f64 v[2:3], v[2:3], v[52:53], -v[4:5]
	v_mul_f64 v[4:5], v[16:17], v[70:71]
	s_waitcnt vmcnt(44)
	v_fmac_f64_e32 v[170:171], v[162:163], v[104:105]
	v_add_f64 v[2:3], v[6:7], v[2:3]
	v_fma_f64 v[4:5], v[14:15], v[72:73], -v[4:5]
	v_add_f64 v[172:173], v[168:169], v[170:171]
	ds_read_b128 v[168:171], v134 offset:1872
	s_waitcnt lgkmcnt(1)
	v_mul_f64 v[174:175], v[164:165], v[98:99]
	v_add_f64 v[2:3], v[2:3], v[4:5]
	v_mul_f64 v[4:5], v[124:125], v[66:67]
	v_fmac_f64_e32 v[174:175], v[166:167], v[100:101]
	v_fma_f64 v[4:5], v[122:123], v[68:69], -v[4:5]
	v_add_f64 v[176:177], v[172:173], v[174:175]
	ds_read_b128 v[172:175], v134 offset:1888
	v_add_f64 v[2:3], v[2:3], v[4:5]
	v_mul_f64 v[4:5], v[138:139], v[78:79]
	v_fma_f64 v[4:5], v[136:137], v[80:81], -v[4:5]
	v_add_f64 v[2:3], v[2:3], v[4:5]
	v_mul_f64 v[4:5], v[142:143], v[74:75]
	s_waitcnt vmcnt(38) lgkmcnt(1)
	v_mul_f64 v[178:179], v[168:169], v[110:111]
	v_fma_f64 v[4:5], v[140:141], v[76:77], -v[4:5]
	s_waitcnt vmcnt(36)
	v_fmac_f64_e32 v[178:179], v[170:171], v[112:113]
	v_add_f64 v[2:3], v[2:3], v[4:5]
	v_mul_f64 v[4:5], v[146:147], v[86:87]
	v_add_f64 v[180:181], v[176:177], v[178:179]
	ds_read_b128 v[176:179], v134 offset:1904
	s_waitcnt lgkmcnt(1)
	v_mul_f64 v[182:183], v[172:173], v[106:107]
	v_fma_f64 v[4:5], v[144:145], v[88:89], -v[4:5]
	v_fmac_f64_e32 v[182:183], v[174:175], v[108:109]
	v_add_f64 v[2:3], v[2:3], v[4:5]
	v_mul_f64 v[4:5], v[150:151], v[82:83]
	v_add_f64 v[184:185], v[180:181], v[182:183]
	ds_read_b128 v[180:183], v134 offset:1920
	v_fma_f64 v[4:5], v[148:149], v[84:85], -v[4:5]
	v_add_f64 v[2:3], v[2:3], v[4:5]
	v_mul_f64 v[4:5], v[154:155], v[94:95]
	v_fma_f64 v[4:5], v[152:153], v[96:97], -v[4:5]
	s_waitcnt vmcnt(30) lgkmcnt(1)
	v_mul_f64 v[186:187], v[176:177], v[118:119]
	v_add_f64 v[2:3], v[2:3], v[4:5]
	v_mul_f64 v[4:5], v[158:159], v[90:91]
	s_waitcnt vmcnt(28)
	v_fmac_f64_e32 v[186:187], v[178:179], v[120:121]
	v_fma_f64 v[4:5], v[156:157], v[92:93], -v[4:5]
	v_add_f64 v[188:189], v[184:185], v[186:187]
	ds_read_b128 v[184:187], v134 offset:1936
	s_waitcnt lgkmcnt(1)
	v_mul_f64 v[190:191], v[180:181], v[114:115]
	v_add_f64 v[2:3], v[2:3], v[4:5]
	v_mul_f64 v[4:5], v[162:163], v[102:103]
	v_fmac_f64_e32 v[190:191], v[182:183], v[116:117]
	v_fma_f64 v[4:5], v[160:161], v[104:105], -v[4:5]
	v_add_f64 v[192:193], v[188:189], v[190:191]
	ds_read_b128 v[188:191], v134 offset:1952
	v_add_f64 v[2:3], v[2:3], v[4:5]
	v_mul_f64 v[4:5], v[166:167], v[98:99]
	v_fma_f64 v[4:5], v[164:165], v[100:101], -v[4:5]
	v_add_f64 v[2:3], v[2:3], v[4:5]
	v_mul_f64 v[4:5], v[170:171], v[110:111]
	s_waitcnt vmcnt(22) lgkmcnt(1)
	v_mul_f64 v[194:195], v[184:185], v[130:131]
	v_fma_f64 v[4:5], v[168:169], v[112:113], -v[4:5]
	s_waitcnt vmcnt(20)
	v_fmac_f64_e32 v[194:195], v[186:187], v[132:133]
	v_add_f64 v[2:3], v[2:3], v[4:5]
	v_mul_f64 v[4:5], v[174:175], v[106:107]
	v_add_f64 v[196:197], v[192:193], v[194:195]
	ds_read_b128 v[192:195], v134 offset:1968
	s_waitcnt lgkmcnt(1)
	v_mul_f64 v[198:199], v[188:189], v[126:127]
	v_fma_f64 v[4:5], v[172:173], v[108:109], -v[4:5]
	v_fmac_f64_e32 v[198:199], v[190:191], v[128:129]
	v_add_f64 v[2:3], v[2:3], v[4:5]
	v_mul_f64 v[4:5], v[178:179], v[118:119]
	v_add_f64 v[200:201], v[196:197], v[198:199]
	ds_read_b128 v[196:199], v134 offset:1984
	v_fma_f64 v[4:5], v[176:177], v[120:121], -v[4:5]
	v_add_f64 v[2:3], v[2:3], v[4:5]
	v_mul_f64 v[4:5], v[182:183], v[114:115]
	v_fma_f64 v[4:5], v[180:181], v[116:117], -v[4:5]
	s_waitcnt vmcnt(14) lgkmcnt(1)
	v_mul_f64 v[202:203], v[192:193], v[214:215]
	v_add_f64 v[2:3], v[2:3], v[4:5]
	v_mul_f64 v[4:5], v[186:187], v[130:131]
	s_waitcnt vmcnt(12)
	v_fmac_f64_e32 v[202:203], v[194:195], v[216:217]
	v_fma_f64 v[4:5], v[184:185], v[132:133], -v[4:5]
	v_add_f64 v[204:205], v[200:201], v[202:203]
	ds_read_b128 v[200:203], v134 offset:2000
	s_waitcnt lgkmcnt(1)
	v_mul_f64 v[206:207], v[196:197], v[0:1]
	v_add_f64 v[2:3], v[2:3], v[4:5]
	v_mul_f64 v[4:5], v[190:191], v[126:127]
	v_fmac_f64_e32 v[206:207], v[198:199], v[212:213]
	v_fma_f64 v[4:5], v[188:189], v[128:129], -v[4:5]
	v_add_f64 v[230:231], v[204:205], v[206:207]
	ds_read_b128 v[204:207], v134 offset:2016
	v_add_f64 v[2:3], v[2:3], v[4:5]
	v_mul_f64 v[4:5], v[194:195], v[214:215]
	v_fma_f64 v[4:5], v[192:193], v[216:217], -v[4:5]
	v_mul_f64 v[0:1], v[198:199], v[0:1]
	ds_read_b128 v[208:211], v134 offset:2032
	v_add_f64 v[2:3], v[2:3], v[4:5]
	v_fma_f64 v[0:1], v[196:197], v[212:213], -v[0:1]
	v_add_f64 v[0:1], v[2:3], v[0:1]
	s_waitcnt vmcnt(6) lgkmcnt(2)
	v_mul_f64 v[2:3], v[202:203], v[222:223]
	v_mul_f64 v[232:233], v[200:201], v[222:223]
	s_waitcnt vmcnt(4)
	v_fma_f64 v[2:3], v[200:201], v[224:225], -v[2:3]
	v_fmac_f64_e32 v[232:233], v[202:203], v[224:225]
	v_add_f64 v[0:1], v[0:1], v[2:3]
	s_waitcnt lgkmcnt(1)
	v_mul_f64 v[2:3], v[206:207], v[218:219]
	v_add_f64 v[134:135], v[230:231], v[232:233]
	v_mul_f64 v[230:231], v[204:205], v[218:219]
	v_fma_f64 v[2:3], v[204:205], v[220:221], -v[2:3]
	v_fmac_f64_e32 v[230:231], v[206:207], v[220:221]
	v_add_f64 v[0:1], v[0:1], v[2:3]
	s_waitcnt vmcnt(2) lgkmcnt(0)
	v_mul_f64 v[2:3], v[210:211], v[226:227]
	v_add_f64 v[134:135], v[134:135], v[230:231]
	v_mul_f64 v[230:231], v[208:209], v[226:227]
	s_waitcnt vmcnt(0)
	v_fma_f64 v[2:3], v[208:209], v[228:229], -v[2:3]
	v_fmac_f64_e32 v[230:231], v[210:211], v[228:229]
	v_add_f64 v[0:1], v[0:1], v[2:3]
	v_add_f64 v[134:135], v[134:135], v[230:231]
	v_add_f64 v[0:1], v[46:47], -v[0:1]
	v_add_f64 v[2:3], v[44:45], -v[134:135]
	buffer_store_dword v1, off, s[0:3], 0 offset:580
	buffer_store_dword v0, off, s[0:3], 0 offset:576
	;; [unrolled: 1-line block ×4, first 2 shown]
	s_and_saveexec_b64 s[4:5], vcc
	s_cbranch_execz .LBB63_341
; %bb.340:
	v_accvgpr_read_b32 v3, a157
	buffer_load_dword v0, v3, s[0:3], 0 offen
	buffer_load_dword v1, v3, s[0:3], 0 offen offset:4
	buffer_load_dword v2, v3, s[0:3], 0 offen offset:8
	s_nop 0
	buffer_load_dword v3, v3, s[0:3], 0 offen offset:12
	v_mov_b32_e32 v4, 0
	v_accvgpr_read_b32 v5, a192
	buffer_store_dword v4, off, s[0:3], 0 offset:560
	buffer_store_dword v4, off, s[0:3], 0 offset:564
	;; [unrolled: 1-line block ×4, first 2 shown]
	s_waitcnt vmcnt(4)
	ds_write_b128 v5, v[0:3]
.LBB63_341:
	s_or_b64 exec, exec, s[4:5]
	s_waitcnt lgkmcnt(0)
	; wave barrier
	s_waitcnt lgkmcnt(0)
	buffer_load_dword v38, off, s[0:3], 0 offset:576
	buffer_load_dword v39, off, s[0:3], 0 offset:580
	;; [unrolled: 1-line block ×48, first 2 shown]
	v_mov_b32_e32 v150, 0
	ds_read_b128 v[34:37], v150 offset:1584
	ds_read_b128 v[30:33], v150 offset:1600
	;; [unrolled: 1-line block ×9, first 2 shown]
	v_cmp_lt_u32_e32 vcc, 33, v254
	s_waitcnt vmcnt(44) lgkmcnt(8)
	v_mul_f64 v[0:1], v[34:35], v[42:43]
	v_fmac_f64_e32 v[0:1], v[36:37], v[38:39]
	v_add_f64 v[0:1], v[0:1], 0
	v_mul_f64 v[36:37], v[36:37], v[42:43]
	s_waitcnt vmcnt(40) lgkmcnt(7)
	v_mul_f64 v[86:87], v[30:31], v[44:45]
	v_fmac_f64_e32 v[86:87], v[32:33], v[40:41]
	s_waitcnt vmcnt(38) lgkmcnt(6)
	v_mul_f64 v[88:89], v[26:27], v[46:47]
	v_add_f64 v[0:1], v[0:1], v[86:87]
	s_waitcnt vmcnt(36) lgkmcnt(4)
	v_mul_f64 v[92:93], v[18:19], v[48:49]
	v_fma_f64 v[34:35], v[34:35], v[38:39], -v[36:37]
	s_waitcnt vmcnt(34)
	v_fmac_f64_e32 v[92:93], v[20:21], v[50:51]
	v_mul_f64 v[32:33], v[32:33], v[44:45]
	s_waitcnt vmcnt(32)
	v_mul_f64 v[90:91], v[22:23], v[52:53]
	v_add_f64 v[34:35], v[34:35], 0
	s_waitcnt vmcnt(30) lgkmcnt(2)
	v_mul_f64 v[96:97], v[10:11], v[54:55]
	v_fma_f64 v[30:31], v[30:31], v[40:41], -v[32:33]
	s_waitcnt vmcnt(28)
	v_fmac_f64_e32 v[96:97], v[12:13], v[56:57]
	v_add_f64 v[30:31], v[34:35], v[30:31]
	s_waitcnt vmcnt(26)
	v_mul_f64 v[94:95], v[14:15], v[58:59]
	v_mul_f64 v[20:21], v[20:21], v[48:49]
	v_fma_f64 v[18:19], v[18:19], v[50:51], -v[20:21]
	v_mul_f64 v[12:13], v[12:13], v[54:55]
	s_waitcnt vmcnt(22) lgkmcnt(1)
	v_mul_f64 v[110:111], v[6:7], v[68:69]
	v_fma_f64 v[10:11], v[10:11], v[56:57], -v[12:13]
	s_waitcnt vmcnt(20)
	v_fmac_f64_e32 v[88:89], v[28:29], v[76:77]
	v_add_f64 v[0:1], v[0:1], v[88:89]
	s_waitcnt vmcnt(18)
	v_fmac_f64_e32 v[90:91], v[24:25], v[74:75]
	v_add_f64 v[0:1], v[0:1], v[90:91]
	s_waitcnt vmcnt(16)
	v_fmac_f64_e32 v[94:95], v[16:17], v[72:73]
	v_add_f64 v[0:1], v[0:1], v[92:93]
	v_add_f64 v[0:1], v[0:1], v[94:95]
	v_add_f64 v[112:113], v[0:1], v[96:97]
	buffer_load_dword v87, off, s[0:3], 0 offset:780
	buffer_load_dword v86, off, s[0:3], 0 offset:776
	;; [unrolled: 1-line block ×72, first 2 shown]
	s_waitcnt vmcnt(62)
	v_fmac_f64_e32 v[110:111], v[8:9], v[70:71]
	v_add_f64 v[140:141], v[112:113], v[110:111]
	ds_read_b128 v[110:113], v150 offset:1728
	s_waitcnt lgkmcnt(1)
	v_mul_f64 v[142:143], v[2:3], v[64:65]
	v_fmac_f64_e32 v[142:143], v[4:5], v[66:67]
	v_add_f64 v[144:145], v[140:141], v[142:143]
	ds_read_b128 v[140:143], v150 offset:1744
	s_waitcnt lgkmcnt(1)
	v_mul_f64 v[146:147], v[110:111], v[82:83]
	;; [unrolled: 5-line block ×5, first 2 shown]
	v_fmac_f64_e32 v[162:163], v[154:155], v[88:89]
	v_add_f64 v[164:165], v[160:161], v[162:163]
	ds_read_b128 v[160:163], v150 offset:1808
	s_waitcnt vmcnt(58) lgkmcnt(1)
	v_mul_f64 v[166:167], v[156:157], v[98:99]
	s_waitcnt vmcnt(56)
	v_fmac_f64_e32 v[166:167], v[158:159], v[100:101]
	v_add_f64 v[168:169], v[164:165], v[166:167]
	ds_read_b128 v[164:167], v150 offset:1824
	s_waitcnt lgkmcnt(1)
	v_mul_f64 v[170:171], v[160:161], v[94:95]
	v_fmac_f64_e32 v[170:171], v[162:163], v[96:97]
	v_add_f64 v[172:173], v[168:169], v[170:171]
	ds_read_b128 v[168:171], v150 offset:1840
	s_waitcnt vmcnt(50) lgkmcnt(1)
	v_mul_f64 v[174:175], v[164:165], v[106:107]
	v_mul_f64 v[28:29], v[28:29], v[46:47]
	s_waitcnt vmcnt(48)
	v_fmac_f64_e32 v[174:175], v[166:167], v[108:109]
	v_fma_f64 v[26:27], v[26:27], v[76:77], -v[28:29]
	v_mul_f64 v[24:25], v[24:25], v[52:53]
	v_add_f64 v[176:177], v[172:173], v[174:175]
	ds_read_b128 v[172:175], v150 offset:1856
	v_add_f64 v[26:27], v[30:31], v[26:27]
	v_fma_f64 v[22:23], v[22:23], v[74:75], -v[24:25]
	v_add_f64 v[22:23], v[26:27], v[22:23]
	v_mul_f64 v[16:17], v[16:17], v[58:59]
	v_add_f64 v[18:19], v[22:23], v[18:19]
	v_fma_f64 v[14:15], v[14:15], v[72:73], -v[16:17]
	s_waitcnt lgkmcnt(1)
	v_mul_f64 v[178:179], v[168:169], v[102:103]
	v_add_f64 v[14:15], v[18:19], v[14:15]
	v_mul_f64 v[8:9], v[8:9], v[68:69]
	v_fmac_f64_e32 v[178:179], v[170:171], v[104:105]
	v_add_f64 v[10:11], v[14:15], v[10:11]
	v_fma_f64 v[6:7], v[6:7], v[70:71], -v[8:9]
	v_mul_f64 v[4:5], v[4:5], v[64:65]
	v_add_f64 v[180:181], v[176:177], v[178:179]
	ds_read_b128 v[176:179], v150 offset:1872
	s_waitcnt vmcnt(42) lgkmcnt(1)
	v_mul_f64 v[182:183], v[172:173], v[118:119]
	v_add_f64 v[6:7], v[10:11], v[6:7]
	v_fma_f64 v[2:3], v[2:3], v[66:67], -v[4:5]
	v_mul_f64 v[4:5], v[112:113], v[82:83]
	s_waitcnt vmcnt(40)
	v_fmac_f64_e32 v[182:183], v[174:175], v[120:121]
	v_add_f64 v[2:3], v[6:7], v[2:3]
	v_fma_f64 v[4:5], v[110:111], v[84:85], -v[4:5]
	v_add_f64 v[184:185], v[180:181], v[182:183]
	ds_read_b128 v[180:183], v150 offset:1888
	v_add_f64 v[2:3], v[2:3], v[4:5]
	v_mul_f64 v[4:5], v[142:143], v[78:79]
	v_fma_f64 v[4:5], v[140:141], v[80:81], -v[4:5]
	v_add_f64 v[2:3], v[2:3], v[4:5]
	v_mul_f64 v[4:5], v[146:147], v[90:91]
	s_waitcnt lgkmcnt(1)
	v_mul_f64 v[186:187], v[176:177], v[114:115]
	v_fma_f64 v[4:5], v[144:145], v[92:93], -v[4:5]
	v_fmac_f64_e32 v[186:187], v[178:179], v[116:117]
	v_add_f64 v[2:3], v[2:3], v[4:5]
	v_mul_f64 v[4:5], v[154:155], v[86:87]
	v_add_f64 v[188:189], v[184:185], v[186:187]
	ds_read_b128 v[184:187], v150 offset:1904
	s_waitcnt vmcnt(34) lgkmcnt(1)
	v_mul_f64 v[190:191], v[180:181], v[126:127]
	v_fma_f64 v[4:5], v[152:153], v[88:89], -v[4:5]
	s_waitcnt vmcnt(32)
	v_fmac_f64_e32 v[190:191], v[182:183], v[128:129]
	v_add_f64 v[2:3], v[2:3], v[4:5]
	v_mul_f64 v[4:5], v[158:159], v[98:99]
	v_add_f64 v[192:193], v[188:189], v[190:191]
	ds_read_b128 v[188:191], v150 offset:1920
	v_fma_f64 v[4:5], v[156:157], v[100:101], -v[4:5]
	v_add_f64 v[2:3], v[2:3], v[4:5]
	v_mul_f64 v[4:5], v[162:163], v[94:95]
	v_fma_f64 v[4:5], v[160:161], v[96:97], -v[4:5]
	s_waitcnt lgkmcnt(1)
	v_mul_f64 v[194:195], v[184:185], v[122:123]
	v_add_f64 v[2:3], v[2:3], v[4:5]
	v_mul_f64 v[4:5], v[166:167], v[106:107]
	v_fmac_f64_e32 v[194:195], v[186:187], v[124:125]
	v_fma_f64 v[4:5], v[164:165], v[108:109], -v[4:5]
	v_add_f64 v[196:197], v[192:193], v[194:195]
	ds_read_b128 v[192:195], v150 offset:1936
	s_waitcnt vmcnt(26) lgkmcnt(1)
	v_mul_f64 v[198:199], v[188:189], v[134:135]
	v_add_f64 v[2:3], v[2:3], v[4:5]
	v_mul_f64 v[4:5], v[170:171], v[102:103]
	s_waitcnt vmcnt(24)
	v_fmac_f64_e32 v[198:199], v[190:191], v[136:137]
	v_fma_f64 v[4:5], v[168:169], v[104:105], -v[4:5]
	v_add_f64 v[200:201], v[196:197], v[198:199]
	ds_read_b128 v[196:199], v150 offset:1952
	v_add_f64 v[2:3], v[2:3], v[4:5]
	v_mul_f64 v[4:5], v[174:175], v[118:119]
	v_fma_f64 v[4:5], v[172:173], v[120:121], -v[4:5]
	v_add_f64 v[2:3], v[2:3], v[4:5]
	v_mul_f64 v[4:5], v[178:179], v[114:115]
	s_waitcnt lgkmcnt(1)
	v_mul_f64 v[202:203], v[192:193], v[130:131]
	v_fma_f64 v[4:5], v[176:177], v[116:117], -v[4:5]
	v_fmac_f64_e32 v[202:203], v[194:195], v[132:133]
	v_add_f64 v[2:3], v[2:3], v[4:5]
	v_mul_f64 v[4:5], v[182:183], v[126:127]
	v_add_f64 v[204:205], v[200:201], v[202:203]
	ds_read_b128 v[200:203], v150 offset:1968
	s_waitcnt vmcnt(18) lgkmcnt(1)
	v_mul_f64 v[206:207], v[196:197], v[148:149]
	v_fma_f64 v[4:5], v[180:181], v[128:129], -v[4:5]
	s_waitcnt vmcnt(16)
	v_fmac_f64_e32 v[206:207], v[198:199], v[220:221]
	v_add_f64 v[2:3], v[2:3], v[4:5]
	v_mul_f64 v[4:5], v[186:187], v[122:123]
	v_add_f64 v[208:209], v[204:205], v[206:207]
	ds_read_b128 v[204:207], v150 offset:1984
	v_fma_f64 v[4:5], v[184:185], v[124:125], -v[4:5]
	v_add_f64 v[2:3], v[2:3], v[4:5]
	v_mul_f64 v[4:5], v[190:191], v[134:135]
	v_fma_f64 v[4:5], v[188:189], v[136:137], -v[4:5]
	s_waitcnt lgkmcnt(1)
	v_mul_f64 v[210:211], v[200:201], v[0:1]
	v_add_f64 v[2:3], v[2:3], v[4:5]
	v_mul_f64 v[4:5], v[194:195], v[130:131]
	v_fmac_f64_e32 v[210:211], v[202:203], v[138:139]
	v_fma_f64 v[4:5], v[192:193], v[132:133], -v[4:5]
	v_add_f64 v[212:213], v[208:209], v[210:211]
	ds_read_b128 v[208:211], v150 offset:2000
	s_waitcnt vmcnt(10) lgkmcnt(1)
	v_mul_f64 v[214:215], v[204:205], v[226:227]
	v_add_f64 v[2:3], v[2:3], v[4:5]
	v_mul_f64 v[4:5], v[198:199], v[148:149]
	s_waitcnt vmcnt(8)
	v_fmac_f64_e32 v[214:215], v[206:207], v[228:229]
	v_fma_f64 v[4:5], v[196:197], v[220:221], -v[4:5]
	v_mul_f64 v[0:1], v[202:203], v[0:1]
	v_add_f64 v[238:239], v[212:213], v[214:215]
	ds_read_b128 v[212:215], v150 offset:2016
	ds_read_b128 v[216:219], v150 offset:2032
	v_add_f64 v[2:3], v[2:3], v[4:5]
	v_fma_f64 v[0:1], v[200:201], v[138:139], -v[0:1]
	v_add_f64 v[0:1], v[2:3], v[0:1]
	v_mul_f64 v[2:3], v[206:207], v[226:227]
	v_fma_f64 v[2:3], v[204:205], v[228:229], -v[2:3]
	v_add_f64 v[0:1], v[0:1], v[2:3]
	s_waitcnt lgkmcnt(2)
	v_mul_f64 v[2:3], v[210:211], v[222:223]
	v_mul_f64 v[240:241], v[208:209], v[222:223]
	v_fma_f64 v[2:3], v[208:209], v[224:225], -v[2:3]
	v_fmac_f64_e32 v[240:241], v[210:211], v[224:225]
	v_add_f64 v[0:1], v[0:1], v[2:3]
	s_waitcnt vmcnt(2) lgkmcnt(1)
	v_mul_f64 v[2:3], v[214:215], v[234:235]
	v_add_f64 v[238:239], v[238:239], v[240:241]
	v_mul_f64 v[240:241], v[212:213], v[234:235]
	s_waitcnt vmcnt(0)
	v_fma_f64 v[2:3], v[212:213], v[236:237], -v[2:3]
	v_fmac_f64_e32 v[240:241], v[214:215], v[236:237]
	v_add_f64 v[0:1], v[0:1], v[2:3]
	s_waitcnt lgkmcnt(0)
	v_mul_f64 v[2:3], v[218:219], v[230:231]
	v_add_f64 v[238:239], v[238:239], v[240:241]
	v_mul_f64 v[240:241], v[216:217], v[230:231]
	v_fma_f64 v[2:3], v[216:217], v[232:233], -v[2:3]
	v_fmac_f64_e32 v[240:241], v[218:219], v[232:233]
	v_add_f64 v[0:1], v[0:1], v[2:3]
	v_add_f64 v[238:239], v[238:239], v[240:241]
	v_add_f64 v[0:1], v[62:63], -v[0:1]
	v_add_f64 v[2:3], v[60:61], -v[238:239]
	buffer_store_dword v1, off, s[0:3], 0 offset:564
	buffer_store_dword v0, off, s[0:3], 0 offset:560
	;; [unrolled: 1-line block ×4, first 2 shown]
	s_and_saveexec_b64 s[4:5], vcc
	s_cbranch_execz .LBB63_343
; %bb.342:
	v_accvgpr_read_b32 v3, a158
	buffer_load_dword v0, v3, s[0:3], 0 offen
	buffer_load_dword v1, v3, s[0:3], 0 offen offset:4
	buffer_load_dword v2, v3, s[0:3], 0 offen offset:8
	s_nop 0
	buffer_load_dword v3, v3, s[0:3], 0 offen offset:12
	v_accvgpr_read_b32 v4, a192
	buffer_store_dword v150, off, s[0:3], 0 offset:544
	buffer_store_dword v150, off, s[0:3], 0 offset:548
	;; [unrolled: 1-line block ×4, first 2 shown]
	s_waitcnt vmcnt(4)
	ds_write_b128 v4, v[0:3]
.LBB63_343:
	s_or_b64 exec, exec, s[4:5]
	s_waitcnt lgkmcnt(0)
	; wave barrier
	s_waitcnt lgkmcnt(0)
	buffer_load_dword v48, off, s[0:3], 0 offset:560
	buffer_load_dword v49, off, s[0:3], 0 offset:564
	;; [unrolled: 1-line block ×40, first 2 shown]
	ds_read_b128 v[38:41], v150 offset:1568
	ds_read_b128 v[34:37], v150 offset:1584
	;; [unrolled: 1-line block ×10, first 2 shown]
	buffer_load_dword v83, off, s[0:3], 0 offset:732
	buffer_load_dword v82, off, s[0:3], 0 offset:728
	;; [unrolled: 1-line block ×8, first 2 shown]
	v_cmp_lt_u32_e32 vcc, 32, v254
	s_waitcnt vmcnt(44) lgkmcnt(9)
	v_mul_f64 v[0:1], v[38:39], v[50:51]
	v_fmac_f64_e32 v[0:1], v[40:41], v[48:49]
	v_add_f64 v[0:1], v[0:1], 0
	v_mul_f64 v[40:41], v[40:41], v[50:51]
	s_waitcnt vmcnt(40) lgkmcnt(8)
	v_mul_f64 v[90:91], v[34:35], v[44:45]
	v_fmac_f64_e32 v[90:91], v[36:37], v[42:43]
	s_waitcnt vmcnt(38) lgkmcnt(7)
	v_mul_f64 v[92:93], v[30:31], v[46:47]
	v_add_f64 v[0:1], v[0:1], v[90:91]
	s_waitcnt vmcnt(36) lgkmcnt(5)
	v_mul_f64 v[96:97], v[22:23], v[52:53]
	v_mul_f64 v[36:37], v[36:37], v[44:45]
	s_waitcnt vmcnt(34)
	v_fmac_f64_e32 v[96:97], v[24:25], v[54:55]
	v_fma_f64 v[34:35], v[34:35], v[42:43], -v[36:37]
	s_waitcnt vmcnt(32)
	v_mul_f64 v[94:95], v[26:27], v[56:57]
	v_mul_f64 v[24:25], v[24:25], v[52:53]
	s_waitcnt vmcnt(30) lgkmcnt(4)
	v_mul_f64 v[98:99], v[18:19], v[62:63]
	v_fma_f64 v[22:23], v[22:23], v[54:55], -v[24:25]
	s_waitcnt vmcnt(28) lgkmcnt(1)
	v_mul_f64 v[122:123], v[2:3], v[64:65]
	s_waitcnt vmcnt(25)
	v_mul_f64 v[102:103], v[6:7], v[68:69]
	s_waitcnt vmcnt(23)
	;; [unrolled: 2-line block ×3, first 2 shown]
	v_fmac_f64_e32 v[100:101], v[12:13], v[72:73]
	v_mul_f64 v[12:13], v[12:13], v[70:71]
	s_waitcnt vmcnt(19)
	v_fmac_f64_e32 v[92:93], v[32:33], v[80:81]
	v_add_f64 v[0:1], v[0:1], v[92:93]
	s_waitcnt vmcnt(17)
	v_fmac_f64_e32 v[94:95], v[28:29], v[78:79]
	v_add_f64 v[0:1], v[0:1], v[94:95]
	s_waitcnt vmcnt(15)
	v_fmac_f64_e32 v[98:99], v[20:21], v[76:77]
	v_add_f64 v[0:1], v[0:1], v[96:97]
	v_add_f64 v[0:1], v[0:1], v[98:99]
	s_waitcnt vmcnt(13)
	v_fmac_f64_e32 v[102:103], v[8:9], v[74:75]
	v_add_f64 v[0:1], v[0:1], v[100:101]
	v_add_f64 v[124:125], v[0:1], v[102:103]
	buffer_load_dword v91, off, s[0:3], 0 offset:764
	buffer_load_dword v90, off, s[0:3], 0 offset:760
	;; [unrolled: 1-line block ×72, first 2 shown]
	s_waitcnt vmcnt(62)
	v_fmac_f64_e32 v[122:123], v[4:5], v[66:67]
	v_add_f64 v[152:153], v[124:125], v[122:123]
	ds_read_b128 v[122:125], v150 offset:1728
	buffer_load_dword v235, off, s[0:3], 0 offset:1036
	buffer_load_dword v234, off, s[0:3], 0 offset:1032
	;; [unrolled: 1-line block ×4, first 2 shown]
	s_waitcnt lgkmcnt(1)
	v_mul_f64 v[154:155], v[14:15], v[86:87]
	v_fmac_f64_e32 v[154:155], v[16:17], v[88:89]
	v_add_f64 v[156:157], v[152:153], v[154:155]
	ds_read_b128 v[152:155], v150 offset:1744
	s_waitcnt lgkmcnt(1)
	v_mul_f64 v[158:159], v[122:123], v[82:83]
	v_fmac_f64_e32 v[158:159], v[124:125], v[84:85]
	v_add_f64 v[160:161], v[156:157], v[158:159]
	ds_read_b128 v[156:159], v150 offset:1760
	v_mul_f64 v[32:33], v[32:33], v[46:47]
	s_waitcnt lgkmcnt(1)
	v_mul_f64 v[162:163], v[152:153], v[94:95]
	v_fma_f64 v[30:31], v[30:31], v[80:81], -v[32:33]
	v_fmac_f64_e32 v[162:163], v[154:155], v[96:97]
	v_add_f64 v[164:165], v[160:161], v[162:163]
	ds_read_b128 v[160:163], v150 offset:1776
	s_waitcnt lgkmcnt(1)
	v_mul_f64 v[166:167], v[156:157], v[90:91]
	v_fmac_f64_e32 v[166:167], v[158:159], v[92:93]
	v_add_f64 v[168:169], v[164:165], v[166:167]
	ds_read_b128 v[164:167], v150 offset:1792
	s_waitcnt vmcnt(62) lgkmcnt(1)
	v_mul_f64 v[170:171], v[160:161], v[102:103]
	s_waitcnt vmcnt(60)
	v_fmac_f64_e32 v[170:171], v[162:163], v[104:105]
	v_add_f64 v[172:173], v[168:169], v[170:171]
	ds_read_b128 v[168:171], v150 offset:1808
	s_waitcnt lgkmcnt(1)
	v_mul_f64 v[174:175], v[164:165], v[98:99]
	v_fmac_f64_e32 v[174:175], v[166:167], v[100:101]
	v_add_f64 v[176:177], v[172:173], v[174:175]
	ds_read_b128 v[172:175], v150 offset:1824
	s_waitcnt vmcnt(54) lgkmcnt(1)
	v_mul_f64 v[178:179], v[168:169], v[110:111]
	s_waitcnt vmcnt(52)
	;; [unrolled: 11-line block ×7, first 2 shown]
	v_fmac_f64_e32 v[218:219], v[210:211], v[224:225]
	v_add_f64 v[238:239], v[216:217], v[218:219]
	ds_read_b128 v[216:219], v150 offset:2000
	s_waitcnt lgkmcnt(1)
	v_mul_f64 v[240:241], v[212:213], v[0:1]
	v_fmac_f64_e32 v[240:241], v[214:215], v[220:221]
	v_add_f64 v[238:239], v[238:239], v[240:241]
	v_fma_f64 v[240:241], v[38:39], v[48:49], -v[40:41]
	ds_read_b128 v[38:41], v150 offset:2016
	ds_read_b128 v[48:51], v150 offset:2032
	s_waitcnt vmcnt(6) lgkmcnt(2)
	v_mul_f64 v[242:243], v[216:217], v[230:231]
	s_waitcnt vmcnt(4)
	v_fmac_f64_e32 v[242:243], v[218:219], v[232:233]
	v_add_f64 v[150:151], v[238:239], v[242:243]
	s_waitcnt lgkmcnt(1)
	v_mul_f64 v[238:239], v[38:39], v[226:227]
	v_fmac_f64_e32 v[238:239], v[40:41], v[228:229]
	v_add_f64 v[150:151], v[150:151], v[238:239]
	s_waitcnt vmcnt(2) lgkmcnt(0)
	v_mul_f64 v[238:239], v[48:49], v[234:235]
	s_waitcnt vmcnt(0)
	v_fmac_f64_e32 v[238:239], v[50:51], v[236:237]
	v_add_f64 v[150:151], v[150:151], v[238:239]
	v_add_f64 v[238:239], v[240:241], 0
	;; [unrolled: 1-line block ×3, first 2 shown]
	v_mul_f64 v[28:29], v[28:29], v[56:57]
	v_add_f64 v[30:31], v[34:35], v[30:31]
	v_fma_f64 v[26:27], v[26:27], v[78:79], -v[28:29]
	v_add_f64 v[26:27], v[30:31], v[26:27]
	v_mul_f64 v[20:21], v[20:21], v[62:63]
	v_add_f64 v[22:23], v[26:27], v[22:23]
	v_fma_f64 v[18:19], v[18:19], v[76:77], -v[20:21]
	v_add_f64 v[18:19], v[22:23], v[18:19]
	v_fma_f64 v[10:11], v[10:11], v[72:73], -v[12:13]
	v_mul_f64 v[8:9], v[8:9], v[68:69]
	v_add_f64 v[10:11], v[18:19], v[10:11]
	v_fma_f64 v[6:7], v[6:7], v[74:75], -v[8:9]
	v_mul_f64 v[4:5], v[4:5], v[64:65]
	v_add_f64 v[6:7], v[10:11], v[6:7]
	v_fma_f64 v[2:3], v[2:3], v[66:67], -v[4:5]
	v_mul_f64 v[4:5], v[16:17], v[86:87]
	v_add_f64 v[2:3], v[6:7], v[2:3]
	v_fma_f64 v[4:5], v[14:15], v[88:89], -v[4:5]
	v_add_f64 v[2:3], v[2:3], v[4:5]
	v_mul_f64 v[4:5], v[124:125], v[82:83]
	v_fma_f64 v[4:5], v[122:123], v[84:85], -v[4:5]
	v_add_f64 v[2:3], v[2:3], v[4:5]
	v_mul_f64 v[4:5], v[154:155], v[94:95]
	;; [unrolled: 3-line block ×16, first 2 shown]
	v_fma_f64 v[4:5], v[208:209], v[224:225], -v[4:5]
	v_mul_f64 v[0:1], v[214:215], v[0:1]
	v_add_f64 v[2:3], v[2:3], v[4:5]
	v_fma_f64 v[0:1], v[212:213], v[220:221], -v[0:1]
	v_add_f64 v[0:1], v[2:3], v[0:1]
	v_mul_f64 v[2:3], v[218:219], v[230:231]
	v_fma_f64 v[2:3], v[216:217], v[232:233], -v[2:3]
	v_add_f64 v[0:1], v[0:1], v[2:3]
	v_mul_f64 v[2:3], v[40:41], v[226:227]
	;; [unrolled: 3-line block ×3, first 2 shown]
	v_fma_f64 v[2:3], v[48:49], v[236:237], -v[2:3]
	v_add_f64 v[0:1], v[0:1], v[2:3]
	v_add_f64 v[0:1], v[60:61], -v[0:1]
	v_add_f64 v[2:3], v[58:59], -v[150:151]
	buffer_store_dword v1, off, s[0:3], 0 offset:548
	buffer_store_dword v0, off, s[0:3], 0 offset:544
	;; [unrolled: 1-line block ×4, first 2 shown]
	s_and_saveexec_b64 s[4:5], vcc
	s_cbranch_execz .LBB63_345
; %bb.344:
	v_accvgpr_read_b32 v3, a159
	buffer_load_dword v0, v3, s[0:3], 0 offen
	buffer_load_dword v1, v3, s[0:3], 0 offen offset:4
	buffer_load_dword v2, v3, s[0:3], 0 offen offset:8
	s_nop 0
	buffer_load_dword v3, v3, s[0:3], 0 offen offset:12
	v_mov_b32_e32 v4, 0
	v_accvgpr_read_b32 v5, a192
	buffer_store_dword v4, off, s[0:3], 0 offset:528
	buffer_store_dword v4, off, s[0:3], 0 offset:532
	;; [unrolled: 1-line block ×4, first 2 shown]
	s_waitcnt vmcnt(4)
	ds_write_b128 v5, v[0:3]
.LBB63_345:
	s_or_b64 exec, exec, s[4:5]
	s_waitcnt lgkmcnt(0)
	; wave barrier
	s_waitcnt lgkmcnt(0)
	buffer_load_dword v106, off, s[0:3], 0 offset:544
	buffer_load_dword v107, off, s[0:3], 0 offset:548
	;; [unrolled: 1-line block ×49, first 2 shown]
	v_mov_b32_e32 v0, 0
	ds_read_b128 v[110:113], v0 offset:1552
	ds_read_b128 v[238:241], v0 offset:1568
	;; [unrolled: 1-line block ×10, first 2 shown]
	buffer_load_dword v158, off, s[0:3], 0 offset:736
	buffer_load_dword v173, off, s[0:3], 0 offset:732
	;; [unrolled: 1-line block ×69, first 2 shown]
	v_cmp_lt_u32_e32 vcc, 31, v254
	s_waitcnt vmcnt(62) lgkmcnt(9)
	v_mul_f64 v[34:35], v[110:111], v[108:109]
	v_fmac_f64_e32 v[34:35], v[112:113], v[106:107]
	v_add_f64 v[34:35], v[34:35], 0
	v_mul_f64 v[108:109], v[112:113], v[108:109]
	s_waitcnt lgkmcnt(8)
	v_mul_f64 v[36:37], v[238:239], v[116:117]
	v_fmac_f64_e32 v[36:37], v[240:241], v[114:115]
	s_waitcnt lgkmcnt(7)
	v_mul_f64 v[38:39], v[30:31], v[118:119]
	v_add_f64 v[34:35], v[34:35], v[36:37]
	s_waitcnt lgkmcnt(5)
	v_mul_f64 v[42:43], v[22:23], v[120:121]
	v_fma_f64 v[248:249], v[110:111], v[106:107], -v[108:109]
	v_fmac_f64_e32 v[42:43], v[24:25], v[122:123]
	v_mul_f64 v[116:117], v[240:241], v[116:117]
	v_mul_f64 v[40:41], v[26:27], v[124:125]
	v_fma_f64 v[250:251], v[238:239], v[114:115], -v[116:117]
	s_waitcnt lgkmcnt(3)
	v_mul_f64 v[46:47], v[14:15], v[126:127]
	v_mul_f64 v[24:25], v[24:25], v[120:121]
	v_fmac_f64_e32 v[46:47], v[16:17], v[128:129]
	v_fma_f64 v[22:23], v[22:23], v[122:123], -v[24:25]
	v_mul_f64 v[44:45], v[18:19], v[130:131]
	v_mul_f64 v[16:17], v[16:17], v[126:127]
	s_waitcnt lgkmcnt(1)
	v_mul_f64 v[50:51], v[6:7], v[132:133]
	v_fma_f64 v[14:15], v[14:15], v[128:129], -v[16:17]
	v_fmac_f64_e32 v[50:51], v[8:9], v[134:135]
	v_mul_f64 v[8:9], v[8:9], v[132:133]
	v_mul_f64 v[48:49], v[10:11], v[140:141]
	v_fma_f64 v[6:7], v[6:7], v[134:135], -v[8:9]
	s_waitcnt lgkmcnt(0)
	v_mul_f64 v[52:53], v[2:3], v[136:137]
	v_fmac_f64_e32 v[38:39], v[32:33], v[152:153]
	v_add_f64 v[34:35], v[34:35], v[38:39]
	v_fmac_f64_e32 v[40:41], v[28:29], v[150:151]
	v_add_f64 v[34:35], v[34:35], v[40:41]
	;; [unrolled: 2-line block ×3, first 2 shown]
	v_add_f64 v[34:35], v[34:35], v[44:45]
	v_fmac_f64_e32 v[48:49], v[12:13], v[146:147]
	v_add_f64 v[34:35], v[34:35], v[46:47]
	v_add_f64 v[34:35], v[34:35], v[48:49]
	v_fmac_f64_e32 v[52:53], v[4:5], v[144:145]
	v_add_f64 v[34:35], v[34:35], v[50:51]
	v_add_f64 v[42:43], v[34:35], v[52:53]
	ds_read_b128 v[38:41], v0 offset:1712
	ds_read_b128 v[34:37], v0 offset:1728
	buffer_load_dword v223, off, s[0:3], 0 offset:1036
	buffer_load_dword v222, off, s[0:3], 0 offset:1032
	;; [unrolled: 1-line block ×8, first 2 shown]
	ds_read_b128 v[110:113], v0 offset:2000
	ds_read_b128 v[106:109], v0 offset:2016
	s_waitcnt lgkmcnt(3)
	v_mul_f64 v[44:45], v[38:39], v[142:143]
	v_fmac_f64_e32 v[44:45], v[40:41], v[154:155]
	v_add_f64 v[46:47], v[42:43], v[44:45]
	ds_read_b128 v[42:45], v0 offset:1744
	s_waitcnt lgkmcnt(3)
	v_mul_f64 v[48:49], v[34:35], v[172:173]
	v_fmac_f64_e32 v[48:49], v[36:37], v[176:177]
	v_add_f64 v[50:51], v[46:47], v[48:49]
	;; [unrolled: 5-line block ×3, first 2 shown]
	ds_read_b128 v[50:53], v0 offset:1776
	s_waitcnt vmcnt(62) lgkmcnt(1)
	v_mul_f64 v[56:57], v[46:47], v[180:181]
	v_fmac_f64_e32 v[56:57], v[48:49], v[184:185]
	v_add_f64 v[58:59], v[54:55], v[56:57]
	ds_read_b128 v[54:57], v0 offset:1792
	s_waitcnt lgkmcnt(1)
	v_mul_f64 v[60:61], v[50:51], v[160:161]
	v_fmac_f64_e32 v[60:61], v[52:53], v[162:163]
	v_add_f64 v[62:63], v[58:59], v[60:61]
	ds_read_b128 v[58:61], v0 offset:1808
	s_waitcnt vmcnt(58) lgkmcnt(1)
	v_mul_f64 v[64:65], v[54:55], v[188:189]
	s_waitcnt vmcnt(56)
	v_fmac_f64_e32 v[64:65], v[56:57], v[194:195]
	v_add_f64 v[66:67], v[62:63], v[64:65]
	ds_read_b128 v[62:65], v0 offset:1824
	s_waitcnt lgkmcnt(1)
	v_mul_f64 v[68:69], v[58:59], v[164:165]
	v_fmac_f64_e32 v[68:69], v[60:61], v[166:167]
	v_add_f64 v[70:71], v[66:67], v[68:69]
	ds_read_b128 v[66:69], v0 offset:1840
	s_waitcnt vmcnt(50) lgkmcnt(1)
	v_mul_f64 v[72:73], v[62:63], v[198:199]
	s_waitcnt vmcnt(48)
	;; [unrolled: 11-line block ×5, first 2 shown]
	v_fmac_f64_e32 v[96:97], v[88:89], v[220:221]
	v_add_f64 v[98:99], v[94:95], v[96:97]
	ds_read_b128 v[94:97], v0 offset:1952
	s_waitcnt lgkmcnt(1)
	v_mul_f64 v[100:101], v[90:91], v[192:193]
	v_fmac_f64_e32 v[100:101], v[92:93], v[196:197]
	v_add_f64 v[190:191], v[98:99], v[100:101]
	ds_read_b128 v[98:101], v0 offset:1968
	ds_read_b128 v[102:105], v0 offset:1984
	s_waitcnt vmcnt(18) lgkmcnt(2)
	v_mul_f64 v[242:243], v[94:95], v[224:225]
	s_waitcnt vmcnt(16)
	v_fmac_f64_e32 v[242:243], v[96:97], v[228:229]
	v_add_f64 v[190:191], v[190:191], v[242:243]
	s_waitcnt lgkmcnt(1)
	v_mul_f64 v[242:243], v[98:99], v[200:201]
	v_fmac_f64_e32 v[242:243], v[100:101], v[204:205]
	v_add_f64 v[190:191], v[190:191], v[242:243]
	s_waitcnt vmcnt(10) lgkmcnt(0)
	v_mul_f64 v[242:243], v[102:103], v[230:231]
	ds_read_b128 v[114:117], v0 offset:2032
	s_waitcnt vmcnt(8)
	v_fmac_f64_e32 v[242:243], v[104:105], v[232:233]
	v_mul_f64 v[238:239], v[110:111], v[208:209]
	v_add_f64 v[190:191], v[190:191], v[242:243]
	v_fmac_f64_e32 v[238:239], v[112:113], v[212:213]
	v_add_f64 v[190:191], v[190:191], v[238:239]
	v_mul_f64 v[32:33], v[32:33], v[118:119]
	s_waitcnt vmcnt(2)
	v_mul_f64 v[238:239], v[106:107], v[234:235]
	v_fma_f64 v[30:31], v[30:31], v[152:153], -v[32:33]
	s_waitcnt vmcnt(0)
	v_fmac_f64_e32 v[238:239], v[108:109], v[236:237]
	v_add_f64 v[190:191], v[190:191], v[238:239]
	s_waitcnt lgkmcnt(0)
	v_mul_f64 v[238:239], v[114:115], v[222:223]
	v_fmac_f64_e32 v[238:239], v[116:117], v[226:227]
	v_add_f64 v[246:247], v[190:191], v[238:239]
	buffer_load_dword v238, off, s[0:3], 0 offset:536
	buffer_load_dword v239, off, s[0:3], 0 offset:540
	v_add_f64 v[190:191], v[248:249], 0
	v_add_f64 v[190:191], v[190:191], v[250:251]
	v_mul_f64 v[28:29], v[28:29], v[124:125]
	v_add_f64 v[30:31], v[190:191], v[30:31]
	v_fma_f64 v[26:27], v[26:27], v[150:151], -v[28:29]
	v_add_f64 v[26:27], v[30:31], v[26:27]
	v_mul_f64 v[20:21], v[20:21], v[130:131]
	v_add_f64 v[22:23], v[26:27], v[22:23]
	v_fma_f64 v[18:19], v[18:19], v[148:149], -v[20:21]
	;; [unrolled: 4-line block ×4, first 2 shown]
	v_mul_f64 v[4:5], v[40:41], v[142:143]
	v_add_f64 v[2:3], v[6:7], v[2:3]
	v_fma_f64 v[4:5], v[38:39], v[154:155], -v[4:5]
	v_add_f64 v[2:3], v[2:3], v[4:5]
	v_mul_f64 v[4:5], v[36:37], v[172:173]
	v_fma_f64 v[4:5], v[34:35], v[176:177], -v[4:5]
	v_add_f64 v[2:3], v[2:3], v[4:5]
	v_mul_f64 v[4:5], v[44:45], v[156:157]
	;; [unrolled: 3-line block ×20, first 2 shown]
	v_fma_f64 v[4:5], v[114:115], v[226:227], -v[4:5]
	v_add_f64 v[2:3], v[2:3], v[4:5]
	v_add_f64 v[2:3], v[138:139], -v[2:3]
	s_waitcnt vmcnt(0)
	v_add_f64 v[4:5], v[238:239], -v[246:247]
	buffer_store_dword v3, off, s[0:3], 0 offset:532
	buffer_store_dword v2, off, s[0:3], 0 offset:528
	;; [unrolled: 1-line block ×4, first 2 shown]
	s_and_saveexec_b64 s[4:5], vcc
	s_cbranch_execz .LBB63_347
; %bb.346:
	v_accvgpr_read_b32 v1, a160
	buffer_load_dword v2, v1, s[0:3], 0 offen
	buffer_load_dword v3, v1, s[0:3], 0 offen offset:4
	buffer_load_dword v4, v1, s[0:3], 0 offen offset:8
	;; [unrolled: 1-line block ×3, first 2 shown]
	v_accvgpr_read_b32 v1, a192
	buffer_store_dword v0, off, s[0:3], 0 offset:512
	buffer_store_dword v0, off, s[0:3], 0 offset:516
	buffer_store_dword v0, off, s[0:3], 0 offset:520
	buffer_store_dword v0, off, s[0:3], 0 offset:524
	s_waitcnt vmcnt(4)
	ds_write_b128 v1, v[2:5]
.LBB63_347:
	s_or_b64 exec, exec, s[4:5]
	s_waitcnt lgkmcnt(0)
	; wave barrier
	s_waitcnt lgkmcnt(0)
	buffer_load_dword v112, off, s[0:3], 0 offset:528
	buffer_load_dword v113, off, s[0:3], 0 offset:532
	;; [unrolled: 1-line block ×36, first 2 shown]
	ds_read_b128 v[102:105], v0 offset:1536
	ds_read_b128 v[106:109], v0 offset:1552
	;; [unrolled: 1-line block ×9, first 2 shown]
	buffer_load_dword v143, off, s[0:3], 0 offset:700
	buffer_load_dword v142, off, s[0:3], 0 offset:696
	;; [unrolled: 1-line block ×78, first 2 shown]
	v_cmp_lt_u32_e32 vcc, 30, v254
	s_waitcnt vmcnt(62) lgkmcnt(8)
	v_mul_f64 v[26:27], v[102:103], v[246:247]
	v_fmac_f64_e32 v[26:27], v[104:105], v[112:113]
	v_add_f64 v[26:27], v[26:27], 0
	v_mul_f64 v[104:105], v[104:105], v[246:247]
	s_waitcnt lgkmcnt(7)
	v_mul_f64 v[28:29], v[106:107], v[248:249]
	v_fmac_f64_e32 v[28:29], v[108:109], v[110:111]
	s_waitcnt lgkmcnt(6)
	v_mul_f64 v[30:31], v[114:115], v[236:237]
	v_add_f64 v[26:27], v[26:27], v[28:29]
	s_waitcnt lgkmcnt(4)
	v_mul_f64 v[34:35], v[18:19], v[118:119]
	v_fma_f64 v[246:247], v[102:103], v[112:113], -v[104:105]
	v_fmac_f64_e32 v[34:35], v[20:21], v[120:121]
	v_mul_f64 v[108:109], v[108:109], v[248:249]
	v_mul_f64 v[32:33], v[22:23], v[122:123]
	v_fma_f64 v[248:249], v[106:107], v[110:111], -v[108:109]
	s_waitcnt lgkmcnt(2)
	v_mul_f64 v[38:39], v[10:11], v[124:125]
	v_mul_f64 v[20:21], v[20:21], v[118:119]
	v_fmac_f64_e32 v[38:39], v[12:13], v[126:127]
	v_fma_f64 v[18:19], v[18:19], v[120:121], -v[20:21]
	v_mul_f64 v[36:37], v[14:15], v[130:131]
	v_mul_f64 v[12:13], v[12:13], v[124:125]
	s_waitcnt lgkmcnt(1)
	v_mul_f64 v[40:41], v[6:7], v[128:129]
	v_fma_f64 v[10:11], v[10:11], v[126:127], -v[12:13]
	v_fmac_f64_e32 v[30:31], v[116:117], v[250:251]
	v_add_f64 v[26:27], v[26:27], v[30:31]
	v_fmac_f64_e32 v[32:33], v[24:25], v[138:139]
	v_add_f64 v[26:27], v[26:27], v[32:33]
	;; [unrolled: 2-line block ×3, first 2 shown]
	v_add_f64 v[26:27], v[26:27], v[36:37]
	v_fmac_f64_e32 v[40:41], v[8:9], v[134:135]
	v_add_f64 v[30:31], v[26:27], v[38:39]
	v_add_f64 v[30:31], v[30:31], v[40:41]
	s_waitcnt lgkmcnt(0)
	v_mul_f64 v[32:33], v[2:3], v[132:133]
	v_fmac_f64_e32 v[32:33], v[4:5], v[140:141]
	ds_read_b128 v[26:29], v0 offset:1680
	v_add_f64 v[34:35], v[30:31], v[32:33]
	ds_read_b128 v[30:33], v0 offset:1696
	buffer_load_dword v223, off, s[0:3], 0 offset:964
	buffer_load_dword v222, off, s[0:3], 0 offset:960
	v_mul_f64 v[116:117], v[116:117], v[236:237]
	s_waitcnt lgkmcnt(1)
	v_mul_f64 v[36:37], v[26:27], v[146:147]
	v_fmac_f64_e32 v[36:37], v[28:29], v[148:149]
	v_add_f64 v[38:39], v[34:35], v[36:37]
	ds_read_b128 v[34:37], v0 offset:1712
	s_waitcnt lgkmcnt(1)
	v_mul_f64 v[40:41], v[30:31], v[142:143]
	v_fmac_f64_e32 v[40:41], v[32:33], v[144:145]
	v_add_f64 v[42:43], v[38:39], v[40:41]
	ds_read_b128 v[38:41], v0 offset:1728
	;; [unrolled: 5-line block ×4, first 2 shown]
	buffer_load_dword v225, off, s[0:3], 0 offset:1020
	buffer_load_dword v227, off, s[0:3], 0 offset:1004
	;; [unrolled: 1-line block ×12, first 2 shown]
	s_waitcnt vmcnt(62) lgkmcnt(1)
	v_mul_f64 v[52:53], v[42:43], v[174:175]
	v_fmac_f64_e32 v[52:53], v[44:45], v[178:179]
	v_add_f64 v[54:55], v[50:51], v[52:53]
	ds_read_b128 v[50:53], v0 offset:1776
	s_waitcnt lgkmcnt(1)
	v_mul_f64 v[56:57], v[46:47], v[154:155]
	v_fmac_f64_e32 v[56:57], v[48:49], v[156:157]
	v_add_f64 v[58:59], v[54:55], v[56:57]
	ds_read_b128 v[54:57], v0 offset:1792
	s_waitcnt lgkmcnt(1)
	v_mul_f64 v[60:61], v[50:51], v[182:183]
	s_waitcnt vmcnt(60)
	v_fmac_f64_e32 v[60:61], v[52:53], v[186:187]
	v_add_f64 v[62:63], v[58:59], v[60:61]
	ds_read_b128 v[58:61], v0 offset:1808
	s_waitcnt lgkmcnt(1)
	v_mul_f64 v[64:65], v[54:55], v[162:163]
	v_fmac_f64_e32 v[64:65], v[56:57], v[164:165]
	v_add_f64 v[66:67], v[62:63], v[64:65]
	ds_read_b128 v[62:65], v0 offset:1824
	s_waitcnt vmcnt(54) lgkmcnt(1)
	v_mul_f64 v[68:69], v[58:59], v[192:193]
	s_waitcnt vmcnt(52)
	v_fmac_f64_e32 v[68:69], v[60:61], v[196:197]
	v_add_f64 v[70:71], v[66:67], v[68:69]
	ds_read_b128 v[66:69], v0 offset:1840
	s_waitcnt lgkmcnt(1)
	v_mul_f64 v[72:73], v[62:63], v[166:167]
	v_fmac_f64_e32 v[72:73], v[64:65], v[168:169]
	v_add_f64 v[74:75], v[70:71], v[72:73]
	ds_read_b128 v[70:73], v0 offset:1856
	s_waitcnt vmcnt(46) lgkmcnt(1)
	;; [unrolled: 11-line block ×4, first 2 shown]
	v_mul_f64 v[92:93], v[82:83], v[212:213]
	s_waitcnt vmcnt(28)
	v_fmac_f64_e32 v[92:93], v[84:85], v[214:215]
	v_add_f64 v[98:99], v[90:91], v[92:93]
	ds_read_b128 v[90:93], v0 offset:1936
	ds_read_b128 v[94:97], v0 offset:1952
	s_waitcnt lgkmcnt(2)
	v_mul_f64 v[100:101], v[86:87], v[184:185]
	v_fmac_f64_e32 v[100:101], v[88:89], v[188:189]
	v_add_f64 v[98:99], v[98:99], v[100:101]
	s_waitcnt vmcnt(22) lgkmcnt(1)
	v_mul_f64 v[100:101], v[90:91], v[216:217]
	s_waitcnt vmcnt(20)
	v_fmac_f64_e32 v[100:101], v[92:93], v[218:219]
	v_add_f64 v[98:99], v[98:99], v[100:101]
	s_waitcnt lgkmcnt(0)
	v_mul_f64 v[100:101], v[94:95], v[194:195]
	v_fmac_f64_e32 v[100:101], v[96:97], v[198:199]
	v_add_f64 v[190:191], v[98:99], v[100:101]
	ds_read_b128 v[98:101], v0 offset:1968
	ds_read_b128 v[102:105], v0 offset:1984
	ds_read_b128 v[106:109], v0 offset:2000
	v_fma_f64 v[250:251], v[114:115], v[250:251], -v[116:117]
	ds_read_b128 v[114:117], v0 offset:2032
	s_waitcnt vmcnt(14) lgkmcnt(3)
	v_mul_f64 v[112:113], v[98:99], v[220:221]
	s_waitcnt lgkmcnt(2)
	v_mul_f64 v[110:111], v[102:103], v[202:203]
	s_waitcnt vmcnt(12)
	v_fmac_f64_e32 v[112:113], v[100:101], v[222:223]
	v_add_f64 v[112:113], v[190:191], v[112:113]
	v_fmac_f64_e32 v[110:111], v[104:105], v[206:207]
	v_add_f64 v[190:191], v[112:113], v[110:111]
	ds_read_b128 v[110:113], v0 offset:2016
	buffer_load_dword v240, off, s[0:3], 0 offset:512
	buffer_load_dword v241, off, s[0:3], 0 offset:516
	;; [unrolled: 1-line block ×4, first 2 shown]
	v_mul_f64 v[24:25], v[24:25], v[122:123]
	v_fma_f64 v[22:23], v[22:23], v[138:139], -v[24:25]
	v_mul_f64 v[16:17], v[16:17], v[130:131]
	s_waitcnt vmcnt(13) lgkmcnt(2)
	v_mul_f64 v[236:237], v[106:107], v[226:227]
	v_fma_f64 v[14:15], v[14:15], v[136:137], -v[16:17]
	s_waitcnt vmcnt(11)
	v_fmac_f64_e32 v[236:237], v[108:109], v[232:233]
	v_add_f64 v[0:1], v[190:191], v[236:237]
	s_waitcnt vmcnt(10) lgkmcnt(0)
	v_mul_f64 v[190:191], v[110:111], v[224:225]
	s_waitcnt vmcnt(8)
	v_fmac_f64_e32 v[190:191], v[112:113], v[230:231]
	v_add_f64 v[0:1], v[0:1], v[190:191]
	s_waitcnt vmcnt(6)
	v_mul_f64 v[190:191], v[114:115], v[228:229]
	v_mul_f64 v[8:9], v[8:9], v[128:129]
	s_waitcnt vmcnt(4)
	v_fmac_f64_e32 v[190:191], v[116:117], v[234:235]
	v_add_f64 v[236:237], v[0:1], v[190:191]
	v_add_f64 v[0:1], v[246:247], 0
	;; [unrolled: 1-line block ×8, first 2 shown]
	v_fma_f64 v[6:7], v[6:7], v[134:135], -v[8:9]
	v_mul_f64 v[4:5], v[4:5], v[132:133]
	v_add_f64 v[0:1], v[0:1], v[6:7]
	v_fma_f64 v[2:3], v[2:3], v[140:141], -v[4:5]
	v_add_f64 v[0:1], v[0:1], v[2:3]
	v_mul_f64 v[2:3], v[28:29], v[146:147]
	v_fma_f64 v[2:3], v[26:27], v[148:149], -v[2:3]
	v_add_f64 v[0:1], v[0:1], v[2:3]
	v_mul_f64 v[2:3], v[32:33], v[142:143]
	;; [unrolled: 3-line block ×23, first 2 shown]
	v_fma_f64 v[2:3], v[114:115], v[234:235], -v[2:3]
	v_add_f64 v[0:1], v[0:1], v[2:3]
	s_waitcnt vmcnt(2)
	v_add_f64 v[0:1], v[240:241], -v[0:1]
	s_waitcnt vmcnt(0)
	v_add_f64 v[2:3], v[238:239], -v[236:237]
	buffer_store_dword v1, off, s[0:3], 0 offset:516
	buffer_store_dword v0, off, s[0:3], 0 offset:512
	;; [unrolled: 1-line block ×4, first 2 shown]
	s_and_saveexec_b64 s[4:5], vcc
	s_cbranch_execz .LBB63_349
; %bb.348:
	v_accvgpr_read_b32 v3, a161
	buffer_load_dword v0, v3, s[0:3], 0 offen
	buffer_load_dword v1, v3, s[0:3], 0 offen offset:4
	buffer_load_dword v2, v3, s[0:3], 0 offen offset:8
	s_nop 0
	buffer_load_dword v3, v3, s[0:3], 0 offen offset:12
	v_mov_b32_e32 v4, 0
	v_accvgpr_read_b32 v5, a192
	buffer_store_dword v4, off, s[0:3], 0 offset:496
	buffer_store_dword v4, off, s[0:3], 0 offset:500
	;; [unrolled: 1-line block ×4, first 2 shown]
	s_waitcnt vmcnt(4)
	ds_write_b128 v5, v[0:3]
.LBB63_349:
	s_or_b64 exec, exec, s[4:5]
	s_waitcnt lgkmcnt(0)
	; wave barrier
	s_waitcnt lgkmcnt(0)
	buffer_load_dword v94, off, s[0:3], 0 offset:512
	buffer_load_dword v95, off, s[0:3], 0 offset:516
	;; [unrolled: 1-line block ×52, first 2 shown]
	v_mov_b32_e32 v0, 0
	ds_read_b128 v[102:105], v0 offset:1520
	ds_read_b128 v[114:117], v0 offset:1536
	;; [unrolled: 1-line block ×10, first 2 shown]
	v_accvgpr_write_b32 a191, v254
	v_cmp_lt_u32_e32 vcc, 29, v254
	s_waitcnt vmcnt(48) lgkmcnt(9)
	v_mul_f64 v[26:27], v[102:103], v[96:97]
	v_fmac_f64_e32 v[26:27], v[104:105], v[94:95]
	v_add_f64 v[26:27], v[26:27], 0
	v_mul_f64 v[96:97], v[104:105], v[96:97]
	s_waitcnt vmcnt(44) lgkmcnt(8)
	v_mul_f64 v[28:29], v[114:115], v[100:101]
	v_fmac_f64_e32 v[28:29], v[116:117], v[98:99]
	s_waitcnt vmcnt(42) lgkmcnt(7)
	v_mul_f64 v[30:31], v[236:237], v[106:107]
	v_add_f64 v[26:27], v[26:27], v[28:29]
	s_waitcnt vmcnt(40) lgkmcnt(5)
	v_mul_f64 v[34:35], v[22:23], v[120:121]
	v_fma_f64 v[244:245], v[102:103], v[94:95], -v[96:97]
	s_waitcnt vmcnt(38)
	v_fmac_f64_e32 v[34:35], v[24:25], v[124:125]
	v_mul_f64 v[100:101], v[116:117], v[100:101]
	s_waitcnt vmcnt(36)
	v_mul_f64 v[32:33], v[240:241], v[110:111]
	v_fma_f64 v[250:251], v[114:115], v[98:99], -v[100:101]
	s_waitcnt vmcnt(34) lgkmcnt(3)
	v_mul_f64 v[38:39], v[14:15], v[118:119]
	v_mul_f64 v[106:107], v[238:239], v[106:107]
	s_waitcnt vmcnt(32)
	v_fmac_f64_e32 v[38:39], v[16:17], v[122:123]
	v_mul_f64 v[110:111], v[242:243], v[110:111]
	s_waitcnt vmcnt(30)
	v_mul_f64 v[36:37], v[18:19], v[130:131]
	v_mul_f64 v[24:25], v[24:25], v[120:121]
	v_fma_f64 v[22:23], v[22:23], v[124:125], -v[24:25]
	s_waitcnt vmcnt(27) lgkmcnt(2)
	v_mul_f64 v[40:41], v[10:11], v[128:129]
	s_waitcnt vmcnt(26) lgkmcnt(1)
	v_mul_f64 v[42:43], v[6:7], v[126:127]
	v_mul_f64 v[16:17], v[16:17], v[118:119]
	s_waitcnt vmcnt(24)
	v_fmac_f64_e32 v[30:31], v[238:239], v[108:109]
	v_add_f64 v[26:27], v[26:27], v[30:31]
	s_waitcnt vmcnt(22)
	v_fmac_f64_e32 v[32:33], v[242:243], v[112:113]
	v_add_f64 v[26:27], v[26:27], v[32:33]
	;; [unrolled: 3-line block ×3, first 2 shown]
	v_add_f64 v[26:27], v[26:27], v[36:37]
	s_waitcnt vmcnt(18)
	v_fmac_f64_e32 v[40:41], v[12:13], v[132:133]
	v_add_f64 v[26:27], v[26:27], v[38:39]
	v_add_f64 v[26:27], v[26:27], v[40:41]
	s_waitcnt vmcnt(16)
	v_fmac_f64_e32 v[42:43], v[8:9], v[138:139]
	v_add_f64 v[34:35], v[26:27], v[42:43]
	ds_read_b128 v[26:29], v0 offset:1680
	ds_read_b128 v[30:33], v0 offset:1696
	buffer_load_dword v155, off, s[0:3], 0 offset:748
	buffer_load_dword v154, off, s[0:3], 0 offset:744
	;; [unrolled: 1-line block ×56, first 2 shown]
	s_waitcnt vmcnt(62) lgkmcnt(2)
	v_mul_f64 v[36:37], v[2:3], v[142:143]
	v_fmac_f64_e32 v[36:37], v[4:5], v[144:145]
	v_add_f64 v[34:35], v[34:35], v[36:37]
	s_waitcnt lgkmcnt(1)
	v_mul_f64 v[36:37], v[26:27], v[136:137]
	v_fmac_f64_e32 v[36:37], v[28:29], v[140:141]
	v_add_f64 v[34:35], v[34:35], v[36:37]
	s_waitcnt lgkmcnt(0)
	v_mul_f64 v[36:37], v[30:31], v[146:147]
	s_waitcnt vmcnt(60)
	v_fmac_f64_e32 v[36:37], v[32:33], v[150:151]
	v_add_f64 v[42:43], v[34:35], v[36:37]
	ds_read_b128 v[34:37], v0 offset:1712
	buffer_load_dword v201, off, s[0:3], 0 offset:972
	buffer_load_dword v200, off, s[0:3], 0 offset:968
	;; [unrolled: 1-line block ×16, first 2 shown]
	ds_read_b128 v[38:41], v0 offset:1728
	buffer_load_dword v223, off, s[0:3], 0 offset:1036
	buffer_load_dword v222, off, s[0:3], 0 offset:1032
	;; [unrolled: 1-line block ×8, first 2 shown]
	ds_read_b128 v[98:101], v0 offset:1968
	s_waitcnt vmcnt(62) lgkmcnt(2)
	v_mul_f64 v[44:45], v[34:35], v[148:149]
	v_fmac_f64_e32 v[44:45], v[36:37], v[152:153]
	v_add_f64 v[46:47], v[42:43], v[44:45]
	ds_read_b128 v[42:45], v0 offset:1744
	v_fma_f64 v[248:249], v[236:237], v[108:109], -v[106:107]
	ds_read_b128 v[106:109], v0 offset:2000
	v_fma_f64 v[246:247], v[240:241], v[112:113], -v[110:111]
	v_mul_f64 v[20:21], v[20:21], v[130:131]
	v_fma_f64 v[18:19], v[18:19], v[134:135], -v[20:21]
	v_fma_f64 v[14:15], v[14:15], v[122:123], -v[16:17]
	v_mul_f64 v[12:13], v[12:13], v[128:129]
	v_fma_f64 v[10:11], v[10:11], v[132:133], -v[12:13]
	v_mul_f64 v[8:9], v[8:9], v[126:127]
	;; [unrolled: 2-line block ×3, first 2 shown]
	s_waitcnt lgkmcnt(3)
	v_mul_f64 v[48:49], v[38:39], v[170:171]
	v_fma_f64 v[2:3], v[2:3], v[144:145], -v[4:5]
	v_fmac_f64_e32 v[48:49], v[40:41], v[174:175]
	v_add_f64 v[50:51], v[46:47], v[48:49]
	ds_read_b128 v[46:49], v0 offset:1760
	s_waitcnt lgkmcnt(2)
	v_mul_f64 v[52:53], v[42:43], v[154:155]
	v_fmac_f64_e32 v[52:53], v[44:45], v[156:157]
	v_add_f64 v[54:55], v[50:51], v[52:53]
	ds_read_b128 v[50:53], v0 offset:1776
	s_waitcnt lgkmcnt(1)
	v_mul_f64 v[56:57], v[46:47], v[178:179]
	;; [unrolled: 5-line block ×3, first 2 shown]
	v_fmac_f64_e32 v[60:61], v[52:53], v[160:161]
	v_add_f64 v[62:63], v[58:59], v[60:61]
	ds_read_b128 v[58:61], v0 offset:1808
	s_waitcnt vmcnt(58) lgkmcnt(1)
	v_mul_f64 v[64:65], v[54:55], v[186:187]
	s_waitcnt vmcnt(56)
	v_fmac_f64_e32 v[64:65], v[56:57], v[192:193]
	v_add_f64 v[66:67], v[62:63], v[64:65]
	ds_read_b128 v[62:65], v0 offset:1824
	s_waitcnt lgkmcnt(1)
	v_mul_f64 v[68:69], v[58:59], v[162:163]
	v_fmac_f64_e32 v[68:69], v[60:61], v[164:165]
	v_add_f64 v[70:71], v[66:67], v[68:69]
	ds_read_b128 v[66:69], v0 offset:1840
	s_waitcnt vmcnt(50) lgkmcnt(1)
	v_mul_f64 v[72:73], v[62:63], v[196:197]
	s_waitcnt vmcnt(48)
	v_fmac_f64_e32 v[72:73], v[64:65], v[198:199]
	v_add_f64 v[74:75], v[70:71], v[72:73]
	ds_read_b128 v[70:73], v0 offset:1856
	s_waitcnt lgkmcnt(1)
	v_mul_f64 v[76:77], v[66:67], v[166:167]
	;; [unrolled: 11-line block ×3, first 2 shown]
	v_fmac_f64_e32 v[84:85], v[76:77], v[176:177]
	v_add_f64 v[90:91], v[82:83], v[84:85]
	ds_read_b128 v[82:85], v0 offset:1904
	ds_read_b128 v[86:89], v0 offset:1920
	s_waitcnt vmcnt(34) lgkmcnt(2)
	v_mul_f64 v[92:93], v[78:79], v[210:211]
	s_waitcnt vmcnt(32)
	v_fmac_f64_e32 v[92:93], v[80:81], v[216:217]
	v_add_f64 v[90:91], v[90:91], v[92:93]
	s_waitcnt lgkmcnt(1)
	v_mul_f64 v[92:93], v[82:83], v[180:181]
	v_fmac_f64_e32 v[92:93], v[84:85], v[184:185]
	v_add_f64 v[90:91], v[90:91], v[92:93]
	s_waitcnt vmcnt(27) lgkmcnt(0)
	v_mul_f64 v[92:93], v[86:87], v[214:215]
	s_waitcnt vmcnt(25)
	v_fmac_f64_e32 v[92:93], v[88:89], v[218:219]
	v_add_f64 v[190:191], v[90:91], v[92:93]
	ds_read_b128 v[90:93], v0 offset:1936
	ds_read_b128 v[94:97], v0 offset:1952
	;; [unrolled: 1-line block ×3, first 2 shown]
	v_mul_f64 v[4:5], v[28:29], v[136:137]
	v_fma_f64 v[4:5], v[26:27], v[140:141], -v[4:5]
	s_waitcnt lgkmcnt(2)
	v_mul_f64 v[102:103], v[90:91], v[188:189]
	s_waitcnt vmcnt(24)
	v_fmac_f64_e32 v[102:103], v[92:93], v[194:195]
	s_waitcnt vmcnt(18) lgkmcnt(1)
	v_mul_f64 v[104:105], v[94:95], v[220:221]
	v_add_f64 v[102:103], v[190:191], v[102:103]
	s_waitcnt vmcnt(16)
	v_fmac_f64_e32 v[104:105], v[96:97], v[224:225]
	v_add_f64 v[102:103], v[102:103], v[104:105]
	v_mul_f64 v[104:105], v[98:99], v[200:201]
	v_fmac_f64_e32 v[104:105], v[100:101], v[204:205]
	v_add_f64 v[114:115], v[102:103], v[104:105]
	ds_read_b128 v[102:105], v0 offset:1984
	s_waitcnt vmcnt(10) lgkmcnt(0)
	v_mul_f64 v[116:117], v[102:103], v[228:229]
	s_waitcnt vmcnt(8)
	v_fmac_f64_e32 v[116:117], v[104:105], v[230:231]
	v_add_f64 v[114:115], v[114:115], v[116:117]
	v_mul_f64 v[116:117], v[106:107], v[208:209]
	v_fmac_f64_e32 v[116:117], v[108:109], v[212:213]
	v_add_f64 v[114:115], v[114:115], v[116:117]
	s_waitcnt vmcnt(2)
	v_mul_f64 v[116:117], v[110:111], v[232:233]
	s_waitcnt vmcnt(0)
	v_fmac_f64_e32 v[116:117], v[112:113], v[234:235]
	v_add_f64 v[190:191], v[114:115], v[116:117]
	ds_read_b128 v[114:117], v0 offset:2032
	buffer_load_dword v252, off, s[0:3], 0 offset:496
	buffer_load_dword v253, off, s[0:3], 0 offset:500
	s_waitcnt lgkmcnt(0)
	v_mul_f64 v[236:237], v[114:115], v[222:223]
	v_fmac_f64_e32 v[236:237], v[116:117], v[226:227]
	v_add_f64 v[236:237], v[190:191], v[236:237]
	v_add_f64 v[190:191], v[244:245], 0
	;; [unrolled: 1-line block ×4, first 2 shown]
	buffer_load_dword v248, off, s[0:3], 0 offset:504
	buffer_load_dword v249, off, s[0:3], 0 offset:508
	v_add_f64 v[190:191], v[190:191], v[246:247]
	v_add_f64 v[22:23], v[190:191], v[22:23]
	;; [unrolled: 1-line block ×8, first 2 shown]
	v_mul_f64 v[4:5], v[32:33], v[146:147]
	v_fma_f64 v[4:5], v[30:31], v[150:151], -v[4:5]
	v_add_f64 v[2:3], v[2:3], v[4:5]
	v_mul_f64 v[4:5], v[36:37], v[148:149]
	v_fma_f64 v[4:5], v[34:35], v[152:153], -v[4:5]
	v_add_f64 v[2:3], v[2:3], v[4:5]
	;; [unrolled: 3-line block ×22, first 2 shown]
	s_waitcnt vmcnt(2)
	v_add_f64 v[2:3], v[252:253], -v[2:3]
	s_waitcnt vmcnt(0)
	v_add_f64 v[4:5], v[248:249], -v[236:237]
	buffer_store_dword v3, off, s[0:3], 0 offset:500
	buffer_store_dword v2, off, s[0:3], 0 offset:496
	;; [unrolled: 1-line block ×4, first 2 shown]
	s_and_saveexec_b64 s[4:5], vcc
	s_cbranch_execz .LBB63_351
; %bb.350:
	v_accvgpr_read_b32 v1, a162
	buffer_load_dword v2, v1, s[0:3], 0 offen
	buffer_load_dword v3, v1, s[0:3], 0 offen offset:4
	buffer_load_dword v4, v1, s[0:3], 0 offen offset:8
	;; [unrolled: 1-line block ×3, first 2 shown]
	v_accvgpr_read_b32 v1, a192
	buffer_store_dword v0, off, s[0:3], 0 offset:480
	buffer_store_dword v0, off, s[0:3], 0 offset:484
	;; [unrolled: 1-line block ×4, first 2 shown]
	s_waitcnt vmcnt(4)
	ds_write_b128 v1, v[2:5]
.LBB63_351:
	s_or_b64 exec, exec, s[4:5]
	s_waitcnt lgkmcnt(0)
	; wave barrier
	s_waitcnt lgkmcnt(0)
	buffer_load_dword v86, off, s[0:3], 0 offset:496
	buffer_load_dword v87, off, s[0:3], 0 offset:500
	;; [unrolled: 1-line block ×42, first 2 shown]
	ds_read_b128 v[94:97], v0 offset:1504
	ds_read_b128 v[106:109], v0 offset:1520
	;; [unrolled: 1-line block ×10, first 2 shown]
	buffer_load_dword v145, off, s[0:3], 0 offset:644
	buffer_load_dword v144, off, s[0:3], 0 offset:640
	ds_read_b128 v[6:9], v0 offset:1664
	buffer_load_dword v141, off, s[0:3], 0 offset:700
	buffer_load_dword v140, off, s[0:3], 0 offset:696
	;; [unrolled: 1-line block ×80, first 2 shown]
	s_waitcnt vmcnt(62) lgkmcnt(10)
	v_mul_f64 v[26:27], v[94:95], v[88:89]
	v_fmac_f64_e32 v[26:27], v[96:97], v[86:87]
	v_add_f64 v[26:27], v[26:27], 0
	v_mul_f64 v[88:89], v[96:97], v[88:89]
	s_waitcnt lgkmcnt(9)
	v_mul_f64 v[28:29], v[106:107], v[92:93]
	v_fmac_f64_e32 v[28:29], v[108:109], v[90:91]
	s_waitcnt lgkmcnt(8)
	v_mul_f64 v[30:31], v[114:115], v[98:99]
	v_add_f64 v[26:27], v[26:27], v[28:29]
	s_waitcnt lgkmcnt(6)
	v_mul_f64 v[34:35], v[240:241], v[110:111]
	v_fma_f64 v[244:245], v[94:95], v[86:87], -v[88:89]
	v_fmac_f64_e32 v[34:35], v[242:243], v[112:113]
	v_mul_f64 v[92:93], v[108:109], v[92:93]
	v_mul_f64 v[32:33], v[236:237], v[102:103]
	;; [unrolled: 1-line block ×3, first 2 shown]
	s_waitcnt lgkmcnt(4)
	v_mul_f64 v[38:39], v[18:19], v[118:119]
	v_mul_f64 v[102:103], v[238:239], v[102:103]
	v_fmac_f64_e32 v[38:39], v[20:21], v[120:121]
	v_mul_f64 v[110:111], v[242:243], v[110:111]
	v_mul_f64 v[36:37], v[22:23], v[122:123]
	v_fma_f64 v[248:249], v[240:241], v[112:113], -v[110:111]
	s_waitcnt lgkmcnt(2)
	v_mul_f64 v[42:43], v[10:11], v[124:125]
	v_mul_f64 v[20:21], v[20:21], v[118:119]
	v_fma_f64 v[18:19], v[18:19], v[120:121], -v[20:21]
	v_mul_f64 v[40:41], v[14:15], v[130:131]
	s_waitcnt lgkmcnt(1)
	v_mul_f64 v[44:45], v[2:3], v[128:129]
	v_fmac_f64_e32 v[30:31], v[116:117], v[100:101]
	v_add_f64 v[26:27], v[26:27], v[30:31]
	v_fmac_f64_e32 v[32:33], v[238:239], v[104:105]
	v_add_f64 v[26:27], v[26:27], v[32:33]
	;; [unrolled: 2-line block ×3, first 2 shown]
	v_add_f64 v[26:27], v[26:27], v[36:37]
	v_fmac_f64_e32 v[40:41], v[16:17], v[132:133]
	v_add_f64 v[26:27], v[26:27], v[38:39]
	v_fmac_f64_e32 v[42:43], v[12:13], v[126:127]
	v_add_f64 v[26:27], v[26:27], v[40:41]
	v_add_f64 v[26:27], v[26:27], v[42:43]
	s_waitcnt lgkmcnt(0)
	v_mul_f64 v[32:33], v[6:7], v[136:137]
	v_fmac_f64_e32 v[44:45], v[4:5], v[144:145]
	v_add_f64 v[30:31], v[26:27], v[44:45]
	ds_read_b128 v[26:29], v0 offset:1680
	v_fmac_f64_e32 v[32:33], v[8:9], v[138:139]
	v_add_f64 v[34:35], v[30:31], v[32:33]
	ds_read_b128 v[30:33], v0 offset:1696
	v_fma_f64 v[250:251], v[114:115], v[100:101], -v[98:99]
	s_waitcnt lgkmcnt(1)
	v_mul_f64 v[36:37], v[26:27], v[146:147]
	v_fmac_f64_e32 v[36:37], v[28:29], v[162:163]
	v_add_f64 v[38:39], v[34:35], v[36:37]
	ds_read_b128 v[34:37], v0 offset:1712
	s_waitcnt lgkmcnt(1)
	v_mul_f64 v[40:41], v[30:31], v[140:141]
	v_fmac_f64_e32 v[40:41], v[32:33], v[142:143]
	v_add_f64 v[42:43], v[38:39], v[40:41]
	ds_read_b128 v[38:41], v0 offset:1728
	;; [unrolled: 5-line block ×4, first 2 shown]
	s_waitcnt vmcnt(58) lgkmcnt(1)
	v_mul_f64 v[52:53], v[42:43], v[174:175]
	s_waitcnt vmcnt(56)
	v_fmac_f64_e32 v[52:53], v[44:45], v[178:179]
	v_add_f64 v[54:55], v[50:51], v[52:53]
	ds_read_b128 v[50:53], v0 offset:1776
	buffer_load_dword v224, off, s[0:3], 0 offset:1016
	buffer_load_dword v229, off, s[0:3], 0 offset:1004
	;; [unrolled: 1-line block ×8, first 2 shown]
	s_waitcnt lgkmcnt(1)
	v_mul_f64 v[56:57], v[46:47], v[152:153]
	v_fmac_f64_e32 v[56:57], v[48:49], v[154:155]
	v_add_f64 v[58:59], v[54:55], v[56:57]
	ds_read_b128 v[54:57], v0 offset:1792
	buffer_load_dword v233, off, s[0:3], 0 offset:1036
	buffer_load_dword v232, off, s[0:3], 0 offset:1032
	;; [unrolled: 1-line block ×4, first 2 shown]
	s_waitcnt vmcnt(62) lgkmcnt(1)
	v_mul_f64 v[60:61], v[50:51], v[182:183]
	s_waitcnt vmcnt(60)
	v_fmac_f64_e32 v[60:61], v[52:53], v[186:187]
	v_add_f64 v[62:63], v[58:59], v[60:61]
	ds_read_b128 v[58:61], v0 offset:1808
	s_waitcnt lgkmcnt(1)
	v_mul_f64 v[64:65], v[54:55], v[156:157]
	v_fmac_f64_e32 v[64:65], v[56:57], v[158:159]
	v_add_f64 v[66:67], v[62:63], v[64:65]
	ds_read_b128 v[62:65], v0 offset:1824
	s_waitcnt vmcnt(54) lgkmcnt(1)
	v_mul_f64 v[68:69], v[58:59], v[192:193]
	s_waitcnt vmcnt(52)
	v_fmac_f64_e32 v[68:69], v[60:61], v[196:197]
	v_add_f64 v[70:71], v[66:67], v[68:69]
	ds_read_b128 v[66:69], v0 offset:1840
	s_waitcnt lgkmcnt(1)
	v_mul_f64 v[72:73], v[62:63], v[160:161]
	v_fmac_f64_e32 v[72:73], v[64:65], v[164:165]
	v_add_f64 v[74:75], v[70:71], v[72:73]
	ds_read_b128 v[70:73], v0 offset:1856
	s_waitcnt vmcnt(46) lgkmcnt(1)
	v_mul_f64 v[76:77], v[66:67], v[200:201]
	s_waitcnt vmcnt(44)
	v_fmac_f64_e32 v[76:77], v[68:69], v[204:205]
	v_add_f64 v[82:83], v[74:75], v[76:77]
	ds_read_b128 v[74:77], v0 offset:1872
	ds_read_b128 v[78:81], v0 offset:1888
	s_waitcnt lgkmcnt(2)
	v_mul_f64 v[84:85], v[70:71], v[168:169]
	v_fmac_f64_e32 v[84:85], v[72:73], v[172:173]
	v_add_f64 v[82:83], v[82:83], v[84:85]
	s_waitcnt vmcnt(38) lgkmcnt(1)
	v_mul_f64 v[84:85], v[74:75], v[208:209]
	s_waitcnt vmcnt(36)
	v_fmac_f64_e32 v[84:85], v[76:77], v[210:211]
	v_add_f64 v[82:83], v[82:83], v[84:85]
	s_waitcnt lgkmcnt(0)
	v_mul_f64 v[84:85], v[78:79], v[176:177]
	v_fmac_f64_e32 v[84:85], v[80:81], v[180:181]
	v_add_f64 v[190:191], v[82:83], v[84:85]
	ds_read_b128 v[82:85], v0 offset:1904
	ds_read_b128 v[86:89], v0 offset:1920
	;; [unrolled: 1-line block ×3, first 2 shown]
	v_fma_f64 v[246:247], v[236:237], v[104:105], -v[102:103]
	ds_read_b128 v[102:105], v0 offset:2000
	ds_read_b128 v[110:113], v0 offset:2016
	s_waitcnt vmcnt(30) lgkmcnt(4)
	v_mul_f64 v[94:95], v[82:83], v[212:213]
	s_waitcnt vmcnt(28)
	v_fmac_f64_e32 v[94:95], v[84:85], v[214:215]
	v_add_f64 v[94:95], v[190:191], v[94:95]
	v_fma_f64 v[190:191], v[106:107], v[90:91], -v[92:93]
	ds_read_b128 v[90:93], v0 offset:1936
	s_waitcnt lgkmcnt(4)
	v_mul_f64 v[96:97], v[86:87], v[184:185]
	v_fmac_f64_e32 v[96:97], v[88:89], v[188:189]
	v_add_f64 v[106:107], v[94:95], v[96:97]
	ds_read_b128 v[94:97], v0 offset:1952
	s_waitcnt vmcnt(22) lgkmcnt(1)
	v_mul_f64 v[108:109], v[90:91], v[216:217]
	s_waitcnt vmcnt(20)
	v_fmac_f64_e32 v[108:109], v[92:93], v[218:219]
	v_add_f64 v[106:107], v[106:107], v[108:109]
	v_mul_f64 v[24:25], v[24:25], v[122:123]
	s_waitcnt lgkmcnt(0)
	v_mul_f64 v[108:109], v[94:95], v[194:195]
	v_fmac_f64_e32 v[108:109], v[96:97], v[198:199]
	v_add_f64 v[114:115], v[106:107], v[108:109]
	ds_read_b128 v[106:109], v0 offset:1984
	s_waitcnt vmcnt(14)
	v_mul_f64 v[116:117], v[98:99], v[220:221]
	s_waitcnt vmcnt(12)
	v_fmac_f64_e32 v[116:117], v[100:101], v[222:223]
	v_add_f64 v[114:115], v[114:115], v[116:117]
	v_fma_f64 v[22:23], v[22:23], v[134:135], -v[24:25]
	s_waitcnt lgkmcnt(0)
	v_mul_f64 v[116:117], v[106:107], v[202:203]
	v_fmac_f64_e32 v[116:117], v[108:109], v[206:207]
	v_add_f64 v[114:115], v[114:115], v[116:117]
	v_mul_f64 v[16:17], v[16:17], v[130:131]
	v_fma_f64 v[14:15], v[14:15], v[132:133], -v[16:17]
	v_mul_f64 v[12:13], v[12:13], v[124:125]
	v_fma_f64 v[10:11], v[10:11], v[126:127], -v[12:13]
	;; [unrolled: 2-line block ×3, first 2 shown]
	s_waitcnt vmcnt(9)
	v_mul_f64 v[116:117], v[102:103], v[228:229]
	s_waitcnt vmcnt(7)
	v_fmac_f64_e32 v[116:117], v[104:105], v[230:231]
	v_add_f64 v[114:115], v[114:115], v[116:117]
	s_waitcnt vmcnt(5)
	v_mul_f64 v[116:117], v[110:111], v[224:225]
	s_waitcnt vmcnt(4)
	v_fmac_f64_e32 v[116:117], v[112:113], v[226:227]
	v_add_f64 v[236:237], v[114:115], v[116:117]
	ds_read_b128 v[114:117], v0 offset:2032
	buffer_load_dword v254, off, s[0:3], 0 offset:480
	buffer_load_dword v255, off, s[0:3], 0 offset:484
	;; [unrolled: 1-line block ×4, first 2 shown]
	s_waitcnt vmcnt(6) lgkmcnt(0)
	v_mul_f64 v[0:1], v[114:115], v[232:233]
	s_waitcnt vmcnt(4)
	v_fmac_f64_e32 v[0:1], v[116:117], v[234:235]
	v_add_f64 v[236:237], v[236:237], v[0:1]
	v_add_f64 v[0:1], v[244:245], 0
	;; [unrolled: 1-line block ×11, first 2 shown]
	v_mul_f64 v[2:3], v[8:9], v[136:137]
	v_fma_f64 v[2:3], v[6:7], v[138:139], -v[2:3]
	v_add_f64 v[0:1], v[0:1], v[2:3]
	v_mul_f64 v[2:3], v[28:29], v[146:147]
	v_fma_f64 v[2:3], v[26:27], v[162:163], -v[2:3]
	v_add_f64 v[0:1], v[0:1], v[2:3]
	;; [unrolled: 3-line block ×24, first 2 shown]
	s_waitcnt vmcnt(2)
	v_add_f64 v[0:1], v[254:255], -v[0:1]
	v_accvgpr_read_b32 v254, a191
	v_cmp_lt_u32_e32 vcc, 28, v254
	s_waitcnt vmcnt(0)
	v_add_f64 v[2:3], v[252:253], -v[236:237]
	buffer_store_dword v1, off, s[0:3], 0 offset:484
	buffer_store_dword v0, off, s[0:3], 0 offset:480
	;; [unrolled: 1-line block ×4, first 2 shown]
	s_and_saveexec_b64 s[4:5], vcc
	s_cbranch_execz .LBB63_353
; %bb.352:
	v_accvgpr_read_b32 v3, a163
	buffer_load_dword v0, v3, s[0:3], 0 offen
	buffer_load_dword v1, v3, s[0:3], 0 offen offset:4
	buffer_load_dword v2, v3, s[0:3], 0 offen offset:8
	s_nop 0
	buffer_load_dword v3, v3, s[0:3], 0 offen offset:12
	v_mov_b32_e32 v4, 0
	v_accvgpr_read_b32 v5, a192
	buffer_store_dword v4, off, s[0:3], 0 offset:464
	buffer_store_dword v4, off, s[0:3], 0 offset:468
	;; [unrolled: 1-line block ×4, first 2 shown]
	s_waitcnt vmcnt(4)
	ds_write_b128 v5, v[0:3]
.LBB63_353:
	s_or_b64 exec, exec, s[4:5]
	s_waitcnt lgkmcnt(0)
	; wave barrier
	s_waitcnt lgkmcnt(0)
	buffer_load_dword v82, off, s[0:3], 0 offset:480
	buffer_load_dword v83, off, s[0:3], 0 offset:484
	;; [unrolled: 1-line block ×54, first 2 shown]
	v_mov_b32_e32 v0, 0
	ds_read_b128 v[90:93], v0 offset:1488
	ds_read_b128 v[106:109], v0 offset:1504
	;; [unrolled: 1-line block ×9, first 2 shown]
	buffer_load_dword v149, off, s[0:3], 0 offset:708
	buffer_load_dword v148, off, s[0:3], 0 offset:704
	buffer_load_dword v163, off, s[0:3], 0 offset:700
	buffer_load_dword v162, off, s[0:3], 0 offset:696
	buffer_load_dword v167, off, s[0:3], 0 offset:692
	buffer_load_dword v166, off, s[0:3], 0 offset:688
	buffer_load_dword v151, off, s[0:3], 0 offset:748
	buffer_load_dword v150, off, s[0:3], 0 offset:744
	buffer_load_dword v153, off, s[0:3], 0 offset:740
	buffer_load_dword v152, off, s[0:3], 0 offset:736
	buffer_load_dword v171, off, s[0:3], 0 offset:732
	buffer_load_dword v170, off, s[0:3], 0 offset:728
	buffer_load_dword v175, off, s[0:3], 0 offset:724
	buffer_load_dword v174, off, s[0:3], 0 offset:720
	buffer_load_dword v155, off, s[0:3], 0 offset:780
	buffer_load_dword v154, off, s[0:3], 0 offset:776
	buffer_load_dword v157, off, s[0:3], 0 offset:772
	buffer_load_dword v156, off, s[0:3], 0 offset:768
	buffer_load_dword v179, off, s[0:3], 0 offset:764
	buffer_load_dword v178, off, s[0:3], 0 offset:760
	buffer_load_dword v183, off, s[0:3], 0 offset:756
	buffer_load_dword v182, off, s[0:3], 0 offset:752
	buffer_load_dword v159, off, s[0:3], 0 offset:812
	buffer_load_dword v158, off, s[0:3], 0 offset:808
	buffer_load_dword v161, off, s[0:3], 0 offset:804
	buffer_load_dword v160, off, s[0:3], 0 offset:800
	buffer_load_dword v187, off, s[0:3], 0 offset:796
	buffer_load_dword v186, off, s[0:3], 0 offset:792
	buffer_load_dword v193, off, s[0:3], 0 offset:788
	buffer_load_dword v192, off, s[0:3], 0 offset:784
	buffer_load_dword v165, off, s[0:3], 0 offset:844
	buffer_load_dword v164, off, s[0:3], 0 offset:840
	buffer_load_dword v169, off, s[0:3], 0 offset:836
	buffer_load_dword v168, off, s[0:3], 0 offset:832
	buffer_load_dword v197, off, s[0:3], 0 offset:828
	buffer_load_dword v196, off, s[0:3], 0 offset:824
	buffer_load_dword v199, off, s[0:3], 0 offset:820
	buffer_load_dword v198, off, s[0:3], 0 offset:816
	buffer_load_dword v173, off, s[0:3], 0 offset:876
	buffer_load_dword v172, off, s[0:3], 0 offset:872
	buffer_load_dword v177, off, s[0:3], 0 offset:868
	buffer_load_dword v176, off, s[0:3], 0 offset:864
	buffer_load_dword v201, off, s[0:3], 0 offset:860
	buffer_load_dword v200, off, s[0:3], 0 offset:856
	buffer_load_dword v203, off, s[0:3], 0 offset:852
	buffer_load_dword v202, off, s[0:3], 0 offset:848
	buffer_load_dword v181, off, s[0:3], 0 offset:908
	buffer_load_dword v180, off, s[0:3], 0 offset:904
	buffer_load_dword v185, off, s[0:3], 0 offset:900
	buffer_load_dword v184, off, s[0:3], 0 offset:896
	buffer_load_dword v205, off, s[0:3], 0 offset:892
	buffer_load_dword v204, off, s[0:3], 0 offset:888
	buffer_load_dword v207, off, s[0:3], 0 offset:884
	buffer_load_dword v206, off, s[0:3], 0 offset:880
	buffer_load_dword v189, off, s[0:3], 0 offset:940
	buffer_load_dword v188, off, s[0:3], 0 offset:936
	buffer_load_dword v195, off, s[0:3], 0 offset:932
	buffer_load_dword v194, off, s[0:3], 0 offset:928
	buffer_load_dword v209, off, s[0:3], 0 offset:924
	buffer_load_dword v208, off, s[0:3], 0 offset:920
	buffer_load_dword v211, off, s[0:3], 0 offset:916
	buffer_load_dword v210, off, s[0:3], 0 offset:912
	v_cmp_lt_u32_e32 vcc, 27, v254
	s_waitcnt vmcnt(62) lgkmcnt(8)
	v_mul_f64 v[14:15], v[90:91], v[84:85]
	v_fmac_f64_e32 v[14:15], v[92:93], v[82:83]
	v_add_f64 v[14:15], v[14:15], 0
	v_mul_f64 v[84:85], v[92:93], v[84:85]
	s_waitcnt lgkmcnt(7)
	v_mul_f64 v[16:17], v[106:107], v[88:89]
	v_fmac_f64_e32 v[16:17], v[108:109], v[86:87]
	s_waitcnt lgkmcnt(6)
	v_mul_f64 v[18:19], v[114:115], v[94:95]
	v_add_f64 v[14:15], v[14:15], v[16:17]
	s_waitcnt lgkmcnt(4)
	v_mul_f64 v[22:23], v[238:239], v[102:103]
	v_fma_f64 v[246:247], v[90:91], v[82:83], -v[84:85]
	v_fmac_f64_e32 v[22:23], v[240:241], v[104:105]
	v_mul_f64 v[88:89], v[108:109], v[88:89]
	v_mul_f64 v[20:21], v[234:235], v[98:99]
	v_fma_f64 v[248:249], v[106:107], v[86:87], -v[88:89]
	s_waitcnt lgkmcnt(2)
	v_mul_f64 v[26:27], v[10:11], v[118:119]
	v_mul_f64 v[94:95], v[116:117], v[94:95]
	v_fmac_f64_e32 v[26:27], v[12:13], v[120:121]
	v_mul_f64 v[98:99], v[236:237], v[98:99]
	v_mul_f64 v[24:25], v[242:243], v[110:111]
	;; [unrolled: 1-line block ×3, first 2 shown]
	s_waitcnt lgkmcnt(1)
	v_mul_f64 v[28:29], v[6:7], v[122:123]
	v_mul_f64 v[110:111], v[244:245], v[110:111]
	v_fmac_f64_e32 v[18:19], v[116:117], v[96:97]
	v_add_f64 v[14:15], v[14:15], v[18:19]
	v_fmac_f64_e32 v[20:21], v[236:237], v[100:101]
	v_add_f64 v[14:15], v[14:15], v[20:21]
	;; [unrolled: 2-line block ×3, first 2 shown]
	v_add_f64 v[14:15], v[14:15], v[24:25]
	v_fmac_f64_e32 v[28:29], v[8:9], v[126:127]
	v_add_f64 v[14:15], v[14:15], v[26:27]
	v_add_f64 v[18:19], v[14:15], v[28:29]
	ds_read_b128 v[14:17], v0 offset:1632
	s_waitcnt lgkmcnt(1)
	v_mul_f64 v[20:21], v[2:3], v[124:125]
	v_fmac_f64_e32 v[20:21], v[4:5], v[128:129]
	v_add_f64 v[22:23], v[18:19], v[20:21]
	ds_read_b128 v[18:21], v0 offset:1648
	s_waitcnt lgkmcnt(1)
	v_mul_f64 v[24:25], v[14:15], v[134:135]
	v_fmac_f64_e32 v[24:25], v[16:17], v[136:137]
	;; [unrolled: 5-line block ×5, first 2 shown]
	v_add_f64 v[38:39], v[34:35], v[36:37]
	ds_read_b128 v[34:37], v0 offset:1712
	s_waitcnt vmcnt(58) lgkmcnt(1)
	v_mul_f64 v[40:41], v[30:31], v[162:163]
	s_waitcnt vmcnt(56)
	v_fmac_f64_e32 v[40:41], v[32:33], v[166:167]
	v_add_f64 v[42:43], v[38:39], v[40:41]
	ds_read_b128 v[38:41], v0 offset:1728
	s_waitcnt lgkmcnt(1)
	v_mul_f64 v[44:45], v[34:35], v[142:143]
	v_fmac_f64_e32 v[44:45], v[36:37], v[148:149]
	v_add_f64 v[46:47], v[42:43], v[44:45]
	ds_read_b128 v[42:45], v0 offset:1744
	s_waitcnt vmcnt(50) lgkmcnt(1)
	v_mul_f64 v[48:49], v[38:39], v[170:171]
	s_waitcnt vmcnt(48)
	v_fmac_f64_e32 v[48:49], v[40:41], v[174:175]
	v_add_f64 v[50:51], v[46:47], v[48:49]
	ds_read_b128 v[46:49], v0 offset:1760
	buffer_load_dword v213, off, s[0:3], 0 offset:956
	buffer_load_dword v212, off, s[0:3], 0 offset:952
	;; [unrolled: 1-line block ×8, first 2 shown]
	s_waitcnt lgkmcnt(1)
	v_mul_f64 v[52:53], v[42:43], v[150:151]
	v_fmac_f64_e32 v[52:53], v[44:45], v[152:153]
	v_add_f64 v[54:55], v[50:51], v[52:53]
	ds_read_b128 v[50:53], v0 offset:1776
	s_waitcnt vmcnt(50) lgkmcnt(1)
	v_mul_f64 v[56:57], v[46:47], v[178:179]
	s_waitcnt vmcnt(48)
	v_fmac_f64_e32 v[56:57], v[48:49], v[182:183]
	buffer_load_dword v217, off, s[0:3], 0 offset:1004
	buffer_load_dword v223, off, s[0:3], 0 offset:988
	;; [unrolled: 1-line block ×12, first 2 shown]
	v_add_f64 v[58:59], v[54:55], v[56:57]
	ds_read_b128 v[54:57], v0 offset:1792
	s_waitcnt lgkmcnt(1)
	v_mul_f64 v[60:61], v[50:51], v[154:155]
	v_fmac_f64_e32 v[60:61], v[52:53], v[156:157]
	v_add_f64 v[62:63], v[58:59], v[60:61]
	ds_read_b128 v[58:61], v0 offset:1808
	s_waitcnt vmcnt(54) lgkmcnt(1)
	v_mul_f64 v[64:65], v[54:55], v[186:187]
	s_waitcnt vmcnt(52)
	v_fmac_f64_e32 v[64:65], v[56:57], v[192:193]
	v_add_f64 v[66:67], v[62:63], v[64:65]
	ds_read_b128 v[62:65], v0 offset:1824
	s_waitcnt lgkmcnt(1)
	v_mul_f64 v[68:69], v[58:59], v[158:159]
	v_fmac_f64_e32 v[68:69], v[60:61], v[160:161]
	v_add_f64 v[70:71], v[66:67], v[68:69]
	ds_read_b128 v[66:69], v0 offset:1840
	s_waitcnt vmcnt(46) lgkmcnt(1)
	v_mul_f64 v[72:73], v[62:63], v[196:197]
	s_waitcnt vmcnt(44)
	v_fmac_f64_e32 v[72:73], v[64:65], v[198:199]
	v_add_f64 v[78:79], v[70:71], v[72:73]
	ds_read_b128 v[70:73], v0 offset:1856
	ds_read_b128 v[74:77], v0 offset:1872
	s_waitcnt lgkmcnt(2)
	v_mul_f64 v[80:81], v[66:67], v[164:165]
	v_fmac_f64_e32 v[80:81], v[68:69], v[168:169]
	v_add_f64 v[78:79], v[78:79], v[80:81]
	s_waitcnt vmcnt(38) lgkmcnt(1)
	v_mul_f64 v[80:81], v[70:71], v[200:201]
	s_waitcnt vmcnt(36)
	v_fmac_f64_e32 v[80:81], v[72:73], v[202:203]
	v_add_f64 v[78:79], v[78:79], v[80:81]
	s_waitcnt lgkmcnt(0)
	v_mul_f64 v[80:81], v[74:75], v[172:173]
	v_fmac_f64_e32 v[80:81], v[76:77], v[176:177]
	v_add_f64 v[190:191], v[78:79], v[80:81]
	ds_read_b128 v[78:81], v0 offset:1888
	ds_read_b128 v[82:85], v0 offset:1904
	;; [unrolled: 1-line block ×3, first 2 shown]
	v_fma_f64 v[252:253], v[234:235], v[100:101], -v[98:99]
	ds_read_b128 v[98:101], v0 offset:1968
	s_waitcnt vmcnt(30) lgkmcnt(3)
	v_mul_f64 v[90:91], v[78:79], v[204:205]
	s_waitcnt vmcnt(28)
	v_fmac_f64_e32 v[90:91], v[80:81], v[206:207]
	s_waitcnt lgkmcnt(2)
	v_mul_f64 v[92:93], v[82:83], v[180:181]
	v_add_f64 v[90:91], v[190:191], v[90:91]
	v_fmac_f64_e32 v[92:93], v[84:85], v[184:185]
	v_add_f64 v[90:91], v[90:91], v[92:93]
	v_fma_f64 v[190:191], v[114:115], v[96:97], -v[94:95]
	ds_read_b128 v[94:97], v0 offset:1952
	s_waitcnt vmcnt(22) lgkmcnt(2)
	v_mul_f64 v[92:93], v[86:87], v[208:209]
	s_waitcnt vmcnt(20)
	v_fmac_f64_e32 v[92:93], v[88:89], v[210:211]
	v_add_f64 v[106:107], v[90:91], v[92:93]
	ds_read_b128 v[90:93], v0 offset:1936
	buffer_load_dword v232, off, s[0:3], 0 offset:1032
	v_fma_f64 v[238:239], v[238:239], v[104:105], -v[102:103]
	ds_read_b128 v[102:105], v0 offset:1984
	v_fma_f64 v[250:251], v[242:243], v[112:113], -v[110:111]
	s_waitcnt lgkmcnt(1)
	v_mul_f64 v[108:109], v[90:91], v[188:189]
	v_fmac_f64_e32 v[108:109], v[92:93], v[194:195]
	v_add_f64 v[106:107], v[106:107], v[108:109]
	ds_read_b128 v[110:113], v0 offset:2016
	v_mul_f64 v[12:13], v[12:13], v[118:119]
	v_fma_f64 v[10:11], v[10:11], v[120:121], -v[12:13]
	v_mul_f64 v[8:9], v[8:9], v[122:123]
	v_fma_f64 v[6:7], v[6:7], v[126:127], -v[8:9]
	;; [unrolled: 2-line block ×4, first 2 shown]
	s_waitcnt vmcnt(19)
	v_mul_f64 v[108:109], v[94:95], v[212:213]
	s_waitcnt vmcnt(17)
	v_fmac_f64_e32 v[108:109], v[96:97], v[214:215]
	v_add_f64 v[106:107], v[106:107], v[108:109]
	s_waitcnt vmcnt(15)
	v_mul_f64 v[108:109], v[98:99], v[218:219]
	s_waitcnt vmcnt(13)
	v_fmac_f64_e32 v[108:109], v[100:101], v[220:221]
	v_add_f64 v[114:115], v[106:107], v[108:109]
	ds_read_b128 v[106:109], v0 offset:2000
	buffer_load_dword v236, off, s[0:3], 0 offset:1024
	buffer_load_dword v233, off, s[0:3], 0 offset:1036
	;; [unrolled: 1-line block ×3, first 2 shown]
	s_waitcnt vmcnt(13) lgkmcnt(2)
	v_mul_f64 v[116:117], v[102:103], v[222:223]
	s_waitcnt vmcnt(11)
	v_fmac_f64_e32 v[116:117], v[104:105], v[228:229]
	v_add_f64 v[114:115], v[114:115], v[116:117]
	s_waitcnt vmcnt(10) lgkmcnt(0)
	v_mul_f64 v[116:117], v[106:107], v[216:217]
	s_waitcnt vmcnt(8)
	v_fmac_f64_e32 v[116:117], v[108:109], v[226:227]
	v_add_f64 v[114:115], v[114:115], v[116:117]
	s_waitcnt vmcnt(6)
	v_mul_f64 v[116:117], v[110:111], v[224:225]
	s_waitcnt vmcnt(4)
	v_fmac_f64_e32 v[116:117], v[112:113], v[230:231]
	v_add_f64 v[234:235], v[114:115], v[116:117]
	ds_read_b128 v[114:117], v0 offset:2032
	s_waitcnt vmcnt(1) lgkmcnt(0)
	v_mul_f64 v[240:241], v[114:115], v[232:233]
	s_waitcnt vmcnt(0)
	v_fmac_f64_e32 v[240:241], v[116:117], v[236:237]
	v_add_f64 v[234:235], v[234:235], v[240:241]
	v_add_f64 v[240:241], v[246:247], 0
	;; [unrolled: 1-line block ×3, first 2 shown]
	buffer_load_dword v248, off, s[0:3], 0 offset:464
	buffer_load_dword v249, off, s[0:3], 0 offset:468
	;; [unrolled: 1-line block ×4, first 2 shown]
	v_add_f64 v[190:191], v[240:241], v[190:191]
	v_add_f64 v[190:191], v[190:191], v[252:253]
	;; [unrolled: 1-line block ×8, first 2 shown]
	v_mul_f64 v[4:5], v[20:21], v[130:131]
	v_fma_f64 v[4:5], v[18:19], v[132:133], -v[4:5]
	v_add_f64 v[2:3], v[2:3], v[4:5]
	v_mul_f64 v[4:5], v[24:25], v[144:145]
	v_fma_f64 v[4:5], v[22:23], v[146:147], -v[4:5]
	v_add_f64 v[2:3], v[2:3], v[4:5]
	;; [unrolled: 3-line block ×25, first 2 shown]
	s_waitcnt vmcnt(2)
	v_add_f64 v[2:3], v[248:249], -v[2:3]
	s_waitcnt vmcnt(0)
	v_add_f64 v[4:5], v[246:247], -v[234:235]
	buffer_store_dword v3, off, s[0:3], 0 offset:468
	buffer_store_dword v2, off, s[0:3], 0 offset:464
	;; [unrolled: 1-line block ×4, first 2 shown]
	s_and_saveexec_b64 s[4:5], vcc
	s_cbranch_execz .LBB63_355
; %bb.354:
	v_accvgpr_read_b32 v1, a164
	buffer_load_dword v2, v1, s[0:3], 0 offen
	buffer_load_dword v3, v1, s[0:3], 0 offen offset:4
	buffer_load_dword v4, v1, s[0:3], 0 offen offset:8
	;; [unrolled: 1-line block ×3, first 2 shown]
	v_accvgpr_read_b32 v1, a192
	buffer_store_dword v0, off, s[0:3], 0 offset:448
	buffer_store_dword v0, off, s[0:3], 0 offset:452
	;; [unrolled: 1-line block ×4, first 2 shown]
	s_waitcnt vmcnt(4)
	ds_write_b128 v1, v[2:5]
.LBB63_355:
	s_or_b64 exec, exec, s[4:5]
	s_waitcnt lgkmcnt(0)
	; wave barrier
	s_waitcnt lgkmcnt(0)
	buffer_load_dword v84, off, s[0:3], 0 offset:464
	buffer_load_dword v85, off, s[0:3], 0 offset:468
	;; [unrolled: 1-line block ×34, first 2 shown]
	ds_read_b128 v[74:77], v0 offset:1472
	ds_read_b128 v[78:81], v0 offset:1488
	;; [unrolled: 1-line block ×8, first 2 shown]
	buffer_load_dword v125, off, s[0:3], 0 offset:580
	buffer_load_dword v124, off, s[0:3], 0 offset:576
	ds_read_b128 v[6:9], v0 offset:1600
	buffer_load_dword v127, off, s[0:3], 0 offset:636
	buffer_load_dword v126, off, s[0:3], 0 offset:632
	;; [unrolled: 1-line block ×80, first 2 shown]
	s_waitcnt vmcnt(62) lgkmcnt(8)
	v_mul_f64 v[10:11], v[74:75], v[106:107]
	v_fmac_f64_e32 v[10:11], v[76:77], v[84:85]
	v_add_f64 v[10:11], v[10:11], 0
	v_mul_f64 v[76:77], v[76:77], v[106:107]
	s_waitcnt lgkmcnt(7)
	v_mul_f64 v[12:13], v[78:79], v[96:97]
	v_fmac_f64_e32 v[12:13], v[80:81], v[82:83]
	s_waitcnt lgkmcnt(6)
	v_mul_f64 v[14:15], v[86:87], v[94:95]
	v_add_f64 v[10:11], v[10:11], v[12:13]
	s_waitcnt lgkmcnt(4)
	v_mul_f64 v[18:19], v[98:99], v[108:109]
	v_fma_f64 v[238:239], v[74:75], v[84:85], -v[76:77]
	v_fmac_f64_e32 v[18:19], v[100:101], v[114:115]
	v_mul_f64 v[80:81], v[80:81], v[96:97]
	v_mul_f64 v[16:17], v[90:91], v[116:117]
	v_fma_f64 v[240:241], v[78:79], v[82:83], -v[80:81]
	s_waitcnt lgkmcnt(2)
	v_mul_f64 v[22:23], v[110:111], v[232:233]
	v_mul_f64 v[100:101], v[100:101], v[108:109]
	v_fma_f64 v[244:245], v[98:99], v[114:115], -v[100:101]
	v_mul_f64 v[20:21], v[102:103], v[236:237]
	s_waitcnt lgkmcnt(1)
	v_mul_f64 v[24:25], v[2:3], v[118:119]
	v_fmac_f64_e32 v[14:15], v[88:89], v[250:251]
	v_add_f64 v[10:11], v[10:11], v[14:15]
	v_fmac_f64_e32 v[16:17], v[92:93], v[248:249]
	v_add_f64 v[10:11], v[10:11], v[16:17]
	;; [unrolled: 2-line block ×4, first 2 shown]
	v_add_f64 v[10:11], v[10:11], v[22:23]
	s_waitcnt lgkmcnt(0)
	v_mul_f64 v[16:17], v[6:7], v[120:121]
	v_fmac_f64_e32 v[16:17], v[8:9], v[122:123]
	v_fmac_f64_e32 v[24:25], v[4:5], v[124:125]
	v_add_f64 v[14:15], v[10:11], v[24:25]
	ds_read_b128 v[10:13], v0 offset:1616
	v_add_f64 v[18:19], v[14:15], v[16:17]
	ds_read_b128 v[14:17], v0 offset:1632
	v_mul_f64 v[88:89], v[88:89], v[94:95]
	v_mul_f64 v[92:93], v[92:93], v[116:117]
	s_waitcnt lgkmcnt(1)
	v_mul_f64 v[20:21], v[10:11], v[130:131]
	v_fmac_f64_e32 v[20:21], v[12:13], v[132:133]
	s_waitcnt lgkmcnt(0)
	v_mul_f64 v[24:25], v[14:15], v[126:127]
	v_add_f64 v[22:23], v[18:19], v[20:21]
	ds_read_b128 v[18:21], v0 offset:1648
	v_fmac_f64_e32 v[24:25], v[16:17], v[128:129]
	v_add_f64 v[26:27], v[22:23], v[24:25]
	ds_read_b128 v[22:25], v0 offset:1664
	v_fma_f64 v[242:243], v[90:91], v[248:249], -v[92:93]
	s_waitcnt lgkmcnt(1)
	v_mul_f64 v[28:29], v[18:19], v[142:143]
	v_fmac_f64_e32 v[28:29], v[20:21], v[144:145]
	v_add_f64 v[30:31], v[26:27], v[28:29]
	s_waitcnt lgkmcnt(0)
	v_mul_f64 v[32:33], v[22:23], v[134:135]
	ds_read_b128 v[26:29], v0 offset:1680
	v_fmac_f64_e32 v[32:33], v[24:25], v[136:137]
	v_add_f64 v[34:35], v[30:31], v[32:33]
	ds_read_b128 v[30:33], v0 offset:1696
	v_mul_f64 v[104:105], v[104:105], v[236:237]
	s_waitcnt vmcnt(58) lgkmcnt(1)
	v_mul_f64 v[36:37], v[26:27], v[158:159]
	s_waitcnt vmcnt(56)
	v_fmac_f64_e32 v[36:37], v[28:29], v[162:163]
	v_add_f64 v[38:39], v[34:35], v[36:37]
	s_waitcnt lgkmcnt(0)
	v_mul_f64 v[40:41], v[30:31], v[138:139]
	ds_read_b128 v[34:37], v0 offset:1712
	v_fmac_f64_e32 v[40:41], v[32:33], v[140:141]
	v_add_f64 v[42:43], v[38:39], v[40:41]
	ds_read_b128 v[38:41], v0 offset:1728
	v_mul_f64 v[112:113], v[112:113], v[232:233]
	s_waitcnt vmcnt(50) lgkmcnt(1)
	v_mul_f64 v[44:45], v[34:35], v[166:167]
	s_waitcnt vmcnt(48)
	v_fmac_f64_e32 v[44:45], v[36:37], v[170:171]
	v_add_f64 v[46:47], v[42:43], v[44:45]
	s_waitcnt lgkmcnt(0)
	v_mul_f64 v[48:49], v[38:39], v[146:147]
	v_fmac_f64_e32 v[48:49], v[40:41], v[148:149]
	ds_read_b128 v[42:45], v0 offset:1744
	v_add_f64 v[50:51], v[46:47], v[48:49]
	ds_read_b128 v[46:49], v0 offset:1760
	buffer_load_dword v209, off, s[0:3], 0 offset:956
	buffer_load_dword v211, off, s[0:3], 0 offset:940
	;; [unrolled: 1-line block ×12, first 2 shown]
	v_fma_f64 v[252:253], v[110:111], v[234:235], -v[112:113]
	s_waitcnt vmcnt(54) lgkmcnt(1)
	v_mul_f64 v[52:53], v[42:43], v[174:175]
	s_waitcnt vmcnt(52)
	v_fmac_f64_e32 v[52:53], v[44:45], v[178:179]
	v_add_f64 v[54:55], v[50:51], v[52:53]
	ds_read_b128 v[50:53], v0 offset:1776
	s_waitcnt lgkmcnt(1)
	v_mul_f64 v[56:57], v[46:47], v[150:151]
	v_fmac_f64_e32 v[56:57], v[48:49], v[152:153]
	buffer_load_dword v223, off, s[0:3], 0 offset:988
	buffer_load_dword v222, off, s[0:3], 0 offset:984
	;; [unrolled: 1-line block ×12, first 2 shown]
	v_add_f64 v[58:59], v[54:55], v[56:57]
	ds_read_b128 v[54:57], v0 offset:1792
	s_waitcnt vmcnt(58) lgkmcnt(1)
	v_mul_f64 v[60:61], v[50:51], v[182:183]
	s_waitcnt vmcnt(56)
	v_fmac_f64_e32 v[60:61], v[52:53], v[186:187]
	v_add_f64 v[62:63], v[58:59], v[60:61]
	ds_read_b128 v[58:61], v0 offset:1808
	s_waitcnt lgkmcnt(1)
	v_mul_f64 v[64:65], v[54:55], v[154:155]
	v_fmac_f64_e32 v[64:65], v[56:57], v[156:157]
	v_add_f64 v[70:71], v[62:63], v[64:65]
	ds_read_b128 v[62:65], v0 offset:1824
	ds_read_b128 v[66:69], v0 offset:1840
	s_waitcnt vmcnt(50) lgkmcnt(2)
	v_mul_f64 v[72:73], v[58:59], v[192:193]
	s_waitcnt vmcnt(48)
	v_fmac_f64_e32 v[72:73], v[60:61], v[194:195]
	v_add_f64 v[70:71], v[70:71], v[72:73]
	s_waitcnt lgkmcnt(1)
	v_mul_f64 v[72:73], v[62:63], v[160:161]
	v_fmac_f64_e32 v[72:73], v[64:65], v[164:165]
	v_add_f64 v[70:71], v[70:71], v[72:73]
	s_waitcnt vmcnt(42) lgkmcnt(0)
	v_mul_f64 v[72:73], v[66:67], v[196:197]
	s_waitcnt vmcnt(40)
	v_fmac_f64_e32 v[72:73], v[68:69], v[198:199]
	v_add_f64 v[190:191], v[70:71], v[72:73]
	ds_read_b128 v[70:73], v0 offset:1856
	ds_read_b128 v[74:77], v0 offset:1872
	;; [unrolled: 1-line block ×5, first 2 shown]
	s_waitcnt lgkmcnt(4)
	v_mul_f64 v[84:85], v[70:71], v[168:169]
	v_fmac_f64_e32 v[84:85], v[72:73], v[172:173]
	v_add_f64 v[82:83], v[190:191], v[84:85]
	s_waitcnt vmcnt(34) lgkmcnt(3)
	v_mul_f64 v[84:85], v[74:75], v[200:201]
	s_waitcnt vmcnt(32)
	v_fmac_f64_e32 v[84:85], v[76:77], v[202:203]
	v_add_f64 v[82:83], v[82:83], v[84:85]
	v_fma_f64 v[190:191], v[86:87], v[250:251], -v[88:89]
	ds_read_b128 v[86:89], v0 offset:1920
	s_waitcnt lgkmcnt(3)
	v_mul_f64 v[84:85], v[78:79], v[176:177]
	v_fmac_f64_e32 v[84:85], v[80:81], v[180:181]
	v_add_f64 v[96:97], v[82:83], v[84:85]
	ds_read_b128 v[82:85], v0 offset:1904
	v_fma_f64 v[250:251], v[102:103], v[246:247], -v[104:105]
	ds_read_b128 v[110:113], v0 offset:2016
	v_mul_f64 v[4:5], v[4:5], v[118:119]
	v_fma_f64 v[2:3], v[2:3], v[124:125], -v[4:5]
	s_waitcnt vmcnt(26) lgkmcnt(1)
	v_mul_f64 v[94:95], v[82:83], v[204:205]
	s_waitcnt vmcnt(24)
	v_fmac_f64_e32 v[94:95], v[84:85], v[206:207]
	v_add_f64 v[94:95], v[96:97], v[94:95]
	v_mul_f64 v[96:97], v[86:87], v[184:185]
	v_fmac_f64_e32 v[96:97], v[88:89], v[188:189]
	v_add_f64 v[106:107], v[94:95], v[96:97]
	ds_read_b128 v[94:97], v0 offset:1952
	ds_read_b128 v[102:105], v0 offset:2000
	s_waitcnt vmcnt(21)
	v_mul_f64 v[108:109], v[90:91], v[210:211]
	s_waitcnt vmcnt(19)
	v_fmac_f64_e32 v[108:109], v[92:93], v[216:217]
	v_add_f64 v[106:107], v[106:107], v[108:109]
	s_waitcnt vmcnt(18) lgkmcnt(1)
	v_mul_f64 v[108:109], v[94:95], v[208:209]
	s_waitcnt vmcnt(16)
	v_fmac_f64_e32 v[108:109], v[96:97], v[214:215]
	v_add_f64 v[114:115], v[106:107], v[108:109]
	ds_read_b128 v[106:109], v0 offset:1984
	buffer_load_dword v235, off, s[0:3], 0 offset:1036
	buffer_load_dword v234, off, s[0:3], 0 offset:1032
	;; [unrolled: 1-line block ×4, first 2 shown]
	s_waitcnt vmcnt(18)
	v_mul_f64 v[116:117], v[98:99], v[212:213]
	s_waitcnt vmcnt(16)
	v_fmac_f64_e32 v[116:117], v[100:101], v[218:219]
	v_add_f64 v[114:115], v[114:115], v[116:117]
	s_waitcnt vmcnt(14) lgkmcnt(0)
	v_mul_f64 v[116:117], v[106:107], v[222:223]
	s_waitcnt vmcnt(12)
	v_fmac_f64_e32 v[116:117], v[108:109], v[224:225]
	v_add_f64 v[114:115], v[114:115], v[116:117]
	s_waitcnt vmcnt(9)
	v_mul_f64 v[116:117], v[102:103], v[228:229]
	s_waitcnt vmcnt(7)
	v_fmac_f64_e32 v[116:117], v[104:105], v[230:231]
	v_add_f64 v[114:115], v[114:115], v[116:117]
	s_waitcnt vmcnt(5)
	v_mul_f64 v[116:117], v[110:111], v[220:221]
	s_waitcnt vmcnt(4)
	v_fmac_f64_e32 v[116:117], v[112:113], v[226:227]
	v_add_f64 v[232:233], v[114:115], v[116:117]
	ds_read_b128 v[114:117], v0 offset:2032
	buffer_load_dword v248, off, s[0:3], 0 offset:448
	buffer_load_dword v249, off, s[0:3], 0 offset:452
	;; [unrolled: 1-line block ×4, first 2 shown]
	s_waitcnt vmcnt(6) lgkmcnt(0)
	v_mul_f64 v[0:1], v[114:115], v[234:235]
	s_waitcnt vmcnt(4)
	v_fmac_f64_e32 v[0:1], v[116:117], v[236:237]
	v_add_f64 v[232:233], v[232:233], v[0:1]
	v_add_f64 v[0:1], v[238:239], 0
	;; [unrolled: 1-line block ×9, first 2 shown]
	v_mul_f64 v[2:3], v[8:9], v[120:121]
	v_fma_f64 v[2:3], v[6:7], v[122:123], -v[2:3]
	v_add_f64 v[0:1], v[0:1], v[2:3]
	v_mul_f64 v[2:3], v[12:13], v[130:131]
	v_fma_f64 v[2:3], v[10:11], v[132:133], -v[2:3]
	v_add_f64 v[0:1], v[0:1], v[2:3]
	;; [unrolled: 3-line block ×28, first 2 shown]
	s_waitcnt vmcnt(2)
	v_add_f64 v[0:1], v[248:249], -v[0:1]
	s_waitcnt vmcnt(0)
	v_add_f64 v[2:3], v[246:247], -v[232:233]
	buffer_store_dword v1, off, s[0:3], 0 offset:452
	buffer_store_dword v0, off, s[0:3], 0 offset:448
	;; [unrolled: 1-line block ×4, first 2 shown]
	v_accvgpr_read_b32 v0, a191
	v_cmp_lt_u32_e32 vcc, 26, v0
	s_and_saveexec_b64 s[4:5], vcc
	s_cbranch_execz .LBB63_357
; %bb.356:
	v_accvgpr_read_b32 v3, a165
	buffer_load_dword v0, v3, s[0:3], 0 offen
	buffer_load_dword v1, v3, s[0:3], 0 offen offset:4
	buffer_load_dword v2, v3, s[0:3], 0 offen offset:8
	s_nop 0
	buffer_load_dword v3, v3, s[0:3], 0 offen offset:12
	v_mov_b32_e32 v4, 0
	v_accvgpr_read_b32 v5, a192
	buffer_store_dword v4, off, s[0:3], 0 offset:432
	buffer_store_dword v4, off, s[0:3], 0 offset:436
	;; [unrolled: 1-line block ×4, first 2 shown]
	s_waitcnt vmcnt(4)
	ds_write_b128 v5, v[0:3]
.LBB63_357:
	s_or_b64 exec, exec, s[4:5]
	s_waitcnt lgkmcnt(0)
	; wave barrier
	s_waitcnt lgkmcnt(0)
	buffer_load_dword v66, off, s[0:3], 0 offset:448
	buffer_load_dword v67, off, s[0:3], 0 offset:452
	;; [unrolled: 1-line block ×55, first 2 shown]
	v_mov_b32_e32 v0, 0
	ds_read_b128 v[74:77], v0 offset:1456
	ds_read_b128 v[86:89], v0 offset:1472
	;; [unrolled: 1-line block ×9, first 2 shown]
	buffer_load_dword v136, off, s[0:3], 0 offset:672
	buffer_load_dword v155, off, s[0:3], 0 offset:668
	;; [unrolled: 1-line block ×61, first 2 shown]
	v_accvgpr_read_b32 v1, a191
	v_cmp_lt_u32_e32 vcc, 25, v1
	s_waitcnt vmcnt(62) lgkmcnt(8)
	v_mul_f64 v[6:7], v[74:75], v[68:69]
	v_fmac_f64_e32 v[6:7], v[76:77], v[66:67]
	v_add_f64 v[6:7], v[6:7], 0
	v_mul_f64 v[68:69], v[76:77], v[68:69]
	s_waitcnt lgkmcnt(7)
	v_mul_f64 v[8:9], v[86:87], v[72:73]
	v_fmac_f64_e32 v[8:9], v[88:89], v[70:71]
	s_waitcnt lgkmcnt(6)
	v_mul_f64 v[10:11], v[98:99], v[78:79]
	v_add_f64 v[6:7], v[6:7], v[8:9]
	s_waitcnt lgkmcnt(4)
	v_mul_f64 v[14:15], v[114:115], v[90:91]
	v_fma_f64 v[244:245], v[74:75], v[66:67], -v[68:69]
	v_fmac_f64_e32 v[14:15], v[116:117], v[92:93]
	v_mul_f64 v[72:73], v[88:89], v[72:73]
	v_mul_f64 v[12:13], v[110:111], v[82:83]
	;; [unrolled: 1-line block ×3, first 2 shown]
	s_waitcnt lgkmcnt(2)
	v_mul_f64 v[18:19], v[236:237], v[102:103]
	v_mul_f64 v[82:83], v[112:113], v[82:83]
	;; [unrolled: 1-line block ×4, first 2 shown]
	v_fma_f64 v[252:253], v[114:115], v[92:93], -v[90:91]
	s_waitcnt lgkmcnt(1)
	v_mul_f64 v[20:21], v[240:241], v[106:107]
	v_fmac_f64_e32 v[20:21], v[242:243], v[108:109]
	v_fmac_f64_e32 v[10:11], v[100:101], v[80:81]
	v_add_f64 v[6:7], v[6:7], v[10:11]
	v_fmac_f64_e32 v[12:13], v[112:113], v[84:85]
	v_add_f64 v[6:7], v[6:7], v[12:13]
	;; [unrolled: 2-line block ×4, first 2 shown]
	v_add_f64 v[6:7], v[6:7], v[18:19]
	v_add_f64 v[10:11], v[6:7], v[20:21]
	ds_read_b128 v[6:9], v0 offset:1600
	s_waitcnt lgkmcnt(1)
	v_mul_f64 v[12:13], v[2:3], v[118:119]
	v_fmac_f64_e32 v[12:13], v[4:5], v[120:121]
	v_add_f64 v[14:15], v[10:11], v[12:13]
	ds_read_b128 v[10:13], v0 offset:1616
	s_waitcnt lgkmcnt(1)
	v_mul_f64 v[16:17], v[6:7], v[126:127]
	v_fmac_f64_e32 v[16:17], v[8:9], v[128:129]
	;; [unrolled: 5-line block ×5, first 2 shown]
	v_add_f64 v[30:31], v[26:27], v[28:29]
	ds_read_b128 v[26:29], v0 offset:1680
	s_waitcnt vmcnt(58) lgkmcnt(1)
	v_mul_f64 v[32:33], v[22:23], v[154:155]
	s_waitcnt vmcnt(56)
	v_fmac_f64_e32 v[32:33], v[24:25], v[158:159]
	v_add_f64 v[34:35], v[30:31], v[32:33]
	ds_read_b128 v[30:33], v0 offset:1696
	s_waitcnt lgkmcnt(1)
	v_mul_f64 v[36:37], v[26:27], v[134:135]
	v_fmac_f64_e32 v[36:37], v[28:29], v[136:137]
	v_add_f64 v[38:39], v[34:35], v[36:37]
	ds_read_b128 v[34:37], v0 offset:1712
	s_waitcnt vmcnt(50) lgkmcnt(1)
	v_mul_f64 v[40:41], v[30:31], v[162:163]
	s_waitcnt vmcnt(48)
	v_fmac_f64_e32 v[40:41], v[32:33], v[166:167]
	v_add_f64 v[42:43], v[38:39], v[40:41]
	ds_read_b128 v[38:41], v0 offset:1728
	s_waitcnt lgkmcnt(1)
	v_mul_f64 v[44:45], v[34:35], v[142:143]
	v_fmac_f64_e32 v[44:45], v[36:37], v[144:145]
	v_add_f64 v[46:47], v[42:43], v[44:45]
	ds_read_b128 v[42:45], v0 offset:1744
	s_waitcnt vmcnt(42) lgkmcnt(1)
	v_mul_f64 v[48:49], v[38:39], v[170:171]
	s_waitcnt vmcnt(40)
	v_fmac_f64_e32 v[48:49], v[40:41], v[174:175]
	v_add_f64 v[50:51], v[46:47], v[48:49]
	ds_read_b128 v[46:49], v0 offset:1760
	buffer_load_dword v205, off, s[0:3], 0 offset:924
	buffer_load_dword v204, off, s[0:3], 0 offset:920
	;; [unrolled: 1-line block ×4, first 2 shown]
	s_waitcnt lgkmcnt(1)
	v_mul_f64 v[52:53], v[42:43], v[146:147]
	v_fmac_f64_e32 v[52:53], v[44:45], v[148:149]
	v_add_f64 v[54:55], v[50:51], v[52:53]
	ds_read_b128 v[50:53], v0 offset:1776
	buffer_load_dword v209, off, s[0:3], 0 offset:940
	buffer_load_dword v208, off, s[0:3], 0 offset:936
	;; [unrolled: 1-line block ×8, first 2 shown]
	s_waitcnt vmcnt(46) lgkmcnt(1)
	v_mul_f64 v[56:57], v[46:47], v[178:179]
	s_waitcnt vmcnt(44)
	v_fmac_f64_e32 v[56:57], v[48:49], v[182:183]
	v_add_f64 v[58:59], v[54:55], v[56:57]
	ds_read_b128 v[54:57], v0 offset:1792
	buffer_load_dword v219, off, s[0:3], 0 offset:972
	buffer_load_dword v218, off, s[0:3], 0 offset:968
	;; [unrolled: 1-line block ×12, first 2 shown]
	s_waitcnt lgkmcnt(1)
	v_mul_f64 v[60:61], v[50:51], v[150:151]
	v_fmac_f64_e32 v[60:61], v[52:53], v[152:153]
	v_add_f64 v[62:63], v[58:59], v[60:61]
	ds_read_b128 v[58:61], v0 offset:1808
	s_waitcnt vmcnt(50) lgkmcnt(1)
	v_mul_f64 v[64:65], v[54:55], v[186:187]
	s_waitcnt vmcnt(48)
	v_fmac_f64_e32 v[64:65], v[56:57], v[188:189]
	v_add_f64 v[62:63], v[62:63], v[64:65]
	buffer_load_dword v229, off, s[0:3], 0 offset:1020
	buffer_load_dword v228, off, s[0:3], 0 offset:1016
	;; [unrolled: 1-line block ×4, first 2 shown]
	s_waitcnt lgkmcnt(0)
	v_mul_f64 v[64:65], v[58:59], v[156:157]
	v_fmac_f64_e32 v[64:65], v[60:61], v[160:161]
	v_add_f64 v[190:191], v[62:63], v[64:65]
	ds_read_b128 v[62:65], v0 offset:1824
	ds_read_b128 v[66:69], v0 offset:1840
	v_fma_f64 v[246:247], v[98:99], v[80:81], -v[78:79]
	ds_read_b128 v[78:81], v0 offset:1888
	v_fma_f64 v[248:249], v[110:111], v[84:85], -v[82:83]
	ds_read_b128 v[82:85], v0 offset:1904
	s_waitcnt vmcnt(46) lgkmcnt(3)
	v_mul_f64 v[74:75], v[62:63], v[192:193]
	s_waitcnt vmcnt(44)
	v_fmac_f64_e32 v[74:75], v[64:65], v[194:195]
	v_add_f64 v[74:75], v[190:191], v[74:75]
	v_fma_f64 v[190:191], v[86:87], v[70:71], -v[72:73]
	ds_read_b128 v[70:73], v0 offset:1856
	s_waitcnt lgkmcnt(3)
	v_mul_f64 v[76:77], v[66:67], v[164:165]
	v_fmac_f64_e32 v[76:77], v[68:69], v[168:169]
	v_add_f64 v[86:87], v[74:75], v[76:77]
	ds_read_b128 v[74:77], v0 offset:1872
	s_waitcnt vmcnt(38) lgkmcnt(1)
	v_mul_f64 v[88:89], v[70:71], v[196:197]
	s_waitcnt vmcnt(36)
	v_fmac_f64_e32 v[88:89], v[72:73], v[198:199]
	v_add_f64 v[86:87], v[86:87], v[88:89]
	ds_read_b128 v[90:93], v0 offset:1936
	s_waitcnt lgkmcnt(1)
	v_mul_f64 v[88:89], v[74:75], v[172:173]
	v_fmac_f64_e32 v[88:89], v[76:77], v[176:177]
	v_add_f64 v[86:87], v[86:87], v[88:89]
	s_waitcnt vmcnt(30)
	v_mul_f64 v[88:89], v[78:79], v[200:201]
	s_waitcnt vmcnt(28)
	v_fmac_f64_e32 v[88:89], v[80:81], v[202:203]
	v_add_f64 v[86:87], v[86:87], v[88:89]
	v_mul_f64 v[88:89], v[82:83], v[180:181]
	v_fmac_f64_e32 v[88:89], v[84:85], v[184:185]
	v_add_f64 v[98:99], v[86:87], v[88:89]
	ds_read_b128 v[86:89], v0 offset:1920
	v_mul_f64 v[94:95], v[234:235], v[94:95]
	v_fma_f64 v[254:255], v[232:233], v[96:97], -v[94:95]
	ds_read_b128 v[94:97], v0 offset:1952
	v_mul_f64 v[102:103], v[238:239], v[102:103]
	v_fma_f64 v[238:239], v[236:237], v[104:105], -v[102:103]
	;; [unrolled: 3-line block ×3, first 2 shown]
	v_mul_f64 v[4:5], v[4:5], v[118:119]
	v_fma_f64 v[2:3], v[2:3], v[120:121], -v[4:5]
	v_mul_f64 v[4:5], v[8:9], v[126:127]
	v_fma_f64 v[4:5], v[6:7], v[128:129], -v[4:5]
	ds_read_b128 v[106:109], v0 offset:2000
	s_waitcnt vmcnt(26) lgkmcnt(3)
	v_mul_f64 v[100:101], v[86:87], v[204:205]
	s_waitcnt vmcnt(24)
	v_fmac_f64_e32 v[100:101], v[88:89], v[206:207]
	v_add_f64 v[98:99], v[98:99], v[100:101]
	s_waitcnt vmcnt(22)
	v_mul_f64 v[100:101], v[90:91], v[208:209]
	s_waitcnt vmcnt(20)
	v_fmac_f64_e32 v[100:101], v[92:93], v[212:213]
	v_add_f64 v[98:99], v[98:99], v[100:101]
	s_waitcnt vmcnt(18) lgkmcnt(2)
	v_mul_f64 v[100:101], v[94:95], v[210:211]
	s_waitcnt vmcnt(16)
	v_fmac_f64_e32 v[100:101], v[96:97], v[214:215]
	v_add_f64 v[110:111], v[98:99], v[100:101]
	ds_read_b128 v[98:101], v0 offset:1968
	s_waitcnt vmcnt(14) lgkmcnt(0)
	v_mul_f64 v[112:113], v[98:99], v[218:219]
	s_waitcnt vmcnt(12)
	v_fmac_f64_e32 v[112:113], v[100:101], v[220:221]
	v_add_f64 v[110:111], v[110:111], v[112:113]
	s_waitcnt vmcnt(9)
	v_mul_f64 v[112:113], v[102:103], v[224:225]
	s_waitcnt vmcnt(7)
	v_fmac_f64_e32 v[112:113], v[104:105], v[226:227]
	v_add_f64 v[110:111], v[110:111], v[112:113]
	s_waitcnt vmcnt(5)
	v_mul_f64 v[112:113], v[106:107], v[216:217]
	s_waitcnt vmcnt(4)
	v_fmac_f64_e32 v[112:113], v[108:109], v[222:223]
	v_add_f64 v[114:115], v[110:111], v[112:113]
	ds_read_b128 v[110:113], v0 offset:2016
	buffer_load_dword v234, off, s[0:3], 0 offset:1032
	buffer_load_dword v235, off, s[0:3], 0 offset:1036
	;; [unrolled: 1-line block ×4, first 2 shown]
	s_waitcnt vmcnt(6) lgkmcnt(0)
	v_mul_f64 v[116:117], v[110:111], v[228:229]
	s_waitcnt vmcnt(4)
	v_fmac_f64_e32 v[116:117], v[112:113], v[230:231]
	v_add_f64 v[232:233], v[114:115], v[116:117]
	ds_read_b128 v[114:117], v0 offset:2032
	s_waitcnt vmcnt(2) lgkmcnt(0)
	v_mul_f64 v[240:241], v[114:115], v[234:235]
	s_waitcnt vmcnt(0)
	v_fmac_f64_e32 v[240:241], v[116:117], v[236:237]
	v_add_f64 v[232:233], v[232:233], v[240:241]
	v_add_f64 v[240:241], v[244:245], 0
	;; [unrolled: 1-line block ×5, first 2 shown]
	buffer_load_dword v248, off, s[0:3], 0 offset:432
	buffer_load_dword v249, off, s[0:3], 0 offset:436
	;; [unrolled: 1-line block ×4, first 2 shown]
	v_add_f64 v[190:191], v[190:191], v[252:253]
	v_add_f64 v[190:191], v[190:191], v[254:255]
	;; [unrolled: 1-line block ×6, first 2 shown]
	v_mul_f64 v[4:5], v[12:13], v[122:123]
	v_fma_f64 v[4:5], v[10:11], v[124:125], -v[4:5]
	v_add_f64 v[2:3], v[2:3], v[4:5]
	v_mul_f64 v[4:5], v[16:17], v[138:139]
	v_fma_f64 v[4:5], v[14:15], v[140:141], -v[4:5]
	v_add_f64 v[2:3], v[2:3], v[4:5]
	v_mul_f64 v[4:5], v[20:21], v[130:131]
	v_fma_f64 v[4:5], v[18:19], v[132:133], -v[4:5]
	v_add_f64 v[2:3], v[2:3], v[4:5]
	v_mul_f64 v[4:5], v[24:25], v[154:155]
	v_fma_f64 v[4:5], v[22:23], v[158:159], -v[4:5]
	v_add_f64 v[2:3], v[2:3], v[4:5]
	v_mul_f64 v[4:5], v[28:29], v[134:135]
	v_fma_f64 v[4:5], v[26:27], v[136:137], -v[4:5]
	v_add_f64 v[2:3], v[2:3], v[4:5]
	v_mul_f64 v[4:5], v[32:33], v[162:163]
	v_fma_f64 v[4:5], v[30:31], v[166:167], -v[4:5]
	v_add_f64 v[2:3], v[2:3], v[4:5]
	v_mul_f64 v[4:5], v[36:37], v[142:143]
	v_fma_f64 v[4:5], v[34:35], v[144:145], -v[4:5]
	v_add_f64 v[2:3], v[2:3], v[4:5]
	v_mul_f64 v[4:5], v[40:41], v[170:171]
	v_fma_f64 v[4:5], v[38:39], v[174:175], -v[4:5]
	v_add_f64 v[2:3], v[2:3], v[4:5]
	v_mul_f64 v[4:5], v[44:45], v[146:147]
	v_fma_f64 v[4:5], v[42:43], v[148:149], -v[4:5]
	v_add_f64 v[2:3], v[2:3], v[4:5]
	v_mul_f64 v[4:5], v[48:49], v[178:179]
	v_fma_f64 v[4:5], v[46:47], v[182:183], -v[4:5]
	v_add_f64 v[2:3], v[2:3], v[4:5]
	v_mul_f64 v[4:5], v[52:53], v[150:151]
	v_fma_f64 v[4:5], v[50:51], v[152:153], -v[4:5]
	v_add_f64 v[2:3], v[2:3], v[4:5]
	v_mul_f64 v[4:5], v[56:57], v[186:187]
	v_fma_f64 v[4:5], v[54:55], v[188:189], -v[4:5]
	v_add_f64 v[2:3], v[2:3], v[4:5]
	v_mul_f64 v[4:5], v[60:61], v[156:157]
	v_fma_f64 v[4:5], v[58:59], v[160:161], -v[4:5]
	v_add_f64 v[2:3], v[2:3], v[4:5]
	v_mul_f64 v[4:5], v[64:65], v[192:193]
	v_fma_f64 v[4:5], v[62:63], v[194:195], -v[4:5]
	v_add_f64 v[2:3], v[2:3], v[4:5]
	v_mul_f64 v[4:5], v[68:69], v[164:165]
	v_fma_f64 v[4:5], v[66:67], v[168:169], -v[4:5]
	v_add_f64 v[2:3], v[2:3], v[4:5]
	v_mul_f64 v[4:5], v[72:73], v[196:197]
	v_fma_f64 v[4:5], v[70:71], v[198:199], -v[4:5]
	v_add_f64 v[2:3], v[2:3], v[4:5]
	v_mul_f64 v[4:5], v[76:77], v[172:173]
	v_fma_f64 v[4:5], v[74:75], v[176:177], -v[4:5]
	v_add_f64 v[2:3], v[2:3], v[4:5]
	v_mul_f64 v[4:5], v[80:81], v[200:201]
	v_fma_f64 v[4:5], v[78:79], v[202:203], -v[4:5]
	v_add_f64 v[2:3], v[2:3], v[4:5]
	v_mul_f64 v[4:5], v[84:85], v[180:181]
	v_fma_f64 v[4:5], v[82:83], v[184:185], -v[4:5]
	v_add_f64 v[2:3], v[2:3], v[4:5]
	v_mul_f64 v[4:5], v[88:89], v[204:205]
	v_fma_f64 v[4:5], v[86:87], v[206:207], -v[4:5]
	v_add_f64 v[2:3], v[2:3], v[4:5]
	v_mul_f64 v[4:5], v[92:93], v[208:209]
	v_fma_f64 v[4:5], v[90:91], v[212:213], -v[4:5]
	v_add_f64 v[2:3], v[2:3], v[4:5]
	v_mul_f64 v[4:5], v[96:97], v[210:211]
	v_fma_f64 v[4:5], v[94:95], v[214:215], -v[4:5]
	v_add_f64 v[2:3], v[2:3], v[4:5]
	v_mul_f64 v[4:5], v[100:101], v[218:219]
	v_fma_f64 v[4:5], v[98:99], v[220:221], -v[4:5]
	v_add_f64 v[2:3], v[2:3], v[4:5]
	v_mul_f64 v[4:5], v[104:105], v[224:225]
	v_fma_f64 v[4:5], v[102:103], v[226:227], -v[4:5]
	v_add_f64 v[2:3], v[2:3], v[4:5]
	v_mul_f64 v[4:5], v[108:109], v[216:217]
	v_fma_f64 v[4:5], v[106:107], v[222:223], -v[4:5]
	v_add_f64 v[2:3], v[2:3], v[4:5]
	v_mul_f64 v[4:5], v[112:113], v[228:229]
	v_fma_f64 v[4:5], v[110:111], v[230:231], -v[4:5]
	v_add_f64 v[2:3], v[2:3], v[4:5]
	v_mul_f64 v[4:5], v[116:117], v[234:235]
	v_fma_f64 v[4:5], v[114:115], v[236:237], -v[4:5]
	v_add_f64 v[2:3], v[2:3], v[4:5]
	s_waitcnt vmcnt(2)
	v_add_f64 v[2:3], v[248:249], -v[2:3]
	s_waitcnt vmcnt(0)
	v_add_f64 v[4:5], v[246:247], -v[232:233]
	buffer_store_dword v3, off, s[0:3], 0 offset:436
	buffer_store_dword v2, off, s[0:3], 0 offset:432
	;; [unrolled: 1-line block ×4, first 2 shown]
	s_and_saveexec_b64 s[4:5], vcc
	s_cbranch_execz .LBB63_359
; %bb.358:
	v_accvgpr_read_b32 v1, a166
	buffer_load_dword v2, v1, s[0:3], 0 offen
	buffer_load_dword v3, v1, s[0:3], 0 offen offset:4
	buffer_load_dword v4, v1, s[0:3], 0 offen offset:8
	;; [unrolled: 1-line block ×3, first 2 shown]
	v_accvgpr_read_b32 v1, a192
	buffer_store_dword v0, off, s[0:3], 0 offset:416
	buffer_store_dword v0, off, s[0:3], 0 offset:420
	;; [unrolled: 1-line block ×4, first 2 shown]
	s_waitcnt vmcnt(4)
	ds_write_b128 v1, v[2:5]
.LBB63_359:
	s_or_b64 exec, exec, s[4:5]
	s_waitcnt lgkmcnt(0)
	; wave barrier
	s_waitcnt lgkmcnt(0)
	buffer_load_dword v66, off, s[0:3], 0 offset:432
	buffer_load_dword v67, off, s[0:3], 0 offset:436
	;; [unrolled: 1-line block ×42, first 2 shown]
	ds_read_b128 v[78:81], v0 offset:1440
	ds_read_b128 v[90:93], v0 offset:1456
	;; [unrolled: 1-line block ×10, first 2 shown]
	buffer_load_dword v129, off, s[0:3], 0 offset:580
	buffer_load_dword v128, off, s[0:3], 0 offset:576
	ds_read_b128 v[6:9], v0 offset:1600
	buffer_load_dword v125, off, s[0:3], 0 offset:636
	buffer_load_dword v124, off, s[0:3], 0 offset:632
	;; [unrolled: 1-line block ×80, first 2 shown]
	s_waitcnt vmcnt(62) lgkmcnt(10)
	v_mul_f64 v[10:11], v[78:79], v[68:69]
	v_fmac_f64_e32 v[10:11], v[80:81], v[66:67]
	v_add_f64 v[10:11], v[10:11], 0
	v_mul_f64 v[68:69], v[80:81], v[68:69]
	s_waitcnt lgkmcnt(9)
	v_mul_f64 v[12:13], v[90:91], v[64:65]
	v_fmac_f64_e32 v[12:13], v[92:93], v[62:63]
	s_waitcnt lgkmcnt(8)
	v_mul_f64 v[14:15], v[102:103], v[70:71]
	v_add_f64 v[10:11], v[10:11], v[12:13]
	s_waitcnt lgkmcnt(6)
	v_mul_f64 v[18:19], v[114:115], v[82:83]
	v_mul_f64 v[64:65], v[92:93], v[64:65]
	v_fmac_f64_e32 v[18:19], v[116:117], v[84:85]
	v_fma_f64 v[254:255], v[90:91], v[62:63], -v[64:65]
	v_mul_f64 v[16:17], v[110:111], v[74:75]
	v_fma_f64 v[248:249], v[78:79], v[66:67], -v[68:69]
	s_waitcnt lgkmcnt(4)
	v_mul_f64 v[22:23], v[236:237], v[94:95]
	v_mul_f64 v[70:71], v[104:105], v[70:71]
	v_fmac_f64_e32 v[22:23], v[238:239], v[96:97]
	v_mul_f64 v[74:75], v[112:113], v[74:75]
	v_mul_f64 v[20:21], v[232:233], v[86:87]
	;; [unrolled: 1-line block ×3, first 2 shown]
	s_waitcnt lgkmcnt(2)
	v_mul_f64 v[26:27], v[244:245], v[106:107]
	v_fma_f64 v[252:253], v[114:115], v[84:85], -v[82:83]
	v_mul_f64 v[86:87], v[234:235], v[86:87]
	v_mul_f64 v[24:25], v[240:241], v[98:99]
	;; [unrolled: 1-line block ×3, first 2 shown]
	s_waitcnt lgkmcnt(1)
	v_mul_f64 v[28:29], v[2:3], v[118:119]
	v_fma_f64 v[238:239], v[236:237], v[96:97], -v[94:95]
	v_fmac_f64_e32 v[14:15], v[104:105], v[72:73]
	v_add_f64 v[10:11], v[10:11], v[14:15]
	v_fmac_f64_e32 v[16:17], v[112:113], v[76:77]
	v_add_f64 v[10:11], v[10:11], v[16:17]
	;; [unrolled: 2-line block ×3, first 2 shown]
	v_add_f64 v[10:11], v[10:11], v[20:21]
	v_fmac_f64_e32 v[24:25], v[242:243], v[100:101]
	v_add_f64 v[10:11], v[10:11], v[22:23]
	v_fmac_f64_e32 v[26:27], v[246:247], v[108:109]
	v_add_f64 v[10:11], v[10:11], v[24:25]
	v_add_f64 v[10:11], v[10:11], v[26:27]
	s_waitcnt lgkmcnt(0)
	v_mul_f64 v[16:17], v[6:7], v[120:121]
	v_fmac_f64_e32 v[28:29], v[4:5], v[128:129]
	v_add_f64 v[14:15], v[10:11], v[28:29]
	ds_read_b128 v[10:13], v0 offset:1616
	v_fmac_f64_e32 v[16:17], v[8:9], v[122:123]
	v_add_f64 v[18:19], v[14:15], v[16:17]
	ds_read_b128 v[14:17], v0 offset:1632
	v_fma_f64 v[250:251], v[110:111], v[76:77], -v[74:75]
	s_waitcnt lgkmcnt(1)
	v_mul_f64 v[20:21], v[10:11], v[130:131]
	v_fmac_f64_e32 v[20:21], v[12:13], v[146:147]
	v_add_f64 v[22:23], v[18:19], v[20:21]
	ds_read_b128 v[18:21], v0 offset:1648
	s_waitcnt lgkmcnt(1)
	v_mul_f64 v[24:25], v[14:15], v[124:125]
	v_fmac_f64_e32 v[24:25], v[16:17], v[126:127]
	v_add_f64 v[26:27], v[22:23], v[24:25]
	ds_read_b128 v[22:25], v0 offset:1664
	;; [unrolled: 5-line block ×4, first 2 shown]
	s_waitcnt vmcnt(58) lgkmcnt(1)
	v_mul_f64 v[36:37], v[26:27], v[158:159]
	s_waitcnt vmcnt(56)
	v_fmac_f64_e32 v[36:37], v[28:29], v[162:163]
	v_add_f64 v[38:39], v[34:35], v[36:37]
	ds_read_b128 v[34:37], v0 offset:1712
	s_waitcnt lgkmcnt(1)
	v_mul_f64 v[40:41], v[30:31], v[136:137]
	v_fmac_f64_e32 v[40:41], v[32:33], v[138:139]
	v_add_f64 v[42:43], v[38:39], v[40:41]
	ds_read_b128 v[38:41], v0 offset:1728
	s_waitcnt vmcnt(50) lgkmcnt(1)
	v_mul_f64 v[44:45], v[34:35], v[166:167]
	s_waitcnt vmcnt(48)
	v_fmac_f64_e32 v[44:45], v[36:37], v[170:171]
	v_add_f64 v[46:47], v[42:43], v[44:45]
	ds_read_b128 v[42:45], v0 offset:1744
	s_waitcnt lgkmcnt(1)
	v_mul_f64 v[48:49], v[38:39], v[140:141]
	v_fmac_f64_e32 v[48:49], v[40:41], v[142:143]
	v_add_f64 v[50:51], v[46:47], v[48:49]
	ds_read_b128 v[46:49], v0 offset:1760
	s_waitcnt vmcnt(42) lgkmcnt(1)
	v_mul_f64 v[52:53], v[42:43], v[174:175]
	s_waitcnt vmcnt(40)
	v_fmac_f64_e32 v[52:53], v[44:45], v[178:179]
	v_add_f64 v[54:55], v[50:51], v[52:53]
	ds_read_b128 v[50:53], v0 offset:1776
	s_waitcnt lgkmcnt(1)
	v_mul_f64 v[56:57], v[46:47], v[144:145]
	buffer_load_dword v209, off, s[0:3], 0 offset:940
	buffer_load_dword v208, off, s[0:3], 0 offset:936
	;; [unrolled: 1-line block ×4, first 2 shown]
	v_fmac_f64_e32 v[56:57], v[48:49], v[148:149]
	v_add_f64 v[58:59], v[54:55], v[56:57]
	ds_read_b128 v[54:57], v0 offset:1792
	buffer_load_dword v214, off, s[0:3], 0 offset:952
	buffer_load_dword v216, off, s[0:3], 0 offset:944
	;; [unrolled: 1-line block ×16, first 2 shown]
	s_waitcnt vmcnt(54) lgkmcnt(1)
	v_mul_f64 v[60:61], v[50:51], v[182:183]
	s_waitcnt vmcnt(52)
	v_fmac_f64_e32 v[60:61], v[52:53], v[186:187]
	v_add_f64 v[190:191], v[58:59], v[60:61]
	ds_read_b128 v[58:61], v0 offset:1808
	buffer_load_dword v228, off, s[0:3], 0 offset:1016
	buffer_load_dword v230, off, s[0:3], 0 offset:1008
	;; [unrolled: 1-line block ×4, first 2 shown]
	ds_read_b128 v[62:65], v0 offset:1824
	s_waitcnt lgkmcnt(2)
	v_mul_f64 v[66:67], v[54:55], v[152:153]
	v_fmac_f64_e32 v[66:67], v[56:57], v[156:157]
	s_waitcnt vmcnt(50) lgkmcnt(1)
	v_mul_f64 v[68:69], v[58:59], v[192:193]
	v_add_f64 v[66:67], v[190:191], v[66:67]
	s_waitcnt vmcnt(48)
	v_fmac_f64_e32 v[68:69], v[60:61], v[194:195]
	v_add_f64 v[66:67], v[66:67], v[68:69]
	v_fma_f64 v[190:191], v[102:103], v[72:73], -v[70:71]
	ds_read_b128 v[70:73], v0 offset:1856
	s_waitcnt lgkmcnt(1)
	v_mul_f64 v[68:69], v[62:63], v[160:161]
	v_fmac_f64_e32 v[68:69], v[64:65], v[164:165]
	v_add_f64 v[78:79], v[66:67], v[68:69]
	ds_read_b128 v[66:69], v0 offset:1840
	ds_read_b128 v[74:77], v0 offset:1872
	;; [unrolled: 1-line block ×3, first 2 shown]
	v_fma_f64 v[232:233], v[232:233], v[88:89], -v[86:87]
	ds_read_b128 v[86:89], v0 offset:1920
	ds_read_b128 v[94:97], v0 offset:1952
	s_waitcnt vmcnt(42) lgkmcnt(4)
	v_mul_f64 v[80:81], v[66:67], v[196:197]
	s_waitcnt vmcnt(40)
	v_fmac_f64_e32 v[80:81], v[68:69], v[198:199]
	v_add_f64 v[78:79], v[78:79], v[80:81]
	v_mul_f64 v[80:81], v[70:71], v[168:169]
	v_fmac_f64_e32 v[80:81], v[72:73], v[172:173]
	v_add_f64 v[90:91], v[78:79], v[80:81]
	ds_read_b128 v[78:81], v0 offset:1888
	s_waitcnt vmcnt(34) lgkmcnt(4)
	v_mul_f64 v[92:93], v[74:75], v[200:201]
	s_waitcnt vmcnt(32)
	v_fmac_f64_e32 v[92:93], v[76:77], v[202:203]
	v_add_f64 v[90:91], v[90:91], v[92:93]
	v_mul_f64 v[98:99], v[242:243], v[98:99]
	s_waitcnt lgkmcnt(0)
	v_mul_f64 v[92:93], v[78:79], v[176:177]
	v_fmac_f64_e32 v[92:93], v[80:81], v[180:181]
	v_add_f64 v[90:91], v[90:91], v[92:93]
	s_waitcnt vmcnt(26)
	v_mul_f64 v[92:93], v[82:83], v[204:205]
	s_waitcnt vmcnt(24)
	v_fmac_f64_e32 v[92:93], v[84:85], v[206:207]
	v_add_f64 v[90:91], v[90:91], v[92:93]
	v_mul_f64 v[92:93], v[86:87], v[184:185]
	v_fmac_f64_e32 v[92:93], v[88:89], v[188:189]
	v_add_f64 v[102:103], v[90:91], v[92:93]
	ds_read_b128 v[90:93], v0 offset:1936
	v_fma_f64 v[242:243], v[240:241], v[100:101], -v[98:99]
	ds_read_b128 v[98:101], v0 offset:1968
	v_mul_f64 v[106:107], v[246:247], v[106:107]
	v_fma_f64 v[240:241], v[244:245], v[108:109], -v[106:107]
	v_mul_f64 v[4:5], v[4:5], v[118:119]
	v_fma_f64 v[2:3], v[2:3], v[128:129], -v[4:5]
	v_mul_f64 v[4:5], v[8:9], v[120:121]
	v_fma_f64 v[4:5], v[6:7], v[122:123], -v[4:5]
	ds_read_b128 v[106:109], v0 offset:2000
	s_waitcnt vmcnt(13) lgkmcnt(1)
	v_mul_f64 v[112:113], v[98:99], v[218:219]
	v_mul_f64 v[104:105], v[90:91], v[208:209]
	s_waitcnt vmcnt(11)
	v_fmac_f64_e32 v[112:113], v[100:101], v[224:225]
	v_fmac_f64_e32 v[104:105], v[92:93], v[210:211]
	v_add_f64 v[102:103], v[102:103], v[104:105]
	v_mul_f64 v[104:105], v[94:95], v[214:215]
	v_fmac_f64_e32 v[104:105], v[96:97], v[216:217]
	v_add_f64 v[110:111], v[102:103], v[104:105]
	ds_read_b128 v[102:105], v0 offset:1984
	v_add_f64 v[110:111], v[110:111], v[112:113]
	s_waitcnt vmcnt(10) lgkmcnt(0)
	v_mul_f64 v[112:113], v[102:103], v[212:213]
	s_waitcnt vmcnt(8)
	v_fmac_f64_e32 v[112:113], v[104:105], v[222:223]
	v_add_f64 v[110:111], v[110:111], v[112:113]
	s_waitcnt vmcnt(6)
	v_mul_f64 v[112:113], v[106:107], v[220:221]
	s_waitcnt vmcnt(4)
	v_fmac_f64_e32 v[112:113], v[108:109], v[226:227]
	v_add_f64 v[114:115], v[110:111], v[112:113]
	ds_read_b128 v[110:113], v0 offset:2016
	buffer_load_dword v235, off, s[0:3], 0 offset:1036
	buffer_load_dword v234, off, s[0:3], 0 offset:1032
	;; [unrolled: 1-line block ×4, first 2 shown]
	s_waitcnt vmcnt(5) lgkmcnt(0)
	v_mul_f64 v[116:117], v[110:111], v[228:229]
	s_waitcnt vmcnt(4)
	v_fmac_f64_e32 v[116:117], v[112:113], v[230:231]
	v_add_f64 v[244:245], v[114:115], v[116:117]
	ds_read_b128 v[114:117], v0 offset:2032
	s_waitcnt vmcnt(2) lgkmcnt(0)
	v_mul_f64 v[0:1], v[114:115], v[234:235]
	s_waitcnt vmcnt(0)
	v_fmac_f64_e32 v[0:1], v[116:117], v[236:237]
	v_add_f64 v[0:1], v[244:245], v[0:1]
	v_add_f64 v[244:245], v[248:249], 0
	buffer_load_dword v248, off, s[0:3], 0 offset:416
	buffer_load_dword v249, off, s[0:3], 0 offset:420
	;; [unrolled: 1-line block ×4, first 2 shown]
	v_add_f64 v[244:245], v[244:245], v[254:255]
	v_add_f64 v[190:191], v[244:245], v[190:191]
	;; [unrolled: 1-line block ×10, first 2 shown]
	v_mul_f64 v[4:5], v[12:13], v[130:131]
	v_fma_f64 v[4:5], v[10:11], v[146:147], -v[4:5]
	v_add_f64 v[2:3], v[2:3], v[4:5]
	v_mul_f64 v[4:5], v[16:17], v[124:125]
	v_fma_f64 v[4:5], v[14:15], v[126:127], -v[4:5]
	v_add_f64 v[2:3], v[2:3], v[4:5]
	;; [unrolled: 3-line block ×27, first 2 shown]
	s_waitcnt vmcnt(2)
	v_add_f64 v[2:3], v[248:249], -v[2:3]
	s_waitcnt vmcnt(0)
	v_add_f64 v[0:1], v[246:247], -v[0:1]
	buffer_store_dword v3, off, s[0:3], 0 offset:420
	buffer_store_dword v2, off, s[0:3], 0 offset:416
	;; [unrolled: 1-line block ×4, first 2 shown]
	v_accvgpr_read_b32 v0, a191
	v_cmp_lt_u32_e32 vcc, 24, v0
	s_and_saveexec_b64 s[4:5], vcc
	s_cbranch_execz .LBB63_361
; %bb.360:
	v_accvgpr_read_b32 v3, a167
	buffer_load_dword v0, v3, s[0:3], 0 offen
	buffer_load_dword v1, v3, s[0:3], 0 offen offset:4
	buffer_load_dword v2, v3, s[0:3], 0 offen offset:8
	s_nop 0
	buffer_load_dword v3, v3, s[0:3], 0 offen offset:12
	v_mov_b32_e32 v4, 0
	v_accvgpr_read_b32 v5, a192
	buffer_store_dword v4, off, s[0:3], 0 offset:400
	buffer_store_dword v4, off, s[0:3], 0 offset:404
	;; [unrolled: 1-line block ×4, first 2 shown]
	s_waitcnt vmcnt(4)
	ds_write_b128 v5, v[0:3]
.LBB63_361:
	s_or_b64 exec, exec, s[4:5]
	s_waitcnt lgkmcnt(0)
	; wave barrier
	s_waitcnt lgkmcnt(0)
	buffer_load_dword v54, off, s[0:3], 0 offset:416
	buffer_load_dword v55, off, s[0:3], 0 offset:420
	;; [unrolled: 1-line block ×42, first 2 shown]
	v_mov_b32_e32 v190, 0
	s_waitcnt vmcnt(1)
	v_pk_mov_b32 v[2:3], v[0:1], v[0:1] op_sel:[0,1]
	buffer_load_dword v1, off, s[0:3], 0 offset:564
	buffer_load_dword v0, off, s[0:3], 0 offset:560
	;; [unrolled: 1-line block ×7, first 2 shown]
	ds_read_b128 v[62:65], v190 offset:1424
	ds_read_b128 v[74:77], v190 offset:1440
	;; [unrolled: 1-line block ×11, first 2 shown]
	s_waitcnt lgkmcnt(10)
	v_mul_f64 v[6:7], v[62:63], v[56:57]
	s_waitcnt lgkmcnt(9)
	v_mul_f64 v[8:9], v[74:75], v[60:61]
	v_fmac_f64_e32 v[6:7], v[64:65], v[54:55]
	s_waitcnt lgkmcnt(8)
	v_mul_f64 v[10:11], v[86:87], v[66:67]
	v_fmac_f64_e32 v[8:9], v[76:77], v[58:59]
	v_add_f64 v[6:7], v[6:7], 0
	s_waitcnt lgkmcnt(7)
	v_mul_f64 v[12:13], v[98:99], v[70:71]
	v_fmac_f64_e32 v[10:11], v[88:89], v[68:69]
	v_add_f64 v[6:7], v[6:7], v[8:9]
	;; [unrolled: 4-line block ×4, first 2 shown]
	buffer_load_dword v126, off, s[0:3], 0 offset:600
	buffer_load_dword v143, off, s[0:3], 0 offset:596
	;; [unrolled: 1-line block ×75, first 2 shown]
	s_waitcnt lgkmcnt(4)
	v_mul_f64 v[18:19], v[228:229], v[90:91]
	v_fmac_f64_e32 v[16:17], v[114:115], v[84:85]
	v_add_f64 v[6:7], v[6:7], v[14:15]
	s_waitcnt lgkmcnt(3)
	v_mul_f64 v[20:21], v[232:233], v[94:95]
	v_fmac_f64_e32 v[18:19], v[230:231], v[92:93]
	v_add_f64 v[6:7], v[6:7], v[16:17]
	;; [unrolled: 4-line block ×4, first 2 shown]
	v_add_f64 v[6:7], v[6:7], v[22:23]
	s_waitcnt vmcnt(62) lgkmcnt(0)
	v_mul_f64 v[12:13], v[118:119], v[4:5]
	v_fmac_f64_e32 v[12:13], v[120:121], v[2:3]
	v_mul_f64 v[56:57], v[64:65], v[56:57]
	v_fma_f64 v[244:245], v[62:63], v[54:55], -v[56:57]
	v_mul_f64 v[60:61], v[76:77], v[60:61]
	v_fma_f64 v[246:247], v[74:75], v[58:59], -v[60:61]
	;; [unrolled: 2-line block ×6, first 2 shown]
	v_accvgpr_write_b32 a195, v3
	v_mul_f64 v[90:91], v[230:231], v[90:91]
	v_accvgpr_write_b32 a194, v2
	v_fma_f64 v[2:3], v[228:229], v[92:93], -v[90:91]
	v_mul_f64 v[94:95], v[234:235], v[94:95]
	v_fma_f64 v[232:233], v[232:233], v[96:97], -v[94:95]
	v_mul_f64 v[102:103], v[238:239], v[102:103]
	;; [unrolled: 2-line block ×3, first 2 shown]
	v_fmac_f64_e32 v[24:25], v[242:243], v[0:1]
	v_add_f64 v[10:11], v[6:7], v[24:25]
	ds_read_b128 v[6:9], v190 offset:1600
	v_add_f64 v[14:15], v[10:11], v[12:13]
	ds_read_b128 v[10:13], v190 offset:1616
	v_fma_f64 v[0:1], v[240:241], v[0:1], -v[106:107]
	s_waitcnt lgkmcnt(1)
	v_mul_f64 v[16:17], v[6:7], v[126:127]
	v_fmac_f64_e32 v[16:17], v[8:9], v[142:143]
	v_add_f64 v[18:19], v[14:15], v[16:17]
	ds_read_b128 v[14:17], v190 offset:1632
	s_waitcnt lgkmcnt(1)
	v_mul_f64 v[20:21], v[10:11], v[122:123]
	v_fmac_f64_e32 v[20:21], v[12:13], v[124:125]
	v_add_f64 v[22:23], v[18:19], v[20:21]
	ds_read_b128 v[18:21], v190 offset:1648
	;; [unrolled: 5-line block ×4, first 2 shown]
	s_waitcnt vmcnt(58) lgkmcnt(1)
	v_mul_f64 v[32:33], v[22:23], v[154:155]
	s_waitcnt vmcnt(56)
	v_fmac_f64_e32 v[32:33], v[24:25], v[158:159]
	v_add_f64 v[34:35], v[30:31], v[32:33]
	ds_read_b128 v[30:33], v190 offset:1696
	s_waitcnt lgkmcnt(1)
	v_mul_f64 v[36:37], v[26:27], v[132:133]
	v_fmac_f64_e32 v[36:37], v[28:29], v[134:135]
	v_add_f64 v[38:39], v[34:35], v[36:37]
	ds_read_b128 v[34:37], v190 offset:1712
	s_waitcnt vmcnt(50) lgkmcnt(1)
	v_mul_f64 v[40:41], v[30:31], v[162:163]
	s_waitcnt vmcnt(48)
	v_fmac_f64_e32 v[40:41], v[32:33], v[166:167]
	v_add_f64 v[42:43], v[38:39], v[40:41]
	ds_read_b128 v[38:41], v190 offset:1728
	s_waitcnt lgkmcnt(1)
	v_mul_f64 v[44:45], v[34:35], v[136:137]
	v_fmac_f64_e32 v[44:45], v[36:37], v[138:139]
	v_add_f64 v[46:47], v[42:43], v[44:45]
	ds_read_b128 v[42:45], v190 offset:1744
	s_waitcnt vmcnt(42) lgkmcnt(1)
	v_mul_f64 v[48:49], v[38:39], v[170:171]
	s_waitcnt vmcnt(40)
	v_fmac_f64_e32 v[48:49], v[40:41], v[174:175]
	v_add_f64 v[50:51], v[46:47], v[48:49]
	ds_read_b128 v[46:49], v190 offset:1760
	s_waitcnt lgkmcnt(1)
	v_mul_f64 v[52:53], v[42:43], v[140:141]
	buffer_load_dword v205, off, s[0:3], 0 offset:924
	buffer_load_dword v204, off, s[0:3], 0 offset:920
	;; [unrolled: 1-line block ×4, first 2 shown]
	v_fmac_f64_e32 v[52:53], v[44:45], v[144:145]
	v_add_f64 v[116:117], v[50:51], v[52:53]
	ds_read_b128 v[50:53], v190 offset:1776
	buffer_load_dword v208, off, s[0:3], 0 offset:936
	buffer_load_dword v210, off, s[0:3], 0 offset:928
	;; [unrolled: 1-line block ×12, first 2 shown]
	s_waitcnt vmcnt(50) lgkmcnt(1)
	v_mul_f64 v[212:213], v[46:47], v[178:179]
	s_waitcnt vmcnt(48)
	v_fmac_f64_e32 v[212:213], v[48:49], v[182:183]
	v_add_f64 v[116:117], v[116:117], v[212:213]
	buffer_load_dword v212, off, s[0:3], 0 offset:1000
	buffer_load_dword v225, off, s[0:3], 0 offset:988
	;; [unrolled: 1-line block ×8, first 2 shown]
	ds_read_b128 v[54:57], v190 offset:1792
	ds_read_b128 v[58:61], v190 offset:1808
	s_waitcnt lgkmcnt(2)
	v_mul_f64 v[62:63], v[50:51], v[148:149]
	v_fmac_f64_e32 v[62:63], v[52:53], v[152:153]
	v_add_f64 v[62:63], v[116:117], v[62:63]
	s_waitcnt vmcnt(50) lgkmcnt(1)
	v_mul_f64 v[64:65], v[54:55], v[186:187]
	s_waitcnt vmcnt(48)
	v_fmac_f64_e32 v[64:65], v[56:57], v[188:189]
	v_add_f64 v[62:63], v[62:63], v[64:65]
	s_waitcnt lgkmcnt(0)
	v_mul_f64 v[64:65], v[58:59], v[156:157]
	v_fmac_f64_e32 v[64:65], v[60:61], v[160:161]
	v_add_f64 v[74:75], v[62:63], v[64:65]
	ds_read_b128 v[62:65], v190 offset:1824
	ds_read_b128 v[66:69], v190 offset:1840
	;; [unrolled: 1-line block ×5, first 2 shown]
	s_waitcnt vmcnt(42) lgkmcnt(4)
	v_mul_f64 v[76:77], v[62:63], v[192:193]
	s_waitcnt vmcnt(40)
	v_fmac_f64_e32 v[76:77], v[64:65], v[194:195]
	v_add_f64 v[74:75], v[74:75], v[76:77]
	s_waitcnt lgkmcnt(3)
	v_mul_f64 v[76:77], v[66:67], v[164:165]
	v_fmac_f64_e32 v[76:77], v[68:69], v[168:169]
	v_add_f64 v[86:87], v[74:75], v[76:77]
	ds_read_b128 v[74:77], v190 offset:1872
	s_waitcnt vmcnt(34) lgkmcnt(3)
	v_mul_f64 v[88:89], v[70:71], v[196:197]
	s_waitcnt vmcnt(32)
	v_fmac_f64_e32 v[88:89], v[72:73], v[198:199]
	v_add_f64 v[86:87], v[86:87], v[88:89]
	ds_read_b128 v[90:93], v190 offset:1936
	s_waitcnt lgkmcnt(1)
	v_mul_f64 v[88:89], v[74:75], v[172:173]
	v_fmac_f64_e32 v[88:89], v[76:77], v[176:177]
	v_add_f64 v[86:87], v[86:87], v[88:89]
	s_waitcnt vmcnt(26)
	v_mul_f64 v[88:89], v[78:79], v[200:201]
	s_waitcnt vmcnt(24)
	v_fmac_f64_e32 v[88:89], v[80:81], v[202:203]
	v_add_f64 v[86:87], v[86:87], v[88:89]
	v_mul_f64 v[88:89], v[82:83], v[180:181]
	v_fmac_f64_e32 v[88:89], v[84:85], v[184:185]
	v_add_f64 v[98:99], v[86:87], v[88:89]
	ds_read_b128 v[86:89], v190 offset:1920
	ds_read_b128 v[94:97], v190 offset:1952
	;; [unrolled: 1-line block ×3, first 2 shown]
	s_waitcnt vmcnt(22) lgkmcnt(2)
	v_mul_f64 v[100:101], v[86:87], v[204:205]
	s_waitcnt vmcnt(20)
	v_fmac_f64_e32 v[100:101], v[88:89], v[206:207]
	v_add_f64 v[98:99], v[98:99], v[100:101]
	s_waitcnt vmcnt(17)
	v_mul_f64 v[100:101], v[90:91], v[208:209]
	s_waitcnt vmcnt(16)
	v_fmac_f64_e32 v[100:101], v[92:93], v[210:211]
	v_add_f64 v[108:109], v[98:99], v[100:101]
	ds_read_b128 v[98:101], v190 offset:1968
	s_waitcnt vmcnt(14) lgkmcnt(2)
	v_mul_f64 v[110:111], v[94:95], v[214:215]
	s_waitcnt vmcnt(12)
	v_fmac_f64_e32 v[110:111], v[96:97], v[218:219]
	v_add_f64 v[110:111], v[108:109], v[110:111]
	ds_read_b128 v[106:109], v190 offset:2000
	buffer_load_dword v229, off, s[0:3], 0 offset:1020
	buffer_load_dword v228, off, s[0:3], 0 offset:1016
	;; [unrolled: 1-line block ×4, first 2 shown]
	s_waitcnt vmcnt(14) lgkmcnt(1)
	v_mul_f64 v[112:113], v[98:99], v[216:217]
	s_waitcnt vmcnt(12)
	v_fmac_f64_e32 v[112:113], v[100:101], v[220:221]
	v_add_f64 v[110:111], v[110:111], v[112:113]
	s_waitcnt vmcnt(9)
	v_mul_f64 v[112:113], v[102:103], v[224:225]
	s_waitcnt vmcnt(7)
	v_fmac_f64_e32 v[112:113], v[104:105], v[226:227]
	v_add_f64 v[110:111], v[110:111], v[112:113]
	s_waitcnt vmcnt(5) lgkmcnt(0)
	v_mul_f64 v[112:113], v[106:107], v[212:213]
	s_waitcnt vmcnt(4)
	v_fmac_f64_e32 v[112:113], v[108:109], v[222:223]
	v_add_f64 v[114:115], v[110:111], v[112:113]
	ds_read_b128 v[110:113], v190 offset:2016
	buffer_load_dword v234, off, s[0:3], 0 offset:1032
	buffer_load_dword v235, off, s[0:3], 0 offset:1036
	;; [unrolled: 1-line block ×4, first 2 shown]
	s_waitcnt vmcnt(6) lgkmcnt(0)
	v_mul_f64 v[116:117], v[110:111], v[228:229]
	s_waitcnt vmcnt(4)
	v_fmac_f64_e32 v[116:117], v[112:113], v[230:231]
	v_add_f64 v[240:241], v[114:115], v[116:117]
	ds_read_b128 v[114:117], v190 offset:2032
	s_waitcnt vmcnt(2) lgkmcnt(0)
	v_mul_f64 v[242:243], v[114:115], v[234:235]
	s_waitcnt vmcnt(0)
	v_fmac_f64_e32 v[242:243], v[116:117], v[236:237]
	v_add_f64 v[240:241], v[240:241], v[242:243]
	v_add_f64 v[242:243], v[244:245], 0
	v_add_f64 v[242:243], v[242:243], v[246:247]
	v_add_f64 v[242:243], v[242:243], v[248:249]
	buffer_load_dword v248, off, s[0:3], 0 offset:400
	buffer_load_dword v249, off, s[0:3], 0 offset:404
	;; [unrolled: 1-line block ×4, first 2 shown]
	v_add_f64 v[242:243], v[242:243], v[252:253]
	v_add_f64 v[242:243], v[242:243], v[254:255]
	;; [unrolled: 1-line block ×6, first 2 shown]
	v_mul_f64 v[2:3], v[120:121], v[4:5]
	v_accvgpr_read_b32 v4, a194
	v_accvgpr_read_b32 v5, a195
	v_add_f64 v[0:1], v[252:253], v[0:1]
	v_fma_f64 v[2:3], v[118:119], v[4:5], -v[2:3]
	v_add_f64 v[0:1], v[0:1], v[2:3]
	v_mul_f64 v[2:3], v[8:9], v[126:127]
	v_fma_f64 v[2:3], v[6:7], v[142:143], -v[2:3]
	v_add_f64 v[0:1], v[0:1], v[2:3]
	v_mul_f64 v[2:3], v[12:13], v[122:123]
	v_fma_f64 v[2:3], v[10:11], v[124:125], -v[2:3]
	v_add_f64 v[0:1], v[0:1], v[2:3]
	v_mul_f64 v[2:3], v[16:17], v[146:147]
	v_fma_f64 v[2:3], v[14:15], v[150:151], -v[2:3]
	v_add_f64 v[0:1], v[0:1], v[2:3]
	v_mul_f64 v[2:3], v[20:21], v[128:129]
	v_fma_f64 v[2:3], v[18:19], v[130:131], -v[2:3]
	v_add_f64 v[0:1], v[0:1], v[2:3]
	v_mul_f64 v[2:3], v[24:25], v[154:155]
	v_fma_f64 v[2:3], v[22:23], v[158:159], -v[2:3]
	v_add_f64 v[0:1], v[0:1], v[2:3]
	v_mul_f64 v[2:3], v[28:29], v[132:133]
	v_fma_f64 v[2:3], v[26:27], v[134:135], -v[2:3]
	v_add_f64 v[0:1], v[0:1], v[2:3]
	v_mul_f64 v[2:3], v[32:33], v[162:163]
	v_fma_f64 v[2:3], v[30:31], v[166:167], -v[2:3]
	v_add_f64 v[0:1], v[0:1], v[2:3]
	v_mul_f64 v[2:3], v[36:37], v[136:137]
	v_fma_f64 v[2:3], v[34:35], v[138:139], -v[2:3]
	v_add_f64 v[0:1], v[0:1], v[2:3]
	v_mul_f64 v[2:3], v[40:41], v[170:171]
	v_fma_f64 v[2:3], v[38:39], v[174:175], -v[2:3]
	v_add_f64 v[0:1], v[0:1], v[2:3]
	v_mul_f64 v[2:3], v[44:45], v[140:141]
	v_fma_f64 v[2:3], v[42:43], v[144:145], -v[2:3]
	v_add_f64 v[0:1], v[0:1], v[2:3]
	v_mul_f64 v[2:3], v[48:49], v[178:179]
	v_fma_f64 v[2:3], v[46:47], v[182:183], -v[2:3]
	v_add_f64 v[0:1], v[0:1], v[2:3]
	v_mul_f64 v[2:3], v[52:53], v[148:149]
	v_fma_f64 v[2:3], v[50:51], v[152:153], -v[2:3]
	v_add_f64 v[0:1], v[0:1], v[2:3]
	v_mul_f64 v[2:3], v[56:57], v[186:187]
	v_fma_f64 v[2:3], v[54:55], v[188:189], -v[2:3]
	v_add_f64 v[0:1], v[0:1], v[2:3]
	v_mul_f64 v[2:3], v[60:61], v[156:157]
	v_fma_f64 v[2:3], v[58:59], v[160:161], -v[2:3]
	v_add_f64 v[0:1], v[0:1], v[2:3]
	v_mul_f64 v[2:3], v[64:65], v[192:193]
	v_fma_f64 v[2:3], v[62:63], v[194:195], -v[2:3]
	v_add_f64 v[0:1], v[0:1], v[2:3]
	v_mul_f64 v[2:3], v[68:69], v[164:165]
	v_fma_f64 v[2:3], v[66:67], v[168:169], -v[2:3]
	v_add_f64 v[0:1], v[0:1], v[2:3]
	v_mul_f64 v[2:3], v[72:73], v[196:197]
	v_fma_f64 v[2:3], v[70:71], v[198:199], -v[2:3]
	v_add_f64 v[0:1], v[0:1], v[2:3]
	v_mul_f64 v[2:3], v[76:77], v[172:173]
	v_fma_f64 v[2:3], v[74:75], v[176:177], -v[2:3]
	v_add_f64 v[0:1], v[0:1], v[2:3]
	v_mul_f64 v[2:3], v[80:81], v[200:201]
	v_fma_f64 v[2:3], v[78:79], v[202:203], -v[2:3]
	v_add_f64 v[0:1], v[0:1], v[2:3]
	v_mul_f64 v[2:3], v[84:85], v[180:181]
	v_fma_f64 v[2:3], v[82:83], v[184:185], -v[2:3]
	v_add_f64 v[0:1], v[0:1], v[2:3]
	v_mul_f64 v[2:3], v[88:89], v[204:205]
	v_fma_f64 v[2:3], v[86:87], v[206:207], -v[2:3]
	v_add_f64 v[0:1], v[0:1], v[2:3]
	v_mul_f64 v[2:3], v[92:93], v[208:209]
	v_fma_f64 v[2:3], v[90:91], v[210:211], -v[2:3]
	v_add_f64 v[0:1], v[0:1], v[2:3]
	v_mul_f64 v[2:3], v[96:97], v[214:215]
	v_fma_f64 v[2:3], v[94:95], v[218:219], -v[2:3]
	v_add_f64 v[0:1], v[0:1], v[2:3]
	v_mul_f64 v[2:3], v[100:101], v[216:217]
	v_fma_f64 v[2:3], v[98:99], v[220:221], -v[2:3]
	v_add_f64 v[0:1], v[0:1], v[2:3]
	v_mul_f64 v[2:3], v[104:105], v[224:225]
	v_fma_f64 v[2:3], v[102:103], v[226:227], -v[2:3]
	v_add_f64 v[0:1], v[0:1], v[2:3]
	v_mul_f64 v[2:3], v[108:109], v[212:213]
	v_fma_f64 v[2:3], v[106:107], v[222:223], -v[2:3]
	v_add_f64 v[0:1], v[0:1], v[2:3]
	v_mul_f64 v[2:3], v[112:113], v[228:229]
	v_fma_f64 v[2:3], v[110:111], v[230:231], -v[2:3]
	v_add_f64 v[0:1], v[0:1], v[2:3]
	v_mul_f64 v[2:3], v[116:117], v[234:235]
	v_fma_f64 v[2:3], v[114:115], v[236:237], -v[2:3]
	v_add_f64 v[0:1], v[0:1], v[2:3]
	s_waitcnt vmcnt(2)
	v_add_f64 v[0:1], v[248:249], -v[0:1]
	s_waitcnt vmcnt(0)
	v_add_f64 v[2:3], v[246:247], -v[240:241]
	buffer_store_dword v1, off, s[0:3], 0 offset:404
	buffer_store_dword v0, off, s[0:3], 0 offset:400
	;; [unrolled: 1-line block ×4, first 2 shown]
	v_accvgpr_read_b32 v0, a191
	v_cmp_lt_u32_e32 vcc, 23, v0
	s_and_saveexec_b64 s[4:5], vcc
	s_cbranch_execz .LBB63_363
; %bb.362:
	v_accvgpr_read_b32 v3, a168
	buffer_load_dword v0, v3, s[0:3], 0 offen
	buffer_load_dword v1, v3, s[0:3], 0 offen offset:4
	buffer_load_dword v2, v3, s[0:3], 0 offen offset:8
	s_nop 0
	buffer_load_dword v3, v3, s[0:3], 0 offen offset:12
	v_accvgpr_read_b32 v4, a192
	buffer_store_dword v190, off, s[0:3], 0 offset:384
	buffer_store_dword v190, off, s[0:3], 0 offset:388
	;; [unrolled: 1-line block ×4, first 2 shown]
	s_waitcnt vmcnt(4)
	ds_write_b128 v4, v[0:3]
.LBB63_363:
	s_or_b64 exec, exec, s[4:5]
	s_waitcnt lgkmcnt(0)
	; wave barrier
	s_waitcnt lgkmcnt(0)
	buffer_load_dword v56, off, s[0:3], 0 offset:400
	buffer_load_dword v57, off, s[0:3], 0 offset:404
	;; [unrolled: 1-line block ×42, first 2 shown]
	ds_read_b128 v[78:81], v190 offset:1408
	ds_read_b128 v[90:93], v190 offset:1424
	;; [unrolled: 1-line block ×10, first 2 shown]
	buffer_load_dword v1, off, s[0:3], 0 offset:548
	buffer_load_dword v0, off, s[0:3], 0 offset:544
	ds_read_b128 v[106:109], v190 offset:1568
	buffer_load_dword v3, off, s[0:3], 0 offset:604
	buffer_load_dword v2, off, s[0:3], 0 offset:600
	s_waitcnt vmcnt(38) lgkmcnt(9)
	v_mul_f64 v[4:5], v[90:91], v[62:63]
	v_fmac_f64_e32 v[4:5], v[92:93], v[54:55]
	s_waitcnt vmcnt(36) lgkmcnt(8)
	v_mul_f64 v[6:7], v[114:115], v[58:59]
	v_mul_f64 v[58:59], v[116:117], v[58:59]
	s_waitcnt vmcnt(34) lgkmcnt(6)
	v_mul_f64 v[10:11], v[232:233], v[70:71]
	v_mul_f64 v[70:71], v[234:235], v[70:71]
	s_waitcnt vmcnt(32)
	v_fmac_f64_e32 v[10:11], v[234:235], v[72:73]
	s_waitcnt vmcnt(30)
	v_mul_f64 v[8:9], v[228:229], v[64:65]
	s_waitcnt vmcnt(28) lgkmcnt(4)
	v_mul_f64 v[14:15], v[240:241], v[82:83]
	v_mul_f64 v[82:83], v[242:243], v[82:83]
	s_waitcnt vmcnt(26)
	v_fmac_f64_e32 v[14:15], v[242:243], v[84:85]
	v_fma_f64 v[242:243], v[240:241], v[84:85], -v[82:83]
	s_waitcnt vmcnt(24)
	v_mul_f64 v[12:13], v[236:237], v[74:75]
	v_mul_f64 v[74:75], v[238:239], v[74:75]
	s_waitcnt vmcnt(22) lgkmcnt(2)
	v_mul_f64 v[18:19], v[248:249], v[94:95]
	v_mul_f64 v[94:95], v[250:251], v[94:95]
	s_waitcnt vmcnt(19)
	v_mul_f64 v[16:17], v[244:245], v[86:87]
	v_mul_f64 v[86:87], v[246:247], v[86:87]
	s_waitcnt vmcnt(17) lgkmcnt(1)
	v_mul_f64 v[20:21], v[98:99], v[102:103]
	s_waitcnt vmcnt(15)
	v_fmac_f64_e32 v[6:7], v[116:117], v[68:69]
	s_waitcnt vmcnt(13)
	v_fmac_f64_e32 v[8:9], v[230:231], v[66:67]
	;; [unrolled: 2-line block ×5, first 2 shown]
	v_fma_f64 v[244:245], v[244:245], v[88:89], -v[86:87]
	v_fma_f64 v[246:247], v[248:249], v[96:97], -v[94:95]
	s_waitcnt vmcnt(2)
	v_fmac_f64_e32 v[20:21], v[100:101], v[0:1]
	v_mul_f64 v[100:101], v[100:101], v[102:103]
	s_waitcnt vmcnt(0)
	v_pk_mov_b32 v[22:23], v[2:3], v[2:3] op_sel:[0,1]
	buffer_load_dword v3, off, s[0:3], 0 offset:596
	buffer_load_dword v2, off, s[0:3], 0 offset:592
	buffer_load_dword v123, off, s[0:3], 0 offset:588
	buffer_load_dword v122, off, s[0:3], 0 offset:584
	buffer_load_dword v139, off, s[0:3], 0 offset:580
	buffer_load_dword v138, off, s[0:3], 0 offset:576
	buffer_load_dword v125, off, s[0:3], 0 offset:636
	buffer_load_dword v124, off, s[0:3], 0 offset:632
	buffer_load_dword v127, off, s[0:3], 0 offset:628
	buffer_load_dword v126, off, s[0:3], 0 offset:624
	buffer_load_dword v143, off, s[0:3], 0 offset:620
	buffer_load_dword v142, off, s[0:3], 0 offset:616
	buffer_load_dword v147, off, s[0:3], 0 offset:612
	buffer_load_dword v146, off, s[0:3], 0 offset:608
	buffer_load_dword v129, off, s[0:3], 0 offset:668
	buffer_load_dword v128, off, s[0:3], 0 offset:664
	buffer_load_dword v131, off, s[0:3], 0 offset:660
	buffer_load_dword v130, off, s[0:3], 0 offset:656
	buffer_load_dword v151, off, s[0:3], 0 offset:652
	buffer_load_dword v150, off, s[0:3], 0 offset:648
	buffer_load_dword v155, off, s[0:3], 0 offset:644
	buffer_load_dword v154, off, s[0:3], 0 offset:640
	buffer_load_dword v133, off, s[0:3], 0 offset:700
	buffer_load_dword v132, off, s[0:3], 0 offset:696
	buffer_load_dword v135, off, s[0:3], 0 offset:692
	buffer_load_dword v134, off, s[0:3], 0 offset:688
	buffer_load_dword v159, off, s[0:3], 0 offset:684
	buffer_load_dword v158, off, s[0:3], 0 offset:680
	buffer_load_dword v163, off, s[0:3], 0 offset:676
	buffer_load_dword v162, off, s[0:3], 0 offset:672
	buffer_load_dword v137, off, s[0:3], 0 offset:732
	buffer_load_dword v136, off, s[0:3], 0 offset:728
	buffer_load_dword v141, off, s[0:3], 0 offset:724
	buffer_load_dword v140, off, s[0:3], 0 offset:720
	buffer_load_dword v167, off, s[0:3], 0 offset:716
	buffer_load_dword v166, off, s[0:3], 0 offset:712
	buffer_load_dword v171, off, s[0:3], 0 offset:708
	buffer_load_dword v170, off, s[0:3], 0 offset:704
	buffer_load_dword v145, off, s[0:3], 0 offset:764
	buffer_load_dword v144, off, s[0:3], 0 offset:760
	buffer_load_dword v149, off, s[0:3], 0 offset:756
	buffer_load_dword v148, off, s[0:3], 0 offset:752
	buffer_load_dword v175, off, s[0:3], 0 offset:748
	buffer_load_dword v174, off, s[0:3], 0 offset:744
	buffer_load_dword v179, off, s[0:3], 0 offset:740
	buffer_load_dword v178, off, s[0:3], 0 offset:736
	buffer_load_dword v153, off, s[0:3], 0 offset:796
	buffer_load_dword v152, off, s[0:3], 0 offset:792
	buffer_load_dword v157, off, s[0:3], 0 offset:788
	buffer_load_dword v156, off, s[0:3], 0 offset:784
	buffer_load_dword v183, off, s[0:3], 0 offset:780
	buffer_load_dword v182, off, s[0:3], 0 offset:776
	buffer_load_dword v185, off, s[0:3], 0 offset:772
	buffer_load_dword v184, off, s[0:3], 0 offset:768
	buffer_load_dword v161, off, s[0:3], 0 offset:828
	buffer_load_dword v160, off, s[0:3], 0 offset:824
	buffer_load_dword v165, off, s[0:3], 0 offset:820
	buffer_load_dword v164, off, s[0:3], 0 offset:816
	buffer_load_dword v187, off, s[0:3], 0 offset:812
	buffer_load_dword v186, off, s[0:3], 0 offset:808
	buffer_load_dword v189, off, s[0:3], 0 offset:804
	buffer_load_dword v188, off, s[0:3], 0 offset:800
	buffer_load_dword v169, off, s[0:3], 0 offset:860
	buffer_load_dword v168, off, s[0:3], 0 offset:856
	buffer_load_dword v173, off, s[0:3], 0 offset:852
	buffer_load_dword v172, off, s[0:3], 0 offset:848
	buffer_load_dword v193, off, s[0:3], 0 offset:844
	buffer_load_dword v192, off, s[0:3], 0 offset:840
	buffer_load_dword v195, off, s[0:3], 0 offset:836
	buffer_load_dword v194, off, s[0:3], 0 offset:832
	buffer_load_dword v177, off, s[0:3], 0 offset:892
	buffer_load_dword v176, off, s[0:3], 0 offset:888
	buffer_load_dword v181, off, s[0:3], 0 offset:884
	buffer_load_dword v180, off, s[0:3], 0 offset:880
	buffer_load_dword v197, off, s[0:3], 0 offset:876
	buffer_load_dword v196, off, s[0:3], 0 offset:872
	buffer_load_dword v199, off, s[0:3], 0 offset:868
	buffer_load_dword v198, off, s[0:3], 0 offset:864
	ds_read_b128 v[118:121], v190 offset:1584
	v_accvgpr_write_b32 a195, v23
	v_accvgpr_write_b32 a194, v22
	v_fma_f64 v[250:251], v[98:99], v[0:1], -v[100:101]
	s_waitcnt vmcnt(62)
	v_pk_mov_b32 v[24:25], v[2:3], v[2:3] op_sel:[0,1]
	v_mul_f64 v[2:3], v[78:79], v[60:61]
	v_fmac_f64_e32 v[2:3], v[80:81], v[56:57]
	v_add_f64 v[2:3], v[2:3], 0
	v_add_f64 v[2:3], v[2:3], v[4:5]
	;; [unrolled: 1-line block ×9, first 2 shown]
	s_waitcnt lgkmcnt(1)
	v_mul_f64 v[8:9], v[106:107], v[110:111]
	v_add_f64 v[6:7], v[2:3], v[20:21]
	v_fmac_f64_e32 v[8:9], v[108:109], v[112:113]
	v_add_f64 v[10:11], v[6:7], v[8:9]
	ds_read_b128 v[6:9], v190 offset:1600
	s_waitcnt lgkmcnt(1)
	v_mul_f64 v[12:13], v[118:119], v[122:123]
	v_fmac_f64_e32 v[12:13], v[120:121], v[138:139]
	v_add_f64 v[14:15], v[10:11], v[12:13]
	ds_read_b128 v[10:13], v190 offset:1616
	s_waitcnt lgkmcnt(1)
	v_mul_f64 v[16:17], v[6:7], v[22:23]
	v_fmac_f64_e32 v[16:17], v[8:9], v[24:25]
	v_add_f64 v[18:19], v[14:15], v[16:17]
	ds_read_b128 v[14:17], v190 offset:1632
	s_waitcnt lgkmcnt(1)
	v_mul_f64 v[20:21], v[10:11], v[142:143]
	v_accvgpr_write_b32 a197, v25
	v_fmac_f64_e32 v[20:21], v[12:13], v[146:147]
	v_accvgpr_write_b32 a196, v24
	v_add_f64 v[22:23], v[18:19], v[20:21]
	ds_read_b128 v[18:21], v190 offset:1648
	s_waitcnt lgkmcnt(1)
	v_mul_f64 v[24:25], v[14:15], v[124:125]
	v_fmac_f64_e32 v[24:25], v[16:17], v[126:127]
	v_add_f64 v[26:27], v[22:23], v[24:25]
	ds_read_b128 v[22:25], v190 offset:1664
	s_waitcnt vmcnt(58) lgkmcnt(1)
	v_mul_f64 v[28:29], v[18:19], v[150:151]
	s_waitcnt vmcnt(56)
	v_fmac_f64_e32 v[28:29], v[20:21], v[154:155]
	v_add_f64 v[30:31], v[26:27], v[28:29]
	ds_read_b128 v[26:29], v190 offset:1680
	s_waitcnt lgkmcnt(1)
	v_mul_f64 v[32:33], v[22:23], v[128:129]
	v_fmac_f64_e32 v[32:33], v[24:25], v[130:131]
	v_add_f64 v[34:35], v[30:31], v[32:33]
	ds_read_b128 v[30:33], v190 offset:1696
	s_waitcnt vmcnt(50) lgkmcnt(1)
	v_mul_f64 v[36:37], v[26:27], v[158:159]
	s_waitcnt vmcnt(48)
	v_fmac_f64_e32 v[36:37], v[28:29], v[162:163]
	;; [unrolled: 11-line block ×4, first 2 shown]
	v_add_f64 v[104:105], v[50:51], v[52:53]
	ds_read_b128 v[50:53], v190 offset:1776
	buffer_load_dword v200, off, s[0:3], 0 offset:920
	buffer_load_dword v205, off, s[0:3], 0 offset:908
	;; [unrolled: 1-line block ×8, first 2 shown]
	s_waitcnt lgkmcnt(1)
	v_mul_f64 v[208:209], v[46:47], v[144:145]
	v_fmac_f64_e32 v[208:209], v[48:49], v[148:149]
	v_add_f64 v[104:105], v[104:105], v[208:209]
	buffer_load_dword v209, off, s[0:3], 0 offset:940
	buffer_load_dword v208, off, s[0:3], 0 offset:936
	;; [unrolled: 1-line block ×20, first 2 shown]
	v_mul_f64 v[60:61], v[80:81], v[60:61]
	s_waitcnt vmcnt(54) lgkmcnt(0)
	v_mul_f64 v[252:253], v[50:51], v[182:183]
	v_fma_f64 v[254:255], v[78:79], v[56:57], -v[60:61]
	v_mul_f64 v[56:57], v[92:93], v[62:63]
	v_fma_f64 v[2:3], v[90:91], v[54:55], -v[56:57]
	s_waitcnt vmcnt(52)
	v_fmac_f64_e32 v[252:253], v[52:53], v[184:185]
	ds_read_b128 v[54:57], v190 offset:1792
	v_add_f64 v[4:5], v[104:105], v[252:253]
	v_fma_f64 v[252:253], v[114:115], v[68:69], -v[58:59]
	ds_read_b128 v[58:61], v190 offset:1808
	v_mul_f64 v[62:63], v[230:231], v[64:65]
	v_fma_f64 v[90:91], v[228:229], v[66:67], -v[62:63]
	ds_read_b128 v[62:65], v190 offset:1824
	s_waitcnt lgkmcnt(2)
	v_mul_f64 v[68:69], v[54:55], v[152:153]
	v_fmac_f64_e32 v[68:69], v[56:57], v[156:157]
	s_waitcnt vmcnt(46) lgkmcnt(1)
	v_mul_f64 v[66:67], v[58:59], v[186:187]
	v_add_f64 v[4:5], v[4:5], v[68:69]
	s_waitcnt vmcnt(44)
	v_fmac_f64_e32 v[66:67], v[60:61], v[188:189]
	v_add_f64 v[4:5], v[4:5], v[66:67]
	v_fma_f64 v[92:93], v[232:233], v[72:73], -v[70:71]
	ds_read_b128 v[70:73], v190 offset:1856
	s_waitcnt lgkmcnt(1)
	v_mul_f64 v[66:67], v[62:63], v[160:161]
	v_fmac_f64_e32 v[66:67], v[64:65], v[164:165]
	v_add_f64 v[4:5], v[4:5], v[66:67]
	ds_read_b128 v[66:69], v190 offset:1840
	v_fma_f64 v[232:233], v[236:237], v[76:77], -v[74:75]
	ds_read_b128 v[74:77], v190 offset:1872
	ds_read_b128 v[82:85], v190 offset:1904
	;; [unrolled: 1-line block ×4, first 2 shown]
	s_waitcnt vmcnt(38) lgkmcnt(4)
	v_mul_f64 v[78:79], v[66:67], v[192:193]
	s_waitcnt vmcnt(36)
	v_fmac_f64_e32 v[78:79], v[68:69], v[194:195]
	v_add_f64 v[4:5], v[4:5], v[78:79]
	v_mul_f64 v[78:79], v[70:71], v[168:169]
	v_fmac_f64_e32 v[78:79], v[72:73], v[172:173]
	v_add_f64 v[4:5], v[4:5], v[78:79]
	s_waitcnt vmcnt(30) lgkmcnt(3)
	v_mul_f64 v[78:79], v[74:75], v[196:197]
	s_waitcnt vmcnt(28)
	v_fmac_f64_e32 v[78:79], v[76:77], v[198:199]
	v_add_f64 v[4:5], v[4:5], v[78:79]
	ds_read_b128 v[78:81], v190 offset:1888
	ds_read_b128 v[94:97], v190 offset:1952
	;; [unrolled: 1-line block ×3, first 2 shown]
	s_waitcnt lgkmcnt(2)
	v_mul_f64 v[104:105], v[78:79], v[176:177]
	v_fmac_f64_e32 v[104:105], v[80:81], v[180:181]
	v_add_f64 v[4:5], v[4:5], v[104:105]
	s_waitcnt vmcnt(25)
	v_mul_f64 v[104:105], v[82:83], v[204:205]
	s_waitcnt vmcnt(23)
	v_fmac_f64_e32 v[104:105], v[84:85], v[206:207]
	v_add_f64 v[4:5], v[4:5], v[104:105]
	s_waitcnt vmcnt(21)
	v_mul_f64 v[104:105], v[86:87], v[200:201]
	s_waitcnt vmcnt(20)
	;; [unrolled: 5-line block ×3, first 2 shown]
	v_fmac_f64_e32 v[104:105], v[240:241], v[210:211]
	v_add_f64 v[0:1], v[4:5], v[104:105]
	s_waitcnt vmcnt(14) lgkmcnt(1)
	v_mul_f64 v[4:5], v[94:95], v[214:215]
	s_waitcnt vmcnt(12)
	v_fmac_f64_e32 v[4:5], v[96:97], v[216:217]
	ds_read_b128 v[102:105], v190 offset:1984
	v_add_f64 v[4:5], v[0:1], v[4:5]
	v_mul_f64 v[0:1], v[108:109], v[110:111]
	v_fma_f64 v[0:1], v[106:107], v[112:113], -v[0:1]
	ds_read_b128 v[106:109], v190 offset:2000
	buffer_load_dword v228, off, s[0:3], 0 offset:1016
	buffer_load_dword v229, off, s[0:3], 0 offset:1020
	;; [unrolled: 1-line block ×4, first 2 shown]
	s_waitcnt vmcnt(13) lgkmcnt(2)
	v_mul_f64 v[110:111], v[98:99], v[220:221]
	s_waitcnt vmcnt(11)
	v_fmac_f64_e32 v[110:111], v[100:101], v[224:225]
	v_add_f64 v[4:5], v[4:5], v[110:111]
	s_waitcnt vmcnt(9) lgkmcnt(1)
	v_mul_f64 v[110:111], v[102:103], v[212:213]
	s_waitcnt vmcnt(8)
	v_fmac_f64_e32 v[110:111], v[104:105], v[218:219]
	v_add_f64 v[4:5], v[4:5], v[110:111]
	;; [unrolled: 5-line block ×3, first 2 shown]
	ds_read_b128 v[110:113], v190 offset:2016
	buffer_load_dword v235, off, s[0:3], 0 offset:1036
	buffer_load_dword v234, off, s[0:3], 0 offset:1032
	;; [unrolled: 1-line block ×4, first 2 shown]
	s_waitcnt vmcnt(6) lgkmcnt(0)
	v_mul_f64 v[114:115], v[110:111], v[228:229]
	s_waitcnt vmcnt(4)
	v_fmac_f64_e32 v[114:115], v[112:113], v[230:231]
	v_add_f64 v[4:5], v[4:5], v[114:115]
	ds_read_b128 v[114:117], v190 offset:2032
	s_waitcnt vmcnt(2) lgkmcnt(0)
	v_mul_f64 v[190:191], v[114:115], v[234:235]
	s_waitcnt vmcnt(0)
	v_fmac_f64_e32 v[190:191], v[116:117], v[236:237]
	v_add_f64 v[4:5], v[4:5], v[190:191]
	v_add_f64 v[190:191], v[254:255], 0
	;; [unrolled: 1-line block ×10, first 2 shown]
	buffer_load_dword v248, off, s[0:3], 0 offset:384
	buffer_load_dword v249, off, s[0:3], 0 offset:388
	;; [unrolled: 1-line block ×4, first 2 shown]
	v_add_f64 v[2:3], v[254:255], v[250:251]
	v_add_f64 v[0:1], v[2:3], v[0:1]
	v_mul_f64 v[2:3], v[120:121], v[122:123]
	v_fma_f64 v[2:3], v[118:119], v[138:139], -v[2:3]
	v_add_f64 v[0:1], v[0:1], v[2:3]
	v_accvgpr_read_b32 v2, a194
	v_accvgpr_read_b32 v3, a195
	v_mul_f64 v[2:3], v[8:9], v[2:3]
	v_accvgpr_read_b32 v8, a196
	v_accvgpr_read_b32 v9, a197
	v_fma_f64 v[2:3], v[6:7], v[8:9], -v[2:3]
	v_add_f64 v[0:1], v[0:1], v[2:3]
	v_mul_f64 v[2:3], v[12:13], v[142:143]
	v_fma_f64 v[2:3], v[10:11], v[146:147], -v[2:3]
	v_add_f64 v[0:1], v[0:1], v[2:3]
	v_mul_f64 v[2:3], v[16:17], v[124:125]
	;; [unrolled: 3-line block ×27, first 2 shown]
	v_fma_f64 v[2:3], v[114:115], v[236:237], -v[2:3]
	v_add_f64 v[0:1], v[0:1], v[2:3]
	s_waitcnt vmcnt(2)
	v_add_f64 v[0:1], v[248:249], -v[0:1]
	s_waitcnt vmcnt(0)
	v_add_f64 v[2:3], v[246:247], -v[4:5]
	buffer_store_dword v1, off, s[0:3], 0 offset:388
	buffer_store_dword v0, off, s[0:3], 0 offset:384
	;; [unrolled: 1-line block ×4, first 2 shown]
	v_accvgpr_read_b32 v0, a191
	v_cmp_lt_u32_e32 vcc, 22, v0
	s_and_saveexec_b64 s[4:5], vcc
	s_cbranch_execz .LBB63_365
; %bb.364:
	v_accvgpr_read_b32 v3, a169
	buffer_load_dword v0, v3, s[0:3], 0 offen
	buffer_load_dword v1, v3, s[0:3], 0 offen offset:4
	buffer_load_dword v2, v3, s[0:3], 0 offen offset:8
	s_nop 0
	buffer_load_dword v3, v3, s[0:3], 0 offen offset:12
	v_mov_b32_e32 v4, 0
	v_accvgpr_read_b32 v5, a192
	buffer_store_dword v4, off, s[0:3], 0 offset:368
	buffer_store_dword v4, off, s[0:3], 0 offset:372
	;; [unrolled: 1-line block ×4, first 2 shown]
	s_waitcnt vmcnt(4)
	ds_write_b128 v5, v[0:3]
.LBB63_365:
	s_or_b64 exec, exec, s[4:5]
	s_waitcnt lgkmcnt(0)
	; wave barrier
	s_waitcnt lgkmcnt(0)
	buffer_load_dword v54, off, s[0:3], 0 offset:384
	buffer_load_dword v55, off, s[0:3], 0 offset:388
	;; [unrolled: 1-line block ×46, first 2 shown]
	v_mov_b32_e32 v190, 0
	s_waitcnt vmcnt(0)
	v_pk_mov_b32 v[22:23], v[2:3], v[2:3] op_sel:[0,1]
	buffer_load_dword v3, off, s[0:3], 0 offset:580
	buffer_load_dword v2, off, s[0:3], 0 offset:576
	buffer_load_dword v107, off, s[0:3], 0 offset:572
	ds_read_b128 v[92:95], v190 offset:1392
	ds_read_b128 v[108:111], v190 offset:1408
	;; [unrolled: 1-line block ×11, first 2 shown]
	s_waitcnt lgkmcnt(9)
	v_mul_f64 v[4:5], v[108:109], v[62:63]
	v_fmac_f64_e32 v[4:5], v[110:111], v[58:59]
	s_waitcnt lgkmcnt(8)
	v_mul_f64 v[6:7], v[112:113], v[60:61]
	s_waitcnt lgkmcnt(7)
	v_mul_f64 v[8:9], v[224:225], v[68:69]
	v_fmac_f64_e32 v[6:7], v[114:115], v[84:85]
	s_waitcnt lgkmcnt(6)
	v_mul_f64 v[10:11], v[228:229], v[64:65]
	v_fmac_f64_e32 v[8:9], v[226:227], v[82:83]
	;; [unrolled: 3-line block ×7, first 2 shown]
	v_fmac_f64_e32 v[20:21], v[250:251], v[0:1]
	v_accvgpr_write_b32 a195, v23
	v_accvgpr_write_b32 a194, v22
	v_mul_f64 v[62:63], v[110:111], v[62:63]
	v_mul_f64 v[74:75], v[238:239], v[74:75]
	;; [unrolled: 1-line block ×4, first 2 shown]
	v_fma_f64 v[246:247], v[244:245], v[88:89], -v[86:87]
	v_mul_f64 v[90:91], v[250:251], v[90:91]
	v_fma_f64 v[248:249], v[248:249], v[0:1], -v[90:91]
	s_waitcnt vmcnt(1)
	v_pk_mov_b32 v[24:25], v[2:3], v[2:3] op_sel:[0,1]
	v_mul_f64 v[2:3], v[92:93], v[56:57]
	v_fmac_f64_e32 v[2:3], v[94:95], v[54:55]
	v_add_f64 v[2:3], v[2:3], 0
	v_add_f64 v[2:3], v[2:3], v[4:5]
	buffer_load_dword v106, off, s[0:3], 0 offset:568
	buffer_load_dword v117, off, s[0:3], 0 offset:564
	;; [unrolled: 1-line block ×75, first 2 shown]
	v_add_f64 v[2:3], v[2:3], v[6:7]
	v_add_f64 v[2:3], v[2:3], v[8:9]
	;; [unrolled: 1-line block ×3, first 2 shown]
	ds_read_b128 v[252:255], v190 offset:1568
	ds_read_b128 v[118:121], v190 offset:1584
	v_add_f64 v[2:3], v[2:3], v[12:13]
	v_add_f64 v[2:3], v[2:3], v[14:15]
	;; [unrolled: 1-line block ×5, first 2 shown]
	s_waitcnt lgkmcnt(0)
	v_mul_f64 v[12:13], v[118:119], v[22:23]
	ds_read_b128 v[196:199], v190 offset:1600
	v_fmac_f64_e32 v[12:13], v[120:121], v[24:25]
	v_accvgpr_write_b32 a197, v25
	v_accvgpr_write_b32 a196, v24
	v_mul_f64 v[56:57], v[94:95], v[56:57]
	s_waitcnt vmcnt(62)
	v_mul_f64 v[8:9], v[252:253], v[106:107]
	v_mul_f64 v[90:91], v[254:255], v[106:107]
	v_fmac_f64_e32 v[8:9], v[254:255], v[116:117]
	v_fma_f64 v[250:251], v[252:253], v[116:117], -v[90:91]
	v_pk_mov_b32 v[26:27], v[4:5], v[4:5] op_sel:[0,1]
	v_mul_f64 v[4:5], v[98:99], v[102:103]
	v_fmac_f64_e32 v[4:5], v[100:101], v[104:105]
	v_add_f64 v[6:7], v[2:3], v[4:5]
	v_add_f64 v[10:11], v[6:7], v[8:9]
	;; [unrolled: 1-line block ×3, first 2 shown]
	ds_read_b128 v[10:13], v190 offset:1616
	s_waitcnt lgkmcnt(1)
	v_mul_f64 v[16:17], v[196:197], v[138:139]
	v_fmac_f64_e32 v[16:17], v[198:199], v[142:143]
	v_add_f64 v[18:19], v[14:15], v[16:17]
	ds_read_b128 v[14:17], v190 offset:1632
	s_waitcnt lgkmcnt(1)
	v_mul_f64 v[20:21], v[10:11], v[26:27]
	v_fmac_f64_e32 v[20:21], v[12:13], v[124:125]
	v_add_f64 v[22:23], v[18:19], v[20:21]
	ds_read_b128 v[18:21], v190 offset:1648
	s_waitcnt vmcnt(58) lgkmcnt(1)
	v_mul_f64 v[24:25], v[14:15], v[146:147]
	v_accvgpr_write_b32 a199, v27
	s_waitcnt vmcnt(56)
	v_fmac_f64_e32 v[24:25], v[16:17], v[150:151]
	v_accvgpr_write_b32 a198, v26
	s_waitcnt lgkmcnt(0)
	v_mul_f64 v[28:29], v[18:19], v[126:127]
	v_add_f64 v[26:27], v[22:23], v[24:25]
	ds_read_b128 v[22:25], v190 offset:1664
	v_fmac_f64_e32 v[28:29], v[20:21], v[128:129]
	v_add_f64 v[30:31], v[26:27], v[28:29]
	ds_read_b128 v[26:29], v190 offset:1680
	v_fma_f64 v[6:7], v[92:93], v[54:55], -v[56:57]
	s_waitcnt vmcnt(50) lgkmcnt(1)
	v_mul_f64 v[32:33], v[22:23], v[154:155]
	s_waitcnt vmcnt(48)
	v_fmac_f64_e32 v[32:33], v[24:25], v[158:159]
	v_add_f64 v[34:35], v[30:31], v[32:33]
	s_waitcnt lgkmcnt(0)
	v_mul_f64 v[36:37], v[26:27], v[130:131]
	ds_read_b128 v[30:33], v190 offset:1696
	v_fmac_f64_e32 v[36:37], v[28:29], v[132:133]
	v_add_f64 v[38:39], v[34:35], v[36:37]
	ds_read_b128 v[34:37], v190 offset:1712
	v_fma_f64 v[92:93], v[108:109], v[58:59], -v[62:63]
	s_waitcnt vmcnt(42) lgkmcnt(1)
	v_mul_f64 v[40:41], v[30:31], v[162:163]
	s_waitcnt vmcnt(40)
	v_fmac_f64_e32 v[40:41], v[32:33], v[166:167]
	v_add_f64 v[42:43], v[38:39], v[40:41]
	s_waitcnt lgkmcnt(0)
	v_mul_f64 v[44:45], v[34:35], v[134:135]
	ds_read_b128 v[38:41], v190 offset:1728
	v_fmac_f64_e32 v[44:45], v[36:37], v[136:137]
	v_add_f64 v[46:47], v[42:43], v[44:45]
	ds_read_b128 v[42:45], v190 offset:1744
	v_mul_f64 v[58:59], v[114:115], v[60:61]
	s_waitcnt vmcnt(34) lgkmcnt(1)
	v_mul_f64 v[48:49], v[38:39], v[170:171]
	s_waitcnt vmcnt(32)
	v_fmac_f64_e32 v[48:49], v[40:41], v[174:175]
	v_add_f64 v[50:51], v[46:47], v[48:49]
	s_waitcnt lgkmcnt(0)
	v_mul_f64 v[52:53], v[42:43], v[140:141]
	v_fmac_f64_e32 v[52:53], v[44:45], v[144:145]
	ds_read_b128 v[46:49], v190 offset:1760
	v_add_f64 v[96:97], v[50:51], v[52:53]
	ds_read_b128 v[50:53], v190 offset:1776
	buffer_load_dword v9, off, s[0:3], 0 offset:892
	buffer_load_dword v8, off, s[0:3], 0 offset:888
	;; [unrolled: 1-line block ×8, first 2 shown]
	s_waitcnt vmcnt(34) lgkmcnt(1)
	v_mul_f64 v[200:201], v[46:47], v[178:179]
	s_waitcnt vmcnt(32)
	v_fmac_f64_e32 v[200:201], v[48:49], v[180:181]
	v_add_f64 v[96:97], v[96:97], v[200:201]
	buffer_load_dword v201, off, s[0:3], 0 offset:940
	buffer_load_dword v207, off, s[0:3], 0 offset:924
	;; [unrolled: 1-line block ×8, first 2 shown]
	ds_read_b128 v[54:57], v190 offset:1792
	buffer_load_dword v213, off, s[0:3], 0 offset:956
	buffer_load_dword v212, off, s[0:3], 0 offset:952
	;; [unrolled: 1-line block ×4, first 2 shown]
	s_waitcnt lgkmcnt(1)
	v_mul_f64 v[4:5], v[50:51], v[148:149]
	buffer_load_dword v216, off, s[0:3], 0 offset:968
	buffer_load_dword v218, off, s[0:3], 0 offset:960
	;; [unrolled: 1-line block ×8, first 2 shown]
	v_fma_f64 v[94:95], v[112:113], v[84:85], -v[58:59]
	v_fmac_f64_e32 v[4:5], v[52:53], v[152:153]
	v_mul_f64 v[58:59], v[226:227], v[68:69]
	v_add_f64 v[4:5], v[96:97], v[4:5]
	v_fma_f64 v[96:97], v[224:225], v[82:83], -v[58:59]
	buffer_load_dword v224, off, s[0:3], 0 offset:1000
	buffer_load_dword v226, off, s[0:3], 0 offset:992
	buffer_load_dword v225, off, s[0:3], 0 offset:1004
	buffer_load_dword v227, off, s[0:3], 0 offset:996
	s_waitcnt vmcnt(50) lgkmcnt(0)
	v_mul_f64 v[58:59], v[54:55], v[182:183]
	s_waitcnt vmcnt(48)
	v_fmac_f64_e32 v[58:59], v[56:57], v[184:185]
	v_add_f64 v[4:5], v[4:5], v[58:59]
	ds_read_b128 v[58:61], v190 offset:1808
	v_mul_f64 v[62:63], v[230:231], v[64:65]
	v_fma_f64 v[228:229], v[228:229], v[66:67], -v[62:63]
	ds_read_b128 v[62:65], v190 offset:1824
	v_mul_f64 v[66:67], v[234:235], v[70:71]
	v_fma_f64 v[232:233], v[232:233], v[72:73], -v[66:67]
	ds_read_b128 v[66:69], v190 offset:1840
	s_waitcnt lgkmcnt(2)
	v_mul_f64 v[82:83], v[58:59], v[156:157]
	v_fmac_f64_e32 v[82:83], v[60:61], v[160:161]
	s_waitcnt vmcnt(42) lgkmcnt(1)
	v_mul_f64 v[70:71], v[62:63], v[186:187]
	v_add_f64 v[4:5], v[4:5], v[82:83]
	s_waitcnt vmcnt(40)
	v_fmac_f64_e32 v[70:71], v[64:65], v[188:189]
	v_add_f64 v[4:5], v[4:5], v[70:71]
	v_fma_f64 v[230:231], v[236:237], v[76:77], -v[74:75]
	ds_read_b128 v[74:77], v190 offset:1872
	s_waitcnt lgkmcnt(1)
	v_mul_f64 v[70:71], v[66:67], v[164:165]
	v_fmac_f64_e32 v[70:71], v[68:69], v[168:169]
	v_add_f64 v[4:5], v[4:5], v[70:71]
	ds_read_b128 v[70:73], v190 offset:1856
	v_fma_f64 v[234:235], v[240:241], v[80:81], -v[78:79]
	ds_read_b128 v[78:81], v190 offset:1888
	ds_read_b128 v[238:241], v190 offset:1936
	;; [unrolled: 1-line block ×3, first 2 shown]
	s_waitcnt vmcnt(34) lgkmcnt(3)
	v_mul_f64 v[82:83], v[70:71], v[192:193]
	s_waitcnt vmcnt(32)
	v_fmac_f64_e32 v[82:83], v[72:73], v[194:195]
	v_add_f64 v[4:5], v[4:5], v[82:83]
	v_mul_f64 v[82:83], v[74:75], v[172:173]
	v_fmac_f64_e32 v[82:83], v[76:77], v[176:177]
	v_add_f64 v[4:5], v[4:5], v[82:83]
	v_add_f64 v[6:7], v[6:7], 0
	;; [unrolled: 1-line block ×11, first 2 shown]
	v_accvgpr_read_b32 v92, a196
	v_accvgpr_read_b32 v93, a197
	ds_read_b128 v[86:89], v190 offset:1920
	s_waitcnt vmcnt(30) lgkmcnt(3)
	v_mul_f64 v[82:83], v[78:79], v[8:9]
	s_waitcnt vmcnt(28)
	v_fmac_f64_e32 v[82:83], v[80:81], v[122:123]
	v_add_f64 v[4:5], v[4:5], v[82:83]
	ds_read_b128 v[82:85], v190 offset:1904
	s_waitcnt vmcnt(25) lgkmcnt(0)
	v_mul_f64 v[108:109], v[82:83], v[202:203]
	s_waitcnt vmcnt(24)
	v_fmac_f64_e32 v[108:109], v[84:85], v[204:205]
	v_add_f64 v[0:1], v[4:5], v[108:109]
	s_waitcnt vmcnt(21)
	v_mul_f64 v[4:5], v[86:87], v[206:207]
	s_waitcnt vmcnt(19)
	v_fmac_f64_e32 v[4:5], v[88:89], v[210:211]
	v_add_f64 v[0:1], v[0:1], v[4:5]
	s_waitcnt vmcnt(18)
	v_mul_f64 v[4:5], v[238:239], v[200:201]
	s_waitcnt vmcnt(16)
	v_fmac_f64_e32 v[4:5], v[240:241], v[208:209]
	v_add_f64 v[0:1], v[0:1], v[4:5]
	v_mul_f64 v[4:5], v[100:101], v[102:103]
	v_fma_f64 v[2:3], v[98:99], v[104:105], -v[4:5]
	ds_read_b128 v[98:101], v190 offset:1968
	ds_read_b128 v[102:105], v190 offset:1984
	s_waitcnt vmcnt(14)
	v_mul_f64 v[4:5], v[242:243], v[212:213]
	s_waitcnt vmcnt(12)
	v_fmac_f64_e32 v[4:5], v[244:245], v[214:215]
	ds_read_b128 v[106:109], v190 offset:2000
	v_add_f64 v[0:1], v[0:1], v[4:5]
	s_waitcnt vmcnt(9) lgkmcnt(2)
	v_mul_f64 v[4:5], v[98:99], v[216:217]
	s_waitcnt vmcnt(8)
	v_fmac_f64_e32 v[4:5], v[100:101], v[218:219]
	v_add_f64 v[0:1], v[0:1], v[4:5]
	s_waitcnt vmcnt(6) lgkmcnt(1)
	v_mul_f64 v[4:5], v[102:103], v[220:221]
	s_waitcnt vmcnt(4)
	v_fmac_f64_e32 v[4:5], v[104:105], v[222:223]
	;; [unrolled: 5-line block ×3, first 2 shown]
	v_add_f64 v[4:5], v[0:1], v[4:5]
	buffer_load_dword v1, off, s[0:3], 0 offset:1020
	buffer_load_dword v0, off, s[0:3], 0 offset:1016
	;; [unrolled: 1-line block ×4, first 2 shown]
	ds_read_b128 v[110:113], v190 offset:2016
	buffer_load_dword v254, off, s[0:3], 0 offset:1032
	buffer_load_dword v255, off, s[0:3], 0 offset:1036
	;; [unrolled: 1-line block ×4, first 2 shown]
	s_waitcnt vmcnt(6) lgkmcnt(0)
	v_mul_f64 v[114:115], v[110:111], v[0:1]
	v_mul_f64 v[0:1], v[112:113], v[0:1]
	s_waitcnt vmcnt(4)
	v_fmac_f64_e32 v[114:115], v[112:113], v[90:91]
	v_add_f64 v[4:5], v[4:5], v[114:115]
	ds_read_b128 v[114:117], v190 offset:2032
	buffer_load_dword v248, off, s[0:3], 0 offset:368
	buffer_load_dword v249, off, s[0:3], 0 offset:372
	buffer_load_dword v246, off, s[0:3], 0 offset:376
	buffer_load_dword v247, off, s[0:3], 0 offset:380
	v_fma_f64 v[0:1], v[110:111], v[90:91], -v[0:1]
	s_waitcnt vmcnt(6) lgkmcnt(0)
	v_mul_f64 v[252:253], v[114:115], v[254:255]
	s_waitcnt vmcnt(4)
	v_fmac_f64_e32 v[252:253], v[116:117], v[236:237]
	v_add_f64 v[4:5], v[4:5], v[252:253]
	v_add_f64 v[252:253], v[6:7], v[2:3]
	v_accvgpr_read_b32 v6, a194
	v_accvgpr_read_b32 v7, a195
	v_mul_f64 v[6:7], v[120:121], v[6:7]
	v_add_f64 v[2:3], v[252:253], v[250:251]
	v_fma_f64 v[6:7], v[118:119], v[92:93], -v[6:7]
	v_add_f64 v[2:3], v[2:3], v[6:7]
	v_mul_f64 v[6:7], v[198:199], v[138:139]
	v_fma_f64 v[6:7], v[196:197], v[142:143], -v[6:7]
	v_add_f64 v[2:3], v[2:3], v[6:7]
	v_accvgpr_read_b32 v6, a198
	v_accvgpr_read_b32 v7, a199
	v_mul_f64 v[6:7], v[12:13], v[6:7]
	v_fma_f64 v[6:7], v[10:11], v[124:125], -v[6:7]
	v_add_f64 v[2:3], v[2:3], v[6:7]
	v_mul_f64 v[6:7], v[16:17], v[146:147]
	v_fma_f64 v[6:7], v[14:15], v[150:151], -v[6:7]
	v_add_f64 v[2:3], v[2:3], v[6:7]
	;; [unrolled: 3-line block ×25, first 2 shown]
	v_add_f64 v[0:1], v[2:3], v[0:1]
	v_mul_f64 v[2:3], v[116:117], v[254:255]
	v_fma_f64 v[2:3], v[114:115], v[236:237], -v[2:3]
	v_add_f64 v[0:1], v[0:1], v[2:3]
	s_waitcnt vmcnt(2)
	v_add_f64 v[0:1], v[248:249], -v[0:1]
	s_waitcnt vmcnt(0)
	v_add_f64 v[2:3], v[246:247], -v[4:5]
	buffer_store_dword v1, off, s[0:3], 0 offset:372
	buffer_store_dword v0, off, s[0:3], 0 offset:368
	;; [unrolled: 1-line block ×4, first 2 shown]
	v_accvgpr_read_b32 v0, a191
	v_cmp_lt_u32_e32 vcc, 21, v0
	s_and_saveexec_b64 s[4:5], vcc
	s_cbranch_execz .LBB63_367
; %bb.366:
	v_accvgpr_read_b32 v3, a170
	buffer_load_dword v0, v3, s[0:3], 0 offen
	buffer_load_dword v1, v3, s[0:3], 0 offen offset:4
	buffer_load_dword v2, v3, s[0:3], 0 offen offset:8
	s_nop 0
	buffer_load_dword v3, v3, s[0:3], 0 offen offset:12
	v_accvgpr_read_b32 v4, a192
	buffer_store_dword v190, off, s[0:3], 0 offset:352
	buffer_store_dword v190, off, s[0:3], 0 offset:356
	;; [unrolled: 1-line block ×4, first 2 shown]
	s_waitcnt vmcnt(4)
	ds_write_b128 v4, v[0:3]
.LBB63_367:
	s_or_b64 exec, exec, s[4:5]
	s_waitcnt lgkmcnt(0)
	; wave barrier
	s_waitcnt lgkmcnt(0)
	buffer_load_dword v58, off, s[0:3], 0 offset:368
	buffer_load_dword v59, off, s[0:3], 0 offset:372
	;; [unrolled: 1-line block ×42, first 2 shown]
	ds_read_b128 v[108:111], v190 offset:1376
	ds_read_b128 v[112:115], v190 offset:1392
	;; [unrolled: 1-line block ×10, first 2 shown]
	buffer_load_dword v117, off, s[0:3], 0 offset:516
	buffer_load_dword v116, off, s[0:3], 0 offset:512
	ds_read_b128 v[90:93], v190 offset:1536
	buffer_load_dword v105, off, s[0:3], 0 offset:572
	buffer_load_dword v104, off, s[0:3], 0 offset:568
	;; [unrolled: 1-line block ×6, first 2 shown]
	s_waitcnt vmcnt(46) lgkmcnt(10)
	v_mul_f64 v[2:3], v[108:109], v[60:61]
	v_fmac_f64_e32 v[2:3], v[110:111], v[58:59]
	v_add_f64 v[2:3], v[2:3], 0
	v_mul_f64 v[60:61], v[110:111], v[60:61]
	s_waitcnt vmcnt(42) lgkmcnt(9)
	v_mul_f64 v[4:5], v[112:113], v[62:63]
	v_fmac_f64_e32 v[4:5], v[114:115], v[56:57]
	v_add_f64 v[2:3], v[2:3], v[4:5]
	buffer_load_dword v249, off, s[0:3], 0 offset:548
	buffer_load_dword v248, off, s[0:3], 0 offset:544
	buffer_load_dword v5, off, s[0:3], 0 offset:604
	buffer_load_dword v4, off, s[0:3], 0 offset:600
	s_waitcnt vmcnt(44) lgkmcnt(8)
	v_mul_f64 v[6:7], v[212:213], v[220:221]
	s_waitcnt vmcnt(42) lgkmcnt(6)
	v_mul_f64 v[10:11], v[224:225], v[64:65]
	s_waitcnt vmcnt(40)
	v_fmac_f64_e32 v[10:11], v[226:227], v[66:67]
	s_waitcnt vmcnt(38)
	v_mul_f64 v[8:9], v[216:217], v[68:69]
	s_waitcnt vmcnt(36) lgkmcnt(4)
	v_mul_f64 v[14:15], v[232:233], v[70:71]
	s_waitcnt vmcnt(34)
	v_fmac_f64_e32 v[14:15], v[234:235], v[72:73]
	s_waitcnt vmcnt(32)
	v_mul_f64 v[12:13], v[228:229], v[74:75]
	s_waitcnt vmcnt(30) lgkmcnt(2)
	v_mul_f64 v[18:19], v[240:241], v[78:79]
	v_mul_f64 v[78:79], v[242:243], v[78:79]
	s_waitcnt vmcnt(27)
	v_mul_f64 v[16:17], v[236:237], v[76:77]
	s_waitcnt vmcnt(25) lgkmcnt(1)
	v_mul_f64 v[20:21], v[82:83], v[86:87]
	s_waitcnt vmcnt(23)
	v_fmac_f64_e32 v[6:7], v[214:215], v[100:101]
	v_add_f64 v[2:3], v[2:3], v[6:7]
	s_waitcnt vmcnt(21)
	v_fmac_f64_e32 v[8:9], v[218:219], v[98:99]
	v_add_f64 v[2:3], v[2:3], v[8:9]
	;; [unrolled: 3-line block ×3, first 2 shown]
	v_add_f64 v[2:3], v[2:3], v[12:13]
	s_waitcnt vmcnt(17)
	v_fmac_f64_e32 v[16:17], v[238:239], v[88:89]
	v_add_f64 v[2:3], v[2:3], v[14:15]
	s_waitcnt vmcnt(16)
	v_fmac_f64_e32 v[18:19], v[242:243], v[80:81]
	v_add_f64 v[2:3], v[2:3], v[16:17]
	v_add_f64 v[2:3], v[2:3], v[18:19]
	s_waitcnt vmcnt(10)
	v_fmac_f64_e32 v[20:21], v[84:85], v[116:117]
	v_add_f64 v[2:3], v[2:3], v[20:21]
	v_mul_f64 v[84:85], v[84:85], v[86:87]
	s_waitcnt vmcnt(0)
	v_pk_mov_b32 v[18:19], v[4:5], v[4:5] op_sel:[0,1]
	buffer_load_dword v5, off, s[0:3], 0 offset:596
	buffer_load_dword v4, off, s[0:3], 0 offset:592
	v_accvgpr_write_b32 a195, v19
	v_accvgpr_write_b32 a194, v18
	s_waitcnt vmcnt(0)
	v_pk_mov_b32 v[22:23], v[4:5], v[4:5] op_sel:[0,1]
	buffer_load_dword v135, off, s[0:3], 0 offset:588
	buffer_load_dword v134, off, s[0:3], 0 offset:584
	buffer_load_dword v139, off, s[0:3], 0 offset:580
	buffer_load_dword v138, off, s[0:3], 0 offset:576
	buffer_load_dword v5, off, s[0:3], 0 offset:636
	buffer_load_dword v4, off, s[0:3], 0 offset:632
	v_accvgpr_write_b32 a197, v23
	v_accvgpr_write_b32 a196, v22
	s_waitcnt vmcnt(0)
	v_pk_mov_b32 v[26:27], v[4:5], v[4:5] op_sel:[0,1]
	buffer_load_dword v5, off, s[0:3], 0 offset:628
	buffer_load_dword v4, off, s[0:3], 0 offset:624
	v_accvgpr_write_b32 a199, v27
	v_accvgpr_write_b32 a198, v26
	s_waitcnt vmcnt(0)
	v_pk_mov_b32 v[28:29], v[4:5], v[4:5] op_sel:[0,1]
	buffer_load_dword v143, off, s[0:3], 0 offset:620
	buffer_load_dword v142, off, s[0:3], 0 offset:616
	;; [unrolled: 1-line block ×60, first 2 shown]
	ds_read_b128 v[244:247], v190 offset:1552
	ds_read_b128 v[252:255], v190 offset:1568
	;; [unrolled: 1-line block ×5, first 2 shown]
	v_accvgpr_write_b32 a201, v29
	s_waitcnt lgkmcnt(3)
	v_mul_f64 v[8:9], v[252:253], v[104:105]
	v_fmac_f64_e32 v[8:9], v[254:255], v[106:107]
	s_waitcnt lgkmcnt(2)
	v_mul_f64 v[12:13], v[118:119], v[134:135]
	v_fmac_f64_e32 v[12:13], v[120:121], v[138:139]
	s_waitcnt lgkmcnt(1)
	v_mul_f64 v[16:17], v[192:193], v[18:19]
	v_fmac_f64_e32 v[16:17], v[194:195], v[22:23]
	v_accvgpr_write_b32 a200, v28
	s_waitcnt vmcnt(54)
	v_pk_mov_b32 v[34:35], v[4:5], v[4:5] op_sel:[0,1]
	v_mul_f64 v[4:5], v[90:91], v[96:97]
	v_fmac_f64_e32 v[4:5], v[92:93], v[102:103]
	v_add_f64 v[2:3], v[2:3], v[4:5]
	v_mul_f64 v[4:5], v[244:245], v[0:1]
	v_fmac_f64_e32 v[4:5], v[246:247], v[248:249]
	v_add_f64 v[6:7], v[2:3], v[4:5]
	v_add_f64 v[10:11], v[6:7], v[8:9]
	;; [unrolled: 1-line block ×4, first 2 shown]
	ds_read_b128 v[14:17], v190 offset:1632
	s_waitcnt lgkmcnt(1)
	v_mul_f64 v[20:21], v[122:123], v[142:143]
	v_fmac_f64_e32 v[20:21], v[124:125], v[146:147]
	v_add_f64 v[22:23], v[18:19], v[20:21]
	ds_read_b128 v[18:21], v190 offset:1648
	s_waitcnt lgkmcnt(1)
	v_mul_f64 v[24:25], v[14:15], v[26:27]
	v_fmac_f64_e32 v[24:25], v[16:17], v[28:29]
	v_add_f64 v[26:27], v[22:23], v[24:25]
	ds_read_b128 v[22:25], v190 offset:1664
	s_waitcnt vmcnt(50) lgkmcnt(1)
	v_mul_f64 v[28:29], v[18:19], v[150:151]
	s_waitcnt vmcnt(48)
	v_fmac_f64_e32 v[28:29], v[20:21], v[154:155]
	v_add_f64 v[30:31], v[26:27], v[28:29]
	ds_read_b128 v[26:29], v190 offset:1680
	s_waitcnt lgkmcnt(1)
	v_mul_f64 v[32:33], v[22:23], v[34:35]
	v_accvgpr_write_b32 a203, v35
	v_fmac_f64_e32 v[32:33], v[24:25], v[128:129]
	v_accvgpr_write_b32 a202, v34
	v_add_f64 v[34:35], v[30:31], v[32:33]
	ds_read_b128 v[30:33], v190 offset:1696
	s_waitcnt vmcnt(42) lgkmcnt(1)
	v_mul_f64 v[36:37], v[26:27], v[158:159]
	s_waitcnt vmcnt(40)
	v_fmac_f64_e32 v[36:37], v[28:29], v[162:163]
	v_add_f64 v[38:39], v[34:35], v[36:37]
	ds_read_b128 v[34:37], v190 offset:1712
	s_waitcnt lgkmcnt(1)
	v_mul_f64 v[40:41], v[30:31], v[130:131]
	v_fmac_f64_e32 v[40:41], v[32:33], v[132:133]
	v_add_f64 v[42:43], v[38:39], v[40:41]
	ds_read_b128 v[38:41], v190 offset:1728
	s_waitcnt vmcnt(34) lgkmcnt(1)
	v_mul_f64 v[44:45], v[34:35], v[166:167]
	s_waitcnt vmcnt(32)
	v_fmac_f64_e32 v[44:45], v[36:37], v[170:171]
	v_add_f64 v[46:47], v[42:43], v[44:45]
	ds_read_b128 v[42:45], v190 offset:1744
	s_waitcnt lgkmcnt(1)
	v_mul_f64 v[48:49], v[38:39], v[136:137]
	v_fmac_f64_e32 v[48:49], v[40:41], v[140:141]
	v_add_f64 v[50:51], v[46:47], v[48:49]
	ds_read_b128 v[46:49], v190 offset:1760
	s_waitcnt vmcnt(26) lgkmcnt(1)
	v_mul_f64 v[52:53], v[42:43], v[174:175]
	s_waitcnt vmcnt(24)
	v_fmac_f64_e32 v[52:53], v[44:45], v[176:177]
	v_add_f64 v[250:251], v[50:51], v[52:53]
	ds_read_b128 v[50:53], v190 offset:1776
	buffer_load_dword v13, off, s[0:3], 0 offset:876
	buffer_load_dword v12, off, s[0:3], 0 offset:872
	;; [unrolled: 1-line block ×20, first 2 shown]
	v_mul_f64 v[4:5], v[114:115], v[62:63]
	v_fma_f64 v[8:9], v[112:113], v[56:57], -v[4:5]
	v_mul_f64 v[56:57], v[214:215], v[220:221]
	v_fma_f64 v[100:101], v[212:213], v[100:101], -v[56:57]
	v_mul_f64 v[56:57], v[218:219], v[68:69]
	v_fma_f64 v[98:99], v[216:217], v[98:99], -v[56:57]
	buffer_load_dword v214, off, s[0:3], 0 offset:952
	buffer_load_dword v216, off, s[0:3], 0 offset:944
	;; [unrolled: 1-line block ×12, first 2 shown]
	s_waitcnt lgkmcnt(1)
	v_mul_f64 v[54:55], v[46:47], v[144:145]
	v_fmac_f64_e32 v[54:55], v[48:49], v[148:149]
	v_fma_f64 v[10:11], v[108:109], v[58:59], -v[60:61]
	v_add_f64 v[58:59], v[250:251], v[54:55]
	v_mul_f64 v[54:55], v[226:227], v[64:65]
	v_fma_f64 v[250:251], v[224:225], v[66:67], -v[54:55]
	buffer_load_dword v225, off, s[0:3], 0 offset:1004
	buffer_load_dword v224, off, s[0:3], 0 offset:1000
	;; [unrolled: 1-line block ×4, first 2 shown]
	s_waitcnt vmcnt(54) lgkmcnt(0)
	v_mul_f64 v[60:61], v[50:51], v[178:179]
	ds_read_b128 v[54:57], v190 offset:1792
	s_waitcnt vmcnt(52)
	v_fmac_f64_e32 v[60:61], v[52:53], v[180:181]
	v_add_f64 v[62:63], v[58:59], v[60:61]
	v_mul_f64 v[58:59], v[230:231], v[74:75]
	v_fma_f64 v[94:95], v[228:229], v[94:95], -v[58:59]
	ds_read_b128 v[58:61], v190 offset:1808
	s_waitcnt lgkmcnt(1)
	v_mul_f64 v[64:65], v[54:55], v[152:153]
	v_fmac_f64_e32 v[64:65], v[56:57], v[156:157]
	v_add_f64 v[74:75], v[62:63], v[64:65]
	ds_read_b128 v[62:65], v190 offset:1824
	v_mul_f64 v[66:67], v[234:235], v[70:71]
	s_waitcnt vmcnt(46) lgkmcnt(1)
	v_mul_f64 v[70:71], v[58:59], v[182:183]
	v_fma_f64 v[232:233], v[232:233], v[72:73], -v[66:67]
	ds_read_b128 v[66:69], v190 offset:1840
	s_waitcnt vmcnt(44)
	v_fmac_f64_e32 v[70:71], v[60:61], v[184:185]
	v_add_f64 v[74:75], v[74:75], v[70:71]
	v_mul_f64 v[70:71], v[238:239], v[76:77]
	v_fma_f64 v[6:7], v[236:237], v[88:89], -v[70:71]
	ds_read_b128 v[70:73], v190 offset:1856
	s_waitcnt lgkmcnt(2)
	v_mul_f64 v[108:109], v[62:63], v[160:161]
	v_fmac_f64_e32 v[108:109], v[64:65], v[164:165]
	s_waitcnt vmcnt(38) lgkmcnt(1)
	v_mul_f64 v[76:77], v[66:67], v[186:187]
	v_add_f64 v[74:75], v[74:75], v[108:109]
	s_waitcnt vmcnt(36)
	v_fmac_f64_e32 v[76:77], v[68:69], v[188:189]
	v_add_f64 v[74:75], v[74:75], v[76:77]
	v_fma_f64 v[4:5], v[240:241], v[80:81], -v[78:79]
	ds_read_b128 v[78:81], v190 offset:1888
	s_waitcnt lgkmcnt(1)
	v_mul_f64 v[76:77], v[70:71], v[168:169]
	v_fmac_f64_e32 v[76:77], v[72:73], v[172:173]
	v_add_f64 v[88:89], v[74:75], v[76:77]
	ds_read_b128 v[74:77], v190 offset:1872
	v_fma_f64 v[2:3], v[82:83], v[116:117], -v[84:85]
	ds_read_b128 v[82:85], v190 offset:1904
	v_mul_f64 v[92:93], v[92:93], v[96:97]
	v_fma_f64 v[96:97], v[90:91], v[102:103], -v[92:93]
	ds_read_b128 v[238:241], v190 offset:1952
	v_mul_f64 v[0:1], v[246:247], v[0:1]
	v_fma_f64 v[0:1], v[244:245], v[248:249], -v[0:1]
	ds_read_b128 v[242:245], v190 offset:1968
	v_add_f64 v[10:11], v[10:11], 0
	v_add_f64 v[8:9], v[10:11], v[8:9]
	;; [unrolled: 1-line block ×5, first 2 shown]
	ds_read_b128 v[90:93], v190 offset:1936
	v_add_f64 v[8:9], v[8:9], v[94:95]
	v_add_f64 v[8:9], v[8:9], v[232:233]
	;; [unrolled: 1-line block ×5, first 2 shown]
	v_accvgpr_read_b32 v4, a196
	v_accvgpr_read_b32 v5, a197
	s_waitcnt vmcnt(25) lgkmcnt(3)
	v_mul_f64 v[102:103], v[82:83], v[202:203]
	s_waitcnt vmcnt(23)
	v_fmac_f64_e32 v[102:103], v[84:85], v[208:209]
	v_mul_f64 v[108:109], v[74:75], v[12:13]
	v_fmac_f64_e32 v[108:109], v[76:77], v[126:127]
	v_mul_f64 v[86:87], v[78:79], v[198:199]
	v_add_f64 v[88:89], v[88:89], v[108:109]
	v_fmac_f64_e32 v[86:87], v[80:81], v[200:201]
	v_add_f64 v[108:109], v[88:89], v[86:87]
	ds_read_b128 v[86:89], v190 offset:1920
	v_add_f64 v[102:103], v[108:109], v[102:103]
	s_waitcnt vmcnt(22) lgkmcnt(0)
	v_mul_f64 v[108:109], v[86:87], v[196:197]
	s_waitcnt vmcnt(20)
	v_fmac_f64_e32 v[108:109], v[88:89], v[206:207]
	v_add_f64 v[102:103], v[102:103], v[108:109]
	s_waitcnt vmcnt(18)
	v_mul_f64 v[108:109], v[90:91], v[204:205]
	s_waitcnt vmcnt(16)
	v_fmac_f64_e32 v[108:109], v[92:93], v[210:211]
	v_add_f64 v[108:109], v[102:103], v[108:109]
	v_mul_f64 v[102:103], v[254:255], v[104:105]
	v_fma_f64 v[252:253], v[252:253], v[106:107], -v[102:103]
	ds_read_b128 v[102:105], v190 offset:1984
	s_waitcnt vmcnt(13)
	v_mul_f64 v[106:107], v[238:239], v[214:215]
	s_waitcnt vmcnt(12)
	v_fmac_f64_e32 v[106:107], v[240:241], v[216:217]
	v_add_f64 v[106:107], v[108:109], v[106:107]
	s_waitcnt vmcnt(9)
	v_mul_f64 v[108:109], v[242:243], v[220:221]
	s_waitcnt vmcnt(7)
	v_fmac_f64_e32 v[108:109], v[244:245], v[222:223]
	v_add_f64 v[106:107], v[106:107], v[108:109]
	s_waitcnt vmcnt(5) lgkmcnt(0)
	v_mul_f64 v[108:109], v[102:103], v[212:213]
	s_waitcnt vmcnt(4)
	v_fmac_f64_e32 v[108:109], v[104:105], v[218:219]
	v_add_f64 v[110:111], v[106:107], v[108:109]
	ds_read_b128 v[106:109], v190 offset:2000
	buffer_load_dword v228, off, s[0:3], 0 offset:1016
	buffer_load_dword v229, off, s[0:3], 0 offset:1020
	;; [unrolled: 1-line block ×4, first 2 shown]
	v_add_f64 v[254:255], v[2:3], v[96:97]
	v_add_f64 v[0:1], v[254:255], v[0:1]
	v_mul_f64 v[2:3], v[120:121], v[134:135]
	s_waitcnt vmcnt(6) lgkmcnt(0)
	v_mul_f64 v[112:113], v[106:107], v[224:225]
	s_waitcnt vmcnt(4)
	v_fmac_f64_e32 v[112:113], v[108:109], v[226:227]
	v_add_f64 v[114:115], v[110:111], v[112:113]
	ds_read_b128 v[110:113], v190 offset:2016
	buffer_load_dword v235, off, s[0:3], 0 offset:1036
	buffer_load_dword v234, off, s[0:3], 0 offset:1032
	;; [unrolled: 1-line block ×4, first 2 shown]
	v_add_f64 v[0:1], v[0:1], v[252:253]
	v_fma_f64 v[2:3], v[118:119], v[138:139], -v[2:3]
	v_add_f64 v[0:1], v[0:1], v[2:3]
	v_accvgpr_read_b32 v2, a194
	v_accvgpr_read_b32 v3, a195
	v_mul_f64 v[2:3], v[194:195], v[2:3]
	v_fma_f64 v[2:3], v[192:193], v[4:5], -v[2:3]
	v_add_f64 v[0:1], v[0:1], v[2:3]
	v_mul_f64 v[2:3], v[124:125], v[142:143]
	v_fma_f64 v[2:3], v[122:123], v[146:147], -v[2:3]
	v_add_f64 v[0:1], v[0:1], v[2:3]
	v_accvgpr_read_b32 v2, a198
	v_accvgpr_read_b32 v3, a199
	;; [unrolled: 1-line block ×3, first 2 shown]
	v_mul_f64 v[2:3], v[16:17], v[2:3]
	v_accvgpr_read_b32 v5, a201
	v_fma_f64 v[2:3], v[14:15], v[4:5], -v[2:3]
	v_add_f64 v[0:1], v[0:1], v[2:3]
	v_mul_f64 v[2:3], v[20:21], v[150:151]
	v_fma_f64 v[2:3], v[18:19], v[154:155], -v[2:3]
	v_add_f64 v[0:1], v[0:1], v[2:3]
	v_accvgpr_read_b32 v2, a202
	v_accvgpr_read_b32 v3, a203
	v_mul_f64 v[2:3], v[24:25], v[2:3]
	v_fma_f64 v[2:3], v[22:23], v[128:129], -v[2:3]
	v_add_f64 v[0:1], v[0:1], v[2:3]
	v_mul_f64 v[2:3], v[28:29], v[158:159]
	v_fma_f64 v[2:3], v[26:27], v[162:163], -v[2:3]
	v_add_f64 v[0:1], v[0:1], v[2:3]
	;; [unrolled: 3-line block ×15, first 2 shown]
	v_mul_f64 v[2:3], v[84:85], v[202:203]
	s_waitcnt vmcnt(6) lgkmcnt(0)
	v_mul_f64 v[116:117], v[110:111], v[228:229]
	v_fma_f64 v[2:3], v[82:83], v[208:209], -v[2:3]
	s_waitcnt vmcnt(4)
	v_fmac_f64_e32 v[116:117], v[112:113], v[230:231]
	v_add_f64 v[246:247], v[114:115], v[116:117]
	ds_read_b128 v[114:117], v190 offset:2032
	v_add_f64 v[0:1], v[0:1], v[2:3]
	v_mul_f64 v[2:3], v[88:89], v[196:197]
	v_fma_f64 v[2:3], v[86:87], v[206:207], -v[2:3]
	v_add_f64 v[0:1], v[0:1], v[2:3]
	s_waitcnt vmcnt(2) lgkmcnt(0)
	v_mul_f64 v[190:191], v[114:115], v[234:235]
	s_waitcnt vmcnt(0)
	v_fmac_f64_e32 v[190:191], v[116:117], v[236:237]
	v_add_f64 v[190:191], v[246:247], v[190:191]
	buffer_load_dword v248, off, s[0:3], 0 offset:352
	buffer_load_dword v249, off, s[0:3], 0 offset:356
	;; [unrolled: 1-line block ×4, first 2 shown]
	v_mul_f64 v[2:3], v[92:93], v[204:205]
	v_fma_f64 v[2:3], v[90:91], v[210:211], -v[2:3]
	v_add_f64 v[0:1], v[0:1], v[2:3]
	v_mul_f64 v[2:3], v[240:241], v[214:215]
	v_fma_f64 v[2:3], v[238:239], v[216:217], -v[2:3]
	v_add_f64 v[0:1], v[0:1], v[2:3]
	;; [unrolled: 3-line block ×7, first 2 shown]
	s_waitcnt vmcnt(2)
	v_add_f64 v[0:1], v[248:249], -v[0:1]
	s_waitcnt vmcnt(0)
	v_add_f64 v[2:3], v[246:247], -v[190:191]
	buffer_store_dword v1, off, s[0:3], 0 offset:356
	buffer_store_dword v0, off, s[0:3], 0 offset:352
	;; [unrolled: 1-line block ×4, first 2 shown]
	v_accvgpr_read_b32 v0, a191
	v_cmp_lt_u32_e32 vcc, 20, v0
	s_and_saveexec_b64 s[4:5], vcc
	s_cbranch_execz .LBB63_369
; %bb.368:
	v_accvgpr_read_b32 v3, a171
	buffer_load_dword v0, v3, s[0:3], 0 offen
	buffer_load_dword v1, v3, s[0:3], 0 offen offset:4
	buffer_load_dword v2, v3, s[0:3], 0 offen offset:8
	s_nop 0
	buffer_load_dword v3, v3, s[0:3], 0 offen offset:12
	v_mov_b32_e32 v4, 0
	v_accvgpr_read_b32 v5, a192
	buffer_store_dword v4, off, s[0:3], 0 offset:336
	buffer_store_dword v4, off, s[0:3], 0 offset:340
	;; [unrolled: 1-line block ×4, first 2 shown]
	s_waitcnt vmcnt(4)
	ds_write_b128 v5, v[0:3]
.LBB63_369:
	s_or_b64 exec, exec, s[4:5]
	s_waitcnt lgkmcnt(0)
	; wave barrier
	s_waitcnt lgkmcnt(0)
	buffer_load_dword v50, off, s[0:3], 0 offset:352
	buffer_load_dword v51, off, s[0:3], 0 offset:356
	;; [unrolled: 1-line block ×54, first 2 shown]
	v_mov_b32_e32 v126, 0
	ds_read_b128 v[102:105], v126 offset:1360
	ds_read_b128 v[106:109], v126 offset:1376
	;; [unrolled: 1-line block ×9, first 2 shown]
	s_waitcnt vmcnt(46) lgkmcnt(7)
	v_mul_f64 v[2:3], v[106:107], v[58:59]
	v_fmac_f64_e32 v[2:3], v[108:109], v[52:53]
	s_waitcnt vmcnt(44) lgkmcnt(6)
	v_mul_f64 v[4:5], v[110:111], v[54:55]
	s_waitcnt vmcnt(42) lgkmcnt(4)
	v_mul_f64 v[8:9], v[208:209], v[62:63]
	s_waitcnt vmcnt(40)
	v_fmac_f64_e32 v[8:9], v[210:211], v[60:61]
	s_waitcnt vmcnt(38)
	v_mul_f64 v[6:7], v[114:115], v[64:65]
	s_waitcnt vmcnt(36) lgkmcnt(2)
	v_mul_f64 v[12:13], v[228:229], v[66:67]
	s_waitcnt vmcnt(34)
	v_fmac_f64_e32 v[12:13], v[230:231], v[70:71]
	s_waitcnt vmcnt(32)
	;; [unrolled: 6-line block ×3, first 2 shown]
	v_fmac_f64_e32 v[6:7], v[116:117], v[80:81]
	s_waitcnt vmcnt(24)
	v_fmac_f64_e32 v[10:11], v[226:227], v[78:79]
	s_waitcnt vmcnt(22)
	;; [unrolled: 2-line block ×3, first 2 shown]
	v_pk_mov_b32 v[16:17], v[0:1], v[0:1] op_sel:[0,1]
	v_mul_f64 v[0:1], v[102:103], v[56:57]
	v_fmac_f64_e32 v[0:1], v[104:105], v[50:51]
	v_add_f64 v[0:1], v[0:1], 0
	v_add_f64 v[0:1], v[0:1], v[2:3]
	;; [unrolled: 1-line block ×7, first 2 shown]
	buffer_load_dword v1, off, s[0:3], 0 offset:580
	buffer_load_dword v0, off, s[0:3], 0 offset:576
	v_add_f64 v[2:3], v[2:3], v[14:15]
	v_accvgpr_write_b32 a195, v17
	v_accvgpr_write_b32 a194, v16
	s_waitcnt vmcnt(0)
	v_pk_mov_b32 v[18:19], v[0:1], v[0:1] op_sel:[0,1]
	buffer_load_dword v1, off, s[0:3], 0 offset:572
	buffer_load_dword v0, off, s[0:3], 0 offset:568
	;; [unrolled: 1-line block ×6, first 2 shown]
	v_accvgpr_write_b32 a197, v19
	v_accvgpr_write_b32 a196, v18
	s_waitcnt vmcnt(0)
	v_pk_mov_b32 v[22:23], v[4:5], v[4:5] op_sel:[0,1]
	buffer_load_dword v5, off, s[0:3], 0 offset:612
	buffer_load_dword v4, off, s[0:3], 0 offset:608
	v_accvgpr_write_b32 a199, v23
	v_accvgpr_write_b32 a198, v22
	s_waitcnt vmcnt(0)
	v_pk_mov_b32 v[24:25], v[4:5], v[4:5] op_sel:[0,1]
	buffer_load_dword v139, off, s[0:3], 0 offset:604
	buffer_load_dword v138, off, s[0:3], 0 offset:600
	;; [unrolled: 1-line block ×52, first 2 shown]
	ds_read_b128 v[244:247], v126 offset:1504
	ds_read_b128 v[248:251], v126 offset:1520
	;; [unrolled: 1-line block ×6, first 2 shown]
	v_accvgpr_write_b32 a201, v25
	v_accvgpr_write_b32 a200, v24
	s_waitcnt lgkmcnt(1)
	v_mul_f64 v[8:9], v[122:123], v[0:1]
	v_fmac_f64_e32 v[8:9], v[124:125], v[242:243]
	s_waitcnt lgkmcnt(0)
	v_mul_f64 v[12:13], v[128:129], v[16:17]
	v_fmac_f64_e32 v[12:13], v[130:131], v[18:19]
	v_mul_f64 v[0:1], v[124:125], v[0:1]
	s_waitcnt vmcnt(38)
	v_pk_mov_b32 v[38:39], v[4:5], v[4:5] op_sel:[0,1]
	v_mul_f64 v[4:5], v[236:237], v[74:75]
	v_fmac_f64_e32 v[4:5], v[238:239], v[84:85]
	v_add_f64 v[2:3], v[2:3], v[4:5]
	v_mul_f64 v[4:5], v[244:245], v[90:91]
	v_fmac_f64_e32 v[4:5], v[246:247], v[92:93]
	v_add_f64 v[2:3], v[2:3], v[4:5]
	;; [unrolled: 3-line block ×5, first 2 shown]
	v_add_f64 v[10:11], v[6:7], v[8:9]
	ds_read_b128 v[6:9], v126 offset:1600
	v_add_f64 v[14:15], v[10:11], v[12:13]
	ds_read_b128 v[10:13], v126 offset:1616
	v_accvgpr_write_b32 a203, v39
	v_accvgpr_write_b32 a202, v38
	s_waitcnt lgkmcnt(1)
	v_mul_f64 v[16:17], v[6:7], v[138:139]
	v_fmac_f64_e32 v[16:17], v[8:9], v[142:143]
	s_waitcnt lgkmcnt(0)
	v_mul_f64 v[20:21], v[10:11], v[22:23]
	v_add_f64 v[18:19], v[14:15], v[16:17]
	ds_read_b128 v[14:17], v126 offset:1632
	v_fmac_f64_e32 v[20:21], v[12:13], v[24:25]
	v_add_f64 v[22:23], v[18:19], v[20:21]
	ds_read_b128 v[18:21], v126 offset:1648
	v_mul_f64 v[4:5], v[104:105], v[56:57]
	s_waitcnt lgkmcnt(1)
	v_mul_f64 v[24:25], v[14:15], v[146:147]
	v_fmac_f64_e32 v[24:25], v[16:17], v[150:151]
	v_add_f64 v[26:27], v[22:23], v[24:25]
	s_waitcnt lgkmcnt(0)
	v_mul_f64 v[28:29], v[18:19], v[240:241]
	ds_read_b128 v[22:25], v126 offset:1664
	v_fmac_f64_e32 v[28:29], v[20:21], v[190:191]
	v_add_f64 v[30:31], v[26:27], v[28:29]
	ds_read_b128 v[26:29], v126 offset:1680
	v_fma_f64 v[4:5], v[102:103], v[50:51], -v[4:5]
	s_waitcnt vmcnt(34) lgkmcnt(1)
	v_mul_f64 v[32:33], v[22:23], v[154:155]
	s_waitcnt vmcnt(32)
	v_fmac_f64_e32 v[32:33], v[24:25], v[158:159]
	v_add_f64 v[34:35], v[30:31], v[32:33]
	s_waitcnt lgkmcnt(0)
	v_mul_f64 v[36:37], v[26:27], v[38:39]
	ds_read_b128 v[30:33], v126 offset:1696
	v_fmac_f64_e32 v[36:37], v[28:29], v[132:133]
	v_add_f64 v[38:39], v[34:35], v[36:37]
	ds_read_b128 v[34:37], v126 offset:1712
	v_mul_f64 v[50:51], v[108:109], v[58:59]
	s_waitcnt vmcnt(26) lgkmcnt(1)
	v_mul_f64 v[40:41], v[30:31], v[162:163]
	s_waitcnt vmcnt(24)
	v_fmac_f64_e32 v[40:41], v[32:33], v[164:165]
	v_add_f64 v[42:43], v[38:39], v[40:41]
	s_waitcnt lgkmcnt(0)
	v_mul_f64 v[44:45], v[34:35], v[134:135]
	v_fmac_f64_e32 v[44:45], v[36:37], v[136:137]
	ds_read_b128 v[38:41], v126 offset:1728
	v_add_f64 v[46:47], v[42:43], v[44:45]
	ds_read_b128 v[42:45], v126 offset:1744
	buffer_load_dword v179, off, s[0:3], 0 offset:844
	buffer_load_dword v181, off, s[0:3], 0 offset:828
	;; [unrolled: 1-line block ×8, first 2 shown]
	v_fma_f64 v[102:103], v[106:107], v[52:53], -v[50:51]
	s_waitcnt vmcnt(26) lgkmcnt(1)
	v_mul_f64 v[48:49], v[38:39], v[166:167]
	s_waitcnt vmcnt(24)
	v_fmac_f64_e32 v[48:49], v[40:41], v[168:169]
	v_add_f64 v[192:193], v[46:47], v[48:49]
	ds_read_b128 v[46:49], v126 offset:1760
	buffer_load_dword v187, off, s[0:3], 0 offset:860
	buffer_load_dword v186, off, s[0:3], 0 offset:856
	;; [unrolled: 1-line block ×4, first 2 shown]
	s_waitcnt lgkmcnt(1)
	v_mul_f64 v[194:195], v[42:43], v[140:141]
	v_fmac_f64_e32 v[194:195], v[44:45], v[144:145]
	v_add_f64 v[2:3], v[192:193], v[194:195]
	buffer_load_dword v193, off, s[0:3], 0 offset:876
	buffer_load_dword v192, off, s[0:3], 0 offset:872
	;; [unrolled: 1-line block ×12, first 2 shown]
	v_mul_f64 v[50:51], v[112:113], v[54:55]
	buffer_load_dword v205, off, s[0:3], 0 offset:924
	buffer_load_dword v204, off, s[0:3], 0 offset:920
	;; [unrolled: 1-line block ×4, first 2 shown]
	v_fma_f64 v[104:105], v[110:111], v[82:83], -v[50:51]
	v_mul_f64 v[50:51], v[116:117], v[64:65]
	v_fma_f64 v[106:107], v[114:115], v[80:81], -v[50:51]
	v_mul_f64 v[50:51], v[210:211], v[62:63]
	buffer_load_dword v211, off, s[0:3], 0 offset:940
	buffer_load_dword v210, off, s[0:3], 0 offset:936
	;; [unrolled: 1-line block ×4, first 2 shown]
	v_fma_f64 v[108:109], v[208:209], v[60:61], -v[50:51]
	buffer_load_dword v209, off, s[0:3], 0 offset:972
	buffer_load_dword v215, off, s[0:3], 0 offset:956
	;; [unrolled: 1-line block ×12, first 2 shown]
	ds_read_b128 v[50:53], v126 offset:1776
	v_mul_f64 v[54:55], v[226:227], v[76:77]
	v_fma_f64 v[224:225], v[224:225], v[78:79], -v[54:55]
	ds_read_b128 v[54:57], v126 offset:1792
	s_waitcnt vmcnt(54) lgkmcnt(2)
	v_mul_f64 v[58:59], v[46:47], v[170:171]
	s_waitcnt vmcnt(52)
	v_fmac_f64_e32 v[58:59], v[48:49], v[172:173]
	v_add_f64 v[2:3], v[2:3], v[58:59]
	s_waitcnt lgkmcnt(1)
	v_mul_f64 v[58:59], v[50:51], v[148:149]
	v_fmac_f64_e32 v[58:59], v[52:53], v[152:153]
	v_add_f64 v[2:3], v[2:3], v[58:59]
	s_waitcnt vmcnt(46) lgkmcnt(0)
	v_mul_f64 v[58:59], v[54:55], v[174:175]
	s_waitcnt vmcnt(44)
	v_fmac_f64_e32 v[58:59], v[56:57], v[176:177]
	v_add_f64 v[2:3], v[2:3], v[58:59]
	ds_read_b128 v[58:61], v126 offset:1808
	v_mul_f64 v[62:63], v[230:231], v[66:67]
	v_fma_f64 v[226:227], v[228:229], v[70:71], -v[62:63]
	ds_read_b128 v[62:65], v126 offset:1824
	v_mul_f64 v[66:67], v[234:235], v[68:69]
	v_fma_f64 v[232:233], v[232:233], v[72:73], -v[66:67]
	ds_read_b128 v[66:69], v126 offset:1840
	s_waitcnt lgkmcnt(2)
	v_mul_f64 v[70:71], v[58:59], v[156:157]
	v_fmac_f64_e32 v[70:71], v[60:61], v[160:161]
	v_add_f64 v[2:3], v[2:3], v[70:71]
	v_mul_f64 v[74:75], v[238:239], v[74:75]
	v_fma_f64 v[238:239], v[236:237], v[84:85], -v[74:75]
	ds_read_b128 v[74:77], v126 offset:1872
	v_mul_f64 v[78:79], v[246:247], v[90:91]
	v_fma_f64 v[246:247], v[244:245], v[92:93], -v[78:79]
	v_mul_f64 v[86:87], v[250:251], v[86:87]
	v_fma_f64 v[248:249], v[248:249], v[88:89], -v[86:87]
	v_mul_f64 v[94:95], v[120:121], v[94:95]
	buffer_load_dword v244, off, s[0:3], 0 offset:1000
	v_fma_f64 v[250:251], v[122:123], v[242:243], -v[0:1]
	v_add_f64 v[4:5], v[4:5], 0
	ds_read_b128 v[78:81], v126 offset:1888
	v_add_f64 v[4:5], v[4:5], v[102:103]
	v_add_f64 v[4:5], v[4:5], v[104:105]
	;; [unrolled: 1-line block ×10, first 2 shown]
	ds_read_b128 v[86:89], v126 offset:1920
	v_accvgpr_read_b32 v102, a194
	v_accvgpr_read_b32 v103, a195
	;; [unrolled: 1-line block ×3, first 2 shown]
	v_mul_f64 v[102:103], v[130:131], v[102:103]
	v_accvgpr_read_b32 v105, a197
	v_fma_f64 v[102:103], v[128:129], v[104:105], -v[102:103]
	v_mul_f64 v[8:9], v[8:9], v[138:139]
	s_waitcnt vmcnt(42) lgkmcnt(4)
	v_mul_f64 v[70:71], v[62:63], v[180:181]
	v_fma_f64 v[6:7], v[6:7], v[142:143], -v[8:9]
	s_waitcnt vmcnt(40)
	v_fmac_f64_e32 v[70:71], v[64:65], v[184:185]
	v_add_f64 v[2:3], v[2:3], v[70:71]
	s_waitcnt vmcnt(39) lgkmcnt(3)
	v_mul_f64 v[70:71], v[66:67], v[178:179]
	s_waitcnt vmcnt(37)
	v_fmac_f64_e32 v[70:71], v[68:69], v[182:183]
	v_add_f64 v[2:3], v[2:3], v[70:71]
	ds_read_b128 v[70:73], v126 offset:1856
	v_accvgpr_read_b32 v8, a200
	v_accvgpr_read_b32 v9, a201
	s_waitcnt vmcnt(35) lgkmcnt(0)
	v_mul_f64 v[82:83], v[70:71], v[186:187]
	s_waitcnt vmcnt(33)
	v_fmac_f64_e32 v[82:83], v[72:73], v[188:189]
	v_add_f64 v[2:3], v[2:3], v[82:83]
	s_waitcnt vmcnt(31)
	v_mul_f64 v[82:83], v[74:75], v[192:193]
	s_waitcnt vmcnt(29)
	v_fmac_f64_e32 v[82:83], v[76:77], v[196:197]
	v_add_f64 v[2:3], v[2:3], v[82:83]
	s_waitcnt vmcnt(27)
	v_mul_f64 v[82:83], v[78:79], v[194:195]
	s_waitcnt vmcnt(25)
	v_fmac_f64_e32 v[82:83], v[80:81], v[198:199]
	v_add_f64 v[2:3], v[2:3], v[82:83]
	ds_read_b128 v[82:85], v126 offset:1904
	s_waitcnt vmcnt(22) lgkmcnt(0)
	v_mul_f64 v[90:91], v[82:83], v[200:201]
	s_waitcnt vmcnt(21)
	v_fmac_f64_e32 v[90:91], v[84:85], v[202:203]
	v_add_f64 v[2:3], v[2:3], v[90:91]
	v_mul_f64 v[90:91], v[254:255], v[98:99]
	v_fma_f64 v[252:253], v[252:253], v[100:101], -v[90:91]
	ds_read_b128 v[90:93], v126 offset:1936
	s_waitcnt vmcnt(19)
	v_mul_f64 v[98:99], v[86:87], v[204:205]
	s_waitcnt vmcnt(17)
	v_fmac_f64_e32 v[98:99], v[88:89], v[206:207]
	v_add_f64 v[2:3], v[2:3], v[98:99]
	v_fma_f64 v[254:255], v[118:119], v[96:97], -v[94:95]
	ds_read_b128 v[94:97], v126 offset:1952
	s_waitcnt vmcnt(15) lgkmcnt(1)
	v_mul_f64 v[98:99], v[90:91], v[210:211]
	s_waitcnt vmcnt(13)
	v_fmac_f64_e32 v[98:99], v[92:93], v[212:213]
	v_add_f64 v[110:111], v[2:3], v[98:99]
	ds_read_b128 v[98:101], v126 offset:1968
	ds_read_b128 v[0:3], v126 offset:1984
	buffer_load_dword v122, off, s[0:3], 0 offset:992
	buffer_load_dword v245, off, s[0:3], 0 offset:1004
	;; [unrolled: 1-line block ×3, first 2 shown]
	ds_read_b128 v[118:121], v126 offset:2000
	buffer_load_dword v229, off, s[0:3], 0 offset:1020
	buffer_load_dword v228, off, s[0:3], 0 offset:1016
	;; [unrolled: 1-line block ×4, first 2 shown]
	s_waitcnt vmcnt(17) lgkmcnt(3)
	v_mul_f64 v[112:113], v[94:95], v[214:215]
	s_waitcnt vmcnt(15)
	v_fmac_f64_e32 v[112:113], v[96:97], v[220:221]
	v_add_f64 v[110:111], v[110:111], v[112:113]
	s_waitcnt vmcnt(14) lgkmcnt(2)
	v_mul_f64 v[112:113], v[98:99], v[208:209]
	s_waitcnt vmcnt(12)
	v_fmac_f64_e32 v[112:113], v[100:101], v[218:219]
	v_add_f64 v[110:111], v[110:111], v[112:113]
	;; [unrolled: 5-line block ×3, first 2 shown]
	v_add_f64 v[4:5], v[4:5], v[252:253]
	v_add_f64 v[252:253], v[4:5], v[254:255]
	;; [unrolled: 1-line block ×5, first 2 shown]
	v_accvgpr_read_b32 v6, a198
	v_accvgpr_read_b32 v7, a199
	v_mul_f64 v[6:7], v[12:13], v[6:7]
	v_fma_f64 v[6:7], v[10:11], v[8:9], -v[6:7]
	v_add_f64 v[4:5], v[4:5], v[6:7]
	v_mul_f64 v[6:7], v[16:17], v[146:147]
	v_fma_f64 v[6:7], v[14:15], v[150:151], -v[6:7]
	v_add_f64 v[4:5], v[4:5], v[6:7]
	;; [unrolled: 3-line block ×4, first 2 shown]
	v_accvgpr_read_b32 v6, a202
	v_accvgpr_read_b32 v7, a203
	v_mul_f64 v[6:7], v[28:29], v[6:7]
	v_fma_f64 v[6:7], v[26:27], v[132:133], -v[6:7]
	v_add_f64 v[4:5], v[4:5], v[6:7]
	v_mul_f64 v[6:7], v[32:33], v[162:163]
	v_fma_f64 v[6:7], v[30:31], v[164:165], -v[6:7]
	v_add_f64 v[4:5], v[4:5], v[6:7]
	;; [unrolled: 3-line block ×15, first 2 shown]
	v_mul_f64 v[6:7], v[88:89], v[204:205]
	s_waitcnt vmcnt(5) lgkmcnt(0)
	v_mul_f64 v[112:113], v[118:119], v[244:245]
	s_waitcnt vmcnt(4)
	v_fmac_f64_e32 v[112:113], v[120:121], v[122:123]
	v_add_f64 v[114:115], v[110:111], v[112:113]
	ds_read_b128 v[110:113], v126 offset:2016
	buffer_load_dword v234, off, s[0:3], 0 offset:1032
	buffer_load_dword v235, off, s[0:3], 0 offset:1036
	;; [unrolled: 1-line block ×4, first 2 shown]
	v_fma_f64 v[6:7], v[86:87], v[206:207], -v[6:7]
	v_add_f64 v[4:5], v[4:5], v[6:7]
	v_mul_f64 v[6:7], v[92:93], v[210:211]
	s_waitcnt vmcnt(6) lgkmcnt(0)
	v_mul_f64 v[116:117], v[110:111], v[228:229]
	s_waitcnt vmcnt(4)
	v_fmac_f64_e32 v[116:117], v[112:113], v[230:231]
	v_add_f64 v[124:125], v[114:115], v[116:117]
	ds_read_b128 v[114:117], v126 offset:2032
	buffer_load_dword v248, off, s[0:3], 0 offset:336
	buffer_load_dword v249, off, s[0:3], 0 offset:340
	;; [unrolled: 1-line block ×4, first 2 shown]
	v_fma_f64 v[6:7], v[90:91], v[212:213], -v[6:7]
	v_add_f64 v[4:5], v[4:5], v[6:7]
	v_mul_f64 v[6:7], v[96:97], v[214:215]
	v_fma_f64 v[6:7], v[94:95], v[220:221], -v[6:7]
	v_add_f64 v[4:5], v[4:5], v[6:7]
	v_mul_f64 v[6:7], v[100:101], v[208:209]
	v_fma_f64 v[6:7], v[98:99], v[218:219], -v[6:7]
	v_mul_f64 v[2:3], v[2:3], v[216:217]
	v_add_f64 v[4:5], v[4:5], v[6:7]
	v_fma_f64 v[0:1], v[0:1], v[222:223], -v[2:3]
	v_mul_f64 v[2:3], v[120:121], v[244:245]
	v_add_f64 v[0:1], v[4:5], v[0:1]
	v_fma_f64 v[2:3], v[118:119], v[122:123], -v[2:3]
	v_add_f64 v[0:1], v[0:1], v[2:3]
	v_mul_f64 v[2:3], v[112:113], v[228:229]
	v_fma_f64 v[2:3], v[110:111], v[230:231], -v[2:3]
	v_add_f64 v[0:1], v[0:1], v[2:3]
	s_waitcnt vmcnt(6) lgkmcnt(0)
	v_mul_f64 v[2:3], v[116:117], v[234:235]
	v_mul_f64 v[242:243], v[114:115], v[234:235]
	s_waitcnt vmcnt(4)
	v_fma_f64 v[2:3], v[114:115], v[236:237], -v[2:3]
	v_fmac_f64_e32 v[242:243], v[116:117], v[236:237]
	v_add_f64 v[0:1], v[0:1], v[2:3]
	v_add_f64 v[124:125], v[124:125], v[242:243]
	s_waitcnt vmcnt(2)
	v_add_f64 v[0:1], v[248:249], -v[0:1]
	s_waitcnt vmcnt(0)
	v_add_f64 v[2:3], v[246:247], -v[124:125]
	buffer_store_dword v1, off, s[0:3], 0 offset:340
	buffer_store_dword v0, off, s[0:3], 0 offset:336
	;; [unrolled: 1-line block ×4, first 2 shown]
	v_accvgpr_read_b32 v0, a191
	v_cmp_lt_u32_e32 vcc, 19, v0
	s_and_saveexec_b64 s[4:5], vcc
	s_cbranch_execz .LBB63_371
; %bb.370:
	v_accvgpr_read_b32 v3, a172
	buffer_load_dword v0, v3, s[0:3], 0 offen
	buffer_load_dword v1, v3, s[0:3], 0 offen offset:4
	buffer_load_dword v2, v3, s[0:3], 0 offen offset:8
	s_nop 0
	buffer_load_dword v3, v3, s[0:3], 0 offen offset:12
	v_accvgpr_read_b32 v4, a192
	buffer_store_dword v126, off, s[0:3], 0 offset:320
	buffer_store_dword v126, off, s[0:3], 0 offset:324
	;; [unrolled: 1-line block ×4, first 2 shown]
	s_waitcnt vmcnt(4)
	ds_write_b128 v4, v[0:3]
.LBB63_371:
	s_or_b64 exec, exec, s[4:5]
	s_waitcnt lgkmcnt(0)
	; wave barrier
	s_waitcnt lgkmcnt(0)
	buffer_load_dword v184, off, s[0:3], 0 offset:336
	buffer_load_dword v185, off, s[0:3], 0 offset:340
	;; [unrolled: 1-line block ×36, first 2 shown]
	ds_read_b128 v[82:85], v126 offset:1344
	ds_read_b128 v[78:81], v126 offset:1360
	;; [unrolled: 1-line block ×9, first 2 shown]
	buffer_load_dword v227, off, s[0:3], 0 offset:508
	buffer_load_dword v226, off, s[0:3], 0 offset:504
	;; [unrolled: 1-line block ×19, first 2 shown]
	s_waitcnt vmcnt(51) lgkmcnt(8)
	v_mul_f64 v[2:3], v[82:83], v[194:195]
	v_fmac_f64_e32 v[2:3], v[84:85], v[184:185]
	v_add_f64 v[2:3], v[2:3], 0
	s_waitcnt vmcnt(47) lgkmcnt(7)
	v_mul_f64 v[4:5], v[78:79], v[196:197]
	v_fmac_f64_e32 v[4:5], v[80:81], v[86:87]
	v_add_f64 v[2:3], v[2:3], v[4:5]
	buffer_load_dword v236, off, s[0:3], 0 offset:560
	buffer_load_dword v113, off, s[0:3], 0 offset:556
	;; [unrolled: 1-line block ×7, first 2 shown]
	s_waitcnt vmcnt(52) lgkmcnt(6)
	v_mul_f64 v[6:7], v[74:75], v[88:89]
	s_waitcnt vmcnt(50) lgkmcnt(4)
	v_mul_f64 v[10:11], v[62:63], v[212:213]
	s_waitcnt vmcnt(48)
	v_fmac_f64_e32 v[10:11], v[64:65], v[214:215]
	v_mul_f64 v[80:81], v[80:81], v[196:197]
	s_waitcnt vmcnt(46)
	v_mul_f64 v[8:9], v[70:71], v[202:203]
	v_mul_f64 v[64:65], v[64:65], v[212:213]
	s_waitcnt vmcnt(44) lgkmcnt(2)
	v_mul_f64 v[14:15], v[54:55], v[104:105]
	s_waitcnt vmcnt(42)
	v_fmac_f64_e32 v[14:15], v[56:57], v[108:109]
	v_mul_f64 v[56:57], v[56:57], v[104:105]
	s_waitcnt vmcnt(40)
	v_mul_f64 v[12:13], v[50:51], v[216:217]
	s_waitcnt vmcnt(38) lgkmcnt(1)
	v_mul_f64 v[16:17], v[58:59], v[106:107]
	s_waitcnt vmcnt(36)
	v_fmac_f64_e32 v[6:7], v[76:77], v[200:201]
	v_add_f64 v[2:3], v[2:3], v[6:7]
	s_waitcnt vmcnt(34)
	v_fmac_f64_e32 v[8:9], v[72:73], v[116:117]
	v_add_f64 v[2:3], v[2:3], v[8:9]
	;; [unrolled: 3-line block ×3, first 2 shown]
	v_add_f64 v[2:3], v[2:3], v[12:13]
	v_add_f64 v[2:3], v[2:3], v[14:15]
	s_waitcnt vmcnt(30)
	v_fmac_f64_e32 v[16:17], v[60:61], v[110:111]
	v_add_f64 v[2:3], v[2:3], v[16:17]
	v_mul_f64 v[76:77], v[76:77], v[88:89]
	v_mul_f64 v[72:73], v[72:73], v[202:203]
	;; [unrolled: 1-line block ×3, first 2 shown]
	v_fma_f64 v[116:117], v[70:71], v[116:117], -v[72:73]
	s_waitcnt vmcnt(0)
	v_pk_mov_b32 v[18:19], v[4:5], v[4:5] op_sel:[0,1]
	buffer_load_dword v5, off, s[0:3], 0 offset:596
	buffer_load_dword v4, off, s[0:3], 0 offset:592
	v_accvgpr_write_b32 a197, v19
	v_accvgpr_write_b32 a196, v18
	s_waitcnt vmcnt(0)
	v_pk_mov_b32 v[20:21], v[4:5], v[4:5] op_sel:[0,1]
	buffer_load_dword v5, off, s[0:3], 0 offset:588
	buffer_load_dword v4, off, s[0:3], 0 offset:584
	v_accvgpr_write_b32 a199, v21
	v_accvgpr_write_b32 a198, v20
	s_waitcnt vmcnt(0)
	v_pk_mov_b32 v[14:15], v[4:5], v[4:5] op_sel:[0,1]
	buffer_load_dword v139, off, s[0:3], 0 offset:580
	buffer_load_dword v138, off, s[0:3], 0 offset:576
	buffer_load_dword v5, off, s[0:3], 0 offset:636
	buffer_load_dword v4, off, s[0:3], 0 offset:632
	v_accvgpr_write_b32 a195, v15
	v_accvgpr_write_b32 a194, v14
	s_waitcnt vmcnt(0)
	v_pk_mov_b32 v[26:27], v[4:5], v[4:5] op_sel:[0,1]
	buffer_load_dword v5, off, s[0:3], 0 offset:628
	buffer_load_dword v4, off, s[0:3], 0 offset:624
	v_accvgpr_write_b32 a201, v27
	v_accvgpr_write_b32 a200, v26
	s_waitcnt vmcnt(0)
	v_pk_mov_b32 v[28:29], v[4:5], v[4:5] op_sel:[0,1]
	buffer_load_dword v143, off, s[0:3], 0 offset:620
	buffer_load_dword v142, off, s[0:3], 0 offset:616
	;; [unrolled: 1-line block ×6, first 2 shown]
	v_accvgpr_write_b32 a203, v29
	v_accvgpr_write_b32 a202, v28
	s_waitcnt vmcnt(0)
	v_pk_mov_b32 v[34:35], v[4:5], v[4:5] op_sel:[0,1]
	buffer_load_dword v5, off, s[0:3], 0 offset:660
	buffer_load_dword v4, off, s[0:3], 0 offset:656
	v_accvgpr_write_b32 a205, v35
	v_accvgpr_write_b32 a204, v34
	s_waitcnt vmcnt(0)
	v_pk_mov_b32 v[36:37], v[4:5], v[4:5] op_sel:[0,1]
	buffer_load_dword v151, off, s[0:3], 0 offset:652
	buffer_load_dword v150, off, s[0:3], 0 offset:648
	;; [unrolled: 1-line block ×36, first 2 shown]
	ds_read_b128 v[244:247], v126 offset:1488
	ds_read_b128 v[248:251], v126 offset:1504
	;; [unrolled: 1-line block ×10, first 2 shown]
	s_waitcnt lgkmcnt(4)
	v_mul_f64 v[8:9], v[98:99], v[234:235]
	v_fmac_f64_e32 v[8:9], v[100:101], v[236:237]
	s_waitcnt lgkmcnt(3)
	v_mul_f64 v[12:13], v[132:133], v[14:15]
	v_fmac_f64_e32 v[12:13], v[134:135], v[138:139]
	;; [unrolled: 3-line block ×5, first 2 shown]
	v_accvgpr_write_b32 a207, v37
	v_accvgpr_write_b32 a206, v36
	v_mul_f64 v[70:71], v[246:247], v[230:231]
	v_mul_f64 v[100:101], v[100:101], v[234:235]
	s_waitcnt vmcnt(30)
	v_pk_mov_b32 v[42:43], v[4:5], v[4:5] op_sel:[0,1]
	v_mul_f64 v[4:5], v[66:67], v[102:103]
	v_fmac_f64_e32 v[4:5], v[68:69], v[224:225]
	v_add_f64 v[2:3], v[2:3], v[4:5]
	v_mul_f64 v[4:5], v[244:245], v[230:231]
	v_fmac_f64_e32 v[4:5], v[246:247], v[232:233]
	v_add_f64 v[2:3], v[2:3], v[4:5]
	;; [unrolled: 3-line block ×6, first 2 shown]
	v_add_f64 v[10:11], v[6:7], v[8:9]
	v_add_f64 v[14:15], v[10:11], v[12:13]
	;; [unrolled: 1-line block ×4, first 2 shown]
	ds_read_b128 v[18:21], v126 offset:1648
	v_add_f64 v[26:27], v[22:23], v[24:25]
	ds_read_b128 v[22:25], v126 offset:1664
	v_accvgpr_write_b32 a209, v43
	v_accvgpr_write_b32 a208, v42
	s_waitcnt lgkmcnt(1)
	v_mul_f64 v[28:29], v[18:19], v[150:151]
	v_fmac_f64_e32 v[28:29], v[20:21], v[154:155]
	v_add_f64 v[30:31], v[26:27], v[28:29]
	ds_read_b128 v[26:29], v126 offset:1680
	s_waitcnt lgkmcnt(1)
	v_mul_f64 v[32:33], v[22:23], v[34:35]
	v_fmac_f64_e32 v[32:33], v[24:25], v[36:37]
	v_add_f64 v[34:35], v[30:31], v[32:33]
	ds_read_b128 v[30:33], v126 offset:1696
	s_waitcnt vmcnt(26) lgkmcnt(1)
	v_mul_f64 v[36:37], v[26:27], v[158:159]
	s_waitcnt vmcnt(24)
	v_fmac_f64_e32 v[36:37], v[28:29], v[160:161]
	v_add_f64 v[38:39], v[34:35], v[36:37]
	ds_read_b128 v[34:37], v126 offset:1712
	s_waitcnt lgkmcnt(1)
	v_mul_f64 v[40:41], v[30:31], v[42:43]
	v_fmac_f64_e32 v[40:41], v[32:33], v[242:243]
	v_add_f64 v[42:43], v[38:39], v[40:41]
	ds_read_b128 v[38:41], v126 offset:1728
	s_waitcnt vmcnt(18) lgkmcnt(1)
	v_mul_f64 v[44:45], v[34:35], v[162:163]
	s_waitcnt vmcnt(16)
	v_fmac_f64_e32 v[44:45], v[36:37], v[164:165]
	v_add_f64 v[46:47], v[42:43], v[44:45]
	ds_read_b128 v[42:45], v126 offset:1744
	buffer_load_dword v175, off, s[0:3], 0 offset:812
	buffer_load_dword v174, off, s[0:3], 0 offset:808
	;; [unrolled: 1-line block ×4, first 2 shown]
	s_waitcnt lgkmcnt(1)
	v_mul_f64 v[48:49], v[38:39], v[136:137]
	v_fmac_f64_e32 v[48:49], v[40:41], v[140:141]
	v_add_f64 v[178:179], v[46:47], v[48:49]
	ds_read_b128 v[46:49], v126 offset:1760
	buffer_load_dword v181, off, s[0:3], 0 offset:828
	buffer_load_dword v180, off, s[0:3], 0 offset:824
	;; [unrolled: 1-line block ×4, first 2 shown]
	s_waitcnt vmcnt(18) lgkmcnt(1)
	v_mul_f64 v[186:187], v[42:43], v[166:167]
	s_waitcnt vmcnt(16)
	v_fmac_f64_e32 v[186:187], v[44:45], v[168:169]
	v_add_f64 v[2:3], v[178:179], v[186:187]
	buffer_load_dword v179, off, s[0:3], 0 offset:860
	buffer_load_dword v187, off, s[0:3], 0 offset:844
	;; [unrolled: 1-line block ×8, first 2 shown]
	v_mul_f64 v[4:5], v[84:85], v[194:195]
	v_fma_f64 v[14:15], v[82:83], v[184:185], -v[4:5]
	buffer_load_dword v184, off, s[0:3], 0 offset:888
	buffer_load_dword v195, off, s[0:3], 0 offset:876
	;; [unrolled: 1-line block ×8, first 2 shown]
	v_fma_f64 v[84:85], v[74:75], v[200:201], -v[76:77]
	buffer_load_dword v201, off, s[0:3], 0 offset:924
	buffer_load_dword v203, off, s[0:3], 0 offset:908
	;; [unrolled: 1-line block ×12, first 2 shown]
	v_mul_f64 v[8:9], v[52:53], v[216:217]
	v_fma_f64 v[10:11], v[62:63], v[214:215], -v[64:65]
	v_fma_f64 v[8:9], v[50:51], v[218:219], -v[8:9]
	buffer_load_dword v215, off, s[0:3], 0 offset:956
	buffer_load_dword v214, off, s[0:3], 0 offset:952
	;; [unrolled: 1-line block ×12, first 2 shown]
	s_waitcnt lgkmcnt(0)
	v_mul_f64 v[50:51], v[46:47], v[144:145]
	v_fmac_f64_e32 v[50:51], v[48:49], v[148:149]
	v_add_f64 v[2:3], v[2:3], v[50:51]
	ds_read_b128 v[50:53], v126 offset:1776
	v_fma_f64 v[6:7], v[54:55], v[108:109], -v[56:57]
	ds_read_b128 v[54:57], v126 offset:1792
	v_fma_f64 v[4:5], v[58:59], v[110:111], -v[60:61]
	ds_read_b128 v[58:61], v126 offset:1808
	ds_read_b128 v[62:65], v126 offset:1824
	s_waitcnt vmcnt(50) lgkmcnt(3)
	v_mul_f64 v[12:13], v[50:51], v[170:171]
	s_waitcnt vmcnt(48)
	v_fmac_f64_e32 v[12:13], v[52:53], v[172:173]
	v_add_f64 v[2:3], v[2:3], v[12:13]
	s_waitcnt lgkmcnt(2)
	v_mul_f64 v[12:13], v[54:55], v[152:153]
	v_fmac_f64_e32 v[12:13], v[56:57], v[156:157]
	v_add_f64 v[2:3], v[2:3], v[12:13]
	v_fma_f64 v[244:245], v[244:245], v[232:233], -v[70:71]
	ds_read_b128 v[74:77], v126 offset:1872
	v_fma_f64 v[82:83], v[78:79], v[86:87], -v[80:81]
	ds_read_b128 v[78:81], v126 offset:1888
	v_mul_f64 v[0:1], v[254:255], v[0:1]
	v_fma_f64 v[246:247], v[252:253], v[240:241], -v[0:1]
	v_mul_f64 v[92:93], v[92:93], v[190:191]
	v_fma_f64 v[190:191], v[90:91], v[238:239], -v[92:93]
	ds_read_b128 v[90:93], v126 offset:1936
	ds_read_b128 v[238:241], v126 offset:1952
	v_mul_f64 v[96:97], v[96:97], v[112:113]
	v_fma_f64 v[252:253], v[98:99], v[236:237], -v[100:101]
	v_add_f64 v[14:15], v[14:15], 0
	v_add_f64 v[14:15], v[14:15], v[82:83]
	;; [unrolled: 1-line block ×8, first 2 shown]
	v_accvgpr_read_b32 v6, a194
	v_accvgpr_read_b32 v7, a195
	v_mul_f64 v[6:7], v[134:135], v[6:7]
	v_fma_f64 v[6:7], v[132:133], v[138:139], -v[6:7]
	v_accvgpr_read_b32 v8, a198
	ds_read_b128 v[70:73], v126 offset:1856
	v_accvgpr_read_b32 v9, a199
	s_waitcnt vmcnt(46) lgkmcnt(6)
	v_mul_f64 v[12:13], v[58:59], v[174:175]
	s_waitcnt vmcnt(44)
	v_fmac_f64_e32 v[12:13], v[60:61], v[176:177]
	v_add_f64 v[2:3], v[2:3], v[12:13]
	v_mul_f64 v[12:13], v[68:69], v[102:103]
	v_fma_f64 v[12:13], v[66:67], v[224:225], -v[12:13]
	ds_read_b128 v[66:69], v126 offset:1840
	s_waitcnt vmcnt(42) lgkmcnt(6)
	v_mul_f64 v[16:17], v[62:63], v[180:181]
	s_waitcnt vmcnt(40)
	v_fmac_f64_e32 v[16:17], v[64:65], v[182:183]
	v_add_f64 v[2:3], v[2:3], v[16:17]
	v_add_f64 v[4:5], v[4:5], v[12:13]
	s_waitcnt vmcnt(37) lgkmcnt(0)
	v_mul_f64 v[16:17], v[66:67], v[186:187]
	s_waitcnt vmcnt(35)
	v_fmac_f64_e32 v[16:17], v[68:69], v[192:193]
	v_add_f64 v[2:3], v[2:3], v[16:17]
	s_waitcnt vmcnt(34)
	v_mul_f64 v[16:17], v[70:71], v[178:179]
	s_waitcnt vmcnt(32)
	v_fmac_f64_e32 v[16:17], v[72:73], v[188:189]
	s_waitcnt vmcnt(29)
	v_mul_f64 v[86:87], v[74:75], v[194:195]
	v_add_f64 v[2:3], v[2:3], v[16:17]
	s_waitcnt vmcnt(27)
	v_fmac_f64_e32 v[86:87], v[76:77], v[198:199]
	v_add_f64 v[86:87], v[2:3], v[86:87]
	ds_read_b128 v[0:3], v126 offset:1904
	s_waitcnt vmcnt(25)
	v_mul_f64 v[88:89], v[78:79], v[184:185]
	s_waitcnt vmcnt(24)
	v_fmac_f64_e32 v[88:89], v[80:81], v[196:197]
	v_add_f64 v[102:103], v[86:87], v[88:89]
	ds_read_b128 v[86:89], v126 offset:1920
	s_waitcnt vmcnt(21) lgkmcnt(1)
	v_mul_f64 v[104:105], v[0:1], v[202:203]
	s_waitcnt vmcnt(19)
	v_fmac_f64_e32 v[104:105], v[2:3], v[208:209]
	v_add_f64 v[102:103], v[102:103], v[104:105]
	v_mul_f64 v[16:17], v[250:251], v[226:227]
	s_waitcnt vmcnt(18) lgkmcnt(0)
	v_mul_f64 v[104:105], v[86:87], v[200:201]
	s_waitcnt vmcnt(16)
	v_fmac_f64_e32 v[104:105], v[88:89], v[206:207]
	v_add_f64 v[102:103], v[102:103], v[104:105]
	s_waitcnt vmcnt(14)
	v_mul_f64 v[104:105], v[90:91], v[204:205]
	s_waitcnt vmcnt(12)
	v_fmac_f64_e32 v[104:105], v[92:93], v[210:211]
	v_fma_f64 v[250:251], v[94:95], v[114:115], -v[96:97]
	v_add_f64 v[106:107], v[102:103], v[104:105]
	ds_read_b128 v[94:97], v126 offset:1968
	ds_read_b128 v[102:105], v126 offset:1984
	s_waitcnt vmcnt(10)
	v_mul_f64 v[98:99], v[238:239], v[214:215]
	buffer_load_dword v225, off, s[0:3], 0 offset:1004
	buffer_load_dword v224, off, s[0:3], 0 offset:1000
	;; [unrolled: 1-line block ×4, first 2 shown]
	s_waitcnt vmcnt(12)
	v_fmac_f64_e32 v[98:99], v[240:241], v[216:217]
	v_fma_f64 v[16:17], v[248:249], v[228:229], -v[16:17]
	v_add_f64 v[98:99], v[106:107], v[98:99]
	ds_read_b128 v[106:109], v126 offset:2000
	buffer_load_dword v228, off, s[0:3], 0 offset:1016
	buffer_load_dword v229, off, s[0:3], 0 offset:1020
	;; [unrolled: 1-line block ×4, first 2 shown]
	s_waitcnt vmcnt(13) lgkmcnt(2)
	v_mul_f64 v[100:101], v[94:95], v[220:221]
	s_waitcnt vmcnt(11)
	v_fmac_f64_e32 v[100:101], v[96:97], v[222:223]
	ds_read_b128 v[110:113], v126 offset:2016
	v_add_f64 v[98:99], v[98:99], v[100:101]
	s_waitcnt vmcnt(9) lgkmcnt(2)
	v_mul_f64 v[100:101], v[102:103], v[212:213]
	s_waitcnt vmcnt(8)
	v_fmac_f64_e32 v[100:101], v[104:105], v[218:219]
	v_add_f64 v[98:99], v[98:99], v[100:101]
	buffer_load_dword v235, off, s[0:3], 0 offset:1036
	buffer_load_dword v234, off, s[0:3], 0 offset:1032
	;; [unrolled: 1-line block ×4, first 2 shown]
	v_add_f64 v[4:5], v[4:5], v[244:245]
	v_add_f64 v[4:5], v[4:5], v[16:17]
	;; [unrolled: 1-line block ×7, first 2 shown]
	v_accvgpr_read_b32 v6, a196
	v_accvgpr_read_b32 v7, a197
	v_mul_f64 v[6:7], v[130:131], v[6:7]
	v_fma_f64 v[6:7], v[128:129], v[8:9], -v[6:7]
	v_add_f64 v[4:5], v[4:5], v[6:7]
	v_mul_f64 v[6:7], v[124:125], v[142:143]
	v_fma_f64 v[6:7], v[122:123], v[146:147], -v[6:7]
	v_add_f64 v[4:5], v[4:5], v[6:7]
	v_accvgpr_read_b32 v6, a200
	v_accvgpr_read_b32 v7, a201
	;; [unrolled: 1-line block ×3, first 2 shown]
	v_mul_f64 v[6:7], v[120:121], v[6:7]
	v_accvgpr_read_b32 v9, a203
	v_fma_f64 v[6:7], v[118:119], v[8:9], -v[6:7]
	v_add_f64 v[4:5], v[4:5], v[6:7]
	v_mul_f64 v[6:7], v[20:21], v[150:151]
	v_fma_f64 v[6:7], v[18:19], v[154:155], -v[6:7]
	v_add_f64 v[4:5], v[4:5], v[6:7]
	v_accvgpr_read_b32 v6, a204
	v_accvgpr_read_b32 v7, a205
	;; [unrolled: 1-line block ×3, first 2 shown]
	v_mul_f64 v[6:7], v[24:25], v[6:7]
	v_accvgpr_read_b32 v9, a207
	v_fma_f64 v[6:7], v[22:23], v[8:9], -v[6:7]
	v_add_f64 v[4:5], v[4:5], v[6:7]
	v_mul_f64 v[6:7], v[28:29], v[158:159]
	v_fma_f64 v[6:7], v[26:27], v[160:161], -v[6:7]
	v_add_f64 v[4:5], v[4:5], v[6:7]
	v_accvgpr_read_b32 v6, a208
	v_accvgpr_read_b32 v7, a209
	v_mul_f64 v[6:7], v[32:33], v[6:7]
	v_fma_f64 v[6:7], v[30:31], v[242:243], -v[6:7]
	v_add_f64 v[4:5], v[4:5], v[6:7]
	v_mul_f64 v[6:7], v[36:37], v[162:163]
	v_fma_f64 v[6:7], v[34:35], v[164:165], -v[6:7]
	v_add_f64 v[4:5], v[4:5], v[6:7]
	;; [unrolled: 3-line block ×9, first 2 shown]
	s_waitcnt vmcnt(10) lgkmcnt(1)
	v_mul_f64 v[100:101], v[106:107], v[224:225]
	v_mul_f64 v[6:7], v[68:69], v[186:187]
	s_waitcnt vmcnt(8)
	v_fmac_f64_e32 v[100:101], v[108:109], v[226:227]
	v_add_f64 v[98:99], v[98:99], v[100:101]
	v_fma_f64 v[6:7], v[66:67], v[192:193], -v[6:7]
	s_waitcnt vmcnt(6) lgkmcnt(0)
	v_mul_f64 v[100:101], v[110:111], v[228:229]
	v_add_f64 v[4:5], v[4:5], v[6:7]
	s_waitcnt vmcnt(4)
	v_fmac_f64_e32 v[100:101], v[112:113], v[230:231]
	v_add_f64 v[114:115], v[98:99], v[100:101]
	ds_read_b128 v[98:101], v126 offset:2032
	buffer_load_dword v248, off, s[0:3], 0 offset:320
	buffer_load_dword v249, off, s[0:3], 0 offset:324
	;; [unrolled: 1-line block ×4, first 2 shown]
	v_mul_f64 v[6:7], v[72:73], v[178:179]
	v_fma_f64 v[6:7], v[70:71], v[188:189], -v[6:7]
	v_add_f64 v[4:5], v[4:5], v[6:7]
	v_mul_f64 v[6:7], v[76:77], v[194:195]
	v_fma_f64 v[6:7], v[74:75], v[198:199], -v[6:7]
	v_add_f64 v[4:5], v[4:5], v[6:7]
	v_mul_f64 v[6:7], v[80:81], v[184:185]
	v_fma_f64 v[6:7], v[78:79], v[196:197], -v[6:7]
	v_mul_f64 v[2:3], v[2:3], v[202:203]
	v_add_f64 v[4:5], v[4:5], v[6:7]
	v_fma_f64 v[0:1], v[0:1], v[208:209], -v[2:3]
	v_mul_f64 v[2:3], v[88:89], v[200:201]
	v_add_f64 v[0:1], v[4:5], v[0:1]
	v_fma_f64 v[2:3], v[86:87], v[206:207], -v[2:3]
	v_add_f64 v[0:1], v[0:1], v[2:3]
	v_mul_f64 v[2:3], v[92:93], v[204:205]
	v_fma_f64 v[2:3], v[90:91], v[210:211], -v[2:3]
	v_add_f64 v[0:1], v[0:1], v[2:3]
	v_mul_f64 v[2:3], v[240:241], v[214:215]
	;; [unrolled: 3-line block ×6, first 2 shown]
	v_fma_f64 v[2:3], v[110:111], v[230:231], -v[2:3]
	v_add_f64 v[0:1], v[0:1], v[2:3]
	s_waitcnt vmcnt(6) lgkmcnt(0)
	v_mul_f64 v[2:3], v[100:101], v[234:235]
	v_mul_f64 v[126:127], v[98:99], v[234:235]
	s_waitcnt vmcnt(4)
	v_fma_f64 v[2:3], v[98:99], v[236:237], -v[2:3]
	v_fmac_f64_e32 v[126:127], v[100:101], v[236:237]
	v_add_f64 v[0:1], v[0:1], v[2:3]
	v_add_f64 v[232:233], v[114:115], v[126:127]
	s_waitcnt vmcnt(2)
	v_add_f64 v[0:1], v[248:249], -v[0:1]
	s_waitcnt vmcnt(0)
	v_add_f64 v[2:3], v[246:247], -v[232:233]
	buffer_store_dword v1, off, s[0:3], 0 offset:324
	buffer_store_dword v0, off, s[0:3], 0 offset:320
	;; [unrolled: 1-line block ×4, first 2 shown]
	v_accvgpr_read_b32 v0, a191
	v_cmp_lt_u32_e32 vcc, 18, v0
	s_and_saveexec_b64 s[4:5], vcc
	s_cbranch_execz .LBB63_373
; %bb.372:
	v_accvgpr_read_b32 v3, a173
	buffer_load_dword v0, v3, s[0:3], 0 offen
	buffer_load_dword v1, v3, s[0:3], 0 offen offset:4
	buffer_load_dword v2, v3, s[0:3], 0 offen offset:8
	s_nop 0
	buffer_load_dword v3, v3, s[0:3], 0 offen offset:12
	v_mov_b32_e32 v4, 0
	v_accvgpr_read_b32 v5, a192
	buffer_store_dword v4, off, s[0:3], 0 offset:304
	buffer_store_dword v4, off, s[0:3], 0 offset:308
	buffer_store_dword v4, off, s[0:3], 0 offset:312
	buffer_store_dword v4, off, s[0:3], 0 offset:316
	s_waitcnt vmcnt(4)
	ds_write_b128 v5, v[0:3]
.LBB63_373:
	s_or_b64 exec, exec, s[4:5]
	s_waitcnt lgkmcnt(0)
	; wave barrier
	s_waitcnt lgkmcnt(0)
	buffer_load_dword v56, off, s[0:3], 0 offset:320
	buffer_load_dword v57, off, s[0:3], 0 offset:324
	;; [unrolled: 1-line block ×36, first 2 shown]
	v_mov_b32_e32 v190, 0
	buffer_load_dword v87, off, s[0:3], 0 offset:492
	buffer_load_dword v86, off, s[0:3], 0 offset:488
	;; [unrolled: 1-line block ×18, first 2 shown]
	ds_read_b128 v[108:111], v190 offset:1328
	ds_read_b128 v[112:115], v190 offset:1344
	;; [unrolled: 1-line block ×9, first 2 shown]
	s_waitcnt vmcnt(50) lgkmcnt(8)
	v_mul_f64 v[0:1], v[108:109], v[58:59]
	v_fmac_f64_e32 v[0:1], v[110:111], v[56:57]
	v_add_f64 v[0:1], v[0:1], 0
	s_waitcnt vmcnt(46) lgkmcnt(7)
	v_mul_f64 v[2:3], v[112:113], v[54:55]
	v_fmac_f64_e32 v[2:3], v[114:115], v[52:53]
	s_waitcnt vmcnt(44) lgkmcnt(6)
	v_mul_f64 v[4:5], v[196:197], v[50:51]
	v_add_f64 v[0:1], v[0:1], v[2:3]
	s_waitcnt vmcnt(42) lgkmcnt(4)
	v_mul_f64 v[8:9], v[204:205], v[60:61]
	v_mul_f64 v[50:51], v[198:199], v[50:51]
	s_waitcnt vmcnt(40)
	v_fmac_f64_e32 v[8:9], v[206:207], v[62:63]
	v_mul_f64 v[54:55], v[114:115], v[54:55]
	s_waitcnt vmcnt(38)
	v_mul_f64 v[6:7], v[200:201], v[64:65]
	s_waitcnt vmcnt(36) lgkmcnt(2)
	v_mul_f64 v[12:13], v[214:215], v[74:75]
	s_waitcnt vmcnt(34)
	v_fmac_f64_e32 v[12:13], v[216:217], v[72:73]
	s_waitcnt vmcnt(32)
	v_mul_f64 v[10:11], v[208:209], v[76:77]
	s_waitcnt vmcnt(30) lgkmcnt(1)
	v_mul_f64 v[14:15], v[220:221], v[68:69]
	s_waitcnt vmcnt(28)
	v_fmac_f64_e32 v[4:5], v[198:199], v[212:213]
	v_add_f64 v[0:1], v[0:1], v[4:5]
	s_waitcnt vmcnt(26)
	v_fmac_f64_e32 v[6:7], v[202:203], v[80:81]
	v_add_f64 v[0:1], v[0:1], v[6:7]
	;; [unrolled: 3-line block ×3, first 2 shown]
	v_add_f64 v[0:1], v[0:1], v[10:11]
	v_add_f64 v[2:3], v[0:1], v[12:13]
	buffer_load_dword v1, off, s[0:3], 0 offset:548
	buffer_load_dword v0, off, s[0:3], 0 offset:544
	buffer_load_dword v117, off, s[0:3], 0 offset:540
	buffer_load_dword v116, off, s[0:3], 0 offset:536
	buffer_load_dword v83, off, s[0:3], 0 offset:532
	buffer_load_dword v82, off, s[0:3], 0 offset:528
	buffer_load_dword v5, off, s[0:3], 0 offset:588
	buffer_load_dword v4, off, s[0:3], 0 offset:584
	s_waitcnt vmcnt(30)
	v_fmac_f64_e32 v[14:15], v[222:223], v[70:71]
	v_add_f64 v[2:3], v[2:3], v[14:15]
	s_waitcnt vmcnt(0)
	v_pk_mov_b32 v[16:17], v[4:5], v[4:5] op_sel:[0,1]
	buffer_load_dword v5, off, s[0:3], 0 offset:580
	buffer_load_dword v4, off, s[0:3], 0 offset:576
	v_accvgpr_write_b32 a195, v17
	v_accvgpr_write_b32 a194, v16
	s_waitcnt vmcnt(0)
	v_pk_mov_b32 v[18:19], v[4:5], v[4:5] op_sel:[0,1]
	buffer_load_dword v105, off, s[0:3], 0 offset:572
	buffer_load_dword v104, off, s[0:3], 0 offset:568
	buffer_load_dword v107, off, s[0:3], 0 offset:564
	buffer_load_dword v106, off, s[0:3], 0 offset:560
	buffer_load_dword v5, off, s[0:3], 0 offset:620
	buffer_load_dword v4, off, s[0:3], 0 offset:616
	v_accvgpr_write_b32 a197, v19
	v_accvgpr_write_b32 a196, v18
	s_waitcnt vmcnt(0)
	v_pk_mov_b32 v[22:23], v[4:5], v[4:5] op_sel:[0,1]
	buffer_load_dword v5, off, s[0:3], 0 offset:612
	buffer_load_dword v4, off, s[0:3], 0 offset:608
	v_accvgpr_write_b32 a199, v23
	v_accvgpr_write_b32 a198, v22
	s_waitcnt vmcnt(0)
	v_pk_mov_b32 v[24:25], v[4:5], v[4:5] op_sel:[0,1]
	buffer_load_dword v139, off, s[0:3], 0 offset:604
	buffer_load_dword v138, off, s[0:3], 0 offset:600
	buffer_load_dword v143, off, s[0:3], 0 offset:596
	buffer_load_dword v142, off, s[0:3], 0 offset:592
	buffer_load_dword v5, off, s[0:3], 0 offset:652
	buffer_load_dword v4, off, s[0:3], 0 offset:648
	v_accvgpr_write_b32 a201, v25
	v_accvgpr_write_b32 a200, v24
	;; [unrolled: 16-line block ×3, first 2 shown]
	s_waitcnt vmcnt(0)
	v_pk_mov_b32 v[38:39], v[4:5], v[4:5] op_sel:[0,1]
	buffer_load_dword v5, off, s[0:3], 0 offset:676
	buffer_load_dword v4, off, s[0:3], 0 offset:672
	buffer_load_dword v155, off, s[0:3], 0 offset:668
	buffer_load_dword v154, off, s[0:3], 0 offset:664
	buffer_load_dword v157, off, s[0:3], 0 offset:660
	buffer_load_dword v156, off, s[0:3], 0 offset:656
	buffer_load_dword v135, off, s[0:3], 0 offset:716
	buffer_load_dword v134, off, s[0:3], 0 offset:712
	buffer_load_dword v137, off, s[0:3], 0 offset:708
	buffer_load_dword v136, off, s[0:3], 0 offset:704
	buffer_load_dword v159, off, s[0:3], 0 offset:700
	buffer_load_dword v158, off, s[0:3], 0 offset:696
	buffer_load_dword v161, off, s[0:3], 0 offset:692
	buffer_load_dword v160, off, s[0:3], 0 offset:688
	buffer_load_dword v141, off, s[0:3], 0 offset:748
	buffer_load_dword v140, off, s[0:3], 0 offset:744
	buffer_load_dword v145, off, s[0:3], 0 offset:740
	buffer_load_dword v144, off, s[0:3], 0 offset:736
	buffer_load_dword v163, off, s[0:3], 0 offset:732
	buffer_load_dword v162, off, s[0:3], 0 offset:728
	buffer_load_dword v165, off, s[0:3], 0 offset:724
	buffer_load_dword v164, off, s[0:3], 0 offset:720
	buffer_load_dword v149, off, s[0:3], 0 offset:780
	buffer_load_dword v148, off, s[0:3], 0 offset:776
	buffer_load_dword v153, off, s[0:3], 0 offset:772
	buffer_load_dword v152, off, s[0:3], 0 offset:768
	buffer_load_dword v167, off, s[0:3], 0 offset:764
	buffer_load_dword v166, off, s[0:3], 0 offset:760
	buffer_load_dword v169, off, s[0:3], 0 offset:756
	buffer_load_dword v168, off, s[0:3], 0 offset:752
	ds_read_b128 v[228:231], v190 offset:1472
	ds_read_b128 v[232:235], v190 offset:1488
	;; [unrolled: 1-line block ×11, first 2 shown]
	s_waitcnt lgkmcnt(4)
	v_mul_f64 v[8:9], v[252:253], v[104:105]
	v_fmac_f64_e32 v[8:9], v[254:255], v[106:107]
	s_waitcnt lgkmcnt(3)
	v_mul_f64 v[12:13], v[130:131], v[16:17]
	v_fmac_f64_e32 v[12:13], v[132:133], v[18:19]
	;; [unrolled: 3-line block ×4, first 2 shown]
	v_accvgpr_write_b32 a207, v39
	v_accvgpr_write_b32 a206, v38
	s_waitcnt vmcnt(28)
	v_pk_mov_b32 v[40:41], v[4:5], v[4:5] op_sel:[0,1]
	v_mul_f64 v[4:5], v[224:225], v[66:67]
	v_fmac_f64_e32 v[4:5], v[226:227], v[84:85]
	v_add_f64 v[2:3], v[2:3], v[4:5]
	v_mul_f64 v[4:5], v[228:229], v[90:91]
	v_fmac_f64_e32 v[4:5], v[230:231], v[92:93]
	v_add_f64 v[2:3], v[2:3], v[4:5]
	;; [unrolled: 3-line block ×7, first 2 shown]
	v_add_f64 v[10:11], v[6:7], v[8:9]
	v_add_f64 v[14:15], v[10:11], v[12:13]
	;; [unrolled: 1-line block ×4, first 2 shown]
	ds_read_b128 v[18:21], v190 offset:1648
	s_waitcnt lgkmcnt(1)
	v_mul_f64 v[24:25], v[118:119], v[146:147]
	v_fmac_f64_e32 v[24:25], v[120:121], v[150:151]
	v_add_f64 v[26:27], v[22:23], v[24:25]
	ds_read_b128 v[22:25], v190 offset:1664
	s_waitcnt lgkmcnt(1)
	v_mul_f64 v[28:29], v[18:19], v[30:31]
	v_fmac_f64_e32 v[28:29], v[20:21], v[32:33]
	v_add_f64 v[30:31], v[26:27], v[28:29]
	ds_read_b128 v[26:29], v190 offset:1680
	s_waitcnt vmcnt(26) lgkmcnt(1)
	v_mul_f64 v[32:33], v[22:23], v[154:155]
	s_waitcnt vmcnt(24)
	v_fmac_f64_e32 v[32:33], v[24:25], v[156:157]
	v_add_f64 v[34:35], v[30:31], v[32:33]
	ds_read_b128 v[30:33], v190 offset:1696
	s_waitcnt lgkmcnt(1)
	v_mul_f64 v[36:37], v[26:27], v[38:39]
	v_fmac_f64_e32 v[36:37], v[28:29], v[40:41]
	v_accvgpr_write_b32 a209, v41
	v_accvgpr_write_b32 a208, v40
	v_add_f64 v[38:39], v[34:35], v[36:37]
	ds_read_b128 v[34:37], v190 offset:1712
	s_waitcnt vmcnt(18) lgkmcnt(1)
	v_mul_f64 v[40:41], v[30:31], v[158:159]
	s_waitcnt vmcnt(16)
	v_fmac_f64_e32 v[40:41], v[32:33], v[160:161]
	v_add_f64 v[42:43], v[38:39], v[40:41]
	ds_read_b128 v[38:41], v190 offset:1728
	s_waitcnt lgkmcnt(1)
	v_mul_f64 v[44:45], v[34:35], v[134:135]
	v_fmac_f64_e32 v[44:45], v[36:37], v[136:137]
	v_add_f64 v[46:47], v[42:43], v[44:45]
	ds_read_b128 v[42:45], v190 offset:1744
	s_waitcnt vmcnt(10) lgkmcnt(1)
	v_mul_f64 v[48:49], v[38:39], v[162:163]
	s_waitcnt vmcnt(8)
	v_fmac_f64_e32 v[48:49], v[40:41], v[164:165]
	v_add_f64 v[172:173], v[46:47], v[48:49]
	ds_read_b128 v[46:49], v190 offset:1760
	buffer_load_dword v171, off, s[0:3], 0 offset:796
	buffer_load_dword v170, off, s[0:3], 0 offset:792
	;; [unrolled: 1-line block ×4, first 2 shown]
	s_waitcnt lgkmcnt(1)
	v_mul_f64 v[176:177], v[42:43], v[140:141]
	v_fmac_f64_e32 v[176:177], v[44:45], v[144:145]
	v_add_f64 v[2:3], v[172:173], v[176:177]
	buffer_load_dword v177, off, s[0:3], 0 offset:812
	buffer_load_dword v176, off, s[0:3], 0 offset:808
	;; [unrolled: 1-line block ×20, first 2 shown]
	v_mul_f64 v[4:5], v[110:111], v[58:59]
	v_fma_f64 v[110:111], v[196:197], v[212:213], -v[50:51]
	buffer_load_dword v197, off, s[0:3], 0 offset:892
	buffer_load_dword v196, off, s[0:3], 0 offset:888
	;; [unrolled: 1-line block ×4, first 2 shown]
	v_mul_f64 v[50:51], v[202:203], v[64:65]
	v_fma_f64 v[14:15], v[108:109], v[56:57], -v[4:5]
	v_fma_f64 v[108:109], v[112:113], v[52:53], -v[54:55]
	;; [unrolled: 1-line block ×3, first 2 shown]
	v_mul_f64 v[50:51], v[206:207], v[60:61]
	v_fma_f64 v[114:115], v[204:205], v[62:63], -v[50:51]
	buffer_load_dword v201, off, s[0:3], 0 offset:908
	buffer_load_dword v200, off, s[0:3], 0 offset:904
	;; [unrolled: 1-line block ×8, first 2 shown]
	ds_read_b128 v[50:53], v190 offset:1776
	v_mul_f64 v[54:55], v[210:211], v[76:77]
	buffer_load_dword v211, off, s[0:3], 0 offset:940
	buffer_load_dword v210, off, s[0:3], 0 offset:936
	;; [unrolled: 1-line block ×4, first 2 shown]
	v_mul_f64 v[8:9], v[216:217], v[74:75]
	v_fma_f64 v[10:11], v[208:209], v[78:79], -v[54:55]
	v_fma_f64 v[8:9], v[214:215], v[72:73], -v[8:9]
	buffer_load_dword v208, off, s[0:3], 0 offset:968
	buffer_load_dword v217, off, s[0:3], 0 offset:956
	;; [unrolled: 1-line block ×8, first 2 shown]
	v_mul_f64 v[56:57], v[222:223], v[68:69]
	v_fma_f64 v[6:7], v[220:221], v[70:71], -v[56:57]
	buffer_load_dword v221, off, s[0:3], 0 offset:988
	buffer_load_dword v220, off, s[0:3], 0 offset:984
	;; [unrolled: 1-line block ×4, first 2 shown]
	s_waitcnt vmcnt(54) lgkmcnt(1)
	v_mul_f64 v[54:55], v[46:47], v[166:167]
	s_waitcnt vmcnt(52)
	v_fmac_f64_e32 v[54:55], v[48:49], v[168:169]
	v_add_f64 v[2:3], v[2:3], v[54:55]
	ds_read_b128 v[54:57], v190 offset:1792
	ds_read_b128 v[58:61], v190 offset:1808
	s_waitcnt lgkmcnt(2)
	v_mul_f64 v[12:13], v[50:51], v[148:149]
	v_fmac_f64_e32 v[12:13], v[52:53], v[152:153]
	v_add_f64 v[2:3], v[2:3], v[12:13]
	v_mul_f64 v[12:13], v[226:227], v[66:67]
	v_fma_f64 v[12:13], v[224:225], v[84:85], -v[12:13]
	v_mul_f64 v[70:71], v[234:235], v[86:87]
	v_fma_f64 v[232:233], v[232:233], v[88:89], -v[70:71]
	ds_read_b128 v[70:73], v190 offset:1856
	v_mul_f64 v[84:85], v[242:243], v[96:97]
	v_fma_f64 v[4:5], v[240:241], v[98:99], -v[84:85]
	ds_read_b128 v[86:89], v190 offset:1920
	v_mul_f64 v[84:85], v[246:247], v[116:117]
	v_fma_f64 v[246:247], v[244:245], v[82:83], -v[84:85]
	v_mul_f64 v[82:83], v[254:255], v[104:105]
	v_add_f64 v[14:15], v[14:15], 0
	v_add_f64 v[14:15], v[14:15], v[108:109]
	;; [unrolled: 1-line block ×9, first 2 shown]
	v_accvgpr_read_b32 v8, a196
	v_accvgpr_read_b32 v9, a197
	s_waitcnt vmcnt(50) lgkmcnt(3)
	v_mul_f64 v[62:63], v[54:55], v[170:171]
	s_waitcnt vmcnt(48)
	v_fmac_f64_e32 v[62:63], v[56:57], v[174:175]
	v_add_f64 v[2:3], v[2:3], v[62:63]
	v_mul_f64 v[62:63], v[230:231], v[90:91]
	v_fma_f64 v[224:225], v[228:229], v[92:93], -v[62:63]
	ds_read_b128 v[90:93], v190 offset:1936
	ds_read_b128 v[62:65], v190 offset:1824
	s_waitcnt vmcnt(46) lgkmcnt(4)
	v_mul_f64 v[66:67], v[58:59], v[176:177]
	s_waitcnt vmcnt(44)
	v_fmac_f64_e32 v[66:67], v[60:61], v[178:179]
	v_add_f64 v[2:3], v[2:3], v[66:67]
	ds_read_b128 v[66:69], v190 offset:1840
	s_waitcnt vmcnt(41) lgkmcnt(1)
	v_mul_f64 v[74:75], v[62:63], v[182:183]
	s_waitcnt vmcnt(39)
	v_fmac_f64_e32 v[74:75], v[64:65], v[186:187]
	v_add_f64 v[2:3], v[2:3], v[74:75]
	v_mul_f64 v[74:75], v[238:239], v[100:101]
	v_fma_f64 v[226:227], v[236:237], v[102:103], -v[74:75]
	ds_read_b128 v[74:77], v190 offset:1872
	s_waitcnt vmcnt(38) lgkmcnt(1)
	v_mul_f64 v[78:79], v[66:67], v[172:173]
	s_waitcnt vmcnt(36)
	v_fmac_f64_e32 v[78:79], v[68:69], v[184:185]
	v_add_f64 v[2:3], v[2:3], v[78:79]
	s_waitcnt vmcnt(33)
	v_mul_f64 v[78:79], v[70:71], v[192:193]
	s_waitcnt vmcnt(31)
	v_fmac_f64_e32 v[78:79], v[72:73], v[194:195]
	v_add_f64 v[2:3], v[2:3], v[78:79]
	s_waitcnt vmcnt(29) lgkmcnt(0)
	v_mul_f64 v[78:79], v[74:75], v[180:181]
	s_waitcnt vmcnt(28)
	v_fmac_f64_e32 v[78:79], v[76:77], v[188:189]
	v_add_f64 v[2:3], v[2:3], v[78:79]
	ds_read_b128 v[78:81], v190 offset:1888
	ds_read_b128 v[238:241], v190 offset:1904
	;; [unrolled: 1-line block ×4, first 2 shown]
	v_add_f64 v[6:7], v[6:7], v[224:225]
	s_waitcnt vmcnt(26) lgkmcnt(3)
	v_mul_f64 v[16:17], v[78:79], v[196:197]
	s_waitcnt vmcnt(24)
	v_fmac_f64_e32 v[16:17], v[80:81], v[198:199]
	v_add_f64 v[2:3], v[2:3], v[16:17]
	s_waitcnt vmcnt(22) lgkmcnt(2)
	v_mul_f64 v[16:17], v[238:239], v[200:201]
	s_waitcnt vmcnt(20)
	v_fmac_f64_e32 v[16:17], v[240:241], v[204:205]
	v_add_f64 v[2:3], v[2:3], v[16:17]
	s_waitcnt vmcnt(18)
	v_mul_f64 v[16:17], v[86:87], v[202:203]
	s_waitcnt vmcnt(16)
	v_fmac_f64_e32 v[16:17], v[88:89], v[206:207]
	v_add_f64 v[2:3], v[2:3], v[16:17]
	v_mul_f64 v[16:17], v[250:251], v[94:95]
	ds_read_b128 v[94:97], v190 offset:1952
	v_fma_f64 v[16:17], v[248:249], v[0:1], -v[16:17]
	s_waitcnt vmcnt(14)
	v_mul_f64 v[0:1], v[90:91], v[210:211]
	s_waitcnt vmcnt(12)
	v_fmac_f64_e32 v[0:1], v[92:93], v[212:213]
	v_fma_f64 v[250:251], v[252:253], v[106:107], -v[82:83]
	buffer_load_dword v106, off, s[0:3], 0 offset:1000
	buffer_load_dword v107, off, s[0:3], 0 offset:1004
	;; [unrolled: 1-line block ×4, first 2 shown]
	v_add_f64 v[0:1], v[2:3], v[0:1]
	s_waitcnt vmcnt(13) lgkmcnt(0)
	v_mul_f64 v[2:3], v[94:95], v[216:217]
	s_waitcnt vmcnt(11)
	v_fmac_f64_e32 v[2:3], v[96:97], v[218:219]
	v_add_f64 v[0:1], v[0:1], v[2:3]
	s_waitcnt vmcnt(9)
	v_mul_f64 v[2:3], v[98:99], v[208:209]
	s_waitcnt vmcnt(8)
	v_fmac_f64_e32 v[2:3], v[100:101], v[214:215]
	v_add_f64 v[0:1], v[0:1], v[2:3]
	s_waitcnt vmcnt(6)
	v_mul_f64 v[2:3], v[102:103], v[220:221]
	s_waitcnt vmcnt(4)
	v_fmac_f64_e32 v[2:3], v[104:105], v[222:223]
	v_add_f64 v[82:83], v[0:1], v[2:3]
	ds_read_b128 v[0:3], v190 offset:2000
	buffer_load_dword v229, off, s[0:3], 0 offset:1020
	buffer_load_dword v228, off, s[0:3], 0 offset:1016
	;; [unrolled: 1-line block ×4, first 2 shown]
	v_add_f64 v[6:7], v[6:7], v[232:233]
	v_add_f64 v[6:7], v[6:7], v[226:227]
	;; [unrolled: 1-line block ×4, first 2 shown]
	v_accvgpr_read_b32 v6, a194
	v_accvgpr_read_b32 v7, a195
	v_add_f64 v[252:253], v[4:5], v[16:17]
	v_mul_f64 v[6:7], v[132:133], v[6:7]
	v_add_f64 v[4:5], v[252:253], v[250:251]
	v_fma_f64 v[6:7], v[130:131], v[8:9], -v[6:7]
	v_add_f64 v[4:5], v[4:5], v[6:7]
	v_mul_f64 v[6:7], v[128:129], v[138:139]
	v_fma_f64 v[6:7], v[126:127], v[142:143], -v[6:7]
	v_add_f64 v[4:5], v[4:5], v[6:7]
	v_accvgpr_read_b32 v6, a198
	v_accvgpr_read_b32 v7, a199
	v_accvgpr_read_b32 v8, a200
	v_mul_f64 v[6:7], v[124:125], v[6:7]
	v_accvgpr_read_b32 v9, a201
	v_fma_f64 v[6:7], v[122:123], v[8:9], -v[6:7]
	v_add_f64 v[4:5], v[4:5], v[6:7]
	v_mul_f64 v[6:7], v[120:121], v[146:147]
	v_fma_f64 v[6:7], v[118:119], v[150:151], -v[6:7]
	v_add_f64 v[4:5], v[4:5], v[6:7]
	v_accvgpr_read_b32 v6, a202
	v_accvgpr_read_b32 v7, a203
	v_accvgpr_read_b32 v8, a204
	v_mul_f64 v[6:7], v[20:21], v[6:7]
	v_accvgpr_read_b32 v9, a205
	;; [unrolled: 10-line block ×3, first 2 shown]
	v_fma_f64 v[6:7], v[26:27], v[8:9], -v[6:7]
	v_add_f64 v[4:5], v[4:5], v[6:7]
	v_mul_f64 v[6:7], v[32:33], v[158:159]
	v_fma_f64 v[6:7], v[30:31], v[160:161], -v[6:7]
	v_add_f64 v[4:5], v[4:5], v[6:7]
	v_mul_f64 v[6:7], v[36:37], v[134:135]
	;; [unrolled: 3-line block ×8, first 2 shown]
	v_fma_f64 v[6:7], v[58:59], v[178:179], -v[6:7]
	v_add_f64 v[4:5], v[4:5], v[6:7]
	s_waitcnt vmcnt(6) lgkmcnt(0)
	v_mul_f64 v[84:85], v[0:1], v[106:107]
	v_mul_f64 v[6:7], v[64:65], v[182:183]
	s_waitcnt vmcnt(4)
	v_fmac_f64_e32 v[84:85], v[2:3], v[254:255]
	v_add_f64 v[116:117], v[82:83], v[84:85]
	ds_read_b128 v[82:85], v190 offset:2016
	v_fma_f64 v[6:7], v[62:63], v[186:187], -v[6:7]
	v_add_f64 v[4:5], v[4:5], v[6:7]
	v_mul_f64 v[6:7], v[68:69], v[172:173]
	v_fma_f64 v[6:7], v[66:67], v[184:185], -v[6:7]
	v_add_f64 v[4:5], v[4:5], v[6:7]
	v_mul_f64 v[6:7], v[72:73], v[192:193]
	v_fma_f64 v[6:7], v[70:71], v[194:195], -v[6:7]
	s_waitcnt vmcnt(2) lgkmcnt(0)
	v_mul_f64 v[234:235], v[82:83], v[228:229]
	v_add_f64 v[4:5], v[4:5], v[6:7]
	s_waitcnt vmcnt(0)
	v_fmac_f64_e32 v[234:235], v[84:85], v[230:231]
	v_add_f64 v[116:117], v[116:117], v[234:235]
	buffer_load_dword v234, off, s[0:3], 0 offset:1032
	buffer_load_dword v235, off, s[0:3], 0 offset:1036
	;; [unrolled: 1-line block ×4, first 2 shown]
	ds_read_b128 v[242:245], v190 offset:2032
	v_mul_f64 v[6:7], v[76:77], v[180:181]
	v_fma_f64 v[6:7], v[74:75], v[188:189], -v[6:7]
	v_add_f64 v[4:5], v[4:5], v[6:7]
	v_mul_f64 v[6:7], v[80:81], v[196:197]
	v_fma_f64 v[6:7], v[78:79], v[198:199], -v[6:7]
	v_add_f64 v[4:5], v[4:5], v[6:7]
	;; [unrolled: 3-line block ×7, first 2 shown]
	v_mul_f64 v[6:7], v[104:105], v[220:221]
	v_fma_f64 v[6:7], v[102:103], v[222:223], -v[6:7]
	v_mul_f64 v[2:3], v[2:3], v[106:107]
	v_add_f64 v[4:5], v[4:5], v[6:7]
	v_fma_f64 v[0:1], v[0:1], v[254:255], -v[2:3]
	v_mul_f64 v[2:3], v[84:85], v[228:229]
	v_add_f64 v[0:1], v[4:5], v[0:1]
	v_fma_f64 v[2:3], v[82:83], v[230:231], -v[2:3]
	v_add_f64 v[0:1], v[0:1], v[2:3]
	s_waitcnt vmcnt(2) lgkmcnt(0)
	v_mul_f64 v[248:249], v[242:243], v[234:235]
	v_mul_f64 v[2:3], v[244:245], v[234:235]
	s_waitcnt vmcnt(0)
	v_fmac_f64_e32 v[248:249], v[244:245], v[236:237]
	v_add_f64 v[116:117], v[116:117], v[248:249]
	buffer_load_dword v248, off, s[0:3], 0 offset:304
	buffer_load_dword v249, off, s[0:3], 0 offset:308
	;; [unrolled: 1-line block ×4, first 2 shown]
	v_fma_f64 v[2:3], v[242:243], v[236:237], -v[2:3]
	v_add_f64 v[0:1], v[0:1], v[2:3]
	s_waitcnt vmcnt(2)
	v_add_f64 v[0:1], v[248:249], -v[0:1]
	s_waitcnt vmcnt(0)
	v_add_f64 v[2:3], v[246:247], -v[116:117]
	buffer_store_dword v1, off, s[0:3], 0 offset:308
	buffer_store_dword v0, off, s[0:3], 0 offset:304
	;; [unrolled: 1-line block ×4, first 2 shown]
	v_accvgpr_read_b32 v0, a191
	v_cmp_lt_u32_e32 vcc, 17, v0
	s_and_saveexec_b64 s[4:5], vcc
	s_cbranch_execz .LBB63_375
; %bb.374:
	v_accvgpr_read_b32 v3, a174
	buffer_load_dword v0, v3, s[0:3], 0 offen
	buffer_load_dword v1, v3, s[0:3], 0 offen offset:4
	buffer_load_dword v2, v3, s[0:3], 0 offen offset:8
	s_nop 0
	buffer_load_dword v3, v3, s[0:3], 0 offen offset:12
	v_accvgpr_read_b32 v4, a192
	buffer_store_dword v190, off, s[0:3], 0 offset:288
	buffer_store_dword v190, off, s[0:3], 0 offset:292
	;; [unrolled: 1-line block ×4, first 2 shown]
	s_waitcnt vmcnt(4)
	ds_write_b128 v4, v[0:3]
.LBB63_375:
	s_or_b64 exec, exec, s[4:5]
	s_waitcnt lgkmcnt(0)
	; wave barrier
	s_waitcnt lgkmcnt(0)
	buffer_load_dword v60, off, s[0:3], 0 offset:304
	buffer_load_dword v61, off, s[0:3], 0 offset:308
	;; [unrolled: 1-line block ×42, first 2 shown]
	ds_read_b128 v[112:115], v190 offset:1312
	ds_read_b128 v[180:183], v190 offset:1328
	;; [unrolled: 1-line block ×10, first 2 shown]
	buffer_load_dword v117, off, s[0:3], 0 offset:452
	buffer_load_dword v116, off, s[0:3], 0 offset:448
	ds_read_b128 v[62:65], v190 offset:1472
	buffer_load_dword v101, off, s[0:3], 0 offset:508
	buffer_load_dword v100, off, s[0:3], 0 offset:504
	;; [unrolled: 1-line block ×6, first 2 shown]
	s_waitcnt vmcnt(46) lgkmcnt(10)
	v_mul_f64 v[2:3], v[112:113], v[66:67]
	v_fmac_f64_e32 v[2:3], v[114:115], v[60:61]
	v_add_f64 v[2:3], v[2:3], 0
	s_waitcnt vmcnt(42) lgkmcnt(9)
	v_mul_f64 v[4:5], v[180:181], v[58:59]
	v_fmac_f64_e32 v[4:5], v[182:183], v[50:51]
	v_add_f64 v[2:3], v[2:3], v[4:5]
	buffer_load_dword v249, off, s[0:3], 0 offset:484
	buffer_load_dword v248, off, s[0:3], 0 offset:480
	;; [unrolled: 1-line block ×20, first 2 shown]
	s_waitcnt vmcnt(60) lgkmcnt(8)
	v_mul_f64 v[6:7], v[184:185], v[52:53]
	s_waitcnt vmcnt(58) lgkmcnt(6)
	v_mul_f64 v[10:11], v[200:201], v[68:69]
	s_waitcnt vmcnt(56)
	v_fmac_f64_e32 v[10:11], v[202:203], v[70:71]
	v_mul_f64 v[58:59], v[182:183], v[58:59]
	s_waitcnt vmcnt(54)
	v_mul_f64 v[8:9], v[194:195], v[72:73]
	s_waitcnt vmcnt(52) lgkmcnt(4)
	v_mul_f64 v[14:15], v[208:209], v[74:75]
	s_waitcnt vmcnt(50)
	v_fmac_f64_e32 v[14:15], v[210:211], v[76:77]
	s_waitcnt vmcnt(48)
	v_mul_f64 v[12:13], v[204:205], v[78:79]
	s_waitcnt vmcnt(46) lgkmcnt(2)
	v_mul_f64 v[18:19], v[220:221], v[82:83]
	s_waitcnt vmcnt(43)
	v_mul_f64 v[16:17], v[212:213], v[86:87]
	s_waitcnt vmcnt(41) lgkmcnt(1)
	v_mul_f64 v[20:21], v[54:55], v[80:81]
	s_waitcnt vmcnt(39)
	v_fmac_f64_e32 v[6:7], v[186:187], v[96:97]
	v_add_f64 v[2:3], v[2:3], v[6:7]
	s_waitcnt vmcnt(37)
	v_fmac_f64_e32 v[8:9], v[196:197], v[92:93]
	v_add_f64 v[2:3], v[2:3], v[8:9]
	;; [unrolled: 3-line block ×3, first 2 shown]
	v_add_f64 v[2:3], v[2:3], v[12:13]
	s_waitcnt vmcnt(33)
	v_fmac_f64_e32 v[16:17], v[214:215], v[88:89]
	v_add_f64 v[2:3], v[2:3], v[14:15]
	s_waitcnt vmcnt(32)
	v_fmac_f64_e32 v[18:19], v[222:223], v[84:85]
	v_add_f64 v[2:3], v[2:3], v[16:17]
	v_add_f64 v[2:3], v[2:3], v[18:19]
	s_waitcnt vmcnt(26)
	v_fmac_f64_e32 v[20:21], v[56:57], v[116:117]
	v_add_f64 v[2:3], v[2:3], v[20:21]
	v_mul_f64 v[56:57], v[56:57], v[80:81]
	s_waitcnt vmcnt(0)
	v_pk_mov_b32 v[18:19], v[4:5], v[4:5] op_sel:[0,1]
	buffer_load_dword v5, off, s[0:3], 0 offset:596
	buffer_load_dword v4, off, s[0:3], 0 offset:592
	v_accvgpr_write_b32 a197, v19
	v_accvgpr_write_b32 a196, v18
	s_waitcnt vmcnt(0)
	v_pk_mov_b32 v[22:23], v[4:5], v[4:5] op_sel:[0,1]
	buffer_load_dword v5, off, s[0:3], 0 offset:588
	buffer_load_dword v4, off, s[0:3], 0 offset:584
	v_accvgpr_write_b32 a199, v23
	v_accvgpr_write_b32 a198, v22
	s_waitcnt vmcnt(0)
	v_pk_mov_b32 v[14:15], v[4:5], v[4:5] op_sel:[0,1]
	buffer_load_dword v139, off, s[0:3], 0 offset:580
	buffer_load_dword v138, off, s[0:3], 0 offset:576
	buffer_load_dword v5, off, s[0:3], 0 offset:636
	buffer_load_dword v4, off, s[0:3], 0 offset:632
	v_accvgpr_write_b32 a195, v15
	v_accvgpr_write_b32 a194, v14
	s_waitcnt vmcnt(0)
	v_pk_mov_b32 v[26:27], v[4:5], v[4:5] op_sel:[0,1]
	buffer_load_dword v5, off, s[0:3], 0 offset:628
	buffer_load_dword v4, off, s[0:3], 0 offset:624
	v_accvgpr_write_b32 a201, v27
	v_accvgpr_write_b32 a200, v26
	s_waitcnt vmcnt(0)
	v_pk_mov_b32 v[28:29], v[4:5], v[4:5] op_sel:[0,1]
	buffer_load_dword v143, off, s[0:3], 0 offset:620
	buffer_load_dword v142, off, s[0:3], 0 offset:616
	buffer_load_dword v147, off, s[0:3], 0 offset:612
	buffer_load_dword v146, off, s[0:3], 0 offset:608
	buffer_load_dword v5, off, s[0:3], 0 offset:668
	buffer_load_dword v4, off, s[0:3], 0 offset:664
	v_accvgpr_write_b32 a203, v29
	v_accvgpr_write_b32 a202, v28
	s_waitcnt vmcnt(0)
	v_pk_mov_b32 v[34:35], v[4:5], v[4:5] op_sel:[0,1]
	buffer_load_dword v5, off, s[0:3], 0 offset:660
	buffer_load_dword v4, off, s[0:3], 0 offset:656
	v_accvgpr_write_b32 a205, v35
	v_accvgpr_write_b32 a204, v34
	s_waitcnt vmcnt(0)
	v_pk_mov_b32 v[36:37], v[4:5], v[4:5] op_sel:[0,1]
	buffer_load_dword v151, off, s[0:3], 0 offset:652
	buffer_load_dword v150, off, s[0:3], 0 offset:648
	;; [unrolled: 16-line block ×3, first 2 shown]
	buffer_load_dword v161, off, s[0:3], 0 offset:676
	buffer_load_dword v160, off, s[0:3], 0 offset:672
	;; [unrolled: 1-line block ×26, first 2 shown]
	ds_read_b128 v[224:227], v190 offset:1488
	ds_read_b128 v[228:231], v190 offset:1504
	ds_read_b128 v[232:235], v190 offset:1520
	ds_read_b128 v[236:239], v190 offset:1536
	ds_read_b128 v[240:243], v190 offset:1552
	ds_read_b128 v[244:247], v190 offset:1568
	ds_read_b128 v[134:137], v190 offset:1584
	ds_read_b128 v[130:133], v190 offset:1600
	ds_read_b128 v[126:129], v190 offset:1616
	ds_read_b128 v[122:125], v190 offset:1632
	s_waitcnt lgkmcnt(4)
	v_mul_f64 v[8:9], v[244:245], v[104:105]
	v_fmac_f64_e32 v[8:9], v[246:247], v[106:107]
	s_waitcnt lgkmcnt(3)
	v_mul_f64 v[12:13], v[134:135], v[14:15]
	v_fmac_f64_e32 v[12:13], v[136:137], v[138:139]
	;; [unrolled: 3-line block ×4, first 2 shown]
	ds_read_b128 v[118:121], v190 offset:1648
	s_waitcnt lgkmcnt(1)
	v_mul_f64 v[24:25], v[122:123], v[26:27]
	v_fmac_f64_e32 v[24:25], v[124:125], v[28:29]
	v_accvgpr_write_b32 a211, v45
	v_accvgpr_write_b32 a210, v44
	s_waitcnt vmcnt(22)
	v_pk_mov_b32 v[174:175], v[4:5], v[4:5] op_sel:[0,1]
	v_mul_f64 v[4:5], v[62:63], v[94:95]
	v_fmac_f64_e32 v[4:5], v[64:65], v[98:99]
	v_add_f64 v[2:3], v[2:3], v[4:5]
	v_mul_f64 v[4:5], v[224:225], v[0:1]
	v_fmac_f64_e32 v[4:5], v[226:227], v[248:249]
	v_add_f64 v[2:3], v[2:3], v[4:5]
	;; [unrolled: 3-line block ×6, first 2 shown]
	v_add_f64 v[10:11], v[6:7], v[8:9]
	v_add_f64 v[14:15], v[10:11], v[12:13]
	;; [unrolled: 1-line block ×5, first 2 shown]
	ds_read_b128 v[22:25], v190 offset:1664
	s_waitcnt lgkmcnt(1)
	v_mul_f64 v[28:29], v[118:119], v[150:151]
	v_fmac_f64_e32 v[28:29], v[120:121], v[154:155]
	v_add_f64 v[30:31], v[26:27], v[28:29]
	ds_read_b128 v[26:29], v190 offset:1680
	s_waitcnt lgkmcnt(1)
	v_mul_f64 v[32:33], v[22:23], v[34:35]
	v_fmac_f64_e32 v[32:33], v[24:25], v[36:37]
	v_add_f64 v[34:35], v[30:31], v[32:33]
	;; [unrolled: 5-line block ×4, first 2 shown]
	ds_read_b128 v[38:41], v190 offset:1728
	ds_read_b128 v[42:45], v190 offset:1744
	s_waitcnt vmcnt(18) lgkmcnt(2)
	v_mul_f64 v[48:49], v[34:35], v[162:163]
	s_waitcnt vmcnt(16)
	v_fmac_f64_e32 v[48:49], v[36:37], v[164:165]
	v_add_f64 v[46:47], v[46:47], v[48:49]
	s_waitcnt lgkmcnt(1)
	v_mul_f64 v[48:49], v[38:39], v[174:175]
	v_fmac_f64_e32 v[48:49], v[40:41], v[140:141]
	v_add_f64 v[46:47], v[46:47], v[48:49]
	s_waitcnt vmcnt(10) lgkmcnt(0)
	v_mul_f64 v[48:49], v[42:43], v[166:167]
	v_accvgpr_write_b32 a213, v175
	s_waitcnt vmcnt(8)
	v_fmac_f64_e32 v[48:49], v[44:45], v[168:169]
	v_accvgpr_write_b32 a212, v174
	v_add_f64 v[2:3], v[46:47], v[48:49]
	ds_read_b128 v[46:49], v190 offset:1760
	buffer_load_dword v175, off, s[0:3], 0 offset:812
	buffer_load_dword v174, off, s[0:3], 0 offset:808
	;; [unrolled: 1-line block ×5, first 2 shown]
	v_mul_f64 v[4:5], v[114:115], v[66:67]
	v_fma_f64 v[66:67], v[180:181], v[50:51], -v[58:59]
	buffer_load_dword v180, off, s[0:3], 0 offset:816
	buffer_load_dword v177, off, s[0:3], 0 offset:828
	buffer_load_dword v181, off, s[0:3], 0 offset:820
	v_mul_f64 v[50:51], v[186:187], v[52:53]
	v_fma_f64 v[218:219], v[184:185], v[96:97], -v[50:51]
	buffer_load_dword v185, off, s[0:3], 0 offset:844
	buffer_load_dword v184, off, s[0:3], 0 offset:840
	;; [unrolled: 1-line block ×8, first 2 shown]
	v_mul_f64 v[50:51], v[196:197], v[72:73]
	v_fma_f64 v[92:93], v[194:195], v[92:93], -v[50:51]
	buffer_load_dword v182, off, s[0:3], 0 offset:888
	buffer_load_dword v197, off, s[0:3], 0 offset:876
	;; [unrolled: 1-line block ×8, first 2 shown]
	v_mul_f64 v[50:51], v[202:203], v[68:69]
	v_fma_f64 v[14:15], v[112:113], v[60:61], -v[4:5]
	v_fma_f64 v[112:113], v[200:201], v[70:71], -v[50:51]
	buffer_load_dword v201, off, s[0:3], 0 offset:908
	buffer_load_dword v200, off, s[0:3], 0 offset:904
	;; [unrolled: 1-line block ×4, first 2 shown]
	v_mul_f64 v[8:9], v[210:211], v[74:75]
	v_mul_f64 v[50:51], v[206:207], v[78:79]
	v_fma_f64 v[8:9], v[208:209], v[76:77], -v[8:9]
	buffer_load_dword v206, off, s[0:3], 0 offset:920
	buffer_load_dword v208, off, s[0:3], 0 offset:912
	;; [unrolled: 1-line block ×4, first 2 shown]
	v_fma_f64 v[10:11], v[204:205], v[216:217], -v[50:51]
	v_mul_f64 v[50:51], v[214:215], v[86:87]
	v_fma_f64 v[6:7], v[212:213], v[88:89], -v[50:51]
	buffer_load_dword v205, off, s[0:3], 0 offset:956
	buffer_load_dword v211, off, s[0:3], 0 offset:940
	;; [unrolled: 1-line block ×12, first 2 shown]
	ds_read_b128 v[50:53], v190 offset:1776
	v_mul_f64 v[12:13], v[222:223], v[82:83]
	v_fma_f64 v[12:13], v[220:221], v[84:85], -v[12:13]
	buffer_load_dword v220, off, s[0:3], 0 offset:984
	buffer_load_dword v222, off, s[0:3], 0 offset:976
	;; [unrolled: 1-line block ×4, first 2 shown]
	v_fma_f64 v[4:5], v[54:55], v[116:117], -v[56:57]
	ds_read_b128 v[54:57], v190 offset:1792
	s_waitcnt lgkmcnt(2)
	v_mul_f64 v[58:59], v[46:47], v[144:145]
	v_fmac_f64_e32 v[58:59], v[48:49], v[148:149]
	s_waitcnt vmcnt(50) lgkmcnt(1)
	v_mul_f64 v[16:17], v[50:51], v[170:171]
	v_add_f64 v[2:3], v[2:3], v[58:59]
	ds_read_b128 v[58:61], v190 offset:1808
	s_waitcnt vmcnt(48)
	v_fmac_f64_e32 v[16:17], v[52:53], v[172:173]
	v_add_f64 v[2:3], v[2:3], v[16:17]
	s_waitcnt lgkmcnt(1)
	v_mul_f64 v[16:17], v[54:55], v[152:153]
	v_fmac_f64_e32 v[16:17], v[56:57], v[156:157]
	v_add_f64 v[2:3], v[2:3], v[16:17]
	v_mul_f64 v[16:17], v[64:65], v[94:95]
	v_fma_f64 v[16:17], v[62:63], v[98:99], -v[16:17]
	ds_read_b128 v[62:65], v190 offset:1824
	ds_read_b128 v[18:21], v190 offset:1840
	v_mul_f64 v[0:1], v[226:227], v[0:1]
	v_mul_f64 v[74:75], v[230:231], v[100:101]
	v_fma_f64 v[248:249], v[224:225], v[248:249], -v[0:1]
	v_fma_f64 v[0:1], v[228:229], v[102:103], -v[74:75]
	v_mul_f64 v[86:87], v[238:239], v[108:109]
	v_fma_f64 v[110:111], v[236:237], v[110:111], -v[86:87]
	v_add_f64 v[14:15], v[14:15], 0
	v_add_f64 v[14:15], v[14:15], v[66:67]
	;; [unrolled: 1-line block ×8, first 2 shown]
	ds_read_b128 v[74:77], v190 offset:1872
	v_add_f64 v[6:7], v[6:7], v[12:13]
	ds_read_b128 v[86:89], v190 offset:1920
	v_add_f64 v[4:5], v[6:7], v[4:5]
	v_add_f64 v[4:5], v[4:5], v[16:17]
	;; [unrolled: 1-line block ×4, first 2 shown]
	v_accvgpr_read_b32 v4, a194
	v_accvgpr_read_b32 v5, a195
	v_mul_f64 v[4:5], v[136:137], v[4:5]
	v_fma_f64 v[4:5], v[134:135], v[138:139], -v[4:5]
	ds_read_b128 v[98:101], v190 offset:1968
	v_accvgpr_read_b32 v6, a198
	v_accvgpr_read_b32 v7, a199
	s_waitcnt vmcnt(46) lgkmcnt(5)
	v_mul_f64 v[70:71], v[58:59], v[174:175]
	s_waitcnt vmcnt(44)
	v_fmac_f64_e32 v[70:71], v[60:61], v[178:179]
	v_add_f64 v[70:71], v[2:3], v[70:71]
	s_waitcnt vmcnt(38) lgkmcnt(3)
	v_mul_f64 v[2:3], v[18:19], v[184:185]
	v_mul_f64 v[72:73], v[62:63], v[176:177]
	v_fmac_f64_e32 v[72:73], v[64:65], v[180:181]
	v_add_f64 v[78:79], v[70:71], v[72:73]
	ds_read_b128 v[70:73], v190 offset:1856
	s_waitcnt vmcnt(36)
	v_fmac_f64_e32 v[2:3], v[20:21], v[188:189]
	v_add_f64 v[2:3], v[78:79], v[2:3]
	v_mul_f64 v[78:79], v[234:235], v[250:251]
	v_fma_f64 v[232:233], v[232:233], v[252:253], -v[78:79]
	ds_read_b128 v[78:81], v190 offset:1888
	s_waitcnt vmcnt(34) lgkmcnt(1)
	v_mul_f64 v[82:83], v[70:71], v[186:187]
	s_waitcnt vmcnt(32)
	v_fmac_f64_e32 v[82:83], v[72:73], v[192:193]
	v_add_f64 v[2:3], v[2:3], v[82:83]
	s_waitcnt vmcnt(29)
	v_mul_f64 v[82:83], v[74:75], v[196:197]
	s_waitcnt vmcnt(27)
	v_fmac_f64_e32 v[82:83], v[76:77], v[198:199]
	v_add_f64 v[2:3], v[2:3], v[82:83]
	s_waitcnt vmcnt(25) lgkmcnt(0)
	v_mul_f64 v[82:83], v[78:79], v[182:183]
	s_waitcnt vmcnt(24)
	v_fmac_f64_e32 v[82:83], v[80:81], v[194:195]
	v_add_f64 v[2:3], v[2:3], v[82:83]
	ds_read_b128 v[82:85], v190 offset:1904
	v_add_f64 v[0:1], v[0:1], v[232:233]
	s_waitcnt vmcnt(22) lgkmcnt(0)
	v_mul_f64 v[94:95], v[82:83], v[200:201]
	s_waitcnt vmcnt(20)
	v_fmac_f64_e32 v[94:95], v[84:85], v[202:203]
	v_add_f64 v[2:3], v[2:3], v[94:95]
	v_mul_f64 v[94:95], v[242:243], v[254:255]
	v_fma_f64 v[250:251], v[240:241], v[90:91], -v[94:95]
	s_waitcnt vmcnt(17)
	v_mul_f64 v[90:91], v[86:87], v[206:207]
	s_waitcnt vmcnt(16)
	v_fmac_f64_e32 v[90:91], v[88:89], v[208:209]
	ds_read_b128 v[238:241], v190 offset:1936
	ds_read_b128 v[94:97], v190 offset:1952
	v_add_f64 v[2:3], v[2:3], v[90:91]
	v_mul_f64 v[90:91], v[246:247], v[104:105]
	ds_read_b128 v[102:105], v190 offset:1984
	buffer_load_dword v225, off, s[0:3], 0 offset:1004
	buffer_load_dword v224, off, s[0:3], 0 offset:1000
	;; [unrolled: 1-line block ×4, first 2 shown]
	v_fma_f64 v[252:253], v[244:245], v[106:107], -v[90:91]
	ds_read_b128 v[106:109], v190 offset:2000
	buffer_load_dword v228, off, s[0:3], 0 offset:1016
	buffer_load_dword v229, off, s[0:3], 0 offset:1020
	buffer_load_dword v230, off, s[0:3], 0 offset:1008
	buffer_load_dword v231, off, s[0:3], 0 offset:1012
	ds_read_b128 v[242:245], v190 offset:2016
	buffer_load_dword v235, off, s[0:3], 0 offset:1036
	buffer_load_dword v234, off, s[0:3], 0 offset:1032
	buffer_load_dword v237, off, s[0:3], 0 offset:1028
	buffer_load_dword v236, off, s[0:3], 0 offset:1024
	;; [unrolled: 5-line block ×3, first 2 shown]
	v_add_f64 v[254:255], v[0:1], v[110:111]
	v_add_f64 v[0:1], v[254:255], v[250:251]
	;; [unrolled: 1-line block ×4, first 2 shown]
	v_accvgpr_read_b32 v4, a196
	v_accvgpr_read_b32 v5, a197
	v_mul_f64 v[4:5], v[132:133], v[4:5]
	v_fma_f64 v[4:5], v[130:131], v[6:7], -v[4:5]
	v_add_f64 v[0:1], v[0:1], v[4:5]
	v_mul_f64 v[4:5], v[128:129], v[142:143]
	v_fma_f64 v[4:5], v[126:127], v[146:147], -v[4:5]
	v_add_f64 v[0:1], v[0:1], v[4:5]
	v_accvgpr_read_b32 v4, a200
	v_accvgpr_read_b32 v5, a201
	v_accvgpr_read_b32 v6, a202
	v_mul_f64 v[4:5], v[124:125], v[4:5]
	v_accvgpr_read_b32 v7, a203
	v_fma_f64 v[4:5], v[122:123], v[6:7], -v[4:5]
	v_add_f64 v[0:1], v[0:1], v[4:5]
	v_mul_f64 v[4:5], v[120:121], v[150:151]
	v_fma_f64 v[4:5], v[118:119], v[154:155], -v[4:5]
	v_add_f64 v[0:1], v[0:1], v[4:5]
	v_accvgpr_read_b32 v4, a204
	v_accvgpr_read_b32 v5, a205
	v_accvgpr_read_b32 v6, a206
	v_mul_f64 v[4:5], v[24:25], v[4:5]
	v_accvgpr_read_b32 v7, a207
	;; [unrolled: 10-line block ×3, first 2 shown]
	v_fma_f64 v[4:5], v[30:31], v[6:7], -v[4:5]
	v_add_f64 v[0:1], v[0:1], v[4:5]
	v_mul_f64 v[4:5], v[36:37], v[162:163]
	v_fma_f64 v[4:5], v[34:35], v[164:165], -v[4:5]
	v_add_f64 v[0:1], v[0:1], v[4:5]
	v_accvgpr_read_b32 v4, a212
	v_accvgpr_read_b32 v5, a213
	v_mul_f64 v[4:5], v[40:41], v[4:5]
	v_fma_f64 v[4:5], v[38:39], v[140:141], -v[4:5]
	v_add_f64 v[0:1], v[0:1], v[4:5]
	v_mul_f64 v[4:5], v[44:45], v[166:167]
	v_fma_f64 v[4:5], v[42:43], v[168:169], -v[4:5]
	v_add_f64 v[0:1], v[0:1], v[4:5]
	;; [unrolled: 3-line block ×13, first 2 shown]
	s_waitcnt vmcnt(29) lgkmcnt(5)
	v_mul_f64 v[4:5], v[240:241], v[210:211]
	v_mul_f64 v[90:91], v[238:239], v[210:211]
	s_waitcnt vmcnt(27)
	v_fma_f64 v[4:5], v[238:239], v[216:217], -v[4:5]
	v_fmac_f64_e32 v[90:91], v[240:241], v[216:217]
	v_add_f64 v[0:1], v[0:1], v[4:5]
	s_waitcnt vmcnt(26) lgkmcnt(4)
	v_mul_f64 v[4:5], v[96:97], v[204:205]
	v_add_f64 v[2:3], v[2:3], v[90:91]
	v_mul_f64 v[90:91], v[94:95], v[204:205]
	s_waitcnt vmcnt(24)
	v_fma_f64 v[4:5], v[94:95], v[214:215], -v[4:5]
	v_fmac_f64_e32 v[90:91], v[96:97], v[214:215]
	v_add_f64 v[0:1], v[0:1], v[4:5]
	s_waitcnt vmcnt(22)
	v_mul_f64 v[4:5], v[100:101], v[212:213]
	v_add_f64 v[2:3], v[2:3], v[90:91]
	v_mul_f64 v[90:91], v[98:99], v[212:213]
	s_waitcnt vmcnt(20)
	v_fma_f64 v[4:5], v[98:99], v[68:69], -v[4:5]
	v_fmac_f64_e32 v[90:91], v[100:101], v[68:69]
	v_add_f64 v[0:1], v[0:1], v[4:5]
	s_waitcnt vmcnt(17) lgkmcnt(3)
	v_mul_f64 v[4:5], v[104:105], v[220:221]
	v_add_f64 v[2:3], v[2:3], v[90:91]
	v_mul_f64 v[90:91], v[102:103], v[220:221]
	s_waitcnt vmcnt(16)
	v_fma_f64 v[4:5], v[102:103], v[222:223], -v[4:5]
	v_fmac_f64_e32 v[90:91], v[104:105], v[222:223]
	v_add_f64 v[0:1], v[0:1], v[4:5]
	s_waitcnt vmcnt(14) lgkmcnt(2)
	;; [unrolled: 8-line block ×4, first 2 shown]
	v_mul_f64 v[4:5], v[116:117], v[234:235]
	v_add_f64 v[2:3], v[2:3], v[90:91]
	v_mul_f64 v[90:91], v[114:115], v[234:235]
	s_waitcnt vmcnt(4)
	v_fma_f64 v[4:5], v[114:115], v[236:237], -v[4:5]
	v_fmac_f64_e32 v[90:91], v[116:117], v[236:237]
	v_add_f64 v[0:1], v[0:1], v[4:5]
	v_add_f64 v[2:3], v[2:3], v[90:91]
	s_waitcnt vmcnt(2)
	v_add_f64 v[0:1], v[248:249], -v[0:1]
	s_waitcnt vmcnt(0)
	v_add_f64 v[2:3], v[246:247], -v[2:3]
	buffer_store_dword v1, off, s[0:3], 0 offset:292
	buffer_store_dword v0, off, s[0:3], 0 offset:288
	;; [unrolled: 1-line block ×4, first 2 shown]
	v_accvgpr_read_b32 v0, a191
	v_cmp_lt_u32_e32 vcc, 16, v0
	s_and_saveexec_b64 s[4:5], vcc
	s_cbranch_execz .LBB63_377
; %bb.376:
	v_accvgpr_read_b32 v3, a175
	buffer_load_dword v0, v3, s[0:3], 0 offen
	buffer_load_dword v1, v3, s[0:3], 0 offen offset:4
	buffer_load_dword v2, v3, s[0:3], 0 offen offset:8
	s_nop 0
	buffer_load_dword v3, v3, s[0:3], 0 offen offset:12
	v_mov_b32_e32 v4, 0
	v_accvgpr_read_b32 v5, a192
	buffer_store_dword v4, off, s[0:3], 0 offset:272
	buffer_store_dword v4, off, s[0:3], 0 offset:276
	;; [unrolled: 1-line block ×4, first 2 shown]
	s_waitcnt vmcnt(4)
	ds_write_b128 v5, v[0:3]
.LBB63_377:
	s_or_b64 exec, exec, s[4:5]
	s_waitcnt lgkmcnt(0)
	; wave barrier
	s_waitcnt lgkmcnt(0)
	buffer_load_dword v48, off, s[0:3], 0 offset:288
	buffer_load_dword v49, off, s[0:3], 0 offset:292
	;; [unrolled: 1-line block ×42, first 2 shown]
	v_mov_b32_e32 v190, 0
	buffer_load_dword v1, off, s[0:3], 0 offset:436
	buffer_load_dword v0, off, s[0:3], 0 offset:432
	;; [unrolled: 1-line block ×7, first 2 shown]
	ds_read_b128 v[110:113], v190 offset:1296
	ds_read_b128 v[114:117], v190 offset:1312
	;; [unrolled: 1-line block ×11, first 2 shown]
	s_waitcnt vmcnt(45) lgkmcnt(10)
	v_mul_f64 v[2:3], v[110:111], v[52:53]
	v_fmac_f64_e32 v[2:3], v[112:113], v[48:49]
	v_add_f64 v[2:3], v[2:3], 0
	s_waitcnt vmcnt(41) lgkmcnt(9)
	v_mul_f64 v[4:5], v[114:115], v[54:55]
	v_fmac_f64_e32 v[4:5], v[116:117], v[50:51]
	v_add_f64 v[2:3], v[2:3], v[4:5]
	buffer_load_dword v96, off, s[0:3], 0 offset:472
	buffer_load_dword v253, off, s[0:3], 0 offset:468
	;; [unrolled: 1-line block ×21, first 2 shown]
	s_waitcnt vmcnt(60) lgkmcnt(8)
	v_mul_f64 v[6:7], v[178:179], v[46:47]
	s_waitcnt vmcnt(58) lgkmcnt(6)
	v_mul_f64 v[10:11], v[192:193], v[62:63]
	s_waitcnt vmcnt(56)
	v_fmac_f64_e32 v[10:11], v[194:195], v[56:57]
	v_mul_f64 v[46:47], v[180:181], v[46:47]
	s_waitcnt vmcnt(54)
	v_mul_f64 v[8:9], v[182:183], v[64:65]
	s_waitcnt vmcnt(52) lgkmcnt(4)
	v_mul_f64 v[14:15], v[200:201], v[66:67]
	s_waitcnt vmcnt(50)
	v_fmac_f64_e32 v[14:15], v[202:203], v[68:69]
	s_waitcnt vmcnt(48)
	v_mul_f64 v[12:13], v[196:197], v[70:71]
	s_waitcnt vmcnt(46) lgkmcnt(2)
	v_mul_f64 v[18:19], v[214:215], v[76:77]
	s_waitcnt vmcnt(43)
	v_mul_f64 v[16:17], v[204:205], v[78:79]
	s_waitcnt vmcnt(41) lgkmcnt(1)
	v_mul_f64 v[20:21], v[220:221], v[72:73]
	s_waitcnt vmcnt(39)
	v_fmac_f64_e32 v[6:7], v[180:181], v[188:189]
	v_add_f64 v[2:3], v[2:3], v[6:7]
	s_waitcnt vmcnt(37)
	v_fmac_f64_e32 v[8:9], v[184:185], v[186:187]
	v_add_f64 v[2:3], v[2:3], v[8:9]
	;; [unrolled: 3-line block ×3, first 2 shown]
	v_add_f64 v[2:3], v[2:3], v[12:13]
	v_add_f64 v[2:3], v[2:3], v[14:15]
	s_waitcnt vmcnt(33)
	v_fmac_f64_e32 v[16:17], v[206:207], v[80:81]
	v_add_f64 v[2:3], v[2:3], v[16:17]
	s_waitcnt vmcnt(32)
	v_fmac_f64_e32 v[18:19], v[216:217], v[218:219]
	;; [unrolled: 3-line block ×3, first 2 shown]
	v_add_f64 v[2:3], v[2:3], v[20:21]
	s_waitcnt vmcnt(0)
	v_pk_mov_b32 v[14:15], v[4:5], v[4:5] op_sel:[0,1]
	buffer_load_dword v5, off, s[0:3], 0 offset:580
	buffer_load_dword v4, off, s[0:3], 0 offset:576
	v_accvgpr_write_b32 a195, v15
	v_accvgpr_write_b32 a194, v14
	s_waitcnt vmcnt(0)
	v_pk_mov_b32 v[16:17], v[4:5], v[4:5] op_sel:[0,1]
	buffer_load_dword v103, off, s[0:3], 0 offset:572
	buffer_load_dword v102, off, s[0:3], 0 offset:568
	buffer_load_dword v105, off, s[0:3], 0 offset:564
	buffer_load_dword v104, off, s[0:3], 0 offset:560
	buffer_load_dword v5, off, s[0:3], 0 offset:620
	buffer_load_dword v4, off, s[0:3], 0 offset:616
	v_accvgpr_write_b32 a197, v17
	v_accvgpr_write_b32 a196, v16
	s_waitcnt vmcnt(0)
	v_pk_mov_b32 v[22:23], v[4:5], v[4:5] op_sel:[0,1]
	buffer_load_dword v5, off, s[0:3], 0 offset:612
	buffer_load_dword v4, off, s[0:3], 0 offset:608
	v_accvgpr_write_b32 a199, v23
	v_accvgpr_write_b32 a198, v22
	s_waitcnt vmcnt(0)
	v_pk_mov_b32 v[24:25], v[4:5], v[4:5] op_sel:[0,1]
	buffer_load_dword v139, off, s[0:3], 0 offset:604
	buffer_load_dword v138, off, s[0:3], 0 offset:600
	buffer_load_dword v143, off, s[0:3], 0 offset:596
	buffer_load_dword v142, off, s[0:3], 0 offset:592
	buffer_load_dword v5, off, s[0:3], 0 offset:652
	buffer_load_dword v4, off, s[0:3], 0 offset:648
	v_accvgpr_write_b32 a201, v25
	v_accvgpr_write_b32 a200, v24
	;; [unrolled: 16-line block ×4, first 2 shown]
	s_waitcnt vmcnt(0)
	v_pk_mov_b32 v[170:171], v[4:5], v[4:5] op_sel:[0,1]
	buffer_load_dword v5, off, s[0:3], 0 offset:708
	buffer_load_dword v4, off, s[0:3], 0 offset:704
	;; [unrolled: 1-line block ×22, first 2 shown]
	ds_read_b128 v[224:227], v190 offset:1472
	ds_read_b128 v[228:231], v190 offset:1488
	;; [unrolled: 1-line block ×12, first 2 shown]
	s_waitcnt lgkmcnt(5)
	v_mul_f64 v[8:9], v[248:249], v[102:103]
	v_fmac_f64_e32 v[8:9], v[250:251], v[104:105]
	s_waitcnt lgkmcnt(4)
	v_mul_f64 v[12:13], v[134:135], v[14:15]
	v_fmac_f64_e32 v[12:13], v[136:137], v[16:17]
	;; [unrolled: 3-line block ×6, first 2 shown]
	v_accvgpr_write_b32 a211, v171
	v_accvgpr_write_b32 a210, v170
	s_waitcnt vmcnt(20)
	v_pk_mov_b32 v[172:173], v[4:5], v[4:5] op_sel:[0,1]
	v_mul_f64 v[4:5], v[58:59], v[84:85]
	v_fmac_f64_e32 v[4:5], v[60:61], v[86:87]
	v_add_f64 v[2:3], v[2:3], v[4:5]
	v_mul_f64 v[4:5], v[224:225], v[96:97]
	v_fmac_f64_e32 v[4:5], v[226:227], v[252:253]
	v_add_f64 v[2:3], v[2:3], v[4:5]
	;; [unrolled: 3-line block ×7, first 2 shown]
	v_add_f64 v[10:11], v[6:7], v[8:9]
	v_add_f64 v[14:15], v[10:11], v[12:13]
	;; [unrolled: 1-line block ×5, first 2 shown]
	ds_read_b128 v[22:25], v190 offset:1664
	v_add_f64 v[30:31], v[26:27], v[28:29]
	ds_read_b128 v[26:29], v190 offset:1680
	v_accvgpr_write_b32 a213, v173
	v_accvgpr_write_b32 a212, v172
	s_waitcnt lgkmcnt(1)
	v_mul_f64 v[32:33], v[22:23], v[154:155]
	v_fmac_f64_e32 v[32:33], v[24:25], v[156:157]
	s_waitcnt lgkmcnt(0)
	v_mul_f64 v[36:37], v[26:27], v[38:39]
	v_add_f64 v[34:35], v[30:31], v[32:33]
	ds_read_b128 v[30:33], v190 offset:1696
	v_fmac_f64_e32 v[36:37], v[28:29], v[40:41]
	v_add_f64 v[38:39], v[34:35], v[36:37]
	ds_read_b128 v[34:37], v190 offset:1712
	v_mul_f64 v[4:5], v[112:113], v[52:53]
	s_waitcnt vmcnt(18) lgkmcnt(1)
	v_mul_f64 v[40:41], v[30:31], v[158:159]
	s_waitcnt vmcnt(16)
	v_fmac_f64_e32 v[40:41], v[32:33], v[160:161]
	v_add_f64 v[42:43], v[38:39], v[40:41]
	s_waitcnt lgkmcnt(0)
	v_mul_f64 v[44:45], v[34:35], v[170:171]
	v_fmac_f64_e32 v[44:45], v[36:37], v[172:173]
	ds_read_b128 v[38:41], v190 offset:1728
	v_add_f64 v[2:3], v[42:43], v[44:45]
	ds_read_b128 v[42:45], v190 offset:1744
	buffer_load_dword v171, off, s[0:3], 0 offset:796
	buffer_load_dword v170, off, s[0:3], 0 offset:792
	;; [unrolled: 1-line block ×8, first 2 shown]
	v_fma_f64 v[14:15], v[110:111], v[48:49], -v[4:5]
	v_fma_f64 v[110:111], v[178:179], v[188:189], -v[46:47]
	v_mul_f64 v[46:47], v[184:185], v[64:65]
	v_fma_f64 v[112:113], v[182:183], v[186:187], -v[46:47]
	buffer_load_dword v179, off, s[0:3], 0 offset:844
	buffer_load_dword v183, off, s[0:3], 0 offset:828
	;; [unrolled: 1-line block ×8, first 2 shown]
	v_mul_f64 v[48:49], v[116:117], v[54:55]
	v_mul_f64 v[46:47], v[194:195], v[62:63]
	v_fma_f64 v[50:51], v[114:115], v[50:51], -v[48:49]
	v_fma_f64 v[114:115], v[192:193], v[56:57], -v[46:47]
	buffer_load_dword v180, off, s[0:3], 0 offset:872
	buffer_load_dword v193, off, s[0:3], 0 offset:860
	buffer_load_dword v192, off, s[0:3], 0 offset:856
	buffer_load_dword v195, off, s[0:3], 0 offset:852
	buffer_load_dword v194, off, s[0:3], 0 offset:848
	buffer_load_dword v188, off, s[0:3], 0 offset:864
	buffer_load_dword v181, off, s[0:3], 0 offset:876
	buffer_load_dword v189, off, s[0:3], 0 offset:868
	v_mul_f64 v[54:55], v[198:199], v[70:71]
	ds_read_b128 v[46:49], v190 offset:1760
	v_fma_f64 v[116:117], v[196:197], v[82:83], -v[54:55]
	buffer_load_dword v197, off, s[0:3], 0 offset:892
	buffer_load_dword v196, off, s[0:3], 0 offset:888
	;; [unrolled: 1-line block ×4, first 2 shown]
	v_mul_f64 v[54:55], v[202:203], v[66:67]
	v_fma_f64 v[10:11], v[200:201], v[68:69], -v[54:55]
	buffer_load_dword v200, off, s[0:3], 0 offset:904
	buffer_load_dword v202, off, s[0:3], 0 offset:896
	;; [unrolled: 1-line block ×4, first 2 shown]
	v_mul_f64 v[8:9], v[206:207], v[78:79]
	buffer_load_dword v207, off, s[0:3], 0 offset:924
	buffer_load_dword v206, off, s[0:3], 0 offset:920
	;; [unrolled: 1-line block ×8, first 2 shown]
	v_mul_f64 v[54:55], v[216:217], v[76:77]
	v_fma_f64 v[8:9], v[204:205], v[80:81], -v[8:9]
	v_fma_f64 v[6:7], v[214:215], v[218:219], -v[54:55]
	buffer_load_dword v204, off, s[0:3], 0 offset:968
	buffer_load_dword v217, off, s[0:3], 0 offset:956
	;; [unrolled: 1-line block ×8, first 2 shown]
	s_waitcnt vmcnt(58) lgkmcnt(2)
	v_mul_f64 v[52:53], v[38:39], v[162:163]
	s_waitcnt vmcnt(56)
	v_fmac_f64_e32 v[52:53], v[40:41], v[164:165]
	ds_read_b128 v[16:19], v190 offset:1776
	ds_read_b128 v[54:57], v190 offset:1792
	v_add_f64 v[12:13], v[2:3], v[52:53]
	s_waitcnt lgkmcnt(3)
	v_mul_f64 v[52:53], v[42:43], v[140:141]
	v_fmac_f64_e32 v[52:53], v[44:45], v[144:145]
	v_mul_f64 v[2:3], v[222:223], v[72:73]
	v_fma_f64 v[4:5], v[220:221], v[0:1], -v[2:3]
	v_add_f64 v[2:3], v[12:13], v[52:53]
	s_waitcnt vmcnt(50) lgkmcnt(2)
	v_mul_f64 v[12:13], v[46:47], v[166:167]
	s_waitcnt vmcnt(48)
	v_fmac_f64_e32 v[12:13], v[48:49], v[168:169]
	v_add_f64 v[2:3], v[2:3], v[12:13]
	s_waitcnt lgkmcnt(1)
	v_mul_f64 v[12:13], v[16:17], v[148:149]
	v_fmac_f64_e32 v[12:13], v[18:19], v[152:153]
	v_add_f64 v[2:3], v[2:3], v[12:13]
	v_mul_f64 v[12:13], v[60:61], v[84:85]
	v_fma_f64 v[12:13], v[58:59], v[86:87], -v[12:13]
	ds_read_b128 v[58:61], v190 offset:1808
	ds_read_b128 v[62:65], v190 offset:1824
	v_mul_f64 v[70:71], v[230:231], v[92:93]
	v_mul_f64 v[82:83], v[238:239], v[106:107]
	v_add_f64 v[14:15], v[14:15], 0
	v_add_f64 v[14:15], v[14:15], v[50:51]
	;; [unrolled: 1-line block ×11, first 2 shown]
	v_accvgpr_read_b32 v6, a196
	v_accvgpr_read_b32 v7, a197
	s_waitcnt vmcnt(46) lgkmcnt(2)
	v_mul_f64 v[52:53], v[54:55], v[170:171]
	s_waitcnt vmcnt(44)
	v_fmac_f64_e32 v[52:53], v[56:57], v[176:177]
	v_add_f64 v[2:3], v[2:3], v[52:53]
	v_mul_f64 v[52:53], v[226:227], v[96:97]
	s_waitcnt vmcnt(41) lgkmcnt(1)
	v_mul_f64 v[66:67], v[58:59], v[172:173]
	s_waitcnt vmcnt(40)
	v_fmac_f64_e32 v[66:67], v[60:61], v[174:175]
	v_add_f64 v[2:3], v[2:3], v[66:67]
	ds_read_b128 v[66:69], v190 offset:1840
	s_waitcnt vmcnt(37) lgkmcnt(1)
	v_mul_f64 v[76:77], v[62:63], v[182:183]
	v_fma_f64 v[52:53], v[224:225], v[252:253], -v[52:53]
	v_fma_f64 v[252:253], v[228:229], v[94:95], -v[70:71]
	ds_read_b128 v[70:73], v190 offset:1856
	s_waitcnt vmcnt(35)
	v_fmac_f64_e32 v[76:77], v[64:65], v[184:185]
	v_add_f64 v[2:3], v[2:3], v[76:77]
	v_mul_f64 v[76:77], v[234:235], v[254:255]
	v_fma_f64 v[254:255], v[232:233], v[74:75], -v[76:77]
	ds_read_b128 v[74:77], v190 offset:1872
	s_waitcnt vmcnt(34) lgkmcnt(2)
	v_mul_f64 v[78:79], v[66:67], v[178:179]
	s_waitcnt vmcnt(32)
	v_fmac_f64_e32 v[78:79], v[68:69], v[186:187]
	v_add_f64 v[2:3], v[2:3], v[78:79]
	s_waitcnt vmcnt(29) lgkmcnt(1)
	v_mul_f64 v[78:79], v[70:71], v[192:193]
	s_waitcnt vmcnt(27)
	v_fmac_f64_e32 v[78:79], v[72:73], v[194:195]
	v_add_f64 v[2:3], v[2:3], v[78:79]
	v_fma_f64 v[232:233], v[236:237], v[108:109], -v[82:83]
	ds_read_b128 v[82:85], v190 offset:1904
	s_waitcnt vmcnt(25) lgkmcnt(1)
	v_mul_f64 v[78:79], v[74:75], v[180:181]
	s_waitcnt vmcnt(24)
	v_fmac_f64_e32 v[78:79], v[76:77], v[188:189]
	v_add_f64 v[2:3], v[2:3], v[78:79]
	ds_read_b128 v[78:81], v190 offset:1888
	ds_read_b128 v[94:97], v190 offset:1952
	s_waitcnt vmcnt(17) lgkmcnt(2)
	v_mul_f64 v[20:21], v[82:83], v[200:201]
	s_waitcnt vmcnt(16)
	v_fmac_f64_e32 v[20:21], v[84:85], v[202:203]
	v_add_f64 v[4:5], v[4:5], v[52:53]
	s_waitcnt lgkmcnt(1)
	v_mul_f64 v[86:87], v[78:79], v[196:197]
	v_fmac_f64_e32 v[86:87], v[80:81], v[198:199]
	v_add_f64 v[2:3], v[2:3], v[86:87]
	v_mul_f64 v[86:87], v[242:243], v[88:89]
	v_fma_f64 v[0:1], v[240:241], v[90:91], -v[86:87]
	ds_read_b128 v[86:89], v190 offset:1920
	ds_read_b128 v[90:93], v190 offset:1936
	v_add_f64 v[2:3], v[2:3], v[20:21]
	v_mul_f64 v[20:21], v[246:247], v[98:99]
	v_fma_f64 v[20:21], v[244:245], v[100:101], -v[20:21]
	s_waitcnt vmcnt(14) lgkmcnt(1)
	v_mul_f64 v[98:99], v[86:87], v[206:207]
	s_waitcnt vmcnt(12)
	v_fmac_f64_e32 v[98:99], v[88:89], v[210:211]
	v_add_f64 v[2:3], v[2:3], v[98:99]
	v_mul_f64 v[98:99], v[250:251], v[102:103]
	v_fma_f64 v[250:251], v[248:249], v[104:105], -v[98:99]
	ds_read_b128 v[98:101], v190 offset:1968
	buffer_load_dword v221, off, s[0:3], 0 offset:988
	buffer_load_dword v220, off, s[0:3], 0 offset:984
	;; [unrolled: 1-line block ×4, first 2 shown]
	s_waitcnt vmcnt(14) lgkmcnt(1)
	v_mul_f64 v[106:107], v[90:91], v[208:209]
	s_waitcnt vmcnt(12)
	v_fmac_f64_e32 v[106:107], v[92:93], v[212:213]
	s_waitcnt vmcnt(9)
	v_mul_f64 v[102:103], v[94:95], v[216:217]
	v_add_f64 v[2:3], v[2:3], v[106:107]
	s_waitcnt vmcnt(7)
	v_fmac_f64_e32 v[102:103], v[96:97], v[218:219]
	v_add_f64 v[2:3], v[2:3], v[102:103]
	s_waitcnt vmcnt(5) lgkmcnt(0)
	v_mul_f64 v[102:103], v[98:99], v[204:205]
	s_waitcnt vmcnt(4)
	v_fmac_f64_e32 v[102:103], v[100:101], v[214:215]
	v_add_f64 v[2:3], v[2:3], v[102:103]
	ds_read_b128 v[102:105], v190 offset:1984
	buffer_load_dword v224, off, s[0:3], 0 offset:1000
	buffer_load_dword v225, off, s[0:3], 0 offset:1004
	;; [unrolled: 1-line block ×4, first 2 shown]
	v_add_f64 v[4:5], v[4:5], v[252:253]
	v_add_f64 v[4:5], v[4:5], v[254:255]
	;; [unrolled: 1-line block ×4, first 2 shown]
	v_accvgpr_read_b32 v4, a194
	v_accvgpr_read_b32 v5, a195
	v_add_f64 v[252:253], v[0:1], v[20:21]
	v_mul_f64 v[4:5], v[136:137], v[4:5]
	v_add_f64 v[0:1], v[252:253], v[250:251]
	v_fma_f64 v[4:5], v[134:135], v[6:7], -v[4:5]
	v_add_f64 v[0:1], v[0:1], v[4:5]
	v_mul_f64 v[4:5], v[132:133], v[138:139]
	v_fma_f64 v[4:5], v[130:131], v[142:143], -v[4:5]
	v_add_f64 v[0:1], v[0:1], v[4:5]
	v_accvgpr_read_b32 v4, a198
	v_accvgpr_read_b32 v5, a199
	v_accvgpr_read_b32 v6, a200
	v_mul_f64 v[4:5], v[128:129], v[4:5]
	v_accvgpr_read_b32 v7, a201
	v_fma_f64 v[4:5], v[126:127], v[6:7], -v[4:5]
	v_add_f64 v[0:1], v[0:1], v[4:5]
	v_mul_f64 v[4:5], v[124:125], v[146:147]
	v_fma_f64 v[4:5], v[122:123], v[150:151], -v[4:5]
	v_add_f64 v[0:1], v[0:1], v[4:5]
	v_accvgpr_read_b32 v4, a202
	v_accvgpr_read_b32 v5, a203
	v_accvgpr_read_b32 v6, a204
	v_mul_f64 v[4:5], v[120:121], v[4:5]
	v_accvgpr_read_b32 v7, a205
	;; [unrolled: 10-line block ×4, first 2 shown]
	v_fma_f64 v[4:5], v[34:35], v[6:7], -v[4:5]
	v_add_f64 v[0:1], v[0:1], v[4:5]
	v_mul_f64 v[4:5], v[40:41], v[162:163]
	v_fma_f64 v[4:5], v[38:39], v[164:165], -v[4:5]
	v_add_f64 v[0:1], v[0:1], v[4:5]
	v_mul_f64 v[4:5], v[44:45], v[140:141]
	v_fma_f64 v[4:5], v[42:43], v[144:145], -v[4:5]
	v_add_f64 v[0:1], v[0:1], v[4:5]
	v_mul_f64 v[4:5], v[48:49], v[166:167]
	v_fma_f64 v[4:5], v[46:47], v[168:169], -v[4:5]
	v_add_f64 v[0:1], v[0:1], v[4:5]
	v_mul_f64 v[4:5], v[18:19], v[148:149]
	v_fma_f64 v[4:5], v[16:17], v[152:153], -v[4:5]
	v_add_f64 v[0:1], v[0:1], v[4:5]
	v_mul_f64 v[4:5], v[56:57], v[170:171]
	v_fma_f64 v[4:5], v[54:55], v[176:177], -v[4:5]
	v_add_f64 v[0:1], v[0:1], v[4:5]
	s_waitcnt vmcnt(6) lgkmcnt(0)
	v_mul_f64 v[106:107], v[102:103], v[220:221]
	v_mul_f64 v[4:5], v[60:61], v[172:173]
	s_waitcnt vmcnt(4)
	v_fmac_f64_e32 v[106:107], v[104:105], v[222:223]
	v_add_f64 v[2:3], v[2:3], v[106:107]
	ds_read_b128 v[106:109], v190 offset:2000
	v_fma_f64 v[4:5], v[58:59], v[174:175], -v[4:5]
	v_add_f64 v[0:1], v[0:1], v[4:5]
	v_mul_f64 v[4:5], v[64:65], v[182:183]
	v_fma_f64 v[4:5], v[62:63], v[184:185], -v[4:5]
	v_add_f64 v[0:1], v[0:1], v[4:5]
	v_mul_f64 v[4:5], v[68:69], v[178:179]
	s_waitcnt vmcnt(2) lgkmcnt(0)
	v_mul_f64 v[228:229], v[106:107], v[224:225]
	v_fma_f64 v[4:5], v[66:67], v[186:187], -v[4:5]
	s_waitcnt vmcnt(0)
	v_fmac_f64_e32 v[228:229], v[108:109], v[226:227]
	v_add_f64 v[2:3], v[2:3], v[228:229]
	buffer_load_dword v229, off, s[0:3], 0 offset:1020
	buffer_load_dword v228, off, s[0:3], 0 offset:1016
	;; [unrolled: 1-line block ×4, first 2 shown]
	ds_read_b128 v[238:241], v190 offset:2016
	v_add_f64 v[0:1], v[0:1], v[4:5]
	v_mul_f64 v[4:5], v[72:73], v[192:193]
	v_fma_f64 v[4:5], v[70:71], v[194:195], -v[4:5]
	v_add_f64 v[0:1], v[0:1], v[4:5]
	v_mul_f64 v[4:5], v[76:77], v[180:181]
	v_fma_f64 v[4:5], v[74:75], v[188:189], -v[4:5]
	;; [unrolled: 3-line block ×10, first 2 shown]
	v_add_f64 v[0:1], v[0:1], v[4:5]
	s_waitcnt vmcnt(2) lgkmcnt(0)
	v_mul_f64 v[234:235], v[238:239], v[228:229]
	v_mul_f64 v[4:5], v[240:241], v[228:229]
	s_waitcnt vmcnt(0)
	v_fmac_f64_e32 v[234:235], v[240:241], v[230:231]
	v_add_f64 v[2:3], v[2:3], v[234:235]
	buffer_load_dword v234, off, s[0:3], 0 offset:1032
	buffer_load_dword v235, off, s[0:3], 0 offset:1036
	;; [unrolled: 1-line block ×4, first 2 shown]
	ds_read_b128 v[242:245], v190 offset:2032
	buffer_load_dword v248, off, s[0:3], 0 offset:272
	buffer_load_dword v249, off, s[0:3], 0 offset:276
	v_fma_f64 v[4:5], v[238:239], v[230:231], -v[4:5]
	v_add_f64 v[0:1], v[0:1], v[4:5]
	s_waitcnt vmcnt(4) lgkmcnt(0)
	v_mul_f64 v[246:247], v[242:243], v[234:235]
	v_mul_f64 v[4:5], v[244:245], v[234:235]
	s_waitcnt vmcnt(2)
	v_fmac_f64_e32 v[246:247], v[244:245], v[236:237]
	v_add_f64 v[2:3], v[2:3], v[246:247]
	buffer_load_dword v246, off, s[0:3], 0 offset:280
	buffer_load_dword v247, off, s[0:3], 0 offset:284
	v_fma_f64 v[4:5], v[242:243], v[236:237], -v[4:5]
	v_add_f64 v[0:1], v[0:1], v[4:5]
	s_waitcnt vmcnt(2)
	v_add_f64 v[0:1], v[248:249], -v[0:1]
	s_waitcnt vmcnt(0)
	v_add_f64 v[2:3], v[246:247], -v[2:3]
	buffer_store_dword v1, off, s[0:3], 0 offset:276
	buffer_store_dword v0, off, s[0:3], 0 offset:272
	;; [unrolled: 1-line block ×4, first 2 shown]
	v_accvgpr_read_b32 v0, a191
	v_cmp_lt_u32_e32 vcc, 15, v0
	s_and_saveexec_b64 s[4:5], vcc
	s_cbranch_execz .LBB63_379
; %bb.378:
	v_accvgpr_read_b32 v3, a176
	buffer_load_dword v0, v3, s[0:3], 0 offen
	buffer_load_dword v1, v3, s[0:3], 0 offen offset:4
	buffer_load_dword v2, v3, s[0:3], 0 offen offset:8
	s_nop 0
	buffer_load_dword v3, v3, s[0:3], 0 offen offset:12
	v_accvgpr_read_b32 v4, a192
	buffer_store_dword v190, off, s[0:3], 0 offset:256
	buffer_store_dword v190, off, s[0:3], 0 offset:260
	buffer_store_dword v190, off, s[0:3], 0 offset:264
	buffer_store_dword v190, off, s[0:3], 0 offset:268
	s_waitcnt vmcnt(4)
	ds_write_b128 v4, v[0:3]
.LBB63_379:
	s_or_b64 exec, exec, s[4:5]
	s_waitcnt lgkmcnt(0)
	; wave barrier
	s_waitcnt lgkmcnt(0)
	buffer_load_dword v42, off, s[0:3], 0 offset:272
	buffer_load_dword v43, off, s[0:3], 0 offset:276
	;; [unrolled: 1-line block ×42, first 2 shown]
	ds_read_b128 v[108:111], v190 offset:1280
	ds_read_b128 v[112:115], v190 offset:1296
	;; [unrolled: 1-line block ×10, first 2 shown]
	buffer_load_dword v117, off, s[0:3], 0 offset:420
	buffer_load_dword v116, off, s[0:3], 0 offset:416
	ds_read_b128 v[50:53], v190 offset:1440
	buffer_load_dword v89, off, s[0:3], 0 offset:476
	buffer_load_dword v88, off, s[0:3], 0 offset:472
	;; [unrolled: 1-line block ×8, first 2 shown]
	s_waitcnt vmcnt(48) lgkmcnt(10)
	v_mul_f64 v[0:1], v[108:109], v[48:49]
	v_fmac_f64_e32 v[0:1], v[110:111], v[42:43]
	v_add_f64 v[0:1], v[0:1], 0
	s_waitcnt vmcnt(44) lgkmcnt(9)
	v_mul_f64 v[2:3], v[112:113], v[54:55]
	v_fmac_f64_e32 v[2:3], v[114:115], v[44:45]
	s_waitcnt vmcnt(42) lgkmcnt(8)
	v_mul_f64 v[4:5], v[174:175], v[46:47]
	v_add_f64 v[0:1], v[0:1], v[2:3]
	s_waitcnt vmcnt(40) lgkmcnt(6)
	v_mul_f64 v[8:9], v[186:187], v[58:59]
	v_mul_f64 v[46:47], v[176:177], v[46:47]
	s_waitcnt vmcnt(38)
	v_fmac_f64_e32 v[8:9], v[188:189], v[56:57]
	s_waitcnt vmcnt(36)
	v_mul_f64 v[6:7], v[178:179], v[60:61]
	s_waitcnt vmcnt(34) lgkmcnt(4)
	v_mul_f64 v[12:13], v[196:197], v[62:63]
	s_waitcnt vmcnt(32)
	v_fmac_f64_e32 v[12:13], v[198:199], v[64:65]
	s_waitcnt vmcnt(30)
	v_mul_f64 v[10:11], v[192:193], v[208:209]
	s_waitcnt vmcnt(28) lgkmcnt(2)
	v_mul_f64 v[16:17], v[204:205], v[68:69]
	s_waitcnt vmcnt(25)
	v_mul_f64 v[14:15], v[200:201], v[74:75]
	s_waitcnt vmcnt(23) lgkmcnt(1)
	v_mul_f64 v[18:19], v[210:211], v[72:73]
	s_waitcnt vmcnt(21)
	v_fmac_f64_e32 v[4:5], v[176:177], v[82:83]
	v_add_f64 v[0:1], v[0:1], v[4:5]
	s_waitcnt vmcnt(19)
	v_fmac_f64_e32 v[6:7], v[180:181], v[182:183]
	v_add_f64 v[0:1], v[0:1], v[6:7]
	;; [unrolled: 3-line block ×3, first 2 shown]
	v_add_f64 v[0:1], v[0:1], v[10:11]
	s_waitcnt vmcnt(15)
	v_fmac_f64_e32 v[14:15], v[202:203], v[76:77]
	v_add_f64 v[0:1], v[0:1], v[12:13]
	s_waitcnt vmcnt(14)
	v_fmac_f64_e32 v[16:17], v[206:207], v[70:71]
	v_add_f64 v[0:1], v[0:1], v[14:15]
	v_add_f64 v[2:3], v[0:1], v[16:17]
	buffer_load_dword v105, off, s[0:3], 0 offset:508
	buffer_load_dword v104, off, s[0:3], 0 offset:504
	;; [unrolled: 1-line block ×26, first 2 shown]
	s_waitcnt vmcnt(34)
	v_fmac_f64_e32 v[18:19], v[212:213], v[116:117]
	v_add_f64 v[2:3], v[2:3], v[18:19]
	s_waitcnt vmcnt(0)
	v_pk_mov_b32 v[20:21], v[4:5], v[4:5] op_sel:[0,1]
	buffer_load_dword v5, off, s[0:3], 0 offset:596
	buffer_load_dword v7, off, s[0:3], 0 offset:588
	buffer_load_dword v6, off, s[0:3], 0 offset:584
	v_accvgpr_write_b32 a199, v21
	v_accvgpr_write_b32 a198, v20
	s_waitcnt vmcnt(0)
	v_pk_mov_b32 v[14:15], v[6:7], v[6:7] op_sel:[0,1]
	buffer_load_dword v7, off, s[0:3], 0 offset:580
	buffer_load_dword v6, off, s[0:3], 0 offset:576
	;; [unrolled: 1-line block ×3, first 2 shown]
	v_accvgpr_write_b32 a195, v15
	v_accvgpr_write_b32 a194, v14
	s_waitcnt vmcnt(1)
	v_pk_mov_b32 v[16:17], v[6:7], v[6:7] op_sel:[0,1]
	s_waitcnt vmcnt(0)
	v_pk_mov_b32 v[22:23], v[4:5], v[4:5] op_sel:[0,1]
	buffer_load_dword v5, off, s[0:3], 0 offset:636
	buffer_load_dword v4, off, s[0:3], 0 offset:632
	v_accvgpr_write_b32 a197, v17
	v_accvgpr_write_b32 a196, v16
	;; [unrolled: 1-line block ×4, first 2 shown]
	s_waitcnt vmcnt(0)
	v_pk_mov_b32 v[26:27], v[4:5], v[4:5] op_sel:[0,1]
	buffer_load_dword v5, off, s[0:3], 0 offset:628
	buffer_load_dword v141, off, s[0:3], 0 offset:620
	;; [unrolled: 1-line block ×6, first 2 shown]
	v_accvgpr_write_b32 a203, v27
	v_accvgpr_write_b32 a202, v26
	s_waitcnt vmcnt(0)
	v_pk_mov_b32 v[28:29], v[4:5], v[4:5] op_sel:[0,1]
	buffer_load_dword v5, off, s[0:3], 0 offset:668
	buffer_load_dword v4, off, s[0:3], 0 offset:664
	v_accvgpr_write_b32 a205, v29
	v_accvgpr_write_b32 a204, v28
	s_waitcnt vmcnt(0)
	v_pk_mov_b32 v[34:35], v[4:5], v[4:5] op_sel:[0,1]
	buffer_load_dword v5, off, s[0:3], 0 offset:660
	buffer_load_dword v149, off, s[0:3], 0 offset:652
	;; [unrolled: 1-line block ×6, first 2 shown]
	v_accvgpr_write_b32 a207, v35
	v_accvgpr_write_b32 a206, v34
	s_waitcnt vmcnt(0)
	v_pk_mov_b32 v[36:37], v[4:5], v[4:5] op_sel:[0,1]
	buffer_load_dword v5, off, s[0:3], 0 offset:700
	buffer_load_dword v4, off, s[0:3], 0 offset:696
	v_accvgpr_write_b32 a209, v37
	v_accvgpr_write_b32 a208, v36
	s_waitcnt vmcnt(0)
	v_pk_mov_b32 v[38:39], v[4:5], v[4:5] op_sel:[0,1]
	buffer_load_dword v5, off, s[0:3], 0 offset:692
	buffer_load_dword v153, off, s[0:3], 0 offset:684
	;; [unrolled: 1-line block ×20, first 2 shown]
	ds_read_b128 v[220:223], v190 offset:1456
	ds_read_b128 v[224:227], v190 offset:1472
	;; [unrolled: 1-line block ×12, first 2 shown]
	s_waitcnt lgkmcnt(4)
	v_mul_f64 v[8:9], v[252:253], v[98:99]
	v_fmac_f64_e32 v[8:9], v[254:255], v[100:101]
	s_waitcnt lgkmcnt(3)
	v_mul_f64 v[12:13], v[134:135], v[14:15]
	v_fmac_f64_e32 v[12:13], v[136:137], v[16:17]
	;; [unrolled: 3-line block ×3, first 2 shown]
	s_waitcnt lgkmcnt(1)
	v_mul_f64 v[20:21], v[126:127], v[140:141]
	ds_read_b128 v[118:121], v190 offset:1648
	v_fmac_f64_e32 v[20:21], v[128:129], v[144:145]
	s_waitcnt lgkmcnt(1)
	v_mul_f64 v[24:25], v[122:123], v[26:27]
	v_fmac_f64_e32 v[24:25], v[124:125], v[28:29]
	v_accvgpr_write_b32 a211, v39
	v_accvgpr_write_b32 a210, v38
	s_waitcnt vmcnt(14)
	v_pk_mov_b32 v[40:41], v[4:5], v[4:5] op_sel:[0,1]
	v_mul_f64 v[4:5], v[50:51], v[84:85]
	v_fmac_f64_e32 v[4:5], v[52:53], v[86:87]
	v_add_f64 v[2:3], v[2:3], v[4:5]
	v_mul_f64 v[4:5], v[220:221], v[94:95]
	v_fmac_f64_e32 v[4:5], v[222:223], v[248:249]
	v_add_f64 v[2:3], v[2:3], v[4:5]
	;; [unrolled: 3-line block ×8, first 2 shown]
	v_add_f64 v[10:11], v[6:7], v[8:9]
	v_add_f64 v[14:15], v[10:11], v[12:13]
	;; [unrolled: 1-line block ×5, first 2 shown]
	ds_read_b128 v[22:25], v190 offset:1664
	s_waitcnt lgkmcnt(1)
	v_mul_f64 v[28:29], v[118:119], v[148:149]
	v_fmac_f64_e32 v[28:29], v[120:121], v[150:151]
	v_add_f64 v[30:31], v[26:27], v[28:29]
	ds_read_b128 v[26:29], v190 offset:1680
	s_waitcnt lgkmcnt(1)
	v_mul_f64 v[32:33], v[22:23], v[34:35]
	v_fmac_f64_e32 v[32:33], v[24:25], v[36:37]
	v_add_f64 v[34:35], v[30:31], v[32:33]
	;; [unrolled: 5-line block ×3, first 2 shown]
	ds_read_b128 v[34:37], v190 offset:1712
	s_waitcnt lgkmcnt(1)
	v_mul_f64 v[166:167], v[30:31], v[38:39]
	v_accvgpr_write_b32 a213, v41
	v_fmac_f64_e32 v[166:167], v[32:33], v[40:41]
	v_accvgpr_write_b32 a212, v40
	ds_read_b128 v[38:41], v190 offset:1728
	v_add_f64 v[164:165], v[164:165], v[166:167]
	s_waitcnt vmcnt(9) lgkmcnt(1)
	v_mul_f64 v[166:167], v[34:35], v[156:157]
	s_waitcnt vmcnt(7)
	v_fmac_f64_e32 v[166:167], v[36:37], v[160:161]
	v_add_f64 v[164:165], v[164:165], v[166:167]
	s_waitcnt lgkmcnt(0)
	v_mul_f64 v[166:167], v[38:39], v[138:139]
	s_waitcnt vmcnt(6)
	v_fmac_f64_e32 v[166:167], v[40:41], v[142:143]
	v_add_f64 v[2:3], v[164:165], v[166:167]
	buffer_load_dword v167, off, s[0:3], 0 offset:756
	buffer_load_dword v166, off, s[0:3], 0 offset:752
	v_mul_f64 v[4:5], v[110:111], v[48:49]
	buffer_load_dword v164, off, s[0:3], 0 offset:792
	v_fma_f64 v[18:19], v[108:109], v[42:43], -v[4:5]
	v_mul_f64 v[42:43], v[114:115], v[54:55]
	buffer_load_dword v171, off, s[0:3], 0 offset:780
	buffer_load_dword v170, off, s[0:3], 0 offset:776
	;; [unrolled: 1-line block ×7, first 2 shown]
	v_fma_f64 v[108:109], v[112:113], v[44:45], -v[42:43]
	ds_read_b128 v[42:45], v190 offset:1744
	v_fma_f64 v[110:111], v[174:175], v[82:83], -v[46:47]
	v_mul_f64 v[46:47], v[180:181], v[60:61]
	buffer_load_dword v175, off, s[0:3], 0 offset:812
	buffer_load_dword v174, off, s[0:3], 0 offset:808
	;; [unrolled: 1-line block ×4, first 2 shown]
	v_fma_f64 v[112:113], v[178:179], v[182:183], -v[46:47]
	buffer_load_dword v179, off, s[0:3], 0 offset:828
	buffer_load_dword v178, off, s[0:3], 0 offset:824
	;; [unrolled: 1-line block ×8, first 2 shown]
	v_mul_f64 v[46:47], v[188:189], v[58:59]
	v_fma_f64 v[114:115], v[186:187], v[56:57], -v[46:47]
	buffer_load_dword v186, off, s[0:3], 0 offset:856
	v_mul_f64 v[46:47], v[194:195], v[208:209]
	v_fma_f64 v[214:215], v[192:193], v[214:215], -v[46:47]
	buffer_load_dword v192, off, s[0:3], 0 offset:848
	buffer_load_dword v187, off, s[0:3], 0 offset:860
	;; [unrolled: 1-line block ×3, first 2 shown]
	v_mul_f64 v[46:47], v[198:199], v[62:63]
	v_fma_f64 v[14:15], v[196:197], v[64:65], -v[46:47]
	buffer_load_dword v188, off, s[0:3], 0 offset:888
	buffer_load_dword v197, off, s[0:3], 0 offset:876
	;; [unrolled: 1-line block ×8, first 2 shown]
	v_mul_f64 v[46:47], v[202:203], v[74:75]
	v_fma_f64 v[10:11], v[200:201], v[76:77], -v[46:47]
	buffer_load_dword v201, off, s[0:3], 0 offset:908
	buffer_load_dword v200, off, s[0:3], 0 offset:904
	;; [unrolled: 1-line block ×4, first 2 shown]
	v_mul_f64 v[12:13], v[206:207], v[68:69]
	buffer_load_dword v207, off, s[0:3], 0 offset:924
	buffer_load_dword v206, off, s[0:3], 0 offset:920
	;; [unrolled: 1-line block ×4, first 2 shown]
	s_waitcnt vmcnt(44) lgkmcnt(0)
	v_mul_f64 v[8:9], v[42:43], v[158:159]
	v_mul_f64 v[46:47], v[212:213], v[72:73]
	s_waitcnt vmcnt(42)
	v_fmac_f64_e32 v[8:9], v[44:45], v[162:163]
	v_fma_f64 v[12:13], v[204:205], v[70:71], -v[12:13]
	v_fma_f64 v[6:7], v[210:211], v[116:117], -v[46:47]
	buffer_load_dword v204, off, s[0:3], 0 offset:952
	buffer_load_dword v213, off, s[0:3], 0 offset:940
	;; [unrolled: 1-line block ×12, first 2 shown]
	ds_read_b128 v[46:49], v190 offset:1760
	v_add_f64 v[2:3], v[2:3], v[8:9]
	v_mul_f64 v[8:9], v[52:53], v[84:85]
	v_fma_f64 v[8:9], v[50:51], v[86:87], -v[8:9]
	ds_read_b128 v[50:53], v190 offset:1776
	v_mul_f64 v[54:55], v[222:223], v[94:95]
	v_fma_f64 v[248:249], v[220:221], v[248:249], -v[54:55]
	ds_read_b128 v[54:57], v190 offset:1792
	ds_read_b128 v[58:61], v190 offset:1808
	s_waitcnt lgkmcnt(3)
	v_mul_f64 v[16:17], v[46:47], v[146:147]
	ds_read_b128 v[62:65], v190 offset:1824
	v_mul_f64 v[68:69], v[230:231], v[250:251]
	v_fma_f64 v[250:251], v[228:229], v[66:67], -v[68:69]
	ds_read_b128 v[66:69], v190 offset:1840
	v_mul_f64 v[74:75], v[234:235], v[104:105]
	v_fma_f64 v[232:233], v[232:233], v[106:107], -v[74:75]
	v_mul_f64 v[78:79], v[238:239], v[78:79]
	v_fma_f64 v[4:5], v[236:237], v[80:81], -v[78:79]
	ds_read_b128 v[78:81], v190 offset:1888
	v_mul_f64 v[0:1], v[242:243], v[0:1]
	v_add_f64 v[18:19], v[18:19], 0
	v_add_f64 v[18:19], v[18:19], v[108:109]
	;; [unrolled: 1-line block ×7, first 2 shown]
	ds_read_b128 v[74:77], v190 offset:1872
	v_add_f64 v[10:11], v[14:15], v[10:11]
	v_add_f64 v[10:11], v[10:11], v[12:13]
	;; [unrolled: 1-line block ×5, first 2 shown]
	v_accvgpr_read_b32 v8, a196
	v_accvgpr_read_b32 v9, a197
	s_waitcnt vmcnt(52)
	v_fmac_f64_e32 v[16:17], v[48:49], v[166:167]
	v_add_f64 v[2:3], v[2:3], v[16:17]
	s_waitcnt vmcnt(49) lgkmcnt(6)
	v_mul_f64 v[16:17], v[50:51], v[170:171]
	s_waitcnt vmcnt(47)
	v_fmac_f64_e32 v[16:17], v[52:53], v[172:173]
	v_add_f64 v[2:3], v[2:3], v[16:17]
	s_waitcnt vmcnt(45) lgkmcnt(5)
	v_mul_f64 v[16:17], v[54:55], v[164:165]
	;; [unrolled: 5-line block ×3, first 2 shown]
	v_mul_f64 v[16:17], v[226:227], v[88:89]
	s_waitcnt vmcnt(40)
	v_fmac_f64_e32 v[70:71], v[60:61], v[176:177]
	v_add_f64 v[2:3], v[2:3], v[70:71]
	s_waitcnt vmcnt(38) lgkmcnt(3)
	v_mul_f64 v[70:71], v[62:63], v[178:179]
	s_waitcnt vmcnt(36)
	v_fmac_f64_e32 v[70:71], v[64:65], v[182:183]
	v_add_f64 v[2:3], v[2:3], v[70:71]
	s_waitcnt vmcnt(34) lgkmcnt(2)
	v_mul_f64 v[70:71], v[66:67], v[180:181]
	s_waitcnt vmcnt(32)
	v_fmac_f64_e32 v[70:71], v[68:69], v[184:185]
	v_add_f64 v[2:3], v[2:3], v[70:71]
	ds_read_b128 v[70:73], v190 offset:1856
	s_waitcnt vmcnt(25) lgkmcnt(1)
	v_mul_f64 v[20:21], v[74:75], v[196:197]
	s_waitcnt vmcnt(23)
	v_fmac_f64_e32 v[20:21], v[76:77], v[198:199]
	ds_read_b128 v[86:89], v190 offset:1920
	v_fma_f64 v[16:17], v[224:225], v[90:91], -v[16:17]
	s_waitcnt lgkmcnt(1)
	v_mul_f64 v[82:83], v[70:71], v[186:187]
	v_fmac_f64_e32 v[82:83], v[72:73], v[192:193]
	v_add_f64 v[2:3], v[2:3], v[82:83]
	ds_read_b128 v[82:85], v190 offset:1904
	v_add_f64 v[2:3], v[2:3], v[20:21]
	s_waitcnt vmcnt(21)
	v_mul_f64 v[20:21], v[78:79], v[188:189]
	s_waitcnt vmcnt(20)
	v_fmac_f64_e32 v[20:21], v[80:81], v[194:195]
	v_add_f64 v[2:3], v[2:3], v[20:21]
	v_fma_f64 v[20:21], v[240:241], v[92:93], -v[0:1]
	s_waitcnt vmcnt(18) lgkmcnt(0)
	v_mul_f64 v[0:1], v[82:83], v[200:201]
	s_waitcnt vmcnt(16)
	v_fmac_f64_e32 v[0:1], v[84:85], v[202:203]
	v_mul_f64 v[90:91], v[246:247], v[96:97]
	v_fma_f64 v[106:107], v[244:245], v[102:103], -v[90:91]
	ds_read_b128 v[90:93], v190 offset:1936
	v_add_f64 v[0:1], v[2:3], v[0:1]
	s_waitcnt vmcnt(14)
	v_mul_f64 v[2:3], v[86:87], v[206:207]
	s_waitcnt vmcnt(12)
	v_fmac_f64_e32 v[2:3], v[88:89], v[208:209]
	v_add_f64 v[0:1], v[0:1], v[2:3]
	v_mul_f64 v[2:3], v[254:255], v[98:99]
	ds_read_b128 v[94:97], v190 offset:1952
	v_fma_f64 v[252:253], v[252:253], v[100:101], -v[2:3]
	ds_read_b128 v[98:101], v190 offset:1968
	buffer_load_dword v220, off, s[0:3], 0 offset:984
	buffer_load_dword v221, off, s[0:3], 0 offset:988
	;; [unrolled: 1-line block ×4, first 2 shown]
	ds_read_b128 v[102:105], v190 offset:1984
	buffer_load_dword v225, off, s[0:3], 0 offset:1004
	buffer_load_dword v224, off, s[0:3], 0 offset:1000
	;; [unrolled: 1-line block ×4, first 2 shown]
	s_waitcnt vmcnt(17) lgkmcnt(3)
	v_mul_f64 v[2:3], v[90:91], v[212:213]
	s_waitcnt vmcnt(15)
	v_fmac_f64_e32 v[2:3], v[92:93], v[216:217]
	v_add_f64 v[0:1], v[0:1], v[2:3]
	s_waitcnt vmcnt(13) lgkmcnt(2)
	v_mul_f64 v[2:3], v[94:95], v[204:205]
	s_waitcnt vmcnt(12)
	v_fmac_f64_e32 v[2:3], v[96:97], v[210:211]
	v_add_f64 v[0:1], v[0:1], v[2:3]
	;; [unrolled: 5-line block ×3, first 2 shown]
	v_add_f64 v[6:7], v[6:7], v[16:17]
	v_add_f64 v[6:7], v[6:7], v[250:251]
	;; [unrolled: 1-line block ×4, first 2 shown]
	v_accvgpr_read_b32 v6, a194
	v_add_f64 v[254:255], v[4:5], v[20:21]
	v_accvgpr_read_b32 v7, a195
	v_add_f64 v[4:5], v[254:255], v[106:107]
	v_mul_f64 v[6:7], v[136:137], v[6:7]
	v_add_f64 v[4:5], v[4:5], v[252:253]
	v_fma_f64 v[6:7], v[134:135], v[8:9], -v[6:7]
	v_add_f64 v[4:5], v[4:5], v[6:7]
	v_accvgpr_read_b32 v6, a198
	v_accvgpr_read_b32 v7, a199
	v_accvgpr_read_b32 v8, a200
	v_mul_f64 v[6:7], v[132:133], v[6:7]
	v_accvgpr_read_b32 v9, a201
	v_fma_f64 v[6:7], v[130:131], v[8:9], -v[6:7]
	v_add_f64 v[4:5], v[4:5], v[6:7]
	v_mul_f64 v[6:7], v[128:129], v[140:141]
	v_fma_f64 v[6:7], v[126:127], v[144:145], -v[6:7]
	v_add_f64 v[4:5], v[4:5], v[6:7]
	v_accvgpr_read_b32 v6, a202
	v_accvgpr_read_b32 v7, a203
	v_accvgpr_read_b32 v8, a204
	v_mul_f64 v[6:7], v[124:125], v[6:7]
	v_accvgpr_read_b32 v9, a205
	v_fma_f64 v[6:7], v[122:123], v[8:9], -v[6:7]
	v_add_f64 v[4:5], v[4:5], v[6:7]
	v_mul_f64 v[6:7], v[120:121], v[148:149]
	;; [unrolled: 10-line block ×4, first 2 shown]
	v_fma_f64 v[6:7], v[34:35], v[160:161], -v[6:7]
	v_add_f64 v[4:5], v[4:5], v[6:7]
	v_mul_f64 v[6:7], v[40:41], v[138:139]
	v_fma_f64 v[6:7], v[38:39], v[142:143], -v[6:7]
	v_add_f64 v[4:5], v[4:5], v[6:7]
	v_mul_f64 v[6:7], v[44:45], v[158:159]
	;; [unrolled: 3-line block ×5, first 2 shown]
	v_fma_f64 v[6:7], v[54:55], v[168:169], -v[6:7]
	s_waitcnt vmcnt(6) lgkmcnt(0)
	v_mul_f64 v[2:3], v[102:103], v[220:221]
	v_add_f64 v[4:5], v[4:5], v[6:7]
	s_waitcnt vmcnt(4)
	v_fmac_f64_e32 v[2:3], v[104:105], v[222:223]
	v_add_f64 v[228:229], v[0:1], v[2:3]
	ds_read_b128 v[0:3], v190 offset:2000
	v_mul_f64 v[6:7], v[60:61], v[174:175]
	v_fma_f64 v[6:7], v[58:59], v[176:177], -v[6:7]
	v_add_f64 v[4:5], v[4:5], v[6:7]
	v_mul_f64 v[6:7], v[64:65], v[178:179]
	s_waitcnt vmcnt(2) lgkmcnt(0)
	v_mul_f64 v[230:231], v[0:1], v[224:225]
	s_waitcnt vmcnt(0)
	v_fmac_f64_e32 v[230:231], v[2:3], v[226:227]
	v_add_f64 v[234:235], v[228:229], v[230:231]
	buffer_load_dword v228, off, s[0:3], 0 offset:1016
	buffer_load_dword v229, off, s[0:3], 0 offset:1020
	;; [unrolled: 1-line block ×4, first 2 shown]
	ds_read_b128 v[238:241], v190 offset:2016
	v_fma_f64 v[6:7], v[62:63], v[182:183], -v[6:7]
	v_add_f64 v[4:5], v[4:5], v[6:7]
	v_mul_f64 v[6:7], v[68:69], v[180:181]
	v_fma_f64 v[6:7], v[66:67], v[184:185], -v[6:7]
	v_add_f64 v[4:5], v[4:5], v[6:7]
	v_mul_f64 v[6:7], v[72:73], v[186:187]
	;; [unrolled: 3-line block ×10, first 2 shown]
	v_fma_f64 v[6:7], v[102:103], v[222:223], -v[6:7]
	v_mul_f64 v[2:3], v[2:3], v[224:225]
	v_add_f64 v[4:5], v[4:5], v[6:7]
	v_fma_f64 v[0:1], v[0:1], v[226:227], -v[2:3]
	v_add_f64 v[0:1], v[4:5], v[0:1]
	s_waitcnt vmcnt(2) lgkmcnt(0)
	v_mul_f64 v[236:237], v[238:239], v[228:229]
	v_mul_f64 v[2:3], v[240:241], v[228:229]
	s_waitcnt vmcnt(0)
	v_fmac_f64_e32 v[236:237], v[240:241], v[230:231]
	v_add_f64 v[246:247], v[234:235], v[236:237]
	buffer_load_dword v235, off, s[0:3], 0 offset:1036
	buffer_load_dword v234, off, s[0:3], 0 offset:1032
	;; [unrolled: 1-line block ×4, first 2 shown]
	ds_read_b128 v[242:245], v190 offset:2032
	v_fma_f64 v[2:3], v[238:239], v[230:231], -v[2:3]
	v_add_f64 v[0:1], v[0:1], v[2:3]
	s_waitcnt vmcnt(2) lgkmcnt(0)
	v_mul_f64 v[190:191], v[242:243], v[234:235]
	v_mul_f64 v[2:3], v[244:245], v[234:235]
	s_waitcnt vmcnt(0)
	v_fmac_f64_e32 v[190:191], v[244:245], v[236:237]
	v_add_f64 v[190:191], v[246:247], v[190:191]
	buffer_load_dword v248, off, s[0:3], 0 offset:256
	buffer_load_dword v249, off, s[0:3], 0 offset:260
	;; [unrolled: 1-line block ×4, first 2 shown]
	v_fma_f64 v[2:3], v[242:243], v[236:237], -v[2:3]
	v_add_f64 v[0:1], v[0:1], v[2:3]
	s_waitcnt vmcnt(2)
	v_add_f64 v[0:1], v[248:249], -v[0:1]
	s_waitcnt vmcnt(0)
	v_add_f64 v[2:3], v[246:247], -v[190:191]
	buffer_store_dword v1, off, s[0:3], 0 offset:260
	buffer_store_dword v0, off, s[0:3], 0 offset:256
	;; [unrolled: 1-line block ×4, first 2 shown]
	v_accvgpr_read_b32 v0, a191
	v_cmp_lt_u32_e32 vcc, 14, v0
	s_and_saveexec_b64 s[4:5], vcc
	s_cbranch_execz .LBB63_381
; %bb.380:
	v_accvgpr_read_b32 v3, a177
	buffer_load_dword v0, v3, s[0:3], 0 offen
	buffer_load_dword v1, v3, s[0:3], 0 offen offset:4
	buffer_load_dword v2, v3, s[0:3], 0 offen offset:8
	s_nop 0
	buffer_load_dword v3, v3, s[0:3], 0 offen offset:12
	v_mov_b32_e32 v4, 0
	v_accvgpr_read_b32 v5, a192
	buffer_store_dword v4, off, s[0:3], 0 offset:240
	buffer_store_dword v4, off, s[0:3], 0 offset:244
	;; [unrolled: 1-line block ×4, first 2 shown]
	s_waitcnt vmcnt(4)
	ds_write_b128 v5, v[0:3]
.LBB63_381:
	s_or_b64 exec, exec, s[4:5]
	s_waitcnt lgkmcnt(0)
	; wave barrier
	s_waitcnt lgkmcnt(0)
	buffer_load_dword v38, off, s[0:3], 0 offset:256
	buffer_load_dword v39, off, s[0:3], 0 offset:260
	;; [unrolled: 1-line block ×42, first 2 shown]
	v_mov_b32_e32 v190, 0
	buffer_load_dword v97, off, s[0:3], 0 offset:404
	buffer_load_dword v96, off, s[0:3], 0 offset:400
	;; [unrolled: 1-line block ×7, first 2 shown]
	ds_read_b128 v[106:109], v190 offset:1264
	ds_read_b128 v[110:113], v190 offset:1280
	;; [unrolled: 1-line block ×11, first 2 shown]
	s_waitcnt vmcnt(45) lgkmcnt(10)
	v_mul_f64 v[0:1], v[106:107], v[40:41]
	v_fmac_f64_e32 v[0:1], v[108:109], v[38:39]
	v_add_f64 v[0:1], v[0:1], 0
	v_mul_f64 v[40:41], v[108:109], v[40:41]
	s_waitcnt vmcnt(41) lgkmcnt(9)
	v_mul_f64 v[2:3], v[110:111], v[46:47]
	v_fmac_f64_e32 v[2:3], v[112:113], v[44:45]
	s_waitcnt vmcnt(39) lgkmcnt(8)
	v_mul_f64 v[4:5], v[114:115], v[42:43]
	v_add_f64 v[0:1], v[0:1], v[2:3]
	s_waitcnt vmcnt(37) lgkmcnt(6)
	v_mul_f64 v[8:9], v[180:181], v[48:49]
	v_mul_f64 v[42:43], v[116:117], v[42:43]
	s_waitcnt vmcnt(35)
	v_fmac_f64_e32 v[8:9], v[182:183], v[50:51]
	v_mul_f64 v[46:47], v[112:113], v[46:47]
	s_waitcnt vmcnt(33)
	v_mul_f64 v[6:7], v[170:171], v[52:53]
	s_waitcnt vmcnt(31) lgkmcnt(4)
	v_mul_f64 v[12:13], v[192:193], v[56:57]
	s_waitcnt vmcnt(29)
	v_fmac_f64_e32 v[12:13], v[194:195], v[54:55]
	s_waitcnt vmcnt(27)
	v_mul_f64 v[10:11], v[184:185], v[188:189]
	s_waitcnt vmcnt(25) lgkmcnt(2)
	v_mul_f64 v[16:17], v[200:201], v[64:65]
	s_waitcnt vmcnt(22)
	v_mul_f64 v[14:15], v[196:197], v[66:67]
	s_waitcnt vmcnt(20) lgkmcnt(1)
	v_mul_f64 v[18:19], v[204:205], v[60:61]
	s_waitcnt vmcnt(18)
	v_fmac_f64_e32 v[4:5], v[116:117], v[74:75]
	v_add_f64 v[0:1], v[0:1], v[4:5]
	s_waitcnt vmcnt(16)
	v_fmac_f64_e32 v[6:7], v[172:173], v[174:175]
	v_add_f64 v[0:1], v[0:1], v[6:7]
	;; [unrolled: 3-line block ×3, first 2 shown]
	v_add_f64 v[0:1], v[0:1], v[10:11]
	s_waitcnt vmcnt(12)
	v_fmac_f64_e32 v[14:15], v[198:199], v[68:69]
	v_add_f64 v[0:1], v[0:1], v[12:13]
	s_waitcnt vmcnt(11)
	v_fmac_f64_e32 v[16:17], v[202:203], v[62:63]
	v_add_f64 v[0:1], v[0:1], v[14:15]
	v_add_f64 v[2:3], v[0:1], v[16:17]
	buffer_load_dword v84, off, s[0:3], 0 offset:440
	buffer_load_dword v253, off, s[0:3], 0 offset:436
	;; [unrolled: 1-line block ×29, first 2 shown]
	s_waitcnt vmcnt(34)
	v_fmac_f64_e32 v[18:19], v[206:207], v[96:97]
	v_add_f64 v[2:3], v[2:3], v[18:19]
	v_fma_f64 v[108:109], v[114:115], v[74:75], -v[42:43]
	v_mul_f64 v[42:43], v[172:173], v[52:53]
	v_mul_f64 v[52:53], v[206:207], v[60:61]
	s_waitcnt vmcnt(0)
	v_pk_mov_b32 v[14:15], v[0:1], v[0:1] op_sel:[0,1]
	buffer_load_dword v1, off, s[0:3], 0 offset:580
	buffer_load_dword v0, off, s[0:3], 0 offset:576
	v_accvgpr_write_b32 a195, v15
	v_accvgpr_write_b32 a194, v14
	s_waitcnt vmcnt(0)
	v_pk_mov_b32 v[16:17], v[0:1], v[0:1] op_sel:[0,1]
	buffer_load_dword v1, off, s[0:3], 0 offset:572
	buffer_load_dword v0, off, s[0:3], 0 offset:568
	;; [unrolled: 1-line block ×6, first 2 shown]
	v_accvgpr_write_b32 a197, v17
	v_accvgpr_write_b32 a196, v16
	s_waitcnt vmcnt(0)
	v_pk_mov_b32 v[22:23], v[4:5], v[4:5] op_sel:[0,1]
	buffer_load_dword v5, off, s[0:3], 0 offset:612
	buffer_load_dword v4, off, s[0:3], 0 offset:608
	v_accvgpr_write_b32 a201, v23
	v_accvgpr_write_b32 a200, v22
	s_waitcnt vmcnt(0)
	v_pk_mov_b32 v[24:25], v[4:5], v[4:5] op_sel:[0,1]
	buffer_load_dword v5, off, s[0:3], 0 offset:604
	buffer_load_dword v4, off, s[0:3], 0 offset:600
	v_accvgpr_write_b32 a203, v25
	v_accvgpr_write_b32 a202, v24
	s_waitcnt vmcnt(0)
	v_pk_mov_b32 v[20:21], v[4:5], v[4:5] op_sel:[0,1]
	buffer_load_dword v143, off, s[0:3], 0 offset:596
	buffer_load_dword v142, off, s[0:3], 0 offset:592
	buffer_load_dword v5, off, s[0:3], 0 offset:652
	buffer_load_dword v4, off, s[0:3], 0 offset:648
	v_accvgpr_write_b32 a199, v21
	v_accvgpr_write_b32 a198, v20
	s_waitcnt vmcnt(0)
	v_pk_mov_b32 v[30:31], v[4:5], v[4:5] op_sel:[0,1]
	buffer_load_dword v5, off, s[0:3], 0 offset:644
	buffer_load_dword v4, off, s[0:3], 0 offset:640
	v_accvgpr_write_b32 a205, v31
	v_accvgpr_write_b32 a204, v30
	s_waitcnt vmcnt(0)
	v_pk_mov_b32 v[32:33], v[4:5], v[4:5] op_sel:[0,1]
	buffer_load_dword v147, off, s[0:3], 0 offset:636
	buffer_load_dword v146, off, s[0:3], 0 offset:632
	buffer_load_dword v149, off, s[0:3], 0 offset:628
	buffer_load_dword v148, off, s[0:3], 0 offset:624
	buffer_load_dword v5, off, s[0:3], 0 offset:684
	buffer_load_dword v4, off, s[0:3], 0 offset:680
	v_accvgpr_write_b32 a207, v33
	v_accvgpr_write_b32 a206, v32
	s_waitcnt vmcnt(0)
	v_pk_mov_b32 v[162:163], v[4:5], v[4:5] op_sel:[0,1]
	buffer_load_dword v5, off, s[0:3], 0 offset:676
	buffer_load_dword v4, off, s[0:3], 0 offset:672
	v_accvgpr_write_b32 a209, v163
	v_accvgpr_write_b32 a208, v162
	s_waitcnt vmcnt(0)
	v_pk_mov_b32 v[164:165], v[4:5], v[4:5] op_sel:[0,1]
	buffer_load_dword v151, off, s[0:3], 0 offset:668
	buffer_load_dword v150, off, s[0:3], 0 offset:664
	buffer_load_dword v153, off, s[0:3], 0 offset:660
	buffer_load_dword v152, off, s[0:3], 0 offset:656
	buffer_load_dword v5, off, s[0:3], 0 offset:716
	buffer_load_dword v4, off, s[0:3], 0 offset:712
	v_accvgpr_write_b32 a211, v165
	v_accvgpr_write_b32 a210, v164
	s_waitcnt vmcnt(0)
	v_pk_mov_b32 v[166:167], v[4:5], v[4:5] op_sel:[0,1]
	buffer_load_dword v5, off, s[0:3], 0 offset:708
	buffer_load_dword v4, off, s[0:3], 0 offset:704
	v_accvgpr_write_b32 a213, v167
	v_accvgpr_write_b32 a212, v166
	s_waitcnt vmcnt(0)
	v_pk_mov_b32 v[168:169], v[4:5], v[4:5] op_sel:[0,1]
	buffer_load_dword v155, off, s[0:3], 0 offset:700
	buffer_load_dword v154, off, s[0:3], 0 offset:696
	buffer_load_dword v157, off, s[0:3], 0 offset:692
	buffer_load_dword v156, off, s[0:3], 0 offset:688
	buffer_load_dword v5, off, s[0:3], 0 offset:748
	buffer_load_dword v4, off, s[0:3], 0 offset:744
	;; [unrolled: 1-line block ×8, first 2 shown]
	ds_read_b128 v[216:219], v190 offset:1440
	ds_read_b128 v[220:223], v190 offset:1456
	;; [unrolled: 1-line block ×14, first 2 shown]
	s_waitcnt lgkmcnt(5)
	v_mul_f64 v[8:9], v[248:249], v[0:1]
	v_fmac_f64_e32 v[8:9], v[250:251], v[94:95]
	s_waitcnt lgkmcnt(4)
	v_mul_f64 v[12:13], v[138:139], v[14:15]
	v_fmac_f64_e32 v[12:13], v[140:141], v[16:17]
	s_waitcnt lgkmcnt(3)
	v_mul_f64 v[16:17], v[134:135], v[20:21]
	ds_read_b128 v[118:121], v190 offset:1664
	v_fmac_f64_e32 v[16:17], v[136:137], v[142:143]
	s_waitcnt lgkmcnt(3)
	v_mul_f64 v[20:21], v[130:131], v[22:23]
	v_fmac_f64_e32 v[20:21], v[132:133], v[24:25]
	s_waitcnt lgkmcnt(2)
	v_mul_f64 v[24:25], v[126:127], v[146:147]
	;; [unrolled: 3-line block ×3, first 2 shown]
	v_fmac_f64_e32 v[28:29], v[124:125], v[32:33]
	v_accvgpr_write_b32 a215, v169
	v_accvgpr_write_b32 a214, v168
	v_mul_f64 v[60:61], v[226:227], v[254:255]
	v_mul_f64 v[0:1], v[250:251], v[0:1]
	v_fma_f64 v[250:251], v[248:249], v[94:95], -v[0:1]
	s_waitcnt vmcnt(6)
	v_pk_mov_b32 v[214:215], v[4:5], v[4:5] op_sel:[0,1]
	v_mul_f64 v[4:5], v[208:209], v[76:77]
	v_fmac_f64_e32 v[4:5], v[210:211], v[82:83]
	v_add_f64 v[2:3], v[2:3], v[4:5]
	v_mul_f64 v[4:5], v[216:217], v[84:85]
	v_fmac_f64_e32 v[4:5], v[218:219], v[252:253]
	v_add_f64 v[2:3], v[2:3], v[4:5]
	;; [unrolled: 3-line block ×9, first 2 shown]
	v_add_f64 v[10:11], v[6:7], v[8:9]
	v_add_f64 v[14:15], v[10:11], v[12:13]
	;; [unrolled: 1-line block ×6, first 2 shown]
	ds_read_b128 v[26:29], v190 offset:1680
	s_waitcnt lgkmcnt(1)
	v_mul_f64 v[32:33], v[118:119], v[150:151]
	v_fmac_f64_e32 v[32:33], v[120:121], v[152:153]
	v_add_f64 v[34:35], v[30:31], v[32:33]
	ds_read_b128 v[30:33], v190 offset:1696
	s_waitcnt lgkmcnt(1)
	v_mul_f64 v[36:37], v[26:27], v[162:163]
	v_fmac_f64_e32 v[36:37], v[28:29], v[164:165]
	v_add_f64 v[162:163], v[34:35], v[36:37]
	ds_read_b128 v[34:37], v190 offset:1712
	s_waitcnt lgkmcnt(1)
	v_mul_f64 v[4:5], v[30:31], v[154:155]
	v_fmac_f64_e32 v[4:5], v[32:33], v[156:157]
	v_fma_f64 v[18:19], v[106:107], v[38:39], -v[40:41]
	ds_read_b128 v[38:41], v190 offset:1728
	v_add_f64 v[4:5], v[162:163], v[4:5]
	buffer_load_dword v163, off, s[0:3], 0 offset:764
	buffer_load_dword v162, off, s[0:3], 0 offset:760
	;; [unrolled: 1-line block ×4, first 2 shown]
	s_waitcnt lgkmcnt(1)
	v_mul_f64 v[106:107], v[34:35], v[166:167]
	v_fmac_f64_e32 v[106:107], v[36:37], v[168:169]
	buffer_load_dword v22, off, s[0:3], 0 offset:776
	buffer_load_dword v168, off, s[0:3], 0 offset:768
	;; [unrolled: 1-line block ×4, first 2 shown]
	v_fma_f64 v[166:167], v[110:111], v[44:45], -v[46:47]
	v_fma_f64 v[110:111], v[170:171], v[174:175], -v[42:43]
	buffer_load_dword v171, off, s[0:3], 0 offset:812
	buffer_load_dword v173, off, s[0:3], 0 offset:796
	buffer_load_dword v172, off, s[0:3], 0 offset:792
	buffer_load_dword v179, off, s[0:3], 0 offset:788
	buffer_load_dword v178, off, s[0:3], 0 offset:784
	buffer_load_dword v170, off, s[0:3], 0 offset:808
	buffer_load_dword v177, off, s[0:3], 0 offset:804
	buffer_load_dword v176, off, s[0:3], 0 offset:800
	v_mul_f64 v[46:47], v[182:183], v[48:49]
	ds_read_b128 v[42:45], v190 offset:1744
	v_fma_f64 v[112:113], v[180:181], v[50:51], -v[46:47]
	buffer_load_dword v174, off, s[0:3], 0 offset:840
	buffer_load_dword v181, off, s[0:3], 0 offset:828
	;; [unrolled: 1-line block ×5, first 2 shown]
	v_mul_f64 v[46:47], v[186:187], v[188:189]
	v_fma_f64 v[14:15], v[184:185], v[212:213], -v[46:47]
	buffer_load_dword v184, off, s[0:3], 0 offset:832
	buffer_load_dword v175, off, s[0:3], 0 offset:844
	;; [unrolled: 1-line block ×7, first 2 shown]
	v_mul_f64 v[8:9], v[194:195], v[56:57]
	v_mul_f64 v[46:47], v[198:199], v[66:67]
	v_fma_f64 v[10:11], v[192:193], v[54:55], -v[8:9]
	v_fma_f64 v[8:9], v[196:197], v[68:69], -v[46:47]
	buffer_load_dword v194, off, s[0:3], 0 offset:872
	buffer_load_dword v196, off, s[0:3], 0 offset:864
	;; [unrolled: 1-line block ×4, first 2 shown]
	v_mul_f64 v[12:13], v[202:203], v[64:65]
	v_fma_f64 v[12:13], v[200:201], v[62:63], -v[12:13]
	buffer_load_dword v193, off, s[0:3], 0 offset:908
	buffer_load_dword v199, off, s[0:3], 0 offset:892
	;; [unrolled: 1-line block ×8, first 2 shown]
	ds_read_b128 v[46:49], v190 offset:1760
	v_fma_f64 v[6:7], v[204:205], v[96:97], -v[52:53]
	buffer_load_dword v205, off, s[0:3], 0 offset:924
	buffer_load_dword v204, off, s[0:3], 0 offset:920
	;; [unrolled: 1-line block ×4, first 2 shown]
	v_add_f64 v[4:5], v[4:5], v[106:107]
	s_waitcnt vmcnt(46) lgkmcnt(2)
	v_mul_f64 v[106:107], v[38:39], v[158:159]
	v_accvgpr_write_b32 a217, v215
	v_mul_f64 v[16:17], v[210:211], v[76:77]
	s_waitcnt vmcnt(44)
	v_fmac_f64_e32 v[106:107], v[40:41], v[160:161]
	s_waitcnt lgkmcnt(1)
	v_mul_f64 v[50:51], v[42:43], v[214:215]
	v_accvgpr_write_b32 a216, v214
	v_fma_f64 v[16:17], v[208:209], v[82:83], -v[16:17]
	buffer_load_dword v208, off, s[0:3], 0 offset:936
	buffer_load_dword v210, off, s[0:3], 0 offset:928
	;; [unrolled: 1-line block ×8, first 2 shown]
	v_add_f64 v[106:107], v[4:5], v[106:107]
	v_fmac_f64_e32 v[50:51], v[44:45], v[144:145]
	v_mul_f64 v[52:53], v[218:219], v[84:85]
	v_add_f64 v[50:51], v[106:107], v[50:51]
	v_fma_f64 v[106:107], v[216:217], v[252:253], -v[52:53]
	buffer_load_dword v216, off, s[0:3], 0 offset:968
	buffer_load_dword v218, off, s[0:3], 0 offset:960
	;; [unrolled: 1-line block ×4, first 2 shown]
	v_mul_f64 v[54:55], v[222:223], v[78:79]
	v_fma_f64 v[252:253], v[220:221], v[80:81], -v[54:55]
	v_fma_f64 v[254:255], v[224:225], v[58:59], -v[60:61]
	ds_read_b128 v[58:61], v190 offset:1808
	v_mul_f64 v[66:67], v[230:231], v[102:103]
	v_fma_f64 v[220:221], v[228:229], v[104:105], -v[66:67]
	ds_read_b128 v[66:69], v190 offset:1840
	v_mul_f64 v[70:71], v[234:235], v[70:71]
	ds_read_b128 v[54:57], v190 offset:1792
	v_fma_f64 v[4:5], v[232:233], v[72:73], -v[70:71]
	v_mul_f64 v[78:79], v[238:239], v[86:87]
	v_fma_f64 v[232:233], v[236:237], v[88:89], -v[78:79]
	v_mul_f64 v[82:83], v[242:243], v[98:99]
	v_fma_f64 v[2:3], v[240:241], v[100:101], -v[82:83]
	ds_read_b128 v[82:85], v190 offset:1904
	v_add_f64 v[18:19], v[18:19], 0
	v_add_f64 v[18:19], v[18:19], v[166:167]
	v_add_f64 v[18:19], v[18:19], v[108:109]
	v_add_f64 v[18:19], v[18:19], v[110:111]
	ds_read_b128 v[70:73], v190 offset:1856
	v_add_f64 v[18:19], v[18:19], v[112:113]
	v_add_f64 v[14:15], v[18:19], v[14:15]
	;; [unrolled: 1-line block ×10, first 2 shown]
	ds_read_b128 v[78:81], v190 offset:1888
	v_add_f64 v[6:7], v[6:7], v[220:221]
	v_add_f64 v[4:5], v[6:7], v[4:5]
	;; [unrolled: 1-line block ×4, first 2 shown]
	v_accvgpr_read_b32 v4, a194
	v_accvgpr_read_b32 v5, a195
	s_waitcnt vmcnt(54) lgkmcnt(6)
	v_mul_f64 v[52:53], v[46:47], v[162:163]
	v_accvgpr_read_b32 v6, a196
	s_waitcnt vmcnt(52)
	v_fmac_f64_e32 v[52:53], v[48:49], v[164:165]
	v_add_f64 v[62:63], v[50:51], v[52:53]
	ds_read_b128 v[50:53], v190 offset:1776
	ds_read_b128 v[94:97], v190 offset:1952
	v_mul_f64 v[4:5], v[140:141], v[4:5]
	v_accvgpr_read_b32 v7, a197
	v_fma_f64 v[4:5], v[138:139], v[6:7], -v[4:5]
	s_waitcnt vmcnt(49) lgkmcnt(1)
	v_mul_f64 v[64:65], v[50:51], v[22:23]
	s_waitcnt vmcnt(48)
	v_fmac_f64_e32 v[64:65], v[52:53], v[168:169]
	v_add_f64 v[62:63], v[62:63], v[64:65]
	s_waitcnt vmcnt(45)
	v_mul_f64 v[64:65], v[54:55], v[172:173]
	s_waitcnt vmcnt(43)
	v_fmac_f64_e32 v[64:65], v[56:57], v[178:179]
	v_add_f64 v[62:63], v[62:63], v[64:65]
	s_waitcnt vmcnt(42)
	v_mul_f64 v[64:65], v[58:59], v[170:171]
	s_waitcnt vmcnt(40)
	v_fmac_f64_e32 v[64:65], v[60:61], v[176:177]
	v_add_f64 v[74:75], v[62:63], v[64:65]
	ds_read_b128 v[62:65], v190 offset:1824
	s_waitcnt vmcnt(21)
	v_mul_f64 v[24:25], v[78:79], v[198:199]
	v_accvgpr_read_b32 v6, a202
	s_waitcnt vmcnt(19)
	v_fmac_f64_e32 v[24:25], v[80:81], v[202:203]
	v_accvgpr_read_b32 v7, a203
	s_waitcnt lgkmcnt(0)
	v_mul_f64 v[76:77], v[62:63], v[180:181]
	v_fmac_f64_e32 v[76:77], v[64:65], v[182:183]
	v_add_f64 v[20:21], v[74:75], v[76:77]
	v_mul_f64 v[74:75], v[66:67], v[174:175]
	v_fmac_f64_e32 v[74:75], v[68:69], v[184:185]
	v_add_f64 v[20:21], v[20:21], v[74:75]
	;; [unrolled: 3-line block ×3, first 2 shown]
	ds_read_b128 v[74:77], v190 offset:1872
	s_waitcnt lgkmcnt(0)
	v_mul_f64 v[86:87], v[74:75], v[194:195]
	v_fmac_f64_e32 v[86:87], v[76:77], v[196:197]
	v_add_f64 v[20:21], v[20:21], v[86:87]
	v_add_f64 v[20:21], v[20:21], v[24:25]
	ds_read_b128 v[86:89], v190 offset:1920
	s_waitcnt vmcnt(18)
	v_mul_f64 v[24:25], v[82:83], v[192:193]
	s_waitcnt vmcnt(16)
	v_fmac_f64_e32 v[24:25], v[84:85], v[200:201]
	v_add_f64 v[20:21], v[20:21], v[24:25]
	v_mul_f64 v[24:25], v[246:247], v[90:91]
	v_fma_f64 v[24:25], v[244:245], v[92:93], -v[24:25]
	ds_read_b128 v[90:93], v190 offset:1936
	s_waitcnt vmcnt(14) lgkmcnt(1)
	v_mul_f64 v[98:99], v[86:87], v[204:205]
	s_waitcnt vmcnt(12)
	v_fmac_f64_e32 v[98:99], v[88:89], v[206:207]
	v_add_f64 v[0:1], v[20:21], v[98:99]
	ds_read_b128 v[98:101], v190 offset:1968
	s_waitcnt vmcnt(9) lgkmcnt(1)
	v_mul_f64 v[20:21], v[90:91], v[208:209]
	s_waitcnt vmcnt(8)
	v_fmac_f64_e32 v[20:21], v[92:93], v[210:211]
	v_add_f64 v[0:1], v[0:1], v[20:21]
	s_waitcnt vmcnt(6)
	v_mul_f64 v[20:21], v[94:95], v[212:213]
	s_waitcnt vmcnt(4)
	v_fmac_f64_e32 v[20:21], v[96:97], v[214:215]
	v_add_f64 v[0:1], v[0:1], v[20:21]
	s_waitcnt vmcnt(1) lgkmcnt(0)
	v_mul_f64 v[20:21], v[98:99], v[216:217]
	s_waitcnt vmcnt(0)
	v_fmac_f64_e32 v[20:21], v[100:101], v[218:219]
	v_add_f64 v[20:21], v[0:1], v[20:21]
	buffer_load_dword v1, off, s[0:3], 0 offset:988
	buffer_load_dword v0, off, s[0:3], 0 offset:984
	buffer_load_dword v223, off, s[0:3], 0 offset:980
	buffer_load_dword v222, off, s[0:3], 0 offset:976
	ds_read_b128 v[102:105], v190 offset:1984
	buffer_load_dword v224, off, s[0:3], 0 offset:1000
	buffer_load_dword v225, off, s[0:3], 0 offset:1004
	buffer_load_dword v226, off, s[0:3], 0 offset:992
	buffer_load_dword v227, off, s[0:3], 0 offset:996
	ds_read_b128 v[238:241], v190 offset:2000
	;; [unrolled: 5-line block ×3, first 2 shown]
	buffer_load_dword v234, off, s[0:3], 0 offset:1032
	buffer_load_dword v235, off, s[0:3], 0 offset:1036
	;; [unrolled: 1-line block ×4, first 2 shown]
	v_add_f64 v[252:253], v[2:3], v[24:25]
	v_add_f64 v[2:3], v[252:253], v[250:251]
	;; [unrolled: 1-line block ×3, first 2 shown]
	v_accvgpr_read_b32 v4, a198
	v_accvgpr_read_b32 v5, a199
	v_mul_f64 v[4:5], v[136:137], v[4:5]
	v_fma_f64 v[4:5], v[134:135], v[142:143], -v[4:5]
	v_add_f64 v[2:3], v[2:3], v[4:5]
	v_accvgpr_read_b32 v4, a200
	v_accvgpr_read_b32 v5, a201
	v_mul_f64 v[4:5], v[132:133], v[4:5]
	v_fma_f64 v[4:5], v[130:131], v[6:7], -v[4:5]
	v_add_f64 v[2:3], v[2:3], v[4:5]
	v_mul_f64 v[4:5], v[128:129], v[146:147]
	v_fma_f64 v[4:5], v[126:127], v[148:149], -v[4:5]
	v_add_f64 v[2:3], v[2:3], v[4:5]
	v_accvgpr_read_b32 v4, a204
	v_accvgpr_read_b32 v5, a205
	v_accvgpr_read_b32 v6, a206
	v_mul_f64 v[4:5], v[124:125], v[4:5]
	v_accvgpr_read_b32 v7, a207
	v_fma_f64 v[4:5], v[122:123], v[6:7], -v[4:5]
	v_add_f64 v[2:3], v[2:3], v[4:5]
	v_mul_f64 v[4:5], v[120:121], v[150:151]
	v_fma_f64 v[4:5], v[118:119], v[152:153], -v[4:5]
	v_add_f64 v[2:3], v[2:3], v[4:5]
	v_accvgpr_read_b32 v4, a208
	v_accvgpr_read_b32 v5, a209
	v_accvgpr_read_b32 v6, a210
	v_mul_f64 v[4:5], v[28:29], v[4:5]
	v_accvgpr_read_b32 v7, a211
	;; [unrolled: 10-line block ×3, first 2 shown]
	v_fma_f64 v[4:5], v[34:35], v[6:7], -v[4:5]
	v_add_f64 v[2:3], v[2:3], v[4:5]
	v_mul_f64 v[4:5], v[40:41], v[158:159]
	v_fma_f64 v[4:5], v[38:39], v[160:161], -v[4:5]
	v_add_f64 v[2:3], v[2:3], v[4:5]
	v_accvgpr_read_b32 v4, a216
	v_accvgpr_read_b32 v5, a217
	v_mul_f64 v[4:5], v[44:45], v[4:5]
	v_fma_f64 v[4:5], v[42:43], v[144:145], -v[4:5]
	v_add_f64 v[2:3], v[2:3], v[4:5]
	v_mul_f64 v[4:5], v[48:49], v[162:163]
	v_fma_f64 v[4:5], v[46:47], v[164:165], -v[4:5]
	v_add_f64 v[2:3], v[2:3], v[4:5]
	v_mul_f64 v[4:5], v[52:53], v[22:23]
	v_fma_f64 v[4:5], v[50:51], v[168:169], -v[4:5]
	v_add_f64 v[2:3], v[2:3], v[4:5]
	v_mul_f64 v[4:5], v[56:57], v[172:173]
	v_fma_f64 v[4:5], v[54:55], v[178:179], -v[4:5]
	v_add_f64 v[2:3], v[2:3], v[4:5]
	v_mul_f64 v[4:5], v[60:61], v[170:171]
	v_fma_f64 v[4:5], v[58:59], v[176:177], -v[4:5]
	v_add_f64 v[2:3], v[2:3], v[4:5]
	v_mul_f64 v[4:5], v[64:65], v[180:181]
	v_fma_f64 v[4:5], v[62:63], v[182:183], -v[4:5]
	v_add_f64 v[2:3], v[2:3], v[4:5]
	v_mul_f64 v[4:5], v[68:69], v[174:175]
	v_fma_f64 v[4:5], v[66:67], v[184:185], -v[4:5]
	v_add_f64 v[2:3], v[2:3], v[4:5]
	v_mul_f64 v[4:5], v[72:73], v[186:187]
	v_fma_f64 v[4:5], v[70:71], v[188:189], -v[4:5]
	s_waitcnt vmcnt(14) lgkmcnt(2)
	v_mul_f64 v[114:115], v[102:103], v[0:1]
	v_add_f64 v[2:3], v[2:3], v[4:5]
	s_waitcnt vmcnt(12)
	v_fmac_f64_e32 v[114:115], v[104:105], v[222:223]
	v_add_f64 v[20:21], v[20:21], v[114:115]
	s_waitcnt vmcnt(10) lgkmcnt(1)
	v_mul_f64 v[114:115], v[238:239], v[224:225]
	s_waitcnt vmcnt(8)
	v_fmac_f64_e32 v[114:115], v[240:241], v[226:227]
	v_add_f64 v[20:21], v[20:21], v[114:115]
	s_waitcnt vmcnt(6) lgkmcnt(0)
	v_mul_f64 v[114:115], v[242:243], v[228:229]
	s_waitcnt vmcnt(4)
	v_fmac_f64_e32 v[114:115], v[244:245], v[230:231]
	v_add_f64 v[20:21], v[20:21], v[114:115]
	ds_read_b128 v[114:117], v190 offset:2032
	buffer_load_dword v248, off, s[0:3], 0 offset:240
	buffer_load_dword v249, off, s[0:3], 0 offset:244
	v_mul_f64 v[4:5], v[76:77], v[194:195]
	v_fma_f64 v[4:5], v[74:75], v[196:197], -v[4:5]
	v_add_f64 v[2:3], v[2:3], v[4:5]
	s_waitcnt vmcnt(4) lgkmcnt(0)
	v_mul_f64 v[246:247], v[114:115], v[234:235]
	s_waitcnt vmcnt(2)
	v_fmac_f64_e32 v[246:247], v[116:117], v[236:237]
	v_add_f64 v[20:21], v[20:21], v[246:247]
	buffer_load_dword v246, off, s[0:3], 0 offset:248
	buffer_load_dword v247, off, s[0:3], 0 offset:252
	v_mul_f64 v[4:5], v[80:81], v[198:199]
	v_fma_f64 v[4:5], v[78:79], v[202:203], -v[4:5]
	v_add_f64 v[2:3], v[2:3], v[4:5]
	v_mul_f64 v[4:5], v[84:85], v[192:193]
	v_fma_f64 v[4:5], v[82:83], v[200:201], -v[4:5]
	v_add_f64 v[2:3], v[2:3], v[4:5]
	;; [unrolled: 3-line block ×5, first 2 shown]
	v_mul_f64 v[4:5], v[100:101], v[216:217]
	v_fma_f64 v[4:5], v[98:99], v[218:219], -v[4:5]
	v_mul_f64 v[0:1], v[104:105], v[0:1]
	v_add_f64 v[2:3], v[2:3], v[4:5]
	v_fma_f64 v[0:1], v[102:103], v[222:223], -v[0:1]
	v_add_f64 v[0:1], v[2:3], v[0:1]
	v_mul_f64 v[2:3], v[240:241], v[224:225]
	v_fma_f64 v[2:3], v[238:239], v[226:227], -v[2:3]
	v_add_f64 v[0:1], v[0:1], v[2:3]
	v_mul_f64 v[2:3], v[244:245], v[228:229]
	;; [unrolled: 3-line block ×3, first 2 shown]
	v_fma_f64 v[2:3], v[114:115], v[236:237], -v[2:3]
	v_add_f64 v[0:1], v[0:1], v[2:3]
	s_waitcnt vmcnt(2)
	v_add_f64 v[0:1], v[248:249], -v[0:1]
	s_waitcnt vmcnt(0)
	v_add_f64 v[2:3], v[246:247], -v[20:21]
	buffer_store_dword v1, off, s[0:3], 0 offset:244
	buffer_store_dword v0, off, s[0:3], 0 offset:240
	;; [unrolled: 1-line block ×4, first 2 shown]
	v_accvgpr_read_b32 v0, a191
	v_cmp_lt_u32_e32 vcc, 13, v0
	s_and_saveexec_b64 s[4:5], vcc
	s_cbranch_execz .LBB63_383
; %bb.382:
	v_accvgpr_read_b32 v3, a178
	buffer_load_dword v0, v3, s[0:3], 0 offen
	buffer_load_dword v1, v3, s[0:3], 0 offen offset:4
	buffer_load_dword v2, v3, s[0:3], 0 offen offset:8
	s_nop 0
	buffer_load_dword v3, v3, s[0:3], 0 offen offset:12
	v_accvgpr_read_b32 v4, a192
	buffer_store_dword v190, off, s[0:3], 0 offset:224
	buffer_store_dword v190, off, s[0:3], 0 offset:228
	;; [unrolled: 1-line block ×4, first 2 shown]
	s_waitcnt vmcnt(4)
	ds_write_b128 v4, v[0:3]
.LBB63_383:
	s_or_b64 exec, exec, s[4:5]
	s_waitcnt lgkmcnt(0)
	; wave barrier
	s_waitcnt lgkmcnt(0)
	buffer_load_dword v174, off, s[0:3], 0 offset:240
	buffer_load_dword v175, off, s[0:3], 0 offset:244
	;; [unrolled: 1-line block ×42, first 2 shown]
	ds_read_b128 v[42:45], v190 offset:1248
	ds_read_b128 v[106:109], v190 offset:1264
	;; [unrolled: 1-line block ×10, first 2 shown]
	buffer_load_dword v201, off, s[0:3], 0 offset:388
	buffer_load_dword v200, off, s[0:3], 0 offset:384
	ds_read_b128 v[46:49], v190 offset:1408
	buffer_load_dword v85, off, s[0:3], 0 offset:444
	buffer_load_dword v84, off, s[0:3], 0 offset:440
	;; [unrolled: 1-line block ×6, first 2 shown]
	s_waitcnt vmcnt(46) lgkmcnt(10)
	v_mul_f64 v[0:1], v[42:43], v[36:37]
	v_fmac_f64_e32 v[0:1], v[44:45], v[174:175]
	v_add_f64 v[0:1], v[0:1], 0
	v_mul_f64 v[36:37], v[44:45], v[36:37]
	s_waitcnt vmcnt(42) lgkmcnt(9)
	v_mul_f64 v[2:3], v[106:107], v[40:41]
	v_fmac_f64_e32 v[2:3], v[108:109], v[38:39]
	s_waitcnt vmcnt(40) lgkmcnt(8)
	v_mul_f64 v[4:5], v[110:111], v[158:159]
	v_add_f64 v[0:1], v[0:1], v[2:3]
	s_waitcnt vmcnt(38) lgkmcnt(6)
	v_mul_f64 v[8:9], v[168:169], v[172:173]
	v_mul_f64 v[40:41], v[108:109], v[40:41]
	s_waitcnt vmcnt(36)
	v_fmac_f64_e32 v[8:9], v[170:171], v[54:55]
	v_fma_f64 v[106:107], v[106:107], v[38:39], -v[40:41]
	s_waitcnt vmcnt(34)
	v_mul_f64 v[6:7], v[114:115], v[56:57]
	v_mul_f64 v[108:109], v[112:113], v[158:159]
	s_waitcnt vmcnt(32) lgkmcnt(4)
	v_mul_f64 v[12:13], v[182:183], v[58:59]
	v_mul_f64 v[56:57], v[116:117], v[56:57]
	s_waitcnt vmcnt(30)
	v_fmac_f64_e32 v[12:13], v[184:185], v[60:61]
	s_waitcnt vmcnt(28)
	v_mul_f64 v[10:11], v[178:179], v[202:203]
	s_waitcnt vmcnt(26) lgkmcnt(2)
	v_mul_f64 v[16:17], v[192:193], v[212:213]
	s_waitcnt vmcnt(23)
	v_mul_f64 v[14:15], v[186:187], v[70:71]
	s_waitcnt vmcnt(21) lgkmcnt(1)
	v_mul_f64 v[18:19], v[196:197], v[68:69]
	s_waitcnt vmcnt(19)
	v_fmac_f64_e32 v[4:5], v[112:113], v[78:79]
	v_add_f64 v[0:1], v[0:1], v[4:5]
	s_waitcnt vmcnt(17)
	v_fmac_f64_e32 v[6:7], v[116:117], v[76:77]
	v_add_f64 v[0:1], v[0:1], v[6:7]
	s_waitcnt vmcnt(15)
	v_fmac_f64_e32 v[10:11], v[180:181], v[74:75]
	v_add_f64 v[0:1], v[0:1], v[8:9]
	v_add_f64 v[0:1], v[0:1], v[10:11]
	s_waitcnt vmcnt(13)
	v_fmac_f64_e32 v[14:15], v[188:189], v[72:73]
	v_add_f64 v[0:1], v[0:1], v[12:13]
	s_waitcnt vmcnt(12)
	v_fmac_f64_e32 v[16:17], v[194:195], v[66:67]
	v_add_f64 v[0:1], v[0:1], v[14:15]
	v_add_f64 v[2:3], v[0:1], v[16:17]
	buffer_load_dword v211, off, s[0:3], 0 offset:420
	buffer_load_dword v210, off, s[0:3], 0 offset:416
	;; [unrolled: 1-line block ×36, first 2 shown]
	s_waitcnt vmcnt(42)
	v_fmac_f64_e32 v[18:19], v[198:199], v[200:201]
	v_add_f64 v[2:3], v[2:3], v[18:19]
	v_fma_f64 v[108:109], v[110:111], v[78:79], -v[108:109]
	v_fma_f64 v[110:111], v[114:115], v[76:77], -v[56:57]
	v_mul_f64 v[56:57], v[170:171], v[172:173]
	v_fma_f64 v[112:113], v[168:169], v[54:55], -v[56:57]
	v_mul_f64 v[54:55], v[180:181], v[202:203]
	v_mul_f64 v[56:57], v[188:189], v[70:71]
	s_waitcnt vmcnt(0)
	v_pk_mov_b32 v[20:21], v[4:5], v[4:5] op_sel:[0,1]
	buffer_load_dword v5, off, s[0:3], 0 offset:596
	buffer_load_dword v4, off, s[0:3], 0 offset:592
	v_accvgpr_write_b32 a199, v21
	v_accvgpr_write_b32 a198, v20
	s_waitcnt vmcnt(0)
	v_pk_mov_b32 v[22:23], v[4:5], v[4:5] op_sel:[0,1]
	buffer_load_dword v5, off, s[0:3], 0 offset:588
	buffer_load_dword v4, off, s[0:3], 0 offset:584
	v_accvgpr_write_b32 a201, v23
	v_accvgpr_write_b32 a200, v22
	s_waitcnt vmcnt(0)
	v_pk_mov_b32 v[14:15], v[4:5], v[4:5] op_sel:[0,1]
	buffer_load_dword v5, off, s[0:3], 0 offset:580
	buffer_load_dword v4, off, s[0:3], 0 offset:576
	v_accvgpr_write_b32 a195, v15
	v_accvgpr_write_b32 a194, v14
	s_waitcnt vmcnt(0)
	v_pk_mov_b32 v[16:17], v[4:5], v[4:5] op_sel:[0,1]
	buffer_load_dword v5, off, s[0:3], 0 offset:636
	buffer_load_dword v4, off, s[0:3], 0 offset:632
	v_accvgpr_write_b32 a197, v17
	v_accvgpr_write_b32 a196, v16
	s_waitcnt vmcnt(0)
	v_pk_mov_b32 v[26:27], v[4:5], v[4:5] op_sel:[0,1]
	buffer_load_dword v5, off, s[0:3], 0 offset:628
	buffer_load_dword v4, off, s[0:3], 0 offset:624
	v_accvgpr_write_b32 a207, v27
	v_accvgpr_write_b32 a206, v26
	s_waitcnt vmcnt(0)
	v_pk_mov_b32 v[28:29], v[4:5], v[4:5] op_sel:[0,1]
	buffer_load_dword v5, off, s[0:3], 0 offset:620
	buffer_load_dword v4, off, s[0:3], 0 offset:616
	v_accvgpr_write_b32 a209, v29
	v_accvgpr_write_b32 a208, v28
	s_waitcnt vmcnt(0)
	v_pk_mov_b32 v[24:25], v[4:5], v[4:5] op_sel:[0,1]
	buffer_load_dword v5, off, s[0:3], 0 offset:612
	buffer_load_dword v4, off, s[0:3], 0 offset:608
	v_accvgpr_write_b32 a203, v25
	v_accvgpr_write_b32 a202, v24
	s_waitcnt vmcnt(0)
	v_pk_mov_b32 v[30:31], v[4:5], v[4:5] op_sel:[0,1]
	buffer_load_dword v5, off, s[0:3], 0 offset:668
	buffer_load_dword v4, off, s[0:3], 0 offset:664
	v_accvgpr_write_b32 a205, v31
	v_accvgpr_write_b32 a204, v30
	s_waitcnt vmcnt(0)
	v_pk_mov_b32 v[160:161], v[4:5], v[4:5] op_sel:[0,1]
	buffer_load_dword v5, off, s[0:3], 0 offset:660
	buffer_load_dword v4, off, s[0:3], 0 offset:656
	v_accvgpr_write_b32 a211, v161
	v_accvgpr_write_b32 a210, v160
	s_waitcnt vmcnt(0)
	v_pk_mov_b32 v[162:163], v[4:5], v[4:5] op_sel:[0,1]
	buffer_load_dword v147, off, s[0:3], 0 offset:652
	buffer_load_dword v146, off, s[0:3], 0 offset:648
	;; [unrolled: 1-line block ×6, first 2 shown]
	v_accvgpr_write_b32 a213, v163
	v_accvgpr_write_b32 a212, v162
	s_waitcnt vmcnt(0)
	v_pk_mov_b32 v[164:165], v[4:5], v[4:5] op_sel:[0,1]
	buffer_load_dword v5, off, s[0:3], 0 offset:692
	buffer_load_dword v4, off, s[0:3], 0 offset:688
	s_waitcnt vmcnt(0)
	v_pk_mov_b32 v[166:167], v[4:5], v[4:5] op_sel:[0,1]
	buffer_load_dword v151, off, s[0:3], 0 offset:684
	buffer_load_dword v150, off, s[0:3], 0 offset:680
	;; [unrolled: 1-line block ×12, first 2 shown]
	ds_read_b128 v[204:207], v190 offset:1424
	ds_read_b128 v[216:219], v190 offset:1440
	;; [unrolled: 1-line block ×14, first 2 shown]
	s_waitcnt lgkmcnt(4)
	v_mul_f64 v[8:9], v[252:253], v[94:95]
	ds_read_b128 v[126:129], v190 offset:1648
	ds_read_b128 v[122:125], v190 offset:1664
	v_fmac_f64_e32 v[8:9], v[254:255], v[96:97]
	s_waitcnt lgkmcnt(5)
	v_mul_f64 v[12:13], v[142:143], v[14:15]
	v_fmac_f64_e32 v[12:13], v[144:145], v[16:17]
	s_waitcnt lgkmcnt(4)
	v_mul_f64 v[16:17], v[138:139], v[20:21]
	;; [unrolled: 3-line block ×6, first 2 shown]
	ds_read_b128 v[118:121], v190 offset:1680
	v_fmac_f64_e32 v[32:33], v[124:125], v[162:163]
	v_accvgpr_write_b32 a215, v167
	v_accvgpr_write_b32 a214, v166
	v_mul_f64 v[94:95], v[254:255], v[94:95]
	v_fma_f64 v[252:253], v[252:253], v[96:97], -v[94:95]
	s_waitcnt vmcnt(6)
	v_pk_mov_b32 v[214:215], v[4:5], v[4:5] op_sel:[0,1]
	v_mul_f64 v[4:5], v[46:47], v[80:81]
	v_fmac_f64_e32 v[4:5], v[48:49], v[82:83]
	v_add_f64 v[2:3], v[2:3], v[4:5]
	v_mul_f64 v[4:5], v[204:205], v[208:209]
	v_fmac_f64_e32 v[4:5], v[206:207], v[210:211]
	v_add_f64 v[2:3], v[2:3], v[4:5]
	;; [unrolled: 3-line block ×10, first 2 shown]
	v_add_f64 v[10:11], v[6:7], v[8:9]
	v_add_f64 v[14:15], v[10:11], v[12:13]
	;; [unrolled: 1-line block ×7, first 2 shown]
	ds_read_b128 v[30:33], v190 offset:1696
	ds_read_b128 v[26:29], v190 offset:1712
	s_waitcnt lgkmcnt(2)
	v_mul_f64 v[4:5], v[118:119], v[150:151]
	v_fma_f64 v[22:23], v[42:43], v[174:175], -v[36:37]
	v_fmac_f64_e32 v[4:5], v[120:121], v[152:153]
	s_waitcnt lgkmcnt(1)
	v_mul_f64 v[42:43], v[30:31], v[164:165]
	v_add_f64 v[4:5], v[160:161], v[4:5]
	v_fmac_f64_e32 v[42:43], v[32:33], v[166:167]
	v_add_f64 v[4:5], v[4:5], v[42:43]
	s_waitcnt vmcnt(2) lgkmcnt(0)
	v_mul_f64 v[42:43], v[26:27], v[154:155]
	s_waitcnt vmcnt(0)
	v_fmac_f64_e32 v[42:43], v[28:29], v[156:157]
	v_pk_mov_b32 v[36:37], v[164:165], v[164:165] op_sel:[0,1]
	v_add_f64 v[4:5], v[4:5], v[42:43]
	ds_read_b128 v[42:45], v190 offset:1728
	ds_read_b128 v[38:41], v190 offset:1744
	buffer_load_dword v158, off, s[0:3], 0 offset:760
	buffer_load_dword v163, off, s[0:3], 0 offset:748
	;; [unrolled: 1-line block ×17, first 2 shown]
	v_fma_f64 v[18:19], v[178:179], v[74:75], -v[54:55]
	buffer_load_dword v170, off, s[0:3], 0 offset:816
	buffer_load_dword v179, off, s[0:3], 0 offset:812
	;; [unrolled: 1-line block ×7, first 2 shown]
	v_mul_f64 v[8:9], v[184:185], v[58:59]
	v_fma_f64 v[14:15], v[182:183], v[60:61], -v[8:9]
	buffer_load_dword v183, off, s[0:3], 0 offset:844
	buffer_load_dword v182, off, s[0:3], 0 offset:840
	;; [unrolled: 1-line block ×4, first 2 shown]
	v_mul_f64 v[12:13], v[194:195], v[212:213]
	buffer_load_dword v188, off, s[0:3], 0 offset:856
	v_fma_f64 v[12:13], v[192:193], v[66:67], -v[12:13]
	buffer_load_dword v192, off, s[0:3], 0 offset:848
	buffer_load_dword v189, off, s[0:3], 0 offset:860
	;; [unrolled: 1-line block ×3, first 2 shown]
	v_fma_f64 v[10:11], v[186:187], v[72:73], -v[56:57]
	v_mul_f64 v[56:57], v[198:199], v[68:69]
	v_fma_f64 v[8:9], v[196:197], v[200:201], -v[56:57]
	buffer_load_dword v187, off, s[0:3], 0 offset:892
	buffer_load_dword v195, off, s[0:3], 0 offset:876
	;; [unrolled: 1-line block ×12, first 2 shown]
	v_mul_f64 v[16:17], v[48:49], v[80:81]
	v_accvgpr_write_b32 a217, v215
	v_fma_f64 v[16:17], v[46:47], v[82:83], -v[16:17]
	v_mul_f64 v[46:47], v[206:207], v[208:209]
	s_waitcnt lgkmcnt(1)
	v_mul_f64 v[54:55], v[42:43], v[214:215]
	v_accvgpr_write_b32 a216, v214
	v_fma_f64 v[6:7], v[204:205], v[210:211], -v[46:47]
	buffer_load_dword v206, off, s[0:3], 0 offset:920
	buffer_load_dword v208, off, s[0:3], 0 offset:912
	;; [unrolled: 1-line block ×12, first 2 shown]
	v_mul_f64 v[20:21], v[218:219], v[84:85]
	v_fma_f64 v[20:21], v[216:217], v[86:87], -v[20:21]
	buffer_load_dword v217, off, s[0:3], 0 offset:972
	buffer_load_dword v216, off, s[0:3], 0 offset:968
	;; [unrolled: 1-line block ×4, first 2 shown]
	ds_read_b128 v[46:49], v190 offset:1760
	v_fmac_f64_e32 v[54:55], v[44:45], v[34:35]
	v_add_f64 v[4:5], v[4:5], v[54:55]
	v_mul_f64 v[50:51], v[222:223], v[50:51]
	v_fma_f64 v[220:221], v[220:221], v[52:53], -v[50:51]
	ds_read_b128 v[50:53], v190 offset:1776
	v_mul_f64 v[58:59], v[226:227], v[248:249]
	v_fma_f64 v[248:249], v[224:225], v[250:251], -v[58:59]
	v_mul_f64 v[62:63], v[230:231], v[62:63]
	v_fma_f64 v[250:251], v[228:229], v[64:65], -v[62:63]
	ds_read_b128 v[62:65], v190 offset:1824
	ds_read_b128 v[70:73], v190 offset:1856
	v_mul_f64 v[0:1], v[234:235], v[0:1]
	v_fma_f64 v[232:233], v[232:233], v[100:101], -v[0:1]
	ds_read_b128 v[78:81], v190 offset:1888
	ds_read_b128 v[82:85], v190 offset:1904
	;; [unrolled: 1-line block ×3, first 2 shown]
	v_add_f64 v[22:23], v[22:23], 0
	v_add_f64 v[22:23], v[22:23], v[106:107]
	;; [unrolled: 1-line block ×5, first 2 shown]
	ds_read_b128 v[58:61], v190 offset:1808
	v_add_f64 v[18:19], v[22:23], v[18:19]
	v_add_f64 v[14:15], v[18:19], v[14:15]
	;; [unrolled: 1-line block ×10, first 2 shown]
	ds_read_b128 v[74:77], v190 offset:1872
	v_add_f64 v[6:7], v[6:7], v[250:251]
	v_add_f64 v[6:7], v[6:7], v[232:233]
	s_waitcnt vmcnt(48) lgkmcnt(7)
	v_mul_f64 v[66:67], v[50:51], v[174:175]
	v_mul_f64 v[54:55], v[38:39], v[162:163]
	s_waitcnt vmcnt(46)
	v_fmac_f64_e32 v[66:67], v[52:53], v[176:177]
	v_fmac_f64_e32 v[54:55], v[40:41], v[164:165]
	v_add_f64 v[4:5], v[4:5], v[54:55]
	v_mul_f64 v[54:55], v[46:47], v[158:159]
	v_fmac_f64_e32 v[54:55], v[48:49], v[166:167]
	v_add_f64 v[4:5], v[4:5], v[54:55]
	ds_read_b128 v[54:57], v190 offset:1792
	v_add_f64 v[4:5], v[4:5], v[66:67]
	s_waitcnt lgkmcnt(0)
	v_mul_f64 v[66:67], v[54:55], v[160:161]
	s_waitcnt vmcnt(44)
	v_fmac_f64_e32 v[66:67], v[56:57], v[172:173]
	v_add_f64 v[4:5], v[4:5], v[66:67]
	s_waitcnt vmcnt(40)
	v_mul_f64 v[66:67], v[58:59], v[178:179]
	s_waitcnt vmcnt(38)
	v_fmac_f64_e32 v[66:67], v[60:61], v[180:181]
	v_add_f64 v[4:5], v[4:5], v[66:67]
	s_waitcnt vmcnt(37)
	v_mul_f64 v[66:67], v[62:63], v[168:169]
	s_waitcnt vmcnt(36)
	v_fmac_f64_e32 v[66:67], v[64:65], v[170:171]
	v_add_f64 v[4:5], v[4:5], v[66:67]
	ds_read_b128 v[66:69], v190 offset:1840
	s_waitcnt vmcnt(18)
	v_mul_f64 v[86:87], v[82:83], v[196:197]
	s_waitcnt vmcnt(16)
	v_fmac_f64_e32 v[86:87], v[84:85], v[202:203]
	s_waitcnt lgkmcnt(0)
	v_mul_f64 v[0:1], v[66:67], v[182:183]
	v_fmac_f64_e32 v[0:1], v[68:69], v[184:185]
	v_add_f64 v[0:1], v[4:5], v[0:1]
	v_mul_f64 v[4:5], v[238:239], v[102:103]
	v_fma_f64 v[2:3], v[236:237], v[104:105], -v[4:5]
	v_mul_f64 v[4:5], v[70:71], v[188:189]
	v_fmac_f64_e32 v[4:5], v[72:73], v[192:193]
	v_add_f64 v[0:1], v[0:1], v[4:5]
	v_mul_f64 v[4:5], v[242:243], v[88:89]
	v_fma_f64 v[24:25], v[240:241], v[92:93], -v[4:5]
	v_mul_f64 v[4:5], v[74:75], v[194:195]
	v_fmac_f64_e32 v[4:5], v[76:77], v[200:201]
	v_add_f64 v[0:1], v[0:1], v[4:5]
	v_mul_f64 v[4:5], v[78:79], v[186:187]
	v_fmac_f64_e32 v[4:5], v[80:81], v[198:199]
	v_add_f64 v[0:1], v[0:1], v[4:5]
	v_mul_f64 v[4:5], v[246:247], v[90:91]
	ds_read_b128 v[90:93], v190 offset:1920
	v_add_f64 v[0:1], v[0:1], v[86:87]
	ds_read_b128 v[86:89], v190 offset:1936
	v_fma_f64 v[4:5], v[244:245], v[98:99], -v[4:5]
	v_add_f64 v[2:3], v[6:7], v[2:3]
	s_waitcnt vmcnt(13) lgkmcnt(1)
	v_mul_f64 v[98:99], v[90:91], v[206:207]
	s_waitcnt vmcnt(12)
	v_fmac_f64_e32 v[98:99], v[92:93], v[208:209]
	v_add_f64 v[0:1], v[0:1], v[98:99]
	s_waitcnt vmcnt(9) lgkmcnt(0)
	v_mul_f64 v[98:99], v[86:87], v[212:213]
	s_waitcnt vmcnt(7)
	v_fmac_f64_e32 v[98:99], v[88:89], v[214:215]
	v_add_f64 v[0:1], v[0:1], v[98:99]
	s_waitcnt vmcnt(5)
	v_mul_f64 v[98:99], v[94:95], v[204:205]
	s_waitcnt vmcnt(4)
	v_fmac_f64_e32 v[98:99], v[96:97], v[210:211]
	v_add_f64 v[0:1], v[0:1], v[98:99]
	ds_read_b128 v[98:101], v190 offset:1968
	v_add_f64 v[254:255], v[2:3], v[24:25]
	v_add_f64 v[2:3], v[254:255], v[4:5]
	v_accvgpr_read_b32 v4, a194
	v_accvgpr_read_b32 v5, a195
	s_waitcnt vmcnt(2) lgkmcnt(0)
	v_mul_f64 v[102:103], v[98:99], v[216:217]
	s_waitcnt vmcnt(0)
	v_fmac_f64_e32 v[102:103], v[100:101], v[218:219]
	v_add_f64 v[114:115], v[0:1], v[102:103]
	buffer_load_dword v0, off, s[0:3], 0 offset:984
	buffer_load_dword v1, off, s[0:3], 0 offset:988
	buffer_load_dword v222, off, s[0:3], 0 offset:976
	buffer_load_dword v223, off, s[0:3], 0 offset:980
	ds_read_b128 v[102:105], v190 offset:1984
	buffer_load_dword v225, off, s[0:3], 0 offset:1004
	buffer_load_dword v224, off, s[0:3], 0 offset:1000
	buffer_load_dword v227, off, s[0:3], 0 offset:996
	buffer_load_dword v226, off, s[0:3], 0 offset:992
	ds_read_b128 v[238:241], v190 offset:2000
	;; [unrolled: 5-line block ×3, first 2 shown]
	buffer_load_dword v235, off, s[0:3], 0 offset:1036
	buffer_load_dword v234, off, s[0:3], 0 offset:1032
	;; [unrolled: 1-line block ×4, first 2 shown]
	v_accvgpr_read_b32 v6, a196
	v_mul_f64 v[4:5], v[144:145], v[4:5]
	v_accvgpr_read_b32 v7, a197
	v_add_f64 v[2:3], v[2:3], v[252:253]
	v_fma_f64 v[4:5], v[142:143], v[6:7], -v[4:5]
	v_add_f64 v[2:3], v[2:3], v[4:5]
	v_accvgpr_read_b32 v4, a198
	v_accvgpr_read_b32 v5, a199
	v_accvgpr_read_b32 v6, a200
	v_mul_f64 v[4:5], v[140:141], v[4:5]
	v_accvgpr_read_b32 v7, a201
	v_fma_f64 v[4:5], v[138:139], v[6:7], -v[4:5]
	v_add_f64 v[2:3], v[2:3], v[4:5]
	v_accvgpr_read_b32 v4, a202
	v_accvgpr_read_b32 v5, a203
	v_accvgpr_read_b32 v6, a204
	v_mul_f64 v[4:5], v[136:137], v[4:5]
	v_accvgpr_read_b32 v7, a205
	;; [unrolled: 7-line block ×3, first 2 shown]
	v_fma_f64 v[4:5], v[130:131], v[6:7], -v[4:5]
	v_add_f64 v[2:3], v[2:3], v[4:5]
	v_mul_f64 v[4:5], v[128:129], v[146:147]
	v_fma_f64 v[4:5], v[126:127], v[148:149], -v[4:5]
	v_add_f64 v[2:3], v[2:3], v[4:5]
	v_accvgpr_read_b32 v4, a210
	v_accvgpr_read_b32 v5, a211
	;; [unrolled: 1-line block ×3, first 2 shown]
	v_mul_f64 v[4:5], v[124:125], v[4:5]
	v_accvgpr_read_b32 v7, a213
	v_fma_f64 v[4:5], v[122:123], v[6:7], -v[4:5]
	v_add_f64 v[2:3], v[2:3], v[4:5]
	v_mul_f64 v[4:5], v[120:121], v[150:151]
	v_fma_f64 v[4:5], v[118:119], v[152:153], -v[4:5]
	v_accvgpr_read_b32 v6, a214
	v_add_f64 v[2:3], v[2:3], v[4:5]
	v_mul_f64 v[4:5], v[32:33], v[36:37]
	v_accvgpr_read_b32 v7, a215
	v_fma_f64 v[4:5], v[30:31], v[6:7], -v[4:5]
	v_add_f64 v[2:3], v[2:3], v[4:5]
	v_mul_f64 v[4:5], v[28:29], v[154:155]
	v_fma_f64 v[4:5], v[26:27], v[156:157], -v[4:5]
	v_add_f64 v[2:3], v[2:3], v[4:5]
	v_accvgpr_read_b32 v4, a216
	v_accvgpr_read_b32 v5, a217
	v_mul_f64 v[4:5], v[44:45], v[4:5]
	v_fma_f64 v[4:5], v[42:43], v[34:35], -v[4:5]
	v_add_f64 v[2:3], v[2:3], v[4:5]
	v_mul_f64 v[4:5], v[40:41], v[162:163]
	v_fma_f64 v[4:5], v[38:39], v[164:165], -v[4:5]
	v_add_f64 v[2:3], v[2:3], v[4:5]
	;; [unrolled: 3-line block ×7, first 2 shown]
	s_waitcnt vmcnt(14) lgkmcnt(2)
	v_mul_f64 v[116:117], v[102:103], v[0:1]
	v_mul_f64 v[4:5], v[68:69], v[182:183]
	s_waitcnt vmcnt(12)
	v_fmac_f64_e32 v[116:117], v[104:105], v[222:223]
	v_add_f64 v[114:115], v[114:115], v[116:117]
	s_waitcnt vmcnt(10) lgkmcnt(1)
	v_mul_f64 v[116:117], v[238:239], v[224:225]
	s_waitcnt vmcnt(8)
	v_fmac_f64_e32 v[116:117], v[240:241], v[226:227]
	v_add_f64 v[114:115], v[114:115], v[116:117]
	s_waitcnt vmcnt(6) lgkmcnt(0)
	v_mul_f64 v[116:117], v[242:243], v[228:229]
	s_waitcnt vmcnt(4)
	v_fmac_f64_e32 v[116:117], v[244:245], v[230:231]
	v_add_f64 v[246:247], v[114:115], v[116:117]
	ds_read_b128 v[114:117], v190 offset:2032
	v_fma_f64 v[4:5], v[66:67], v[184:185], -v[4:5]
	v_add_f64 v[2:3], v[2:3], v[4:5]
	v_mul_f64 v[4:5], v[72:73], v[188:189]
	v_fma_f64 v[4:5], v[70:71], v[192:193], -v[4:5]
	s_waitcnt vmcnt(2) lgkmcnt(0)
	v_mul_f64 v[190:191], v[114:115], v[234:235]
	s_waitcnt vmcnt(0)
	v_fmac_f64_e32 v[190:191], v[116:117], v[236:237]
	v_add_f64 v[190:191], v[246:247], v[190:191]
	buffer_load_dword v248, off, s[0:3], 0 offset:224
	buffer_load_dword v249, off, s[0:3], 0 offset:228
	;; [unrolled: 1-line block ×4, first 2 shown]
	v_add_f64 v[2:3], v[2:3], v[4:5]
	v_mul_f64 v[4:5], v[76:77], v[194:195]
	v_fma_f64 v[4:5], v[74:75], v[200:201], -v[4:5]
	v_add_f64 v[2:3], v[2:3], v[4:5]
	v_mul_f64 v[4:5], v[80:81], v[186:187]
	v_fma_f64 v[4:5], v[78:79], v[198:199], -v[4:5]
	v_add_f64 v[2:3], v[2:3], v[4:5]
	v_mul_f64 v[4:5], v[84:85], v[196:197]
	v_fma_f64 v[4:5], v[82:83], v[202:203], -v[4:5]
	v_add_f64 v[2:3], v[2:3], v[4:5]
	v_mul_f64 v[4:5], v[92:93], v[206:207]
	v_fma_f64 v[4:5], v[90:91], v[208:209], -v[4:5]
	v_add_f64 v[2:3], v[2:3], v[4:5]
	v_mul_f64 v[4:5], v[88:89], v[212:213]
	v_fma_f64 v[4:5], v[86:87], v[214:215], -v[4:5]
	v_add_f64 v[2:3], v[2:3], v[4:5]
	v_mul_f64 v[4:5], v[96:97], v[204:205]
	v_fma_f64 v[4:5], v[94:95], v[210:211], -v[4:5]
	v_add_f64 v[2:3], v[2:3], v[4:5]
	v_mul_f64 v[4:5], v[100:101], v[216:217]
	v_fma_f64 v[4:5], v[98:99], v[218:219], -v[4:5]
	v_mul_f64 v[0:1], v[104:105], v[0:1]
	v_add_f64 v[2:3], v[2:3], v[4:5]
	v_fma_f64 v[0:1], v[102:103], v[222:223], -v[0:1]
	v_add_f64 v[0:1], v[2:3], v[0:1]
	v_mul_f64 v[2:3], v[240:241], v[224:225]
	v_fma_f64 v[2:3], v[238:239], v[226:227], -v[2:3]
	v_add_f64 v[0:1], v[0:1], v[2:3]
	v_mul_f64 v[2:3], v[244:245], v[228:229]
	;; [unrolled: 3-line block ×3, first 2 shown]
	v_fma_f64 v[2:3], v[114:115], v[236:237], -v[2:3]
	v_add_f64 v[0:1], v[0:1], v[2:3]
	s_waitcnt vmcnt(2)
	v_add_f64 v[0:1], v[248:249], -v[0:1]
	s_waitcnt vmcnt(0)
	v_add_f64 v[2:3], v[246:247], -v[190:191]
	buffer_store_dword v1, off, s[0:3], 0 offset:228
	buffer_store_dword v0, off, s[0:3], 0 offset:224
	;; [unrolled: 1-line block ×4, first 2 shown]
	v_accvgpr_read_b32 v0, a191
	v_cmp_lt_u32_e32 vcc, 12, v0
	s_and_saveexec_b64 s[4:5], vcc
	s_cbranch_execz .LBB63_385
; %bb.384:
	v_accvgpr_read_b32 v3, a179
	buffer_load_dword v0, v3, s[0:3], 0 offen
	buffer_load_dword v1, v3, s[0:3], 0 offen offset:4
	buffer_load_dword v2, v3, s[0:3], 0 offen offset:8
	s_nop 0
	buffer_load_dword v3, v3, s[0:3], 0 offen offset:12
	v_mov_b32_e32 v4, 0
	v_accvgpr_read_b32 v5, a192
	buffer_store_dword v4, off, s[0:3], 0 offset:208
	buffer_store_dword v4, off, s[0:3], 0 offset:212
	;; [unrolled: 1-line block ×4, first 2 shown]
	s_waitcnt vmcnt(4)
	ds_write_b128 v5, v[0:3]
.LBB63_385:
	s_or_b64 exec, exec, s[4:5]
	s_waitcnt lgkmcnt(0)
	; wave barrier
	s_waitcnt lgkmcnt(0)
	buffer_load_dword v30, off, s[0:3], 0 offset:224
	buffer_load_dword v31, off, s[0:3], 0 offset:228
	;; [unrolled: 1-line block ×36, first 2 shown]
	v_mov_b32_e32 v142, 0
	buffer_load_dword v67, off, s[0:3], 0 offset:396
	buffer_load_dword v66, off, s[0:3], 0 offset:392
	;; [unrolled: 1-line block ×18, first 2 shown]
	ds_read_b128 v[112:115], v142 offset:1232
	ds_read_b128 v[156:159], v142 offset:1248
	;; [unrolled: 1-line block ×9, first 2 shown]
	s_waitcnt vmcnt(50) lgkmcnt(8)
	v_mul_f64 v[2:3], v[112:113], v[32:33]
	v_fmac_f64_e32 v[2:3], v[114:115], v[30:31]
	v_add_f64 v[2:3], v[2:3], 0
	v_mul_f64 v[32:33], v[114:115], v[32:33]
	s_waitcnt vmcnt(46) lgkmcnt(7)
	v_mul_f64 v[4:5], v[156:157], v[38:39]
	v_fmac_f64_e32 v[4:5], v[158:159], v[36:37]
	v_add_f64 v[2:3], v[2:3], v[4:5]
	buffer_load_dword v107, off, s[0:3], 0 offset:452
	buffer_load_dword v106, off, s[0:3], 0 offset:448
	;; [unrolled: 1-line block ×32, first 2 shown]
	s_waitcnt vmcnt(62) lgkmcnt(6)
	v_mul_f64 v[6:7], v[166:167], v[34:35]
	s_waitcnt lgkmcnt(4)
	v_mul_f64 v[10:11], v[174:175], v[40:41]
	v_fmac_f64_e32 v[10:11], v[176:177], v[42:43]
	v_mul_f64 v[38:39], v[158:159], v[38:39]
	v_mul_f64 v[8:9], v[170:171], v[44:45]
	v_fma_f64 v[210:211], v[156:157], v[36:37], -v[38:39]
	s_waitcnt lgkmcnt(2)
	v_mul_f64 v[14:15], v[182:183], v[48:49]
	v_mul_f64 v[34:35], v[168:169], v[34:35]
	v_fmac_f64_e32 v[14:15], v[184:185], v[50:51]
	v_mul_f64 v[12:13], v[178:179], v[56:57]
	s_waitcnt lgkmcnt(1)
	v_mul_f64 v[16:17], v[186:187], v[52:53]
	s_waitcnt vmcnt(60)
	v_fmac_f64_e32 v[6:7], v[168:169], v[62:63]
	v_add_f64 v[2:3], v[2:3], v[6:7]
	s_waitcnt vmcnt(58)
	v_fmac_f64_e32 v[8:9], v[172:173], v[60:61]
	v_add_f64 v[2:3], v[2:3], v[8:9]
	;; [unrolled: 3-line block ×3, first 2 shown]
	v_add_f64 v[2:3], v[2:3], v[12:13]
	v_add_f64 v[2:3], v[2:3], v[14:15]
	s_waitcnt vmcnt(54)
	v_fmac_f64_e32 v[16:17], v[188:189], v[54:55]
	v_add_f64 v[2:3], v[2:3], v[16:17]
	v_fma_f64 v[168:169], v[166:167], v[62:63], -v[34:35]
	v_mul_f64 v[34:35], v[172:173], v[44:45]
	v_fma_f64 v[212:213], v[170:171], v[60:61], -v[34:35]
	s_waitcnt vmcnt(0)
	v_pk_mov_b32 v[14:15], v[4:5], v[4:5] op_sel:[0,1]
	buffer_load_dword v5, off, s[0:3], 0 offset:580
	buffer_load_dword v4, off, s[0:3], 0 offset:576
	v_accvgpr_write_b32 a195, v15
	v_accvgpr_write_b32 a194, v14
	s_waitcnt vmcnt(0)
	v_pk_mov_b32 v[18:19], v[4:5], v[4:5] op_sel:[0,1]
	buffer_load_dword v95, off, s[0:3], 0 offset:572
	buffer_load_dword v94, off, s[0:3], 0 offset:568
	;; [unrolled: 1-line block ×6, first 2 shown]
	v_accvgpr_write_b32 a197, v19
	v_accvgpr_write_b32 a196, v18
	s_waitcnt vmcnt(0)
	v_pk_mov_b32 v[22:23], v[4:5], v[4:5] op_sel:[0,1]
	buffer_load_dword v5, off, s[0:3], 0 offset:612
	buffer_load_dword v4, off, s[0:3], 0 offset:608
	v_accvgpr_write_b32 a203, v23
	v_accvgpr_write_b32 a202, v22
	s_waitcnt vmcnt(0)
	v_pk_mov_b32 v[24:25], v[4:5], v[4:5] op_sel:[0,1]
	buffer_load_dword v5, off, s[0:3], 0 offset:604
	buffer_load_dword v4, off, s[0:3], 0 offset:600
	;; [unrolled: 6-line block ×11, first 2 shown]
	ds_read_b128 v[194:197], v142 offset:1376
	ds_read_b128 v[198:201], v142 offset:1392
	;; [unrolled: 1-line block ×8, first 2 shown]
	buffer_load_dword v239, off, s[0:3], 0 offset:716
	buffer_load_dword v153, off, s[0:3], 0 offset:700
	;; [unrolled: 1-line block ×8, first 2 shown]
	ds_read_b128 v[232:235], v142 offset:1504
	ds_read_b128 v[240:243], v142 offset:1520
	;; [unrolled: 1-line block ×10, first 2 shown]
	s_waitcnt lgkmcnt(5)
	v_mul_f64 v[8:9], v[252:253], v[94:95]
	v_fmac_f64_e32 v[8:9], v[254:255], v[96:97]
	s_waitcnt lgkmcnt(4)
	v_mul_f64 v[12:13], v[144:145], v[14:15]
	v_fmac_f64_e32 v[12:13], v[146:147], v[18:19]
	;; [unrolled: 3-line block ×5, first 2 shown]
	ds_read_b128 v[138:141], v142 offset:1664
	v_accvgpr_write_b32 a215, v155
	v_accvgpr_write_b32 a214, v154
	v_fma_f64 v[24:25], v[112:113], v[30:31], -v[32:33]
	ds_read_b128 v[30:33], v142 offset:1696
	v_mul_f64 v[94:95], v[254:255], v[94:95]
	v_add_f64 v[24:25], v[24:25], 0
	v_add_f64 v[24:25], v[24:25], v[210:211]
	;; [unrolled: 1-line block ×4, first 2 shown]
	s_waitcnt vmcnt(8)
	v_pk_mov_b32 v[164:165], v[4:5], v[4:5] op_sel:[0,1]
	v_mul_f64 v[4:5], v[190:191], v[46:47]
	v_fmac_f64_e32 v[4:5], v[192:193], v[64:65]
	v_add_f64 v[2:3], v[2:3], v[4:5]
	v_mul_f64 v[4:5], v[194:195], v[70:71]
	v_fmac_f64_e32 v[4:5], v[196:197], v[72:73]
	v_add_f64 v[2:3], v[2:3], v[4:5]
	;; [unrolled: 3-line block ×13, first 2 shown]
	v_add_f64 v[10:11], v[6:7], v[8:9]
	v_add_f64 v[14:15], v[10:11], v[12:13]
	v_add_f64 v[18:19], v[14:15], v[16:17]
	v_add_f64 v[26:27], v[18:19], v[20:21]
	v_add_f64 v[26:27], v[26:27], v[28:29]
	s_waitcnt lgkmcnt(2)
	v_mul_f64 v[28:29], v[122:123], v[118:119]
	v_fmac_f64_e32 v[28:29], v[124:125], v[120:121]
	ds_read_b128 v[118:121], v142 offset:1680
	v_add_f64 v[26:27], v[26:27], v[28:29]
	s_waitcnt lgkmcnt(2)
	v_mul_f64 v[28:29], v[138:139], v[154:155]
	v_fmac_f64_e32 v[28:29], v[140:141], v[164:165]
	v_accvgpr_write_b32 a217, v165
	s_waitcnt lgkmcnt(0)
	v_mul_f64 v[4:5], v[118:119], v[160:161]
	v_add_f64 v[154:155], v[26:27], v[28:29]
	v_fmac_f64_e32 v[4:5], v[120:121], v[162:163]
	v_accvgpr_write_b32 a216, v164
	v_add_f64 v[4:5], v[154:155], v[4:5]
	buffer_load_dword v155, off, s[0:3], 0 offset:748
	buffer_load_dword v154, off, s[0:3], 0 offset:744
	;; [unrolled: 1-line block ×13, first 2 shown]
	ds_read_b128 v[34:37], v142 offset:1712
	s_waitcnt vmcnt(18)
	v_mul_f64 v[38:39], v[30:31], v[152:153]
	s_waitcnt vmcnt(16)
	v_fmac_f64_e32 v[38:39], v[32:33], v[150:151]
	buffer_load_dword v26, off, s[0:3], 0 offset:768
	buffer_load_dword v159, off, s[0:3], 0 offset:780
	;; [unrolled: 1-line block ×3, first 2 shown]
	v_add_f64 v[4:5], v[4:5], v[38:39]
	s_waitcnt vmcnt(18) lgkmcnt(0)
	v_mul_f64 v[38:39], v[34:35], v[238:239]
	s_waitcnt vmcnt(16)
	v_fmac_f64_e32 v[38:39], v[36:37], v[148:149]
	v_add_f64 v[60:61], v[4:5], v[38:39]
	v_mul_f64 v[38:39], v[176:177], v[40:41]
	v_fma_f64 v[112:113], v[174:175], v[42:43], -v[38:39]
	buffer_load_dword v171, off, s[0:3], 0 offset:812
	buffer_load_dword v173, off, s[0:3], 0 offset:796
	;; [unrolled: 1-line block ×8, first 2 shown]
	v_mul_f64 v[38:39], v[180:181], v[56:57]
	v_fma_f64 v[22:23], v[178:179], v[58:59], -v[38:39]
	ds_read_b128 v[38:41], v142 offset:1728
	buffer_load_dword v179, off, s[0:3], 0 offset:828
	buffer_load_dword v178, off, s[0:3], 0 offset:824
	;; [unrolled: 1-line block ×4, first 2 shown]
	v_mul_f64 v[8:9], v[184:185], v[48:49]
	v_mul_f64 v[42:43], v[188:189], v[52:53]
	v_fma_f64 v[18:19], v[182:183], v[50:51], -v[8:9]
	v_fma_f64 v[10:11], v[186:187], v[54:55], -v[42:43]
	buffer_load_dword v183, off, s[0:3], 0 offset:844
	buffer_load_dword v182, off, s[0:3], 0 offset:840
	buffer_load_dword v187, off, s[0:3], 0 offset:836
	buffer_load_dword v186, off, s[0:3], 0 offset:832
	buffer_load_dword v185, off, s[0:3], 0 offset:860
	buffer_load_dword v184, off, s[0:3], 0 offset:856
	buffer_load_dword v189, off, s[0:3], 0 offset:852
	buffer_load_dword v188, off, s[0:3], 0 offset:848
	v_mul_f64 v[12:13], v[192:193], v[46:47]
	buffer_load_dword v192, off, s[0:3], 0 offset:872
	v_mul_f64 v[42:43], v[196:197], v[70:71]
	v_fma_f64 v[8:9], v[194:195], v[72:73], -v[42:43]
	buffer_load_dword v194, off, s[0:3], 0 offset:864
	buffer_load_dword v193, off, s[0:3], 0 offset:876
	buffer_load_dword v195, off, s[0:3], 0 offset:868
	v_mul_f64 v[16:17], v[200:201], v[66:67]
	v_fma_f64 v[16:17], v[198:199], v[68:69], -v[16:17]
	buffer_load_dword v197, off, s[0:3], 0 offset:892
	buffer_load_dword v196, off, s[0:3], 0 offset:888
	;; [unrolled: 1-line block ×4, first 2 shown]
	v_mul_f64 v[0:1], v[204:205], v[0:1]
	v_fma_f64 v[6:7], v[202:203], v[102:103], -v[0:1]
	buffer_load_dword v203, off, s[0:3], 0 offset:908
	buffer_load_dword v202, off, s[0:3], 0 offset:904
	;; [unrolled: 1-line block ×4, first 2 shown]
	v_mul_f64 v[14:15], v[208:209], v[92:93]
	v_fma_f64 v[12:13], v[190:191], v[64:65], -v[12:13]
	v_fma_f64 v[20:21], v[206:207], v[76:77], -v[14:15]
	buffer_load_dword v201, off, s[0:3], 0 offset:940
	buffer_load_dword v207, off, s[0:3], 0 offset:924
	;; [unrolled: 1-line block ×12, first 2 shown]
	ds_read_b128 v[42:45], v142 offset:1744
	v_mul_f64 v[46:47], v[218:219], v[116:117]
	v_fma_f64 v[216:217], v[216:217], v[236:237], -v[46:47]
	ds_read_b128 v[46:49], v142 offset:1760
	v_mul_f64 v[54:55], v[222:223], v[74:75]
	v_fma_f64 v[218:219], v[220:221], v[106:107], -v[54:55]
	v_mul_f64 v[58:59], v[226:227], v[108:109]
	v_fma_f64 v[220:221], v[224:225], v[110:111], -v[58:59]
	;; [unrolled: 2-line block ×3, first 2 shown]
	ds_read_b128 v[66:69], v142 offset:1840
	ds_read_b128 v[54:57], v142 offset:1792
	v_mul_f64 v[70:71], v[234:235], v[100:101]
	v_fma_f64 v[2:3], v[232:233], v[104:105], -v[70:71]
	v_mul_f64 v[78:79], v[242:243], v[78:79]
	v_fma_f64 v[0:1], v[240:241], v[80:81], -v[78:79]
	;; [unrolled: 2-line block ×3, first 2 shown]
	ds_read_b128 v[82:85], v142 offset:1904
	v_mul_f64 v[86:87], v[250:251], v[86:87]
	v_fma_f64 v[232:233], v[248:249], v[88:89], -v[86:87]
	ds_read_b128 v[86:89], v142 offset:1920
	ds_read_b128 v[70:73], v142 offset:1856
	buffer_load_dword v110, off, s[0:3], 0 offset:968
	v_fma_f64 v[250:251], v[252:253], v[96:97], -v[94:95]
	v_add_f64 v[24:25], v[24:25], v[112:113]
	v_add_f64 v[22:23], v[24:25], v[22:23]
	;; [unrolled: 1-line block ×8, first 2 shown]
	ds_read_b128 v[78:81], v142 offset:1888
	v_add_f64 v[6:7], v[6:7], v[20:21]
	v_add_f64 v[6:7], v[6:7], v[216:217]
	;; [unrolled: 1-line block ×6, first 2 shown]
	s_waitcnt vmcnt(55) lgkmcnt(8)
	v_mul_f64 v[50:51], v[38:39], v[160:161]
	s_waitcnt lgkmcnt(7)
	v_mul_f64 v[52:53], v[42:43], v[154:155]
	s_waitcnt vmcnt(53)
	v_fmac_f64_e32 v[50:51], v[40:41], v[164:165]
	v_add_f64 v[50:51], v[60:61], v[50:51]
	v_fmac_f64_e32 v[52:53], v[44:45], v[156:157]
	v_add_f64 v[50:51], v[50:51], v[52:53]
	s_waitcnt vmcnt(50) lgkmcnt(6)
	v_mul_f64 v[52:53], v[46:47], v[162:163]
	s_waitcnt vmcnt(48)
	v_fmac_f64_e32 v[52:53], v[48:49], v[166:167]
	v_add_f64 v[62:63], v[50:51], v[52:53]
	ds_read_b128 v[50:53], v142 offset:1776
	ds_read_b128 v[58:61], v142 offset:1808
	;; [unrolled: 1-line block ×3, first 2 shown]
	v_add_f64 v[0:1], v[2:3], v[0:1]
	v_add_f64 v[0:1], v[0:1], v[246:247]
	s_waitcnt vmcnt(46) lgkmcnt(2)
	v_mul_f64 v[64:65], v[50:51], v[158:159]
	s_waitcnt vmcnt(45)
	v_fmac_f64_e32 v[64:65], v[52:53], v[26:27]
	v_add_f64 v[62:63], v[62:63], v[64:65]
	s_waitcnt vmcnt(42)
	v_mul_f64 v[64:65], v[54:55], v[172:173]
	s_waitcnt vmcnt(40)
	v_fmac_f64_e32 v[64:65], v[56:57], v[176:177]
	v_add_f64 v[62:63], v[62:63], v[64:65]
	s_waitcnt vmcnt(39) lgkmcnt(1)
	v_mul_f64 v[64:65], v[58:59], v[170:171]
	s_waitcnt vmcnt(37)
	v_fmac_f64_e32 v[64:65], v[60:61], v[174:175]
	v_add_f64 v[74:75], v[62:63], v[64:65]
	ds_read_b128 v[62:65], v142 offset:1824
	v_accvgpr_read_b32 v2, a194
	v_accvgpr_read_b32 v3, a195
	;; [unrolled: 1-line block ×3, first 2 shown]
	v_add_f64 v[252:253], v[0:1], v[232:233]
	s_waitcnt vmcnt(35) lgkmcnt(0)
	v_mul_f64 v[76:77], v[62:63], v[178:179]
	s_waitcnt vmcnt(33)
	v_fmac_f64_e32 v[76:77], v[64:65], v[180:181]
	v_add_f64 v[74:75], v[74:75], v[76:77]
	s_waitcnt vmcnt(31)
	v_mul_f64 v[76:77], v[66:67], v[182:183]
	s_waitcnt vmcnt(29)
	v_fmac_f64_e32 v[76:77], v[68:69], v[186:187]
	v_add_f64 v[74:75], v[74:75], v[76:77]
	s_waitcnt vmcnt(27)
	v_mul_f64 v[76:77], v[70:71], v[184:185]
	s_waitcnt vmcnt(25)
	v_fmac_f64_e32 v[76:77], v[72:73], v[188:189]
	v_add_f64 v[90:91], v[74:75], v[76:77]
	ds_read_b128 v[74:77], v142 offset:1872
	s_waitcnt vmcnt(10)
	v_mul_f64 v[98:99], v[86:87], v[206:207]
	s_waitcnt vmcnt(8)
	v_fmac_f64_e32 v[98:99], v[88:89], v[190:191]
	v_mul_f64 v[2:3], v[146:147], v[2:3]
	v_accvgpr_read_b32 v5, a197
	s_waitcnt lgkmcnt(0)
	v_mul_f64 v[28:29], v[74:75], v[192:193]
	v_fmac_f64_e32 v[28:29], v[76:77], v[194:195]
	v_add_f64 v[28:29], v[90:91], v[28:29]
	v_mul_f64 v[90:91], v[78:79], v[196:197]
	v_fmac_f64_e32 v[90:91], v[80:81], v[198:199]
	v_add_f64 v[28:29], v[28:29], v[90:91]
	;; [unrolled: 3-line block ×3, first 2 shown]
	ds_read_b128 v[90:93], v142 offset:1936
	buffer_load_dword v244, off, s[0:3], 0 offset:960
	buffer_load_dword v111, off, s[0:3], 0 offset:972
	;; [unrolled: 1-line block ×3, first 2 shown]
	v_add_f64 v[28:29], v[28:29], v[98:99]
	v_add_f64 v[0:1], v[252:253], v[250:251]
	v_fma_f64 v[2:3], v[144:145], v[4:5], -v[2:3]
	s_waitcnt vmcnt(10) lgkmcnt(0)
	v_mul_f64 v[98:99], v[90:91], v[200:201]
	s_waitcnt vmcnt(8)
	v_fmac_f64_e32 v[98:99], v[92:93], v[14:15]
	v_add_f64 v[28:29], v[28:29], v[98:99]
	s_waitcnt vmcnt(6)
	v_mul_f64 v[98:99], v[94:95], v[208:209]
	s_waitcnt vmcnt(4)
	v_fmac_f64_e32 v[98:99], v[96:97], v[214:215]
	v_add_f64 v[28:29], v[28:29], v[98:99]
	ds_read_b128 v[98:101], v142 offset:1968
	buffer_load_dword v255, off, s[0:3], 0 offset:988
	buffer_load_dword v254, off, s[0:3], 0 offset:984
	buffer_load_dword v223, off, s[0:3], 0 offset:980
	buffer_load_dword v222, off, s[0:3], 0 offset:976
	v_add_f64 v[0:1], v[0:1], v[2:3]
	v_accvgpr_read_b32 v2, a198
	v_accvgpr_read_b32 v3, a199
	v_accvgpr_read_b32 v4, a200
	v_mul_f64 v[2:3], v[136:137], v[2:3]
	v_accvgpr_read_b32 v5, a201
	v_fma_f64 v[2:3], v[134:135], v[4:5], -v[2:3]
	v_add_f64 v[0:1], v[0:1], v[2:3]
	v_accvgpr_read_b32 v2, a202
	v_accvgpr_read_b32 v3, a203
	v_accvgpr_read_b32 v4, a204
	v_mul_f64 v[2:3], v[132:133], v[2:3]
	v_accvgpr_read_b32 v5, a205
	v_fma_f64 v[2:3], v[130:131], v[4:5], -v[2:3]
	;; [unrolled: 7-line block ×6, first 2 shown]
	v_add_f64 v[0:1], v[0:1], v[2:3]
	v_mul_f64 v[2:3], v[32:33], v[152:153]
	v_fma_f64 v[2:3], v[30:31], v[150:151], -v[2:3]
	v_add_f64 v[0:1], v[0:1], v[2:3]
	v_mul_f64 v[2:3], v[36:37], v[238:239]
	v_fma_f64 v[2:3], v[34:35], v[148:149], -v[2:3]
	;; [unrolled: 3-line block ×8, first 2 shown]
	v_add_f64 v[0:1], v[0:1], v[2:3]
	s_waitcnt vmcnt(5) lgkmcnt(0)
	v_mul_f64 v[102:103], v[98:99], v[110:111]
	s_waitcnt vmcnt(4)
	v_fmac_f64_e32 v[102:103], v[100:101], v[244:245]
	v_add_f64 v[28:29], v[28:29], v[102:103]
	ds_read_b128 v[102:105], v142 offset:1984
	buffer_load_dword v224, off, s[0:3], 0 offset:1000
	buffer_load_dword v225, off, s[0:3], 0 offset:1004
	;; [unrolled: 1-line block ×4, first 2 shown]
	v_mul_f64 v[2:3], v[64:65], v[178:179]
	v_fma_f64 v[2:3], v[62:63], v[180:181], -v[2:3]
	v_add_f64 v[0:1], v[0:1], v[2:3]
	v_mul_f64 v[2:3], v[68:69], v[182:183]
	v_fma_f64 v[2:3], v[66:67], v[186:187], -v[2:3]
	s_waitcnt vmcnt(6) lgkmcnt(0)
	v_mul_f64 v[106:107], v[102:103], v[254:255]
	v_add_f64 v[0:1], v[0:1], v[2:3]
	s_waitcnt vmcnt(4)
	v_fmac_f64_e32 v[106:107], v[104:105], v[222:223]
	v_add_f64 v[28:29], v[28:29], v[106:107]
	ds_read_b128 v[106:109], v142 offset:2000
	buffer_load_dword v229, off, s[0:3], 0 offset:1020
	buffer_load_dword v228, off, s[0:3], 0 offset:1016
	;; [unrolled: 1-line block ×4, first 2 shown]
	ds_read_b128 v[240:243], v142 offset:2016
	buffer_load_dword v234, off, s[0:3], 0 offset:1032
	buffer_load_dword v235, off, s[0:3], 0 offset:1036
	;; [unrolled: 1-line block ×4, first 2 shown]
	v_mul_f64 v[2:3], v[72:73], v[184:185]
	v_fma_f64 v[2:3], v[70:71], v[188:189], -v[2:3]
	v_add_f64 v[0:1], v[0:1], v[2:3]
	v_mul_f64 v[2:3], v[76:77], v[192:193]
	v_fma_f64 v[2:3], v[74:75], v[194:195], -v[2:3]
	v_add_f64 v[0:1], v[0:1], v[2:3]
	;; [unrolled: 3-line block ×9, first 2 shown]
	s_waitcnt vmcnt(10) lgkmcnt(1)
	v_mul_f64 v[114:115], v[106:107], v[224:225]
	v_mul_f64 v[2:3], v[108:109], v[224:225]
	s_waitcnt vmcnt(8)
	v_fmac_f64_e32 v[114:115], v[108:109], v[226:227]
	v_add_f64 v[28:29], v[28:29], v[114:115]
	v_fma_f64 v[2:3], v[106:107], v[226:227], -v[2:3]
	v_add_f64 v[0:1], v[0:1], v[2:3]
	s_waitcnt vmcnt(6) lgkmcnt(0)
	v_mul_f64 v[114:115], v[240:241], v[228:229]
	v_mul_f64 v[2:3], v[242:243], v[228:229]
	s_waitcnt vmcnt(4)
	v_fmac_f64_e32 v[114:115], v[242:243], v[230:231]
	v_add_f64 v[28:29], v[28:29], v[114:115]
	ds_read_b128 v[114:117], v142 offset:2032
	v_fma_f64 v[2:3], v[240:241], v[230:231], -v[2:3]
	v_add_f64 v[0:1], v[0:1], v[2:3]
	s_waitcnt vmcnt(2) lgkmcnt(0)
	v_mul_f64 v[248:249], v[114:115], v[234:235]
	s_waitcnt vmcnt(0)
	v_fmac_f64_e32 v[248:249], v[116:117], v[236:237]
	v_add_f64 v[28:29], v[28:29], v[248:249]
	buffer_load_dword v248, off, s[0:3], 0 offset:208
	buffer_load_dword v249, off, s[0:3], 0 offset:212
	;; [unrolled: 1-line block ×4, first 2 shown]
	v_mul_f64 v[2:3], v[116:117], v[234:235]
	v_fma_f64 v[2:3], v[114:115], v[236:237], -v[2:3]
	v_add_f64 v[0:1], v[0:1], v[2:3]
	s_waitcnt vmcnt(2)
	v_add_f64 v[0:1], v[248:249], -v[0:1]
	s_waitcnt vmcnt(0)
	v_add_f64 v[2:3], v[246:247], -v[28:29]
	buffer_store_dword v1, off, s[0:3], 0 offset:212
	buffer_store_dword v0, off, s[0:3], 0 offset:208
	;; [unrolled: 1-line block ×4, first 2 shown]
	v_accvgpr_read_b32 v0, a191
	v_cmp_lt_u32_e32 vcc, 11, v0
	s_and_saveexec_b64 s[4:5], vcc
	s_cbranch_execz .LBB63_387
; %bb.386:
	v_accvgpr_read_b32 v3, a180
	buffer_load_dword v0, v3, s[0:3], 0 offen
	buffer_load_dword v1, v3, s[0:3], 0 offen offset:4
	buffer_load_dword v2, v3, s[0:3], 0 offen offset:8
	s_nop 0
	buffer_load_dword v3, v3, s[0:3], 0 offen offset:12
	v_accvgpr_read_b32 v4, a192
	buffer_store_dword v142, off, s[0:3], 0 offset:192
	buffer_store_dword v142, off, s[0:3], 0 offset:196
	;; [unrolled: 1-line block ×4, first 2 shown]
	s_waitcnt vmcnt(4)
	ds_write_b128 v4, v[0:3]
.LBB63_387:
	s_or_b64 exec, exec, s[4:5]
	s_waitcnt lgkmcnt(0)
	; wave barrier
	s_waitcnt lgkmcnt(0)
	buffer_load_dword v22, off, s[0:3], 0 offset:208
	buffer_load_dword v23, off, s[0:3], 0 offset:212
	;; [unrolled: 1-line block ×36, first 2 shown]
	ds_read_b128 v[18:21], v142 offset:1216
	ds_read_b128 v[26:29], v142 offset:1232
	;; [unrolled: 1-line block ×9, first 2 shown]
	buffer_load_dword v91, off, s[0:3], 0 offset:380
	buffer_load_dword v90, off, s[0:3], 0 offset:376
	;; [unrolled: 1-line block ×19, first 2 shown]
	s_waitcnt vmcnt(51) lgkmcnt(8)
	v_mul_f64 v[0:1], v[18:19], v[24:25]
	v_fmac_f64_e32 v[0:1], v[20:21], v[22:23]
	v_add_f64 v[0:1], v[0:1], 0
	v_mul_f64 v[20:21], v[20:21], v[24:25]
	s_waitcnt vmcnt(47) lgkmcnt(7)
	v_mul_f64 v[2:3], v[26:27], v[160:161]
	v_fmac_f64_e32 v[2:3], v[28:29], v[158:159]
	s_waitcnt vmcnt(45) lgkmcnt(6)
	v_mul_f64 v[4:5], v[54:55], v[156:157]
	v_add_f64 v[0:1], v[0:1], v[2:3]
	s_waitcnt vmcnt(43) lgkmcnt(4)
	v_mul_f64 v[8:9], v[34:35], v[64:65]
	v_fma_f64 v[24:25], v[18:19], v[22:23], -v[20:21]
	s_waitcnt vmcnt(41)
	v_fmac_f64_e32 v[8:9], v[36:37], v[66:67]
	v_mul_f64 v[28:29], v[28:29], v[160:161]
	s_waitcnt vmcnt(39)
	v_mul_f64 v[6:7], v[30:31], v[68:69]
	v_fma_f64 v[158:159], v[26:27], v[158:159], -v[28:29]
	s_waitcnt vmcnt(37) lgkmcnt(2)
	v_mul_f64 v[12:13], v[50:51], v[74:75]
	v_mul_f64 v[36:37], v[36:37], v[64:65]
	s_waitcnt vmcnt(35)
	v_fmac_f64_e32 v[12:13], v[52:53], v[76:77]
	v_mul_f64 v[52:53], v[52:53], v[74:75]
	s_waitcnt vmcnt(33)
	v_mul_f64 v[10:11], v[38:39], v[80:81]
	v_add_f64 v[24:25], v[24:25], 0
	s_waitcnt vmcnt(31) lgkmcnt(1)
	v_mul_f64 v[14:15], v[46:47], v[72:73]
	v_add_f64 v[24:25], v[24:25], v[158:159]
	s_waitcnt vmcnt(29)
	v_fmac_f64_e32 v[4:5], v[56:57], v[162:163]
	v_add_f64 v[0:1], v[0:1], v[4:5]
	s_waitcnt vmcnt(27)
	v_fmac_f64_e32 v[6:7], v[32:33], v[164:165]
	;; [unrolled: 3-line block ×3, first 2 shown]
	v_add_f64 v[0:1], v[0:1], v[8:9]
	v_add_f64 v[0:1], v[0:1], v[10:11]
	;; [unrolled: 1-line block ×3, first 2 shown]
	buffer_load_dword v104, off, s[0:3], 0 offset:432
	buffer_load_dword v215, off, s[0:3], 0 offset:428
	;; [unrolled: 1-line block ×39, first 2 shown]
	s_waitcnt vmcnt(62)
	v_fmac_f64_e32 v[14:15], v[48:49], v[78:79]
	v_add_f64 v[2:3], v[2:3], v[14:15]
	v_mul_f64 v[40:41], v[40:41], v[80:81]
	v_fma_f64 v[166:167], v[38:39], v[166:167], -v[40:41]
	s_waitcnt vmcnt(0)
	v_pk_mov_b32 v[118:119], v[4:5], v[4:5] op_sel:[0,1]
	buffer_load_dword v5, off, s[0:3], 0 offset:596
	buffer_load_dword v4, off, s[0:3], 0 offset:592
	v_accvgpr_write_b32 a201, v119
	v_accvgpr_write_b32 a200, v118
	s_waitcnt vmcnt(0)
	v_pk_mov_b32 v[120:121], v[4:5], v[4:5] op_sel:[0,1]
	buffer_load_dword v5, off, s[0:3], 0 offset:588
	buffer_load_dword v4, off, s[0:3], 0 offset:584
	v_accvgpr_write_b32 a203, v121
	v_accvgpr_write_b32 a202, v120
	s_waitcnt vmcnt(0)
	v_pk_mov_b32 v[16:17], v[4:5], v[4:5] op_sel:[0,1]
	buffer_load_dword v5, off, s[0:3], 0 offset:580
	buffer_load_dword v4, off, s[0:3], 0 offset:576
	v_pk_mov_b32 v[144:145], v[16:17], v[16:17] op_sel:[0,1]
	s_waitcnt vmcnt(0)
	v_pk_mov_b32 v[122:123], v[4:5], v[4:5] op_sel:[0,1]
	buffer_load_dword v5, off, s[0:3], 0 offset:636
	buffer_load_dword v4, off, s[0:3], 0 offset:632
	v_accvgpr_write_b32 a199, v123
	v_accvgpr_write_b32 a198, v122
	s_waitcnt vmcnt(0)
	v_pk_mov_b32 v[126:127], v[4:5], v[4:5] op_sel:[0,1]
	buffer_load_dword v5, off, s[0:3], 0 offset:628
	buffer_load_dword v4, off, s[0:3], 0 offset:624
	v_accvgpr_write_b32 a209, v127
	v_accvgpr_write_b32 a208, v126
	s_waitcnt vmcnt(0)
	v_pk_mov_b32 v[172:173], v[4:5], v[4:5] op_sel:[0,1]
	buffer_load_dword v5, off, s[0:3], 0 offset:620
	buffer_load_dword v4, off, s[0:3], 0 offset:616
	v_accvgpr_write_b32 a211, v173
	v_accvgpr_write_b32 a210, v172
	s_waitcnt vmcnt(0)
	v_pk_mov_b32 v[124:125], v[4:5], v[4:5] op_sel:[0,1]
	buffer_load_dword v5, off, s[0:3], 0 offset:612
	buffer_load_dword v4, off, s[0:3], 0 offset:608
	v_accvgpr_write_b32 a205, v125
	v_accvgpr_write_b32 a204, v124
	s_waitcnt vmcnt(0)
	v_pk_mov_b32 v[178:179], v[4:5], v[4:5] op_sel:[0,1]
	buffer_load_dword v5, off, s[0:3], 0 offset:668
	buffer_load_dword v4, off, s[0:3], 0 offset:664
	v_accvgpr_write_b32 a207, v179
	v_accvgpr_write_b32 a206, v178
	s_waitcnt vmcnt(0)
	v_pk_mov_b32 v[174:175], v[4:5], v[4:5] op_sel:[0,1]
	buffer_load_dword v5, off, s[0:3], 0 offset:660
	buffer_load_dword v4, off, s[0:3], 0 offset:656
	v_accvgpr_write_b32 a217, v175
	v_accvgpr_write_b32 a216, v174
	s_waitcnt vmcnt(0)
	v_pk_mov_b32 v[176:177], v[4:5], v[4:5] op_sel:[0,1]
	buffer_load_dword v5, off, s[0:3], 0 offset:652
	buffer_load_dword v4, off, s[0:3], 0 offset:648
	v_accvgpr_write_b32 a219, v177
	v_accvgpr_write_b32 a218, v176
	s_waitcnt vmcnt(0)
	v_pk_mov_b32 v[180:181], v[4:5], v[4:5] op_sel:[0,1]
	buffer_load_dword v5, off, s[0:3], 0 offset:644
	buffer_load_dword v4, off, s[0:3], 0 offset:640
	ds_read_b128 v[182:185], v142 offset:1360
	ds_read_b128 v[196:199], v142 offset:1376
	;; [unrolled: 1-line block ×9, first 2 shown]
	buffer_load_dword v147, off, s[0:3], 0 offset:684
	buffer_load_dword v146, off, s[0:3], 0 offset:680
	;; [unrolled: 1-line block ×4, first 2 shown]
	ds_read_b128 v[248:251], v142 offset:1504
	buffer_load_dword v149, off, s[0:3], 0 offset:700
	buffer_load_dword v148, off, s[0:3], 0 offset:696
	;; [unrolled: 1-line block ×8, first 2 shown]
	ds_read_b128 v[252:255], v142 offset:1520
	ds_read_b128 v[58:61], v142 offset:1536
	ds_read_b128 v[82:85], v142 offset:1552
	ds_read_b128 v[86:89], v142 offset:1568
	v_accvgpr_write_b32 a213, v181
	v_accvgpr_write_b32 a212, v180
	ds_read_b128 v[128:131], v142 offset:1600
	s_waitcnt lgkmcnt(1)
	v_mul_f64 v[8:9], v[86:87], v[96:97]
	v_fmac_f64_e32 v[8:9], v[88:89], v[100:101]
	v_mul_f64 v[88:89], v[88:89], v[96:97]
	s_waitcnt vmcnt(12)
	v_pk_mov_b32 v[188:189], v[4:5], v[4:5] op_sel:[0,1]
	v_mul_f64 v[4:5], v[42:43], v[70:71]
	v_fmac_f64_e32 v[4:5], v[44:45], v[186:187]
	v_add_f64 v[2:3], v[2:3], v[4:5]
	v_mul_f64 v[4:5], v[182:183], v[94:95]
	v_fmac_f64_e32 v[4:5], v[184:185], v[98:99]
	v_add_f64 v[2:3], v[2:3], v[4:5]
	;; [unrolled: 3-line block ×14, first 2 shown]
	ds_read_b128 v[2:5], v142 offset:1584
	buffer_load_dword v155, off, s[0:3], 0 offset:732
	buffer_load_dword v154, off, s[0:3], 0 offset:728
	ds_read_b128 v[138:141], v142 offset:1616
	ds_read_b128 v[134:137], v142 offset:1632
	v_add_f64 v[10:11], v[6:7], v[8:9]
	s_waitcnt lgkmcnt(2)
	v_mul_f64 v[12:13], v[2:3], v[16:17]
	v_fmac_f64_e32 v[12:13], v[4:5], v[122:123]
	v_mul_f64 v[16:17], v[128:129], v[118:119]
	s_waitcnt lgkmcnt(1)
	v_mul_f64 v[170:171], v[138:139], v[124:125]
	ds_read_b128 v[122:125], v142 offset:1648
	v_fmac_f64_e32 v[16:17], v[130:131], v[120:121]
	ds_read_b128 v[118:121], v142 offset:1664
	v_add_f64 v[14:15], v[10:11], v[12:13]
	v_accvgpr_write_b32 a197, v5
	v_add_f64 v[168:169], v[14:15], v[16:17]
	v_fmac_f64_e32 v[170:171], v[140:141], v[178:179]
	s_waitcnt lgkmcnt(2)
	v_mul_f64 v[22:23], v[134:135], v[126:127]
	v_accvgpr_write_b32 a196, v4
	v_accvgpr_write_b32 a195, v3
	;; [unrolled: 1-line block ×3, first 2 shown]
	v_add_f64 v[4:5], v[168:169], v[170:171]
	v_fmac_f64_e32 v[22:23], v[136:137], v[172:173]
	v_add_f64 v[4:5], v[4:5], v[22:23]
	s_waitcnt lgkmcnt(1)
	v_mul_f64 v[22:23], v[122:123], v[180:181]
	v_fmac_f64_e32 v[22:23], v[124:125], v[188:189]
	s_waitcnt lgkmcnt(0)
	v_mul_f64 v[160:161], v[118:119], v[174:175]
	v_add_f64 v[4:5], v[4:5], v[22:23]
	v_fmac_f64_e32 v[160:161], v[120:121], v[176:177]
	ds_read_b128 v[26:29], v142 offset:1680
	v_add_f64 v[168:169], v[4:5], v[160:161]
	buffer_load_dword v161, off, s[0:3], 0 offset:724
	buffer_load_dword v160, off, s[0:3], 0 offset:720
	v_mul_f64 v[4:5], v[56:57], v[156:157]
	v_fma_f64 v[20:21], v[54:55], v[162:163], -v[4:5]
	buffer_load_dword v156, off, s[0:3], 0 offset:760
	buffer_load_dword v126, off, s[0:3], 0 offset:752
	buffer_load_dword v163, off, s[0:3], 0 offset:748
	buffer_load_dword v162, off, s[0:3], 0 offset:744
	v_mul_f64 v[8:9], v[32:33], v[68:69]
	v_fma_f64 v[18:19], v[30:31], v[164:165], -v[8:9]
	buffer_load_dword v165, off, s[0:3], 0 offset:740
	buffer_load_dword v164, off, s[0:3], 0 offset:736
	;; [unrolled: 1-line block ×3, first 2 shown]
	s_waitcnt vmcnt(21) lgkmcnt(0)
	v_mul_f64 v[30:31], v[26:27], v[146:147]
	buffer_load_dword v127, off, s[0:3], 0 offset:756
	s_waitcnt vmcnt(20)
	v_fmac_f64_e32 v[30:31], v[28:29], v[238:239]
	v_add_f64 v[54:55], v[168:169], v[30:31]
	ds_read_b128 v[30:33], v142 offset:1696
	v_fma_f64 v[14:15], v[34:35], v[66:67], -v[36:37]
	ds_read_b128 v[34:37], v142 offset:1712
	ds_read_b128 v[38:41], v142 offset:1728
	buffer_load_dword v23, off, s[0:3], 0 offset:780
	buffer_load_dword v22, off, s[0:3], 0 offset:776
	;; [unrolled: 1-line block ×16, first 2 shown]
	v_mul_f64 v[44:45], v[44:45], v[70:71]
	v_accvgpr_write_b32 a215, v189
	v_fma_f64 v[10:11], v[42:43], v[186:187], -v[44:45]
	v_mul_f64 v[44:45], v[184:185], v[94:95]
	v_accvgpr_write_b32 a214, v188
	v_fma_f64 v[94:95], v[182:183], v[98:99], -v[44:45]
	buffer_load_dword v183, off, s[0:3], 0 offset:844
	buffer_load_dword v182, off, s[0:3], 0 offset:840
	;; [unrolled: 1-line block ×8, first 2 shown]
	v_mul_f64 v[44:45], v[198:199], v[90:91]
	v_fma_f64 v[8:9], v[196:197], v[92:93], -v[44:45]
	v_mul_f64 v[44:45], v[202:203], v[192:193]
	v_fma_f64 v[6:7], v[200:201], v[194:195], -v[44:45]
	buffer_load_dword v193, off, s[0:3], 0 offset:892
	buffer_load_dword v195, off, s[0:3], 0 offset:876
	;; [unrolled: 1-line block ×12, first 2 shown]
	s_waitcnt vmcnt(54) lgkmcnt(2)
	v_mul_f64 v[12:13], v[30:31], v[148:149]
	s_waitcnt vmcnt(52)
	v_fmac_f64_e32 v[12:13], v[32:33], v[150:151]
	v_add_f64 v[12:13], v[54:55], v[12:13]
	s_waitcnt vmcnt(50) lgkmcnt(1)
	v_mul_f64 v[54:55], v[34:35], v[152:153]
	s_waitcnt vmcnt(48)
	v_fmac_f64_e32 v[54:55], v[36:37], v[132:133]
	v_mul_f64 v[44:45], v[208:209], v[190:191]
	v_add_f64 v[54:55], v[12:13], v[54:55]
	v_fma_f64 v[190:191], v[206:207], v[204:205], -v[44:45]
	v_mul_f64 v[44:45], v[212:213], v[214:215]
	v_mul_f64 v[16:17], v[48:49], v[72:73]
	v_fma_f64 v[4:5], v[210:211], v[62:63], -v[44:45]
	buffer_load_dword v207, off, s[0:3], 0 offset:924
	buffer_load_dword v206, off, s[0:3], 0 offset:920
	;; [unrolled: 1-line block ×12, first 2 shown]
	v_fma_f64 v[16:17], v[46:47], v[78:79], -v[16:17]
	v_mul_f64 v[46:47], v[232:233], v[102:103]
	v_fma_f64 v[232:233], v[230:231], v[104:105], -v[46:47]
	ds_read_b128 v[46:49], v142 offset:1760
	v_fma_f64 v[12:13], v[50:51], v[76:77], -v[52:53]
	v_mul_f64 v[50:51], v[236:237], v[226:227]
	v_fma_f64 v[226:227], v[234:235], v[228:229], -v[50:51]
	ds_read_b128 v[50:53], v142 offset:1776
	v_mul_f64 v[62:63], v[242:243], v[220:221]
	s_waitcnt vmcnt(58) lgkmcnt(2)
	v_mul_f64 v[42:43], v[38:39], v[154:155]
	v_fma_f64 v[220:221], v[240:241], v[222:223], -v[62:63]
	ds_read_b128 v[240:243], v142 offset:1808
	ds_read_b128 v[62:65], v142 offset:1824
	v_mul_f64 v[0:1], v[246:247], v[0:1]
	v_fma_f64 v[246:247], v[244:245], v[224:225], -v[0:1]
	v_mul_f64 v[70:71], v[250:251], v[114:115]
	v_fma_f64 v[248:249], v[248:249], v[116:117], -v[70:71]
	ds_read_b128 v[70:73], v142 offset:1856
	v_mul_f64 v[60:61], v[60:61], v[106:107]
	v_fma_f64 v[2:3], v[58:59], v[110:111], -v[60:61]
	ds_read_b128 v[58:61], v142 offset:1904
	;; [unrolled: 3-line block ×3, first 2 shown]
	v_add_f64 v[20:21], v[24:25], v[20:21]
	v_add_f64 v[18:19], v[20:21], v[18:19]
	;; [unrolled: 1-line block ×14, first 2 shown]
	s_waitcnt vmcnt(56)
	v_fmac_f64_e32 v[42:43], v[40:41], v[160:161]
	v_add_f64 v[54:55], v[54:55], v[42:43]
	ds_read_b128 v[42:45], v142 offset:1744
	v_add_f64 v[4:5], v[4:5], v[220:221]
	v_add_f64 v[4:5], v[4:5], v[246:247]
	;; [unrolled: 1-line block ×3, first 2 shown]
	v_accvgpr_read_b32 v6, a194
	s_waitcnt vmcnt(52) lgkmcnt(0)
	v_mul_f64 v[56:57], v[42:43], v[162:163]
	s_waitcnt vmcnt(50)
	v_fmac_f64_e32 v[56:57], v[44:45], v[164:165]
	v_add_f64 v[54:55], v[54:55], v[56:57]
	s_waitcnt vmcnt(49)
	v_mul_f64 v[56:57], v[46:47], v[156:157]
	s_waitcnt vmcnt(48)
	v_fmac_f64_e32 v[56:57], v[48:49], v[126:127]
	v_add_f64 v[54:55], v[54:55], v[56:57]
	s_waitcnt vmcnt(46)
	v_mul_f64 v[56:57], v[50:51], v[22:23]
	v_accvgpr_read_b32 v8, a196
	s_waitcnt vmcnt(44)
	v_fmac_f64_e32 v[56:57], v[52:53], v[168:169]
	v_add_f64 v[66:67], v[54:55], v[56:57]
	ds_read_b128 v[54:57], v142 offset:1792
	v_accvgpr_read_b32 v9, a197
	v_accvgpr_read_b32 v7, a195
	v_accvgpr_write_b32 a220, v238
	v_accvgpr_write_b32 a221, v239
	s_waitcnt vmcnt(42) lgkmcnt(0)
	v_mul_f64 v[68:69], v[54:55], v[172:173]
	s_waitcnt vmcnt(40)
	v_fmac_f64_e32 v[68:69], v[56:57], v[174:175]
	v_add_f64 v[0:1], v[66:67], v[68:69]
	s_waitcnt vmcnt(36)
	v_mul_f64 v[66:67], v[240:241], v[178:179]
	s_waitcnt vmcnt(34)
	v_fmac_f64_e32 v[66:67], v[242:243], v[180:181]
	v_add_f64 v[0:1], v[0:1], v[66:67]
	v_mul_f64 v[66:67], v[62:63], v[170:171]
	s_waitcnt vmcnt(32)
	v_fmac_f64_e32 v[66:67], v[64:65], v[176:177]
	v_add_f64 v[0:1], v[0:1], v[66:67]
	ds_read_b128 v[66:69], v142 offset:1840
	s_waitcnt vmcnt(25)
	v_mul_f64 v[78:79], v[70:71], v[184:185]
	s_waitcnt vmcnt(24)
	v_fmac_f64_e32 v[78:79], v[72:73], v[186:187]
	s_waitcnt lgkmcnt(0)
	v_mul_f64 v[74:75], v[66:67], v[182:183]
	v_fmac_f64_e32 v[74:75], v[68:69], v[188:189]
	v_add_f64 v[0:1], v[0:1], v[74:75]
	v_mul_f64 v[74:75], v[254:255], v[216:217]
	v_fma_f64 v[254:255], v[252:253], v[218:219], -v[74:75]
	ds_read_b128 v[74:77], v142 offset:1872
	v_add_f64 v[0:1], v[0:1], v[78:79]
	ds_read_b128 v[78:81], v142 offset:1888
	v_fma_f64 v[252:253], v[86:87], v[100:101], -v[88:89]
	ds_read_b128 v[86:89], v142 offset:1952
	s_waitcnt vmcnt(21) lgkmcnt(2)
	v_mul_f64 v[90:91], v[74:75], v[194:195]
	s_waitcnt vmcnt(19)
	v_fmac_f64_e32 v[90:91], v[76:77], v[200:201]
	v_add_f64 v[0:1], v[0:1], v[90:91]
	s_waitcnt vmcnt(18) lgkmcnt(1)
	v_mul_f64 v[90:91], v[78:79], v[192:193]
	s_waitcnt vmcnt(16)
	v_fmac_f64_e32 v[90:91], v[80:81], v[198:199]
	v_add_f64 v[0:1], v[0:1], v[90:91]
	ds_read_b128 v[90:93], v142 offset:1920
	s_waitcnt vmcnt(14)
	v_mul_f64 v[98:99], v[58:59], v[196:197]
	buffer_load_dword v217, off, s[0:3], 0 offset:972
	buffer_load_dword v216, off, s[0:3], 0 offset:968
	;; [unrolled: 1-line block ×4, first 2 shown]
	s_waitcnt vmcnt(16)
	v_fmac_f64_e32 v[98:99], v[60:61], v[202:203]
	v_add_f64 v[0:1], v[0:1], v[98:99]
	ds_read_b128 v[98:101], v142 offset:1968
	buffer_load_dword v244, off, s[0:3], 0 offset:984
	buffer_load_dword v245, off, s[0:3], 0 offset:988
	;; [unrolled: 1-line block ×4, first 2 shown]
	s_waitcnt vmcnt(18) lgkmcnt(1)
	v_mul_f64 v[96:97], v[90:91], v[206:207]
	s_waitcnt vmcnt(16)
	v_fmac_f64_e32 v[96:97], v[92:93], v[208:209]
	v_add_f64 v[0:1], v[0:1], v[96:97]
	s_waitcnt vmcnt(13)
	v_mul_f64 v[96:97], v[82:83], v[212:213]
	s_waitcnt vmcnt(11)
	v_fmac_f64_e32 v[96:97], v[84:85], v[214:215]
	ds_read_b128 v[102:105], v142 offset:1984
	v_add_f64 v[0:1], v[0:1], v[96:97]
	s_waitcnt vmcnt(9)
	v_mul_f64 v[96:97], v[86:87], v[204:205]
	s_waitcnt vmcnt(8)
	v_fmac_f64_e32 v[96:97], v[88:89], v[210:211]
	v_add_f64 v[0:1], v[0:1], v[96:97]
	v_add_f64 v[4:5], v[4:5], v[254:255]
	;; [unrolled: 1-line block ×3, first 2 shown]
	v_mul_f64 v[4:5], v[8:9], v[144:145]
	v_accvgpr_read_b32 v8, a198
	v_add_f64 v[2:3], v[254:255], v[250:251]
	v_accvgpr_read_b32 v9, a199
	v_add_f64 v[2:3], v[2:3], v[252:253]
	v_fma_f64 v[4:5], v[6:7], v[8:9], -v[4:5]
	v_add_f64 v[2:3], v[2:3], v[4:5]
	v_accvgpr_read_b32 v4, a200
	v_accvgpr_read_b32 v5, a201
	v_accvgpr_read_b32 v6, a202
	v_mul_f64 v[4:5], v[130:131], v[4:5]
	v_accvgpr_read_b32 v7, a203
	v_fma_f64 v[4:5], v[128:129], v[6:7], -v[4:5]
	v_add_f64 v[2:3], v[2:3], v[4:5]
	v_accvgpr_read_b32 v4, a204
	v_accvgpr_read_b32 v5, a205
	v_accvgpr_read_b32 v6, a206
	v_mul_f64 v[4:5], v[140:141], v[4:5]
	v_accvgpr_read_b32 v7, a207
	;; [unrolled: 7-line block ×5, first 2 shown]
	v_fma_f64 v[4:5], v[118:119], v[6:7], -v[4:5]
	v_accvgpr_read_b32 v6, a220
	v_add_f64 v[2:3], v[2:3], v[4:5]
	v_mul_f64 v[4:5], v[28:29], v[146:147]
	v_accvgpr_read_b32 v7, a221
	v_fma_f64 v[4:5], v[26:27], v[6:7], -v[4:5]
	v_add_f64 v[2:3], v[2:3], v[4:5]
	v_mul_f64 v[4:5], v[32:33], v[148:149]
	v_fma_f64 v[4:5], v[30:31], v[150:151], -v[4:5]
	v_add_f64 v[2:3], v[2:3], v[4:5]
	v_mul_f64 v[4:5], v[36:37], v[152:153]
	;; [unrolled: 3-line block ×5, first 2 shown]
	v_fma_f64 v[4:5], v[46:47], v[126:127], -v[4:5]
	s_waitcnt vmcnt(6) lgkmcnt(1)
	v_mul_f64 v[96:97], v[98:99], v[216:217]
	v_add_f64 v[2:3], v[2:3], v[4:5]
	s_waitcnt vmcnt(4)
	v_fmac_f64_e32 v[96:97], v[100:101], v[218:219]
	v_add_f64 v[0:1], v[0:1], v[96:97]
	s_waitcnt vmcnt(2) lgkmcnt(0)
	v_mul_f64 v[96:97], v[102:103], v[244:245]
	v_mul_f64 v[4:5], v[52:53], v[22:23]
	s_waitcnt vmcnt(0)
	v_fmac_f64_e32 v[96:97], v[104:105], v[222:223]
	v_add_f64 v[0:1], v[0:1], v[96:97]
	buffer_load_dword v225, off, s[0:3], 0 offset:1004
	buffer_load_dword v224, off, s[0:3], 0 offset:1000
	;; [unrolled: 1-line block ×4, first 2 shown]
	ds_read_b128 v[106:109], v142 offset:2000
	buffer_load_dword v228, off, s[0:3], 0 offset:1016
	buffer_load_dword v229, off, s[0:3], 0 offset:1020
	;; [unrolled: 1-line block ×4, first 2 shown]
	v_fma_f64 v[4:5], v[50:51], v[168:169], -v[4:5]
	v_add_f64 v[2:3], v[2:3], v[4:5]
	v_mul_f64 v[4:5], v[56:57], v[172:173]
	v_fma_f64 v[4:5], v[54:55], v[174:175], -v[4:5]
	v_add_f64 v[2:3], v[2:3], v[4:5]
	v_mul_f64 v[4:5], v[242:243], v[178:179]
	;; [unrolled: 3-line block ×13, first 2 shown]
	v_fma_f64 v[4:5], v[102:103], v[222:223], -v[4:5]
	v_add_f64 v[2:3], v[2:3], v[4:5]
	s_waitcnt vmcnt(6) lgkmcnt(0)
	v_mul_f64 v[110:111], v[106:107], v[224:225]
	v_mul_f64 v[4:5], v[108:109], v[224:225]
	s_waitcnt vmcnt(4)
	v_fmac_f64_e32 v[110:111], v[108:109], v[96:97]
	v_add_f64 v[0:1], v[0:1], v[110:111]
	ds_read_b128 v[110:113], v142 offset:2016
	buffer_load_dword v235, off, s[0:3], 0 offset:1036
	buffer_load_dword v234, off, s[0:3], 0 offset:1032
	;; [unrolled: 1-line block ×4, first 2 shown]
	v_fma_f64 v[4:5], v[106:107], v[96:97], -v[4:5]
	v_add_f64 v[2:3], v[2:3], v[4:5]
	s_waitcnt vmcnt(6) lgkmcnt(0)
	v_mul_f64 v[114:115], v[110:111], v[228:229]
	s_waitcnt vmcnt(4)
	v_fmac_f64_e32 v[114:115], v[112:113], v[230:231]
	v_add_f64 v[0:1], v[0:1], v[114:115]
	ds_read_b128 v[114:117], v142 offset:2032
	buffer_load_dword v248, off, s[0:3], 0 offset:192
	buffer_load_dword v249, off, s[0:3], 0 offset:196
	;; [unrolled: 1-line block ×4, first 2 shown]
	v_mul_f64 v[4:5], v[112:113], v[228:229]
	v_fma_f64 v[4:5], v[110:111], v[230:231], -v[4:5]
	v_add_f64 v[2:3], v[2:3], v[4:5]
	s_waitcnt vmcnt(6) lgkmcnt(0)
	v_mul_f64 v[238:239], v[114:115], v[234:235]
	v_mul_f64 v[4:5], v[116:117], v[234:235]
	s_waitcnt vmcnt(4)
	v_fmac_f64_e32 v[238:239], v[116:117], v[236:237]
	v_fma_f64 v[4:5], v[114:115], v[236:237], -v[4:5]
	v_add_f64 v[0:1], v[0:1], v[238:239]
	v_add_f64 v[2:3], v[2:3], v[4:5]
	s_waitcnt vmcnt(2)
	v_add_f64 v[2:3], v[248:249], -v[2:3]
	s_waitcnt vmcnt(0)
	v_add_f64 v[0:1], v[246:247], -v[0:1]
	buffer_store_dword v3, off, s[0:3], 0 offset:196
	buffer_store_dword v2, off, s[0:3], 0 offset:192
	;; [unrolled: 1-line block ×4, first 2 shown]
	v_accvgpr_read_b32 v0, a191
	v_cmp_lt_u32_e32 vcc, 10, v0
	s_and_saveexec_b64 s[4:5], vcc
	s_cbranch_execz .LBB63_389
; %bb.388:
	v_accvgpr_read_b32 v3, a181
	buffer_load_dword v0, v3, s[0:3], 0 offen
	buffer_load_dword v1, v3, s[0:3], 0 offen offset:4
	buffer_load_dword v2, v3, s[0:3], 0 offen offset:8
	s_nop 0
	buffer_load_dword v3, v3, s[0:3], 0 offen offset:12
	v_mov_b32_e32 v4, 0
	v_accvgpr_read_b32 v5, a192
	buffer_store_dword v4, off, s[0:3], 0 offset:176
	buffer_store_dword v4, off, s[0:3], 0 offset:180
	;; [unrolled: 1-line block ×4, first 2 shown]
	s_waitcnt vmcnt(4)
	ds_write_b128 v5, v[0:3]
.LBB63_389:
	s_or_b64 exec, exec, s[4:5]
	s_waitcnt lgkmcnt(0)
	; wave barrier
	s_waitcnt lgkmcnt(0)
	buffer_load_dword v156, off, s[0:3], 0 offset:192
	buffer_load_dword v157, off, s[0:3], 0 offset:196
	;; [unrolled: 1-line block ×36, first 2 shown]
	v_mov_b32_e32 v150, 0
	buffer_load_dword v55, off, s[0:3], 0 offset:364
	buffer_load_dword v54, off, s[0:3], 0 offset:360
	;; [unrolled: 1-line block ×18, first 2 shown]
	ds_read_b128 v[22:25], v150 offset:1200
	ds_read_b128 v[108:111], v150 offset:1216
	;; [unrolled: 1-line block ×9, first 2 shown]
	s_waitcnt vmcnt(50) lgkmcnt(8)
	v_mul_f64 v[0:1], v[22:23], v[16:17]
	v_fmac_f64_e32 v[0:1], v[24:25], v[156:157]
	v_add_f64 v[0:1], v[0:1], 0
	v_mul_f64 v[16:17], v[24:25], v[16:17]
	s_waitcnt vmcnt(46) lgkmcnt(7)
	v_mul_f64 v[2:3], v[108:109], v[20:21]
	v_fmac_f64_e32 v[2:3], v[110:111], v[154:155]
	s_waitcnt vmcnt(44) lgkmcnt(6)
	v_mul_f64 v[4:5], v[112:113], v[26:27]
	v_add_f64 v[0:1], v[0:1], v[2:3]
	s_waitcnt vmcnt(42) lgkmcnt(4)
	v_mul_f64 v[8:9], v[164:165], v[30:31]
	v_mul_f64 v[20:21], v[110:111], v[20:21]
	s_waitcnt vmcnt(40)
	v_fmac_f64_e32 v[8:9], v[166:167], v[32:33]
	v_fma_f64 v[252:253], v[22:23], v[156:157], -v[16:17]
	s_waitcnt vmcnt(38)
	v_mul_f64 v[6:7], v[160:161], v[28:29]
	v_fma_f64 v[254:255], v[108:109], v[154:155], -v[20:21]
	s_waitcnt vmcnt(36) lgkmcnt(2)
	v_mul_f64 v[12:13], v[172:173], v[44:45]
	v_mul_f64 v[26:27], v[114:115], v[26:27]
	s_waitcnt vmcnt(34)
	v_fmac_f64_e32 v[12:13], v[174:175], v[46:47]
	v_mul_f64 v[30:31], v[166:167], v[30:31]
	s_waitcnt vmcnt(32)
	v_mul_f64 v[10:11], v[168:169], v[34:35]
	v_mul_f64 v[34:35], v[170:171], v[34:35]
	s_waitcnt vmcnt(30) lgkmcnt(1)
	v_mul_f64 v[116:117], v[176:177], v[42:43]
	v_mul_f64 v[42:43], v[178:179], v[42:43]
	s_waitcnt vmcnt(28)
	v_fmac_f64_e32 v[4:5], v[114:115], v[158:159]
	v_add_f64 v[0:1], v[0:1], v[4:5]
	s_waitcnt vmcnt(26)
	v_fmac_f64_e32 v[6:7], v[162:163], v[38:39]
	v_add_f64 v[0:1], v[0:1], v[6:7]
	;; [unrolled: 3-line block ×3, first 2 shown]
	v_add_f64 v[0:1], v[0:1], v[10:11]
	v_add_f64 v[2:3], v[0:1], v[12:13]
	buffer_load_dword v107, off, s[0:3], 0 offset:420
	buffer_load_dword v106, off, s[0:3], 0 offset:416
	;; [unrolled: 1-line block ×40, first 2 shown]
	s_waitcnt vmcnt(62)
	v_fmac_f64_e32 v[116:117], v[178:179], v[50:51]
	v_add_f64 v[2:3], v[2:3], v[116:117]
	v_fma_f64 v[110:111], v[168:169], v[36:37], -v[34:35]
	v_fma_f64 v[20:21], v[176:177], v[50:51], -v[42:43]
	s_waitcnt vmcnt(58) lgkmcnt(0)
	v_mul_f64 v[42:43], v[182:183], v[48:49]
	s_waitcnt vmcnt(0)
	v_pk_mov_b32 v[6:7], v[4:5], v[4:5] op_sel:[0,1]
	buffer_load_dword v5, off, s[0:3], 0 offset:580
	buffer_load_dword v4, off, s[0:3], 0 offset:576
	v_accvgpr_write_b32 a195, v7
	v_accvgpr_write_b32 a194, v6
	s_waitcnt vmcnt(0)
	v_pk_mov_b32 v[8:9], v[4:5], v[4:5] op_sel:[0,1]
	buffer_load_dword v91, off, s[0:3], 0 offset:572
	buffer_load_dword v90, off, s[0:3], 0 offset:568
	;; [unrolled: 1-line block ×6, first 2 shown]
	v_accvgpr_write_b32 a197, v9
	v_accvgpr_write_b32 a196, v8
	s_waitcnt vmcnt(0)
	v_pk_mov_b32 v[118:119], v[4:5], v[4:5] op_sel:[0,1]
	buffer_load_dword v5, off, s[0:3], 0 offset:612
	buffer_load_dword v4, off, s[0:3], 0 offset:608
	v_accvgpr_write_b32 a203, v119
	v_accvgpr_write_b32 a202, v118
	s_waitcnt vmcnt(0)
	v_pk_mov_b32 v[120:121], v[4:5], v[4:5] op_sel:[0,1]
	buffer_load_dword v5, off, s[0:3], 0 offset:604
	buffer_load_dword v4, off, s[0:3], 0 offset:600
	;; [unrolled: 6-line block ×7, first 2 shown]
	ds_read_b128 v[184:187], v150 offset:1344
	ds_read_b128 v[192:195], v150 offset:1360
	;; [unrolled: 1-line block ×9, first 2 shown]
	buffer_load_dword v11, off, s[0:3], 0 offset:668
	buffer_load_dword v10, off, s[0:3], 0 offset:664
	;; [unrolled: 1-line block ×4, first 2 shown]
	ds_read_b128 v[224:227], v150 offset:1488
	buffer_load_dword v15, off, s[0:3], 0 offset:684
	buffer_load_dword v14, off, s[0:3], 0 offset:680
	;; [unrolled: 1-line block ×12, first 2 shown]
	ds_read_b128 v[228:231], v150 offset:1504
	ds_read_b128 v[232:235], v150 offset:1520
	;; [unrolled: 1-line block ×8, first 2 shown]
	v_accvgpr_write_b32 a207, v127
	s_waitcnt lgkmcnt(3)
	v_mul_f64 v[12:13], v[244:245], v[90:91]
	v_fmac_f64_e32 v[12:13], v[246:247], v[92:93]
	v_accvgpr_write_b32 a206, v126
	s_waitcnt lgkmcnt(0)
	v_mul_f64 v[22:23], v[130:131], v[118:119]
	v_fmac_f64_e32 v[22:23], v[132:133], v[120:121]
	v_mul_f64 v[16:17], v[198:199], v[96:97]
	v_fma_f64 v[16:17], v[196:197], v[98:99], -v[16:17]
	v_mul_f64 v[50:51], v[218:219], v[84:85]
	v_mul_f64 v[90:91], v[246:247], v[90:91]
	v_fma_f64 v[90:91], v[244:245], v[92:93], -v[90:91]
	v_accvgpr_write_b32 a225, v91
	v_accvgpr_write_b32 a224, v90
	ds_read_b128 v[154:157], v150 offset:1648
	s_waitcnt vmcnt(16)
	v_pk_mov_b32 v[128:129], v[4:5], v[4:5] op_sel:[0,1]
	v_mul_f64 v[4:5], v[180:181], v[48:49]
	v_fmac_f64_e32 v[4:5], v[182:183], v[52:53]
	v_add_f64 v[2:3], v[2:3], v[4:5]
	v_mul_f64 v[4:5], v[184:185], v[58:59]
	v_fmac_f64_e32 v[4:5], v[186:187], v[60:61]
	v_add_f64 v[2:3], v[2:3], v[4:5]
	;; [unrolled: 3-line block ×14, first 2 shown]
	v_mul_f64 v[4:5], v[240:241], v[86:87]
	v_fmac_f64_e32 v[4:5], v[242:243], v[88:89]
	s_waitcnt vmcnt(14)
	v_pk_mov_b32 v[188:189], v[10:11], v[10:11] op_sel:[0,1]
	v_add_f64 v[10:11], v[2:3], v[4:5]
	v_add_f64 v[10:11], v[10:11], v[12:13]
	v_mul_f64 v[12:13], v[142:143], v[6:7]
	v_fmac_f64_e32 v[12:13], v[144:145], v[8:9]
	v_add_f64 v[10:11], v[10:11], v[12:13]
	v_mul_f64 v[12:13], v[146:147], v[122:123]
	v_fmac_f64_e32 v[12:13], v[148:149], v[124:125]
	ds_read_b128 v[122:125], v150 offset:1632
	v_add_f64 v[116:117], v[10:11], v[12:13]
	v_add_f64 v[22:23], v[116:117], v[22:23]
	v_accvgpr_write_b32 a209, v129
	v_accvgpr_write_b32 a208, v128
	s_waitcnt lgkmcnt(0)
	v_mul_f64 v[24:25], v[122:123], v[126:127]
	v_fmac_f64_e32 v[24:25], v[124:125], v[128:129]
	v_add_f64 v[108:109], v[22:23], v[24:25]
	ds_read_b128 v[126:129], v150 offset:1664
	v_fma_f64 v[24:25], v[112:113], v[158:159], -v[26:27]
	v_mul_f64 v[4:5], v[154:155], v[134:135]
	v_mul_f64 v[26:27], v[162:163], v[28:29]
	v_fmac_f64_e32 v[4:5], v[156:157], v[138:139]
	buffer_load_dword v159, off, s[0:3], 0 offset:732
	buffer_load_dword v158, off, s[0:3], 0 offset:728
	;; [unrolled: 1-line block ×4, first 2 shown]
	v_fma_f64 v[162:163], v[160:161], v[38:39], -v[26:27]
	buffer_load_dword v161, off, s[0:3], 0 offset:724
	buffer_load_dword v160, off, s[0:3], 0 offset:720
	;; [unrolled: 1-line block ×3, first 2 shown]
	ds_read_b128 v[118:121], v150 offset:1680
	v_add_f64 v[4:5], v[108:109], v[4:5]
	buffer_load_dword v139, off, s[0:3], 0 offset:740
	v_fma_f64 v[108:109], v[164:165], v[32:33], -v[30:31]
	ds_read_b128 v[30:33], v150 offset:1696
	s_waitcnt lgkmcnt(2)
	v_mul_f64 v[26:27], v[126:127], v[188:189]
	ds_read_b128 v[34:37], v150 offset:1712
	s_waitcnt vmcnt(20)
	v_fmac_f64_e32 v[26:27], v[128:129], v[18:19]
	s_waitcnt vmcnt(18) lgkmcnt(2)
	v_mul_f64 v[38:39], v[118:119], v[14:15]
	v_add_f64 v[4:5], v[4:5], v[26:27]
	s_waitcnt vmcnt(16)
	v_fmac_f64_e32 v[38:39], v[120:121], v[140:141]
	v_add_f64 v[4:5], v[4:5], v[38:39]
	s_waitcnt vmcnt(13) lgkmcnt(1)
	v_mul_f64 v[38:39], v[30:31], v[40:41]
	s_waitcnt vmcnt(11)
	v_fmac_f64_e32 v[38:39], v[32:33], v[152:153]
	v_add_f64 v[4:5], v[4:5], v[38:39]
	s_waitcnt vmcnt(10) lgkmcnt(0)
	v_mul_f64 v[38:39], v[34:35], v[190:191]
	v_accvgpr_write_b32 a221, v41
	s_waitcnt vmcnt(8)
	v_fmac_f64_e32 v[38:39], v[36:37], v[136:137]
	v_accvgpr_write_b32 a220, v40
	v_add_f64 v[112:113], v[4:5], v[38:39]
	ds_read_b128 v[38:41], v150 offset:1728
	buffer_load_dword v27, off, s[0:3], 0 offset:764
	buffer_load_dword v26, off, s[0:3], 0 offset:760
	;; [unrolled: 1-line block ×9, first 2 shown]
	v_mul_f64 v[4:5], v[174:175], v[44:45]
	v_fma_f64 v[22:23], v[172:173], v[46:47], -v[4:5]
	buffer_load_dword v175, off, s[0:3], 0 offset:796
	buffer_load_dword v174, off, s[0:3], 0 offset:792
	;; [unrolled: 1-line block ×8, first 2 shown]
	v_accvgpr_write_b32 a217, v19
	v_accvgpr_write_b32 a219, v15
	v_mul_f64 v[12:13], v[186:187], v[58:59]
	v_accvgpr_write_b32 a216, v18
	v_accvgpr_write_b32 a218, v14
	v_fma_f64 v[18:19], v[180:181], v[52:53], -v[42:43]
	v_fma_f64 v[14:15], v[184:185], v[60:61], -v[12:13]
	buffer_load_dword v183, off, s[0:3], 0 offset:828
	buffer_load_dword v182, off, s[0:3], 0 offset:824
	;; [unrolled: 1-line block ×7, first 2 shown]
	v_accvgpr_write_b32 a215, v189
	v_accvgpr_write_b32 a214, v188
	buffer_load_dword v187, off, s[0:3], 0 offset:860
	buffer_load_dword v186, off, s[0:3], 0 offset:856
	;; [unrolled: 1-line block ×4, first 2 shown]
	v_mul_f64 v[42:43], v[194:195], v[54:55]
	v_fma_f64 v[12:13], v[192:193], v[56:57], -v[42:43]
	buffer_load_dword v193, off, s[0:3], 0 offset:876
	buffer_load_dword v192, off, s[0:3], 0 offset:872
	;; [unrolled: 1-line block ×8, first 2 shown]
	v_mul_f64 v[42:43], v[202:203], v[64:65]
	v_fma_f64 v[200:201], v[200:201], v[66:67], -v[42:43]
	v_mul_f64 v[42:43], v[206:207], v[248:249]
	v_fma_f64 v[248:249], v[204:205], v[250:251], -v[42:43]
	buffer_load_dword v203, off, s[0:3], 0 offset:908
	buffer_load_dword v202, off, s[0:3], 0 offset:904
	buffer_load_dword v205, off, s[0:3], 0 offset:900
	buffer_load_dword v204, off, s[0:3], 0 offset:896
	v_mul_f64 v[42:43], v[210:211], v[62:63]
	v_fma_f64 v[250:251], v[208:209], v[106:107], -v[42:43]
	buffer_load_dword v106, off, s[0:3], 0 offset:936
	buffer_load_dword v209, off, s[0:3], 0 offset:924
	;; [unrolled: 1-line block ×8, first 2 shown]
	v_mul_f64 v[48:49], v[214:215], v[102:103]
	ds_read_b128 v[42:45], v150 offset:1744
	v_fma_f64 v[10:11], v[212:213], v[104:105], -v[48:49]
	buffer_load_dword v213, off, s[0:3], 0 offset:956
	buffer_load_dword v212, off, s[0:3], 0 offset:952
	;; [unrolled: 1-line block ×4, first 2 shown]
	v_mul_f64 v[62:63], v[226:227], v[68:69]
	v_fma_f64 v[6:7], v[224:225], v[70:71], -v[62:63]
	ds_read_b128 v[62:65], v150 offset:1824
	v_mul_f64 v[74:75], v[234:235], v[74:75]
	v_fma_f64 v[2:3], v[232:233], v[76:77], -v[74:75]
	v_mul_f64 v[0:1], v[222:223], v[0:1]
	v_mul_f64 v[78:79], v[238:239], v[78:79]
	v_fma_f64 v[8:9], v[220:221], v[100:101], -v[0:1]
	v_fma_f64 v[0:1], v[236:237], v[80:81], -v[78:79]
	ds_read_b128 v[78:81], v150 offset:1888
	v_mul_f64 v[86:87], v[242:243], v[86:87]
	ds_read_b128 v[74:77], v150 offset:1872
	ds_read_b128 v[90:93], v150 offset:1936
	s_waitcnt vmcnt(58) lgkmcnt(5)
	v_mul_f64 v[46:47], v[38:39], v[158:159]
	s_waitcnt vmcnt(54)
	v_fmac_f64_e32 v[46:47], v[40:41], v[160:161]
	s_waitcnt vmcnt(53) lgkmcnt(4)
	v_mul_f64 v[48:49], v[42:43], v[134:135]
	v_add_f64 v[46:47], v[112:113], v[46:47]
	v_fma_f64 v[112:113], v[216:217], v[94:95], -v[50:51]
	s_waitcnt vmcnt(52)
	v_fmac_f64_e32 v[48:49], v[44:45], v[138:139]
	v_add_f64 v[54:55], v[46:47], v[48:49]
	ds_read_b128 v[46:49], v150 offset:1760
	ds_read_b128 v[50:53], v150 offset:1776
	v_fma_f64 v[216:217], v[240:241], v[88:89], -v[86:87]
	ds_read_b128 v[86:89], v150 offset:1920
	s_waitcnt vmcnt(50) lgkmcnt(2)
	v_mul_f64 v[56:57], v[46:47], v[26:27]
	s_waitcnt vmcnt(48)
	v_fmac_f64_e32 v[56:57], v[48:49], v[168:169]
	v_add_f64 v[58:59], v[54:55], v[56:57]
	ds_read_b128 v[54:57], v150 offset:1792
	s_waitcnt vmcnt(46) lgkmcnt(2)
	v_mul_f64 v[60:61], v[50:51], v[166:167]
	s_waitcnt vmcnt(44)
	v_fmac_f64_e32 v[60:61], v[52:53], v[170:171]
	v_add_f64 v[66:67], v[58:59], v[60:61]
	;; [unrolled: 6-line block ×3, first 2 shown]
	v_mul_f64 v[66:67], v[230:231], v[72:73]
	v_fma_f64 v[4:5], v[228:229], v[82:83], -v[66:67]
	ds_read_b128 v[66:69], v150 offset:1840
	s_waitcnt vmcnt(38) lgkmcnt(1)
	v_mul_f64 v[84:85], v[58:59], v[164:165]
	s_waitcnt vmcnt(36)
	v_fmac_f64_e32 v[84:85], v[60:61], v[176:177]
	s_waitcnt vmcnt(33)
	v_mul_f64 v[72:73], v[62:63], v[182:183]
	v_add_f64 v[70:71], v[70:71], v[84:85]
	s_waitcnt vmcnt(31)
	v_fmac_f64_e32 v[72:73], v[64:65], v[184:185]
	v_add_f64 v[70:71], v[70:71], v[72:73]
	s_waitcnt vmcnt(29) lgkmcnt(0)
	v_mul_f64 v[72:73], v[66:67], v[172:173]
	s_waitcnt vmcnt(28)
	v_fmac_f64_e32 v[72:73], v[68:69], v[180:181]
	v_add_f64 v[82:83], v[70:71], v[72:73]
	ds_read_b128 v[70:73], v150 offset:1856
	s_waitcnt vmcnt(26) lgkmcnt(0)
	v_mul_f64 v[84:85], v[70:71], v[186:187]
	s_waitcnt vmcnt(24)
	v_fmac_f64_e32 v[84:85], v[72:73], v[188:189]
	v_add_f64 v[28:29], v[82:83], v[84:85]
	s_waitcnt vmcnt(22)
	v_mul_f64 v[82:83], v[74:75], v[192:193]
	s_waitcnt vmcnt(20)
	v_fmac_f64_e32 v[82:83], v[76:77], v[196:197]
	v_add_f64 v[28:29], v[28:29], v[82:83]
	s_waitcnt vmcnt(18)
	v_mul_f64 v[82:83], v[78:79], v[194:195]
	s_waitcnt vmcnt(16)
	v_fmac_f64_e32 v[82:83], v[80:81], v[198:199]
	v_add_f64 v[28:29], v[28:29], v[82:83]
	ds_read_b128 v[82:85], v150 offset:1904
	s_waitcnt vmcnt(14) lgkmcnt(0)
	v_mul_f64 v[94:95], v[82:83], v[202:203]
	s_waitcnt vmcnt(12)
	v_fmac_f64_e32 v[94:95], v[84:85], v[204:205]
	v_add_f64 v[28:29], v[28:29], v[94:95]
	s_waitcnt vmcnt(9)
	v_mul_f64 v[94:95], v[86:87], v[208:209]
	s_waitcnt vmcnt(7)
	v_fmac_f64_e32 v[94:95], v[88:89], v[210:211]
	v_add_f64 v[28:29], v[28:29], v[94:95]
	s_waitcnt vmcnt(5)
	v_mul_f64 v[94:95], v[90:91], v[106:107]
	s_waitcnt vmcnt(4)
	v_fmac_f64_e32 v[94:95], v[92:93], v[206:207]
	v_add_f64 v[28:29], v[28:29], v[94:95]
	ds_read_b128 v[94:97], v150 offset:1952
	s_waitcnt vmcnt(2) lgkmcnt(0)
	v_mul_f64 v[98:99], v[94:95], v[212:213]
	s_waitcnt vmcnt(0)
	v_fmac_f64_e32 v[98:99], v[96:97], v[214:215]
	v_add_f64 v[102:103], v[28:29], v[98:99]
	buffer_load_dword v28, off, s[0:3], 0 offset:968
	buffer_load_dword v29, off, s[0:3], 0 offset:972
	;; [unrolled: 1-line block ×4, first 2 shown]
	ds_read_b128 v[98:101], v150 offset:1968
	buffer_load_dword v221, off, s[0:3], 0 offset:988
	buffer_load_dword v220, off, s[0:3], 0 offset:984
	;; [unrolled: 1-line block ×4, first 2 shown]
	s_waitcnt vmcnt(6) lgkmcnt(0)
	v_mul_f64 v[104:105], v[98:99], v[28:29]
	s_waitcnt vmcnt(4)
	v_fmac_f64_e32 v[104:105], v[100:101], v[218:219]
	v_add_f64 v[114:115], v[102:103], v[104:105]
	ds_read_b128 v[102:105], v150 offset:1984
	buffer_load_dword v224, off, s[0:3], 0 offset:1000
	buffer_load_dword v225, off, s[0:3], 0 offset:1004
	buffer_load_dword v226, off, s[0:3], 0 offset:992
	buffer_load_dword v227, off, s[0:3], 0 offset:996
	ds_read_b128 v[238:241], v150 offset:2000
	buffer_load_dword v229, off, s[0:3], 0 offset:1020
	buffer_load_dword v228, off, s[0:3], 0 offset:1016
	buffer_load_dword v231, off, s[0:3], 0 offset:1012
	buffer_load_dword v230, off, s[0:3], 0 offset:1008
	;; [unrolled: 5-line block ×3, first 2 shown]
	s_waitcnt vmcnt(14) lgkmcnt(2)
	v_mul_f64 v[116:117], v[102:103], v[220:221]
	s_waitcnt vmcnt(12)
	v_fmac_f64_e32 v[116:117], v[104:105], v[222:223]
	v_add_f64 v[114:115], v[114:115], v[116:117]
	s_waitcnt vmcnt(10) lgkmcnt(1)
	v_mul_f64 v[116:117], v[238:239], v[224:225]
	s_waitcnt vmcnt(8)
	v_fmac_f64_e32 v[116:117], v[240:241], v[226:227]
	v_add_f64 v[114:115], v[114:115], v[116:117]
	;; [unrolled: 5-line block ×3, first 2 shown]
	ds_read_b128 v[114:117], v150 offset:2032
	s_waitcnt vmcnt(2) lgkmcnt(0)
	v_mul_f64 v[232:233], v[114:115], v[234:235]
	s_waitcnt vmcnt(0)
	v_fmac_f64_e32 v[232:233], v[116:117], v[236:237]
	v_add_f64 v[232:233], v[246:247], v[232:233]
	v_accvgpr_write_b32 a222, v232
	v_accvgpr_write_b32 a223, v233
	v_add_f64 v[232:233], v[252:253], 0
	v_add_f64 v[232:233], v[232:233], v[254:255]
	;; [unrolled: 1-line block ×17, first 2 shown]
	buffer_load_dword v248, off, s[0:3], 0 offset:176
	buffer_load_dword v249, off, s[0:3], 0 offset:180
	v_add_f64 v[8:9], v[10:11], v[8:9]
	buffer_load_dword v246, off, s[0:3], 0 offset:184
	buffer_load_dword v247, off, s[0:3], 0 offset:188
	v_add_f64 v[6:7], v[8:9], v[6:7]
	v_add_f64 v[4:5], v[6:7], v[4:5]
	;; [unrolled: 1-line block ×4, first 2 shown]
	v_accvgpr_read_b32 v2, a194
	v_add_f64 v[252:253], v[0:1], v[216:217]
	v_accvgpr_read_b32 v0, a224
	v_accvgpr_read_b32 v3, a195
	;; [unrolled: 1-line block ×4, first 2 shown]
	v_mul_f64 v[2:3], v[144:145], v[2:3]
	v_accvgpr_read_b32 v5, a197
	v_add_f64 v[0:1], v[252:253], v[0:1]
	v_fma_f64 v[2:3], v[142:143], v[4:5], -v[2:3]
	v_add_f64 v[0:1], v[0:1], v[2:3]
	v_accvgpr_read_b32 v2, a198
	v_accvgpr_read_b32 v3, a199
	v_accvgpr_read_b32 v4, a200
	v_mul_f64 v[2:3], v[148:149], v[2:3]
	v_accvgpr_read_b32 v5, a201
	v_fma_f64 v[2:3], v[146:147], v[4:5], -v[2:3]
	v_add_f64 v[0:1], v[0:1], v[2:3]
	v_accvgpr_read_b32 v2, a202
	v_accvgpr_read_b32 v3, a203
	v_accvgpr_read_b32 v4, a204
	v_mul_f64 v[2:3], v[132:133], v[2:3]
	v_accvgpr_read_b32 v5, a205
	;; [unrolled: 7-line block ×5, first 2 shown]
	v_fma_f64 v[2:3], v[126:127], v[4:5], -v[2:3]
	v_add_f64 v[0:1], v[0:1], v[2:3]
	v_accvgpr_read_b32 v2, a218
	v_accvgpr_read_b32 v3, a219
	v_mul_f64 v[2:3], v[120:121], v[2:3]
	v_fma_f64 v[2:3], v[118:119], v[140:141], -v[2:3]
	v_add_f64 v[0:1], v[0:1], v[2:3]
	v_accvgpr_read_b32 v2, a220
	v_accvgpr_read_b32 v3, a221
	v_mul_f64 v[2:3], v[32:33], v[2:3]
	v_fma_f64 v[2:3], v[30:31], v[152:153], -v[2:3]
	v_add_f64 v[0:1], v[0:1], v[2:3]
	v_mul_f64 v[2:3], v[36:37], v[190:191]
	v_fma_f64 v[2:3], v[34:35], v[136:137], -v[2:3]
	v_add_f64 v[0:1], v[0:1], v[2:3]
	;; [unrolled: 3-line block ×22, first 2 shown]
	v_accvgpr_read_b32 v2, a222
	s_waitcnt vmcnt(2)
	v_add_f64 v[0:1], v[248:249], -v[0:1]
	v_accvgpr_read_b32 v3, a223
	s_waitcnt vmcnt(0)
	v_add_f64 v[2:3], v[246:247], -v[2:3]
	buffer_store_dword v1, off, s[0:3], 0 offset:180
	buffer_store_dword v0, off, s[0:3], 0 offset:176
	buffer_store_dword v3, off, s[0:3], 0 offset:188
	buffer_store_dword v2, off, s[0:3], 0 offset:184
	v_accvgpr_read_b32 v0, a191
	v_cmp_lt_u32_e32 vcc, 9, v0
	s_and_saveexec_b64 s[4:5], vcc
	s_cbranch_execz .LBB63_391
; %bb.390:
	v_accvgpr_read_b32 v3, a182
	buffer_load_dword v0, v3, s[0:3], 0 offen
	buffer_load_dword v1, v3, s[0:3], 0 offen offset:4
	buffer_load_dword v2, v3, s[0:3], 0 offen offset:8
	s_nop 0
	buffer_load_dword v3, v3, s[0:3], 0 offen offset:12
	v_accvgpr_read_b32 v4, a192
	buffer_store_dword v150, off, s[0:3], 0 offset:160
	buffer_store_dword v150, off, s[0:3], 0 offset:164
	;; [unrolled: 1-line block ×4, first 2 shown]
	s_waitcnt vmcnt(4)
	ds_write_b128 v4, v[0:3]
.LBB63_391:
	s_or_b64 exec, exec, s[4:5]
	s_waitcnt lgkmcnt(0)
	; wave barrier
	s_waitcnt lgkmcnt(0)
	buffer_load_dword v130, off, s[0:3], 0 offset:176
	buffer_load_dword v131, off, s[0:3], 0 offset:180
	buffer_load_dword v8, off, s[0:3], 0 offset:184
	buffer_load_dword v9, off, s[0:3], 0 offset:188
	buffer_load_dword v144, off, s[0:3], 0 offset:192
	buffer_load_dword v145, off, s[0:3], 0 offset:196
	buffer_load_dword v12, off, s[0:3], 0 offset:200
	buffer_load_dword v13, off, s[0:3], 0 offset:204
	buffer_load_dword v18, off, s[0:3], 0 offset:216
	buffer_load_dword v19, off, s[0:3], 0 offset:220
	buffer_load_dword v31, off, s[0:3], 0 offset:252
	buffer_load_dword v30, off, s[0:3], 0 offset:248
	buffer_load_dword v33, off, s[0:3], 0 offset:244
	buffer_load_dword v32, off, s[0:3], 0 offset:240
	buffer_load_dword v23, off, s[0:3], 0 offset:236
	buffer_load_dword v22, off, s[0:3], 0 offset:232
	buffer_load_dword v39, off, s[0:3], 0 offset:284
	buffer_load_dword v38, off, s[0:3], 0 offset:280
	buffer_load_dword v41, off, s[0:3], 0 offset:276
	buffer_load_dword v40, off, s[0:3], 0 offset:272
	buffer_load_dword v35, off, s[0:3], 0 offset:268
	buffer_load_dword v34, off, s[0:3], 0 offset:264
	buffer_load_dword v53, off, s[0:3], 0 offset:316
	buffer_load_dword v52, off, s[0:3], 0 offset:312
	buffer_load_dword v54, off, s[0:3], 0 offset:304
	buffer_load_dword v57, off, s[0:3], 0 offset:300
	buffer_load_dword v56, off, s[0:3], 0 offset:296
	buffer_load_dword v51, off, s[0:3], 0 offset:332
	buffer_load_dword v50, off, s[0:3], 0 offset:328
	buffer_load_dword v20, off, s[0:3], 0 offset:208
	buffer_load_dword v21, off, s[0:3], 0 offset:212
	buffer_load_dword v25, off, s[0:3], 0 offset:228
	buffer_load_dword v24, off, s[0:3], 0 offset:224
	buffer_load_dword v37, off, s[0:3], 0 offset:260
	buffer_load_dword v36, off, s[0:3], 0 offset:256
	buffer_load_dword v59, off, s[0:3], 0 offset:292
	buffer_load_dword v58, off, s[0:3], 0 offset:288
	buffer_load_dword v55, off, s[0:3], 0 offset:308
	buffer_load_dword v60, off, s[0:3], 0 offset:344
	buffer_load_dword v62, off, s[0:3], 0 offset:336
	buffer_load_dword v63, off, s[0:3], 0 offset:340
	buffer_load_dword v61, off, s[0:3], 0 offset:348
	ds_read_b128 v[14:17], v150 offset:1184
	ds_read_b128 v[26:29], v150 offset:1200
	;; [unrolled: 1-line block ×10, first 2 shown]
	buffer_load_dword v103, off, s[0:3], 0 offset:324
	buffer_load_dword v102, off, s[0:3], 0 offset:320
	ds_read_b128 v[42:45], v150 offset:1344
	buffer_load_dword v65, off, s[0:3], 0 offset:380
	buffer_load_dword v64, off, s[0:3], 0 offset:376
	;; [unrolled: 1-line block ×6, first 2 shown]
	s_waitcnt vmcnt(46) lgkmcnt(10)
	v_mul_f64 v[0:1], v[14:15], v[8:9]
	v_fmac_f64_e32 v[0:1], v[16:17], v[130:131]
	v_add_f64 v[0:1], v[0:1], 0
	v_mul_f64 v[8:9], v[16:17], v[8:9]
	s_waitcnt vmcnt(42) lgkmcnt(9)
	v_mul_f64 v[2:3], v[26:27], v[12:13]
	v_fmac_f64_e32 v[2:3], v[28:29], v[144:145]
	s_waitcnt vmcnt(40) lgkmcnt(8)
	v_mul_f64 v[4:5], v[104:105], v[18:19]
	v_add_f64 v[0:1], v[0:1], v[2:3]
	s_waitcnt vmcnt(38) lgkmcnt(6)
	v_mul_f64 v[68:69], v[112:113], v[30:31]
	v_fma_f64 v[130:131], v[14:15], v[130:131], -v[8:9]
	s_waitcnt vmcnt(36)
	v_fmac_f64_e32 v[68:69], v[114:115], v[32:33]
	v_mul_f64 v[12:13], v[28:29], v[12:13]
	s_waitcnt vmcnt(34)
	v_mul_f64 v[66:67], v[108:109], v[22:23]
	v_mul_f64 v[30:31], v[114:115], v[30:31]
	s_waitcnt vmcnt(32) lgkmcnt(4)
	v_mul_f64 v[74:75], v[162:163], v[38:39]
	v_mul_f64 v[18:19], v[106:107], v[18:19]
	s_waitcnt vmcnt(30)
	v_fmac_f64_e32 v[74:75], v[164:165], v[40:41]
	v_mul_f64 v[22:23], v[110:111], v[22:23]
	s_waitcnt vmcnt(28)
	v_mul_f64 v[72:73], v[154:155], v[34:35]
	v_mul_f64 v[34:35], v[156:157], v[34:35]
	s_waitcnt vmcnt(26) lgkmcnt(2)
	v_mul_f64 v[78:79], v[170:171], v[52:53]
	v_mul_f64 v[52:53], v[172:173], v[52:53]
	s_waitcnt vmcnt(23)
	v_mul_f64 v[76:77], v[166:167], v[56:57]
	v_mul_f64 v[8:9], v[168:169], v[56:57]
	s_waitcnt vmcnt(21) lgkmcnt(1)
	v_mul_f64 v[142:143], v[46:47], v[50:51]
	s_waitcnt vmcnt(19)
	v_fmac_f64_e32 v[4:5], v[106:107], v[20:21]
	v_add_f64 v[0:1], v[0:1], v[4:5]
	s_waitcnt vmcnt(17)
	v_fmac_f64_e32 v[66:67], v[110:111], v[24:25]
	v_add_f64 v[0:1], v[0:1], v[66:67]
	s_waitcnt vmcnt(15)
	v_fmac_f64_e32 v[72:73], v[156:157], v[36:37]
	v_add_f64 v[0:1], v[0:1], v[68:69]
	v_add_f64 v[0:1], v[0:1], v[72:73]
	s_waitcnt vmcnt(13)
	v_fmac_f64_e32 v[76:77], v[168:169], v[58:59]
	v_add_f64 v[0:1], v[0:1], v[74:75]
	s_waitcnt vmcnt(12)
	v_fmac_f64_e32 v[78:79], v[172:173], v[54:55]
	v_add_f64 v[0:1], v[0:1], v[76:77]
	v_add_f64 v[2:3], v[0:1], v[78:79]
	buffer_load_dword v185, off, s[0:3], 0 offset:356
	buffer_load_dword v184, off, s[0:3], 0 offset:352
	;; [unrolled: 1-line block ×52, first 2 shown]
	s_waitcnt vmcnt(58)
	v_fmac_f64_e32 v[142:143], v[48:49], v[102:103]
	v_add_f64 v[2:3], v[2:3], v[142:143]
	v_fma_f64 v[106:107], v[112:113], v[32:33], -v[30:31]
	v_fma_f64 v[104:105], v[104:105], v[20:21], -v[18:19]
	;; [unrolled: 1-line block ×3, first 2 shown]
	s_waitcnt vmcnt(0)
	v_pk_mov_b32 v[120:121], v[4:5], v[4:5] op_sel:[0,1]
	buffer_load_dword v5, off, s[0:3], 0 offset:596
	buffer_load_dword v4, off, s[0:3], 0 offset:592
	v_accvgpr_write_b32 a201, v121
	v_accvgpr_write_b32 a200, v120
	s_waitcnt vmcnt(0)
	v_pk_mov_b32 v[122:123], v[4:5], v[4:5] op_sel:[0,1]
	buffer_load_dword v5, off, s[0:3], 0 offset:588
	buffer_load_dword v4, off, s[0:3], 0 offset:584
	v_accvgpr_write_b32 a203, v123
	v_accvgpr_write_b32 a202, v122
	s_waitcnt vmcnt(0)
	v_pk_mov_b32 v[138:139], v[4:5], v[4:5] op_sel:[0,1]
	buffer_load_dword v5, off, s[0:3], 0 offset:580
	buffer_load_dword v4, off, s[0:3], 0 offset:576
	v_pk_mov_b32 v[152:153], v[138:139], v[138:139] op_sel:[0,1]
	s_waitcnt vmcnt(0)
	v_pk_mov_b32 v[140:141], v[4:5], v[4:5] op_sel:[0,1]
	buffer_load_dword v5, off, s[0:3], 0 offset:636
	buffer_load_dword v4, off, s[0:3], 0 offset:632
	v_accvgpr_write_b32 a195, v141
	v_accvgpr_write_b32 a194, v140
	s_waitcnt vmcnt(0)
	v_pk_mov_b32 v[124:125], v[4:5], v[4:5] op_sel:[0,1]
	buffer_load_dword v5, off, s[0:3], 0 offset:628
	buffer_load_dword v4, off, s[0:3], 0 offset:624
	v_accvgpr_write_b32 a209, v125
	v_accvgpr_write_b32 a208, v124
	;; [unrolled: 6-line block ×6, first 2 shown]
	s_waitcnt vmcnt(0)
	v_pk_mov_b32 v[180:181], v[4:5], v[4:5] op_sel:[0,1]
	buffer_load_dword v11, off, s[0:3], 0 offset:652
	buffer_load_dword v10, off, s[0:3], 0 offset:648
	;; [unrolled: 1-line block ×4, first 2 shown]
	ds_read_b128 v[174:177], v150 offset:1360
	ds_read_b128 v[192:195], v150 offset:1376
	;; [unrolled: 1-line block ×7, first 2 shown]
	buffer_load_dword v119, off, s[0:3], 0 offset:684
	buffer_load_dword v118, off, s[0:3], 0 offset:680
	v_accvgpr_write_b32 a215, v181
	v_accvgpr_write_b32 a214, v180
	s_waitcnt lgkmcnt(4)
	v_mul_f64 v[20:21], v[198:199], v[248:249]
	v_fma_f64 v[20:21], v[196:197], v[250:251], -v[20:21]
	s_waitcnt vmcnt(4)
	v_accvgpr_write_b32 a219, v11
	v_accvgpr_write_b32 a218, v10
	s_waitcnt vmcnt(2)
	v_pk_mov_b32 v[186:187], v[4:5], v[4:5] op_sel:[0,1]
	v_mul_f64 v[4:5], v[42:43], v[60:61]
	v_fmac_f64_e32 v[4:5], v[44:45], v[62:63]
	v_add_f64 v[2:3], v[2:3], v[4:5]
	v_mul_f64 v[4:5], v[174:175], v[116:117]
	v_fmac_f64_e32 v[4:5], v[176:177], v[184:185]
	v_add_f64 v[2:3], v[2:3], v[4:5]
	v_mul_f64 v[4:5], v[192:193], v[64:65]
	s_waitcnt vmcnt(0)
	v_pk_mov_b32 v[188:189], v[118:119], v[118:119] op_sel:[0,1]
	buffer_load_dword v119, off, s[0:3], 0 offset:676
	buffer_load_dword v118, off, s[0:3], 0 offset:672
	ds_read_b128 v[220:223], v150 offset:1472
	buffer_load_dword v128, off, s[0:3], 0 offset:696
	buffer_load_dword v129, off, s[0:3], 0 offset:700
	;; [unrolled: 1-line block ×4, first 2 shown]
	ds_read_b128 v[224:227], v150 offset:1488
	ds_read_b128 v[228:231], v150 offset:1504
	;; [unrolled: 1-line block ×4, first 2 shown]
	buffer_load_dword v137, off, s[0:3], 0 offset:716
	buffer_load_dword v136, off, s[0:3], 0 offset:712
	;; [unrolled: 1-line block ×4, first 2 shown]
	v_fmac_f64_e32 v[4:5], v[194:195], v[70:71]
	v_add_f64 v[2:3], v[2:3], v[4:5]
	v_mul_f64 v[4:5], v[196:197], v[248:249]
	v_fmac_f64_e32 v[4:5], v[198:199], v[250:251]
	v_add_f64 v[2:3], v[2:3], v[4:5]
	s_waitcnt lgkmcnt(8)
	v_mul_f64 v[4:5], v[200:201], v[208:209]
	v_fmac_f64_e32 v[4:5], v[202:203], v[210:211]
	v_add_f64 v[2:3], v[2:3], v[4:5]
	s_waitcnt lgkmcnt(7)
	;; [unrolled: 4-line block ×7, first 2 shown]
	v_mul_f64 v[4:5], v[228:229], v[66:67]
	v_fmac_f64_e32 v[4:5], v[230:231], v[68:69]
	ds_read_b128 v[240:243], v150 offset:1552
	ds_read_b128 v[244:247], v150 offset:1568
	v_add_f64 v[2:3], v[2:3], v[4:5]
	s_waitcnt lgkmcnt(3)
	v_mul_f64 v[4:5], v[232:233], v[72:73]
	v_fmac_f64_e32 v[4:5], v[234:235], v[74:75]
	v_add_f64 v[2:3], v[2:3], v[4:5]
	s_waitcnt lgkmcnt(2)
	v_mul_f64 v[4:5], v[236:237], v[78:79]
	v_fmac_f64_e32 v[4:5], v[238:239], v[80:81]
	ds_read_b128 v[132:135], v150 offset:1584
	ds_read_b128 v[14:17], v150 offset:1600
	v_add_f64 v[2:3], v[2:3], v[4:5]
	s_waitcnt lgkmcnt(3)
	v_mul_f64 v[4:5], v[240:241], v[82:83]
	v_fmac_f64_e32 v[4:5], v[242:243], v[84:85]
	v_add_f64 v[2:3], v[2:3], v[4:5]
	s_waitcnt lgkmcnt(2)
	v_mul_f64 v[4:5], v[244:245], v[90:91]
	v_fmac_f64_e32 v[4:5], v[246:247], v[92:93]
	v_add_f64 v[158:159], v[2:3], v[4:5]
	s_waitcnt lgkmcnt(1)
	v_mul_f64 v[4:5], v[132:133], v[138:139]
	ds_read_b128 v[146:149], v150 offset:1616
	v_fmac_f64_e32 v[4:5], v[134:135], v[140:141]
	v_add_f64 v[4:5], v[158:159], v[4:5]
	v_fma_f64 v[158:159], v[26:27], v[144:145], -v[12:13]
	ds_read_b128 v[142:145], v150 offset:1632
	s_waitcnt lgkmcnt(2)
	v_pk_mov_b32 v[28:29], v[16:17], v[16:17] op_sel:[0,1]
	v_pk_mov_b32 v[26:27], v[14:15], v[14:15] op_sel:[0,1]
	v_mul_f64 v[14:15], v[26:27], v[120:121]
	v_accvgpr_write_b32 a199, v29
	v_fmac_f64_e32 v[14:15], v[28:29], v[122:123]
	v_accvgpr_write_b32 a198, v28
	v_accvgpr_write_b32 a197, v27
	;; [unrolled: 1-line block ×3, first 2 shown]
	s_waitcnt lgkmcnt(1)
	v_mul_f64 v[26:27], v[146:147], v[178:179]
	v_add_f64 v[4:5], v[4:5], v[14:15]
	v_fmac_f64_e32 v[26:27], v[148:149], v[182:183]
	ds_read_b128 v[138:141], v150 offset:1648
	v_add_f64 v[4:5], v[4:5], v[26:27]
	s_waitcnt lgkmcnt(1)
	v_mul_f64 v[26:27], v[142:143], v[124:125]
	v_fmac_f64_e32 v[26:27], v[144:145], v[126:127]
	ds_read_b128 v[124:127], v150 offset:1664
	ds_read_b128 v[120:123], v150 offset:1680
	ds_read_b128 v[30:33], v150 offset:1696
	v_add_f64 v[4:5], v[4:5], v[26:27]
	s_waitcnt lgkmcnt(3)
	v_mul_f64 v[26:27], v[138:139], v[10:11]
	v_fmac_f64_e32 v[26:27], v[140:141], v[186:187]
	v_add_f64 v[4:5], v[4:5], v[26:27]
	s_waitcnt lgkmcnt(2)
	v_mul_f64 v[26:27], v[124:125], v[160:161]
	v_fma_f64 v[178:179], v[108:109], v[24:25], -v[22:23]
	v_fmac_f64_e32 v[26:27], v[126:127], v[180:181]
	s_waitcnt lgkmcnt(1)
	v_mul_f64 v[108:109], v[120:121], v[188:189]
	v_add_f64 v[4:5], v[4:5], v[26:27]
	s_waitcnt vmcnt(8)
	v_fmac_f64_e32 v[108:109], v[122:123], v[118:119]
	s_waitcnt vmcnt(6) lgkmcnt(0)
	v_mul_f64 v[110:111], v[30:31], v[128:129]
	v_add_f64 v[4:5], v[4:5], v[108:109]
	s_waitcnt vmcnt(4)
	v_fmac_f64_e32 v[110:111], v[32:33], v[6:7]
	v_fma_f64 v[108:109], v[154:155], v[36:37], -v[34:35]
	ds_read_b128 v[34:37], v150 offset:1712
	buffer_load_dword v155, off, s[0:3], 0 offset:732
	buffer_load_dword v154, off, s[0:3], 0 offset:728
	v_add_f64 v[110:111], v[4:5], v[110:111]
	v_mul_f64 v[4:5], v[164:165], v[38:39]
	buffer_load_dword v161, off, s[0:3], 0 offset:724
	buffer_load_dword v160, off, s[0:3], 0 offset:720
	v_fma_f64 v[22:23], v[162:163], v[40:41], -v[4:5]
	buffer_load_dword v156, off, s[0:3], 0 offset:760
	buffer_load_dword v26, off, s[0:3], 0 offset:752
	buffer_load_dword v163, off, s[0:3], 0 offset:748
	buffer_load_dword v162, off, s[0:3], 0 offset:744
	buffer_load_dword v165, off, s[0:3], 0 offset:740
	buffer_load_dword v164, off, s[0:3], 0 offset:736
	buffer_load_dword v157, off, s[0:3], 0 offset:764
	buffer_load_dword v27, off, s[0:3], 0 offset:756
	s_waitcnt vmcnt(14) lgkmcnt(0)
	v_mul_f64 v[38:39], v[34:35], v[136:137]
	s_waitcnt vmcnt(12)
	v_fmac_f64_e32 v[38:39], v[36:37], v[190:191]
	v_add_f64 v[56:57], v[110:111], v[38:39]
	ds_read_b128 v[38:41], v150 offset:1728
	v_fma_f64 v[16:17], v[170:171], v[54:55], -v[52:53]
	buffer_load_dword v167, off, s[0:3], 0 offset:780
	buffer_load_dword v166, off, s[0:3], 0 offset:776
	buffer_load_dword v171, off, s[0:3], 0 offset:772
	buffer_load_dword v170, off, s[0:3], 0 offset:768
	buffer_load_dword v168, off, s[0:3], 0 offset:792
	buffer_load_dword v172, off, s[0:3], 0 offset:784
	buffer_load_dword v169, off, s[0:3], 0 offset:796
	buffer_load_dword v173, off, s[0:3], 0 offset:788
	v_mul_f64 v[12:13], v[48:49], v[50:51]
	v_fma_f64 v[12:13], v[46:47], v[102:103], -v[12:13]
	v_mul_f64 v[14:15], v[176:177], v[116:117]
	buffer_load_dword v177, off, s[0:3], 0 offset:812
	buffer_load_dword v176, off, s[0:3], 0 offset:808
	;; [unrolled: 1-line block ×8, first 2 shown]
	v_accvgpr_write_b32 a217, v187
	v_accvgpr_write_b32 a221, v189
	;; [unrolled: 1-line block ×4, first 2 shown]
	v_fma_f64 v[14:15], v[174:175], v[184:185], -v[14:15]
	buffer_load_dword v174, off, s[0:3], 0 offset:856
	buffer_load_dword v187, off, s[0:3], 0 offset:844
	;; [unrolled: 1-line block ×8, first 2 shown]
	v_mul_f64 v[44:45], v[44:45], v[60:61]
	v_fma_f64 v[10:11], v[42:43], v[62:63], -v[44:45]
	v_mul_f64 v[42:43], v[194:195], v[64:65]
	v_fma_f64 v[8:9], v[192:193], v[70:71], -v[42:43]
	buffer_load_dword v193, off, s[0:3], 0 offset:876
	buffer_load_dword v192, off, s[0:3], 0 offset:872
	buffer_load_dword v195, off, s[0:3], 0 offset:868
	buffer_load_dword v194, off, s[0:3], 0 offset:864
	v_mul_f64 v[42:43], v[202:203], v[208:209]
	v_fma_f64 v[248:249], v[200:201], v[210:211], -v[42:43]
	buffer_load_dword v198, off, s[0:3], 0 offset:888
	buffer_load_dword v200, off, s[0:3], 0 offset:880
	buffer_load_dword v199, off, s[0:3], 0 offset:892
	buffer_load_dword v201, off, s[0:3], 0 offset:884
	;; [unrolled: 6-line block ×3, first 2 shown]
	buffer_load_dword v208, off, s[0:3], 0 offset:896
	buffer_load_dword v196, off, s[0:3], 0 offset:920
	buffer_load_dword v207, off, s[0:3], 0 offset:916
	buffer_load_dword v206, off, s[0:3], 0 offset:912
	buffer_load_dword v205, off, s[0:3], 0 offset:940
	buffer_load_dword v204, off, s[0:3], 0 offset:936
	buffer_load_dword v211, off, s[0:3], 0 offset:932
	buffer_load_dword v210, off, s[0:3], 0 offset:928
	v_mul_f64 v[46:47], v[214:215], v[94:95]
	ds_read_b128 v[42:45], v150 offset:1744
	v_fma_f64 v[250:251], v[212:213], v[96:97], -v[46:47]
	buffer_load_dword v212, off, s[0:3], 0 offset:952
	buffer_load_dword v214, off, s[0:3], 0 offset:944
	;; [unrolled: 1-line block ×4, first 2 shown]
	v_accvgpr_write_b32 a227, v7
	v_mul_f64 v[46:47], v[218:219], v[98:99]
	v_accvgpr_write_b32 a226, v6
	v_fma_f64 v[6:7], v[216:217], v[100:101], -v[46:47]
	ds_read_b128 v[46:49], v150 offset:1760
	v_mul_f64 v[54:55], v[222:223], v[76:77]
	v_fma_f64 v[4:5], v[220:221], v[86:87], -v[54:55]
	v_mul_f64 v[0:1], v[226:227], v[0:1]
	v_mul_f64 v[66:67], v[230:231], v[66:67]
	v_fma_f64 v[2:3], v[224:225], v[88:89], -v[0:1]
	v_fma_f64 v[0:1], v[228:229], v[68:69], -v[66:67]
	v_mul_f64 v[70:71], v[234:235], v[72:73]
	v_fma_f64 v[232:233], v[232:233], v[74:75], -v[70:71]
	ds_read_b128 v[66:69], v150 offset:1840
	ds_read_b128 v[70:73], v150 offset:1856
	ds_read_b128 v[74:77], v150 offset:1872
	v_mul_f64 v[90:91], v[246:247], v[90:91]
	v_fma_f64 v[252:253], v[244:245], v[92:93], -v[90:91]
	v_accvgpr_write_b32 a223, v119
	v_accvgpr_write_b32 a222, v118
	v_add_f64 v[118:119], v[130:131], 0
	v_add_f64 v[118:119], v[118:119], v[158:159]
	;; [unrolled: 1-line block ×15, first 2 shown]
	v_accvgpr_write_b32 a225, v129
	v_add_f64 v[8:9], v[8:9], v[254:255]
	v_accvgpr_write_b32 a224, v128
	v_pk_mov_b32 v[128:129], v[190:191], v[190:191] op_sel:[0,1]
	v_add_f64 v[8:9], v[8:9], v[250:251]
	v_add_f64 v[6:7], v[8:9], v[6:7]
	s_waitcnt vmcnt(58) lgkmcnt(5)
	v_mul_f64 v[50:51], v[38:39], v[154:155]
	ds_read_b128 v[90:93], v150 offset:1936
	v_add_f64 v[4:5], v[6:7], v[4:5]
	s_waitcnt vmcnt(56)
	v_fmac_f64_e32 v[50:51], v[40:41], v[160:161]
	v_add_f64 v[50:51], v[56:57], v[50:51]
	s_waitcnt vmcnt(52) lgkmcnt(5)
	v_mul_f64 v[52:53], v[42:43], v[162:163]
	s_waitcnt vmcnt(50)
	v_fmac_f64_e32 v[52:53], v[44:45], v[164:165]
	v_add_f64 v[50:51], v[50:51], v[52:53]
	ds_read_b128 v[54:57], v150 offset:1792
	s_waitcnt vmcnt(49) lgkmcnt(5)
	v_mul_f64 v[52:53], v[46:47], v[156:157]
	s_waitcnt vmcnt(48)
	v_fmac_f64_e32 v[52:53], v[48:49], v[26:27]
	v_add_f64 v[58:59], v[50:51], v[52:53]
	ds_read_b128 v[50:53], v150 offset:1776
	s_waitcnt vmcnt(41) lgkmcnt(1)
	v_mul_f64 v[62:63], v[54:55], v[168:169]
	s_waitcnt vmcnt(40)
	v_fmac_f64_e32 v[62:63], v[56:57], v[172:173]
	v_add_f64 v[2:3], v[4:5], v[2:3]
	v_add_f64 v[0:1], v[2:3], v[0:1]
	s_waitcnt lgkmcnt(0)
	v_mul_f64 v[24:25], v[50:51], v[166:167]
	v_fmac_f64_e32 v[24:25], v[52:53], v[170:171]
	v_add_f64 v[24:25], v[58:59], v[24:25]
	ds_read_b128 v[58:61], v150 offset:1808
	v_add_f64 v[24:25], v[24:25], v[62:63]
	ds_read_b128 v[62:65], v150 offset:1824
	v_add_f64 v[0:1], v[0:1], v[232:233]
	v_accvgpr_read_b32 v4, a194
	s_waitcnt vmcnt(38) lgkmcnt(1)
	v_mul_f64 v[28:29], v[58:59], v[176:177]
	s_waitcnt vmcnt(36)
	v_fmac_f64_e32 v[28:29], v[60:61], v[180:181]
	v_add_f64 v[24:25], v[24:25], v[28:29]
	s_waitcnt vmcnt(34) lgkmcnt(0)
	v_mul_f64 v[28:29], v[62:63], v[102:103]
	s_waitcnt vmcnt(32)
	v_fmac_f64_e32 v[28:29], v[64:65], v[182:183]
	v_add_f64 v[24:25], v[24:25], v[28:29]
	s_waitcnt vmcnt(29)
	v_mul_f64 v[28:29], v[66:67], v[186:187]
	s_waitcnt vmcnt(27)
	v_fmac_f64_e32 v[28:29], v[68:69], v[188:189]
	v_add_f64 v[24:25], v[24:25], v[28:29]
	s_waitcnt vmcnt(25)
	v_mul_f64 v[28:29], v[70:71], v[174:175]
	s_waitcnt vmcnt(24)
	v_fmac_f64_e32 v[28:29], v[72:73], v[184:185]
	v_add_f64 v[24:25], v[24:25], v[28:29]
	v_mul_f64 v[28:29], v[238:239], v[78:79]
	v_fma_f64 v[28:29], v[236:237], v[80:81], -v[28:29]
	ds_read_b128 v[78:81], v150 offset:1888
	s_waitcnt vmcnt(22)
	v_mul_f64 v[86:87], v[74:75], v[192:193]
	s_waitcnt vmcnt(20)
	v_fmac_f64_e32 v[86:87], v[76:77], v[194:195]
	v_add_f64 v[86:87], v[24:25], v[86:87]
	v_mul_f64 v[24:25], v[242:243], v[82:83]
	v_fma_f64 v[24:25], v[240:241], v[84:85], -v[24:25]
	ds_read_b128 v[82:85], v150 offset:1904
	s_waitcnt vmcnt(17) lgkmcnt(1)
	v_mul_f64 v[88:89], v[78:79], v[198:199]
	s_waitcnt vmcnt(16)
	v_fmac_f64_e32 v[88:89], v[80:81], v[200:201]
	v_add_f64 v[94:95], v[86:87], v[88:89]
	ds_read_b128 v[86:89], v150 offset:1920
	s_waitcnt vmcnt(13) lgkmcnt(1)
	v_mul_f64 v[96:97], v[82:83], v[202:203]
	s_waitcnt vmcnt(11)
	v_fmac_f64_e32 v[96:97], v[84:85], v[208:209]
	v_add_f64 v[94:95], v[94:95], v[96:97]
	v_add_f64 v[254:255], v[0:1], v[28:29]
	s_waitcnt vmcnt(10) lgkmcnt(0)
	v_mul_f64 v[96:97], v[86:87], v[196:197]
	s_waitcnt vmcnt(8)
	v_fmac_f64_e32 v[96:97], v[88:89], v[206:207]
	v_add_f64 v[94:95], v[94:95], v[96:97]
	s_waitcnt vmcnt(6)
	v_mul_f64 v[96:97], v[90:91], v[204:205]
	s_waitcnt vmcnt(4)
	v_fmac_f64_e32 v[96:97], v[92:93], v[210:211]
	v_add_f64 v[98:99], v[94:95], v[96:97]
	ds_read_b128 v[94:97], v150 offset:1952
	buffer_load_dword v217, off, s[0:3], 0 offset:972
	buffer_load_dword v216, off, s[0:3], 0 offset:968
	;; [unrolled: 1-line block ×4, first 2 shown]
	v_add_f64 v[0:1], v[254:255], v[24:25]
	v_mul_f64 v[2:3], v[134:135], v[152:153]
	v_accvgpr_read_b32 v5, a195
	s_waitcnt vmcnt(5) lgkmcnt(0)
	v_mul_f64 v[100:101], v[94:95], v[212:213]
	s_waitcnt vmcnt(4)
	v_fmac_f64_e32 v[100:101], v[96:97], v[214:215]
	v_add_f64 v[110:111], v[98:99], v[100:101]
	ds_read_b128 v[98:101], v150 offset:1968
	buffer_load_dword v220, off, s[0:3], 0 offset:984
	buffer_load_dword v221, off, s[0:3], 0 offset:988
	buffer_load_dword v222, off, s[0:3], 0 offset:976
	buffer_load_dword v223, off, s[0:3], 0 offset:980
	ds_read_b128 v[238:241], v150 offset:1984
	buffer_load_dword v225, off, s[0:3], 0 offset:1004
	buffer_load_dword v224, off, s[0:3], 0 offset:1000
	buffer_load_dword v227, off, s[0:3], 0 offset:996
	buffer_load_dword v226, off, s[0:3], 0 offset:992
	;; [unrolled: 5-line block ×3, first 2 shown]
	v_add_f64 v[0:1], v[0:1], v[252:253]
	v_fma_f64 v[2:3], v[132:133], v[4:5], -v[2:3]
	v_add_f64 v[0:1], v[0:1], v[2:3]
	v_accvgpr_read_b32 v4, a196
	v_accvgpr_read_b32 v2, a200
	;; [unrolled: 1-line block ×5, first 2 shown]
	v_mul_f64 v[2:3], v[6:7], v[2:3]
	v_accvgpr_read_b32 v6, a202
	v_accvgpr_read_b32 v5, a197
	;; [unrolled: 1-line block ×3, first 2 shown]
	v_fma_f64 v[2:3], v[4:5], v[6:7], -v[2:3]
	v_add_f64 v[0:1], v[0:1], v[2:3]
	v_accvgpr_read_b32 v2, a204
	v_accvgpr_read_b32 v3, a205
	v_accvgpr_read_b32 v4, a206
	v_mul_f64 v[2:3], v[148:149], v[2:3]
	v_accvgpr_read_b32 v5, a207
	v_fma_f64 v[2:3], v[146:147], v[4:5], -v[2:3]
	v_add_f64 v[0:1], v[0:1], v[2:3]
	v_accvgpr_read_b32 v2, a208
	v_accvgpr_read_b32 v3, a209
	v_accvgpr_read_b32 v4, a210
	v_mul_f64 v[2:3], v[144:145], v[2:3]
	v_accvgpr_read_b32 v5, a211
	;; [unrolled: 7-line block ×6, first 2 shown]
	v_fma_f64 v[2:3], v[30:31], v[4:5], -v[2:3]
	v_add_f64 v[0:1], v[0:1], v[2:3]
	v_mul_f64 v[2:3], v[36:37], v[136:137]
	v_fma_f64 v[2:3], v[34:35], v[128:129], -v[2:3]
	v_add_f64 v[0:1], v[0:1], v[2:3]
	v_mul_f64 v[2:3], v[40:41], v[154:155]
	;; [unrolled: 3-line block ×3, first 2 shown]
	v_fma_f64 v[2:3], v[42:43], v[164:165], -v[2:3]
	v_add_f64 v[0:1], v[0:1], v[2:3]
	s_waitcnt vmcnt(14) lgkmcnt(2)
	v_mul_f64 v[112:113], v[98:99], v[216:217]
	v_mul_f64 v[2:3], v[48:49], v[156:157]
	s_waitcnt vmcnt(12)
	v_fmac_f64_e32 v[112:113], v[100:101], v[218:219]
	v_add_f64 v[110:111], v[110:111], v[112:113]
	v_fma_f64 v[2:3], v[46:47], v[26:27], -v[2:3]
	v_add_f64 v[0:1], v[0:1], v[2:3]
	v_mul_f64 v[2:3], v[52:53], v[166:167]
	v_fma_f64 v[2:3], v[50:51], v[170:171], -v[2:3]
	s_waitcnt vmcnt(10) lgkmcnt(1)
	v_mul_f64 v[112:113], v[238:239], v[220:221]
	v_add_f64 v[0:1], v[0:1], v[2:3]
	s_waitcnt vmcnt(8)
	v_fmac_f64_e32 v[112:113], v[240:241], v[222:223]
	v_add_f64 v[110:111], v[110:111], v[112:113]
	s_waitcnt vmcnt(6) lgkmcnt(0)
	v_mul_f64 v[112:113], v[242:243], v[224:225]
	s_waitcnt vmcnt(4)
	v_fmac_f64_e32 v[112:113], v[244:245], v[226:227]
	v_add_f64 v[114:115], v[110:111], v[112:113]
	ds_read_b128 v[110:113], v150 offset:2016
	buffer_load_dword v235, off, s[0:3], 0 offset:1036
	buffer_load_dword v234, off, s[0:3], 0 offset:1032
	;; [unrolled: 1-line block ×4, first 2 shown]
	v_mul_f64 v[2:3], v[56:57], v[168:169]
	v_fma_f64 v[2:3], v[54:55], v[172:173], -v[2:3]
	v_add_f64 v[0:1], v[0:1], v[2:3]
	s_waitcnt vmcnt(6) lgkmcnt(0)
	v_mul_f64 v[116:117], v[110:111], v[228:229]
	s_waitcnt vmcnt(4)
	v_fmac_f64_e32 v[116:117], v[112:113], v[230:231]
	v_add_f64 v[246:247], v[114:115], v[116:117]
	ds_read_b128 v[114:117], v150 offset:2032
	v_mul_f64 v[2:3], v[60:61], v[176:177]
	v_fma_f64 v[2:3], v[58:59], v[180:181], -v[2:3]
	v_add_f64 v[0:1], v[0:1], v[2:3]
	v_mul_f64 v[2:3], v[64:65], v[102:103]
	v_fma_f64 v[2:3], v[62:63], v[182:183], -v[2:3]
	v_add_f64 v[0:1], v[0:1], v[2:3]
	;; [unrolled: 3-line block ×14, first 2 shown]
	s_waitcnt vmcnt(2) lgkmcnt(0)
	v_mul_f64 v[190:191], v[114:115], v[234:235]
	v_mul_f64 v[2:3], v[116:117], v[234:235]
	s_waitcnt vmcnt(0)
	v_fmac_f64_e32 v[190:191], v[116:117], v[236:237]
	v_add_f64 v[190:191], v[246:247], v[190:191]
	buffer_load_dword v248, off, s[0:3], 0 offset:160
	buffer_load_dword v249, off, s[0:3], 0 offset:164
	;; [unrolled: 1-line block ×4, first 2 shown]
	v_fma_f64 v[2:3], v[114:115], v[236:237], -v[2:3]
	v_add_f64 v[0:1], v[0:1], v[2:3]
	s_waitcnt vmcnt(2)
	v_add_f64 v[0:1], v[248:249], -v[0:1]
	s_waitcnt vmcnt(0)
	v_add_f64 v[2:3], v[246:247], -v[190:191]
	buffer_store_dword v1, off, s[0:3], 0 offset:164
	buffer_store_dword v0, off, s[0:3], 0 offset:160
	buffer_store_dword v3, off, s[0:3], 0 offset:172
	buffer_store_dword v2, off, s[0:3], 0 offset:168
	v_accvgpr_read_b32 v0, a191
	v_cmp_lt_u32_e32 vcc, 8, v0
	s_and_saveexec_b64 s[4:5], vcc
	s_cbranch_execz .LBB63_393
; %bb.392:
	v_accvgpr_read_b32 v3, a183
	buffer_load_dword v0, v3, s[0:3], 0 offen
	buffer_load_dword v1, v3, s[0:3], 0 offen offset:4
	buffer_load_dword v2, v3, s[0:3], 0 offen offset:8
	s_nop 0
	buffer_load_dword v3, v3, s[0:3], 0 offen offset:12
	v_mov_b32_e32 v4, 0
	v_accvgpr_read_b32 v5, a192
	buffer_store_dword v4, off, s[0:3], 0 offset:144
	buffer_store_dword v4, off, s[0:3], 0 offset:148
	;; [unrolled: 1-line block ×4, first 2 shown]
	s_waitcnt vmcnt(4)
	ds_write_b128 v5, v[0:3]
.LBB63_393:
	s_or_b64 exec, exec, s[4:5]
	s_waitcnt lgkmcnt(0)
	; wave barrier
	s_waitcnt lgkmcnt(0)
	buffer_load_dword v2, off, s[0:3], 0 offset:160
	buffer_load_dword v3, off, s[0:3], 0 offset:164
	buffer_load_dword v4, off, s[0:3], 0 offset:168
	buffer_load_dword v5, off, s[0:3], 0 offset:172
	buffer_load_dword v136, off, s[0:3], 0 offset:176
	buffer_load_dword v137, off, s[0:3], 0 offset:180
	buffer_load_dword v8, off, s[0:3], 0 offset:184
	buffer_load_dword v9, off, s[0:3], 0 offset:188
	buffer_load_dword v14, off, s[0:3], 0 offset:200
	buffer_load_dword v15, off, s[0:3], 0 offset:204
	buffer_load_dword v27, off, s[0:3], 0 offset:236
	buffer_load_dword v26, off, s[0:3], 0 offset:232
	buffer_load_dword v29, off, s[0:3], 0 offset:228
	buffer_load_dword v28, off, s[0:3], 0 offset:224
	buffer_load_dword v19, off, s[0:3], 0 offset:220
	buffer_load_dword v18, off, s[0:3], 0 offset:216
	buffer_load_dword v35, off, s[0:3], 0 offset:268
	buffer_load_dword v34, off, s[0:3], 0 offset:264
	buffer_load_dword v37, off, s[0:3], 0 offset:260
	buffer_load_dword v36, off, s[0:3], 0 offset:256
	buffer_load_dword v31, off, s[0:3], 0 offset:252
	buffer_load_dword v30, off, s[0:3], 0 offset:248
	buffer_load_dword v39, off, s[0:3], 0 offset:300
	buffer_load_dword v38, off, s[0:3], 0 offset:296
	buffer_load_dword v40, off, s[0:3], 0 offset:288
	buffer_load_dword v45, off, s[0:3], 0 offset:284
	buffer_load_dword v44, off, s[0:3], 0 offset:280
	buffer_load_dword v43, off, s[0:3], 0 offset:316
	buffer_load_dword v42, off, s[0:3], 0 offset:312
	buffer_load_dword v16, off, s[0:3], 0 offset:192
	buffer_load_dword v17, off, s[0:3], 0 offset:196
	buffer_load_dword v21, off, s[0:3], 0 offset:212
	buffer_load_dword v20, off, s[0:3], 0 offset:208
	buffer_load_dword v149, off, s[0:3], 0 offset:244
	buffer_load_dword v148, off, s[0:3], 0 offset:240
	buffer_load_dword v47, off, s[0:3], 0 offset:276
	buffer_load_dword v46, off, s[0:3], 0 offset:272
	buffer_load_dword v41, off, s[0:3], 0 offset:292
	buffer_load_dword v48, off, s[0:3], 0 offset:328
	buffer_load_dword v50, off, s[0:3], 0 offset:320
	buffer_load_dword v51, off, s[0:3], 0 offset:324
	buffer_load_dword v49, off, s[0:3], 0 offset:332
	v_mov_b32_e32 v32, 0
	buffer_load_dword v73, off, s[0:3], 0 offset:308
	buffer_load_dword v72, off, s[0:3], 0 offset:304
	;; [unrolled: 1-line block ×7, first 2 shown]
	ds_read_b128 v[10:13], v32 offset:1168
	ds_read_b128 v[22:25], v32 offset:1184
	;; [unrolled: 1-line block ×11, first 2 shown]
	s_waitcnt vmcnt(45) lgkmcnt(10)
	v_mul_f64 v[0:1], v[10:11], v[4:5]
	v_fmac_f64_e32 v[0:1], v[12:13], v[2:3]
	v_add_f64 v[0:1], v[0:1], 0
	v_mul_f64 v[4:5], v[12:13], v[4:5]
	s_waitcnt vmcnt(41) lgkmcnt(9)
	v_mul_f64 v[56:57], v[22:23], v[8:9]
	v_fmac_f64_e32 v[56:57], v[24:25], v[136:137]
	s_waitcnt vmcnt(39) lgkmcnt(8)
	v_mul_f64 v[58:59], v[96:97], v[14:15]
	v_add_f64 v[0:1], v[0:1], v[56:57]
	s_waitcnt vmcnt(37) lgkmcnt(6)
	v_mul_f64 v[62:63], v[104:105], v[26:27]
	v_mul_f64 v[8:9], v[24:25], v[8:9]
	s_waitcnt vmcnt(35)
	v_fmac_f64_e32 v[62:63], v[106:107], v[28:29]
	v_mul_f64 v[14:15], v[98:99], v[14:15]
	s_waitcnt vmcnt(33)
	v_mul_f64 v[60:61], v[100:101], v[18:19]
	v_mul_f64 v[18:19], v[102:103], v[18:19]
	s_waitcnt vmcnt(31) lgkmcnt(4)
	v_mul_f64 v[66:67], v[112:113], v[34:35]
	v_mul_f64 v[34:35], v[114:115], v[34:35]
	s_waitcnt vmcnt(29)
	v_fmac_f64_e32 v[66:67], v[114:115], v[36:37]
	s_waitcnt vmcnt(27)
	v_mul_f64 v[64:65], v[108:109], v[30:31]
	s_waitcnt vmcnt(25) lgkmcnt(2)
	v_mul_f64 v[74:75], v[164:165], v[38:39]
	s_waitcnt vmcnt(22)
	v_mul_f64 v[68:69], v[160:161], v[44:45]
	s_waitcnt vmcnt(20) lgkmcnt(1)
	v_mul_f64 v[116:117], v[170:171], v[42:43]
	s_waitcnt vmcnt(18)
	v_fmac_f64_e32 v[58:59], v[98:99], v[16:17]
	v_add_f64 v[0:1], v[0:1], v[58:59]
	s_waitcnt vmcnt(16)
	v_fmac_f64_e32 v[60:61], v[102:103], v[20:21]
	v_add_f64 v[0:1], v[0:1], v[60:61]
	;; [unrolled: 3-line block ×3, first 2 shown]
	v_add_f64 v[0:1], v[0:1], v[64:65]
	s_waitcnt vmcnt(12)
	v_fmac_f64_e32 v[68:69], v[162:163], v[46:47]
	v_add_f64 v[0:1], v[0:1], v[66:67]
	s_waitcnt vmcnt(11)
	v_fmac_f64_e32 v[74:75], v[166:167], v[40:41]
	v_add_f64 v[0:1], v[0:1], v[68:69]
	v_add_f64 v[138:139], v[0:1], v[74:75]
	buffer_load_dword v70, off, s[0:3], 0 offset:344
	buffer_load_dword v195, off, s[0:3], 0 offset:340
	buffer_load_dword v194, off, s[0:3], 0 offset:336
	buffer_load_dword v201, off, s[0:3], 0 offset:396
	buffer_load_dword v200, off, s[0:3], 0 offset:392
	buffer_load_dword v203, off, s[0:3], 0 offset:388
	buffer_load_dword v202, off, s[0:3], 0 offset:384
	buffer_load_dword v205, off, s[0:3], 0 offset:380
	buffer_load_dword v204, off, s[0:3], 0 offset:376
	buffer_load_dword v211, off, s[0:3], 0 offset:372
	buffer_load_dword v210, off, s[0:3], 0 offset:368
	buffer_load_dword v251, off, s[0:3], 0 offset:428
	buffer_load_dword v250, off, s[0:3], 0 offset:424
	buffer_load_dword v95, off, s[0:3], 0 offset:420
	buffer_load_dword v94, off, s[0:3], 0 offset:416
	buffer_load_dword v253, off, s[0:3], 0 offset:412
	buffer_load_dword v252, off, s[0:3], 0 offset:408
	buffer_load_dword v255, off, s[0:3], 0 offset:404
	buffer_load_dword v254, off, s[0:3], 0 offset:400
	buffer_load_dword v57, off, s[0:3], 0 offset:460
	buffer_load_dword v56, off, s[0:3], 0 offset:456
	buffer_load_dword v59, off, s[0:3], 0 offset:452
	buffer_load_dword v58, off, s[0:3], 0 offset:448
	buffer_load_dword v83, off, s[0:3], 0 offset:444
	buffer_load_dword v82, off, s[0:3], 0 offset:440
	buffer_load_dword v85, off, s[0:3], 0 offset:436
	buffer_load_dword v84, off, s[0:3], 0 offset:432
	buffer_load_dword v63, off, s[0:3], 0 offset:492
	buffer_load_dword v62, off, s[0:3], 0 offset:488
	buffer_load_dword v65, off, s[0:3], 0 offset:484
	buffer_load_dword v64, off, s[0:3], 0 offset:480
	buffer_load_dword v1, off, s[0:3], 0 offset:476
	buffer_load_dword v0, off, s[0:3], 0 offset:472
	buffer_load_dword v61, off, s[0:3], 0 offset:468
	buffer_load_dword v60, off, s[0:3], 0 offset:464
	buffer_load_dword v75, off, s[0:3], 0 offset:524
	buffer_load_dword v74, off, s[0:3], 0 offset:520
	buffer_load_dword v77, off, s[0:3], 0 offset:516
	buffer_load_dword v76, off, s[0:3], 0 offset:512
	buffer_load_dword v67, off, s[0:3], 0 offset:508
	buffer_load_dword v66, off, s[0:3], 0 offset:504
	buffer_load_dword v69, off, s[0:3], 0 offset:500
	buffer_load_dword v68, off, s[0:3], 0 offset:496
	buffer_load_dword v87, off, s[0:3], 0 offset:556
	buffer_load_dword v86, off, s[0:3], 0 offset:552
	buffer_load_dword v89, off, s[0:3], 0 offset:548
	buffer_load_dword v88, off, s[0:3], 0 offset:544
	buffer_load_dword v79, off, s[0:3], 0 offset:540
	buffer_load_dword v78, off, s[0:3], 0 offset:536
	buffer_load_dword v81, off, s[0:3], 0 offset:532
	buffer_load_dword v80, off, s[0:3], 0 offset:528
	buffer_load_dword v91, off, s[0:3], 0 offset:588
	buffer_load_dword v90, off, s[0:3], 0 offset:584
	s_waitcnt vmcnt(58)
	v_fmac_f64_e32 v[116:117], v[172:173], v[72:73]
	v_add_f64 v[116:117], v[138:139], v[116:117]
	s_waitcnt lgkmcnt(0)
	v_mul_f64 v[138:139], v[174:175], v[48:49]
	v_fmac_f64_e32 v[138:139], v[176:177], v[50:51]
	v_add_f64 v[116:117], v[116:117], v[138:139]
	s_waitcnt vmcnt(0)
	v_pk_mov_b32 v[120:121], v[90:91], v[90:91] op_sel:[0,1]
	buffer_load_dword v91, off, s[0:3], 0 offset:580
	buffer_load_dword v90, off, s[0:3], 0 offset:576
	s_waitcnt vmcnt(0)
	v_pk_mov_b32 v[122:123], v[90:91], v[90:91] op_sel:[0,1]
	buffer_load_dword v91, off, s[0:3], 0 offset:572
	buffer_load_dword v90, off, s[0:3], 0 offset:568
	;; [unrolled: 1-line block ×6, first 2 shown]
	v_accvgpr_write_b32 a199, v123
	v_accvgpr_write_b32 a198, v122
	s_waitcnt vmcnt(0)
	v_pk_mov_b32 v[124:125], v[118:119], v[118:119] op_sel:[0,1]
	buffer_load_dword v119, off, s[0:3], 0 offset:612
	buffer_load_dword v118, off, s[0:3], 0 offset:608
	v_accvgpr_write_b32 a213, v125
	v_accvgpr_write_b32 a212, v124
	s_waitcnt vmcnt(0)
	v_pk_mov_b32 v[126:127], v[118:119], v[118:119] op_sel:[0,1]
	buffer_load_dword v119, off, s[0:3], 0 offset:604
	buffer_load_dword v118, off, s[0:3], 0 offset:600
	;; [unrolled: 6-line block ×7, first 2 shown]
	ds_read_b128 v[178:181], v32 offset:1344
	ds_read_b128 v[182:185], v32 offset:1360
	;; [unrolled: 1-line block ×7, first 2 shown]
	s_waitcnt lgkmcnt(6)
	v_mul_f64 v[138:139], v[178:179], v[70:71]
	v_fmac_f64_e32 v[138:139], v[180:181], v[194:195]
	v_add_f64 v[116:117], v[116:117], v[138:139]
	s_waitcnt lgkmcnt(5)
	v_mul_f64 v[138:139], v[182:183], v[54:55]
	v_fmac_f64_e32 v[138:139], v[184:185], v[52:53]
	v_add_f64 v[116:117], v[116:117], v[138:139]
	;; [unrolled: 4-line block ×4, first 2 shown]
	s_waitcnt lgkmcnt(2)
	v_mul_f64 v[138:139], v[196:197], v[252:253]
	v_fmac_f64_e32 v[138:139], v[198:199], v[254:255]
	s_waitcnt lgkmcnt(1)
	v_mul_f64 v[142:143], v[206:207], v[250:251]
	v_add_f64 v[116:117], v[116:117], v[138:139]
	v_fmac_f64_e32 v[142:143], v[208:209], v[94:95]
	s_waitcnt lgkmcnt(0)
	v_mul_f64 v[144:145], v[212:213], v[82:83]
	v_add_f64 v[116:117], v[116:117], v[142:143]
	v_fmac_f64_e32 v[144:145], v[214:215], v[84:85]
	v_add_f64 v[116:117], v[116:117], v[144:145]
	v_fma_f64 v[138:139], v[10:11], v[2:3], -v[4:5]
	v_accvgpr_write_b32 a221, v155
	v_accvgpr_write_b32 a220, v154
	s_waitcnt vmcnt(0)
	v_pk_mov_b32 v[156:157], v[118:119], v[118:119] op_sel:[0,1]
	buffer_load_dword v119, off, s[0:3], 0 offset:668
	buffer_load_dword v118, off, s[0:3], 0 offset:664
	v_accvgpr_write_b32 a223, v157
	v_accvgpr_write_b32 a222, v156
	s_waitcnt vmcnt(0)
	v_pk_mov_b32 v[158:159], v[118:119], v[118:119] op_sel:[0,1]
	buffer_load_dword v119, off, s[0:3], 0 offset:660
	buffer_load_dword v118, off, s[0:3], 0 offset:656
	ds_read_b128 v[216:219], v32 offset:1456
	v_accvgpr_write_b32 a225, v159
	v_accvgpr_write_b32 a224, v158
	s_waitcnt lgkmcnt(0)
	v_mul_f64 v[146:147], v[216:217], v[56:57]
	v_fmac_f64_e32 v[146:147], v[218:219], v[58:59]
	v_add_f64 v[116:117], v[116:117], v[146:147]
	s_waitcnt vmcnt(0)
	v_pk_mov_b32 v[168:169], v[118:119], v[118:119] op_sel:[0,1]
	buffer_load_dword v118, off, s[0:3], 0 offset:680
	buffer_load_dword v119, off, s[0:3], 0 offset:684
	;; [unrolled: 1-line block ×4, first 2 shown]
	ds_read_b128 v[220:223], v32 offset:1472
	ds_read_b128 v[224:227], v32 offset:1488
	;; [unrolled: 1-line block ×4, first 2 shown]
	buffer_load_dword v7, off, s[0:3], 0 offset:700
	buffer_load_dword v6, off, s[0:3], 0 offset:696
	;; [unrolled: 1-line block ×4, first 2 shown]
	s_waitcnt lgkmcnt(3)
	v_mul_f64 v[146:147], v[220:221], v[0:1]
	v_fmac_f64_e32 v[146:147], v[222:223], v[60:61]
	v_add_f64 v[116:117], v[116:117], v[146:147]
	s_waitcnt lgkmcnt(2)
	v_mul_f64 v[146:147], v[224:225], v[62:63]
	ds_read_b128 v[236:239], v32 offset:1536
	ds_read_b128 v[242:245], v32 offset:1552
	v_fmac_f64_e32 v[146:147], v[226:227], v[64:65]
	s_waitcnt lgkmcnt(3)
	v_mul_f64 v[150:151], v[228:229], v[66:67]
	v_add_f64 v[116:117], v[116:117], v[146:147]
	v_fmac_f64_e32 v[150:151], v[230:231], v[68:69]
	v_add_f64 v[116:117], v[116:117], v[150:151]
	s_waitcnt lgkmcnt(2)
	v_mul_f64 v[150:151], v[232:233], v[74:75]
	v_fmac_f64_e32 v[150:151], v[234:235], v[76:77]
	v_add_f64 v[116:117], v[116:117], v[150:151]
	s_waitcnt lgkmcnt(1)
	v_mul_f64 v[150:151], v[236:237], v[78:79]
	v_fmac_f64_e32 v[150:151], v[238:239], v[80:81]
	ds_read_b128 v[246:249], v32 offset:1568
	ds_read_b128 v[140:143], v32 offset:1584
	v_add_f64 v[116:117], v[116:117], v[150:151]
	s_waitcnt lgkmcnt(2)
	v_mul_f64 v[150:151], v[242:243], v[86:87]
	v_fmac_f64_e32 v[150:151], v[244:245], v[88:89]
	v_add_f64 v[116:117], v[116:117], v[150:151]
	v_fma_f64 v[150:151], v[22:23], v[136:137], -v[8:9]
	ds_read_b128 v[22:25], v32 offset:1600
	s_waitcnt lgkmcnt(2)
	v_mul_f64 v[4:5], v[246:247], v[90:91]
	s_waitcnt lgkmcnt(1)
	v_mul_f64 v[10:11], v[140:141], v[120:121]
	v_fmac_f64_e32 v[4:5], v[248:249], v[92:93]
	v_pk_mov_b32 v[136:137], v[120:121], v[120:121] op_sel:[0,1]
	v_fmac_f64_e32 v[10:11], v[142:143], v[122:123]
	ds_read_b128 v[120:123], v32 offset:1616
	v_add_f64 v[4:5], v[116:117], v[4:5]
	ds_read_b128 v[144:147], v32 offset:1632
	v_accvgpr_write_b32 a197, v143
	v_add_f64 v[4:5], v[4:5], v[10:11]
	s_waitcnt lgkmcnt(2)
	v_pk_mov_b32 v[8:9], v[22:23], v[22:23] op_sel:[0,1]
	v_accvgpr_write_b32 a196, v142
	v_accvgpr_write_b32 a195, v141
	;; [unrolled: 1-line block ×3, first 2 shown]
	ds_read_b128 v[140:143], v32 offset:1648
	v_pk_mov_b32 v[10:11], v[24:25], v[24:25] op_sel:[0,1]
	v_mul_f64 v[22:23], v[8:9], v[130:131]
	v_fmac_f64_e32 v[22:23], v[10:11], v[132:133]
	v_accvgpr_write_b32 a203, v11
	v_add_f64 v[4:5], v[4:5], v[22:23]
	s_waitcnt lgkmcnt(2)
	v_mul_f64 v[22:23], v[120:121], v[124:125]
	ds_read_b128 v[130:133], v32 offset:1664
	v_accvgpr_write_b32 a202, v10
	v_accvgpr_write_b32 a201, v9
	;; [unrolled: 1-line block ×3, first 2 shown]
	v_fmac_f64_e32 v[22:23], v[122:123], v[126:127]
	s_waitcnt lgkmcnt(2)
	v_mul_f64 v[10:11], v[144:145], v[154:155]
	v_accvgpr_write_b32 a211, v123
	v_add_f64 v[4:5], v[4:5], v[22:23]
	v_fmac_f64_e32 v[10:11], v[146:147], v[156:157]
	v_accvgpr_write_b32 a210, v122
	v_accvgpr_write_b32 a209, v121
	;; [unrolled: 1-line block ×3, first 2 shown]
	v_add_f64 v[4:5], v[4:5], v[10:11]
	s_waitcnt lgkmcnt(1)
	v_mul_f64 v[10:11], v[140:141], v[128:129]
	ds_read_b128 v[126:129], v32 offset:1680
	ds_read_b128 v[122:125], v32 offset:1696
	buffer_load_dword v121, off, s[0:3], 0 offset:716
	buffer_load_dword v120, off, s[0:3], 0 offset:712
	;; [unrolled: 1-line block ×4, first 2 shown]
	v_fmac_f64_e32 v[10:11], v[142:143], v[152:153]
	s_waitcnt lgkmcnt(2)
	v_mul_f64 v[98:99], v[130:131], v[158:159]
	buffer_load_dword v152, off, s[0:3], 0 offset:744
	buffer_load_dword v154, off, s[0:3], 0 offset:736
	;; [unrolled: 1-line block ×4, first 2 shown]
	v_fma_f64 v[116:117], v[96:97], v[16:17], -v[14:15]
	v_mul_f64 v[16:17], v[162:163], v[44:45]
	buffer_load_dword v163, off, s[0:3], 0 offset:724
	buffer_load_dword v162, off, s[0:3], 0 offset:720
	;; [unrolled: 1-line block ×4, first 2 shown]
	v_fma_f64 v[96:97], v[100:101], v[20:21], -v[18:19]
	v_accvgpr_write_b32 a227, v169
	v_fma_f64 v[18:19], v[112:113], v[36:37], -v[34:35]
	v_mul_f64 v[34:35], v[166:167], v[38:39]
	v_fmac_f64_e32 v[98:99], v[132:133], v[168:169]
	v_accvgpr_write_b32 a226, v168
	v_fma_f64 v[16:17], v[160:161], v[46:47], -v[16:17]
	v_fma_f64 v[14:15], v[164:165], v[40:41], -v[34:35]
	buffer_load_dword v160, off, s[0:3], 0 offset:776
	buffer_load_dword v165, off, s[0:3], 0 offset:764
	;; [unrolled: 1-line block ×8, first 2 shown]
	v_mul_f64 v[34:35], v[172:173], v[42:43]
	v_mul_f64 v[20:21], v[176:177], v[48:49]
	v_fma_f64 v[12:13], v[170:171], v[72:73], -v[34:35]
	v_fma_f64 v[20:21], v[174:175], v[50:51], -v[20:21]
	v_mul_f64 v[34:35], v[180:181], v[70:71]
	buffer_load_dword v171, off, s[0:3], 0 offset:812
	buffer_load_dword v175, off, s[0:3], 0 offset:796
	buffer_load_dword v174, off, s[0:3], 0 offset:792
	buffer_load_dword v177, off, s[0:3], 0 offset:788
	buffer_load_dword v176, off, s[0:3], 0 offset:784
	buffer_load_dword v170, off, s[0:3], 0 offset:808
	v_fma_f64 v[194:195], v[178:179], v[194:195], -v[34:35]
	buffer_load_dword v179, off, s[0:3], 0 offset:804
	buffer_load_dword v178, off, s[0:3], 0 offset:800
	v_add_f64 v[4:5], v[4:5], v[10:11]
	v_mul_f64 v[10:11], v[106:107], v[26:27]
	v_mul_f64 v[34:35], v[184:185], v[54:55]
	v_fma_f64 v[26:27], v[104:105], v[28:29], -v[10:11]
	v_fma_f64 v[10:11], v[182:183], v[52:53], -v[34:35]
	buffer_load_dword v172, off, s[0:3], 0 offset:840
	buffer_load_dword v183, off, s[0:3], 0 offset:828
	buffer_load_dword v182, off, s[0:3], 0 offset:824
	buffer_load_dword v185, off, s[0:3], 0 offset:820
	buffer_load_dword v184, off, s[0:3], 0 offset:816
	buffer_load_dword v180, off, s[0:3], 0 offset:832
	buffer_load_dword v173, off, s[0:3], 0 offset:844
	buffer_load_dword v181, off, s[0:3], 0 offset:836
	v_mul_f64 v[24:25], v[188:189], v[204:205]
	ds_read_b128 v[38:41], v32 offset:1712
	ds_read_b128 v[34:37], v32 offset:1728
	v_fma_f64 v[24:25], v[186:187], v[210:211], -v[24:25]
	buffer_load_dword v187, off, s[0:3], 0 offset:860
	buffer_load_dword v186, off, s[0:3], 0 offset:856
	;; [unrolled: 1-line block ×4, first 2 shown]
	v_mul_f64 v[42:43], v[192:193], v[200:201]
	v_fma_f64 v[200:201], v[190:191], v[202:203], -v[42:43]
	buffer_load_dword v192, off, s[0:3], 0 offset:872
	buffer_load_dword v190, off, s[0:3], 0 offset:864
	;; [unrolled: 1-line block ×4, first 2 shown]
	v_mul_f64 v[42:43], v[198:199], v[252:253]
	v_fma_f64 v[252:253], v[196:197], v[254:255], -v[42:43]
	buffer_load_dword v199, off, s[0:3], 0 offset:892
	buffer_load_dword v198, off, s[0:3], 0 offset:888
	;; [unrolled: 1-line block ×8, first 2 shown]
	v_mul_f64 v[42:43], v[208:209], v[250:251]
	v_fma_f64 v[94:95], v[206:207], v[94:95], -v[42:43]
	buffer_load_dword v196, off, s[0:3], 0 offset:936
	buffer_load_dword v209, off, s[0:3], 0 offset:924
	;; [unrolled: 1-line block ×8, first 2 shown]
	s_waitcnt vmcnt(62) lgkmcnt(3)
	v_mul_f64 v[8:9], v[126:127], v[118:119]
	v_add_f64 v[98:99], v[4:5], v[98:99]
	v_fmac_f64_e32 v[8:9], v[128:129], v[240:241]
	s_waitcnt lgkmcnt(2)
	v_mul_f64 v[44:45], v[122:123], v[6:7]
	v_add_f64 v[8:9], v[98:99], v[8:9]
	s_waitcnt vmcnt(60)
	v_fmac_f64_e32 v[44:45], v[124:125], v[134:135]
	v_mul_f64 v[42:43], v[214:215], v[82:83]
	v_add_f64 v[8:9], v[8:9], v[44:45]
	v_fma_f64 v[250:251], v[212:213], v[84:85], -v[42:43]
	ds_read_b128 v[42:45], v32 offset:1744
	v_mul_f64 v[50:51], v[218:219], v[56:57]
	v_fma_f64 v[212:213], v[216:217], v[58:59], -v[50:51]
	ds_read_b128 v[50:53], v32 offset:1776
	v_mul_f64 v[4:5], v[110:111], v[30:31]
	v_mul_f64 v[62:63], v[226:227], v[62:63]
	v_fma_f64 v[22:23], v[108:109], v[148:149], -v[4:5]
	v_fma_f64 v[4:5], v[224:225], v[64:65], -v[62:63]
	ds_read_b128 v[62:65], v32 offset:1824
	v_mul_f64 v[0:1], v[222:223], v[0:1]
	v_pk_mov_b32 v[148:149], v[6:7], v[6:7] op_sel:[0,1]
	v_fma_f64 v[6:7], v[220:221], v[60:61], -v[0:1]
	v_mul_f64 v[66:67], v[230:231], v[66:67]
	v_fma_f64 v[114:115], v[228:229], v[68:69], -v[66:67]
	ds_read_b128 v[66:69], v32 offset:1840
	v_mul_f64 v[74:75], v[234:235], v[74:75]
	v_fma_f64 v[2:3], v[232:233], v[76:77], -v[74:75]
	ds_read_b128 v[74:77], v32 offset:1872
	;; [unrolled: 3-line block ×3, first 2 shown]
	v_mul_f64 v[90:91], v[248:249], v[90:91]
	v_fma_f64 v[90:91], v[246:247], v[92:93], -v[90:91]
	v_accvgpr_write_b32 a229, v91
	v_accvgpr_write_b32 a228, v90
	s_waitcnt vmcnt(58) lgkmcnt(7)
	v_mul_f64 v[46:47], v[38:39], v[120:121]
	s_waitcnt vmcnt(56)
	v_fmac_f64_e32 v[46:47], v[40:41], v[156:157]
	v_add_f64 v[8:9], v[8:9], v[46:47]
	ds_read_b128 v[90:93], v32 offset:1936
	s_waitcnt vmcnt(52) lgkmcnt(7)
	v_mul_f64 v[46:47], v[34:35], v[158:159]
	s_waitcnt vmcnt(50)
	v_fmac_f64_e32 v[46:47], v[36:37], v[162:163]
	v_add_f64 v[8:9], v[8:9], v[46:47]
	s_waitcnt vmcnt(49) lgkmcnt(6)
	v_mul_f64 v[46:47], v[42:43], v[152:153]
	s_waitcnt vmcnt(48)
	v_fmac_f64_e32 v[46:47], v[44:45], v[154:155]
	v_add_f64 v[8:9], v[8:9], v[46:47]
	ds_read_b128 v[46:49], v32 offset:1760
	v_pk_mov_b32 v[30:31], v[118:119], v[118:119] op_sel:[0,1]
	v_add_f64 v[118:119], v[138:139], 0
	v_add_f64 v[118:119], v[118:119], v[150:151]
	;; [unrolled: 1-line block ×3, first 2 shown]
	s_waitcnt vmcnt(45) lgkmcnt(0)
	v_mul_f64 v[54:55], v[46:47], v[164:165]
	v_add_f64 v[96:97], v[116:117], v[96:97]
	s_waitcnt vmcnt(43)
	v_fmac_f64_e32 v[54:55], v[48:49], v[168:169]
	v_add_f64 v[8:9], v[8:9], v[54:55]
	ds_read_b128 v[54:57], v32 offset:1792
	s_waitcnt vmcnt(41)
	v_mul_f64 v[58:59], v[50:51], v[160:161]
	s_waitcnt vmcnt(40)
	v_fmac_f64_e32 v[58:59], v[52:53], v[166:167]
	v_add_f64 v[8:9], v[8:9], v[58:59]
	ds_read_b128 v[58:61], v32 offset:1808
	s_waitcnt vmcnt(37) lgkmcnt(1)
	v_mul_f64 v[70:71], v[54:55], v[174:175]
	s_waitcnt vmcnt(35)
	v_fmac_f64_e32 v[70:71], v[56:57], v[176:177]
	v_add_f64 v[8:9], v[8:9], v[70:71]
	v_add_f64 v[26:27], v[96:97], v[26:27]
	s_waitcnt vmcnt(34) lgkmcnt(0)
	v_mul_f64 v[70:71], v[58:59], v[170:171]
	s_waitcnt vmcnt(32)
	v_fmac_f64_e32 v[70:71], v[60:61], v[178:179]
	v_add_f64 v[8:9], v[8:9], v[70:71]
	s_waitcnt vmcnt(29)
	v_mul_f64 v[70:71], v[62:63], v[182:183]
	s_waitcnt vmcnt(27)
	v_fmac_f64_e32 v[70:71], v[64:65], v[184:185]
	v_add_f64 v[8:9], v[8:9], v[70:71]
	s_waitcnt vmcnt(25)
	v_mul_f64 v[70:71], v[66:67], v[172:173]
	s_waitcnt vmcnt(24)
	v_fmac_f64_e32 v[70:71], v[68:69], v[180:181]
	v_add_f64 v[8:9], v[8:9], v[70:71]
	ds_read_b128 v[70:73], v32 offset:1856
	s_waitcnt vmcnt(17)
	v_mul_f64 v[82:83], v[74:75], v[192:193]
	s_waitcnt vmcnt(16)
	v_fmac_f64_e32 v[82:83], v[76:77], v[190:191]
	v_add_f64 v[22:23], v[26:27], v[22:23]
	v_add_f64 v[18:19], v[22:23], v[18:19]
	s_waitcnt lgkmcnt(0)
	v_mul_f64 v[28:29], v[70:71], v[186:187]
	v_fmac_f64_e32 v[28:29], v[72:73], v[188:189]
	v_add_f64 v[8:9], v[8:9], v[28:29]
	v_mul_f64 v[28:29], v[238:239], v[78:79]
	v_fma_f64 v[28:29], v[236:237], v[80:81], -v[28:29]
	ds_read_b128 v[78:81], v32 offset:1888
	v_add_f64 v[8:9], v[8:9], v[82:83]
	ds_read_b128 v[82:85], v32 offset:1904
	v_add_f64 v[16:17], v[18:19], v[16:17]
	v_add_f64 v[14:15], v[16:17], v[14:15]
	s_waitcnt vmcnt(14) lgkmcnt(1)
	v_mul_f64 v[98:99], v[78:79], v[198:199]
	s_waitcnt vmcnt(12)
	v_fmac_f64_e32 v[98:99], v[80:81], v[202:203]
	v_add_f64 v[8:9], v[8:9], v[98:99]
	s_waitcnt vmcnt(10) lgkmcnt(0)
	v_mul_f64 v[98:99], v[82:83], v[254:255]
	s_waitcnt vmcnt(8)
	v_fmac_f64_e32 v[98:99], v[84:85], v[204:205]
	v_add_f64 v[8:9], v[8:9], v[98:99]
	s_waitcnt vmcnt(5)
	v_mul_f64 v[98:99], v[86:87], v[208:209]
	s_waitcnt vmcnt(3)
	v_fmac_f64_e32 v[98:99], v[88:89], v[210:211]
	v_add_f64 v[8:9], v[8:9], v[98:99]
	s_waitcnt vmcnt(1)
	v_mul_f64 v[98:99], v[90:91], v[196:197]
	s_waitcnt vmcnt(0)
	v_fmac_f64_e32 v[98:99], v[92:93], v[206:207]
	v_add_f64 v[98:99], v[8:9], v[98:99]
	buffer_load_dword v9, off, s[0:3], 0 offset:956
	buffer_load_dword v8, off, s[0:3], 0 offset:952
	;; [unrolled: 1-line block ×4, first 2 shown]
	ds_read_b128 v[242:245], v32 offset:1952
	buffer_load_dword v216, off, s[0:3], 0 offset:968
	buffer_load_dword v217, off, s[0:3], 0 offset:972
	;; [unrolled: 1-line block ×4, first 2 shown]
	v_add_f64 v[12:13], v[14:15], v[12:13]
	v_add_f64 v[12:13], v[12:13], v[20:21]
	;; [unrolled: 1-line block ×16, first 2 shown]
	v_accvgpr_read_b32 v10, a194
	v_accvgpr_read_b32 v12, a196
	;; [unrolled: 1-line block ×4, first 2 shown]
	v_mul_f64 v[6:7], v[12:13], v[136:137]
	v_accvgpr_read_b32 v12, a198
	v_accvgpr_read_b32 v5, a229
	;; [unrolled: 1-line block ×4, first 2 shown]
	v_add_f64 v[4:5], v[252:253], v[4:5]
	v_fma_f64 v[6:7], v[10:11], v[12:13], -v[6:7]
	v_add_f64 v[4:5], v[4:5], v[6:7]
	v_accvgpr_read_b32 v10, a200
	v_accvgpr_read_b32 v6, a204
	;; [unrolled: 1-line block ×5, first 2 shown]
	v_mul_f64 v[6:7], v[12:13], v[6:7]
	v_accvgpr_read_b32 v12, a206
	v_accvgpr_read_b32 v11, a201
	;; [unrolled: 1-line block ×3, first 2 shown]
	v_fma_f64 v[6:7], v[10:11], v[12:13], -v[6:7]
	v_add_f64 v[4:5], v[4:5], v[6:7]
	v_accvgpr_read_b32 v10, a208
	v_accvgpr_read_b32 v6, a212
	;; [unrolled: 1-line block ×5, first 2 shown]
	v_mul_f64 v[6:7], v[12:13], v[6:7]
	v_accvgpr_read_b32 v12, a214
	v_accvgpr_read_b32 v11, a209
	;; [unrolled: 1-line block ×3, first 2 shown]
	v_fma_f64 v[6:7], v[10:11], v[12:13], -v[6:7]
	v_add_f64 v[4:5], v[4:5], v[6:7]
	v_accvgpr_read_b32 v6, a220
	v_accvgpr_read_b32 v7, a221
	v_accvgpr_read_b32 v10, a222
	v_mul_f64 v[6:7], v[146:147], v[6:7]
	v_accvgpr_read_b32 v11, a223
	v_fma_f64 v[6:7], v[144:145], v[10:11], -v[6:7]
	v_add_f64 v[4:5], v[4:5], v[6:7]
	v_accvgpr_read_b32 v6, a216
	v_accvgpr_read_b32 v7, a217
	v_accvgpr_read_b32 v10, a218
	v_mul_f64 v[6:7], v[142:143], v[6:7]
	v_accvgpr_read_b32 v11, a219
	;; [unrolled: 7-line block ×3, first 2 shown]
	v_fma_f64 v[6:7], v[130:131], v[10:11], -v[6:7]
	v_add_f64 v[4:5], v[4:5], v[6:7]
	v_mul_f64 v[6:7], v[128:129], v[30:31]
	v_fma_f64 v[6:7], v[126:127], v[240:241], -v[6:7]
	v_add_f64 v[4:5], v[4:5], v[6:7]
	v_mul_f64 v[6:7], v[124:125], v[148:149]
	s_waitcnt vmcnt(6) lgkmcnt(0)
	v_mul_f64 v[100:101], v[242:243], v[8:9]
	v_fma_f64 v[6:7], v[122:123], v[134:135], -v[6:7]
	s_waitcnt vmcnt(4)
	v_fmac_f64_e32 v[100:101], v[244:245], v[214:215]
	v_add_f64 v[102:103], v[98:99], v[100:101]
	ds_read_b128 v[98:101], v32 offset:1968
	buffer_load_dword v221, off, s[0:3], 0 offset:988
	buffer_load_dword v220, off, s[0:3], 0 offset:984
	;; [unrolled: 1-line block ×4, first 2 shown]
	v_add_f64 v[4:5], v[4:5], v[6:7]
	v_mul_f64 v[6:7], v[40:41], v[120:121]
	v_fma_f64 v[6:7], v[38:39], v[156:157], -v[6:7]
	s_waitcnt vmcnt(6) lgkmcnt(0)
	v_mul_f64 v[104:105], v[98:99], v[216:217]
	s_waitcnt vmcnt(4)
	v_fmac_f64_e32 v[104:105], v[100:101], v[218:219]
	v_add_f64 v[106:107], v[102:103], v[104:105]
	ds_read_b128 v[102:105], v32 offset:1984
	buffer_load_dword v224, off, s[0:3], 0 offset:1000
	buffer_load_dword v225, off, s[0:3], 0 offset:1004
	;; [unrolled: 1-line block ×4, first 2 shown]
	v_add_f64 v[4:5], v[4:5], v[6:7]
	v_mul_f64 v[6:7], v[36:37], v[158:159]
	v_fma_f64 v[6:7], v[34:35], v[162:163], -v[6:7]
	v_add_f64 v[4:5], v[4:5], v[6:7]
	v_mul_f64 v[6:7], v[44:45], v[152:153]
	v_fma_f64 v[6:7], v[42:43], v[154:155], -v[6:7]
	v_add_f64 v[4:5], v[4:5], v[6:7]
	v_mul_f64 v[6:7], v[48:49], v[164:165]
	v_fma_f64 v[6:7], v[46:47], v[168:169], -v[6:7]
	v_add_f64 v[4:5], v[4:5], v[6:7]
	v_mul_f64 v[6:7], v[52:53], v[160:161]
	v_fma_f64 v[6:7], v[50:51], v[166:167], -v[6:7]
	v_add_f64 v[4:5], v[4:5], v[6:7]
	v_mul_f64 v[6:7], v[56:57], v[174:175]
	v_fma_f64 v[6:7], v[54:55], v[176:177], -v[6:7]
	v_add_f64 v[4:5], v[4:5], v[6:7]
	v_mul_f64 v[6:7], v[60:61], v[170:171]
	v_fma_f64 v[6:7], v[58:59], v[178:179], -v[6:7]
	v_add_f64 v[4:5], v[4:5], v[6:7]
	v_mul_f64 v[6:7], v[64:65], v[182:183]
	v_fma_f64 v[6:7], v[62:63], v[184:185], -v[6:7]
	v_add_f64 v[4:5], v[4:5], v[6:7]
	v_mul_f64 v[6:7], v[68:69], v[172:173]
	v_fma_f64 v[6:7], v[66:67], v[180:181], -v[6:7]
	v_add_f64 v[4:5], v[4:5], v[6:7]
	v_mul_f64 v[6:7], v[72:73], v[186:187]
	v_fma_f64 v[6:7], v[70:71], v[188:189], -v[6:7]
	v_add_f64 v[4:5], v[4:5], v[6:7]
	v_mul_f64 v[6:7], v[76:77], v[192:193]
	v_fma_f64 v[6:7], v[74:75], v[190:191], -v[6:7]
	v_add_f64 v[4:5], v[4:5], v[6:7]
	v_mul_f64 v[6:7], v[80:81], v[198:199]
	v_fma_f64 v[6:7], v[78:79], v[202:203], -v[6:7]
	v_add_f64 v[4:5], v[4:5], v[6:7]
	v_mul_f64 v[6:7], v[84:85], v[254:255]
	v_fma_f64 v[6:7], v[82:83], v[204:205], -v[6:7]
	v_add_f64 v[4:5], v[4:5], v[6:7]
	v_mul_f64 v[6:7], v[88:89], v[208:209]
	v_fma_f64 v[6:7], v[86:87], v[210:211], -v[6:7]
	v_add_f64 v[4:5], v[4:5], v[6:7]
	v_mul_f64 v[6:7], v[92:93], v[196:197]
	v_fma_f64 v[6:7], v[90:91], v[206:207], -v[6:7]
	v_add_f64 v[4:5], v[4:5], v[6:7]
	v_mul_f64 v[6:7], v[244:245], v[8:9]
	v_fma_f64 v[6:7], v[242:243], v[214:215], -v[6:7]
	v_add_f64 v[4:5], v[4:5], v[6:7]
	v_mul_f64 v[6:7], v[100:101], v[216:217]
	v_fma_f64 v[6:7], v[98:99], v[218:219], -v[6:7]
	v_add_f64 v[4:5], v[4:5], v[6:7]
	s_waitcnt vmcnt(6) lgkmcnt(0)
	v_mul_f64 v[108:109], v[102:103], v[220:221]
	v_mul_f64 v[6:7], v[104:105], v[220:221]
	s_waitcnt vmcnt(4)
	v_fmac_f64_e32 v[108:109], v[104:105], v[222:223]
	v_add_f64 v[110:111], v[106:107], v[108:109]
	ds_read_b128 v[106:109], v32 offset:2000
	buffer_load_dword v229, off, s[0:3], 0 offset:1020
	buffer_load_dword v228, off, s[0:3], 0 offset:1016
	;; [unrolled: 1-line block ×4, first 2 shown]
	v_fma_f64 v[6:7], v[102:103], v[222:223], -v[6:7]
	v_add_f64 v[4:5], v[4:5], v[6:7]
	s_waitcnt vmcnt(6) lgkmcnt(0)
	v_mul_f64 v[112:113], v[106:107], v[224:225]
	s_waitcnt vmcnt(4)
	v_fmac_f64_e32 v[112:113], v[108:109], v[226:227]
	v_add_f64 v[232:233], v[110:111], v[112:113]
	ds_read_b128 v[110:113], v32 offset:2016
	v_mul_f64 v[6:7], v[108:109], v[224:225]
	v_fma_f64 v[6:7], v[106:107], v[226:227], -v[6:7]
	v_add_f64 v[4:5], v[4:5], v[6:7]
	s_waitcnt vmcnt(2) lgkmcnt(0)
	v_mul_f64 v[234:235], v[110:111], v[228:229]
	v_mul_f64 v[6:7], v[112:113], v[228:229]
	s_waitcnt vmcnt(0)
	v_fmac_f64_e32 v[234:235], v[112:113], v[230:231]
	v_add_f64 v[232:233], v[232:233], v[234:235]
	buffer_load_dword v234, off, s[0:3], 0 offset:1032
	buffer_load_dword v235, off, s[0:3], 0 offset:1036
	;; [unrolled: 1-line block ×4, first 2 shown]
	ds_read_b128 v[246:249], v32 offset:2032
	buffer_load_dword v2, off, s[0:3], 0 offset:144
	buffer_load_dword v3, off, s[0:3], 0 offset:148
	;; [unrolled: 1-line block ×4, first 2 shown]
	v_fma_f64 v[6:7], v[110:111], v[230:231], -v[6:7]
	v_add_f64 v[4:5], v[4:5], v[6:7]
	s_waitcnt vmcnt(6) lgkmcnt(0)
	v_mul_f64 v[238:239], v[246:247], v[234:235]
	v_mul_f64 v[6:7], v[248:249], v[234:235]
	s_waitcnt vmcnt(4)
	v_fmac_f64_e32 v[238:239], v[248:249], v[236:237]
	v_fma_f64 v[6:7], v[246:247], v[236:237], -v[6:7]
	v_add_f64 v[232:233], v[232:233], v[238:239]
	v_add_f64 v[4:5], v[4:5], v[6:7]
	s_waitcnt vmcnt(2)
	v_add_f64 v[2:3], v[2:3], -v[4:5]
	s_waitcnt vmcnt(0)
	v_add_f64 v[0:1], v[0:1], -v[232:233]
	buffer_store_dword v3, off, s[0:3], 0 offset:148
	buffer_store_dword v2, off, s[0:3], 0 offset:144
	;; [unrolled: 1-line block ×4, first 2 shown]
	v_accvgpr_read_b32 v0, a191
	v_cmp_lt_u32_e32 vcc, 7, v0
	s_and_saveexec_b64 s[4:5], vcc
	s_cbranch_execz .LBB63_395
; %bb.394:
	v_accvgpr_read_b32 v3, a184
	buffer_load_dword v0, v3, s[0:3], 0 offen
	buffer_load_dword v1, v3, s[0:3], 0 offen offset:4
	buffer_load_dword v2, v3, s[0:3], 0 offen offset:8
	s_nop 0
	buffer_load_dword v3, v3, s[0:3], 0 offen offset:12
	v_accvgpr_read_b32 v4, a192
	buffer_store_dword v32, off, s[0:3], 0 offset:128
	buffer_store_dword v32, off, s[0:3], 0 offset:132
	;; [unrolled: 1-line block ×4, first 2 shown]
	s_waitcnt vmcnt(4)
	ds_write_b128 v4, v[0:3]
.LBB63_395:
	s_or_b64 exec, exec, s[4:5]
	s_waitcnt lgkmcnt(0)
	; wave barrier
	s_waitcnt lgkmcnt(0)
	buffer_load_dword v4, off, s[0:3], 0 offset:144
	buffer_load_dword v5, off, s[0:3], 0 offset:148
	buffer_load_dword v10, off, s[0:3], 0 offset:152
	buffer_load_dword v11, off, s[0:3], 0 offset:156
	buffer_load_dword v2, off, s[0:3], 0 offset:160
	buffer_load_dword v3, off, s[0:3], 0 offset:164
	buffer_load_dword v8, off, s[0:3], 0 offset:168
	buffer_load_dword v9, off, s[0:3], 0 offset:172
	buffer_load_dword v6, off, s[0:3], 0 offset:184
	buffer_load_dword v7, off, s[0:3], 0 offset:188
	buffer_load_dword v15, off, s[0:3], 0 offset:220
	buffer_load_dword v14, off, s[0:3], 0 offset:216
	buffer_load_dword v145, off, s[0:3], 0 offset:212
	buffer_load_dword v144, off, s[0:3], 0 offset:208
	buffer_load_dword v143, off, s[0:3], 0 offset:204
	buffer_load_dword v142, off, s[0:3], 0 offset:200
	buffer_load_dword v27, off, s[0:3], 0 offset:252
	buffer_load_dword v26, off, s[0:3], 0 offset:248
	buffer_load_dword v29, off, s[0:3], 0 offset:244
	buffer_load_dword v28, off, s[0:3], 0 offset:240
	buffer_load_dword v19, off, s[0:3], 0 offset:236
	buffer_load_dword v18, off, s[0:3], 0 offset:232
	buffer_load_dword v47, off, s[0:3], 0 offset:284
	buffer_load_dword v46, off, s[0:3], 0 offset:280
	buffer_load_dword v48, off, s[0:3], 0 offset:272
	buffer_load_dword v31, off, s[0:3], 0 offset:268
	buffer_load_dword v30, off, s[0:3], 0 offset:264
	buffer_load_dword v51, off, s[0:3], 0 offset:300
	buffer_load_dword v50, off, s[0:3], 0 offset:296
	buffer_load_dword v24, off, s[0:3], 0 offset:176
	buffer_load_dword v25, off, s[0:3], 0 offset:180
	buffer_load_dword v23, off, s[0:3], 0 offset:196
	buffer_load_dword v22, off, s[0:3], 0 offset:192
	buffer_load_dword v21, off, s[0:3], 0 offset:228
	buffer_load_dword v20, off, s[0:3], 0 offset:224
	buffer_load_dword v17, off, s[0:3], 0 offset:260
	buffer_load_dword v16, off, s[0:3], 0 offset:256
	buffer_load_dword v49, off, s[0:3], 0 offset:276
	buffer_load_dword v52, off, s[0:3], 0 offset:312
	buffer_load_dword v54, off, s[0:3], 0 offset:304
	buffer_load_dword v55, off, s[0:3], 0 offset:308
	buffer_load_dword v53, off, s[0:3], 0 offset:316
	ds_read_b128 v[100:103], v32 offset:1152
	ds_read_b128 v[104:107], v32 offset:1168
	;; [unrolled: 1-line block ×10, first 2 shown]
	buffer_load_dword v117, off, s[0:3], 0 offset:292
	buffer_load_dword v116, off, s[0:3], 0 offset:288
	ds_read_b128 v[38:41], v32 offset:1312
	buffer_load_dword v87, off, s[0:3], 0 offset:348
	buffer_load_dword v86, off, s[0:3], 0 offset:344
	;; [unrolled: 1-line block ×6, first 2 shown]
	s_waitcnt vmcnt(46) lgkmcnt(10)
	v_mul_f64 v[0:1], v[100:101], v[10:11]
	v_fmac_f64_e32 v[0:1], v[102:103], v[4:5]
	v_add_f64 v[0:1], v[0:1], 0
	v_mul_f64 v[10:11], v[102:103], v[10:11]
	s_waitcnt vmcnt(42) lgkmcnt(9)
	v_mul_f64 v[56:57], v[104:105], v[8:9]
	v_fmac_f64_e32 v[56:57], v[106:107], v[2:3]
	s_waitcnt vmcnt(40) lgkmcnt(8)
	v_mul_f64 v[58:59], v[108:109], v[6:7]
	v_add_f64 v[0:1], v[0:1], v[56:57]
	s_waitcnt vmcnt(38) lgkmcnt(6)
	v_mul_f64 v[64:65], v[150:151], v[14:15]
	v_fma_f64 v[190:191], v[100:101], v[4:5], -v[10:11]
	s_waitcnt vmcnt(36)
	v_fmac_f64_e32 v[64:65], v[152:153], v[144:145]
	v_mul_f64 v[8:9], v[106:107], v[8:9]
	s_waitcnt vmcnt(34)
	v_mul_f64 v[62:63], v[112:113], v[142:143]
	v_fma_f64 v[238:239], v[104:105], v[2:3], -v[8:9]
	s_waitcnt vmcnt(32) lgkmcnt(4)
	v_mul_f64 v[68:69], v[158:159], v[26:27]
	v_mul_f64 v[6:7], v[110:111], v[6:7]
	s_waitcnt vmcnt(30)
	v_fmac_f64_e32 v[68:69], v[160:161], v[28:29]
	v_mul_f64 v[10:11], v[114:115], v[142:143]
	s_waitcnt vmcnt(28)
	v_mul_f64 v[66:67], v[154:155], v[18:19]
	v_mul_f64 v[14:15], v[152:153], v[14:15]
	s_waitcnt vmcnt(26) lgkmcnt(2)
	v_mul_f64 v[72:73], v[42:43], v[46:47]
	v_mul_f64 v[26:27], v[160:161], v[26:27]
	s_waitcnt vmcnt(23)
	v_mul_f64 v[70:71], v[162:163], v[30:31]
	v_mul_f64 v[30:31], v[164:165], v[30:31]
	s_waitcnt vmcnt(21) lgkmcnt(1)
	v_mul_f64 v[134:135], v[34:35], v[50:51]
	s_waitcnt vmcnt(19)
	v_fmac_f64_e32 v[58:59], v[110:111], v[24:25]
	v_add_f64 v[0:1], v[0:1], v[58:59]
	s_waitcnt vmcnt(17)
	v_fmac_f64_e32 v[62:63], v[114:115], v[22:23]
	v_add_f64 v[0:1], v[0:1], v[62:63]
	;; [unrolled: 3-line block ×3, first 2 shown]
	v_add_f64 v[0:1], v[0:1], v[66:67]
	s_waitcnt vmcnt(13)
	v_fmac_f64_e32 v[70:71], v[164:165], v[16:17]
	v_add_f64 v[0:1], v[0:1], v[68:69]
	s_waitcnt vmcnt(12)
	v_fmac_f64_e32 v[72:73], v[44:45], v[48:49]
	v_add_f64 v[0:1], v[0:1], v[70:71]
	v_add_f64 v[136:137], v[0:1], v[72:73]
	buffer_load_dword v175, off, s[0:3], 0 offset:324
	buffer_load_dword v174, off, s[0:3], 0 offset:320
	;; [unrolled: 1-line block ×60, first 2 shown]
	s_waitcnt vmcnt(62)
	v_fmac_f64_e32 v[134:135], v[36:37], v[116:117]
	v_add_f64 v[134:135], v[136:137], v[134:135]
	s_waitcnt lgkmcnt(0)
	v_mul_f64 v[136:137], v[38:39], v[52:53]
	v_fmac_f64_e32 v[136:137], v[40:41], v[54:55]
	v_add_f64 v[134:135], v[134:135], v[136:137]
	v_fma_f64 v[254:255], v[108:109], v[24:25], -v[6:7]
	v_fma_f64 v[252:253], v[112:113], v[22:23], -v[10:11]
	;; [unrolled: 1-line block ×3, first 2 shown]
	v_mul_f64 v[40:41], v[40:41], v[52:53]
	v_mul_f64 v[44:45], v[44:45], v[46:47]
	s_waitcnt vmcnt(0)
	v_pk_mov_b32 v[120:121], v[118:119], v[118:119] op_sel:[0,1]
	buffer_load_dword v119, off, s[0:3], 0 offset:596
	buffer_load_dword v118, off, s[0:3], 0 offset:592
	v_accvgpr_write_b32 a211, v121
	v_accvgpr_write_b32 a210, v120
	s_waitcnt vmcnt(0)
	v_pk_mov_b32 v[122:123], v[118:119], v[118:119] op_sel:[0,1]
	buffer_load_dword v119, off, s[0:3], 0 offset:588
	buffer_load_dword v118, off, s[0:3], 0 offset:584
	v_accvgpr_write_b32 a213, v123
	v_accvgpr_write_b32 a212, v122
	;; [unrolled: 6-line block ×6, first 2 shown]
	s_waitcnt vmcnt(0)
	v_pk_mov_b32 v[132:133], v[118:119], v[118:119] op_sel:[0,1]
	buffer_load_dword v119, off, s[0:3], 0 offset:612
	buffer_load_dword v118, off, s[0:3], 0 offset:608
	ds_read_b128 v[170:173], v32 offset:1328
	ds_read_b128 v[178:181], v32 offset:1344
	;; [unrolled: 1-line block ×6, first 2 shown]
	s_waitcnt lgkmcnt(5)
	v_mul_f64 v[136:137], v[170:171], v[96:97]
	v_fmac_f64_e32 v[136:137], v[172:173], v[174:175]
	v_add_f64 v[134:135], v[134:135], v[136:137]
	s_waitcnt lgkmcnt(4)
	v_mul_f64 v[136:137], v[178:179], v[86:87]
	v_fmac_f64_e32 v[136:137], v[180:181], v[60:61]
	v_add_f64 v[134:135], v[134:135], v[136:137]
	;; [unrolled: 4-line block ×3, first 2 shown]
	s_waitcnt lgkmcnt(2)
	v_mul_f64 v[136:137], v[186:187], v[200:201]
	v_fmac_f64_e32 v[136:137], v[188:189], v[206:207]
	ds_read_b128 v[202:205], v32 offset:1424
	ds_read_b128 v[212:215], v32 offset:1440
	v_add_f64 v[134:135], v[134:135], v[136:137]
	s_waitcnt lgkmcnt(3)
	v_mul_f64 v[136:137], v[192:193], v[236:237]
	v_fmac_f64_e32 v[136:137], v[194:195], v[246:247]
	v_add_f64 v[134:135], v[134:135], v[136:137]
	s_waitcnt lgkmcnt(2)
	v_mul_f64 v[136:137], v[196:197], v[94:95]
	v_fmac_f64_e32 v[136:137], v[198:199], v[98:99]
	;; [unrolled: 4-line block ×4, first 2 shown]
	ds_read_b128 v[216:219], v32 offset:1456
	v_add_f64 v[138:139], v[134:135], v[136:137]
	buffer_load_dword v135, off, s[0:3], 0 offset:652
	buffer_load_dword v134, off, s[0:3], 0 offset:648
	v_accvgpr_write_b32 a215, v133
	v_accvgpr_write_b32 a214, v132
	s_waitcnt lgkmcnt(0)
	v_mul_f64 v[140:141], v[216:217], v[0:1]
	v_fmac_f64_e32 v[140:141], v[218:219], v[88:89]
	v_add_f64 v[166:167], v[138:139], v[140:141]
	v_mul_f64 v[0:1], v[218:219], v[0:1]
	s_waitcnt vmcnt(2)
	v_accvgpr_write_b32 a217, v119
	v_accvgpr_write_b32 a216, v118
	s_waitcnt vmcnt(0)
	v_pk_mov_b32 v[176:177], v[134:135], v[134:135] op_sel:[0,1]
	buffer_load_dword v135, off, s[0:3], 0 offset:644
	buffer_load_dword v134, off, s[0:3], 0 offset:640
	ds_read_b128 v[220:223], v32 offset:1472
	buffer_load_dword v136, off, s[0:3], 0 offset:664
	buffer_load_dword v12, off, s[0:3], 0 offset:656
	;; [unrolled: 1-line block ×4, first 2 shown]
	ds_read_b128 v[224:227], v32 offset:1488
	buffer_load_dword v241, off, s[0:3], 0 offset:700
	buffer_load_dword v149, off, s[0:3], 0 offset:684
	;; [unrolled: 1-line block ×8, first 2 shown]
	ds_read_b128 v[228:231], v32 offset:1504
	ds_read_b128 v[232:235], v32 offset:1520
	s_waitcnt lgkmcnt(3)
	v_mul_f64 v[168:169], v[220:221], v[56:57]
	v_fmac_f64_e32 v[168:169], v[222:223], v[58:59]
	v_add_f64 v[166:167], v[166:167], v[168:169]
	s_waitcnt lgkmcnt(2)
	v_mul_f64 v[168:169], v[224:225], v[62:63]
	ds_read_b128 v[242:245], v32 offset:1536
	ds_read_b128 v[100:103], v32 offset:1552
	v_fmac_f64_e32 v[168:169], v[226:227], v[64:65]
	v_add_f64 v[166:167], v[166:167], v[168:169]
	s_waitcnt lgkmcnt(3)
	v_mul_f64 v[168:169], v[228:229], v[66:67]
	v_fmac_f64_e32 v[168:169], v[230:231], v[68:69]
	v_add_f64 v[166:167], v[166:167], v[168:169]
	s_waitcnt lgkmcnt(2)
	v_mul_f64 v[168:169], v[232:233], v[70:71]
	ds_read_b128 v[104:107], v32 offset:1568
	ds_read_b128 v[6:9], v32 offset:1600
	v_fmac_f64_e32 v[168:169], v[234:235], v[72:73]
	s_waitcnt lgkmcnt(3)
	v_mul_f64 v[4:5], v[242:243], v[78:79]
	v_add_f64 v[166:167], v[166:167], v[168:169]
	v_fmac_f64_e32 v[4:5], v[244:245], v[80:81]
	v_add_f64 v[2:3], v[166:167], v[4:5]
	s_waitcnt lgkmcnt(2)
	v_mul_f64 v[4:5], v[100:101], v[82:83]
	v_fmac_f64_e32 v[4:5], v[102:103], v[84:85]
	v_add_f64 v[2:3], v[2:3], v[4:5]
	s_waitcnt lgkmcnt(1)
	v_mul_f64 v[4:5], v[104:105], v[90:91]
	v_fmac_f64_e32 v[4:5], v[106:107], v[92:93]
	v_add_f64 v[166:167], v[2:3], v[4:5]
	ds_read_b128 v[2:5], v32 offset:1584
	s_waitcnt lgkmcnt(1)
	v_accvgpr_write_b32 a205, v9
	v_accvgpr_write_b32 a204, v8
	;; [unrolled: 1-line block ×4, first 2 shown]
	s_waitcnt lgkmcnt(0)
	v_mul_f64 v[24:25], v[2:3], v[128:129]
	v_accvgpr_write_b32 a197, v5
	v_fmac_f64_e32 v[24:25], v[4:5], v[130:131]
	v_accvgpr_write_b32 a196, v4
	v_accvgpr_write_b32 a195, v3
	;; [unrolled: 1-line block ×3, first 2 shown]
	ds_read_b128 v[2:5], v32 offset:1616
	v_add_f64 v[22:23], v[166:167], v[24:25]
	v_mul_f64 v[24:25], v[6:7], v[120:121]
	v_fmac_f64_e32 v[24:25], v[8:9], v[122:123]
	v_fma_f64 v[120:121], v[150:151], v[144:145], -v[14:15]
	ds_read_b128 v[150:153], v32 offset:1632
	s_waitcnt lgkmcnt(1)
	v_accvgpr_write_b32 a209, v5
	v_add_f64 v[22:23], v[22:23], v[24:25]
	v_mul_f64 v[24:25], v[2:3], v[132:133]
	v_accvgpr_write_b32 a208, v4
	v_accvgpr_write_b32 a207, v3
	v_accvgpr_write_b32 a206, v2
	buffer_load_dword v3, off, s[0:3], 0 offset:716
	buffer_load_dword v2, off, s[0:3], 0 offset:712
	;; [unrolled: 1-line block ×4, first 2 shown]
	ds_read_b128 v[142:145], v32 offset:1648
	ds_read_b128 v[130:133], v32 offset:1664
	v_fmac_f64_e32 v[24:25], v[4:5], v[118:119]
	v_mul_f64 v[4:5], v[156:157], v[18:19]
	v_fma_f64 v[118:119], v[154:155], v[20:21], -v[4:5]
	v_add_f64 v[22:23], v[22:23], v[24:25]
	s_waitcnt lgkmcnt(2)
	v_mul_f64 v[24:25], v[150:151], v[124:125]
	buffer_load_dword v154, off, s[0:3], 0 offset:728
	v_fmac_f64_e32 v[24:25], v[152:153], v[126:127]
	ds_read_b128 v[126:129], v32 offset:1680
	ds_read_b128 v[122:125], v32 offset:1696
	buffer_load_dword v158, off, s[0:3], 0 offset:720
	buffer_load_dword v155, off, s[0:3], 0 offset:732
	;; [unrolled: 1-line block ×3, first 2 shown]
	v_add_f64 v[22:23], v[22:23], v[24:25]
	s_waitcnt lgkmcnt(3)
	v_mul_f64 v[24:25], v[142:143], v[176:177]
	buffer_load_dword v156, off, s[0:3], 0 offset:760
	v_mul_f64 v[8:9], v[36:37], v[50:51]
	v_fma_f64 v[26:27], v[34:35], v[116:117], -v[8:9]
	v_accvgpr_write_b32 a223, v177
	v_accvgpr_write_b32 a222, v176
	v_mul_f64 v[20:21], v[198:199], v[94:95]
	v_fma_f64 v[20:21], v[196:197], v[98:99], -v[20:21]
	v_mul_f64 v[66:67], v[230:231], v[66:67]
	v_mul_f64 v[70:71], v[234:235], v[70:71]
	s_waitcnt vmcnt(14) lgkmcnt(1)
	v_mul_f64 v[114:115], v[126:127], v[148:149]
	v_fmac_f64_e32 v[24:25], v[144:145], v[134:135]
	v_mul_f64 v[112:113], v[130:131], v[136:137]
	v_add_f64 v[108:109], v[22:23], v[24:25]
	v_fmac_f64_e32 v[112:113], v[132:133], v[12:13]
	v_add_f64 v[108:109], v[108:109], v[112:113]
	v_fma_f64 v[112:113], v[162:163], v[16:17], -v[30:31]
	buffer_load_dword v163, off, s[0:3], 0 offset:748
	buffer_load_dword v162, off, s[0:3], 0 offset:744
	;; [unrolled: 1-line block ×7, first 2 shown]
	v_accvgpr_write_b32 a227, v13
	v_accvgpr_write_b32 a226, v12
	v_mul_f64 v[12:13], v[172:173], v[96:97]
	ds_read_b128 v[34:37], v32 offset:1712
	buffer_load_dword v167, off, s[0:3], 0 offset:780
	buffer_load_dword v166, off, s[0:3], 0 offset:776
	;; [unrolled: 1-line block ×4, first 2 shown]
	v_fma_f64 v[18:19], v[170:171], v[174:175], -v[12:13]
	buffer_load_dword v171, off, s[0:3], 0 offset:796
	buffer_load_dword v170, off, s[0:3], 0 offset:792
	buffer_load_dword v175, off, s[0:3], 0 offset:788
	buffer_load_dword v174, off, s[0:3], 0 offset:784
	buffer_load_dword v173, off, s[0:3], 0 offset:812
	buffer_load_dword v172, off, s[0:3], 0 offset:808
	buffer_load_dword v177, off, s[0:3], 0 offset:804
	buffer_load_dword v176, off, s[0:3], 0 offset:800
	v_fma_f64 v[22:23], v[38:39], v[54:55], -v[40:41]
	v_mul_f64 v[38:39], v[180:181], v[86:87]
	v_fma_f64 v[16:17], v[178:179], v[60:61], -v[38:39]
	buffer_load_dword v178, off, s[0:3], 0 offset:824
	v_mul_f64 v[38:39], v[184:185], v[208:209]
	v_fma_f64 v[14:15], v[182:183], v[210:211], -v[38:39]
	buffer_load_dword v182, off, s[0:3], 0 offset:816
	buffer_load_dword v179, off, s[0:3], 0 offset:828
	buffer_load_dword v183, off, s[0:3], 0 offset:820
	v_mul_f64 v[38:39], v[188:189], v[200:201]
	v_fma_f64 v[12:13], v[186:187], v[206:207], -v[38:39]
	buffer_load_dword v180, off, s[0:3], 0 offset:856
	buffer_load_dword v187, off, s[0:3], 0 offset:844
	buffer_load_dword v186, off, s[0:3], 0 offset:840
	buffer_load_dword v189, off, s[0:3], 0 offset:836
	buffer_load_dword v188, off, s[0:3], 0 offset:832
	buffer_load_dword v184, off, s[0:3], 0 offset:848
	buffer_load_dword v181, off, s[0:3], 0 offset:860
	buffer_load_dword v185, off, s[0:3], 0 offset:852
	v_mul_f64 v[40:41], v[194:195], v[236:237]
	v_fma_f64 v[10:11], v[192:193], v[246:247], -v[40:41]
	buffer_load_dword v193, off, s[0:3], 0 offset:876
	buffer_load_dword v192, off, s[0:3], 0 offset:872
	;; [unrolled: 1-line block ×8, first 2 shown]
	s_waitcnt vmcnt(51)
	v_fmac_f64_e32 v[114:115], v[128:129], v[140:141]
	v_add_f64 v[108:109], v[108:109], v[114:115]
	s_waitcnt vmcnt(50) lgkmcnt(1)
	v_mul_f64 v[114:115], v[122:123], v[240:241]
	s_waitcnt vmcnt(48)
	v_fmac_f64_e32 v[114:115], v[124:125], v[138:139]
	v_add_f64 v[108:109], v[108:109], v[114:115]
	v_mul_f64 v[40:41], v[204:205], v[248:249]
	v_fma_f64 v[248:249], v[202:203], v[250:251], -v[40:41]
	buffer_load_dword v196, off, s[0:3], 0 offset:920
	buffer_load_dword v205, off, s[0:3], 0 offset:908
	;; [unrolled: 1-line block ×12, first 2 shown]
	v_fma_f64 v[30:31], v[42:43], v[48:49], -v[44:45]
	v_mul_f64 v[42:43], v[214:215], v[74:75]
	v_fma_f64 v[250:251], v[212:213], v[76:77], -v[42:43]
	ds_read_b128 v[42:45], v32 offset:1744
	ds_read_b128 v[46:49], v32 offset:1760
	v_mul_f64 v[54:55], v[222:223], v[56:57]
	v_fma_f64 v[6:7], v[220:221], v[58:59], -v[54:55]
	ds_read_b128 v[54:57], v32 offset:1792
	v_mul_f64 v[58:59], v[226:227], v[62:63]
	v_fma_f64 v[4:5], v[224:225], v[64:65], -v[58:59]
	v_fma_f64 v[246:247], v[228:229], v[68:69], -v[66:67]
	v_accvgpr_write_b32 a225, v135
	v_accvgpr_write_b32 a224, v134
	v_fma_f64 v[8:9], v[216:217], v[88:89], -v[0:1]
	ds_read_b128 v[58:61], v32 offset:1808
	ds_read_b128 v[66:69], v32 offset:1840
	s_waitcnt vmcnt(58) lgkmcnt(5)
	v_mul_f64 v[38:39], v[34:35], v[2:3]
	v_pk_mov_b32 v[134:135], v[2:3], v[2:3] op_sel:[0,1]
	s_waitcnt vmcnt(56)
	v_fmac_f64_e32 v[38:39], v[36:37], v[146:147]
	v_add_f64 v[50:51], v[108:109], v[38:39]
	ds_read_b128 v[38:41], v32 offset:1728
	v_fma_f64 v[2:3], v[232:233], v[72:73], -v[70:71]
	ds_read_b128 v[70:73], v32 offset:1856
	s_waitcnt vmcnt(53) lgkmcnt(1)
	v_mul_f64 v[52:53], v[38:39], v[154:155]
	s_waitcnt vmcnt(52)
	v_fmac_f64_e32 v[52:53], v[40:41], v[158:159]
	v_add_f64 v[50:51], v[50:51], v[52:53]
	s_waitcnt vmcnt(49)
	v_mul_f64 v[52:53], v[42:43], v[162:163]
	s_waitcnt vmcnt(47)
	v_fmac_f64_e32 v[52:53], v[44:45], v[164:165]
	v_add_f64 v[50:51], v[50:51], v[52:53]
	s_waitcnt vmcnt(45)
	v_mul_f64 v[52:53], v[46:47], v[156:157]
	s_waitcnt vmcnt(44)
	v_fmac_f64_e32 v[52:53], v[48:49], v[160:161]
	v_add_f64 v[74:75], v[50:51], v[52:53]
	ds_read_b128 v[50:53], v32 offset:1776
	s_waitcnt vmcnt(42) lgkmcnt(0)
	v_mul_f64 v[76:77], v[50:51], v[166:167]
	s_waitcnt vmcnt(40)
	v_fmac_f64_e32 v[76:77], v[52:53], v[168:169]
	s_waitcnt vmcnt(38)
	v_mul_f64 v[62:63], v[54:55], v[170:171]
	v_add_f64 v[24:25], v[74:75], v[76:77]
	s_waitcnt vmcnt(36)
	v_fmac_f64_e32 v[62:63], v[56:57], v[174:175]
	v_add_f64 v[24:25], v[24:25], v[62:63]
	s_waitcnt vmcnt(34)
	v_mul_f64 v[62:63], v[58:59], v[172:173]
	s_waitcnt vmcnt(32)
	v_fmac_f64_e32 v[62:63], v[60:61], v[176:177]
	v_add_f64 v[24:25], v[24:25], v[62:63]
	ds_read_b128 v[62:65], v32 offset:1824
	s_waitcnt vmcnt(25)
	v_mul_f64 v[28:29], v[66:67], v[186:187]
	s_waitcnt vmcnt(23)
	v_fmac_f64_e32 v[28:29], v[68:69], v[188:189]
	s_waitcnt lgkmcnt(0)
	v_mul_f64 v[74:75], v[62:63], v[178:179]
	v_fmac_f64_e32 v[74:75], v[64:65], v[182:183]
	v_add_f64 v[24:25], v[24:25], v[74:75]
	v_add_f64 v[24:25], v[24:25], v[28:29]
	ds_read_b128 v[74:77], v32 offset:1872
	s_waitcnt vmcnt(21)
	v_mul_f64 v[28:29], v[70:71], v[180:181]
	s_waitcnt vmcnt(20)
	v_fmac_f64_e32 v[28:29], v[72:73], v[184:185]
	v_add_f64 v[28:29], v[24:25], v[28:29]
	v_mul_f64 v[24:25], v[244:245], v[78:79]
	v_fma_f64 v[232:233], v[242:243], v[80:81], -v[24:25]
	ds_read_b128 v[78:81], v32 offset:1888
	s_waitcnt vmcnt(18) lgkmcnt(1)
	v_mul_f64 v[86:87], v[74:75], v[192:193]
	s_waitcnt vmcnt(16)
	v_fmac_f64_e32 v[86:87], v[76:77], v[194:195]
	v_mul_f64 v[24:25], v[102:103], v[82:83]
	v_fma_f64 v[24:25], v[100:101], v[84:85], -v[24:25]
	ds_read_b128 v[82:85], v32 offset:1904
	v_add_f64 v[28:29], v[28:29], v[86:87]
	s_waitcnt vmcnt(14) lgkmcnt(1)
	v_mul_f64 v[86:87], v[78:79], v[198:199]
	s_waitcnt vmcnt(12)
	v_fmac_f64_e32 v[86:87], v[80:81], v[200:201]
	v_add_f64 v[94:95], v[28:29], v[86:87]
	v_mul_f64 v[28:29], v[106:107], v[90:91]
	ds_read_b128 v[86:89], v32 offset:1920
	v_fma_f64 v[28:29], v[104:105], v[92:93], -v[28:29]
	ds_read_b128 v[90:93], v32 offset:1936
	buffer_load_dword v212, off, s[0:3], 0 offset:952
	buffer_load_dword v213, off, s[0:3], 0 offset:956
	;; [unrolled: 1-line block ×4, first 2 shown]
	s_waitcnt vmcnt(13) lgkmcnt(2)
	v_mul_f64 v[96:97], v[82:83], v[204:205]
	s_waitcnt vmcnt(11)
	v_fmac_f64_e32 v[96:97], v[84:85], v[208:209]
	v_add_f64 v[94:95], v[94:95], v[96:97]
	s_waitcnt vmcnt(9) lgkmcnt(1)
	v_mul_f64 v[96:97], v[86:87], v[196:197]
	s_waitcnt vmcnt(8)
	v_fmac_f64_e32 v[96:97], v[88:89], v[202:203]
	v_add_f64 v[94:95], v[94:95], v[96:97]
	;; [unrolled: 5-line block ×3, first 2 shown]
	ds_read_b128 v[94:97], v32 offset:1952
	buffer_load_dword v217, off, s[0:3], 0 offset:972
	buffer_load_dword v216, off, s[0:3], 0 offset:968
	buffer_load_dword v219, off, s[0:3], 0 offset:964
	buffer_load_dword v218, off, s[0:3], 0 offset:960
	s_waitcnt vmcnt(6) lgkmcnt(0)
	v_mul_f64 v[100:101], v[94:95], v[212:213]
	s_waitcnt vmcnt(4)
	v_fmac_f64_e32 v[100:101], v[96:97], v[214:215]
	v_add_f64 v[102:103], v[98:99], v[100:101]
	ds_read_b128 v[98:101], v32 offset:1968
	buffer_load_dword v220, off, s[0:3], 0 offset:984
	buffer_load_dword v221, off, s[0:3], 0 offset:988
	buffer_load_dword v222, off, s[0:3], 0 offset:976
	buffer_load_dword v223, off, s[0:3], 0 offset:980
	s_waitcnt vmcnt(6) lgkmcnt(0)
	v_mul_f64 v[104:105], v[98:99], v[216:217]
	s_waitcnt vmcnt(4)
	v_fmac_f64_e32 v[104:105], v[100:101], v[218:219]
	v_add_f64 v[106:107], v[102:103], v[104:105]
	;; [unrolled: 10-line block ×3, first 2 shown]
	ds_read_b128 v[106:109], v32 offset:2000
	buffer_load_dword v228, off, s[0:3], 0 offset:1016
	buffer_load_dword v229, off, s[0:3], 0 offset:1020
	;; [unrolled: 1-line block ×4, first 2 shown]
	ds_read_b128 v[242:245], v32 offset:2016
	buffer_load_dword v235, off, s[0:3], 0 offset:1036
	buffer_load_dword v234, off, s[0:3], 0 offset:1032
	;; [unrolled: 1-line block ×4, first 2 shown]
	s_waitcnt vmcnt(10) lgkmcnt(1)
	v_mul_f64 v[116:117], v[106:107], v[224:225]
	s_waitcnt vmcnt(8)
	v_fmac_f64_e32 v[116:117], v[108:109], v[226:227]
	v_add_f64 v[114:115], v[114:115], v[116:117]
	s_waitcnt vmcnt(6) lgkmcnt(0)
	v_mul_f64 v[116:117], v[242:243], v[228:229]
	s_waitcnt vmcnt(4)
	v_fmac_f64_e32 v[116:117], v[244:245], v[230:231]
	v_add_f64 v[0:1], v[114:115], v[116:117]
	ds_read_b128 v[114:117], v32 offset:2032
	s_waitcnt vmcnt(2) lgkmcnt(0)
	v_mul_f64 v[32:33], v[114:115], v[234:235]
	s_waitcnt vmcnt(0)
	v_fmac_f64_e32 v[32:33], v[116:117], v[236:237]
	v_add_f64 v[32:33], v[0:1], v[32:33]
	v_add_f64 v[0:1], v[190:191], 0
	;; [unrolled: 1-line block ×20, first 2 shown]
	buffer_load_dword v250, off, s[0:3], 0 offset:128
	buffer_load_dword v251, off, s[0:3], 0 offset:132
	;; [unrolled: 1-line block ×4, first 2 shown]
	v_add_f64 v[0:1], v[0:1], v[8:9]
	v_add_f64 v[0:1], v[0:1], v[6:7]
	;; [unrolled: 1-line block ×5, first 2 shown]
	v_accvgpr_read_b32 v4, a194
	v_accvgpr_read_b32 v2, a198
	v_accvgpr_read_b32 v6, a196
	v_accvgpr_read_b32 v7, a197
	v_accvgpr_read_b32 v3, a199
	v_add_f64 v[254:255], v[0:1], v[232:233]
	v_mul_f64 v[2:3], v[6:7], v[2:3]
	v_accvgpr_read_b32 v6, a200
	v_add_f64 v[0:1], v[254:255], v[24:25]
	v_accvgpr_read_b32 v5, a195
	v_accvgpr_read_b32 v7, a201
	v_add_f64 v[0:1], v[0:1], v[28:29]
	v_fma_f64 v[2:3], v[4:5], v[6:7], -v[2:3]
	v_add_f64 v[0:1], v[0:1], v[2:3]
	v_accvgpr_read_b32 v4, a202
	v_accvgpr_read_b32 v2, a210
	;; [unrolled: 1-line block ×5, first 2 shown]
	v_mul_f64 v[2:3], v[6:7], v[2:3]
	v_accvgpr_read_b32 v6, a212
	v_accvgpr_read_b32 v5, a203
	;; [unrolled: 1-line block ×3, first 2 shown]
	v_fma_f64 v[2:3], v[4:5], v[6:7], -v[2:3]
	v_add_f64 v[0:1], v[0:1], v[2:3]
	v_accvgpr_read_b32 v4, a206
	v_accvgpr_read_b32 v2, a214
	;; [unrolled: 1-line block ×5, first 2 shown]
	v_mul_f64 v[2:3], v[6:7], v[2:3]
	v_accvgpr_read_b32 v6, a216
	v_accvgpr_read_b32 v5, a207
	;; [unrolled: 1-line block ×3, first 2 shown]
	v_fma_f64 v[2:3], v[4:5], v[6:7], -v[2:3]
	v_add_f64 v[0:1], v[0:1], v[2:3]
	v_accvgpr_read_b32 v2, a218
	v_accvgpr_read_b32 v3, a219
	;; [unrolled: 1-line block ×3, first 2 shown]
	v_mul_f64 v[2:3], v[152:153], v[2:3]
	v_accvgpr_read_b32 v5, a221
	v_fma_f64 v[2:3], v[150:151], v[4:5], -v[2:3]
	v_add_f64 v[0:1], v[0:1], v[2:3]
	v_accvgpr_read_b32 v2, a222
	v_accvgpr_read_b32 v3, a223
	;; [unrolled: 1-line block ×3, first 2 shown]
	v_mul_f64 v[2:3], v[144:145], v[2:3]
	v_accvgpr_read_b32 v5, a225
	v_fma_f64 v[2:3], v[142:143], v[4:5], -v[2:3]
	v_accvgpr_read_b32 v4, a226
	v_add_f64 v[0:1], v[0:1], v[2:3]
	v_mul_f64 v[2:3], v[132:133], v[136:137]
	v_accvgpr_read_b32 v5, a227
	v_fma_f64 v[2:3], v[130:131], v[4:5], -v[2:3]
	v_add_f64 v[0:1], v[0:1], v[2:3]
	v_mul_f64 v[2:3], v[128:129], v[148:149]
	v_fma_f64 v[2:3], v[126:127], v[140:141], -v[2:3]
	v_add_f64 v[0:1], v[0:1], v[2:3]
	v_mul_f64 v[2:3], v[124:125], v[240:241]
	;; [unrolled: 3-line block ×23, first 2 shown]
	v_fma_f64 v[2:3], v[114:115], v[236:237], -v[2:3]
	v_add_f64 v[0:1], v[0:1], v[2:3]
	v_accvgpr_read_b32 v239, a191
	s_waitcnt vmcnt(2)
	v_add_f64 v[0:1], v[250:251], -v[0:1]
	v_cmp_lt_u32_e32 vcc, 6, v239
	s_waitcnt vmcnt(0)
	v_add_f64 v[2:3], v[248:249], -v[32:33]
	buffer_store_dword v1, off, s[0:3], 0 offset:132
	buffer_store_dword v0, off, s[0:3], 0 offset:128
	;; [unrolled: 1-line block ×4, first 2 shown]
	s_and_saveexec_b64 s[4:5], vcc
	s_cbranch_execz .LBB63_397
; %bb.396:
	v_accvgpr_read_b32 v3, a185
	buffer_load_dword v0, v3, s[0:3], 0 offen
	buffer_load_dword v1, v3, s[0:3], 0 offen offset:4
	buffer_load_dword v2, v3, s[0:3], 0 offen offset:8
	s_nop 0
	buffer_load_dword v3, v3, s[0:3], 0 offen offset:12
	v_mov_b32_e32 v4, 0
	v_accvgpr_read_b32 v5, a192
	buffer_store_dword v4, off, s[0:3], 0 offset:112
	buffer_store_dword v4, off, s[0:3], 0 offset:116
	;; [unrolled: 1-line block ×4, first 2 shown]
	s_waitcnt vmcnt(4)
	ds_write_b128 v5, v[0:3]
.LBB63_397:
	s_or_b64 exec, exec, s[4:5]
	s_waitcnt lgkmcnt(0)
	; wave barrier
	s_waitcnt lgkmcnt(0)
	buffer_load_dword v6, off, s[0:3], 0 offset:128
	buffer_load_dword v7, off, s[0:3], 0 offset:132
	;; [unrolled: 1-line block ×42, first 2 shown]
	v_mov_b32_e32 v238, 0
	buffer_load_dword v81, off, s[0:3], 0 offset:276
	buffer_load_dword v80, off, s[0:3], 0 offset:272
	buffer_load_dword v49, off, s[0:3], 0 offset:332
	buffer_load_dword v48, off, s[0:3], 0 offset:328
	buffer_load_dword v51, off, s[0:3], 0 offset:324
	buffer_load_dword v50, off, s[0:3], 0 offset:320
	buffer_load_dword v69, off, s[0:3], 0 offset:316
	ds_read_b128 v[102:105], v238 offset:1136
	ds_read_b128 v[106:109], v238 offset:1152
	;; [unrolled: 1-line block ×11, first 2 shown]
	v_cmp_lt_u32_e32 vcc, 5, v239
	s_waitcnt vmcnt(45) lgkmcnt(10)
	v_mul_f64 v[0:1], v[102:103], v[10:11]
	v_fmac_f64_e32 v[0:1], v[104:105], v[6:7]
	v_add_f64 v[0:1], v[0:1], 0
	v_mul_f64 v[10:11], v[104:105], v[10:11]
	s_waitcnt vmcnt(41) lgkmcnt(9)
	v_mul_f64 v[52:53], v[106:107], v[8:9]
	v_fmac_f64_e32 v[52:53], v[108:109], v[4:5]
	s_waitcnt vmcnt(39) lgkmcnt(8)
	v_mul_f64 v[54:55], v[110:111], v[2:3]
	v_add_f64 v[0:1], v[0:1], v[52:53]
	s_waitcnt vmcnt(37) lgkmcnt(6)
	v_mul_f64 v[58:59], v[150:151], v[142:143]
	v_mul_f64 v[8:9], v[108:109], v[8:9]
	s_waitcnt vmcnt(35)
	v_fmac_f64_e32 v[58:59], v[152:153], v[14:15]
	v_fma_f64 v[148:149], v[106:107], v[4:5], -v[8:9]
	s_waitcnt vmcnt(33)
	v_mul_f64 v[56:57], v[114:115], v[144:145]
	v_mul_f64 v[2:3], v[112:113], v[2:3]
	s_waitcnt vmcnt(31) lgkmcnt(4)
	v_mul_f64 v[62:63], v[158:159], v[22:23]
	v_mul_f64 v[22:23], v[160:161], v[22:23]
	s_waitcnt vmcnt(29)
	v_fmac_f64_e32 v[62:63], v[160:161], v[24:25]
	s_waitcnt vmcnt(27)
	v_mul_f64 v[60:61], v[154:155], v[18:19]
	s_waitcnt vmcnt(25) lgkmcnt(2)
	v_mul_f64 v[66:67], v[166:167], v[30:31]
	v_mul_f64 v[30:31], v[168:169], v[30:31]
	s_waitcnt vmcnt(22)
	v_mul_f64 v[64:65], v[162:163], v[26:27]
	s_waitcnt vmcnt(20) lgkmcnt(1)
	v_mul_f64 v[130:131], v[170:171], v[38:39]
	v_mul_f64 v[38:39], v[172:173], v[38:39]
	s_waitcnt vmcnt(18)
	v_fmac_f64_e32 v[54:55], v[112:113], v[44:45]
	v_add_f64 v[0:1], v[0:1], v[54:55]
	s_waitcnt vmcnt(16)
	v_fmac_f64_e32 v[56:57], v[116:117], v[40:41]
	v_add_f64 v[0:1], v[0:1], v[56:57]
	;; [unrolled: 3-line block ×3, first 2 shown]
	v_add_f64 v[0:1], v[0:1], v[60:61]
	s_waitcnt vmcnt(12)
	v_fmac_f64_e32 v[64:65], v[164:165], v[28:29]
	v_add_f64 v[0:1], v[0:1], v[62:63]
	s_waitcnt vmcnt(11)
	v_fmac_f64_e32 v[66:67], v[168:169], v[32:33]
	v_add_f64 v[0:1], v[0:1], v[64:65]
	v_add_f64 v[132:133], v[0:1], v[66:67]
	buffer_load_dword v68, off, s[0:3], 0 offset:312
	buffer_load_dword v233, off, s[0:3], 0 offset:308
	;; [unrolled: 1-line block ×61, first 2 shown]
	s_waitcnt vmcnt(62)
	v_fmac_f64_e32 v[130:131], v[172:173], v[80:81]
	v_add_f64 v[130:131], v[132:133], v[130:131]
	s_waitcnt lgkmcnt(0)
	v_mul_f64 v[132:133], v[34:35], v[42:43]
	v_fmac_f64_e32 v[132:133], v[36:37], v[46:47]
	v_add_f64 v[130:131], v[130:131], v[132:133]
	v_fma_f64 v[240:241], v[110:111], v[44:45], -v[2:3]
	v_mul_f64 v[2:3], v[116:117], v[144:145]
	v_fma_f64 v[252:253], v[114:115], v[40:41], -v[2:3]
	v_mul_f64 v[36:37], v[36:37], v[42:43]
	s_waitcnt vmcnt(0)
	v_pk_mov_b32 v[118:119], v[86:87], v[86:87] op_sel:[0,1]
	buffer_load_dword v87, off, s[0:3], 0 offset:580
	buffer_load_dword v86, off, s[0:3], 0 offset:576
	v_accvgpr_write_b32 a199, v119
	v_accvgpr_write_b32 a198, v118
	s_waitcnt vmcnt(0)
	v_pk_mov_b32 v[122:123], v[86:87], v[86:87] op_sel:[0,1]
	buffer_load_dword v87, off, s[0:3], 0 offset:572
	buffer_load_dword v86, off, s[0:3], 0 offset:568
	;; [unrolled: 1-line block ×6, first 2 shown]
	v_accvgpr_write_b32 a201, v123
	v_accvgpr_write_b32 a200, v122
	s_waitcnt vmcnt(0)
	v_pk_mov_b32 v[124:125], v[120:121], v[120:121] op_sel:[0,1]
	buffer_load_dword v121, off, s[0:3], 0 offset:612
	buffer_load_dword v120, off, s[0:3], 0 offset:608
	;; [unrolled: 1-line block ×4, first 2 shown]
	s_waitcnt vmcnt(2)
	v_accvgpr_write_b32 a215, v121
	v_accvgpr_write_b32 a214, v120
	s_waitcnt vmcnt(0)
	v_pk_mov_b32 v[128:129], v[126:127], v[126:127] op_sel:[0,1]
	buffer_load_dword v127, off, s[0:3], 0 offset:596
	buffer_load_dword v126, off, s[0:3], 0 offset:592
	ds_read_b128 v[174:177], v238 offset:1312
	ds_read_b128 v[178:181], v238 offset:1328
	ds_read_b128 v[182:185], v238 offset:1344
	ds_read_b128 v[186:189], v238 offset:1360
	ds_read_b128 v[192:195], v238 offset:1376
	ds_read_b128 v[196:199], v238 offset:1392
	s_waitcnt lgkmcnt(5)
	v_mul_f64 v[132:133], v[174:175], v[68:69]
	v_fmac_f64_e32 v[132:133], v[176:177], v[232:233]
	v_add_f64 v[130:131], v[130:131], v[132:133]
	s_waitcnt lgkmcnt(4)
	v_mul_f64 v[132:133], v[178:179], v[48:49]
	v_fmac_f64_e32 v[132:133], v[180:181], v[50:51]
	v_add_f64 v[130:131], v[130:131], v[132:133]
	;; [unrolled: 4-line block ×3, first 2 shown]
	s_waitcnt lgkmcnt(2)
	v_mul_f64 v[132:133], v[186:187], v[234:235]
	v_fmac_f64_e32 v[132:133], v[188:189], v[100:101]
	ds_read_b128 v[200:203], v238 offset:1408
	ds_read_b128 v[204:207], v238 offset:1424
	v_add_f64 v[130:131], v[130:131], v[132:133]
	s_waitcnt lgkmcnt(3)
	v_mul_f64 v[132:133], v[192:193], v[246:247]
	v_fmac_f64_e32 v[132:133], v[194:195], v[248:249]
	v_add_f64 v[130:131], v[130:131], v[132:133]
	s_waitcnt lgkmcnt(2)
	v_mul_f64 v[132:133], v[196:197], v[244:245]
	v_fmac_f64_e32 v[132:133], v[198:199], v[98:99]
	;; [unrolled: 4-line block ×4, first 2 shown]
	ds_read_b128 v[208:211], v238 offset:1440
	ds_read_b128 v[212:215], v238 offset:1456
	v_add_f64 v[134:135], v[130:131], v[132:133]
	buffer_load_dword v131, off, s[0:3], 0 offset:636
	buffer_load_dword v130, off, s[0:3], 0 offset:632
	v_accvgpr_write_b32 a207, v129
	s_waitcnt lgkmcnt(1)
	v_mul_f64 v[136:137], v[208:209], v[0:1]
	v_fmac_f64_e32 v[136:137], v[210:211], v[90:91]
	v_add_f64 v[138:139], v[134:135], v[136:137]
	s_waitcnt lgkmcnt(0)
	v_mul_f64 v[140:141], v[212:213], v[52:53]
	v_fmac_f64_e32 v[140:141], v[214:215], v[54:55]
	v_add_f64 v[138:139], v[138:139], v[140:141]
	v_accvgpr_write_b32 a206, v128
	v_mul_f64 v[0:1], v[210:211], v[0:1]
	s_waitcnt vmcnt(2)
	v_accvgpr_write_b32 a209, v127
	v_accvgpr_write_b32 a208, v126
	s_waitcnt vmcnt(0)
	v_pk_mov_b32 v[132:133], v[130:131], v[130:131] op_sel:[0,1]
	buffer_load_dword v131, off, s[0:3], 0 offset:628
	buffer_load_dword v130, off, s[0:3], 0 offset:624
	ds_read_b128 v[216:219], v238 offset:1472
	buffer_load_dword v134, off, s[0:3], 0 offset:648
	buffer_load_dword v136, off, s[0:3], 0 offset:640
	;; [unrolled: 1-line block ×4, first 2 shown]
	ds_read_b128 v[220:223], v238 offset:1488
	v_accvgpr_write_b32 a217, v133
	v_accvgpr_write_b32 a216, v132
	s_waitcnt lgkmcnt(1)
	v_mul_f64 v[140:141], v[216:217], v[56:57]
	v_fmac_f64_e32 v[140:141], v[218:219], v[66:67]
	v_add_f64 v[190:191], v[138:139], v[140:141]
	buffer_load_dword v13, off, s[0:3], 0 offset:684
	buffer_load_dword v17, off, s[0:3], 0 offset:668
	;; [unrolled: 1-line block ×12, first 2 shown]
	s_waitcnt lgkmcnt(0)
	v_mul_f64 v[224:225], v[220:221], v[58:59]
	v_fmac_f64_e32 v[224:225], v[222:223], v[60:61]
	v_add_f64 v[228:229], v[190:191], v[224:225]
	ds_read_b128 v[224:227], v238 offset:1504
	v_fma_f64 v[190:191], v[102:103], v[6:7], -v[10:11]
	ds_read_b128 v[102:105], v238 offset:1520
	ds_read_b128 v[106:109], v238 offset:1536
	;; [unrolled: 1-line block ×3, first 2 shown]
	s_waitcnt lgkmcnt(3)
	v_mul_f64 v[6:7], v[224:225], v[62:63]
	v_fmac_f64_e32 v[6:7], v[226:227], v[64:65]
	v_add_f64 v[4:5], v[228:229], v[6:7]
	s_waitcnt lgkmcnt(2)
	v_mul_f64 v[6:7], v[102:103], v[70:71]
	ds_read_b128 v[228:231], v238 offset:1552
	v_fmac_f64_e32 v[6:7], v[104:105], v[72:73]
	v_add_f64 v[4:5], v[4:5], v[6:7]
	s_waitcnt lgkmcnt(2)
	v_mul_f64 v[6:7], v[106:107], v[74:75]
	v_fmac_f64_e32 v[6:7], v[108:109], v[76:77]
	v_add_f64 v[6:7], v[4:5], v[6:7]
	ds_read_b128 v[2:5], v238 offset:1584
	s_waitcnt lgkmcnt(1)
	v_mul_f64 v[8:9], v[228:229], v[82:83]
	v_fmac_f64_e32 v[8:9], v[230:231], v[84:85]
	v_add_f64 v[6:7], v[6:7], v[8:9]
	v_mul_f64 v[8:9], v[110:111], v[86:87]
	v_fmac_f64_e32 v[8:9], v[112:113], v[88:89]
	v_add_f64 v[6:7], v[6:7], v[8:9]
	s_waitcnt lgkmcnt(0)
	v_mul_f64 v[8:9], v[2:3], v[118:119]
	v_accvgpr_write_b32 a197, v5
	v_fmac_f64_e32 v[8:9], v[4:5], v[122:123]
	v_accvgpr_write_b32 a196, v4
	v_accvgpr_write_b32 a195, v3
	;; [unrolled: 1-line block ×3, first 2 shown]
	ds_read_b128 v[2:5], v238 offset:1600
	v_mul_f64 v[10:11], v[152:153], v[142:143]
	ds_read_b128 v[142:145], v238 offset:1616
	v_add_f64 v[40:41], v[6:7], v[8:9]
	ds_read_b128 v[6:9], v238 offset:1632
	s_waitcnt lgkmcnt(2)
	v_mul_f64 v[44:45], v[2:3], v[128:129]
	v_fma_f64 v[250:251], v[150:151], v[14:15], -v[10:11]
	v_fmac_f64_e32 v[44:45], v[4:5], v[126:127]
	v_accvgpr_write_b32 a205, v5
	v_mul_f64 v[14:15], v[156:157], v[18:19]
	s_waitcnt lgkmcnt(1)
	v_mul_f64 v[18:19], v[142:143], v[124:125]
	v_accvgpr_write_b32 a204, v4
	v_accvgpr_write_b32 a203, v3
	;; [unrolled: 1-line block ×3, first 2 shown]
	v_add_f64 v[4:5], v[40:41], v[44:45]
	v_fmac_f64_e32 v[18:19], v[144:145], v[120:121]
	v_add_f64 v[4:5], v[4:5], v[18:19]
	s_waitcnt lgkmcnt(0)
	v_mul_f64 v[18:19], v[6:7], v[132:133]
	v_fma_f64 v[152:153], v[158:159], v[24:25], -v[22:23]
	v_fma_f64 v[116:117], v[154:155], v[146:147], -v[14:15]
	v_pk_mov_b32 v[146:147], v[124:125], v[124:125] op_sel:[0,1]
	v_accvgpr_write_b32 a213, v9
	v_accvgpr_write_b32 a212, v8
	;; [unrolled: 1-line block ×4, first 2 shown]
	v_mul_f64 v[24:25], v[226:227], v[62:63]
	s_waitcnt vmcnt(16)
	v_accvgpr_write_b32 a219, v131
	v_fmac_f64_e32 v[18:19], v[8:9], v[130:131]
	v_accvgpr_write_b32 a218, v130
	ds_read_b128 v[130:133], v238 offset:1648
	buffer_load_dword v150, off, s[0:3], 0 offset:712
	buffer_load_dword v151, off, s[0:3], 0 offset:716
	s_waitcnt vmcnt(15)
	v_accvgpr_write_b32 a221, v135
	v_accvgpr_write_b32 a220, v134
	ds_read_b128 v[126:129], v238 offset:1664
	s_waitcnt lgkmcnt(1)
	v_mul_f64 v[22:23], v[130:131], v[134:135]
	buffer_load_dword v134, off, s[0:3], 0 offset:704
	buffer_load_dword v135, off, s[0:3], 0 offset:708
	ds_read_b128 v[122:125], v238 offset:1680
	ds_read_b128 v[118:121], v238 offset:1696
	buffer_load_dword v155, off, s[0:3], 0 offset:732
	buffer_load_dword v154, off, s[0:3], 0 offset:728
	;; [unrolled: 1-line block ×8, first 2 shown]
	v_add_f64 v[4:5], v[4:5], v[18:19]
	s_waitcnt vmcnt(24)
	v_fmac_f64_e32 v[22:23], v[132:133], v[136:137]
	v_add_f64 v[40:41], v[4:5], v[22:23]
	v_mul_f64 v[4:5], v[164:165], v[26:27]
	v_fma_f64 v[44:45], v[162:163], v[28:29], -v[4:5]
	v_fma_f64 v[162:163], v[166:167], v[32:33], -v[30:31]
	;; [unrolled: 1-line block ×3, first 2 shown]
	buffer_load_dword v43, off, s[0:3], 0 offset:780
	buffer_load_dword v165, off, s[0:3], 0 offset:764
	;; [unrolled: 1-line block ×8, first 2 shown]
	s_waitcnt vmcnt(29) lgkmcnt(2)
	v_mul_f64 v[114:115], v[126:127], v[16:17]
	s_waitcnt vmcnt(27)
	v_fmac_f64_e32 v[114:115], v[128:129], v[140:141]
	s_waitcnt vmcnt(26)
	v_accvgpr_write_b32 a229, v13
	v_add_f64 v[40:41], v[40:41], v[114:115]
	s_waitcnt lgkmcnt(1)
	v_mul_f64 v[114:115], v[122:123], v[12:13]
	v_accvgpr_write_b32 a228, v12
	v_mul_f64 v[12:13], v[176:177], v[68:69]
	v_fma_f64 v[28:29], v[34:35], v[46:47], -v[36:37]
	v_fma_f64 v[26:27], v[174:175], v[232:233], -v[12:13]
	ds_read_b128 v[34:37], v238 offset:1712
	buffer_load_dword v166, off, s[0:3], 0 offset:808
	buffer_load_dword v173, off, s[0:3], 0 offset:796
	;; [unrolled: 1-line block ×8, first 2 shown]
	v_mul_f64 v[38:39], v[180:181], v[48:49]
	v_fma_f64 v[232:233], v[178:179], v[50:51], -v[38:39]
	buffer_load_dword v179, off, s[0:3], 0 offset:828
	buffer_load_dword v178, off, s[0:3], 0 offset:824
	;; [unrolled: 1-line block ×4, first 2 shown]
	v_accvgpr_write_b32 a225, v17
	v_accvgpr_write_b32 a224, v16
	v_mul_f64 v[16:17], v[188:189], v[234:235]
	v_mul_f64 v[38:39], v[184:185], v[236:237]
	v_fma_f64 v[18:19], v[186:187], v[100:101], -v[16:17]
	buffer_load_dword v184, off, s[0:3], 0 offset:840
	buffer_load_dword v186, off, s[0:3], 0 offset:832
	;; [unrolled: 1-line block ×4, first 2 shown]
	v_accvgpr_write_b32 a227, v141
	v_accvgpr_write_b32 a226, v140
	s_waitcnt vmcnt(40)
	v_fmac_f64_e32 v[114:115], v[124:125], v[20:21]
	v_pk_mov_b32 v[140:141], v[20:21], v[20:21] op_sel:[0,1]
	v_fma_f64 v[20:21], v[182:183], v[242:243], -v[38:39]
	v_mul_f64 v[38:39], v[194:195], v[246:247]
	v_fma_f64 v[246:247], v[192:193], v[248:249], -v[38:39]
	buffer_load_dword v183, off, s[0:3], 0 offset:876
	buffer_load_dword v189, off, s[0:3], 0 offset:860
	;; [unrolled: 1-line block ×8, first 2 shown]
	v_add_f64 v[40:41], v[40:41], v[114:115]
	s_waitcnt vmcnt(46) lgkmcnt(1)
	v_mul_f64 v[114:115], v[118:119], v[254:255]
	s_waitcnt vmcnt(44)
	v_fmac_f64_e32 v[114:115], v[120:121], v[138:139]
	v_mul_f64 v[38:39], v[198:199], v[244:245]
	v_add_f64 v[8:9], v[40:41], v[114:115]
	v_fma_f64 v[248:249], v[196:197], v[98:99], -v[38:39]
	ds_read_b128 v[38:41], v238 offset:1728
	v_mul_f64 v[48:49], v[202:203], v[94:95]
	v_fma_f64 v[16:17], v[200:201], v[96:97], -v[48:49]
	v_mul_f64 v[48:49], v[206:207], v[78:79]
	buffer_load_dword v197, off, s[0:3], 0 offset:892
	buffer_load_dword v196, off, s[0:3], 0 offset:888
	;; [unrolled: 1-line block ×4, first 2 shown]
	v_fma_f64 v[14:15], v[204:205], v[92:93], -v[48:49]
	buffer_load_dword v200, off, s[0:3], 0 offset:904
	buffer_load_dword v202, off, s[0:3], 0 offset:896
	;; [unrolled: 1-line block ×8, first 2 shown]
	v_fma_f64 v[12:13], v[208:209], v[90:91], -v[0:1]
	buffer_load_dword v208, off, s[0:3], 0 offset:936
	buffer_load_dword v210, off, s[0:3], 0 offset:928
	;; [unrolled: 1-line block ×4, first 2 shown]
	ds_read_b128 v[242:245], v238 offset:1744
	v_mul_f64 v[50:51], v[218:219], v[56:57]
	v_fma_f64 v[6:7], v[216:217], v[66:67], -v[50:51]
	v_fma_f64 v[4:5], v[224:225], v[64:65], -v[24:25]
	ds_read_b128 v[66:69], v238 offset:1840
	v_mul_f64 v[24:25], v[108:109], v[74:75]
	v_fma_f64 v[0:1], v[106:107], v[76:77], -v[24:25]
	ds_read_b128 v[74:77], v238 offset:1872
	ds_read_b128 v[78:81], v238 offset:1888
	;; [unrolled: 1-line block ×4, first 2 shown]
	v_accvgpr_write_b32 a223, v137
	v_accvgpr_write_b32 a222, v136
	s_waitcnt vmcnt(58) lgkmcnt(7)
	v_mul_f64 v[46:47], v[34:35], v[150:151]
	s_waitcnt vmcnt(56)
	v_fmac_f64_e32 v[46:47], v[36:37], v[134:135]
	v_add_f64 v[8:9], v[8:9], v[46:47]
	s_waitcnt vmcnt(54) lgkmcnt(6)
	v_mul_f64 v[46:47], v[38:39], v[154:155]
	s_waitcnt vmcnt(52)
	v_fmac_f64_e32 v[46:47], v[40:41], v[156:157]
	v_add_f64 v[8:9], v[8:9], v[46:47]
	v_mul_f64 v[46:47], v[214:215], v[52:53]
	v_fma_f64 v[10:11], v[212:213], v[54:55], -v[46:47]
	ds_read_b128 v[46:49], v238 offset:1760
	ds_read_b128 v[50:53], v238 offset:1776
	s_waitcnt vmcnt(49) lgkmcnt(7)
	v_mul_f64 v[54:55], v[242:243], v[158:159]
	s_waitcnt vmcnt(48)
	v_fmac_f64_e32 v[54:55], v[244:245], v[160:161]
	v_add_f64 v[8:9], v[8:9], v[54:55]
	ds_read_b128 v[54:57], v238 offset:1792
	s_waitcnt vmcnt(45) lgkmcnt(2)
	v_mul_f64 v[22:23], v[46:47], v[164:165]
	s_waitcnt vmcnt(43)
	v_fmac_f64_e32 v[22:23], v[48:49], v[170:171]
	v_add_f64 v[8:9], v[8:9], v[22:23]
	s_waitcnt vmcnt(42) lgkmcnt(1)
	v_mul_f64 v[22:23], v[50:51], v[42:43]
	s_waitcnt vmcnt(40)
	v_fmac_f64_e32 v[22:23], v[52:53], v[168:169]
	v_add_f64 v[8:9], v[8:9], v[22:23]
	v_mul_f64 v[22:23], v[222:223], v[58:59]
	v_fma_f64 v[114:115], v[220:221], v[60:61], -v[22:23]
	ds_read_b128 v[58:61], v238 offset:1808
	s_waitcnt vmcnt(37) lgkmcnt(1)
	v_mul_f64 v[22:23], v[54:55], v[172:173]
	s_waitcnt vmcnt(35)
	v_fmac_f64_e32 v[22:23], v[56:57], v[174:175]
	v_add_f64 v[8:9], v[8:9], v[22:23]
	s_waitcnt vmcnt(33) lgkmcnt(0)
	v_mul_f64 v[22:23], v[58:59], v[166:167]
	s_waitcnt vmcnt(32)
	v_fmac_f64_e32 v[22:23], v[60:61], v[176:177]
	v_add_f64 v[8:9], v[8:9], v[22:23]
	s_waitcnt vmcnt(30)
	v_mul_f64 v[22:23], v[62:63], v[178:179]
	s_waitcnt vmcnt(28)
	v_fmac_f64_e32 v[22:23], v[64:65], v[180:181]
	v_add_f64 v[8:9], v[8:9], v[22:23]
	v_mul_f64 v[22:23], v[104:105], v[70:71]
	v_fma_f64 v[2:3], v[102:103], v[72:73], -v[22:23]
	ds_read_b128 v[70:73], v238 offset:1856
	s_waitcnt vmcnt(25)
	v_mul_f64 v[22:23], v[66:67], v[184:185]
	s_waitcnt vmcnt(24)
	v_fmac_f64_e32 v[22:23], v[68:69], v[186:187]
	v_add_f64 v[8:9], v[8:9], v[22:23]
	s_waitcnt vmcnt(21) lgkmcnt(0)
	v_mul_f64 v[22:23], v[70:71], v[188:189]
	s_waitcnt vmcnt(19)
	v_fmac_f64_e32 v[22:23], v[72:73], v[194:195]
	v_add_f64 v[8:9], v[8:9], v[22:23]
	s_waitcnt vmcnt(18)
	v_mul_f64 v[22:23], v[74:75], v[182:183]
	s_waitcnt vmcnt(16)
	v_fmac_f64_e32 v[22:23], v[76:77], v[192:193]
	v_add_f64 v[22:23], v[8:9], v[22:23]
	v_mul_f64 v[8:9], v[230:231], v[82:83]
	v_fma_f64 v[32:33], v[228:229], v[84:85], -v[8:9]
	v_mul_f64 v[8:9], v[112:113], v[86:87]
	ds_read_b128 v[82:85], v238 offset:1904
	v_fma_f64 v[8:9], v[110:111], v[88:89], -v[8:9]
	ds_read_b128 v[86:89], v238 offset:1920
	buffer_load_dword v213, off, s[0:3], 0 offset:956
	buffer_load_dword v212, off, s[0:3], 0 offset:952
	buffer_load_dword v215, off, s[0:3], 0 offset:948
	buffer_load_dword v214, off, s[0:3], 0 offset:944
	ds_read_b128 v[94:97], v238 offset:1952
	buffer_load_dword v216, off, s[0:3], 0 offset:968
	buffer_load_dword v217, off, s[0:3], 0 offset:972
	buffer_load_dword v218, off, s[0:3], 0 offset:960
	buffer_load_dword v219, off, s[0:3], 0 offset:964
	;; [unrolled: 5-line block ×6, first 2 shown]
	s_waitcnt vmcnt(38)
	v_mul_f64 v[24:25], v[78:79], v[196:197]
	s_waitcnt vmcnt(36)
	v_fmac_f64_e32 v[24:25], v[80:81], v[198:199]
	v_add_f64 v[22:23], v[22:23], v[24:25]
	s_waitcnt vmcnt(33) lgkmcnt(6)
	v_mul_f64 v[24:25], v[82:83], v[200:201]
	s_waitcnt vmcnt(32)
	v_fmac_f64_e32 v[24:25], v[84:85], v[202:203]
	v_add_f64 v[22:23], v[22:23], v[24:25]
	s_waitcnt vmcnt(30) lgkmcnt(5)
	v_mul_f64 v[24:25], v[86:87], v[204:205]
	s_waitcnt vmcnt(28)
	v_fmac_f64_e32 v[24:25], v[88:89], v[206:207]
	v_add_f64 v[22:23], v[22:23], v[24:25]
	s_waitcnt vmcnt(25)
	v_mul_f64 v[24:25], v[90:91], v[208:209]
	s_waitcnt vmcnt(24)
	v_fmac_f64_e32 v[24:25], v[92:93], v[210:211]
	v_add_f64 v[22:23], v[22:23], v[24:25]
	v_accvgpr_write_b32 a231, v9
	v_accvgpr_write_b32 a230, v8
	s_waitcnt vmcnt(22) lgkmcnt(4)
	v_mul_f64 v[24:25], v[94:95], v[212:213]
	s_waitcnt vmcnt(20)
	v_fmac_f64_e32 v[24:25], v[96:97], v[214:215]
	v_add_f64 v[22:23], v[22:23], v[24:25]
	s_waitcnt vmcnt(18) lgkmcnt(3)
	v_mul_f64 v[24:25], v[98:99], v[216:217]
	s_waitcnt vmcnt(16)
	v_fmac_f64_e32 v[24:25], v[100:101], v[218:219]
	v_add_f64 v[22:23], v[22:23], v[24:25]
	;; [unrolled: 5-line block ×5, first 2 shown]
	ds_read_b128 v[22:25], v238 offset:2032
	s_waitcnt vmcnt(2) lgkmcnt(0)
	v_mul_f64 v[8:9], v[22:23], v[234:235]
	s_waitcnt vmcnt(0)
	v_fmac_f64_e32 v[8:9], v[24:25], v[236:237]
	v_add_f64 v[136:137], v[136:137], v[8:9]
	v_add_f64 v[8:9], v[190:191], 0
	;; [unrolled: 1-line block ×21, first 2 shown]
	buffer_load_dword v248, off, s[0:3], 0 offset:112
	buffer_load_dword v249, off, s[0:3], 0 offset:116
	v_add_f64 v[8:9], v[8:9], v[10:11]
	buffer_load_dword v246, off, s[0:3], 0 offset:120
	buffer_load_dword v247, off, s[0:3], 0 offset:124
	v_add_f64 v[6:7], v[8:9], v[6:7]
	v_add_f64 v[6:7], v[6:7], v[114:115]
	;; [unrolled: 1-line block ×5, first 2 shown]
	v_accvgpr_read_b32 v4, a194
	v_accvgpr_read_b32 v2, a198
	;; [unrolled: 1-line block ×5, first 2 shown]
	v_add_f64 v[252:253], v[0:1], v[32:33]
	v_accvgpr_read_b32 v0, a230
	v_mul_f64 v[2:3], v[6:7], v[2:3]
	v_accvgpr_read_b32 v6, a200
	v_accvgpr_read_b32 v1, a231
	;; [unrolled: 1-line block ×4, first 2 shown]
	v_add_f64 v[0:1], v[252:253], v[0:1]
	v_fma_f64 v[2:3], v[4:5], v[6:7], -v[2:3]
	v_add_f64 v[0:1], v[0:1], v[2:3]
	v_accvgpr_read_b32 v4, a202
	v_accvgpr_read_b32 v2, a206
	;; [unrolled: 1-line block ×5, first 2 shown]
	v_mul_f64 v[2:3], v[6:7], v[2:3]
	v_accvgpr_read_b32 v6, a208
	v_accvgpr_read_b32 v5, a203
	v_accvgpr_read_b32 v7, a209
	v_fma_f64 v[2:3], v[4:5], v[6:7], -v[2:3]
	v_accvgpr_read_b32 v4, a214
	v_add_f64 v[0:1], v[0:1], v[2:3]
	v_mul_f64 v[2:3], v[144:145], v[146:147]
	v_accvgpr_read_b32 v5, a215
	v_fma_f64 v[2:3], v[142:143], v[4:5], -v[2:3]
	v_add_f64 v[0:1], v[0:1], v[2:3]
	v_accvgpr_read_b32 v4, a210
	v_accvgpr_read_b32 v2, a216
	;; [unrolled: 1-line block ×5, first 2 shown]
	v_mul_f64 v[2:3], v[6:7], v[2:3]
	v_accvgpr_read_b32 v6, a218
	v_accvgpr_read_b32 v5, a211
	;; [unrolled: 1-line block ×3, first 2 shown]
	v_fma_f64 v[2:3], v[4:5], v[6:7], -v[2:3]
	v_add_f64 v[0:1], v[0:1], v[2:3]
	v_accvgpr_read_b32 v2, a220
	v_accvgpr_read_b32 v3, a221
	;; [unrolled: 1-line block ×3, first 2 shown]
	v_mul_f64 v[2:3], v[132:133], v[2:3]
	v_accvgpr_read_b32 v5, a223
	v_fma_f64 v[2:3], v[130:131], v[4:5], -v[2:3]
	v_add_f64 v[0:1], v[0:1], v[2:3]
	v_accvgpr_read_b32 v2, a224
	v_accvgpr_read_b32 v3, a225
	;; [unrolled: 1-line block ×3, first 2 shown]
	v_mul_f64 v[2:3], v[128:129], v[2:3]
	v_accvgpr_read_b32 v5, a227
	v_fma_f64 v[2:3], v[126:127], v[4:5], -v[2:3]
	v_add_f64 v[0:1], v[0:1], v[2:3]
	v_accvgpr_read_b32 v2, a228
	v_accvgpr_read_b32 v3, a229
	v_mul_f64 v[2:3], v[124:125], v[2:3]
	v_fma_f64 v[2:3], v[122:123], v[140:141], -v[2:3]
	v_add_f64 v[0:1], v[0:1], v[2:3]
	v_mul_f64 v[2:3], v[120:121], v[254:255]
	v_fma_f64 v[2:3], v[118:119], v[138:139], -v[2:3]
	v_add_f64 v[0:1], v[0:1], v[2:3]
	;; [unrolled: 3-line block ×23, first 2 shown]
	s_waitcnt vmcnt(2)
	v_add_f64 v[0:1], v[248:249], -v[0:1]
	s_waitcnt vmcnt(0)
	v_add_f64 v[2:3], v[246:247], -v[136:137]
	buffer_store_dword v1, off, s[0:3], 0 offset:116
	buffer_store_dword v0, off, s[0:3], 0 offset:112
	;; [unrolled: 1-line block ×4, first 2 shown]
	s_and_saveexec_b64 s[4:5], vcc
	s_cbranch_execz .LBB63_399
; %bb.398:
	v_accvgpr_read_b32 v3, a186
	buffer_load_dword v0, v3, s[0:3], 0 offen
	buffer_load_dword v1, v3, s[0:3], 0 offen offset:4
	buffer_load_dword v2, v3, s[0:3], 0 offen offset:8
	s_nop 0
	buffer_load_dword v3, v3, s[0:3], 0 offen offset:12
	v_accvgpr_read_b32 v4, a192
	buffer_store_dword v238, off, s[0:3], 0 offset:96
	buffer_store_dword v238, off, s[0:3], 0 offset:100
	;; [unrolled: 1-line block ×4, first 2 shown]
	s_waitcnt vmcnt(4)
	ds_write_b128 v4, v[0:3]
.LBB63_399:
	s_or_b64 exec, exec, s[4:5]
	s_waitcnt lgkmcnt(0)
	; wave barrier
	s_waitcnt lgkmcnt(0)
	buffer_load_dword v6, off, s[0:3], 0 offset:112
	buffer_load_dword v7, off, s[0:3], 0 offset:116
	;; [unrolled: 1-line block ×42, first 2 shown]
	ds_read_b128 v[102:105], v238 offset:1120
	ds_read_b128 v[106:109], v238 offset:1136
	;; [unrolled: 1-line block ×10, first 2 shown]
	buffer_load_dword v97, off, s[0:3], 0 offset:260
	buffer_load_dword v96, off, s[0:3], 0 offset:256
	ds_read_b128 v[38:41], v238 offset:1280
	buffer_load_dword v85, off, s[0:3], 0 offset:316
	buffer_load_dword v84, off, s[0:3], 0 offset:312
	;; [unrolled: 1-line block ×6, first 2 shown]
	s_waitcnt vmcnt(46) lgkmcnt(10)
	v_mul_f64 v[0:1], v[102:103], v[10:11]
	v_fmac_f64_e32 v[0:1], v[104:105], v[6:7]
	v_add_f64 v[0:1], v[0:1], 0
	v_mul_f64 v[10:11], v[104:105], v[10:11]
	s_waitcnt vmcnt(42) lgkmcnt(9)
	v_mul_f64 v[52:53], v[106:107], v[8:9]
	v_fmac_f64_e32 v[52:53], v[108:109], v[4:5]
	s_waitcnt vmcnt(40) lgkmcnt(8)
	v_mul_f64 v[54:55], v[110:111], v[2:3]
	v_add_f64 v[0:1], v[0:1], v[52:53]
	s_waitcnt vmcnt(38) lgkmcnt(6)
	v_mul_f64 v[58:59], v[146:147], v[140:141]
	v_fma_f64 v[144:145], v[102:103], v[6:7], -v[10:11]
	s_waitcnt vmcnt(36)
	v_fmac_f64_e32 v[58:59], v[148:149], v[14:15]
	v_mul_f64 v[8:9], v[108:109], v[8:9]
	s_waitcnt vmcnt(34)
	v_mul_f64 v[56:57], v[114:115], v[142:143]
	v_fma_f64 v[240:241], v[106:107], v[4:5], -v[8:9]
	s_waitcnt vmcnt(32) lgkmcnt(4)
	v_mul_f64 v[62:63], v[154:155], v[18:19]
	v_mul_f64 v[2:3], v[112:113], v[2:3]
	s_waitcnt vmcnt(30)
	v_fmac_f64_e32 v[62:63], v[156:157], v[20:21]
	v_mul_f64 v[8:9], v[148:149], v[140:141]
	s_waitcnt vmcnt(28)
	v_mul_f64 v[60:61], v[150:151], v[22:23]
	v_fma_f64 v[244:245], v[146:147], v[14:15], -v[8:9]
	s_waitcnt vmcnt(26) lgkmcnt(2)
	v_mul_f64 v[66:67], v[162:163], v[26:27]
	v_mul_f64 v[10:11], v[152:153], v[22:23]
	v_mul_f64 v[14:15], v[156:157], v[18:19]
	s_waitcnt vmcnt(23)
	v_mul_f64 v[64:65], v[158:159], v[24:25]
	v_fma_f64 v[148:149], v[154:155], v[20:21], -v[14:15]
	s_waitcnt vmcnt(21) lgkmcnt(1)
	v_mul_f64 v[126:127], v[30:31], v[34:35]
	s_waitcnt vmcnt(19)
	v_fmac_f64_e32 v[54:55], v[112:113], v[46:47]
	v_add_f64 v[0:1], v[0:1], v[54:55]
	s_waitcnt vmcnt(17)
	v_fmac_f64_e32 v[56:57], v[116:117], v[44:45]
	v_add_f64 v[0:1], v[0:1], v[56:57]
	;; [unrolled: 3-line block ×3, first 2 shown]
	v_add_f64 v[0:1], v[0:1], v[60:61]
	s_waitcnt vmcnt(13)
	v_fmac_f64_e32 v[64:65], v[160:161], v[36:37]
	v_add_f64 v[0:1], v[0:1], v[62:63]
	s_waitcnt vmcnt(12)
	v_fmac_f64_e32 v[66:67], v[164:165], v[28:29]
	v_add_f64 v[0:1], v[0:1], v[64:65]
	v_add_f64 v[128:129], v[0:1], v[66:67]
	buffer_load_dword v205, off, s[0:3], 0 offset:292
	buffer_load_dword v204, off, s[0:3], 0 offset:288
	buffer_load_dword v207, off, s[0:3], 0 offset:348
	buffer_load_dword v206, off, s[0:3], 0 offset:344
	buffer_load_dword v229, off, s[0:3], 0 offset:340
	buffer_load_dword v228, off, s[0:3], 0 offset:336
	buffer_load_dword v231, off, s[0:3], 0 offset:332
	buffer_load_dword v230, off, s[0:3], 0 offset:328
	buffer_load_dword v233, off, s[0:3], 0 offset:324
	buffer_load_dword v232, off, s[0:3], 0 offset:320
	buffer_load_dword v235, off, s[0:3], 0 offset:380
	buffer_load_dword v234, off, s[0:3], 0 offset:376
	buffer_load_dword v237, off, s[0:3], 0 offset:372
	buffer_load_dword v236, off, s[0:3], 0 offset:368
	buffer_load_dword v247, off, s[0:3], 0 offset:364
	buffer_load_dword v246, off, s[0:3], 0 offset:360
	buffer_load_dword v249, off, s[0:3], 0 offset:356
	buffer_load_dword v248, off, s[0:3], 0 offset:352
	buffer_load_dword v1, off, s[0:3], 0 offset:412
	buffer_load_dword v0, off, s[0:3], 0 offset:408
	buffer_load_dword v93, off, s[0:3], 0 offset:404
	buffer_load_dword v92, off, s[0:3], 0 offset:400
	buffer_load_dword v251, off, s[0:3], 0 offset:396
	buffer_load_dword v250, off, s[0:3], 0 offset:392
	buffer_load_dword v253, off, s[0:3], 0 offset:388
	buffer_load_dword v252, off, s[0:3], 0 offset:384
	buffer_load_dword v61, off, s[0:3], 0 offset:444
	buffer_load_dword v60, off, s[0:3], 0 offset:440
	buffer_load_dword v71, off, s[0:3], 0 offset:436
	buffer_load_dword v70, off, s[0:3], 0 offset:432
	buffer_load_dword v99, off, s[0:3], 0 offset:428
	buffer_load_dword v98, off, s[0:3], 0 offset:424
	buffer_load_dword v101, off, s[0:3], 0 offset:420
	buffer_load_dword v100, off, s[0:3], 0 offset:416
	buffer_load_dword v53, off, s[0:3], 0 offset:476
	buffer_load_dword v52, off, s[0:3], 0 offset:472
	buffer_load_dword v55, off, s[0:3], 0 offset:468
	buffer_load_dword v54, off, s[0:3], 0 offset:464
	buffer_load_dword v73, off, s[0:3], 0 offset:460
	buffer_load_dword v72, off, s[0:3], 0 offset:456
	buffer_load_dword v83, off, s[0:3], 0 offset:452
	buffer_load_dword v82, off, s[0:3], 0 offset:448
	buffer_load_dword v63, off, s[0:3], 0 offset:508
	buffer_load_dword v62, off, s[0:3], 0 offset:504
	buffer_load_dword v65, off, s[0:3], 0 offset:500
	buffer_load_dword v64, off, s[0:3], 0 offset:496
	buffer_load_dword v57, off, s[0:3], 0 offset:492
	buffer_load_dword v56, off, s[0:3], 0 offset:488
	buffer_load_dword v59, off, s[0:3], 0 offset:484
	buffer_load_dword v58, off, s[0:3], 0 offset:480
	buffer_load_dword v75, off, s[0:3], 0 offset:540
	buffer_load_dword v74, off, s[0:3], 0 offset:536
	buffer_load_dword v77, off, s[0:3], 0 offset:532
	buffer_load_dword v76, off, s[0:3], 0 offset:528
	buffer_load_dword v67, off, s[0:3], 0 offset:524
	buffer_load_dword v66, off, s[0:3], 0 offset:520
	buffer_load_dword v69, off, s[0:3], 0 offset:516
	buffer_load_dword v68, off, s[0:3], 0 offset:512
	buffer_load_dword v87, off, s[0:3], 0 offset:572
	buffer_load_dword v86, off, s[0:3], 0 offset:568
	buffer_load_dword v89, off, s[0:3], 0 offset:564
	buffer_load_dword v88, off, s[0:3], 0 offset:560
	buffer_load_dword v79, off, s[0:3], 0 offset:556
	buffer_load_dword v78, off, s[0:3], 0 offset:552
	buffer_load_dword v81, off, s[0:3], 0 offset:548
	buffer_load_dword v80, off, s[0:3], 0 offset:544
	buffer_load_dword v119, off, s[0:3], 0 offset:604
	buffer_load_dword v118, off, s[0:3], 0 offset:600
	s_waitcnt vmcnt(62)
	v_fmac_f64_e32 v[126:127], v[32:33], v[96:97]
	v_add_f64 v[126:127], v[128:129], v[126:127]
	s_waitcnt lgkmcnt(0)
	v_mul_f64 v[128:129], v[38:39], v[48:49]
	v_fmac_f64_e32 v[128:129], v[40:41], v[50:51]
	v_add_f64 v[126:127], v[126:127], v[128:129]
	v_mul_f64 v[32:33], v[32:33], v[34:35]
	v_fma_f64 v[22:23], v[30:31], v[96:97], -v[32:33]
	s_waitcnt vmcnt(0)
	v_pk_mov_b32 v[120:121], v[118:119], v[118:119] op_sel:[0,1]
	buffer_load_dword v119, off, s[0:3], 0 offset:596
	buffer_load_dword v118, off, s[0:3], 0 offset:592
	v_accvgpr_write_b32 a207, v121
	v_accvgpr_write_b32 a206, v120
	s_waitcnt vmcnt(0)
	v_pk_mov_b32 v[122:123], v[118:119], v[118:119] op_sel:[0,1]
	buffer_load_dword v119, off, s[0:3], 0 offset:588
	buffer_load_dword v118, off, s[0:3], 0 offset:584
	v_accvgpr_write_b32 a209, v123
	v_accvgpr_write_b32 a208, v122
	s_waitcnt vmcnt(0)
	v_pk_mov_b32 v[124:125], v[118:119], v[118:119] op_sel:[0,1]
	buffer_load_dword v119, off, s[0:3], 0 offset:580
	buffer_load_dword v118, off, s[0:3], 0 offset:576
	ds_read_b128 v[166:169], v238 offset:1296
	ds_read_b128 v[170:173], v238 offset:1312
	ds_read_b128 v[174:177], v238 offset:1328
	ds_read_b128 v[178:181], v238 offset:1344
	ds_read_b128 v[182:185], v238 offset:1360
	ds_read_b128 v[186:189], v238 offset:1376
	s_waitcnt lgkmcnt(5)
	v_mul_f64 v[128:129], v[166:167], v[94:95]
	v_fmac_f64_e32 v[128:129], v[168:169], v[204:205]
	v_add_f64 v[126:127], v[126:127], v[128:129]
	s_waitcnt lgkmcnt(4)
	v_mul_f64 v[128:129], v[170:171], v[84:85]
	v_fmac_f64_e32 v[128:129], v[172:173], v[90:91]
	v_add_f64 v[126:127], v[126:127], v[128:129]
	s_waitcnt lgkmcnt(3)
	v_mul_f64 v[128:129], v[174:175], v[230:231]
	v_fmac_f64_e32 v[128:129], v[176:177], v[232:233]
	v_add_f64 v[126:127], v[126:127], v[128:129]
	s_waitcnt lgkmcnt(2)
	v_mul_f64 v[128:129], v[178:179], v[206:207]
	v_fmac_f64_e32 v[128:129], v[180:181], v[228:229]
	ds_read_b128 v[192:195], v238 offset:1392
	ds_read_b128 v[196:199], v238 offset:1408
	v_add_f64 v[126:127], v[126:127], v[128:129]
	s_waitcnt lgkmcnt(3)
	v_mul_f64 v[128:129], v[182:183], v[246:247]
	v_fmac_f64_e32 v[128:129], v[184:185], v[248:249]
	v_add_f64 v[126:127], v[126:127], v[128:129]
	s_waitcnt lgkmcnt(2)
	v_mul_f64 v[128:129], v[186:187], v[234:235]
	v_fmac_f64_e32 v[128:129], v[188:189], v[236:237]
	ds_read_b128 v[200:203], v238 offset:1424
	ds_read_b128 v[208:211], v238 offset:1440
	v_add_f64 v[126:127], v[126:127], v[128:129]
	s_waitcnt lgkmcnt(3)
	v_mul_f64 v[128:129], v[192:193], v[250:251]
	v_fmac_f64_e32 v[128:129], v[194:195], v[252:253]
	v_add_f64 v[126:127], v[126:127], v[128:129]
	s_waitcnt lgkmcnt(2)
	v_mul_f64 v[128:129], v[196:197], v[0:1]
	v_fmac_f64_e32 v[128:129], v[198:199], v[92:93]
	v_add_f64 v[126:127], v[126:127], v[128:129]
	s_waitcnt lgkmcnt(1)
	v_mul_f64 v[128:129], v[200:201], v[98:99]
	v_fmac_f64_e32 v[128:129], v[202:203], v[100:101]
	v_add_f64 v[134:135], v[126:127], v[128:129]
	ds_read_b128 v[212:215], v238 offset:1456
	buffer_load_dword v126, off, s[0:3], 0 offset:632
	buffer_load_dword v129, off, s[0:3], 0 offset:620
	;; [unrolled: 1-line block ×3, first 2 shown]
	s_waitcnt lgkmcnt(1)
	v_mul_f64 v[136:137], v[208:209], v[60:61]
	v_fmac_f64_e32 v[136:137], v[210:211], v[70:71]
	v_add_f64 v[190:191], v[134:135], v[136:137]
	s_waitcnt lgkmcnt(0)
	v_mul_f64 v[220:221], v[212:213], v[72:73]
	v_fmac_f64_e32 v[220:221], v[214:215], v[82:83]
	v_add_f64 v[190:191], v[190:191], v[220:221]
	v_accvgpr_write_b32 a199, v125
	v_accvgpr_write_b32 a198, v124
	v_mul_f64 v[0:1], v[198:199], v[0:1]
	s_waitcnt vmcnt(3)
	v_accvgpr_write_b32 a201, v119
	v_accvgpr_write_b32 a200, v118
	s_waitcnt vmcnt(0)
	v_pk_mov_b32 v[130:131], v[128:129], v[128:129] op_sel:[0,1]
	buffer_load_dword v129, off, s[0:3], 0 offset:612
	buffer_load_dword v128, off, s[0:3], 0 offset:608
	v_accvgpr_write_b32 a219, v131
	v_accvgpr_write_b32 a218, v130
	s_waitcnt vmcnt(0)
	v_pk_mov_b32 v[138:139], v[128:129], v[128:129] op_sel:[0,1]
	buffer_load_dword v128, off, s[0:3], 0 offset:624
	buffer_load_dword v127, off, s[0:3], 0 offset:636
	;; [unrolled: 1-line block ×3, first 2 shown]
	ds_read_b128 v[216:219], v238 offset:1472
	v_accvgpr_write_b32 a223, v139
	v_accvgpr_write_b32 a222, v138
	s_waitcnt lgkmcnt(0)
	v_mul_f64 v[220:221], v[216:217], v[52:53]
	v_fmac_f64_e32 v[220:221], v[218:219], v[54:55]
	v_add_f64 v[190:191], v[190:191], v[220:221]
	s_waitcnt vmcnt(1)
	v_pk_mov_b32 v[132:133], v[126:127], v[126:127] op_sel:[0,1]
	buffer_load_dword v127, off, s[0:3], 0 offset:668
	buffer_load_dword v135, off, s[0:3], 0 offset:652
	;; [unrolled: 1-line block ×3, first 2 shown]
	s_waitcnt vmcnt(3)
	v_accvgpr_write_b32 a221, v129
	v_accvgpr_write_b32 a220, v128
	s_waitcnt vmcnt(0)
	v_pk_mov_b32 v[254:255], v[134:135], v[134:135] op_sel:[0,1]
	buffer_load_dword v135, off, s[0:3], 0 offset:644
	buffer_load_dword v134, off, s[0:3], 0 offset:640
	;; [unrolled: 1-line block ×3, first 2 shown]
	v_accvgpr_write_b32 a228, v254
	v_accvgpr_write_b32 a229, v255
	s_waitcnt vmcnt(0)
	v_pk_mov_b32 v[136:137], v[126:127], v[126:127] op_sel:[0,1]
	buffer_load_dword v17, off, s[0:3], 0 offset:660
	buffer_load_dword v16, off, s[0:3], 0 offset:656
	;; [unrolled: 1-line block ×6, first 2 shown]
	ds_read_b128 v[220:223], v238 offset:1488
	ds_read_b128 v[102:105], v238 offset:1504
	ds_read_b128 v[106:109], v238 offset:1520
	ds_read_b128 v[224:227], v238 offset:1536
	v_pk_mov_b32 v[146:147], v[136:137], v[136:137] op_sel:[0,1]
	s_waitcnt lgkmcnt(3)
	v_mul_f64 v[6:7], v[220:221], v[56:57]
	v_fmac_f64_e32 v[6:7], v[222:223], v[58:59]
	v_add_f64 v[4:5], v[190:191], v[6:7]
	s_waitcnt lgkmcnt(2)
	v_mul_f64 v[6:7], v[102:103], v[62:63]
	v_fmac_f64_e32 v[6:7], v[104:105], v[64:65]
	v_fma_f64 v[190:191], v[110:111], v[46:47], -v[2:3]
	ds_read_b128 v[110:113], v238 offset:1552
	v_add_f64 v[4:5], v[4:5], v[6:7]
	s_waitcnt lgkmcnt(2)
	v_mul_f64 v[6:7], v[106:107], v[66:67]
	v_fmac_f64_e32 v[6:7], v[108:109], v[68:69]
	s_waitcnt lgkmcnt(1)
	v_mul_f64 v[2:3], v[224:225], v[74:75]
	v_add_f64 v[4:5], v[4:5], v[6:7]
	v_fmac_f64_e32 v[2:3], v[226:227], v[76:77]
	v_add_f64 v[2:3], v[4:5], v[2:3]
	v_mul_f64 v[4:5], v[116:117], v[142:143]
	v_fma_f64 v[242:243], v[114:115], v[44:45], -v[4:5]
	ds_read_b128 v[114:117], v238 offset:1568
	s_waitcnt lgkmcnt(1)
	v_mul_f64 v[4:5], v[110:111], v[78:79]
	v_fmac_f64_e32 v[4:5], v[112:113], v[80:81]
	v_add_f64 v[6:7], v[2:3], v[4:5]
	ds_read_b128 v[2:5], v238 offset:1584
	s_waitcnt lgkmcnt(1)
	v_mul_f64 v[8:9], v[114:115], v[86:87]
	v_fmac_f64_e32 v[8:9], v[116:117], v[88:89]
	v_add_f64 v[6:7], v[6:7], v[8:9]
	buffer_load_dword v142, off, s[0:3], 0 offset:696
	buffer_load_dword v143, off, s[0:3], 0 offset:700
	s_waitcnt lgkmcnt(0)
	v_mul_f64 v[8:9], v[2:3], v[124:125]
	v_fmac_f64_e32 v[8:9], v[4:5], v[118:119]
	v_add_f64 v[44:45], v[6:7], v[8:9]
	ds_read_b128 v[6:9], v238 offset:1600
	v_accvgpr_write_b32 a197, v5
	v_fma_f64 v[118:119], v[150:151], v[42:43], -v[10:11]
	ds_read_b128 v[150:153], v238 offset:1616
	v_accvgpr_write_b32 a196, v4
	v_accvgpr_write_b32 a195, v3
	;; [unrolled: 1-line block ×3, first 2 shown]
	s_waitcnt lgkmcnt(1)
	v_mul_f64 v[4:5], v[6:7], v[120:121]
	v_accvgpr_write_b32 a205, v9
	v_fmac_f64_e32 v[4:5], v[8:9], v[122:123]
	v_accvgpr_write_b32 a204, v8
	v_accvgpr_write_b32 a203, v7
	;; [unrolled: 1-line block ×3, first 2 shown]
	ds_read_b128 v[6:9], v238 offset:1632
	s_waitcnt lgkmcnt(1)
	v_mul_f64 v[18:19], v[150:151], v[130:131]
	v_add_f64 v[4:5], v[44:45], v[4:5]
	v_fmac_f64_e32 v[18:19], v[152:153], v[138:139]
	v_add_f64 v[4:5], v[4:5], v[18:19]
	s_waitcnt lgkmcnt(0)
	v_mul_f64 v[18:19], v[6:7], v[132:133]
	v_fmac_f64_e32 v[18:19], v[8:9], v[128:129]
	v_add_f64 v[42:43], v[4:5], v[18:19]
	ds_read_b128 v[18:21], v238 offset:1648
	buffer_load_dword v124, off, s[0:3], 0 offset:688
	buffer_load_dword v125, off, s[0:3], 0 offset:692
	ds_read_b128 v[138:141], v238 offset:1664
	ds_read_b128 v[128:131], v238 offset:1680
	v_mul_f64 v[4:5], v[160:161], v[24:25]
	v_fma_f64 v[46:47], v[158:159], v[36:37], -v[4:5]
	s_waitcnt lgkmcnt(2)
	v_mul_f64 v[36:37], v[18:19], v[254:255]
	v_fmac_f64_e32 v[36:37], v[20:21], v[134:135]
	v_add_f64 v[36:37], v[42:43], v[36:37]
	s_waitcnt lgkmcnt(1)
	v_mul_f64 v[42:43], v[138:139], v[136:137]
	v_accvgpr_write_b32 a213, v153
	v_accvgpr_write_b32 a212, v152
	;; [unrolled: 1-line block ×8, first 2 shown]
	v_mul_f64 v[8:9], v[164:165], v[26:27]
	v_fma_f64 v[44:45], v[162:163], v[28:29], -v[8:9]
	v_accvgpr_write_b32 a227, v21
	s_waitcnt vmcnt(8)
	v_fmac_f64_e32 v[42:43], v[140:141], v[16:17]
	v_add_f64 v[36:37], v[36:37], v[42:43]
	s_waitcnt vmcnt(6) lgkmcnt(0)
	v_mul_f64 v[42:43], v[128:129], v[12:13]
	v_accvgpr_write_b32 a231, v13
	s_waitcnt vmcnt(4)
	v_fmac_f64_e32 v[42:43], v[130:131], v[126:127]
	v_add_f64 v[42:43], v[36:37], v[42:43]
	ds_read_b128 v[34:37], v238 offset:1696
	ds_read_b128 v[120:123], v238 offset:1712
	buffer_load_dword v150, off, s[0:3], 0 offset:728
	buffer_load_dword v155, off, s[0:3], 0 offset:716
	;; [unrolled: 1-line block ×10, first 2 shown]
	v_accvgpr_write_b32 a233, v17
	v_accvgpr_write_b32 a230, v12
	v_mul_f64 v[12:13], v[40:41], v[48:49]
	v_accvgpr_write_b32 a232, v16
	v_fma_f64 v[16:17], v[38:39], v[50:51], -v[12:13]
	v_mul_f64 v[38:39], v[168:169], v[94:95]
	v_fma_f64 v[204:205], v[166:167], v[204:205], -v[38:39]
	buffer_load_dword v167, off, s[0:3], 0 offset:748
	buffer_load_dword v166, off, s[0:3], 0 offset:744
	;; [unrolled: 1-line block ×7, first 2 shown]
	v_mul_f64 v[38:39], v[172:173], v[84:85]
	v_fma_f64 v[14:15], v[170:171], v[90:91], -v[38:39]
	buffer_load_dword v162, off, s[0:3], 0 offset:784
	buffer_load_dword v171, off, s[0:3], 0 offset:780
	;; [unrolled: 1-line block ×7, first 2 shown]
	v_mul_f64 v[38:39], v[176:177], v[230:231]
	v_fma_f64 v[12:13], v[174:175], v[232:233], -v[38:39]
	buffer_load_dword v175, off, s[0:3], 0 offset:812
	buffer_load_dword v174, off, s[0:3], 0 offset:808
	;; [unrolled: 1-line block ×4, first 2 shown]
	v_mul_f64 v[38:39], v[180:181], v[206:207]
	v_mul_f64 v[40:41], v[184:185], v[246:247]
	buffer_load_dword v180, off, s[0:3], 0 offset:824
	v_fma_f64 v[248:249], v[182:183], v[248:249], -v[40:41]
	buffer_load_dword v182, off, s[0:3], 0 offset:816
	buffer_load_dword v181, off, s[0:3], 0 offset:828
	;; [unrolled: 1-line block ×3, first 2 shown]
	v_mul_f64 v[40:41], v[188:189], v[234:235]
	v_fma_f64 v[8:9], v[186:187], v[236:237], -v[40:41]
	v_mul_f64 v[40:41], v[194:195], v[250:251]
	v_fma_f64 v[10:11], v[178:179], v[228:229], -v[38:39]
	v_fma_f64 v[252:253], v[192:193], v[252:253], -v[40:41]
	buffer_load_dword v179, off, s[0:3], 0 offset:860
	buffer_load_dword v185, off, s[0:3], 0 offset:844
	;; [unrolled: 1-line block ×12, first 2 shown]
	v_accvgpr_write_b32 a226, v20
	v_accvgpr_write_b32 a225, v19
	;; [unrolled: 1-line block ×3, first 2 shown]
	v_mul_f64 v[18:19], v[202:203], v[98:99]
	v_fma_f64 v[6:7], v[196:197], v[92:93], -v[0:1]
	v_fma_f64 v[20:21], v[200:201], v[100:101], -v[18:19]
	buffer_load_dword v198, off, s[0:3], 0 offset:888
	buffer_load_dword v200, off, s[0:3], 0 offset:880
	;; [unrolled: 1-line block ×12, first 2 shown]
	s_waitcnt vmcnt(58) lgkmcnt(1)
	v_mul_f64 v[38:39], v[34:35], v[142:143]
	v_mul_f64 v[26:27], v[214:215], v[72:73]
	v_fma_f64 v[28:29], v[212:213], v[82:83], -v[26:27]
	v_mul_f64 v[50:51], v[218:219], v[52:53]
	v_fma_f64 v[136:137], v[216:217], v[54:55], -v[50:51]
	;; [unrolled: 2-line block ×6, first 2 shown]
	s_waitcnt vmcnt(56)
	v_fmac_f64_e32 v[38:39], v[36:37], v[124:125]
	v_add_f64 v[42:43], v[42:43], v[38:39]
	v_mul_f64 v[38:39], v[210:211], v[60:61]
	v_fma_f64 v[4:5], v[208:209], v[70:71], -v[38:39]
	buffer_load_dword v209, off, s[0:3], 0 offset:940
	buffer_load_dword v208, off, s[0:3], 0 offset:936
	buffer_load_dword v211, off, s[0:3], 0 offset:932
	buffer_load_dword v210, off, s[0:3], 0 offset:928
	ds_read_b128 v[38:41], v238 offset:1728
	ds_read_b128 v[30:33], v238 offset:1744
	;; [unrolled: 1-line block ×7, first 2 shown]
	s_waitcnt vmcnt(57) lgkmcnt(7)
	v_mul_f64 v[24:25], v[120:121], v[154:155]
	s_waitcnt vmcnt(53) lgkmcnt(6)
	v_mul_f64 v[26:27], v[38:39], v[150:151]
	v_fmac_f64_e32 v[24:25], v[122:123], v[156:157]
	v_add_f64 v[24:25], v[42:43], v[24:25]
	s_waitcnt vmcnt(52)
	v_fmac_f64_e32 v[26:27], v[40:41], v[158:159]
	v_add_f64 v[48:49], v[24:25], v[26:27]
	ds_read_b128 v[24:27], v238 offset:1760
	s_waitcnt vmcnt(48) lgkmcnt(6)
	v_mul_f64 v[54:55], v[30:31], v[166:167]
	s_waitcnt vmcnt(46)
	v_fmac_f64_e32 v[54:55], v[32:33], v[168:169]
	v_add_f64 v[48:49], v[48:49], v[54:55]
	v_mul_f64 v[54:55], v[222:223], v[56:57]
	v_fma_f64 v[232:233], v[220:221], v[58:59], -v[54:55]
	ds_read_b128 v[54:57], v238 offset:1792
	s_waitcnt lgkmcnt(1)
	v_mul_f64 v[60:61], v[24:25], v[152:153]
	s_waitcnt vmcnt(44)
	v_fmac_f64_e32 v[60:61], v[26:27], v[164:165]
	s_waitcnt vmcnt(40)
	v_mul_f64 v[58:59], v[50:51], v[170:171]
	v_add_f64 v[48:49], v[48:49], v[60:61]
	s_waitcnt vmcnt(38)
	v_fmac_f64_e32 v[58:59], v[52:53], v[172:173]
	v_add_f64 v[48:49], v[48:49], v[58:59]
	s_waitcnt vmcnt(37) lgkmcnt(0)
	v_mul_f64 v[58:59], v[54:55], v[160:161]
	s_waitcnt vmcnt(36)
	v_fmac_f64_e32 v[58:59], v[56:57], v[162:163]
	v_add_f64 v[48:49], v[48:49], v[58:59]
	ds_read_b128 v[58:61], v238 offset:1808
	s_waitcnt vmcnt(29)
	v_mul_f64 v[70:71], v[62:63], v[180:181]
	s_waitcnt vmcnt(28)
	v_fmac_f64_e32 v[70:71], v[64:65], v[182:183]
	s_waitcnt vmcnt(18)
	v_mul_f64 v[90:91], v[74:75], v[186:187]
	s_waitcnt lgkmcnt(0)
	v_mul_f64 v[42:43], v[58:59], v[174:175]
	v_fmac_f64_e32 v[42:43], v[60:61], v[176:177]
	v_add_f64 v[42:43], v[48:49], v[42:43]
	v_mul_f64 v[48:49], v[108:109], v[66:67]
	v_fma_f64 v[48:49], v[106:107], v[68:69], -v[48:49]
	ds_read_b128 v[66:69], v238 offset:1840
	v_add_f64 v[42:43], v[42:43], v[70:71]
	ds_read_b128 v[70:73], v238 offset:1856
	s_waitcnt vmcnt(16)
	v_fmac_f64_e32 v[90:91], v[76:77], v[194:195]
	s_waitcnt lgkmcnt(1)
	v_mul_f64 v[82:83], v[66:67], v[184:185]
	v_fmac_f64_e32 v[82:83], v[68:69], v[192:193]
	v_add_f64 v[42:43], v[42:43], v[82:83]
	s_waitcnt lgkmcnt(0)
	v_mul_f64 v[82:83], v[70:71], v[178:179]
	v_fmac_f64_e32 v[82:83], v[72:73], v[188:189]
	v_add_f64 v[42:43], v[42:43], v[82:83]
	ds_read_b128 v[82:85], v238 offset:1888
	v_add_f64 v[42:43], v[42:43], v[90:91]
	s_waitcnt vmcnt(13) lgkmcnt(0)
	v_mul_f64 v[90:91], v[82:83], v[198:199]
	s_waitcnt vmcnt(12)
	v_fmac_f64_e32 v[90:91], v[84:85], v[200:201]
	v_add_f64 v[42:43], v[42:43], v[90:91]
	s_waitcnt vmcnt(9)
	v_mul_f64 v[90:91], v[78:79], v[18:19]
	s_waitcnt vmcnt(7)
	v_fmac_f64_e32 v[90:91], v[80:81], v[206:207]
	v_add_f64 v[42:43], v[42:43], v[90:91]
	s_waitcnt vmcnt(5)
	v_mul_f64 v[90:91], v[86:87], v[196:197]
	s_waitcnt vmcnt(4)
	v_fmac_f64_e32 v[90:91], v[88:89], v[202:203]
	v_add_f64 v[42:43], v[42:43], v[90:91]
	ds_read_b128 v[90:93], v238 offset:1936
	buffer_load_dword v212, off, s[0:3], 0 offset:952
	buffer_load_dword v213, off, s[0:3], 0 offset:956
	buffer_load_dword v214, off, s[0:3], 0 offset:944
	buffer_load_dword v215, off, s[0:3], 0 offset:948
	s_waitcnt vmcnt(6) lgkmcnt(0)
	v_mul_f64 v[94:95], v[90:91], v[208:209]
	s_waitcnt vmcnt(4)
	v_fmac_f64_e32 v[94:95], v[92:93], v[210:211]
	v_add_f64 v[42:43], v[42:43], v[94:95]
	ds_read_b128 v[94:97], v238 offset:1952
	buffer_load_dword v217, off, s[0:3], 0 offset:972
	buffer_load_dword v216, off, s[0:3], 0 offset:968
	buffer_load_dword v219, off, s[0:3], 0 offset:964
	buffer_load_dword v218, off, s[0:3], 0 offset:960
	s_waitcnt vmcnt(6) lgkmcnt(0)
	;; [unrolled: 10-line block ×6, first 2 shown]
	v_mul_f64 v[114:115], v[110:111], v[228:229]
	s_waitcnt vmcnt(4)
	v_fmac_f64_e32 v[114:115], v[112:113], v[230:231]
	v_add_f64 v[42:43], v[42:43], v[114:115]
	ds_read_b128 v[114:117], v238 offset:2032
	v_add_f64 v[238:239], v[144:145], 0
	v_add_f64 v[238:239], v[238:239], v[240:241]
	;; [unrolled: 1-line block ×22, first 2 shown]
	buffer_load_dword v252, off, s[0:3], 0 offset:96
	buffer_load_dword v253, off, s[0:3], 0 offset:100
	buffer_load_dword v248, off, s[0:3], 0 offset:104
	buffer_load_dword v249, off, s[0:3], 0 offset:108
	v_add_f64 v[4:5], v[4:5], v[136:137]
	v_add_f64 v[4:5], v[4:5], v[232:233]
	s_waitcnt vmcnt(6) lgkmcnt(0)
	v_mul_f64 v[254:255], v[114:115], v[234:235]
	v_add_f64 v[2:3], v[4:5], v[2:3]
	s_waitcnt vmcnt(4)
	v_fmac_f64_e32 v[254:255], v[116:117], v[236:237]
	v_add_f64 v[2:3], v[2:3], v[48:49]
	v_add_f64 v[42:43], v[42:43], v[254:255]
	;; [unrolled: 1-line block ×3, first 2 shown]
	v_accvgpr_read_b32 v4, a194
	v_accvgpr_read_b32 v2, a198
	;; [unrolled: 1-line block ×5, first 2 shown]
	v_mul_f64 v[2:3], v[6:7], v[2:3]
	v_accvgpr_read_b32 v6, a200
	v_add_f64 v[0:1], v[254:255], v[246:247]
	v_accvgpr_read_b32 v5, a195
	v_accvgpr_read_b32 v7, a201
	v_add_f64 v[0:1], v[0:1], v[250:251]
	v_fma_f64 v[2:3], v[4:5], v[6:7], -v[2:3]
	v_add_f64 v[0:1], v[0:1], v[2:3]
	v_accvgpr_read_b32 v4, a202
	v_accvgpr_read_b32 v2, a206
	;; [unrolled: 1-line block ×5, first 2 shown]
	v_mul_f64 v[2:3], v[6:7], v[2:3]
	v_accvgpr_read_b32 v6, a208
	v_accvgpr_read_b32 v5, a203
	;; [unrolled: 1-line block ×3, first 2 shown]
	v_fma_f64 v[2:3], v[4:5], v[6:7], -v[2:3]
	v_add_f64 v[0:1], v[0:1], v[2:3]
	v_accvgpr_read_b32 v4, a210
	v_accvgpr_read_b32 v2, a218
	;; [unrolled: 1-line block ×5, first 2 shown]
	v_mul_f64 v[2:3], v[6:7], v[2:3]
	v_accvgpr_read_b32 v6, a222
	v_accvgpr_read_b32 v5, a211
	;; [unrolled: 1-line block ×3, first 2 shown]
	v_fma_f64 v[2:3], v[4:5], v[6:7], -v[2:3]
	v_accvgpr_read_b32 v4, a214
	v_accvgpr_read_b32 v6, a216
	;; [unrolled: 1-line block ×3, first 2 shown]
	v_add_f64 v[0:1], v[0:1], v[2:3]
	v_mul_f64 v[2:3], v[6:7], v[132:133]
	v_accvgpr_read_b32 v6, a220
	v_accvgpr_read_b32 v5, a215
	;; [unrolled: 1-line block ×3, first 2 shown]
	v_fma_f64 v[2:3], v[4:5], v[6:7], -v[2:3]
	v_add_f64 v[0:1], v[0:1], v[2:3]
	v_accvgpr_read_b32 v4, a224
	v_accvgpr_read_b32 v2, a228
	;; [unrolled: 1-line block ×6, first 2 shown]
	v_mul_f64 v[2:3], v[6:7], v[2:3]
	v_fma_f64 v[2:3], v[4:5], v[134:135], -v[2:3]
	v_accvgpr_read_b32 v4, a232
	v_add_f64 v[0:1], v[0:1], v[2:3]
	v_mul_f64 v[2:3], v[140:141], v[146:147]
	v_accvgpr_read_b32 v5, a233
	v_fma_f64 v[2:3], v[138:139], v[4:5], -v[2:3]
	v_add_f64 v[0:1], v[0:1], v[2:3]
	v_accvgpr_read_b32 v2, a230
	v_accvgpr_read_b32 v3, a231
	v_mul_f64 v[2:3], v[130:131], v[2:3]
	v_fma_f64 v[2:3], v[128:129], v[126:127], -v[2:3]
	v_add_f64 v[0:1], v[0:1], v[2:3]
	v_mul_f64 v[2:3], v[36:37], v[142:143]
	v_fma_f64 v[2:3], v[34:35], v[124:125], -v[2:3]
	v_add_f64 v[0:1], v[0:1], v[2:3]
	;; [unrolled: 3-line block ×23, first 2 shown]
	s_waitcnt vmcnt(2)
	v_add_f64 v[0:1], v[252:253], -v[0:1]
	s_waitcnt vmcnt(0)
	v_add_f64 v[2:3], v[248:249], -v[42:43]
	buffer_store_dword v1, off, s[0:3], 0 offset:100
	buffer_store_dword v0, off, s[0:3], 0 offset:96
	;; [unrolled: 1-line block ×4, first 2 shown]
	v_accvgpr_read_b32 v0, a191
	v_cmp_lt_u32_e32 vcc, 4, v0
	s_and_saveexec_b64 s[4:5], vcc
	s_cbranch_execz .LBB63_401
; %bb.400:
	v_accvgpr_read_b32 v3, a187
	buffer_load_dword v0, v3, s[0:3], 0 offen
	buffer_load_dword v1, v3, s[0:3], 0 offen offset:4
	buffer_load_dword v2, v3, s[0:3], 0 offen offset:8
	s_nop 0
	buffer_load_dword v3, v3, s[0:3], 0 offen offset:12
	v_mov_b32_e32 v4, 0
	v_accvgpr_read_b32 v5, a192
	buffer_store_dword v4, off, s[0:3], 0 offset:80
	buffer_store_dword v4, off, s[0:3], 0 offset:84
	;; [unrolled: 1-line block ×4, first 2 shown]
	s_waitcnt vmcnt(4)
	ds_write_b128 v5, v[0:3]
.LBB63_401:
	s_or_b64 exec, exec, s[4:5]
	s_waitcnt lgkmcnt(0)
	; wave barrier
	s_waitcnt lgkmcnt(0)
	buffer_load_dword v4, off, s[0:3], 0 offset:96
	buffer_load_dword v5, off, s[0:3], 0 offset:100
	;; [unrolled: 1-line block ×54, first 2 shown]
	v_mov_b32_e32 v6, 0
	ds_read_b128 v[114:117], v6 offset:1104
	ds_read_b128 v[138:141], v6 offset:1120
	;; [unrolled: 1-line block ×9, first 2 shown]
	s_waitcnt vmcnt(50) lgkmcnt(8)
	v_mul_f64 v[0:1], v[114:115], v[8:9]
	v_fmac_f64_e32 v[0:1], v[116:117], v[4:5]
	v_add_f64 v[0:1], v[0:1], 0
	s_waitcnt vmcnt(46) lgkmcnt(7)
	v_mul_f64 v[46:47], v[138:139], v[76:77]
	v_fmac_f64_e32 v[46:47], v[140:141], v[2:3]
	s_waitcnt vmcnt(44) lgkmcnt(6)
	v_mul_f64 v[50:51], v[142:143], v[80:81]
	v_add_f64 v[0:1], v[0:1], v[46:47]
	s_waitcnt vmcnt(42) lgkmcnt(4)
	v_mul_f64 v[58:59], v[150:151], v[10:11]
	s_waitcnt vmcnt(40)
	v_fmac_f64_e32 v[58:59], v[152:153], v[14:15]
	s_waitcnt vmcnt(38)
	v_mul_f64 v[56:57], v[146:147], v[16:17]
	s_waitcnt vmcnt(36) lgkmcnt(2)
	v_mul_f64 v[62:63], v[158:159], v[118:119]
	s_waitcnt vmcnt(34)
	v_fmac_f64_e32 v[62:63], v[160:161], v[18:19]
	s_waitcnt vmcnt(32)
	v_mul_f64 v[60:61], v[154:155], v[28:29]
	v_mul_f64 v[28:29], v[156:157], v[28:29]
	s_waitcnt vmcnt(30) lgkmcnt(1)
	v_mul_f64 v[78:79], v[162:163], v[20:21]
	s_waitcnt vmcnt(28)
	v_fmac_f64_e32 v[50:51], v[144:145], v[72:73]
	v_add_f64 v[0:1], v[0:1], v[50:51]
	s_waitcnt vmcnt(26)
	v_fmac_f64_e32 v[56:57], v[148:149], v[242:243]
	v_add_f64 v[0:1], v[0:1], v[56:57]
	;; [unrolled: 3-line block ×3, first 2 shown]
	v_add_f64 v[0:1], v[0:1], v[60:61]
	v_add_f64 v[0:1], v[0:1], v[62:63]
	buffer_load_dword v109, off, s[0:3], 0 offset:324
	buffer_load_dword v108, off, s[0:3], 0 offset:320
	;; [unrolled: 1-line block ×62, first 2 shown]
	ds_read_b128 v[170:173], v6 offset:1248
	ds_read_b128 v[174:177], v6 offset:1264
	s_waitcnt vmcnt(62)
	v_fmac_f64_e32 v[78:79], v[164:165], v[26:27]
	v_add_f64 v[0:1], v[0:1], v[78:79]
	s_waitcnt lgkmcnt(2)
	v_mul_f64 v[78:79], v[166:167], v[22:23]
	v_fmac_f64_e32 v[78:79], v[168:169], v[30:31]
	ds_read_b128 v[178:181], v6 offset:1280
	ds_read_b128 v[182:185], v6 offset:1296
	v_add_f64 v[0:1], v[0:1], v[78:79]
	s_waitcnt lgkmcnt(3)
	v_mul_f64 v[78:79], v[170:171], v[42:43]
	v_fmac_f64_e32 v[78:79], v[172:173], v[44:45]
	v_add_f64 v[0:1], v[0:1], v[78:79]
	s_waitcnt lgkmcnt(2)
	v_mul_f64 v[78:79], v[174:175], v[38:39]
	v_fmac_f64_e32 v[78:79], v[176:177], v[40:41]
	ds_read_b128 v[186:189], v6 offset:1312
	ds_read_b128 v[192:195], v6 offset:1328
	v_add_f64 v[0:1], v[0:1], v[78:79]
	s_waitcnt lgkmcnt(3)
	v_mul_f64 v[78:79], v[178:179], v[86:87]
	v_fmac_f64_e32 v[78:79], v[180:181], v[88:89]
	v_add_f64 v[0:1], v[0:1], v[78:79]
	s_waitcnt lgkmcnt(2)
	v_mul_f64 v[78:79], v[182:183], v[52:53]
	v_fmac_f64_e32 v[78:79], v[184:185], v[54:55]
	ds_read_b128 v[196:199], v6 offset:1344
	ds_read_b128 v[200:203], v6 offset:1360
	v_add_f64 v[0:1], v[0:1], v[78:79]
	s_waitcnt vmcnt(58) lgkmcnt(3)
	v_mul_f64 v[78:79], v[186:187], v[244:245]
	s_waitcnt vmcnt(56)
	v_fmac_f64_e32 v[78:79], v[188:189], v[24:25]
	v_add_f64 v[0:1], v[0:1], v[78:79]
	s_waitcnt lgkmcnt(2)
	v_mul_f64 v[78:79], v[192:193], v[48:49]
	v_fmac_f64_e32 v[78:79], v[194:195], v[108:109]
	ds_read_b128 v[204:207], v6 offset:1376
	ds_read_b128 v[208:211], v6 offset:1392
	v_add_f64 v[0:1], v[0:1], v[78:79]
	s_waitcnt vmcnt(50) lgkmcnt(3)
	v_mul_f64 v[78:79], v[196:197], v[32:33]
	s_waitcnt vmcnt(48)
	;; [unrolled: 11-line block ×3, first 2 shown]
	v_fmac_f64_e32 v[78:79], v[206:207], v[110:111]
	v_add_f64 v[0:1], v[0:1], v[78:79]
	s_waitcnt lgkmcnt(2)
	v_mul_f64 v[78:79], v[208:209], v[92:93]
	v_fmac_f64_e32 v[78:79], v[210:211], v[96:97]
	v_add_f64 v[0:1], v[0:1], v[78:79]
	s_waitcnt vmcnt(34) lgkmcnt(1)
	v_mul_f64 v[78:79], v[212:213], v[100:101]
	s_waitcnt vmcnt(32)
	v_fmac_f64_e32 v[78:79], v[214:215], v[104:105]
	v_add_f64 v[0:1], v[0:1], v[78:79]
	buffer_load_dword v79, off, s[0:3], 0 offset:588
	buffer_load_dword v239, off, s[0:3], 0 offset:572
	;; [unrolled: 1-line block ×6, first 2 shown]
	v_fma_f64 v[248:249], v[154:155], v[248:249], -v[28:29]
	v_mul_f64 v[22:23], v[168:169], v[22:23]
	s_waitcnt vmcnt(0)
	v_pk_mov_b32 v[120:121], v[78:79], v[78:79] op_sel:[0,1]
	buffer_load_dword v79, off, s[0:3], 0 offset:580
	buffer_load_dword v78, off, s[0:3], 0 offset:576
	ds_read_b128 v[220:223], v6 offset:1440
	v_accvgpr_write_b32 a199, v121
	v_accvgpr_write_b32 a198, v120
	s_waitcnt vmcnt(0)
	v_pk_mov_b32 v[122:123], v[78:79], v[78:79] op_sel:[0,1]
	s_waitcnt lgkmcnt(1)
	v_mul_f64 v[78:79], v[216:217], v[90:91]
	v_fmac_f64_e32 v[78:79], v[218:219], v[84:85]
	v_add_f64 v[0:1], v[0:1], v[78:79]
	buffer_load_dword v79, off, s[0:3], 0 offset:604
	buffer_load_dword v78, off, s[0:3], 0 offset:600
	v_accvgpr_write_b32 a201, v123
	v_accvgpr_write_b32 a200, v122
	s_waitcnt vmcnt(0)
	v_pk_mov_b32 v[124:125], v[78:79], v[78:79] op_sel:[0,1]
	buffer_load_dword v79, off, s[0:3], 0 offset:596
	buffer_load_dword v78, off, s[0:3], 0 offset:592
	ds_read_b128 v[224:227], v6 offset:1456
	v_accvgpr_write_b32 a207, v125
	v_accvgpr_write_b32 a206, v124
	s_waitcnt vmcnt(0)
	v_pk_mov_b32 v[126:127], v[78:79], v[78:79] op_sel:[0,1]
	buffer_load_dword v79, off, s[0:3], 0 offset:620
	buffer_load_dword v78, off, s[0:3], 0 offset:616
	v_accvgpr_write_b32 a209, v127
	v_accvgpr_write_b32 a208, v126
	s_waitcnt vmcnt(0)
	v_pk_mov_b32 v[128:129], v[78:79], v[78:79] op_sel:[0,1]
	buffer_load_dword v79, off, s[0:3], 0 offset:612
	buffer_load_dword v78, off, s[0:3], 0 offset:608
	;; [unrolled: 6-line block ×4, first 2 shown]
	ds_read_b128 v[228:231], v6 offset:1472
	buffer_load_dword v12, off, s[0:3], 0 offset:648
	buffer_load_dword v136, off, s[0:3], 0 offset:640
	;; [unrolled: 1-line block ×4, first 2 shown]
	ds_read_b128 v[232:235], v6 offset:1488
	v_accvgpr_write_b32 a221, v131
	v_accvgpr_write_b32 a220, v130
	s_waitcnt vmcnt(4)
	v_pk_mov_b32 v[134:135], v[78:79], v[78:79] op_sel:[0,1]
	s_waitcnt lgkmcnt(3)
	v_mul_f64 v[78:79], v[220:221], v[68:69]
	v_fmac_f64_e32 v[78:79], v[222:223], v[82:83]
	v_add_f64 v[0:1], v[0:1], v[78:79]
	s_waitcnt lgkmcnt(2)
	v_mul_f64 v[78:79], v[224:225], v[46:47]
	v_fmac_f64_e32 v[78:79], v[226:227], v[50:51]
	v_add_f64 v[0:1], v[0:1], v[78:79]
	s_waitcnt lgkmcnt(1)
	v_mul_f64 v[78:79], v[228:229], v[56:57]
	v_fmac_f64_e32 v[78:79], v[230:231], v[66:67]
	v_add_f64 v[0:1], v[0:1], v[78:79]
	v_mul_f64 v[78:79], v[116:117], v[8:9]
	v_fma_f64 v[4:5], v[114:115], v[4:5], -v[78:79]
	ds_read_b128 v[114:117], v6 offset:1504
	v_accvgpr_write_b32 a243, v5
	v_accvgpr_write_b32 a242, v4
	s_waitcnt lgkmcnt(1)
	v_mul_f64 v[4:5], v[232:233], v[58:59]
	v_fmac_f64_e32 v[4:5], v[234:235], v[60:61]
	v_add_f64 v[0:1], v[0:1], v[4:5]
	v_mul_f64 v[4:5], v[140:141], v[76:77]
	v_fma_f64 v[254:255], v[138:139], v[2:3], -v[4:5]
	v_mul_f64 v[2:3], v[144:145], v[80:81]
	v_fma_f64 v[240:241], v[142:143], v[72:73], -v[2:3]
	buffer_load_dword v73, off, s[0:3], 0 offset:684
	buffer_load_dword v3, off, s[0:3], 0 offset:668
	;; [unrolled: 1-line block ×8, first 2 shown]
	ds_read_b128 v[250:253], v6 offset:1520
	ds_read_b128 v[78:81], v6 offset:1536
	v_mul_f64 v[4:5], v[148:149], v[16:17]
	v_fma_f64 v[242:243], v[146:147], v[242:243], -v[4:5]
	v_mul_f64 v[4:5], v[152:153], v[10:11]
	ds_read_b128 v[140:143], v6 offset:1584
	v_fma_f64 v[138:139], v[150:151], v[14:15], -v[4:5]
	ds_read_b128 v[148:151], v6 offset:1616
	s_waitcnt vmcnt(9)
	v_accvgpr_write_b32 a227, v13
	v_accvgpr_write_b32 a226, v12
	s_waitcnt lgkmcnt(1)
	v_accvgpr_write_b32 a197, v143
	v_accvgpr_write_b32 a196, v142
	v_accvgpr_write_b32 a195, v141
	v_accvgpr_write_b32 a194, v140
	s_waitcnt lgkmcnt(0)
	v_accvgpr_write_b32 a213, v151
	v_accvgpr_write_b32 a212, v150
	;; [unrolled: 1-line block ×4, first 2 shown]
	v_mul_f64 v[46:47], v[226:227], v[46:47]
	v_accvgpr_write_b32 a225, v135
	s_waitcnt vmcnt(8)
	v_accvgpr_write_b32 a229, v137
	v_accvgpr_write_b32 a224, v134
	;; [unrolled: 1-line block ×3, first 2 shown]
	ds_read_b128 v[8:11], v6 offset:1568
	s_waitcnt vmcnt(3)
	v_accvgpr_write_b32 a239, v77
	v_accvgpr_write_b32 a238, v76
	v_pk_mov_b32 v[144:145], v[2:3], v[2:3] op_sel:[0,1]
	v_mul_f64 v[2:3], v[114:115], v[62:63]
	v_fmac_f64_e32 v[2:3], v[116:117], v[64:65]
	v_add_f64 v[0:1], v[0:1], v[2:3]
	v_mul_f64 v[2:3], v[250:251], v[70:71]
	v_fmac_f64_e32 v[2:3], v[252:253], v[36:37]
	v_add_f64 v[0:1], v[0:1], v[2:3]
	;; [unrolled: 3-line block ×3, first 2 shown]
	ds_read_b128 v[0:3], v6 offset:1552
	v_mul_f64 v[62:63], v[116:117], v[62:63]
	v_accvgpr_write_b32 a235, v145
	v_accvgpr_write_b32 a234, v144
	v_mul_f64 v[74:75], v[80:81], v[74:75]
	s_waitcnt lgkmcnt(0)
	v_mul_f64 v[14:15], v[0:1], v[236:237]
	v_fmac_f64_e32 v[14:15], v[2:3], v[246:247]
	v_add_f64 v[14:15], v[16:17], v[14:15]
	v_mul_f64 v[16:17], v[8:9], v[238:239]
	v_fmac_f64_e32 v[16:17], v[10:11], v[102:103]
	v_add_f64 v[14:15], v[14:15], v[16:17]
	v_mul_f64 v[16:17], v[140:141], v[120:121]
	v_fmac_f64_e32 v[16:17], v[142:143], v[122:123]
	ds_read_b128 v[140:143], v6 offset:1600
	v_add_f64 v[28:29], v[14:15], v[16:17]
	v_mul_f64 v[14:15], v[160:161], v[118:119]
	v_fma_f64 v[120:121], v[158:159], v[18:19], -v[14:15]
	v_mul_f64 v[14:15], v[164:165], v[20:21]
	v_fma_f64 v[146:147], v[162:163], v[26:27], -v[14:15]
	ds_read_b128 v[14:17], v6 offset:1632
	s_waitcnt lgkmcnt(1)
	v_mul_f64 v[18:19], v[140:141], v[124:125]
	v_accvgpr_write_b32 a205, v143
	v_fmac_f64_e32 v[18:19], v[142:143], v[126:127]
	v_accvgpr_write_b32 a204, v142
	v_accvgpr_write_b32 a203, v141
	;; [unrolled: 1-line block ×3, first 2 shown]
	ds_read_b128 v[140:143], v6 offset:1648
	v_mul_f64 v[20:21], v[148:149], v[128:129]
	v_add_f64 v[18:19], v[28:29], v[18:19]
	v_fmac_f64_e32 v[20:21], v[150:151], v[132:133]
	v_add_f64 v[18:19], v[18:19], v[20:21]
	s_waitcnt lgkmcnt(1)
	v_mul_f64 v[20:21], v[14:15], v[130:131]
	v_fmac_f64_e32 v[20:21], v[16:17], v[134:135]
	v_accvgpr_write_b32 a217, v17
	v_accvgpr_write_b32 a216, v16
	v_accvgpr_write_b32 a215, v15
	v_accvgpr_write_b32 a214, v14
	v_add_f64 v[26:27], v[18:19], v[20:21]
	ds_read_b128 v[16:19], v6 offset:1664
	s_waitcnt lgkmcnt(1)
	v_mul_f64 v[28:29], v[140:141], v[12:13]
	buffer_load_dword v5, off, s[0:3], 0 offset:716
	buffer_load_dword v4, off, s[0:3], 0 offset:712
	;; [unrolled: 1-line block ×13, first 2 shown]
	ds_read_b128 v[148:151], v6 offset:1680
	v_mul_f64 v[14:15], v[176:177], v[38:39]
	v_fma_f64 v[160:161], v[174:175], v[40:41], -v[14:15]
	v_mul_f64 v[14:15], v[180:181], v[86:87]
	v_fmac_f64_e32 v[28:29], v[142:143], v[136:137]
	v_fma_f64 v[86:87], v[178:179], v[88:89], -v[14:15]
	s_waitcnt lgkmcnt(1)
	v_mul_f64 v[14:15], v[16:17], v[144:145]
	v_accvgpr_write_b32 a233, v19
	buffer_load_dword v132, off, s[0:3], 0 offset:736
	buffer_load_dword v131, off, s[0:3], 0 offset:748
	;; [unrolled: 1-line block ×3, first 2 shown]
	v_fma_f64 v[162:163], v[166:167], v[30:31], -v[22:23]
	v_add_f64 v[30:31], v[26:27], v[28:29]
	v_fmac_f64_e32 v[14:15], v[18:19], v[76:77]
	v_accvgpr_write_b32 a232, v18
	v_accvgpr_write_b32 a231, v17
	;; [unrolled: 1-line block ×3, first 2 shown]
	s_waitcnt vmcnt(18) lgkmcnt(0)
	v_mul_f64 v[16:17], v[148:149], v[72:73]
	v_add_f64 v[14:15], v[30:31], v[14:15]
	s_waitcnt vmcnt(16)
	v_fmac_f64_e32 v[16:17], v[150:151], v[190:191]
	v_mul_f64 v[26:27], v[172:173], v[42:43]
	v_add_f64 v[42:43], v[14:15], v[16:17]
	v_mul_f64 v[14:15], v[184:185], v[52:53]
	v_fma_f64 v[88:89], v[182:183], v[54:55], -v[14:15]
	v_mul_f64 v[14:15], v[188:189], v[244:245]
	buffer_load_dword v245, off, s[0:3], 0 offset:780
	buffer_load_dword v41, off, s[0:3], 0 offset:764
	buffer_load_dword v40, off, s[0:3], 0 offset:760
	buffer_load_dword v169, off, s[0:3], 0 offset:756
	buffer_load_dword v168, off, s[0:3], 0 offset:752
	buffer_load_dword v244, off, s[0:3], 0 offset:776
	buffer_load_dword v125, off, s[0:3], 0 offset:772
	buffer_load_dword v124, off, s[0:3], 0 offset:768
	ds_read_b128 v[152:155], v6 offset:1696
	buffer_load_dword v129, off, s[0:3], 0 offset:796
	buffer_load_dword v128, off, s[0:3], 0 offset:792
	;; [unrolled: 1-line block ×12, first 2 shown]
	v_mul_f64 v[18:19], v[194:195], v[48:49]
	v_mul_f64 v[38:39], v[198:199], v[32:33]
	v_fma_f64 v[20:21], v[192:193], v[108:109], -v[18:19]
	v_fma_f64 v[108:109], v[196:197], v[112:113], -v[38:39]
	v_mul_f64 v[38:39], v[202:203], v[94:95]
	buffer_load_dword v182, off, s[0:3], 0 offset:840
	v_fma_f64 v[184:185], v[200:201], v[98:99], -v[38:39]
	v_mul_f64 v[38:39], v[206:207], v[106:107]
	buffer_load_dword v106, off, s[0:3], 0 offset:832
	buffer_load_dword v183, off, s[0:3], 0 offset:844
	;; [unrolled: 1-line block ×3, first 2 shown]
	v_fma_f64 v[22:23], v[186:187], v[24:25], -v[14:15]
	buffer_load_dword v187, off, s[0:3], 0 offset:860
	buffer_load_dword v186, off, s[0:3], 0 offset:856
	;; [unrolled: 1-line block ×8, first 2 shown]
	v_fma_f64 v[18:19], v[204:205], v[110:111], -v[38:39]
	buffer_load_dword v193, off, s[0:3], 0 offset:908
	buffer_load_dword v199, off, s[0:3], 0 offset:892
	;; [unrolled: 1-line block ×12, first 2 shown]
	v_fma_f64 v[26:27], v[170:171], v[44:45], -v[26:27]
	ds_read_b128 v[170:173], v6 offset:1712
	ds_read_b128 v[164:167], v6 offset:1728
	v_mul_f64 v[38:39], v[214:215], v[100:101]
	v_mul_f64 v[24:25], v[210:211], v[92:93]
	v_fma_f64 v[210:211], v[212:213], v[104:105], -v[38:39]
	v_mul_f64 v[38:39], v[218:219], v[90:91]
	v_fma_f64 v[14:15], v[216:217], v[84:85], -v[38:39]
	v_fma_f64 v[216:217], v[114:115], v[64:65], -v[62:63]
	ds_read_b128 v[62:65], v6 offset:1824
	v_mul_f64 v[38:39], v[222:223], v[68:69]
	v_fma_f64 v[24:25], v[208:209], v[96:97], -v[24:25]
	v_fma_f64 v[208:209], v[220:221], v[82:83], -v[38:39]
	v_mul_f64 v[2:3], v[2:3], v[236:237]
	v_accvgpr_write_b32 a237, v73
	v_accvgpr_write_b32 a236, v72
	s_waitcnt vmcnt(56)
	v_pk_mov_b32 v[76:77], v[12:13], v[12:13] op_sel:[0,1]
	s_waitcnt vmcnt(54) lgkmcnt(3)
	v_mul_f64 v[28:29], v[152:153], v[122:123]
	v_pk_mov_b32 v[72:73], v[4:5], v[4:5] op_sel:[0,1]
	s_waitcnt vmcnt(52)
	v_fmac_f64_e32 v[28:29], v[154:155], v[156:157]
	v_add_f64 v[28:29], v[42:43], v[28:29]
	s_waitcnt lgkmcnt(2)
	v_mul_f64 v[42:43], v[170:171], v[4:5]
	v_fmac_f64_e32 v[42:43], v[172:173], v[12:13]
	v_add_f64 v[28:29], v[28:29], v[42:43]
	s_waitcnt vmcnt(49) lgkmcnt(1)
	v_mul_f64 v[42:43], v[164:165], v[126:127]
	s_waitcnt vmcnt(47)
	v_fmac_f64_e32 v[42:43], v[166:167], v[158:159]
	v_add_f64 v[28:29], v[28:29], v[42:43]
	ds_read_b128 v[42:45], v6 offset:1744
	v_fma_f64 v[12:13], v[224:225], v[50:51], -v[46:47]
	ds_read_b128 v[46:49], v6 offset:1760
	v_mul_f64 v[50:51], v[230:231], v[56:57]
	v_fma_f64 v[212:213], v[228:229], v[66:67], -v[50:51]
	ds_read_b128 v[50:53], v6 offset:1776
	ds_read_b128 v[54:57], v6 offset:1792
	s_waitcnt vmcnt(45) lgkmcnt(3)
	v_mul_f64 v[16:17], v[42:43], v[130:131]
	s_waitcnt vmcnt(44)
	v_fmac_f64_e32 v[16:17], v[44:45], v[132:133]
	v_add_f64 v[16:17], v[28:29], v[16:17]
	ds_read_b128 v[66:69], v6 offset:1840
	s_waitcnt vmcnt(41) lgkmcnt(3)
	v_mul_f64 v[28:29], v[46:47], v[40:41]
	s_waitcnt vmcnt(39)
	v_fmac_f64_e32 v[28:29], v[48:49], v[168:169]
	v_add_f64 v[16:17], v[16:17], v[28:29]
	s_waitcnt vmcnt(38) lgkmcnt(2)
	v_mul_f64 v[28:29], v[50:51], v[244:245]
	s_waitcnt vmcnt(36)
	v_fmac_f64_e32 v[28:29], v[52:53], v[124:125]
	v_add_f64 v[16:17], v[16:17], v[28:29]
	v_mul_f64 v[28:29], v[234:235], v[58:59]
	v_fma_f64 v[214:215], v[232:233], v[60:61], -v[28:29]
	ds_read_b128 v[58:61], v6 offset:1808
	s_waitcnt vmcnt(34) lgkmcnt(2)
	v_mul_f64 v[28:29], v[54:55], v[128:129]
	s_waitcnt vmcnt(32)
	v_fmac_f64_e32 v[28:29], v[56:57], v[30:31]
	v_add_f64 v[16:17], v[16:17], v[28:29]
	s_waitcnt vmcnt(30) lgkmcnt(0)
	v_mul_f64 v[28:29], v[58:59], v[174:175]
	s_waitcnt vmcnt(28)
	v_fmac_f64_e32 v[28:29], v[60:61], v[178:179]
	v_add_f64 v[16:17], v[16:17], v[28:29]
	s_waitcnt vmcnt(26)
	v_mul_f64 v[28:29], v[62:63], v[176:177]
	s_waitcnt vmcnt(24)
	v_fmac_f64_e32 v[28:29], v[64:65], v[180:181]
	v_add_f64 v[16:17], v[16:17], v[28:29]
	v_mul_f64 v[28:29], v[252:253], v[70:71]
	v_mov_b32_e32 v70, 0
	v_fma_f64 v[144:145], v[250:251], v[36:37], -v[28:29]
	ds_read_b128 v[36:39], v70 offset:1856
	ds_read_b128 v[134:137], v70 offset:1872
	s_waitcnt vmcnt(21)
	v_mul_f64 v[28:29], v[66:67], v[182:183]
	s_waitcnt vmcnt(20)
	v_fmac_f64_e32 v[28:29], v[68:69], v[106:107]
	v_fma_f64 v[250:251], v[78:79], v[34:35], -v[74:75]
	s_waitcnt vmcnt(18) lgkmcnt(1)
	v_mul_f64 v[78:79], v[36:37], v[186:187]
	v_add_f64 v[16:17], v[16:17], v[28:29]
	s_waitcnt vmcnt(16)
	v_fmac_f64_e32 v[78:79], v[38:39], v[188:189]
	v_add_f64 v[16:17], v[16:17], v[78:79]
	ds_read_b128 v[78:81], v70 offset:1888
	v_fma_f64 v[252:253], v[0:1], v[246:247], -v[2:3]
	s_waitcnt vmcnt(14) lgkmcnt(1)
	v_mul_f64 v[0:1], v[134:135], v[194:195]
	s_waitcnt vmcnt(12)
	v_fmac_f64_e32 v[0:1], v[136:137], v[196:197]
	v_add_f64 v[16:17], v[16:17], v[0:1]
	v_mul_f64 v[0:1], v[10:11], v[238:239]
	v_fma_f64 v[0:1], v[8:9], v[102:103], -v[0:1]
	buffer_load_dword v28, off, s[0:3], 0 offset:936
	v_accvgpr_write_b32 a241, v1
	ds_read_b128 v[82:85], v70 offset:1904
	v_accvgpr_write_b32 a240, v0
	ds_read_b128 v[0:3], v70 offset:1920
	s_waitcnt vmcnt(10) lgkmcnt(2)
	v_mul_f64 v[4:5], v[78:79], v[198:199]
	buffer_load_dword v238, off, s[0:3], 0 offset:928
	buffer_load_dword v29, off, s[0:3], 0 offset:940
	;; [unrolled: 1-line block ×3, first 2 shown]
	s_waitcnt vmcnt(11)
	v_fmac_f64_e32 v[4:5], v[80:81], v[204:205]
	v_add_f64 v[4:5], v[16:17], v[4:5]
	ds_read_b128 v[90:93], v70 offset:1936
	buffer_load_dword v17, off, s[0:3], 0 offset:956
	buffer_load_dword v16, off, s[0:3], 0 offset:952
	buffer_load_dword v35, off, s[0:3], 0 offset:948
	buffer_load_dword v34, off, s[0:3], 0 offset:944
	ds_read_b128 v[94:97], v70 offset:1952
	buffer_load_dword v74, off, s[0:3], 0 offset:968
	buffer_load_dword v75, off, s[0:3], 0 offset:972
	buffer_load_dword v218, off, s[0:3], 0 offset:960
	buffer_load_dword v219, off, s[0:3], 0 offset:964
	;; [unrolled: 5-line block ×3, first 2 shown]
	s_waitcnt vmcnt(22) lgkmcnt(4)
	v_mul_f64 v[6:7], v[82:83], v[192:193]
	s_waitcnt vmcnt(20)
	v_fmac_f64_e32 v[6:7], v[84:85], v[202:203]
	v_add_f64 v[4:5], v[4:5], v[6:7]
	s_waitcnt vmcnt(18) lgkmcnt(3)
	v_mul_f64 v[6:7], v[0:1], v[200:201]
	s_waitcnt vmcnt(16)
	v_fmac_f64_e32 v[6:7], v[2:3], v[206:207]
	v_add_f64 v[4:5], v[4:5], v[6:7]
	ds_read_b128 v[102:105], v70 offset:1984
	buffer_load_dword v224, off, s[0:3], 0 offset:1000
	buffer_load_dword v225, off, s[0:3], 0 offset:1004
	;; [unrolled: 1-line block ×4, first 2 shown]
	v_accvgpr_read_b32 v8, a242
	v_accvgpr_read_b32 v9, a243
	v_add_f64 v[118:119], v[8:9], 0
	v_add_f64 v[118:119], v[118:119], v[254:255]
	;; [unrolled: 1-line block ×28, first 2 shown]
	v_accvgpr_read_b32 v12, a194
	v_accvgpr_read_b32 v10, a198
	v_accvgpr_read_b32 v14, a196
	v_accvgpr_read_b32 v15, a197
	v_accvgpr_read_b32 v11, a199
	v_add_f64 v[252:253], v[8:9], v[252:253]
	v_accvgpr_read_b32 v8, a240
	v_mul_f64 v[10:11], v[14:15], v[10:11]
	v_accvgpr_read_b32 v14, a200
	v_accvgpr_read_b32 v9, a241
	;; [unrolled: 1-line block ×4, first 2 shown]
	v_add_f64 v[8:9], v[252:253], v[8:9]
	v_fma_f64 v[10:11], v[12:13], v[14:15], -v[10:11]
	v_add_f64 v[8:9], v[8:9], v[10:11]
	v_accvgpr_read_b32 v12, a202
	v_accvgpr_read_b32 v10, a206
	;; [unrolled: 1-line block ×5, first 2 shown]
	v_mul_f64 v[10:11], v[14:15], v[10:11]
	v_accvgpr_read_b32 v14, a208
	v_accvgpr_read_b32 v13, a203
	;; [unrolled: 1-line block ×3, first 2 shown]
	v_fma_f64 v[10:11], v[12:13], v[14:15], -v[10:11]
	v_add_f64 v[8:9], v[8:9], v[10:11]
	v_accvgpr_read_b32 v12, a210
	v_accvgpr_read_b32 v10, a218
	;; [unrolled: 1-line block ×5, first 2 shown]
	v_mul_f64 v[10:11], v[14:15], v[10:11]
	s_waitcnt vmcnt(17) lgkmcnt(3)
	v_mul_f64 v[6:7], v[90:91], v[28:29]
	s_waitcnt vmcnt(16)
	v_fmac_f64_e32 v[6:7], v[92:93], v[238:239]
	v_add_f64 v[4:5], v[4:5], v[6:7]
	s_waitcnt vmcnt(14) lgkmcnt(2)
	v_mul_f64 v[6:7], v[94:95], v[16:17]
	v_accvgpr_read_b32 v14, a222
	s_waitcnt vmcnt(12)
	v_fmac_f64_e32 v[6:7], v[96:97], v[34:35]
	v_add_f64 v[4:5], v[4:5], v[6:7]
	s_waitcnt vmcnt(10) lgkmcnt(1)
	v_mul_f64 v[6:7], v[98:99], v[74:75]
	s_waitcnt vmcnt(8)
	v_fmac_f64_e32 v[6:7], v[100:101], v[218:219]
	v_add_f64 v[4:5], v[4:5], v[6:7]
	s_waitcnt vmcnt(6) lgkmcnt(0)
	v_mul_f64 v[6:7], v[102:103], v[220:221]
	s_waitcnt vmcnt(4)
	v_fmac_f64_e32 v[6:7], v[104:105], v[222:223]
	v_add_f64 v[110:111], v[4:5], v[6:7]
	ds_read_b128 v[4:7], v70 offset:2000
	buffer_load_dword v229, off, s[0:3], 0 offset:1020
	buffer_load_dword v228, off, s[0:3], 0 offset:1016
	;; [unrolled: 1-line block ×4, first 2 shown]
	v_accvgpr_read_b32 v13, a211
	v_accvgpr_read_b32 v15, a223
	v_fma_f64 v[10:11], v[12:13], v[14:15], -v[10:11]
	s_waitcnt vmcnt(6) lgkmcnt(0)
	v_mul_f64 v[112:113], v[4:5], v[224:225]
	s_waitcnt vmcnt(4)
	v_fmac_f64_e32 v[112:113], v[6:7], v[226:227]
	v_add_f64 v[114:115], v[110:111], v[112:113]
	ds_read_b128 v[110:113], v70 offset:2016
	buffer_load_dword v234, off, s[0:3], 0 offset:1032
	buffer_load_dword v235, off, s[0:3], 0 offset:1036
	;; [unrolled: 1-line block ×4, first 2 shown]
	v_add_f64 v[8:9], v[8:9], v[10:11]
	v_accvgpr_read_b32 v12, a214
	v_accvgpr_read_b32 v10, a220
	;; [unrolled: 1-line block ×5, first 2 shown]
	v_mul_f64 v[10:11], v[14:15], v[10:11]
	v_accvgpr_read_b32 v14, a224
	v_accvgpr_read_b32 v13, a215
	;; [unrolled: 1-line block ×3, first 2 shown]
	v_fma_f64 v[10:11], v[12:13], v[14:15], -v[10:11]
	v_add_f64 v[8:9], v[8:9], v[10:11]
	v_accvgpr_read_b32 v10, a226
	v_accvgpr_read_b32 v11, a227
	v_accvgpr_read_b32 v12, a228
	v_mul_f64 v[10:11], v[142:143], v[10:11]
	v_accvgpr_read_b32 v13, a229
	v_fma_f64 v[10:11], v[140:141], v[12:13], -v[10:11]
	v_add_f64 v[8:9], v[8:9], v[10:11]
	v_accvgpr_read_b32 v12, a230
	v_accvgpr_read_b32 v10, a234
	;; [unrolled: 1-line block ×5, first 2 shown]
	v_mul_f64 v[10:11], v[14:15], v[10:11]
	v_accvgpr_read_b32 v14, a238
	v_accvgpr_read_b32 v13, a231
	;; [unrolled: 1-line block ×3, first 2 shown]
	v_fma_f64 v[10:11], v[12:13], v[14:15], -v[10:11]
	v_add_f64 v[8:9], v[8:9], v[10:11]
	v_accvgpr_read_b32 v10, a236
	v_accvgpr_read_b32 v11, a237
	v_mul_f64 v[10:11], v[150:151], v[10:11]
	v_fma_f64 v[10:11], v[148:149], v[190:191], -v[10:11]
	v_add_f64 v[8:9], v[8:9], v[10:11]
	v_mul_f64 v[10:11], v[154:155], v[122:123]
	v_fma_f64 v[10:11], v[152:153], v[156:157], -v[10:11]
	v_add_f64 v[8:9], v[8:9], v[10:11]
	;; [unrolled: 3-line block ×12, first 2 shown]
	v_mul_f64 v[10:11], v[136:137], v[194:195]
	s_waitcnt vmcnt(6) lgkmcnt(0)
	v_mul_f64 v[116:117], v[110:111], v[228:229]
	v_fma_f64 v[10:11], v[134:135], v[196:197], -v[10:11]
	s_waitcnt vmcnt(4)
	v_fmac_f64_e32 v[116:117], v[112:113], v[230:231]
	v_add_f64 v[232:233], v[114:115], v[116:117]
	ds_read_b128 v[114:117], v70 offset:2032
	buffer_load_dword v250, off, s[0:3], 0 offset:80
	buffer_load_dword v251, off, s[0:3], 0 offset:84
	;; [unrolled: 1-line block ×4, first 2 shown]
	v_add_f64 v[8:9], v[8:9], v[10:11]
	v_mul_f64 v[10:11], v[80:81], v[198:199]
	v_fma_f64 v[10:11], v[78:79], v[204:205], -v[10:11]
	v_add_f64 v[8:9], v[8:9], v[10:11]
	v_mul_f64 v[10:11], v[84:85], v[192:193]
	v_fma_f64 v[10:11], v[82:83], v[202:203], -v[10:11]
	v_mul_f64 v[2:3], v[2:3], v[200:201]
	v_add_f64 v[8:9], v[8:9], v[10:11]
	v_fma_f64 v[0:1], v[0:1], v[206:207], -v[2:3]
	v_mul_f64 v[2:3], v[92:93], v[28:29]
	v_add_f64 v[0:1], v[8:9], v[0:1]
	v_fma_f64 v[2:3], v[90:91], v[238:239], -v[2:3]
	v_add_f64 v[0:1], v[0:1], v[2:3]
	v_mul_f64 v[2:3], v[96:97], v[16:17]
	v_fma_f64 v[2:3], v[94:95], v[34:35], -v[2:3]
	v_add_f64 v[0:1], v[0:1], v[2:3]
	v_mul_f64 v[2:3], v[100:101], v[74:75]
	;; [unrolled: 3-line block ×5, first 2 shown]
	v_fma_f64 v[2:3], v[110:111], v[230:231], -v[2:3]
	v_add_f64 v[0:1], v[0:1], v[2:3]
	s_waitcnt vmcnt(6) lgkmcnt(0)
	v_mul_f64 v[2:3], v[116:117], v[234:235]
	v_mul_f64 v[246:247], v[114:115], v[234:235]
	s_waitcnt vmcnt(4)
	v_fma_f64 v[2:3], v[114:115], v[236:237], -v[2:3]
	v_fmac_f64_e32 v[246:247], v[116:117], v[236:237]
	v_add_f64 v[0:1], v[0:1], v[2:3]
	v_add_f64 v[232:233], v[232:233], v[246:247]
	s_waitcnt vmcnt(2)
	v_add_f64 v[0:1], v[250:251], -v[0:1]
	s_waitcnt vmcnt(0)
	v_add_f64 v[2:3], v[248:249], -v[232:233]
	buffer_store_dword v1, off, s[0:3], 0 offset:84
	buffer_store_dword v0, off, s[0:3], 0 offset:80
	;; [unrolled: 1-line block ×4, first 2 shown]
	v_accvgpr_read_b32 v0, a191
	v_cmp_lt_u32_e32 vcc, 3, v0
	s_and_saveexec_b64 s[4:5], vcc
	s_cbranch_execz .LBB63_403
; %bb.402:
	v_accvgpr_read_b32 v3, a188
	buffer_load_dword v0, v3, s[0:3], 0 offen
	buffer_load_dword v1, v3, s[0:3], 0 offen offset:4
	buffer_load_dword v2, v3, s[0:3], 0 offen offset:8
	s_nop 0
	buffer_load_dword v3, v3, s[0:3], 0 offen offset:12
	v_accvgpr_read_b32 v4, a192
	buffer_store_dword v70, off, s[0:3], 0 offset:64
	buffer_store_dword v70, off, s[0:3], 0 offset:68
	;; [unrolled: 1-line block ×4, first 2 shown]
	s_waitcnt vmcnt(4)
	ds_write_b128 v4, v[0:3]
.LBB63_403:
	s_or_b64 exec, exec, s[4:5]
	s_waitcnt lgkmcnt(0)
	; wave barrier
	s_waitcnt lgkmcnt(0)
	buffer_load_dword v130, off, s[0:3], 0 offset:80
	buffer_load_dword v131, off, s[0:3], 0 offset:84
	;; [unrolled: 1-line block ×36, first 2 shown]
	v_mov_b32_e32 v76, 0
	ds_read_b128 v[34:37], v76 offset:1088
	ds_read_b128 v[30:33], v76 offset:1104
	;; [unrolled: 1-line block ×9, first 2 shown]
	buffer_load_dword v83, off, s[0:3], 0 offset:252
	buffer_load_dword v82, off, s[0:3], 0 offset:248
	;; [unrolled: 1-line block ×19, first 2 shown]
	s_waitcnt vmcnt(51) lgkmcnt(8)
	v_mul_f64 v[0:1], v[34:35], v[54:55]
	v_fmac_f64_e32 v[0:1], v[36:37], v[130:131]
	v_add_f64 v[0:1], v[0:1], 0
	s_waitcnt vmcnt(47) lgkmcnt(7)
	v_mul_f64 v[2:3], v[30:31], v[66:67]
	v_fmac_f64_e32 v[2:3], v[32:33], v[64:65]
	s_waitcnt vmcnt(45) lgkmcnt(6)
	v_mul_f64 v[8:9], v[26:27], v[68:69]
	v_add_f64 v[0:1], v[0:1], v[2:3]
	s_waitcnt vmcnt(43) lgkmcnt(4)
	v_mul_f64 v[12:13], v[18:19], v[146:147]
	s_waitcnt vmcnt(41)
	v_fmac_f64_e32 v[12:13], v[20:21], v[152:153]
	s_waitcnt vmcnt(39)
	v_mul_f64 v[10:11], v[22:23], v[140:141]
	s_waitcnt vmcnt(37) lgkmcnt(2)
	v_mul_f64 v[16:17], v[118:119], v[172:173]
	s_waitcnt vmcnt(35)
	v_fmac_f64_e32 v[16:17], v[120:121], v[58:59]
	s_waitcnt vmcnt(33)
	v_mul_f64 v[14:15], v[4:5], v[244:245]
	s_waitcnt vmcnt(31) lgkmcnt(1)
	v_mul_f64 v[38:39], v[122:123], v[154:155]
	s_waitcnt vmcnt(29)
	v_fmac_f64_e32 v[8:9], v[28:29], v[70:71]
	v_add_f64 v[0:1], v[0:1], v[8:9]
	s_waitcnt vmcnt(27)
	v_fmac_f64_e32 v[10:11], v[24:25], v[142:143]
	v_add_f64 v[0:1], v[0:1], v[10:11]
	v_add_f64 v[0:1], v[0:1], v[12:13]
	buffer_load_dword v112, off, s[0:3], 0 offset:304
	buffer_load_dword v13, off, s[0:3], 0 offset:300
	;; [unrolled: 1-line block ×61, first 2 shown]
	ds_read_b128 v[148:151], v76 offset:1232
	ds_read_b128 v[164:167], v76 offset:1248
	s_waitcnt vmcnt(62)
	v_fmac_f64_e32 v[14:15], v[6:7], v[252:253]
	v_add_f64 v[0:1], v[0:1], v[14:15]
	v_fmac_f64_e32 v[38:39], v[124:125], v[62:63]
	v_add_f64 v[0:1], v[0:1], v[16:17]
	s_waitcnt lgkmcnt(2)
	v_mul_f64 v[2:3], v[126:127], v[60:61]
	v_add_f64 v[0:1], v[0:1], v[38:39]
	v_fmac_f64_e32 v[2:3], v[128:129], v[190:191]
	ds_read_b128 v[192:195], v76 offset:1264
	ds_read_b128 v[200:203], v76 offset:1280
	v_add_f64 v[0:1], v[0:1], v[2:3]
	s_waitcnt lgkmcnt(3)
	v_mul_f64 v[2:3], v[148:149], v[94:95]
	v_fmac_f64_e32 v[2:3], v[150:151], v[96:97]
	v_add_f64 v[0:1], v[0:1], v[2:3]
	s_waitcnt lgkmcnt(2)
	v_mul_f64 v[2:3], v[164:165], v[82:83]
	v_fmac_f64_e32 v[2:3], v[166:167], v[84:85]
	ds_read_b128 v[204:207], v76 offset:1296
	ds_read_b128 v[214:217], v76 offset:1312
	v_add_f64 v[0:1], v[0:1], v[2:3]
	s_waitcnt lgkmcnt(3)
	v_mul_f64 v[2:3], v[192:193], v[156:157]
	v_fmac_f64_e32 v[2:3], v[194:195], v[162:163]
	v_add_f64 v[0:1], v[0:1], v[2:3]
	s_waitcnt lgkmcnt(2)
	v_mul_f64 v[2:3], v[200:201], v[158:159]
	v_fmac_f64_e32 v[2:3], v[202:203], v[160:161]
	ds_read_b128 v[218:221], v76 offset:1328
	ds_read_b128 v[222:225], v76 offset:1344
	v_add_f64 v[0:1], v[0:1], v[2:3]
	s_waitcnt vmcnt(58) lgkmcnt(3)
	v_mul_f64 v[2:3], v[204:205], v[12:13]
	s_waitcnt vmcnt(56)
	v_fmac_f64_e32 v[2:3], v[206:207], v[254:255]
	v_add_f64 v[0:1], v[0:1], v[2:3]
	s_waitcnt lgkmcnt(2)
	v_mul_f64 v[2:3], v[214:215], v[110:111]
	v_fmac_f64_e32 v[2:3], v[216:217], v[112:113]
	ds_read_b128 v[226:229], v76 offset:1360
	ds_read_b128 v[230:233], v76 offset:1376
	v_add_f64 v[0:1], v[0:1], v[2:3]
	s_waitcnt vmcnt(50) lgkmcnt(3)
	v_mul_f64 v[2:3], v[218:219], v[168:169]
	s_waitcnt vmcnt(48)
	;; [unrolled: 11-line block ×3, first 2 shown]
	v_fmac_f64_e32 v[2:3], v[228:229], v[180:181]
	v_add_f64 v[0:1], v[0:1], v[2:3]
	s_waitcnt lgkmcnt(2)
	v_mul_f64 v[2:3], v[230:231], v[182:183]
	v_fmac_f64_e32 v[2:3], v[232:233], v[184:185]
	ds_read_b128 v[38:41], v76 offset:1424
	v_add_f64 v[0:1], v[0:1], v[2:3]
	s_waitcnt vmcnt(34) lgkmcnt(2)
	v_mul_f64 v[2:3], v[234:235], v[186:187]
	s_waitcnt vmcnt(32)
	v_fmac_f64_e32 v[2:3], v[236:237], v[188:189]
	buffer_load_dword v209, off, s[0:3], 0 offset:556
	buffer_load_dword v208, off, s[0:3], 0 offset:552
	buffer_load_dword v15, off, s[0:3], 0 offset:548
	buffer_load_dword v14, off, s[0:3], 0 offset:544
	ds_read_b128 v[42:45], v76 offset:1440
	v_add_f64 v[0:1], v[0:1], v[2:3]
	s_waitcnt lgkmcnt(2)
	v_mul_f64 v[2:3], v[246:247], v[114:115]
	v_fmac_f64_e32 v[2:3], v[248:249], v[116:117]
	v_add_f64 v[0:1], v[0:1], v[2:3]
	s_waitcnt vmcnt(30) lgkmcnt(1)
	v_mul_f64 v[2:3], v[38:39], v[196:197]
	s_waitcnt vmcnt(28)
	v_fmac_f64_e32 v[2:3], v[40:41], v[198:199]
	v_add_f64 v[0:1], v[0:1], v[2:3]
	s_waitcnt lgkmcnt(0)
	v_mul_f64 v[2:3], v[42:43], v[102:103]
	v_fmac_f64_e32 v[2:3], v[44:45], v[104:105]
	buffer_load_dword v211, off, s[0:3], 0 offset:572
	buffer_load_dword v210, off, s[0:3], 0 offset:568
	ds_read_b128 v[46:49], v76 offset:1456
	buffer_load_dword v213, off, s[0:3], 0 offset:564
	buffer_load_dword v212, off, s[0:3], 0 offset:560
	v_add_f64 v[0:1], v[0:1], v[2:3]
	ds_read_b128 v[50:53], v76 offset:1472
	buffer_load_dword v3, off, s[0:3], 0 offset:588
	buffer_load_dword v2, off, s[0:3], 0 offset:584
	v_mul_f64 v[6:7], v[6:7], v[244:245]
	v_fma_f64 v[244:245], v[4:5], v[252:253], -v[6:7]
	v_mul_f64 v[12:13], v[206:207], v[12:13]
	v_fma_f64 v[254:255], v[204:205], v[254:255], -v[12:13]
	v_mul_f64 v[40:41], v[40:41], v[196:197]
	s_waitcnt vmcnt(0)
	v_pk_mov_b32 v[16:17], v[2:3], v[2:3] op_sel:[0,1]
	buffer_load_dword v3, off, s[0:3], 0 offset:580
	buffer_load_dword v2, off, s[0:3], 0 offset:576
	;; [unrolled: 1-line block ×10, first 2 shown]
	v_accvgpr_write_b32 a199, v17
	v_accvgpr_write_b32 a198, v16
	s_waitcnt vmcnt(6)
	v_accvgpr_write_b32 a211, v135
	v_accvgpr_write_b32 a210, v134
	s_waitcnt vmcnt(4)
	;; [unrolled: 3-line block ×3, first 2 shown]
	v_accvgpr_write_b32 a213, v137
	v_pk_mov_b32 v[144:145], v[2:3], v[2:3] op_sel:[0,1]
	s_waitcnt lgkmcnt(1)
	v_mul_f64 v[2:3], v[46:47], v[106:107]
	v_fmac_f64_e32 v[2:3], v[48:49], v[108:109]
	v_add_f64 v[0:1], v[0:1], v[2:3]
	v_mul_f64 v[2:3], v[36:37], v[54:55]
	v_fma_f64 v[2:3], v[34:35], v[130:131], -v[2:3]
	v_accvgpr_write_b32 a235, v3
	v_accvgpr_write_b32 a234, v2
	buffer_load_dword v2, off, s[0:3], 0 offset:632
	buffer_load_dword v8, off, s[0:3], 0 offset:624
	;; [unrolled: 1-line block ×3, first 2 shown]
	ds_read_b128 v[54:57], v76 offset:1488
	buffer_load_dword v9, off, s[0:3], 0 offset:628
	v_accvgpr_write_b32 a212, v136
	v_accvgpr_write_b32 a201, v145
	;; [unrolled: 1-line block ×3, first 2 shown]
	s_waitcnt vmcnt(4)
	v_accvgpr_write_b32 a217, v133
	v_accvgpr_write_b32 a216, v132
	s_waitcnt vmcnt(1)
	v_pk_mov_b32 v[34:35], v[2:3], v[2:3] op_sel:[0,1]
	s_waitcnt lgkmcnt(1)
	v_mul_f64 v[2:3], v[50:51], v[90:91]
	v_fmac_f64_e32 v[2:3], v[52:53], v[92:93]
	v_add_f64 v[0:1], v[0:1], v[2:3]
	v_mul_f64 v[2:3], v[32:33], v[66:67]
	v_fma_f64 v[2:3], v[30:31], v[64:65], -v[2:3]
	ds_read_b128 v[64:67], v76 offset:1504
	v_accvgpr_write_b32 a237, v3
	v_accvgpr_write_b32 a236, v2
	s_waitcnt lgkmcnt(1)
	v_mul_f64 v[2:3], v[54:55], v[98:99]
	v_fmac_f64_e32 v[2:3], v[56:57], v[100:101]
	v_add_f64 v[0:1], v[0:1], v[2:3]
	v_mul_f64 v[2:3], v[28:29], v[68:69]
	v_fma_f64 v[238:239], v[26:27], v[70:71], -v[2:3]
	buffer_load_dword v3, off, s[0:3], 0 offset:652
	buffer_load_dword v2, off, s[0:3], 0 offset:648
	s_waitcnt vmcnt(2)
	v_pk_mov_b32 v[36:37], v[8:9], v[8:9] op_sel:[0,1]
	v_mul_f64 v[8:9], v[24:25], v[140:141]
	v_fma_f64 v[250:251], v[22:23], v[142:143], -v[8:9]
	v_accvgpr_write_b32 a221, v37
	v_accvgpr_write_b32 a219, v35
	;; [unrolled: 1-line block ×4, first 2 shown]
	v_mul_f64 v[52:53], v[52:53], v[90:91]
	v_mul_f64 v[56:57], v[56:57], v[98:99]
	s_waitcnt vmcnt(0)
	v_pk_mov_b32 v[26:27], v[2:3], v[2:3] op_sel:[0,1]
	buffer_load_dword v3, off, s[0:3], 0 offset:644
	buffer_load_dword v2, off, s[0:3], 0 offset:640
	ds_read_b128 v[68:71], v76 offset:1520
	buffer_load_dword v9, off, s[0:3], 0 offset:668
	buffer_load_dword v8, off, s[0:3], 0 offset:664
	v_accvgpr_write_b32 a223, v27
	v_accvgpr_write_b32 a222, v26
	s_waitcnt vmcnt(2)
	v_pk_mov_b32 v[28:29], v[2:3], v[2:3] op_sel:[0,1]
	s_waitcnt lgkmcnt(1)
	v_mul_f64 v[2:3], v[64:65], v[78:79]
	s_waitcnt vmcnt(0)
	v_pk_mov_b32 v[30:31], v[8:9], v[8:9] op_sel:[0,1]
	buffer_load_dword v9, off, s[0:3], 0 offset:660
	buffer_load_dword v8, off, s[0:3], 0 offset:656
	v_fmac_f64_e32 v[2:3], v[66:67], v[80:81]
	v_add_f64 v[22:23], v[0:1], v[2:3]
	v_mul_f64 v[0:1], v[20:21], v[146:147]
	buffer_load_dword v241, off, s[0:3], 0 offset:684
	buffer_load_dword v240, off, s[0:3], 0 offset:680
	;; [unrolled: 1-line block ×4, first 2 shown]
	v_fma_f64 v[130:131], v[18:19], v[152:153], -v[0:1]
	ds_read_b128 v[0:3], v76 offset:1536
	s_waitcnt lgkmcnt(1)
	v_mul_f64 v[18:19], v[68:69], v[86:87]
	v_fmac_f64_e32 v[18:19], v[70:71], v[88:89]
	v_add_f64 v[4:5], v[22:23], v[18:19]
	v_mul_f64 v[20:21], v[120:121], v[172:173]
	v_fma_f64 v[252:253], v[118:119], v[58:59], -v[20:21]
	v_accvgpr_write_b32 a227, v31
	v_accvgpr_write_b32 a226, v30
	;; [unrolled: 1-line block ×4, first 2 shown]
	s_waitcnt vmcnt(4)
	v_pk_mov_b32 v[32:33], v[8:9], v[8:9] op_sel:[0,1]
	ds_read_b128 v[8:11], v76 offset:1552
	s_waitcnt lgkmcnt(1)
	v_mul_f64 v[6:7], v[0:1], v[74:75]
	v_fmac_f64_e32 v[6:7], v[2:3], v[72:73]
	v_add_f64 v[4:5], v[4:5], v[6:7]
	v_accvgpr_write_b32 a229, v33
	s_waitcnt lgkmcnt(0)
	v_mul_f64 v[6:7], v[8:9], v[208:209]
	v_fmac_f64_e32 v[6:7], v[10:11], v[14:15]
	v_add_f64 v[18:19], v[4:5], v[6:7]
	ds_read_b128 v[4:7], v76 offset:1568
	buffer_load_dword v23, off, s[0:3], 0 offset:700
	buffer_load_dword v22, off, s[0:3], 0 offset:696
	s_waitcnt vmcnt(2)
	v_accvgpr_write_b32 a232, v242
	v_accvgpr_write_b32 a228, v32
	;; [unrolled: 1-line block ×3, first 2 shown]
	s_waitcnt lgkmcnt(0)
	v_mul_f64 v[20:21], v[4:5], v[210:211]
	v_fmac_f64_e32 v[20:21], v[6:7], v[212:213]
	v_add_f64 v[18:19], v[18:19], v[20:21]
	v_mul_f64 v[20:21], v[124:125], v[154:155]
	v_fma_f64 v[172:173], v[122:123], v[62:63], -v[20:21]
	v_accvgpr_write_b32 a230, v240
	v_accvgpr_write_b32 a231, v241
	v_mul_f64 v[2:3], v[2:3], v[74:75]
	v_mul_f64 v[10:11], v[10:11], v[208:209]
	v_mul_f64 v[6:7], v[6:7], v[210:211]
	v_fma_f64 v[74:75], v[4:5], v[212:213], -v[6:7]
	ds_read_b128 v[118:121], v76 offset:1600
	s_waitcnt lgkmcnt(0)
	v_accvgpr_write_b32 a205, v121
	v_accvgpr_write_b32 a204, v120
	;; [unrolled: 1-line block ×4, first 2 shown]
	s_waitcnt vmcnt(0)
	v_pk_mov_b32 v[58:59], v[22:23], v[22:23] op_sel:[0,1]
	ds_read_b128 v[22:25], v76 offset:1584
	s_waitcnt lgkmcnt(0)
	v_accvgpr_write_b32 a197, v25
	v_mul_f64 v[20:21], v[22:23], v[16:17]
	v_accvgpr_write_b32 a196, v24
	v_accvgpr_write_b32 a195, v23
	;; [unrolled: 1-line block ×3, first 2 shown]
	v_mul_f64 v[22:23], v[128:129], v[60:61]
	v_fmac_f64_e32 v[20:21], v[24:25], v[144:145]
	v_fma_f64 v[60:61], v[126:127], v[190:191], -v[22:23]
	ds_read_b128 v[22:25], v76 offset:1616
	v_add_f64 v[18:19], v[18:19], v[20:21]
	v_mul_f64 v[20:21], v[118:119], v[134:135]
	v_fmac_f64_e32 v[20:21], v[120:121], v[138:139]
	ds_read_b128 v[138:141], v76 offset:1632
	v_add_f64 v[18:19], v[18:19], v[20:21]
	s_waitcnt lgkmcnt(1)
	v_mul_f64 v[20:21], v[22:23], v[136:137]
	v_fmac_f64_e32 v[20:21], v[24:25], v[132:133]
	v_accvgpr_write_b32 a209, v25
	v_accvgpr_write_b32 a208, v24
	;; [unrolled: 1-line block ×4, first 2 shown]
	v_add_f64 v[22:23], v[18:19], v[20:21]
	v_mul_f64 v[18:19], v[150:151], v[94:95]
	v_fma_f64 v[94:95], v[148:149], v[96:97], -v[18:19]
	ds_read_b128 v[126:129], v76 offset:1648
	buffer_load_dword v143, off, s[0:3], 0 offset:692
	buffer_load_dword v142, off, s[0:3], 0 offset:688
	;; [unrolled: 1-line block ×10, first 2 shown]
	s_waitcnt lgkmcnt(1)
	v_mul_f64 v[24:25], v[138:139], v[34:35]
	v_fmac_f64_e32 v[24:25], v[140:141], v[36:37]
	v_add_f64 v[22:23], v[22:23], v[24:25]
	v_mul_f64 v[24:25], v[166:167], v[82:83]
	v_fma_f64 v[96:97], v[164:165], v[84:85], -v[24:25]
	v_mul_f64 v[24:25], v[194:195], v[156:157]
	v_fma_f64 v[82:83], v[192:193], v[162:163], -v[24:25]
	s_waitcnt lgkmcnt(0)
	v_mul_f64 v[24:25], v[126:127], v[26:27]
	v_mul_f64 v[26:27], v[202:203], v[158:159]
	ds_read_b128 v[150:153], v76 offset:1664
	ds_read_b128 v[146:149], v76 offset:1680
	v_fma_f64 v[84:85], v[200:201], v[160:161], -v[26:27]
	ds_read_b128 v[134:137], v76 offset:1696
	buffer_load_dword v159, off, s[0:3], 0 offset:748
	buffer_load_dword v158, off, s[0:3], 0 offset:744
	;; [unrolled: 1-line block ×8, first 2 shown]
	v_fmac_f64_e32 v[24:25], v[128:129], v[28:29]
	s_waitcnt lgkmcnt(2)
	v_mul_f64 v[36:37], v[150:151], v[30:31]
	v_add_f64 v[34:35], v[22:23], v[24:25]
	v_fmac_f64_e32 v[36:37], v[152:153], v[32:33]
	s_waitcnt lgkmcnt(1)
	v_mul_f64 v[12:13], v[146:147], v[240:241]
	v_add_f64 v[34:35], v[34:35], v[36:37]
	v_fmac_f64_e32 v[12:13], v[148:149], v[242:243]
	v_add_f64 v[34:35], v[34:35], v[12:13]
	v_mul_f64 v[12:13], v[216:217], v[110:111]
	v_mul_f64 v[36:37], v[224:225], v[174:175]
	v_fma_f64 v[32:33], v[214:215], v[112:113], -v[12:13]
	v_fma_f64 v[214:215], v[222:223], v[176:177], -v[36:37]
	s_waitcnt lgkmcnt(0)
	v_mul_f64 v[36:37], v[134:135], v[58:59]
	v_pk_mov_b32 v[242:243], v[58:59], v[58:59] op_sel:[0,1]
	v_mul_f64 v[58:59], v[228:229], v[178:179]
	v_fma_f64 v[216:217], v[226:227], v[180:181], -v[58:59]
	v_mul_f64 v[58:59], v[232:233], v[182:183]
	v_fma_f64 v[232:233], v[230:231], v[184:185], -v[58:59]
	;; [unrolled: 2-line block ×3, first 2 shown]
	v_fma_f64 v[22:23], v[38:39], v[198:199], -v[40:41]
	v_mul_f64 v[26:27], v[248:249], v[114:115]
	v_mul_f64 v[38:39], v[44:45], v[102:103]
	v_fma_f64 v[26:27], v[246:247], v[116:117], -v[26:27]
	v_fma_f64 v[246:247], v[42:43], v[104:105], -v[38:39]
	v_mul_f64 v[42:43], v[48:49], v[106:107]
	v_fma_f64 v[20:21], v[46:47], v[108:109], -v[42:43]
	v_fma_f64 v[144:145], v[54:55], v[100:101], -v[56:57]
	;; [unrolled: 1-line block ×3, first 2 shown]
	s_waitcnt vmcnt(16)
	v_fmac_f64_e32 v[36:37], v[136:137], v[142:143]
	v_add_f64 v[24:25], v[34:35], v[36:37]
	s_waitcnt vmcnt(9)
	v_pk_mov_b32 v[248:249], v[16:17], v[16:17] op_sel:[0,1]
	s_waitcnt vmcnt(8)
	v_pk_mov_b32 v[62:63], v[18:19], v[18:19] op_sel:[0,1]
	v_mul_f64 v[18:19], v[220:221], v[168:169]
	v_fma_f64 v[30:31], v[218:219], v[170:171], -v[18:19]
	buffer_load_dword v163, off, s[0:3], 0 offset:796
	buffer_load_dword v162, off, s[0:3], 0 offset:792
	;; [unrolled: 1-line block ×40, first 2 shown]
	ds_read_b128 v[118:121], v76 offset:1712
	ds_read_b128 v[38:41], v76 offset:1728
	;; [unrolled: 1-line block ×3, first 2 shown]
	v_fma_f64 v[18:19], v[50:51], v[92:93], -v[52:53]
	ds_read_b128 v[50:53], v76 offset:1776
	s_waitcnt lgkmcnt(3)
	v_mul_f64 v[58:59], v[118:119], v[190:191]
	v_fmac_f64_e32 v[58:59], v[120:121], v[124:125]
	s_waitcnt lgkmcnt(2)
	v_mul_f64 v[46:47], v[38:39], v[16:17]
	v_add_f64 v[24:25], v[24:25], v[58:59]
	v_fmac_f64_e32 v[46:47], v[40:41], v[62:63]
	v_add_f64 v[24:25], v[24:25], v[46:47]
	s_waitcnt vmcnt(46) lgkmcnt(1)
	v_mul_f64 v[46:47], v[42:43], v[158:159]
	s_waitcnt vmcnt(44)
	v_fmac_f64_e32 v[46:47], v[44:45], v[160:161]
	v_add_f64 v[24:25], v[24:25], v[46:47]
	ds_read_b128 v[46:49], v76 offset:1760
	ds_read_b128 v[54:57], v76 offset:1792
	;; [unrolled: 1-line block ×3, first 2 shown]
	v_pk_mov_b32 v[240:241], v[62:63], v[62:63] op_sel:[0,1]
	v_mul_f64 v[62:63], v[66:67], v[78:79]
	s_waitcnt vmcnt(42) lgkmcnt(2)
	v_mul_f64 v[58:59], v[46:47], v[164:165]
	s_waitcnt vmcnt(40)
	v_fmac_f64_e32 v[58:59], v[48:49], v[166:167]
	v_add_f64 v[24:25], v[24:25], v[58:59]
	v_fma_f64 v[16:17], v[64:65], v[80:81], -v[62:63]
	ds_read_b128 v[62:65], v76 offset:1824
	ds_read_b128 v[154:157], v76 offset:1856
	s_waitcnt vmcnt(30) lgkmcnt(2)
	v_mul_f64 v[66:67], v[34:35], v[174:175]
	v_mul_f64 v[58:59], v[50:51], v[170:171]
	s_waitcnt vmcnt(28)
	v_fmac_f64_e32 v[66:67], v[36:37], v[180:181]
	v_fmac_f64_e32 v[58:59], v[52:53], v[122:123]
	v_add_f64 v[24:25], v[24:25], v[58:59]
	v_mul_f64 v[58:59], v[54:55], v[162:163]
	v_fmac_f64_e32 v[58:59], v[56:57], v[168:169]
	v_add_f64 v[24:25], v[24:25], v[58:59]
	v_add_f64 v[24:25], v[24:25], v[66:67]
	v_mul_f64 v[66:67], v[70:71], v[86:87]
	v_fma_f64 v[132:133], v[68:69], v[88:89], -v[66:67]
	ds_read_b128 v[66:69], v76 offset:1840
	s_waitcnt vmcnt(25) lgkmcnt(2)
	v_mul_f64 v[70:71], v[62:63], v[176:177]
	s_waitcnt vmcnt(24)
	v_fmac_f64_e32 v[70:71], v[64:65], v[178:179]
	v_add_f64 v[24:25], v[24:25], v[70:71]
	ds_read_b128 v[70:73], v76 offset:1872
	s_waitcnt vmcnt(21) lgkmcnt(1)
	v_mul_f64 v[2:3], v[66:67], v[184:185]
	s_waitcnt vmcnt(19)
	v_fmac_f64_e32 v[2:3], v[68:69], v[192:193]
	v_add_f64 v[2:3], v[24:25], v[2:3]
	s_waitcnt vmcnt(18)
	v_mul_f64 v[24:25], v[154:155], v[182:183]
	s_waitcnt vmcnt(16)
	v_fmac_f64_e32 v[24:25], v[156:157], v[188:189]
	v_add_f64 v[2:3], v[2:3], v[24:25]
	v_fma_f64 v[24:25], v[8:9], v[14:15], -v[10:11]
	ds_read_b128 v[8:11], v76 offset:1888
	s_waitcnt vmcnt(14) lgkmcnt(1)
	v_mul_f64 v[78:79], v[70:71], v[186:187]
	s_waitcnt vmcnt(12)
	v_fmac_f64_e32 v[78:79], v[72:73], v[194:195]
	v_add_f64 v[2:3], v[2:3], v[78:79]
	ds_read_b128 v[78:81], v76 offset:1904
	ds_read_b128 v[86:89], v76 offset:1920
	s_waitcnt vmcnt(10) lgkmcnt(2)
	v_mul_f64 v[4:5], v[8:9], v[198:199]
	s_waitcnt vmcnt(8)
	v_fmac_f64_e32 v[4:5], v[10:11], v[200:201]
	v_add_f64 v[2:3], v[2:3], v[4:5]
	s_waitcnt vmcnt(5) lgkmcnt(1)
	v_mul_f64 v[4:5], v[78:79], v[204:205]
	s_waitcnt vmcnt(3)
	v_fmac_f64_e32 v[4:5], v[80:81], v[206:207]
	v_add_f64 v[2:3], v[2:3], v[4:5]
	;; [unrolled: 5-line block ×3, first 2 shown]
	buffer_load_dword v3, off, s[0:3], 0 offset:940
	buffer_load_dword v2, off, s[0:3], 0 offset:936
	;; [unrolled: 1-line block ×4, first 2 shown]
	ds_read_b128 v[90:93], v76 offset:1936
	v_mul_f64 v[10:11], v[10:11], v[198:199]
	v_fma_f64 v[8:9], v[8:9], v[200:201], -v[10:11]
	s_waitcnt vmcnt(2) lgkmcnt(0)
	v_mul_f64 v[6:7], v[90:91], v[2:3]
	v_mul_f64 v[2:3], v[92:93], v[2:3]
	s_waitcnt vmcnt(0)
	v_fmac_f64_e32 v[6:7], v[92:93], v[14:15]
	v_add_f64 v[6:7], v[4:5], v[6:7]
	buffer_load_dword v212, off, s[0:3], 0 offset:952
	buffer_load_dword v213, off, s[0:3], 0 offset:956
	;; [unrolled: 1-line block ×4, first 2 shown]
	ds_read_b128 v[208:211], v76 offset:1952
	v_fma_f64 v[2:3], v[90:91], v[14:15], -v[2:3]
	s_waitcnt vmcnt(2) lgkmcnt(0)
	v_mul_f64 v[98:99], v[208:209], v[212:213]
	s_waitcnt vmcnt(0)
	v_fmac_f64_e32 v[98:99], v[210:211], v[4:5]
	v_add_f64 v[102:103], v[6:7], v[98:99]
	buffer_load_dword v7, off, s[0:3], 0 offset:972
	buffer_load_dword v6, off, s[0:3], 0 offset:968
	buffer_load_dword v219, off, s[0:3], 0 offset:964
	buffer_load_dword v218, off, s[0:3], 0 offset:960
	ds_read_b128 v[98:101], v76 offset:1968
	buffer_load_dword v220, off, s[0:3], 0 offset:984
	buffer_load_dword v221, off, s[0:3], 0 offset:988
	buffer_load_dword v222, off, s[0:3], 0 offset:976
	buffer_load_dword v223, off, s[0:3], 0 offset:980
	s_waitcnt vmcnt(6) lgkmcnt(0)
	v_mul_f64 v[104:105], v[98:99], v[6:7]
	s_waitcnt vmcnt(4)
	v_fmac_f64_e32 v[104:105], v[100:101], v[218:219]
	v_add_f64 v[106:107], v[102:103], v[104:105]
	ds_read_b128 v[102:105], v76 offset:1984
	buffer_load_dword v225, off, s[0:3], 0 offset:1004
	buffer_load_dword v224, off, s[0:3], 0 offset:1000
	buffer_load_dword v227, off, s[0:3], 0 offset:996
	buffer_load_dword v226, off, s[0:3], 0 offset:992
	s_waitcnt vmcnt(6) lgkmcnt(0)
	v_mul_f64 v[108:109], v[102:103], v[220:221]
	s_waitcnt vmcnt(4)
	v_fmac_f64_e32 v[108:109], v[104:105], v[222:223]
	v_add_f64 v[110:111], v[106:107], v[108:109]
	;; [unrolled: 10-line block ×4, first 2 shown]
	ds_read_b128 v[114:117], v76 offset:2032
	v_accvgpr_read_b32 v76, a236
	v_accvgpr_read_b32 v77, a237
	s_waitcnt vmcnt(2) lgkmcnt(0)
	v_mul_f64 v[58:59], v[114:115], v[234:235]
	s_waitcnt vmcnt(0)
	v_fmac_f64_e32 v[58:59], v[116:117], v[236:237]
	v_add_f64 v[58:59], v[0:1], v[58:59]
	v_accvgpr_read_b32 v0, a234
	v_accvgpr_read_b32 v1, a235
	v_add_f64 v[0:1], v[0:1], 0
	v_add_f64 v[0:1], v[0:1], v[76:77]
	;; [unrolled: 1-line block ×24, first 2 shown]
	buffer_load_dword v252, off, s[0:3], 0 offset:64
	buffer_load_dword v253, off, s[0:3], 0 offset:68
	;; [unrolled: 1-line block ×4, first 2 shown]
	v_add_f64 v[0:1], v[0:1], v[18:19]
	v_add_f64 v[0:1], v[0:1], v[144:145]
	;; [unrolled: 1-line block ×5, first 2 shown]
	v_accvgpr_read_b32 v16, a194
	v_accvgpr_read_b32 v12, a198
	;; [unrolled: 1-line block ×5, first 2 shown]
	v_mul_f64 v[12:13], v[18:19], v[12:13]
	v_accvgpr_read_b32 v18, a200
	v_add_f64 v[0:1], v[254:255], v[24:25]
	v_accvgpr_read_b32 v17, a195
	v_accvgpr_read_b32 v19, a201
	v_add_f64 v[0:1], v[0:1], v[74:75]
	v_fma_f64 v[12:13], v[16:17], v[18:19], -v[12:13]
	v_add_f64 v[0:1], v[0:1], v[12:13]
	v_accvgpr_read_b32 v16, a202
	v_accvgpr_read_b32 v12, a210
	;; [unrolled: 1-line block ×5, first 2 shown]
	v_mul_f64 v[12:13], v[18:19], v[12:13]
	v_accvgpr_read_b32 v18, a214
	v_accvgpr_read_b32 v17, a203
	;; [unrolled: 1-line block ×3, first 2 shown]
	v_fma_f64 v[12:13], v[16:17], v[18:19], -v[12:13]
	v_add_f64 v[0:1], v[0:1], v[12:13]
	v_accvgpr_read_b32 v16, a206
	v_accvgpr_read_b32 v12, a212
	;; [unrolled: 1-line block ×5, first 2 shown]
	v_mul_f64 v[12:13], v[18:19], v[12:13]
	v_accvgpr_read_b32 v18, a216
	v_accvgpr_read_b32 v17, a207
	;; [unrolled: 1-line block ×3, first 2 shown]
	v_fma_f64 v[12:13], v[16:17], v[18:19], -v[12:13]
	v_add_f64 v[0:1], v[0:1], v[12:13]
	v_accvgpr_read_b32 v12, a218
	v_accvgpr_read_b32 v13, a219
	v_accvgpr_read_b32 v16, a220
	v_mul_f64 v[12:13], v[140:141], v[12:13]
	v_accvgpr_read_b32 v17, a221
	v_fma_f64 v[12:13], v[138:139], v[16:17], -v[12:13]
	v_add_f64 v[0:1], v[0:1], v[12:13]
	v_accvgpr_read_b32 v12, a222
	v_accvgpr_read_b32 v13, a223
	v_accvgpr_read_b32 v16, a224
	v_mul_f64 v[12:13], v[128:129], v[12:13]
	v_accvgpr_read_b32 v17, a225
	;; [unrolled: 7-line block ×4, first 2 shown]
	v_fma_f64 v[12:13], v[146:147], v[16:17], -v[12:13]
	v_add_f64 v[0:1], v[0:1], v[12:13]
	v_mul_f64 v[12:13], v[136:137], v[242:243]
	v_fma_f64 v[12:13], v[134:135], v[142:143], -v[12:13]
	v_add_f64 v[0:1], v[0:1], v[12:13]
	v_mul_f64 v[12:13], v[120:121], v[190:191]
	;; [unrolled: 3-line block ×12, first 2 shown]
	v_fma_f64 v[12:13], v[70:71], v[194:195], -v[12:13]
	v_add_f64 v[0:1], v[0:1], v[12:13]
	v_add_f64 v[0:1], v[0:1], v[8:9]
	v_mul_f64 v[8:9], v[80:81], v[204:205]
	v_fma_f64 v[8:9], v[78:79], v[206:207], -v[8:9]
	v_add_f64 v[0:1], v[0:1], v[8:9]
	v_mul_f64 v[8:9], v[88:89], v[196:197]
	v_fma_f64 v[8:9], v[86:87], v[202:203], -v[8:9]
	v_add_f64 v[0:1], v[0:1], v[8:9]
	v_add_f64 v[0:1], v[0:1], v[2:3]
	v_mul_f64 v[2:3], v[210:211], v[212:213]
	v_fma_f64 v[2:3], v[208:209], v[4:5], -v[2:3]
	v_add_f64 v[0:1], v[0:1], v[2:3]
	v_mul_f64 v[2:3], v[100:101], v[6:7]
	v_fma_f64 v[2:3], v[98:99], v[218:219], -v[2:3]
	;; [unrolled: 3-line block ×6, first 2 shown]
	v_add_f64 v[0:1], v[0:1], v[2:3]
	s_waitcnt vmcnt(2)
	v_add_f64 v[0:1], v[252:253], -v[0:1]
	s_waitcnt vmcnt(0)
	v_add_f64 v[2:3], v[250:251], -v[58:59]
	buffer_store_dword v1, off, s[0:3], 0 offset:68
	buffer_store_dword v0, off, s[0:3], 0 offset:64
	;; [unrolled: 1-line block ×4, first 2 shown]
	v_accvgpr_read_b32 v0, a191
	v_cmp_lt_u32_e32 vcc, 2, v0
	s_and_saveexec_b64 s[4:5], vcc
	s_cbranch_execz .LBB63_405
; %bb.404:
	v_accvgpr_read_b32 v3, a189
	buffer_load_dword v0, v3, s[0:3], 0 offen
	buffer_load_dword v1, v3, s[0:3], 0 offen offset:4
	buffer_load_dword v2, v3, s[0:3], 0 offen offset:8
	s_nop 0
	buffer_load_dword v3, v3, s[0:3], 0 offen offset:12
	v_mov_b32_e32 v4, 0
	v_accvgpr_read_b32 v5, a192
	buffer_store_dword v4, off, s[0:3], 0 offset:48
	buffer_store_dword v4, off, s[0:3], 0 offset:52
	;; [unrolled: 1-line block ×4, first 2 shown]
	s_waitcnt vmcnt(4)
	ds_write_b128 v5, v[0:3]
.LBB63_405:
	s_or_b64 exec, exec, s[4:5]
	s_waitcnt lgkmcnt(0)
	; wave barrier
	s_waitcnt lgkmcnt(0)
	buffer_load_dword v4, off, s[0:3], 0 offset:64
	buffer_load_dword v5, off, s[0:3], 0 offset:68
	;; [unrolled: 1-line block ×54, first 2 shown]
	v_mov_b32_e32 v236, 0
	ds_read_b128 v[126:129], v236 offset:1072
	ds_read_b128 v[130:133], v236 offset:1088
	ds_read_b128 v[134:137], v236 offset:1104
	ds_read_b128 v[140:143], v236 offset:1120
	ds_read_b128 v[146:149], v236 offset:1136
	ds_read_b128 v[150:153], v236 offset:1152
	ds_read_b128 v[158:161], v236 offset:1168
	ds_read_b128 v[162:165], v236 offset:1184
	ds_read_b128 v[166:169], v236 offset:1200
	s_waitcnt vmcnt(50) lgkmcnt(8)
	v_mul_f64 v[16:17], v[126:127], v[6:7]
	v_fmac_f64_e32 v[16:17], v[128:129], v[4:5]
	v_add_f64 v[16:17], v[16:17], 0
	v_mul_f64 v[6:7], v[128:129], v[6:7]
	s_waitcnt vmcnt(46) lgkmcnt(7)
	v_mul_f64 v[18:19], v[130:131], v[2:3]
	v_fmac_f64_e32 v[18:19], v[132:133], v[0:1]
	s_waitcnt vmcnt(44) lgkmcnt(6)
	v_mul_f64 v[46:47], v[134:135], v[242:243]
	v_add_f64 v[16:17], v[16:17], v[18:19]
	s_waitcnt vmcnt(42) lgkmcnt(4)
	v_mul_f64 v[50:51], v[146:147], v[8:9]
	v_mul_f64 v[2:3], v[132:133], v[2:3]
	s_waitcnt vmcnt(40)
	v_fmac_f64_e32 v[50:51], v[148:149], v[14:15]
	v_fma_f64 v[4:5], v[126:127], v[4:5], -v[6:7]
	s_waitcnt vmcnt(38)
	v_mul_f64 v[48:49], v[140:141], v[56:57]
	v_fma_f64 v[0:1], v[130:131], v[0:1], -v[2:3]
	s_waitcnt vmcnt(36) lgkmcnt(2)
	v_mul_f64 v[54:55], v[158:159], v[10:11]
	v_accvgpr_write_b32 a245, v5
	s_waitcnt vmcnt(34)
	v_fmac_f64_e32 v[54:55], v[160:161], v[122:123]
	v_accvgpr_write_b32 a247, v1
	s_waitcnt vmcnt(32)
	v_mul_f64 v[52:53], v[150:151], v[28:29]
	v_accvgpr_write_b32 a244, v4
	s_waitcnt vmcnt(30) lgkmcnt(1)
	v_mul_f64 v[66:67], v[162:163], v[12:13]
	v_accvgpr_write_b32 a246, v0
	s_waitcnt vmcnt(28)
	v_fmac_f64_e32 v[46:47], v[136:137], v[58:59]
	v_add_f64 v[16:17], v[16:17], v[46:47]
	s_waitcnt vmcnt(26)
	v_fmac_f64_e32 v[48:49], v[142:143], v[124:125]
	v_add_f64 v[16:17], v[16:17], v[48:49]
	;; [unrolled: 3-line block ×3, first 2 shown]
	v_add_f64 v[16:17], v[16:17], v[52:53]
	v_add_f64 v[68:69], v[16:17], v[54:55]
	buffer_load_dword v107, off, s[0:3], 0 offset:292
	buffer_load_dword v106, off, s[0:3], 0 offset:288
	;; [unrolled: 1-line block ×62, first 2 shown]
	ds_read_b128 v[170:173], v236 offset:1216
	ds_read_b128 v[174:177], v236 offset:1232
	s_waitcnt vmcnt(62)
	v_fmac_f64_e32 v[66:67], v[164:165], v[138:139]
	v_add_f64 v[66:67], v[68:69], v[66:67]
	s_waitcnt lgkmcnt(2)
	v_mul_f64 v[68:69], v[166:167], v[24:25]
	v_fmac_f64_e32 v[68:69], v[168:169], v[36:37]
	ds_read_b128 v[178:181], v236 offset:1248
	ds_read_b128 v[182:185], v236 offset:1264
	v_add_f64 v[66:67], v[66:67], v[68:69]
	s_waitcnt lgkmcnt(3)
	v_mul_f64 v[68:69], v[170:171], v[42:43]
	v_fmac_f64_e32 v[68:69], v[172:173], v[34:35]
	v_add_f64 v[66:67], v[66:67], v[68:69]
	s_waitcnt lgkmcnt(2)
	v_mul_f64 v[68:69], v[174:175], v[38:39]
	v_fmac_f64_e32 v[68:69], v[176:177], v[40:41]
	ds_read_b128 v[186:189], v236 offset:1280
	ds_read_b128 v[192:195], v236 offset:1296
	v_add_f64 v[66:67], v[66:67], v[68:69]
	s_waitcnt lgkmcnt(3)
	v_mul_f64 v[68:69], v[178:179], v[92:93]
	v_fmac_f64_e32 v[68:69], v[180:181], v[94:95]
	v_add_f64 v[66:67], v[66:67], v[68:69]
	s_waitcnt lgkmcnt(2)
	v_mul_f64 v[68:69], v[182:183], v[154:155]
	v_fmac_f64_e32 v[68:69], v[184:185], v[22:23]
	ds_read_b128 v[196:199], v236 offset:1312
	ds_read_b128 v[200:203], v236 offset:1328
	v_add_f64 v[66:67], v[66:67], v[68:69]
	s_waitcnt vmcnt(58) lgkmcnt(3)
	v_mul_f64 v[68:69], v[186:187], v[190:191]
	s_waitcnt vmcnt(56)
	v_fmac_f64_e32 v[68:69], v[188:189], v[26:27]
	v_add_f64 v[66:67], v[66:67], v[68:69]
	s_waitcnt lgkmcnt(2)
	v_mul_f64 v[68:69], v[192:193], v[62:63]
	v_fmac_f64_e32 v[68:69], v[194:195], v[106:107]
	ds_read_b128 v[204:207], v236 offset:1344
	ds_read_b128 v[212:215], v236 offset:1360
	v_add_f64 v[66:67], v[66:67], v[68:69]
	s_waitcnt vmcnt(50) lgkmcnt(3)
	v_mul_f64 v[68:69], v[196:197], v[116:117]
	s_waitcnt vmcnt(48)
	;; [unrolled: 11-line block ×4, first 2 shown]
	v_fmac_f64_e32 v[68:69], v[218:219], v[98:99]
	v_add_f64 v[66:67], v[66:67], v[68:69]
	s_waitcnt lgkmcnt(2)
	v_mul_f64 v[68:69], v[220:221], v[80:81]
	v_fmac_f64_e32 v[68:69], v[222:223], v[86:87]
	v_add_f64 v[66:67], v[66:67], v[68:69]
	s_waitcnt vmcnt(26) lgkmcnt(1)
	v_mul_f64 v[68:69], v[224:225], v[84:85]
	s_waitcnt vmcnt(24)
	v_fmac_f64_e32 v[68:69], v[226:227], v[90:91]
	v_add_f64 v[66:67], v[66:67], v[68:69]
	s_waitcnt lgkmcnt(0)
	v_mul_f64 v[68:69], v[228:229], v[78:79]
	v_fmac_f64_e32 v[68:69], v[230:231], v[72:73]
	ds_read_b128 v[246:249], v236 offset:1440
	buffer_load_dword v209, off, s[0:3], 0 offset:540
	buffer_load_dword v208, off, s[0:3], 0 offset:536
	;; [unrolled: 1-line block ×4, first 2 shown]
	v_add_f64 v[74:75], v[66:67], v[68:69]
	ds_read_b128 v[66:69], v236 offset:1456
	buffer_load_dword v109, off, s[0:3], 0 offset:556
	buffer_load_dword v108, off, s[0:3], 0 offset:552
	;; [unrolled: 1-line block ×10, first 2 shown]
	s_waitcnt vmcnt(32) lgkmcnt(1)
	v_mul_f64 v[76:77], v[246:247], v[64:65]
	s_waitcnt vmcnt(30)
	v_fmac_f64_e32 v[76:77], v[248:249], v[70:71]
	v_add_f64 v[74:75], v[74:75], v[76:77]
	v_mul_f64 v[12:13], v[164:165], v[12:13]
	v_mul_f64 v[24:25], v[168:169], v[24:25]
	;; [unrolled: 1-line block ×3, first 2 shown]
	s_waitcnt vmcnt(0)
	v_pk_mov_b32 v[144:145], v[118:119], v[118:119] op_sel:[0,1]
	buffer_load_dword v21, off, s[0:3], 0 offset:580
	buffer_load_dword v20, off, s[0:3], 0 offset:576
	;; [unrolled: 1-line block ×4, first 2 shown]
	v_accvgpr_write_b32 a203, v145
	v_accvgpr_write_b32 a202, v144
	s_waitcnt vmcnt(2)
	v_accvgpr_write_b32 a207, v21
	v_accvgpr_write_b32 a206, v20
	s_waitcnt vmcnt(0)
	v_pk_mov_b32 v[232:233], v[118:119], v[118:119] op_sel:[0,1]
	buffer_load_dword v119, off, s[0:3], 0 offset:596
	buffer_load_dword v118, off, s[0:3], 0 offset:592
	ds_read_b128 v[238:241], v236 offset:1472
	buffer_load_dword v4, off, s[0:3], 0 offset:616
	buffer_load_dword v32, off, s[0:3], 0 offset:608
	;; [unrolled: 1-line block ×6, first 2 shown]
	v_accvgpr_write_b32 a204, v232
	s_waitcnt lgkmcnt(0)
	v_mul_f64 v[6:7], v[238:239], v[50:51]
	v_fmac_f64_e32 v[6:7], v[240:241], v[52:53]
	v_accvgpr_write_b32 a205, v233
	s_waitcnt vmcnt(6)
	v_accvgpr_write_b32 a209, v119
	v_accvgpr_write_b32 a208, v118
	s_waitcnt vmcnt(3)
	v_pk_mov_b32 v[128:129], v[4:5], v[4:5] op_sel:[0,1]
	v_mul_f64 v[4:5], v[66:67], v[46:47]
	s_waitcnt vmcnt(0)
	v_pk_mov_b32 v[130:131], v[0:1], v[0:1] op_sel:[0,1]
	buffer_load_dword v1, off, s[0:3], 0 offset:628
	buffer_load_dword v0, off, s[0:3], 0 offset:624
	v_fmac_f64_e32 v[4:5], v[68:69], v[48:49]
	v_add_f64 v[4:5], v[74:75], v[4:5]
	ds_read_b128 v[74:77], v236 offset:1488
	buffer_load_dword v253, off, s[0:3], 0 offset:652
	buffer_load_dword v252, off, s[0:3], 0 offset:648
	;; [unrolled: 1-line block ×4, first 2 shown]
	v_add_f64 v[4:5], v[4:5], v[6:7]
	v_accvgpr_write_b32 a221, v33
	v_accvgpr_write_b32 a220, v32
	s_waitcnt lgkmcnt(0)
	v_mul_f64 v[6:7], v[74:75], v[54:55]
	v_fmac_f64_e32 v[6:7], v[76:77], v[18:19]
	v_add_f64 v[4:5], v[4:5], v[6:7]
	v_accvgpr_write_b32 a219, v129
	v_accvgpr_write_b32 a223, v131
	;; [unrolled: 1-line block ×4, first 2 shown]
	v_mul_f64 v[54:55], v[76:77], v[54:55]
	s_waitcnt vmcnt(4)
	v_pk_mov_b32 v[132:133], v[0:1], v[0:1] op_sel:[0,1]
	v_mul_f64 v[0:1], v[136:137], v[242:243]
	v_fma_f64 v[0:1], v[134:135], v[58:59], -v[0:1]
	v_accvgpr_write_b32 a249, v1
	v_accvgpr_write_b32 a248, v0
	v_mul_f64 v[0:1], v[142:143], v[56:57]
	buffer_load_dword v255, off, s[0:3], 0 offset:684
	buffer_load_dword v245, off, s[0:3], 0 offset:668
	;; [unrolled: 1-line block ×8, first 2 shown]
	ds_read_b128 v[56:59], v236 offset:1504
	v_fma_f64 v[140:141], v[140:141], v[124:125], -v[0:1]
	v_mul_f64 v[0:1], v[148:149], v[8:9]
	v_fma_f64 v[136:137], v[146:147], v[14:15], -v[0:1]
	ds_read_b128 v[146:149], v236 offset:1520
	s_waitcnt lgkmcnt(1)
	v_mul_f64 v[6:7], v[56:57], v[44:45]
	v_fmac_f64_e32 v[6:7], v[58:59], v[60:61]
	v_add_f64 v[4:5], v[4:5], v[6:7]
	v_mul_f64 v[8:9], v[152:153], v[28:29]
	s_waitcnt lgkmcnt(0)
	v_mul_f64 v[6:7], v[146:147], v[234:235]
	v_fmac_f64_e32 v[6:7], v[148:149], v[120:121]
	v_add_f64 v[14:15], v[4:5], v[6:7]
	ds_read_b128 v[4:7], v236 offset:1536
	v_fma_f64 v[134:135], v[150:151], v[30:31], -v[8:9]
	v_mul_f64 v[8:9], v[160:161], v[10:11]
	v_fma_f64 v[126:127], v[158:159], v[122:123], -v[8:9]
	ds_read_b128 v[8:11], v236 offset:1552
	s_waitcnt lgkmcnt(1)
	v_mul_f64 v[28:29], v[4:5], v[208:209]
	v_fmac_f64_e32 v[28:29], v[6:7], v[210:211]
	v_add_f64 v[28:29], v[14:15], v[28:29]
	v_fma_f64 v[124:125], v[162:163], v[138:139], -v[12:13]
	ds_read_b128 v[12:15], v236 offset:1568
	ds_read_b128 v[150:153], v236 offset:1584
	;; [unrolled: 1-line block ×3, first 2 shown]
	s_waitcnt lgkmcnt(3)
	v_mul_f64 v[30:31], v[8:9], v[108:109]
	v_fmac_f64_e32 v[30:31], v[10:11], v[112:113]
	v_fma_f64 v[122:123], v[166:167], v[36:37], -v[24:25]
	s_waitcnt lgkmcnt(2)
	v_mul_f64 v[24:25], v[12:13], v[110:111]
	v_add_f64 v[28:29], v[28:29], v[30:31]
	v_fmac_f64_e32 v[24:25], v[14:15], v[114:115]
	v_add_f64 v[24:25], v[28:29], v[24:25]
	s_waitcnt lgkmcnt(1)
	v_mul_f64 v[28:29], v[150:151], v[144:145]
	ds_read_b128 v[142:145], v236 offset:1632
	v_fmac_f64_e32 v[28:29], v[152:153], v[20:21]
	s_waitcnt lgkmcnt(1)
	v_accvgpr_write_b32 a201, v161
	v_mul_f64 v[30:31], v[172:173], v[42:43]
	v_add_f64 v[24:25], v[24:25], v[28:29]
	v_mul_f64 v[28:29], v[158:159], v[232:233]
	v_accvgpr_write_b32 a200, v160
	v_accvgpr_write_b32 a199, v159
	;; [unrolled: 1-line block ×3, first 2 shown]
	v_fma_f64 v[158:159], v[170:171], v[34:35], -v[30:31]
	ds_read_b128 v[34:37], v236 offset:1616
	buffer_load_dword v1, off, s[0:3], 0 offset:700
	buffer_load_dword v0, off, s[0:3], 0 offset:696
	v_fmac_f64_e32 v[28:29], v[160:161], v[118:119]
	v_add_f64 v[24:25], v[24:25], v[28:29]
	v_mul_f64 v[28:29], v[176:177], v[38:39]
	v_fma_f64 v[172:173], v[174:175], v[40:41], -v[28:29]
	s_waitcnt lgkmcnt(0)
	v_mul_f64 v[28:29], v[34:35], v[128:129]
	v_fmac_f64_e32 v[28:29], v[36:37], v[32:33]
	v_add_f64 v[24:25], v[24:25], v[28:29]
	v_mul_f64 v[28:29], v[180:181], v[92:93]
	v_pk_mov_b32 v[30:31], v[142:143], v[142:143] op_sel:[0,1]
	v_fma_f64 v[92:93], v[178:179], v[94:95], -v[28:29]
	v_pk_mov_b32 v[32:33], v[144:145], v[144:145] op_sel:[0,1]
	v_mul_f64 v[28:29], v[30:31], v[130:131]
	v_accvgpr_write_b32 a217, v37
	v_fmac_f64_e32 v[28:29], v[32:33], v[132:133]
	v_accvgpr_write_b32 a216, v36
	v_accvgpr_write_b32 a215, v35
	;; [unrolled: 1-line block ×3, first 2 shown]
	v_add_f64 v[34:35], v[24:25], v[28:29]
	v_mul_f64 v[24:25], v[184:185], v[154:155]
	v_fma_f64 v[94:95], v[182:183], v[22:23], -v[24:25]
	v_accvgpr_write_b32 a213, v145
	v_accvgpr_write_b32 a212, v144
	;; [unrolled: 1-line block ×4, first 2 shown]
	v_fma_f64 v[32:33], v[204:205], v[104:105], -v[16:17]
	v_accvgpr_write_b32 a197, v153
	v_accvgpr_write_b32 a196, v152
	;; [unrolled: 1-line block ×4, first 2 shown]
	v_mul_f64 v[42:43], v[248:249], v[64:65]
	s_waitcnt vmcnt(7)
	v_accvgpr_write_b32 a238, v244
	v_accvgpr_write_b32 a239, v245
	s_waitcnt vmcnt(5)
	v_accvgpr_write_b32 a242, v242
	v_accvgpr_write_b32 a243, v243
	v_fma_f64 v[248:249], v[246:247], v[70:71], -v[42:43]
	v_mul_f64 v[42:43], v[68:69], v[46:47]
	v_accvgpr_write_b32 a233, v3
	v_accvgpr_write_b32 a232, v2
	s_waitcnt vmcnt(2)
	v_accvgpr_write_b32 a240, v250
	v_mul_f64 v[6:7], v[6:7], v[208:209]
	v_accvgpr_write_b32 a241, v251
	v_accvgpr_write_b32 a230, v252
	;; [unrolled: 1-line block ×5, first 2 shown]
	s_waitcnt vmcnt(0)
	v_pk_mov_b32 v[20:21], v[0:1], v[0:1] op_sel:[0,1]
	buffer_load_dword v138, off, s[0:3], 0 offset:712
	buffer_load_dword v0, off, s[0:3], 0 offset:704
	;; [unrolled: 1-line block ×5, first 2 shown]
	ds_read_b128 v[28:31], v236 offset:1648
	ds_read_b128 v[22:25], v236 offset:1664
	;; [unrolled: 1-line block ×3, first 2 shown]
	buffer_load_dword v1, off, s[0:3], 0 offset:708
	s_waitcnt lgkmcnt(2)
	v_mul_f64 v[36:37], v[28:29], v[252:253]
	v_fmac_f64_e32 v[36:37], v[30:31], v[2:3]
	v_add_f64 v[34:35], v[34:35], v[36:37]
	s_waitcnt lgkmcnt(1)
	v_mul_f64 v[36:37], v[22:23], v[244:245]
	v_fmac_f64_e32 v[36:37], v[24:25], v[242:243]
	ds_read_b128 v[242:245], v236 offset:1696
	v_add_f64 v[34:35], v[34:35], v[36:37]
	s_waitcnt lgkmcnt(1)
	v_mul_f64 v[36:37], v[142:143], v[254:255]
	v_accvgpr_write_b32 a229, v31
	v_fmac_f64_e32 v[36:37], v[144:145], v[250:251]
	v_accvgpr_write_b32 a228, v30
	v_accvgpr_write_b32 a227, v29
	v_accvgpr_write_b32 a226, v28
	v_mul_f64 v[28:29], v[188:189], v[190:191]
	v_add_f64 v[38:39], v[34:35], v[36:37]
	v_mul_f64 v[34:35], v[194:195], v[62:63]
	buffer_load_dword v155, off, s[0:3], 0 offset:732
	buffer_load_dword v154, off, s[0:3], 0 offset:728
	;; [unrolled: 1-line block ×6, first 2 shown]
	v_fma_f64 v[192:193], v[192:193], v[106:107], -v[34:35]
	v_mul_f64 v[34:35], v[198:199], v[116:117]
	v_fma_f64 v[62:63], v[196:197], v[156:157], -v[34:35]
	buffer_load_dword v163, off, s[0:3], 0 offset:740
	buffer_load_dword v162, off, s[0:3], 0 offset:736
	buffer_load_dword v157, off, s[0:3], 0 offset:780
	buffer_load_dword v167, off, s[0:3], 0 offset:764
	buffer_load_dword v166, off, s[0:3], 0 offset:760
	buffer_load_dword v171, off, s[0:3], 0 offset:756
	buffer_load_dword v170, off, s[0:3], 0 offset:752
	buffer_load_dword v156, off, s[0:3], 0 offset:776
	buffer_load_dword v169, off, s[0:3], 0 offset:772
	buffer_load_dword v168, off, s[0:3], 0 offset:768
	buffer_load_dword v164, off, s[0:3], 0 offset:808
	buffer_load_dword v175, off, s[0:3], 0 offset:796
	buffer_load_dword v174, off, s[0:3], 0 offset:792
	buffer_load_dword v177, off, s[0:3], 0 offset:788
	buffer_load_dword v176, off, s[0:3], 0 offset:784
	buffer_load_dword v118, off, s[0:3], 0 offset:800
	buffer_load_dword v165, off, s[0:3], 0 offset:812
	buffer_load_dword v119, off, s[0:3], 0 offset:804
	v_mul_f64 v[34:35], v[202:203], v[100:101]
	v_fma_f64 v[100:101], v[200:201], v[102:103], -v[34:35]
	v_mul_f64 v[34:35], v[218:219], v[96:97]
	v_fma_f64 v[98:99], v[216:217], v[98:99], -v[34:35]
	;; [unrolled: 2-line block ×4, first 2 shown]
	buffer_load_dword v97, off, s[0:3], 0 offset:828
	buffer_load_dword v96, off, s[0:3], 0 offset:824
	;; [unrolled: 1-line block ×12, first 2 shown]
	v_fma_f64 v[80:81], v[224:225], v[90:91], -v[34:35]
	buffer_load_dword v195, off, s[0:3], 0 offset:876
	buffer_load_dword v194, off, s[0:3], 0 offset:872
	;; [unrolled: 1-line block ×12, first 2 shown]
	ds_read_b128 v[128:131], v236 offset:1712
	s_waitcnt lgkmcnt(1)
	v_mul_f64 v[40:41], v[242:243], v[20:21]
	buffer_load_dword v65, off, s[0:3], 0 offset:924
	buffer_load_dword v64, off, s[0:3], 0 offset:920
	;; [unrolled: 1-line block ×4, first 2 shown]
	ds_read_b128 v[150:153], v236 offset:1728
	v_accvgpr_write_b32 a237, v25
	v_accvgpr_write_b32 a236, v24
	;; [unrolled: 1-line block ×4, first 2 shown]
	v_mul_f64 v[24:25], v[214:215], v[82:83]
	v_fma_f64 v[28:29], v[212:213], v[88:89], -v[24:25]
	v_fma_f64 v[212:213], v[66:67], v[48:49], -v[42:43]
	v_mul_f64 v[34:35], v[230:231], v[78:79]
	v_fma_f64 v[78:79], v[228:229], v[72:73], -v[34:35]
	ds_read_b128 v[34:37], v236 offset:1792
	v_mul_f64 v[2:3], v[58:59], v[44:45]
	v_fma_f64 v[22:23], v[56:57], v[60:61], -v[2:3]
	ds_read_b128 v[58:61], v236 offset:1808
	v_pk_mov_b32 v[250:251], v[20:21], v[20:21] op_sel:[0,1]
	v_fma_f64 v[24:25], v[74:75], v[18:19], -v[54:55]
	v_fma_f64 v[30:31], v[4:5], v[210:211], -v[6:7]
	ds_read_b128 v[74:77], v236 offset:1872
	ds_read_b128 v[82:85], v236 offset:1904
	;; [unrolled: 1-line block ×3, first 2 shown]
	v_mul_f64 v[6:7], v[14:15], v[110:111]
	v_fma_f64 v[14:15], v[12:13], v[114:115], -v[6:7]
	v_accvgpr_read_b32 v44, a246
	v_accvgpr_read_b32 v45, a247
	s_waitcnt vmcnt(54)
	v_fmac_f64_e32 v[40:41], v[244:245], v[232:233]
	v_add_f64 v[38:39], v[38:39], v[40:41]
	s_waitcnt vmcnt(53) lgkmcnt(6)
	v_mul_f64 v[40:41], v[128:129], v[138:139]
	s_waitcnt vmcnt(52)
	v_fmac_f64_e32 v[40:41], v[130:131], v[0:1]
	v_add_f64 v[70:71], v[38:39], v[40:41]
	ds_read_b128 v[38:41], v236 offset:1744
	v_pk_mov_b32 v[252:253], v[0:1], v[0:1] op_sel:[0,1]
	s_waitcnt vmcnt(50) lgkmcnt(6)
	v_mul_f64 v[46:47], v[150:151], v[154:155]
	s_waitcnt vmcnt(48)
	v_fmac_f64_e32 v[46:47], v[152:153], v[160:161]
	v_add_f64 v[66:67], v[70:71], v[46:47]
	v_mul_f64 v[46:47], v[240:241], v[50:51]
	v_fma_f64 v[26:27], v[238:239], v[52:53], -v[46:47]
	ds_read_b128 v[46:49], v236 offset:1760
	s_waitcnt vmcnt(46) lgkmcnt(1)
	v_mul_f64 v[50:51], v[38:39], v[190:191]
	s_waitcnt vmcnt(44)
	v_fmac_f64_e32 v[50:51], v[40:41], v[162:163]
	v_add_f64 v[66:67], v[66:67], v[50:51]
	ds_read_b128 v[50:53], v236 offset:1776
	s_waitcnt vmcnt(41) lgkmcnt(1)
	v_mul_f64 v[68:69], v[46:47], v[166:167]
	s_waitcnt vmcnt(39)
	v_fmac_f64_e32 v[68:69], v[48:49], v[170:171]
	v_add_f64 v[66:67], v[66:67], v[68:69]
	;; [unrolled: 6-line block ×3, first 2 shown]
	s_waitcnt vmcnt(33)
	v_mul_f64 v[66:67], v[34:35], v[174:175]
	s_waitcnt vmcnt(31)
	v_fmac_f64_e32 v[66:67], v[36:37], v[176:177]
	v_add_f64 v[2:3], v[2:3], v[66:67]
	s_waitcnt vmcnt(29)
	v_mul_f64 v[66:67], v[58:59], v[164:165]
	s_waitcnt vmcnt(28)
	v_fmac_f64_e32 v[66:67], v[60:61], v[118:119]
	v_add_f64 v[2:3], v[2:3], v[66:67]
	v_mul_f64 v[66:67], v[148:149], v[234:235]
	v_fma_f64 v[20:21], v[146:147], v[120:121], -v[66:67]
	ds_read_b128 v[66:69], v236 offset:1840
	ds_read_b128 v[70:73], v236 offset:1856
	;; [unrolled: 1-line block ×3, first 2 shown]
	buffer_load_dword v208, off, s[0:3], 0 offset:936
	buffer_load_dword v209, off, s[0:3], 0 offset:940
	;; [unrolled: 1-line block ×4, first 2 shown]
	s_waitcnt vmcnt(30) lgkmcnt(3)
	v_mul_f64 v[18:19], v[238:239], v[96:97]
	s_waitcnt vmcnt(28)
	v_fmac_f64_e32 v[18:19], v[240:241], v[180:181]
	s_waitcnt vmcnt(26) lgkmcnt(2)
	v_mul_f64 v[4:5], v[66:67], v[182:183]
	v_add_f64 v[2:3], v[2:3], v[18:19]
	s_waitcnt vmcnt(24)
	v_fmac_f64_e32 v[4:5], v[68:69], v[186:187]
	v_add_f64 v[2:3], v[2:3], v[4:5]
	s_waitcnt vmcnt(22) lgkmcnt(1)
	v_mul_f64 v[4:5], v[70:71], v[184:185]
	s_waitcnt vmcnt(20)
	v_fmac_f64_e32 v[4:5], v[72:73], v[188:189]
	v_add_f64 v[2:3], v[2:3], v[4:5]
	v_mul_f64 v[4:5], v[10:11], v[108:109]
	v_fma_f64 v[16:17], v[8:9], v[112:113], -v[4:5]
	s_waitcnt vmcnt(18)
	v_mul_f64 v[4:5], v[74:75], v[194:195]
	s_waitcnt vmcnt(16)
	v_fmac_f64_e32 v[4:5], v[76:77], v[196:197]
	v_add_f64 v[2:3], v[2:3], v[4:5]
	s_waitcnt vmcnt(13) lgkmcnt(0)
	v_mul_f64 v[4:5], v[146:147], v[200:201]
	s_waitcnt vmcnt(11)
	v_fmac_f64_e32 v[4:5], v[148:149], v[202:203]
	v_add_f64 v[2:3], v[2:3], v[4:5]
	s_waitcnt vmcnt(9)
	v_mul_f64 v[4:5], v[82:83], v[90:91]
	s_waitcnt vmcnt(8)
	v_fmac_f64_e32 v[4:5], v[84:85], v[198:199]
	v_add_f64 v[2:3], v[2:3], v[4:5]
	s_waitcnt vmcnt(6)
	v_mul_f64 v[4:5], v[86:87], v[64:65]
	s_waitcnt vmcnt(4)
	v_fmac_f64_e32 v[4:5], v[88:89], v[206:207]
	v_add_f64 v[6:7], v[2:3], v[4:5]
	ds_read_b128 v[2:5], v236 offset:1936
	buffer_load_dword v19, off, s[0:3], 0 offset:956
	buffer_load_dword v18, off, s[0:3], 0 offset:952
	;; [unrolled: 1-line block ×4, first 2 shown]
	s_waitcnt vmcnt(6) lgkmcnt(0)
	v_mul_f64 v[8:9], v[2:3], v[208:209]
	s_waitcnt vmcnt(4)
	v_fmac_f64_e32 v[8:9], v[4:5], v[210:211]
	v_add_f64 v[10:11], v[6:7], v[8:9]
	ds_read_b128 v[6:9], v236 offset:1952
	buffer_load_dword v216, off, s[0:3], 0 offset:968
	buffer_load_dword v217, off, s[0:3], 0 offset:972
	;; [unrolled: 1-line block ×4, first 2 shown]
	v_mul_f64 v[4:5], v[4:5], v[208:209]
	v_fma_f64 v[2:3], v[2:3], v[210:211], -v[4:5]
	s_waitcnt vmcnt(6) lgkmcnt(0)
	v_mul_f64 v[12:13], v[6:7], v[18:19]
	s_waitcnt vmcnt(4)
	v_fmac_f64_e32 v[12:13], v[8:9], v[214:215]
	v_add_f64 v[102:103], v[10:11], v[12:13]
	ds_read_b128 v[10:13], v236 offset:1968
	buffer_load_dword v221, off, s[0:3], 0 offset:988
	buffer_load_dword v220, off, s[0:3], 0 offset:984
	buffer_load_dword v223, off, s[0:3], 0 offset:980
	buffer_load_dword v222, off, s[0:3], 0 offset:976
	s_waitcnt vmcnt(6) lgkmcnt(0)
	v_mul_f64 v[104:105], v[10:11], v[216:217]
	s_waitcnt vmcnt(4)
	v_fmac_f64_e32 v[104:105], v[12:13], v[218:219]
	v_add_f64 v[106:107], v[102:103], v[104:105]
	ds_read_b128 v[102:105], v236 offset:1984
	buffer_load_dword v224, off, s[0:3], 0 offset:1000
	buffer_load_dword v225, off, s[0:3], 0 offset:1004
	buffer_load_dword v226, off, s[0:3], 0 offset:992
	buffer_load_dword v227, off, s[0:3], 0 offset:996
	;; [unrolled: 10-line block ×4, first 2 shown]
	s_waitcnt vmcnt(6) lgkmcnt(0)
	v_mul_f64 v[116:117], v[110:111], v[228:229]
	s_waitcnt vmcnt(4)
	v_fmac_f64_e32 v[116:117], v[112:113], v[230:231]
	v_add_f64 v[0:1], v[114:115], v[116:117]
	ds_read_b128 v[114:117], v236 offset:2032
	s_waitcnt vmcnt(2) lgkmcnt(0)
	v_mul_f64 v[132:133], v[114:115], v[234:235]
	s_waitcnt vmcnt(0)
	v_fmac_f64_e32 v[132:133], v[116:117], v[246:247]
	v_add_f64 v[42:43], v[0:1], v[132:133]
	v_accvgpr_read_b32 v0, a244
	v_accvgpr_read_b32 v1, a245
	v_add_f64 v[0:1], v[0:1], 0
	v_add_f64 v[0:1], v[0:1], v[44:45]
	v_accvgpr_read_b32 v44, a248
	v_accvgpr_read_b32 v45, a249
	v_add_f64 v[0:1], v[0:1], v[44:45]
	v_add_f64 v[0:1], v[0:1], v[140:141]
	;; [unrolled: 1-line block ×28, first 2 shown]
	buffer_load_dword v20, off, s[0:3], 0 offset:48
	buffer_load_dword v21, off, s[0:3], 0 offset:52
	v_add_f64 v[0:1], v[0:1], v[16:17]
	buffer_load_dword v16, off, s[0:3], 0 offset:56
	buffer_load_dword v17, off, s[0:3], 0 offset:60
	v_add_f64 v[0:1], v[0:1], v[14:15]
	v_accvgpr_read_b32 v22, a194
	v_accvgpr_read_b32 v14, a202
	v_accvgpr_read_b32 v24, a196
	v_accvgpr_read_b32 v25, a197
	v_accvgpr_read_b32 v15, a203
	v_mul_f64 v[14:15], v[24:25], v[14:15]
	v_accvgpr_read_b32 v24, a206
	v_accvgpr_read_b32 v23, a195
	v_accvgpr_read_b32 v25, a207
	v_fma_f64 v[14:15], v[22:23], v[24:25], -v[14:15]
	v_add_f64 v[0:1], v[0:1], v[14:15]
	v_accvgpr_read_b32 v22, a198
	v_accvgpr_read_b32 v14, a204
	v_accvgpr_read_b32 v24, a200
	v_accvgpr_read_b32 v25, a201
	v_accvgpr_read_b32 v15, a205
	v_mul_f64 v[14:15], v[24:25], v[14:15]
	v_accvgpr_read_b32 v24, a208
	v_accvgpr_read_b32 v23, a199
	v_accvgpr_read_b32 v25, a209
	v_fma_f64 v[14:15], v[22:23], v[24:25], -v[14:15]
	;; [unrolled: 11-line block ×6, first 2 shown]
	v_accvgpr_read_b32 v22, a240
	v_add_f64 v[0:1], v[0:1], v[14:15]
	v_mul_f64 v[14:15], v[144:145], v[254:255]
	v_accvgpr_read_b32 v23, a241
	v_fma_f64 v[14:15], v[142:143], v[22:23], -v[14:15]
	v_add_f64 v[0:1], v[0:1], v[14:15]
	v_mul_f64 v[14:15], v[244:245], v[250:251]
	v_fma_f64 v[14:15], v[242:243], v[232:233], -v[14:15]
	v_add_f64 v[0:1], v[0:1], v[14:15]
	v_mul_f64 v[14:15], v[130:131], v[138:139]
	;; [unrolled: 3-line block ×15, first 2 shown]
	v_fma_f64 v[14:15], v[86:87], v[206:207], -v[14:15]
	v_add_f64 v[0:1], v[0:1], v[14:15]
	v_add_f64 v[0:1], v[0:1], v[2:3]
	v_mul_f64 v[2:3], v[8:9], v[18:19]
	v_fma_f64 v[2:3], v[6:7], v[214:215], -v[2:3]
	v_add_f64 v[0:1], v[0:1], v[2:3]
	v_mul_f64 v[2:3], v[12:13], v[216:217]
	v_fma_f64 v[2:3], v[10:11], v[218:219], -v[2:3]
	;; [unrolled: 3-line block ×6, first 2 shown]
	v_add_f64 v[0:1], v[0:1], v[2:3]
	s_waitcnt vmcnt(2)
	v_add_f64 v[0:1], v[20:21], -v[0:1]
	s_waitcnt vmcnt(0)
	v_add_f64 v[2:3], v[16:17], -v[42:43]
	buffer_store_dword v1, off, s[0:3], 0 offset:52
	buffer_store_dword v0, off, s[0:3], 0 offset:48
	buffer_store_dword v3, off, s[0:3], 0 offset:60
	buffer_store_dword v2, off, s[0:3], 0 offset:56
	v_accvgpr_read_b32 v0, a191
	v_cmp_lt_u32_e32 vcc, 1, v0
	s_and_saveexec_b64 s[4:5], vcc
	s_cbranch_execz .LBB63_407
; %bb.406:
	v_accvgpr_read_b32 v3, a190
	buffer_load_dword v0, v3, s[0:3], 0 offen
	buffer_load_dword v1, v3, s[0:3], 0 offen offset:4
	buffer_load_dword v2, v3, s[0:3], 0 offen offset:8
	s_nop 0
	buffer_load_dword v3, v3, s[0:3], 0 offen offset:12
	v_accvgpr_read_b32 v4, a192
	buffer_store_dword v236, off, s[0:3], 0 offset:32
	buffer_store_dword v236, off, s[0:3], 0 offset:36
	;; [unrolled: 1-line block ×4, first 2 shown]
	s_waitcnt vmcnt(4)
	ds_write_b128 v4, v[0:3]
.LBB63_407:
	s_or_b64 exec, exec, s[4:5]
	s_waitcnt lgkmcnt(0)
	; wave barrier
	s_waitcnt lgkmcnt(0)
	buffer_load_dword v2, off, s[0:3], 0 offset:48
	buffer_load_dword v3, off, s[0:3], 0 offset:52
	;; [unrolled: 1-line block ×42, first 2 shown]
	ds_read_b128 v[120:123], v236 offset:1056
	ds_read_b128 v[128:131], v236 offset:1072
	;; [unrolled: 1-line block ×10, first 2 shown]
	buffer_load_dword v235, off, s[0:3], 0 offset:196
	buffer_load_dword v234, off, s[0:3], 0 offset:192
	ds_read_b128 v[124:127], v236 offset:1216
	buffer_load_dword v133, off, s[0:3], 0 offset:252
	buffer_load_dword v132, off, s[0:3], 0 offset:248
	;; [unrolled: 1-line block ×6, first 2 shown]
	s_waitcnt vmcnt(46) lgkmcnt(10)
	v_mul_f64 v[6:7], v[120:121], v[18:19]
	v_fmac_f64_e32 v[6:7], v[122:123], v[2:3]
	v_add_f64 v[6:7], v[6:7], 0
	s_waitcnt vmcnt(42) lgkmcnt(9)
	v_mul_f64 v[10:11], v[128:129], v[4:5]
	v_fmac_f64_e32 v[10:11], v[130:131], v[8:9]
	s_waitcnt vmcnt(40) lgkmcnt(8)
	v_mul_f64 v[34:35], v[134:135], v[0:1]
	v_add_f64 v[6:7], v[6:7], v[10:11]
	s_waitcnt vmcnt(38) lgkmcnt(6)
	v_mul_f64 v[40:41], v[142:143], v[90:91]
	v_mul_f64 v[0:1], v[136:137], v[0:1]
	s_waitcnt vmcnt(36)
	v_fmac_f64_e32 v[40:41], v[144:145], v[88:89]
	s_waitcnt vmcnt(34)
	v_mul_f64 v[38:39], v[138:139], v[238:239]
	s_waitcnt vmcnt(32) lgkmcnt(4)
	v_mul_f64 v[48:49], v[156:157], v[254:255]
	s_waitcnt vmcnt(30)
	v_fmac_f64_e32 v[48:49], v[158:159], v[244:245]
	s_waitcnt vmcnt(28)
	v_mul_f64 v[46:47], v[152:153], v[250:251]
	s_waitcnt vmcnt(26) lgkmcnt(2)
	v_mul_f64 v[52:53], v[168:169], v[232:233]
	s_waitcnt vmcnt(23)
	v_mul_f64 v[50:51], v[160:161], v[190:191]
	s_waitcnt vmcnt(21) lgkmcnt(1)
	v_mul_f64 v[78:79], v[14:15], v[242:243]
	s_waitcnt vmcnt(19)
	v_fmac_f64_e32 v[34:35], v[136:137], v[240:241]
	v_add_f64 v[6:7], v[6:7], v[34:35]
	s_waitcnt vmcnt(17)
	v_fmac_f64_e32 v[38:39], v[140:141], v[80:81]
	v_add_f64 v[6:7], v[6:7], v[38:39]
	;; [unrolled: 3-line block ×3, first 2 shown]
	v_add_f64 v[6:7], v[6:7], v[46:47]
	s_waitcnt vmcnt(13)
	v_fmac_f64_e32 v[50:51], v[162:163], v[32:33]
	v_add_f64 v[6:7], v[6:7], v[48:49]
	s_waitcnt vmcnt(12)
	v_fmac_f64_e32 v[52:53], v[170:171], v[36:37]
	v_add_f64 v[6:7], v[6:7], v[50:51]
	v_add_f64 v[6:7], v[6:7], v[52:53]
	buffer_load_dword v21, off, s[0:3], 0 offset:228
	buffer_load_dword v20, off, s[0:3], 0 offset:224
	;; [unrolled: 1-line block ×74, first 2 shown]
	ds_read_b128 v[172:175], v236 offset:1232
	ds_read_b128 v[176:179], v236 offset:1248
	s_waitcnt vmcnt(62)
	v_fmac_f64_e32 v[78:79], v[16:17], v[234:235]
	s_waitcnt lgkmcnt(2)
	v_mul_f64 v[10:11], v[124:125], v[68:69]
	v_add_f64 v[6:7], v[6:7], v[78:79]
	v_fmac_f64_e32 v[10:11], v[126:127], v[188:189]
	ds_read_b128 v[180:183], v236 offset:1264
	ds_read_b128 v[184:187], v236 offset:1280
	v_add_f64 v[6:7], v[6:7], v[10:11]
	s_waitcnt lgkmcnt(3)
	v_mul_f64 v[10:11], v[172:173], v[110:111]
	v_fmac_f64_e32 v[10:11], v[174:175], v[20:21]
	v_add_f64 v[6:7], v[6:7], v[10:11]
	s_waitcnt lgkmcnt(2)
	v_mul_f64 v[10:11], v[176:177], v[132:133]
	v_fmac_f64_e32 v[10:11], v[178:179], v[12:13]
	ds_read_b128 v[192:195], v236 offset:1296
	ds_read_b128 v[196:199], v236 offset:1312
	v_add_f64 v[6:7], v[6:7], v[10:11]
	s_waitcnt lgkmcnt(3)
	v_mul_f64 v[10:11], v[180:181], v[22:23]
	v_fmac_f64_e32 v[10:11], v[182:183], v[26:27]
	v_add_f64 v[6:7], v[6:7], v[10:11]
	s_waitcnt lgkmcnt(2)
	v_mul_f64 v[10:11], v[184:185], v[148:149]
	v_fmac_f64_e32 v[10:11], v[186:187], v[150:151]
	ds_read_b128 v[200:203], v236 offset:1328
	ds_read_b128 v[204:207], v236 offset:1344
	v_add_f64 v[6:7], v[6:7], v[10:11]
	s_waitcnt vmcnt(58) lgkmcnt(3)
	v_mul_f64 v[10:11], v[192:193], v[30:31]
	s_waitcnt vmcnt(56)
	v_fmac_f64_e32 v[10:11], v[194:195], v[44:45]
	v_add_f64 v[6:7], v[6:7], v[10:11]
	s_waitcnt lgkmcnt(2)
	v_mul_f64 v[10:11], v[196:197], v[106:107]
	v_fmac_f64_e32 v[10:11], v[198:199], v[108:109]
	ds_read_b128 v[212:215], v236 offset:1360
	ds_read_b128 v[216:219], v236 offset:1376
	v_add_f64 v[6:7], v[6:7], v[10:11]
	s_waitcnt vmcnt(50) lgkmcnt(3)
	v_mul_f64 v[10:11], v[200:201], v[112:113]
	s_waitcnt vmcnt(48)
	;; [unrolled: 11-line block ×4, first 2 shown]
	v_fmac_f64_e32 v[10:11], v[222:223], v[98:99]
	v_add_f64 v[6:7], v[6:7], v[10:11]
	s_waitcnt lgkmcnt(2)
	v_mul_f64 v[10:11], v[224:225], v[34:35]
	v_fmac_f64_e32 v[10:11], v[226:227], v[84:85]
	v_add_f64 v[6:7], v[6:7], v[10:11]
	s_waitcnt vmcnt(26) lgkmcnt(1)
	v_mul_f64 v[10:11], v[228:229], v[94:95]
	s_waitcnt vmcnt(24)
	v_fmac_f64_e32 v[10:11], v[230:231], v[92:93]
	v_add_f64 v[6:7], v[6:7], v[10:11]
	s_waitcnt lgkmcnt(0)
	v_mul_f64 v[10:11], v[246:247], v[56:57]
	v_fmac_f64_e32 v[10:11], v[248:249], v[66:67]
	v_add_f64 v[6:7], v[6:7], v[10:11]
	v_mul_f64 v[10:11], v[122:123], v[18:19]
	v_fma_f64 v[2:3], v[120:121], v[2:3], -v[10:11]
	v_accvgpr_write_b32 a243, v3
	ds_read_b128 v[38:41], v236 offset:1456
	buffer_load_dword v209, off, s[0:3], 0 offset:556
	buffer_load_dword v208, off, s[0:3], 0 offset:552
	;; [unrolled: 1-line block ×8, first 2 shown]
	v_accvgpr_write_b32 a242, v2
	v_mul_f64 v[2:3], v[130:131], v[4:5]
	buffer_load_dword v5, off, s[0:3], 0 offset:588
	buffer_load_dword v4, off, s[0:3], 0 offset:584
	v_fma_f64 v[2:3], v[128:129], v[8:9], -v[2:3]
	v_accvgpr_write_b32 a245, v3
	v_fma_f64 v[252:253], v[134:135], v[240:241], -v[0:1]
	v_mul_f64 v[0:1], v[140:141], v[238:239]
	v_accvgpr_write_b32 a244, v2
	v_fma_f64 v[238:239], v[138:139], v[80:81], -v[0:1]
	v_mul_f64 v[18:19], v[158:159], v[254:255]
	v_fma_f64 v[254:255], v[156:157], v[244:245], -v[18:19]
	v_mul_f64 v[18:19], v[162:163], v[190:191]
	;; [unrolled: 2-line block ×3, first 2 shown]
	v_mul_f64 v[18:19], v[170:171], v[232:233]
	v_fma_f64 v[242:243], v[14:15], v[234:235], -v[16:17]
	v_mul_f64 v[16:17], v[126:127], v[68:69]
	v_mul_f64 v[34:35], v[226:227], v[34:35]
	s_waitcnt vmcnt(0)
	v_pk_mov_b32 v[122:123], v[4:5], v[4:5] op_sel:[0,1]
	buffer_load_dword v25, off, s[0:3], 0 offset:580
	buffer_load_dword v24, off, s[0:3], 0 offset:576
	;; [unrolled: 1-line block ×6, first 2 shown]
	v_accvgpr_write_b32 a199, v123
	v_accvgpr_write_b32 a198, v122
	s_waitcnt vmcnt(4)
	v_accvgpr_write_b32 a201, v25
	v_accvgpr_write_b32 a200, v24
	s_waitcnt vmcnt(2)
	v_pk_mov_b32 v[130:131], v[4:5], v[4:5] op_sel:[0,1]
	buffer_load_dword v2, off, s[0:3], 0 offset:632
	buffer_load_dword v5, off, s[0:3], 0 offset:620
	;; [unrolled: 1-line block ×10, first 2 shown]
	v_accvgpr_write_b32 a207, v131
	v_accvgpr_write_b32 a206, v130
	s_waitcnt vmcnt(10)
	v_accvgpr_write_b32 a209, v55
	v_accvgpr_write_b32 a208, v54
	s_waitcnt vmcnt(5)
	v_accvgpr_write_b32 a225, v119
	v_accvgpr_write_b32 a224, v118
	v_pk_mov_b32 v[128:129], v[4:5], v[4:5] op_sel:[0,1]
	s_waitcnt vmcnt(2)
	v_accvgpr_write_b32 a223, v121
	s_waitcnt vmcnt(0)
	v_pk_mov_b32 v[134:135], v[0:1], v[0:1] op_sel:[0,1]
	buffer_load_dword v1, off, s[0:3], 0 offset:644
	buffer_load_dword v0, off, s[0:3], 0 offset:640
	ds_read_b128 v[78:81], v236 offset:1472
	v_accvgpr_write_b32 a222, v120
	v_accvgpr_write_b32 a219, v129
	;; [unrolled: 1-line block ×7, first 2 shown]
	s_waitcnt vmcnt(0)
	v_pk_mov_b32 v[136:137], v[0:1], v[0:1] op_sel:[0,1]
	s_waitcnt lgkmcnt(1)
	v_mul_f64 v[0:1], v[38:39], v[74:75]
	v_fmac_f64_e32 v[0:1], v[40:41], v[76:77]
	v_add_f64 v[4:5], v[6:7], v[0:1]
	buffer_load_dword v0, off, s[0:3], 0 offset:664
	buffer_load_dword v1, off, s[0:3], 0 offset:668
	;; [unrolled: 1-line block ×4, first 2 shown]
	ds_read_b128 v[48:51], v236 offset:1488
	v_accvgpr_write_b32 a233, v137
	v_accvgpr_write_b32 a232, v136
	v_mul_f64 v[40:41], v[40:41], v[74:75]
	s_waitcnt vmcnt(2)
	v_pk_mov_b32 v[138:139], v[0:1], v[0:1] op_sel:[0,1]
	s_waitcnt vmcnt(0)
	v_pk_mov_b32 v[140:141], v[6:7], v[6:7] op_sel:[0,1]
	s_waitcnt lgkmcnt(1)
	v_mul_f64 v[6:7], v[78:79], v[46:47]
	v_fmac_f64_e32 v[6:7], v[80:81], v[28:29]
	v_mul_f64 v[0:1], v[144:145], v[90:91]
	v_add_f64 v[8:9], v[4:5], v[6:7]
	v_mul_f64 v[4:5], v[154:155], v[250:251]
	v_fma_f64 v[240:241], v[142:143], v[88:89], -v[0:1]
	v_fma_f64 v[250:251], v[152:153], v[42:43], -v[4:5]
	ds_read_b128 v[4:7], v236 offset:1504
	ds_read_b128 v[152:155], v236 offset:1520
	buffer_load_dword v1, off, s[0:3], 0 offset:684
	buffer_load_dword v0, off, s[0:3], 0 offset:680
	;; [unrolled: 1-line block ×4, first 2 shown]
	s_waitcnt lgkmcnt(2)
	v_mul_f64 v[10:11], v[48:49], v[58:59]
	v_fmac_f64_e32 v[10:11], v[50:51], v[52:53]
	ds_read_b128 v[156:159], v236 offset:1536
	ds_read_b128 v[88:91], v236 offset:1568
	v_add_f64 v[8:9], v[8:9], v[10:11]
	s_waitcnt lgkmcnt(3)
	v_mul_f64 v[10:11], v[4:5], v[70:71]
	v_fmac_f64_e32 v[10:11], v[6:7], v[60:61]
	v_add_f64 v[8:9], v[8:9], v[10:11]
	s_waitcnt lgkmcnt(2)
	v_mul_f64 v[10:11], v[152:153], v[62:63]
	v_fmac_f64_e32 v[10:11], v[154:155], v[64:65]
	;; [unrolled: 4-line block ×3, first 2 shown]
	v_add_f64 v[42:43], v[8:9], v[10:11]
	ds_read_b128 v[8:11], v236 offset:1552
	ds_read_b128 v[160:163], v236 offset:1584
	v_fma_f64 v[142:143], v[168:169], v[36:37], -v[18:19]
	ds_read_b128 v[168:171], v236 offset:1600
	v_fma_f64 v[144:145], v[124:125], v[188:189], -v[16:17]
	ds_read_b128 v[16:19], v236 offset:1616
	s_waitcnt lgkmcnt(3)
	v_mul_f64 v[36:37], v[8:9], v[208:209]
	v_fmac_f64_e32 v[36:37], v[10:11], v[210:211]
	v_mul_f64 v[14:15], v[88:89], v[114:115]
	v_add_f64 v[36:37], v[42:43], v[36:37]
	v_fmac_f64_e32 v[14:15], v[90:91], v[116:117]
	s_waitcnt lgkmcnt(2)
	v_mul_f64 v[32:33], v[160:161], v[122:123]
	ds_read_b128 v[122:125], v236 offset:1632
	v_add_f64 v[14:15], v[36:37], v[14:15]
	v_fmac_f64_e32 v[32:33], v[162:163], v[24:25]
	v_mul_f64 v[36:37], v[174:175], v[110:111]
	v_add_f64 v[14:15], v[14:15], v[32:33]
	s_waitcnt lgkmcnt(2)
	v_mul_f64 v[32:33], v[168:169], v[130:131]
	v_fma_f64 v[68:69], v[172:173], v[20:21], -v[36:37]
	s_waitcnt lgkmcnt(1)
	v_mul_f64 v[20:21], v[16:17], v[128:129]
	v_accvgpr_write_b32 a213, v19
	v_fmac_f64_e32 v[32:33], v[170:171], v[54:55]
	v_fmac_f64_e32 v[20:21], v[18:19], v[118:119]
	v_accvgpr_write_b32 a212, v18
	v_accvgpr_write_b32 a211, v17
	;; [unrolled: 1-line block ×3, first 2 shown]
	ds_read_b128 v[16:19], v236 offset:1648
	v_add_f64 v[14:15], v[14:15], v[32:33]
	v_add_f64 v[14:15], v[14:15], v[20:21]
	s_waitcnt lgkmcnt(1)
	v_mul_f64 v[20:21], v[122:123], v[2:3]
	v_fmac_f64_e32 v[20:21], v[124:125], v[120:121]
	ds_read_b128 v[232:235], v236 offset:1664
	ds_read_b128 v[118:121], v236 offset:1680
	v_add_f64 v[14:15], v[14:15], v[20:21]
	v_mul_f64 v[20:21], v[178:179], v[132:133]
	v_fma_f64 v[24:25], v[176:177], v[12:13], -v[20:21]
	s_waitcnt lgkmcnt(2)
	v_mul_f64 v[20:21], v[16:17], v[134:135]
	v_fmac_f64_e32 v[20:21], v[18:19], v[136:137]
	v_add_f64 v[14:15], v[14:15], v[20:21]
	v_mul_f64 v[20:21], v[182:183], v[22:23]
	v_fma_f64 v[110:111], v[180:181], v[26:27], -v[20:21]
	s_waitcnt lgkmcnt(1)
	v_mul_f64 v[20:21], v[232:233], v[138:139]
	v_accvgpr_write_b32 a235, v139
	v_accvgpr_write_b32 a234, v138
	buffer_load_dword v139, off, s[0:3], 0 offset:700
	buffer_load_dword v138, off, s[0:3], 0 offset:696
	v_fmac_f64_e32 v[20:21], v[234:235], v[140:141]
	v_accvgpr_write_b32 a205, v171
	v_accvgpr_write_b32 a237, v141
	v_add_f64 v[14:15], v[14:15], v[20:21]
	buffer_load_dword v137, off, s[0:3], 0 offset:692
	buffer_load_dword v136, off, s[0:3], 0 offset:688
	v_mul_f64 v[20:21], v[186:187], v[148:149]
	v_accvgpr_write_b32 a204, v170
	v_accvgpr_write_b32 a203, v169
	;; [unrolled: 1-line block ×4, first 2 shown]
	v_fma_f64 v[168:169], v[184:185], v[150:151], -v[20:21]
	buffer_load_dword v148, off, s[0:3], 0 offset:728
	buffer_load_dword v150, off, s[0:3], 0 offset:720
	buffer_load_dword v141, off, s[0:3], 0 offset:716
	buffer_load_dword v140, off, s[0:3], 0 offset:712
	buffer_load_dword v133, off, s[0:3], 0 offset:708
	buffer_load_dword v132, off, s[0:3], 0 offset:704
	buffer_load_dword v149, off, s[0:3], 0 offset:732
	buffer_load_dword v151, off, s[0:3], 0 offset:724
	s_waitcnt lgkmcnt(0)
	v_pk_mov_b32 v[20:21], v[118:119], v[118:119] op_sel:[0,1]
	v_mul_f64 v[26:27], v[194:195], v[30:31]
	v_pk_mov_b32 v[22:23], v[120:121], v[120:121] op_sel:[0,1]
	v_accvgpr_write_b32 a197, v163
	v_accvgpr_write_b32 a217, v125
	s_waitcnt vmcnt(14)
	v_mul_f64 v[30:31], v[20:21], v[0:1]
	v_accvgpr_write_b32 a229, v19
	s_waitcnt vmcnt(12)
	v_fmac_f64_e32 v[30:31], v[22:23], v[244:245]
	v_accvgpr_write_b32 a196, v162
	v_accvgpr_write_b32 a195, v161
	;; [unrolled: 1-line block ×9, first 2 shown]
	v_fma_f64 v[18:19], v[192:193], v[44:45], -v[26:27]
	v_add_f64 v[42:43], v[14:15], v[30:31]
	ds_read_b128 v[122:125], v236 offset:1696
	v_mul_f64 v[14:15], v[198:199], v[106:107]
	buffer_load_dword v27, off, s[0:3], 0 offset:748
	buffer_load_dword v26, off, s[0:3], 0 offset:744
	;; [unrolled: 1-line block ×5, first 2 shown]
	v_mul_f64 v[36:37], v[202:203], v[112:113]
	v_fma_f64 v[106:107], v[196:197], v[108:109], -v[14:15]
	v_fma_f64 v[108:109], v[200:201], v[164:165], -v[36:37]
	buffer_load_dword v164, off, s[0:3], 0 offset:752
	buffer_load_dword v161, off, s[0:3], 0 offset:764
	;; [unrolled: 1-line block ×11, first 2 shown]
	v_mul_f64 v[36:37], v[206:207], v[100:101]
	v_fma_f64 v[204:205], v[204:205], v[102:103], -v[36:37]
	v_mul_f64 v[36:37], v[214:215], v[166:167]
	buffer_load_dword v166, off, s[0:3], 0 offset:824
	buffer_load_dword v179, off, s[0:3], 0 offset:812
	;; [unrolled: 1-line block ×16, first 2 shown]
	v_fma_f64 v[212:213], v[212:213], v[104:105], -v[36:37]
	v_mul_f64 v[36:37], v[218:219], v[82:83]
	v_fma_f64 v[82:83], v[216:217], v[86:87], -v[36:37]
	v_mul_f64 v[36:37], v[222:223], v[96:97]
	;; [unrolled: 2-line block ×3, first 2 shown]
	v_fma_f64 v[186:187], v[220:221], v[98:99], -v[36:37]
	v_fma_f64 v[130:131], v[228:229], v[92:93], -v[34:35]
	buffer_load_dword v85, off, s[0:3], 0 offset:892
	buffer_load_dword v195, off, s[0:3], 0 offset:876
	;; [unrolled: 1-line block ×12, first 2 shown]
	ds_read_b128 v[34:37], v236 offset:1712
	v_mul_f64 v[44:45], v[248:249], v[56:57]
	v_fma_f64 v[14:15], v[246:247], v[66:67], -v[44:45]
	buffer_load_dword v66, off, s[0:3], 0 offset:920
	buffer_load_dword v206, off, s[0:3], 0 offset:912
	buffer_load_dword v67, off, s[0:3], 0 offset:924
	buffer_load_dword v207, off, s[0:3], 0 offset:916
	v_fma_f64 v[128:129], v[38:39], v[76:77], -v[40:41]
	ds_read_b128 v[38:41], v236 offset:1728
	ds_read_b128 v[30:33], v236 offset:1760
	v_mul_f64 v[2:3], v[50:51], v[58:59]
	v_fma_f64 v[126:127], v[48:49], v[52:53], -v[2:3]
	ds_read_b128 v[50:53], v236 offset:1776
	v_pk_mov_b32 v[120:121], v[0:1], v[0:1] op_sel:[0,1]
	v_mul_f64 v[2:3], v[6:7], v[70:71]
	v_fma_f64 v[2:3], v[4:5], v[60:61], -v[2:3]
	v_mul_f64 v[6:7], v[154:155], v[62:63]
	v_fma_f64 v[134:135], v[152:153], v[64:65], -v[6:7]
	ds_read_b128 v[62:65], v236 offset:1824
	v_accvgpr_write_b32 a241, v23
	v_accvgpr_write_b32 a240, v22
	;; [unrolled: 1-line block ×3, first 2 shown]
	ds_read_b128 v[58:61], v236 offset:1808
	v_accvgpr_write_b32 a238, v20
	ds_read_b128 v[20:23], v236 offset:1840
	v_mul_f64 v[46:47], v[80:81], v[46:47]
	v_fma_f64 v[12:13], v[78:79], v[28:29], -v[46:47]
	s_waitcnt vmcnt(58) lgkmcnt(7)
	v_mul_f64 v[44:45], v[122:123], v[138:139]
	ds_read_b128 v[78:81], v236 offset:1888
	v_accvgpr_read_b32 v28, a242
	v_accvgpr_read_b32 v29, a243
	ds_read_b128 v[74:77], v236 offset:1872
	s_waitcnt vmcnt(56)
	v_fmac_f64_e32 v[44:45], v[124:125], v[136:137]
	v_add_f64 v[42:43], v[42:43], v[44:45]
	s_waitcnt vmcnt(52) lgkmcnt(8)
	v_mul_f64 v[44:45], v[34:35], v[140:141]
	s_waitcnt vmcnt(50)
	v_fmac_f64_e32 v[44:45], v[36:37], v[132:133]
	v_add_f64 v[42:43], v[42:43], v[44:45]
	s_waitcnt vmcnt(49) lgkmcnt(7)
	v_mul_f64 v[44:45], v[38:39], v[148:149]
	s_waitcnt vmcnt(48)
	v_fmac_f64_e32 v[44:45], v[40:41], v[150:151]
	v_add_f64 v[54:55], v[42:43], v[44:45]
	ds_read_b128 v[42:45], v236 offset:1744
	s_waitcnt vmcnt(46) lgkmcnt(0)
	v_mul_f64 v[56:57], v[42:43], v[26:27]
	s_waitcnt vmcnt(44)
	v_fmac_f64_e32 v[56:57], v[44:45], v[162:163]
	v_add_f64 v[54:55], v[54:55], v[56:57]
	s_waitcnt vmcnt(38)
	v_mul_f64 v[4:5], v[50:51], v[112:113]
	s_waitcnt vmcnt(36)
	v_fmac_f64_e32 v[4:5], v[52:53], v[172:173]
	v_mul_f64 v[0:1], v[30:31], v[160:161]
	v_fmac_f64_e32 v[0:1], v[32:33], v[164:165]
	v_add_f64 v[0:1], v[54:55], v[0:1]
	ds_read_b128 v[54:57], v236 offset:1792
	v_add_f64 v[0:1], v[0:1], v[4:5]
	s_waitcnt vmcnt(22)
	v_mul_f64 v[6:7], v[20:21], v[182:183]
	s_waitcnt vmcnt(20)
	v_fmac_f64_e32 v[6:7], v[22:23], v[184:185]
	s_waitcnt lgkmcnt(0)
	v_mul_f64 v[4:5], v[54:55], v[170:171]
	v_fmac_f64_e32 v[4:5], v[56:57], v[174:175]
	v_add_f64 v[0:1], v[0:1], v[4:5]
	v_mul_f64 v[4:5], v[58:59], v[178:179]
	v_fmac_f64_e32 v[4:5], v[60:61], v[180:181]
	v_add_f64 v[0:1], v[0:1], v[4:5]
	v_mul_f64 v[4:5], v[62:63], v[166:167]
	v_fmac_f64_e32 v[4:5], v[64:65], v[176:177]
	v_add_f64 v[0:1], v[0:1], v[4:5]
	v_mul_f64 v[4:5], v[158:159], v[146:147]
	v_fma_f64 v[4:5], v[156:157], v[72:73], -v[4:5]
	ds_read_b128 v[70:73], v236 offset:1856
	v_add_f64 v[0:1], v[0:1], v[6:7]
	v_mul_f64 v[6:7], v[10:11], v[208:209]
	v_fma_f64 v[46:47], v[8:9], v[210:211], -v[6:7]
	ds_read_b128 v[156:159], v236 offset:1904
	s_waitcnt vmcnt(17) lgkmcnt(1)
	v_mul_f64 v[6:7], v[70:71], v[188:189]
	s_waitcnt vmcnt(16)
	v_fmac_f64_e32 v[6:7], v[72:73], v[192:193]
	v_add_f64 v[0:1], v[0:1], v[6:7]
	v_mul_f64 v[6:7], v[90:91], v[114:115]
	v_fma_f64 v[48:49], v[88:89], v[116:117], -v[6:7]
	ds_read_b128 v[86:89], v236 offset:1920
	buffer_load_dword v209, off, s[0:3], 0 offset:940
	buffer_load_dword v208, off, s[0:3], 0 offset:936
	buffer_load_dword v211, off, s[0:3], 0 offset:932
	buffer_load_dword v210, off, s[0:3], 0 offset:928
	ds_read_b128 v[90:93], v236 offset:1936
	buffer_load_dword v10, off, s[0:3], 0 offset:952
	buffer_load_dword v11, off, s[0:3], 0 offset:956
	buffer_load_dword v214, off, s[0:3], 0 offset:944
	buffer_load_dword v215, off, s[0:3], 0 offset:948
	ds_read_b128 v[94:97], v236 offset:1952
	buffer_load_dword v217, off, s[0:3], 0 offset:972
	buffer_load_dword v216, off, s[0:3], 0 offset:968
	buffer_load_dword v219, off, s[0:3], 0 offset:964
	buffer_load_dword v218, off, s[0:3], 0 offset:960
	ds_read_b128 v[98:101], v236 offset:1968
	buffer_load_dword v220, off, s[0:3], 0 offset:984
	buffer_load_dword v221, off, s[0:3], 0 offset:988
	buffer_load_dword v222, off, s[0:3], 0 offset:976
	buffer_load_dword v223, off, s[0:3], 0 offset:980
	ds_read_b128 v[102:105], v236 offset:1984
	buffer_load_dword v225, off, s[0:3], 0 offset:1004
	buffer_load_dword v224, off, s[0:3], 0 offset:1000
	buffer_load_dword v227, off, s[0:3], 0 offset:996
	buffer_load_dword v226, off, s[0:3], 0 offset:992
	s_waitcnt vmcnt(33)
	v_mul_f64 v[6:7], v[74:75], v[194:195]
	s_waitcnt vmcnt(31)
	v_fmac_f64_e32 v[6:7], v[76:77], v[200:201]
	v_add_f64 v[0:1], v[0:1], v[6:7]
	s_waitcnt vmcnt(30)
	v_mul_f64 v[6:7], v[78:79], v[84:85]
	s_waitcnt vmcnt(28)
	v_fmac_f64_e32 v[6:7], v[80:81], v[198:199]
	v_add_f64 v[0:1], v[0:1], v[6:7]
	s_waitcnt vmcnt(26) lgkmcnt(5)
	v_mul_f64 v[6:7], v[156:157], v[196:197]
	s_waitcnt vmcnt(24)
	v_fmac_f64_e32 v[6:7], v[158:159], v[202:203]
	v_add_f64 v[0:1], v[0:1], v[6:7]
	s_waitcnt vmcnt(21) lgkmcnt(4)
	v_mul_f64 v[6:7], v[86:87], v[66:67]
	s_waitcnt vmcnt(20)
	v_fmac_f64_e32 v[6:7], v[88:89], v[206:207]
	v_add_f64 v[0:1], v[0:1], v[6:7]
	ds_read_b128 v[152:155], v236 offset:2000
	buffer_load_dword v228, off, s[0:3], 0 offset:1016
	buffer_load_dword v229, off, s[0:3], 0 offset:1020
	;; [unrolled: 1-line block ×4, first 2 shown]
	s_waitcnt vmcnt(22) lgkmcnt(4)
	v_mul_f64 v[6:7], v[90:91], v[208:209]
	s_waitcnt vmcnt(20)
	v_fmac_f64_e32 v[6:7], v[92:93], v[210:211]
	v_add_f64 v[0:1], v[0:1], v[6:7]
	s_waitcnt vmcnt(18) lgkmcnt(3)
	v_mul_f64 v[6:7], v[94:95], v[10:11]
	s_waitcnt vmcnt(16)
	v_fmac_f64_e32 v[6:7], v[96:97], v[214:215]
	v_add_f64 v[0:1], v[0:1], v[6:7]
	;; [unrolled: 5-line block ×5, first 2 shown]
	ds_read_b128 v[6:9], v236 offset:2016
	buffer_load_dword v247, off, s[0:3], 0 offset:1036
	buffer_load_dword v246, off, s[0:3], 0 offset:1032
	;; [unrolled: 1-line block ×4, first 2 shown]
	s_waitcnt vmcnt(6) lgkmcnt(0)
	v_mul_f64 v[114:115], v[6:7], v[228:229]
	s_waitcnt vmcnt(4)
	v_fmac_f64_e32 v[114:115], v[8:9], v[230:231]
	v_add_f64 v[0:1], v[0:1], v[114:115]
	ds_read_b128 v[114:117], v236 offset:2032
	s_waitcnt vmcnt(2) lgkmcnt(0)
	v_mul_f64 v[118:119], v[114:115], v[246:247]
	s_waitcnt vmcnt(0)
	v_fmac_f64_e32 v[118:119], v[116:117], v[248:249]
	v_add_f64 v[0:1], v[0:1], v[118:119]
	v_add_f64 v[118:119], v[28:29], 0
	v_accvgpr_read_b32 v28, a244
	v_accvgpr_read_b32 v29, a245
	v_add_f64 v[118:119], v[118:119], v[28:29]
	v_add_f64 v[118:119], v[118:119], v[252:253]
	;; [unrolled: 1-line block ×27, first 2 shown]
	buffer_load_dword v254, off, s[0:3], 0 offset:32
	buffer_load_dword v255, off, s[0:3], 0 offset:36
	;; [unrolled: 1-line block ×4, first 2 shown]
	v_add_f64 v[2:3], v[12:13], v[2:3]
	v_add_f64 v[2:3], v[2:3], v[134:135]
	;; [unrolled: 1-line block ×3, first 2 shown]
	v_accvgpr_read_b32 v12, a194
	v_accvgpr_read_b32 v4, a198
	v_accvgpr_read_b32 v14, a196
	v_accvgpr_read_b32 v15, a197
	v_accvgpr_read_b32 v5, a199
	v_mul_f64 v[4:5], v[14:15], v[4:5]
	v_accvgpr_read_b32 v14, a200
	v_add_f64 v[2:3], v[236:237], v[46:47]
	v_accvgpr_read_b32 v13, a195
	v_accvgpr_read_b32 v15, a201
	v_add_f64 v[2:3], v[2:3], v[48:49]
	v_fma_f64 v[4:5], v[12:13], v[14:15], -v[4:5]
	v_add_f64 v[2:3], v[2:3], v[4:5]
	v_accvgpr_read_b32 v12, a202
	v_accvgpr_read_b32 v4, a206
	v_accvgpr_read_b32 v14, a204
	v_accvgpr_read_b32 v15, a205
	v_accvgpr_read_b32 v5, a207
	v_mul_f64 v[4:5], v[14:15], v[4:5]
	v_accvgpr_read_b32 v14, a208
	v_accvgpr_read_b32 v13, a203
	v_accvgpr_read_b32 v15, a209
	v_fma_f64 v[4:5], v[12:13], v[14:15], -v[4:5]
	v_add_f64 v[2:3], v[2:3], v[4:5]
	v_accvgpr_read_b32 v12, a210
	v_accvgpr_read_b32 v4, a218
	v_accvgpr_read_b32 v14, a212
	v_accvgpr_read_b32 v15, a213
	v_accvgpr_read_b32 v5, a219
	v_mul_f64 v[4:5], v[14:15], v[4:5]
	v_accvgpr_read_b32 v14, a224
	v_accvgpr_read_b32 v13, a211
	v_accvgpr_read_b32 v15, a225
	;; [unrolled: 11-line block ×4, first 2 shown]
	v_fma_f64 v[4:5], v[12:13], v[14:15], -v[4:5]
	v_add_f64 v[2:3], v[2:3], v[4:5]
	v_accvgpr_read_b32 v4, a234
	v_accvgpr_read_b32 v5, a235
	;; [unrolled: 1-line block ×3, first 2 shown]
	v_mul_f64 v[4:5], v[234:235], v[4:5]
	v_accvgpr_read_b32 v13, a237
	v_fma_f64 v[4:5], v[232:233], v[12:13], -v[4:5]
	v_accvgpr_read_b32 v12, a238
	v_accvgpr_read_b32 v14, a240
	v_accvgpr_read_b32 v15, a241
	v_add_f64 v[2:3], v[2:3], v[4:5]
	v_accvgpr_read_b32 v13, a239
	v_mul_f64 v[4:5], v[14:15], v[120:121]
	v_fma_f64 v[4:5], v[12:13], v[244:245], -v[4:5]
	v_add_f64 v[2:3], v[2:3], v[4:5]
	v_mul_f64 v[4:5], v[124:125], v[138:139]
	v_fma_f64 v[4:5], v[122:123], v[136:137], -v[4:5]
	v_add_f64 v[2:3], v[2:3], v[4:5]
	;; [unrolled: 3-line block ×23, first 2 shown]
	s_waitcnt vmcnt(2)
	v_add_f64 v[2:3], v[254:255], -v[2:3]
	s_waitcnt vmcnt(0)
	v_add_f64 v[0:1], v[252:253], -v[0:1]
	buffer_store_dword v3, off, s[0:3], 0 offset:36
	buffer_store_dword v2, off, s[0:3], 0 offset:32
	;; [unrolled: 1-line block ×4, first 2 shown]
	v_accvgpr_read_b32 v0, a191
	v_cmp_ne_u32_e32 vcc, 0, v0
	s_and_saveexec_b64 s[4:5], vcc
	s_cbranch_execz .LBB63_409
; %bb.408:
	buffer_load_dword v0, off, s[0:3], 0 offset:16
	buffer_load_dword v1, off, s[0:3], 0 offset:20
	;; [unrolled: 1-line block ×4, first 2 shown]
	v_mov_b32_e32 v4, 0
	v_accvgpr_read_b32 v5, a192
	buffer_store_dword v4, off, s[0:3], 0 offset:16
	buffer_store_dword v4, off, s[0:3], 0 offset:20
	;; [unrolled: 1-line block ×4, first 2 shown]
	s_waitcnt vmcnt(4)
	ds_write_b128 v5, v[0:3]
.LBB63_409:
	s_or_b64 exec, exec, s[4:5]
	s_waitcnt lgkmcnt(0)
	; wave barrier
	s_waitcnt lgkmcnt(0)
	buffer_load_dword v0, off, s[0:3], 0 offset:32
	buffer_load_dword v1, off, s[0:3], 0 offset:36
	;; [unrolled: 1-line block ×49, first 2 shown]
	v_mov_b32_e32 v112, 0
	ds_read_b128 v[116:119], v112 offset:1040
	ds_read_b128 v[120:123], v112 offset:1056
	;; [unrolled: 1-line block ×11, first 2 shown]
	s_and_b64 vcc, exec, s[22:23]
	s_waitcnt vmcnt(45) lgkmcnt(10)
	v_mul_f64 v[14:15], v[116:117], v[2:3]
	v_fmac_f64_e32 v[14:15], v[118:119], v[0:1]
	v_add_f64 v[14:15], v[14:15], 0
	v_mul_f64 v[2:3], v[118:119], v[2:3]
	s_waitcnt vmcnt(41) lgkmcnt(9)
	v_mul_f64 v[16:17], v[120:121], v[52:53]
	v_fmac_f64_e32 v[16:17], v[122:123], v[46:47]
	s_waitcnt vmcnt(39) lgkmcnt(8)
	v_mul_f64 v[18:19], v[124:125], v[236:237]
	v_add_f64 v[14:15], v[14:15], v[16:17]
	s_waitcnt vmcnt(37) lgkmcnt(6)
	v_mul_f64 v[26:27], v[132:133], v[44:45]
	v_fma_f64 v[0:1], v[116:117], v[0:1], -v[2:3]
	s_waitcnt vmcnt(35)
	v_fmac_f64_e32 v[26:27], v[134:135], v[234:235]
	v_accvgpr_write_b32 a249, v1
	s_waitcnt vmcnt(33)
	v_mul_f64 v[24:25], v[128:129], v[4:5]
	v_accvgpr_write_b32 a248, v0
	s_waitcnt vmcnt(31) lgkmcnt(4)
	v_mul_f64 v[30:31], v[158:159], v[8:9]
	v_mul_f64 v[0:1], v[122:123], v[52:53]
	s_waitcnt vmcnt(29)
	v_fmac_f64_e32 v[30:31], v[160:161], v[10:11]
	v_fma_f64 v[0:1], v[120:121], v[46:47], -v[0:1]
	s_waitcnt vmcnt(27)
	v_mul_f64 v[28:29], v[154:155], v[12:13]
	v_accvgpr_write_b32 a251, v1
	s_waitcnt vmcnt(25) lgkmcnt(2)
	v_mul_f64 v[34:35], v[54:55], v[238:239]
	v_accvgpr_write_b32 a250, v0
	v_mul_f64 v[12:13], v[156:157], v[12:13]
	s_waitcnt vmcnt(22)
	v_mul_f64 v[32:33], v[162:163], v[244:245]
	v_mul_f64 v[8:9], v[160:161], v[8:9]
	s_waitcnt vmcnt(20) lgkmcnt(1)
	v_mul_f64 v[36:37], v[170:171], v[6:7]
	v_accvgpr_write_b32 a193, v7
	s_waitcnt vmcnt(18)
	v_fmac_f64_e32 v[18:19], v[126:127], v[242:243]
	v_add_f64 v[14:15], v[14:15], v[18:19]
	s_waitcnt vmcnt(16)
	v_fmac_f64_e32 v[24:25], v[130:131], v[22:23]
	v_add_f64 v[14:15], v[14:15], v[24:25]
	;; [unrolled: 3-line block ×3, first 2 shown]
	v_add_f64 v[14:15], v[14:15], v[28:29]
	s_waitcnt vmcnt(12)
	v_fmac_f64_e32 v[32:33], v[164:165], v[20:21]
	v_add_f64 v[14:15], v[14:15], v[30:31]
	s_waitcnt vmcnt(11)
	v_fmac_f64_e32 v[34:35], v[56:57], v[250:251]
	v_add_f64 v[14:15], v[14:15], v[32:33]
	v_add_f64 v[14:15], v[14:15], v[34:35]
	s_waitcnt vmcnt(5)
	v_fmac_f64_e32 v[36:37], v[172:173], v[100:101]
	v_accvgpr_write_b32 a192, v6
	buffer_load_dword v86, off, s[0:3], 0 offset:216
	buffer_load_dword v253, off, s[0:3], 0 offset:212
	;; [unrolled: 1-line block ×75, first 2 shown]
	v_add_f64 v[14:15], v[14:15], v[36:37]
	ds_read_b128 v[174:177], v112 offset:1216
	ds_read_b128 v[178:181], v112 offset:1232
	;; [unrolled: 1-line block ×14, first 2 shown]
	buffer_load_dword v105, off, s[0:3], 0 offset:540
	buffer_load_dword v104, off, s[0:3], 0 offset:536
	buffer_load_dword v109, off, s[0:3], 0 offset:532
	buffer_load_dword v108, off, s[0:3], 0 offset:528
	ds_read_b128 v[28:31], v112 offset:1440
	buffer_load_dword v102, off, s[0:3], 0 offset:552
	buffer_load_dword v103, off, s[0:3], 0 offset:556
	;; [unrolled: 1-line block ×12, first 2 shown]
	ds_read_b128 v[58:61], v112 offset:1456
	buffer_load_dword v1, off, s[0:3], 0 offset:604
	buffer_load_dword v0, off, s[0:3], 0 offset:600
	s_waitcnt lgkmcnt(14)
	v_mul_f64 v[16:17], v[246:247], v[228:229]
	v_fmac_f64_e32 v[16:17], v[248:249], v[66:67]
	v_add_f64 v[14:15], v[14:15], v[16:17]
	s_waitcnt vmcnt(62)
	v_mul_f64 v[16:17], v[174:175], v[86:87]
	v_fmac_f64_e32 v[16:17], v[176:177], v[252:253]
	v_add_f64 v[14:15], v[14:15], v[16:17]
	v_mul_f64 v[16:17], v[178:179], v[74:75]
	v_fmac_f64_e32 v[16:17], v[180:181], v[76:77]
	v_add_f64 v[14:15], v[14:15], v[16:17]
	s_waitcnt lgkmcnt(13)
	v_mul_f64 v[16:17], v[182:183], v[254:255]
	v_fmac_f64_e32 v[16:17], v[184:185], v[140:141]
	v_add_f64 v[14:15], v[14:15], v[16:17]
	s_waitcnt lgkmcnt(12)
	v_mul_f64 v[16:17], v[186:187], v[136:137]
	v_fmac_f64_e32 v[16:17], v[188:189], v[138:139]
	v_add_f64 v[14:15], v[14:15], v[16:17]
	s_waitcnt lgkmcnt(11)
	v_mul_f64 v[16:17], v[192:193], v[148:149]
	v_fmac_f64_e32 v[16:17], v[194:195], v[40:41]
	v_add_f64 v[14:15], v[14:15], v[16:17]
	s_waitcnt lgkmcnt(10)
	v_mul_f64 v[16:17], v[200:201], v[106:107]
	v_fmac_f64_e32 v[16:17], v[202:203], v[110:111]
	v_add_f64 v[14:15], v[14:15], v[16:17]
	s_waitcnt lgkmcnt(9)
	v_mul_f64 v[16:17], v[204:205], v[142:143]
	v_fmac_f64_e32 v[16:17], v[206:207], v[146:147]
	v_add_f64 v[14:15], v[14:15], v[16:17]
	s_waitcnt lgkmcnt(8)
	v_mul_f64 v[16:17], v[208:209], v[96:97]
	v_fmac_f64_e32 v[16:17], v[210:211], v[98:99]
	v_add_f64 v[14:15], v[14:15], v[16:17]
	s_waitcnt vmcnt(60) lgkmcnt(7)
	v_mul_f64 v[16:17], v[212:213], v[150:151]
	s_waitcnt vmcnt(58)
	v_fmac_f64_e32 v[16:17], v[214:215], v[152:153]
	v_add_f64 v[14:15], v[14:15], v[16:17]
	s_waitcnt lgkmcnt(6)
	v_mul_f64 v[16:17], v[216:217], v[88:89]
	v_fmac_f64_e32 v[16:17], v[218:219], v[90:91]
	v_add_f64 v[14:15], v[14:15], v[16:17]
	s_waitcnt vmcnt(52) lgkmcnt(5)
	v_mul_f64 v[16:17], v[222:223], v[92:93]
	s_waitcnt vmcnt(50)
	v_fmac_f64_e32 v[16:17], v[224:225], v[94:95]
	v_add_f64 v[14:15], v[14:15], v[16:17]
	s_waitcnt lgkmcnt(4)
	;; [unrolled: 9-line block ×3, first 2 shown]
	v_mul_f64 v[16:17], v[166:167], v[70:71]
	v_fmac_f64_e32 v[16:17], v[168:169], v[72:73]
	v_add_f64 v[14:15], v[14:15], v[16:17]
	s_waitcnt vmcnt(36) lgkmcnt(1)
	v_mul_f64 v[16:17], v[28:29], v[64:65]
	s_waitcnt vmcnt(34)
	v_fmac_f64_e32 v[16:17], v[30:31], v[68:69]
	v_add_f64 v[14:15], v[14:15], v[16:17]
	v_fma_f64 v[240:241], v[154:155], v[240:241], -v[12:13]
	v_mul_f64 v[86:87], v[176:177], v[86:87]
	v_fma_f64 v[86:87], v[174:175], v[252:253], -v[86:87]
	v_mul_f64 v[74:75], v[180:181], v[74:75]
	v_mul_f64 v[38:39], v[38:39], v[78:79]
	;; [unrolled: 1-line block ×3, first 2 shown]
	v_fma_f64 v[36:37], v[36:37], v[80:81], -v[38:39]
	v_mul_f64 v[38:39], v[168:169], v[70:71]
	v_fma_f64 v[32:33], v[32:33], v[84:85], -v[34:35]
	v_fma_f64 v[38:39], v[166:167], v[72:73], -v[38:39]
	v_mul_f64 v[30:31], v[30:31], v[64:65]
	v_fma_f64 v[64:65], v[28:29], v[68:69], -v[30:31]
	v_mul_f64 v[88:89], v[218:219], v[88:89]
	;; [unrolled: 2-line block ×3, first 2 shown]
	v_fma_f64 v[90:91], v[222:223], v[94:95], -v[90:91]
	s_waitcnt vmcnt(4)
	v_accvgpr_write_b32 a196, v226
	v_accvgpr_write_b32 a197, v227
	s_waitcnt vmcnt(2)
	v_accvgpr_write_b32 a199, v7
	v_accvgpr_write_b32 a198, v6
	s_waitcnt vmcnt(0)
	v_pk_mov_b32 v[52:53], v[0:1], v[0:1] op_sel:[0,1]
	buffer_load_dword v1, off, s[0:3], 0 offset:596
	buffer_load_dword v0, off, s[0:3], 0 offset:592
	v_accvgpr_write_b32 a205, v53
	v_accvgpr_write_b32 a204, v52
	s_waitcnt vmcnt(0)
	v_pk_mov_b32 v[122:123], v[0:1], v[0:1] op_sel:[0,1]
	v_mul_f64 v[0:1], v[126:127], v[236:237]
	v_fma_f64 v[0:1], v[124:125], v[242:243], -v[0:1]
	v_accvgpr_write_b32 a253, v1
	v_accvgpr_write_b32 a252, v0
	buffer_load_dword v0, off, s[0:3], 0 offset:616
	buffer_load_dword v16, off, s[0:3], 0 offset:608
	buffer_load_dword v1, off, s[0:3], 0 offset:620
	buffer_load_dword v17, off, s[0:3], 0 offset:612
	buffer_load_dword v121, off, s[0:3], 0 offset:636
	buffer_load_dword v120, off, s[0:3], 0 offset:632
	buffer_load_dword v3, off, s[0:3], 0 offset:628
	buffer_load_dword v2, off, s[0:3], 0 offset:624
	v_fma_f64 v[242:243], v[158:159], v[10:11], -v[8:9]
	v_accvgpr_write_b32 a207, v123
	v_accvgpr_write_b32 a206, v122
	s_waitcnt vmcnt(2)
	v_accvgpr_write_b32 a221, v121
	v_pk_mov_b32 v[124:125], v[0:1], v[0:1] op_sel:[0,1]
	v_mul_f64 v[0:1], v[130:131], v[4:5]
	v_fma_f64 v[236:237], v[128:129], v[22:23], -v[0:1]
	v_mul_f64 v[0:1], v[134:135], v[44:45]
	v_fma_f64 v[132:133], v[132:133], v[234:235], -v[0:1]
	buffer_load_dword v0, off, s[0:3], 0 offset:648
	buffer_load_dword v4, off, s[0:3], 0 offset:640
	buffer_load_dword v1, off, s[0:3], 0 offset:652
	buffer_load_dword v5, off, s[0:3], 0 offset:644
	ds_read_b128 v[22:25], v112 offset:1472
	ds_read_b128 v[44:47], v112 offset:1488
	v_pk_mov_b32 v[126:127], v[16:17], v[16:17] op_sel:[0,1]
	v_mul_f64 v[16:17], v[164:165], v[244:245]
	v_fma_f64 v[244:245], v[162:163], v[20:21], -v[16:17]
	s_waitcnt lgkmcnt(1)
	v_mul_f64 v[12:13], v[22:23], v[190:191]
	v_fmac_f64_e32 v[12:13], v[24:25], v[48:49]
	v_mul_f64 v[20:21], v[56:57], v[238:239]
	v_fma_f64 v[128:129], v[54:55], v[250:251], -v[20:21]
	v_accvgpr_read_b32 v20, a192
	v_accvgpr_read_b32 v21, a193
	s_waitcnt vmcnt(4)
	v_accvgpr_write_b32 a223, v3
	v_accvgpr_write_b32 a222, v2
	;; [unrolled: 1-line block ×7, first 2 shown]
	s_waitcnt vmcnt(1)
	v_pk_mov_b32 v[130:131], v[0:1], v[0:1] op_sel:[0,1]
	buffer_load_dword v1, off, s[0:3], 0 offset:668
	buffer_load_dword v0, off, s[0:3], 0 offset:664
	s_waitcnt vmcnt(2)
	v_pk_mov_b32 v[134:135], v[4:5], v[4:5] op_sel:[0,1]
	v_mul_f64 v[4:5], v[58:59], v[26:27]
	v_fmac_f64_e32 v[4:5], v[60:61], v[42:43]
	v_add_f64 v[14:15], v[14:15], v[4:5]
	v_add_f64 v[12:13], v[14:15], v[12:13]
	s_waitcnt lgkmcnt(0)
	v_mul_f64 v[14:15], v[44:45], v[144:145]
	v_fmac_f64_e32 v[14:15], v[46:47], v[230:231]
	v_add_f64 v[116:117], v[12:13], v[14:15]
	v_accvgpr_write_b32 a229, v131
	v_accvgpr_write_b32 a228, v130
	;; [unrolled: 1-line block ×4, first 2 shown]
	v_mul_f64 v[26:27], v[60:61], v[26:27]
	v_fma_f64 v[26:27], v[58:59], v[42:43], -v[26:27]
	s_waitcnt vmcnt(0)
	v_pk_mov_b32 v[4:5], v[0:1], v[0:1] op_sel:[0,1]
	buffer_load_dword v1, off, s[0:3], 0 offset:660
	buffer_load_dword v0, off, s[0:3], 0 offset:656
	ds_read_b128 v[8:11], v112 offset:1504
	ds_read_b128 v[12:15], v112 offset:1520
	;; [unrolled: 1-line block ×5, first 2 shown]
	s_waitcnt lgkmcnt(4)
	v_mul_f64 v[118:119], v[8:9], v[62:63]
	v_fmac_f64_e32 v[118:119], v[10:11], v[50:51]
	v_add_f64 v[116:117], v[116:117], v[118:119]
	s_waitcnt lgkmcnt(3)
	v_mul_f64 v[118:119], v[12:13], v[232:233]
	v_fmac_f64_e32 v[118:119], v[14:15], v[220:221]
	v_add_f64 v[116:117], v[116:117], v[118:119]
	s_waitcnt lgkmcnt(2)
	v_mul_f64 v[118:119], v[16:17], v[104:105]
	v_fmac_f64_e32 v[118:119], v[18:19], v[108:109]
	v_accvgpr_write_b32 a237, v5
	v_accvgpr_write_b32 a236, v4
	s_waitcnt vmcnt(0)
	v_pk_mov_b32 v[158:159], v[0:1], v[0:1] op_sel:[0,1]
	v_add_f64 v[0:1], v[116:117], v[118:119]
	v_mul_f64 v[116:117], v[172:173], v[20:21]
	buffer_load_dword v21, off, s[0:3], 0 offset:684
	buffer_load_dword v20, off, s[0:3], 0 offset:680
	v_fma_f64 v[116:117], v[170:171], v[100:101], -v[116:117]
	s_waitcnt lgkmcnt(1)
	v_mul_f64 v[100:101], v[54:55], v[102:103]
	v_fmac_f64_e32 v[100:101], v[56:57], v[114:115]
	v_mul_f64 v[118:119], v[248:249], v[228:229]
	v_fma_f64 v[118:119], v[246:247], v[66:67], -v[118:119]
	v_add_f64 v[66:67], v[0:1], v[100:101]
	s_waitcnt lgkmcnt(0)
	v_mul_f64 v[100:101], v[154:155], v[198:199]
	v_fmac_f64_e32 v[100:101], v[156:157], v[196:197]
	v_add_f64 v[66:67], v[66:67], v[100:101]
	v_accvgpr_write_b32 a239, v159
	v_accvgpr_write_b32 a238, v158
	s_waitcnt vmcnt(0)
	v_pk_mov_b32 v[160:161], v[20:21], v[20:21] op_sel:[0,1]
	buffer_load_dword v21, off, s[0:3], 0 offset:676
	buffer_load_dword v20, off, s[0:3], 0 offset:672
	ds_read_b128 v[162:165], v112 offset:1584
	ds_read_b128 v[170:173], v112 offset:1616
	;; [unrolled: 1-line block ×3, first 2 shown]
	v_accvgpr_write_b32 a241, v161
	v_accvgpr_write_b32 a240, v160
	s_waitcnt lgkmcnt(2)
	v_mul_f64 v[100:101], v[162:163], v[226:227]
	v_accvgpr_write_b32 a195, v165
	v_fmac_f64_e32 v[100:101], v[164:165], v[6:7]
	v_accvgpr_write_b32 a194, v164
	v_accvgpr_write_b32 a193, v163
	;; [unrolled: 1-line block ×3, first 2 shown]
	ds_read_b128 v[162:165], v112 offset:1600
	v_add_f64 v[66:67], v[66:67], v[100:101]
	s_waitcnt lgkmcnt(2)
	v_accvgpr_write_b32 a211, v173
	s_waitcnt lgkmcnt(1)
	v_accvgpr_write_b32 a215, v177
	v_accvgpr_write_b32 a210, v172
	s_waitcnt lgkmcnt(0)
	v_mul_f64 v[100:101], v[162:163], v[52:53]
	v_accvgpr_write_b32 a203, v165
	v_fmac_f64_e32 v[100:101], v[164:165], v[122:123]
	v_accvgpr_write_b32 a202, v164
	v_accvgpr_write_b32 a201, v163
	;; [unrolled: 1-line block ×3, first 2 shown]
	v_fma_f64 v[164:165], v[178:179], v[76:77], -v[74:75]
	v_mul_f64 v[74:75], v[170:171], v[124:125]
	v_add_f64 v[66:67], v[66:67], v[100:101]
	v_fmac_f64_e32 v[74:75], v[172:173], v[126:127]
	v_add_f64 v[66:67], v[66:67], v[74:75]
	v_mul_f64 v[74:75], v[174:175], v[120:121]
	v_fmac_f64_e32 v[74:75], v[176:177], v[2:3]
	ds_read_b128 v[0:3], v112 offset:1648
	ds_read_b128 v[120:123], v112 offset:1664
	v_add_f64 v[66:67], v[66:67], v[74:75]
	v_mul_f64 v[74:75], v[184:185], v[254:255]
	v_fma_f64 v[74:75], v[182:183], v[140:141], -v[74:75]
	s_waitcnt lgkmcnt(1)
	v_mul_f64 v[76:77], v[0:1], v[130:131]
	v_fmac_f64_e32 v[76:77], v[2:3], v[134:135]
	v_accvgpr_write_b32 a227, v3
	v_accvgpr_write_b32 a226, v2
	;; [unrolled: 1-line block ×4, first 2 shown]
	v_add_f64 v[66:67], v[66:67], v[76:77]
	buffer_load_dword v0, off, s[0:3], 0 offset:712
	v_mul_f64 v[76:77], v[188:189], v[136:137]
	v_fma_f64 v[178:179], v[186:187], v[138:139], -v[76:77]
	buffer_load_dword v2, off, s[0:3], 0 offset:704
	buffer_load_dword v7, off, s[0:3], 0 offset:700
	;; [unrolled: 1-line block ×7, first 2 shown]
	v_mul_f64 v[76:77], v[194:195], v[148:149]
	v_fma_f64 v[192:193], v[192:193], v[40:41], -v[76:77]
	s_waitcnt lgkmcnt(0)
	v_mul_f64 v[40:41], v[120:121], v[4:5]
	v_fmac_f64_e32 v[40:41], v[122:123], v[158:159]
	ds_read_b128 v[138:141], v112 offset:1680
	ds_read_b128 v[246:249], v112 offset:1696
	buffer_load_dword v251, off, s[0:3], 0 offset:732
	buffer_load_dword v250, off, s[0:3], 0 offset:728
	buffer_load_dword v255, off, s[0:3], 0 offset:724
	buffer_load_dword v254, off, s[0:3], 0 offset:720
	v_add_f64 v[40:41], v[66:67], v[40:41]
	v_mul_f64 v[66:67], v[206:207], v[142:143]
	buffer_load_dword v130, off, s[0:3], 0 offset:744
	buffer_load_dword v142, off, s[0:3], 0 offset:736
	;; [unrolled: 1-line block ×4, first 2 shown]
	v_mul_f64 v[76:77], v[202:203], v[106:107]
	v_fma_f64 v[194:195], v[200:201], v[110:111], -v[76:77]
	v_mul_f64 v[76:77], v[210:211], v[96:97]
	v_mul_f64 v[96:97], v[214:215], v[150:151]
	v_fma_f64 v[180:181], v[212:213], v[152:153], -v[96:97]
	buffer_load_dword v151, off, s[0:3], 0 offset:780
	buffer_load_dword v153, off, s[0:3], 0 offset:764
	;; [unrolled: 1-line block ×8, first 2 shown]
	s_waitcnt lgkmcnt(1)
	v_mul_f64 v[96:97], v[138:139], v[160:161]
	buffer_load_dword v159, off, s[0:3], 0 offset:796
	buffer_load_dword v158, off, s[0:3], 0 offset:792
	;; [unrolled: 1-line block ×8, first 2 shown]
	v_accvgpr_write_b32 a209, v171
	v_accvgpr_write_b32 a208, v170
	v_accvgpr_write_b32 a214, v176
	v_accvgpr_write_b32 a213, v175
	v_accvgpr_write_b32 a212, v174
	buffer_load_dword v136, off, s[0:3], 0 offset:840
	buffer_load_dword v125, off, s[0:3], 0 offset:828
	buffer_load_dword v124, off, s[0:3], 0 offset:824
	buffer_load_dword v175, off, s[0:3], 0 offset:820
	buffer_load_dword v174, off, s[0:3], 0 offset:816
	buffer_load_dword v134, off, s[0:3], 0 offset:832
	buffer_load_dword v137, off, s[0:3], 0 offset:844
	buffer_load_dword v135, off, s[0:3], 0 offset:836
	buffer_load_dword v173, off, s[0:3], 0 offset:860
	buffer_load_dword v172, off, s[0:3], 0 offset:856
	buffer_load_dword v177, off, s[0:3], 0 offset:852
	buffer_load_dword v176, off, s[0:3], 0 offset:848
	buffer_load_dword v79, off, s[0:3], 0 offset:876
	buffer_load_dword v78, off, s[0:3], 0 offset:872
	buffer_load_dword v167, off, s[0:3], 0 offset:868
	buffer_load_dword v166, off, s[0:3], 0 offset:864
	buffer_load_dword v84, off, s[0:3], 0 offset:904
	buffer_load_dword v187, off, s[0:3], 0 offset:892
	buffer_load_dword v186, off, s[0:3], 0 offset:888
	buffer_load_dword v189, off, s[0:3], 0 offset:884
	buffer_load_dword v188, off, s[0:3], 0 offset:880
	buffer_load_dword v234, off, s[0:3], 0 offset:896
	buffer_load_dword v85, off, s[0:3], 0 offset:908
	buffer_load_dword v235, off, s[0:3], 0 offset:900
	buffer_load_dword v73, off, s[0:3], 0 offset:924
	buffer_load_dword v72, off, s[0:3], 0 offset:920
	buffer_load_dword v35, off, s[0:3], 0 offset:916
	buffer_load_dword v34, off, s[0:3], 0 offset:912
	ds_read_b128 v[168:171], v112 offset:1712
	v_accvgpr_write_b32 a235, v123
	v_accvgpr_write_b32 a234, v122
	;; [unrolled: 1-line block ×4, first 2 shown]
	ds_read_b128 v[120:123], v112 offset:1728
	v_fma_f64 v[66:67], v[204:205], v[146:147], -v[66:67]
	ds_read_b128 v[146:149], v112 offset:1744
	ds_read_b128 v[182:185], v112 offset:1760
	s_waitcnt vmcnt(60)
	v_fmac_f64_e32 v[96:97], v[140:141], v[20:21]
	v_add_f64 v[40:41], v[40:41], v[96:97]
	ds_read_b128 v[28:31], v112 offset:1792
	ds_read_b128 v[68:71], v112 offset:1856
	v_accvgpr_write_b32 a243, v21
	v_accvgpr_write_b32 a242, v20
	v_fma_f64 v[76:77], v[208:209], v[98:99], -v[76:77]
	s_waitcnt vmcnt(56) lgkmcnt(6)
	v_mul_f64 v[52:53], v[246:247], v[6:7]
	v_accvgpr_write_b32 a245, v7
	v_accvgpr_write_b32 a244, v6
	s_waitcnt vmcnt(54)
	v_fmac_f64_e32 v[52:53], v[248:249], v[226:227]
	s_waitcnt vmcnt(53) lgkmcnt(5)
	v_mul_f64 v[42:43], v[168:169], v[0:1]
	v_mul_f64 v[6:7], v[46:47], v[144:145]
	v_add_f64 v[40:41], v[40:41], v[52:53]
	s_waitcnt vmcnt(52)
	v_fmac_f64_e32 v[42:43], v[170:171], v[2:3]
	v_accvgpr_write_b32 a247, v3
	v_fma_f64 v[126:127], v[44:45], v[230:231], -v[6:7]
	ds_read_b128 v[44:47], v112 offset:1776
	v_accvgpr_write_b32 a246, v2
	v_add_f64 v[40:41], v[40:41], v[42:43]
	s_waitcnt vmcnt(50) lgkmcnt(5)
	v_mul_f64 v[42:43], v[120:121], v[250:251]
	v_mul_f64 v[2:3], v[24:25], v[190:191]
	s_waitcnt vmcnt(48)
	v_fmac_f64_e32 v[42:43], v[122:123], v[254:255]
	v_fma_f64 v[24:25], v[22:23], v[48:49], -v[2:3]
	s_waitcnt vmcnt(45) lgkmcnt(4)
	v_mul_f64 v[2:3], v[146:147], v[130:131]
	v_add_f64 v[52:53], v[40:41], v[42:43]
	s_waitcnt vmcnt(44)
	v_fmac_f64_e32 v[2:3], v[148:149], v[142:143]
	s_waitcnt vmcnt(41) lgkmcnt(3)
	v_mul_f64 v[4:5], v[182:183], v[152:153]
	v_add_f64 v[2:3], v[52:53], v[2:3]
	s_waitcnt vmcnt(39)
	v_fmac_f64_e32 v[4:5], v[184:185], v[238:239]
	v_add_f64 v[2:3], v[2:3], v[4:5]
	s_waitcnt vmcnt(38) lgkmcnt(0)
	v_mul_f64 v[4:5], v[44:45], v[150:151]
	s_waitcnt vmcnt(36)
	v_fmac_f64_e32 v[4:5], v[46:47], v[228:229]
	ds_read_b128 v[40:43], v112 offset:1808
	v_add_f64 v[2:3], v[2:3], v[4:5]
	v_mul_f64 v[4:5], v[10:11], v[62:63]
	ds_read_b128 v[60:63], v112 offset:1824
	v_fma_f64 v[80:81], v[8:9], v[50:51], -v[4:5]
	s_waitcnt vmcnt(34)
	v_mul_f64 v[4:5], v[28:29], v[158:159]
	s_waitcnt vmcnt(32)
	v_fmac_f64_e32 v[4:5], v[30:31], v[162:163]
	v_add_f64 v[2:3], v[2:3], v[4:5]
	v_mul_f64 v[4:5], v[14:15], v[232:233]
	v_fma_f64 v[82:83], v[12:13], v[220:221], -v[4:5]
	s_waitcnt vmcnt(29) lgkmcnt(1)
	v_mul_f64 v[4:5], v[40:41], v[160:161]
	ds_read_b128 v[12:15], v112 offset:1840
	s_waitcnt vmcnt(28)
	v_fmac_f64_e32 v[4:5], v[42:43], v[252:253]
	v_add_f64 v[2:3], v[2:3], v[4:5]
	v_mul_f64 v[4:5], v[18:19], v[104:105]
	v_fma_f64 v[144:145], v[16:17], v[108:109], -v[4:5]
	s_waitcnt vmcnt(25) lgkmcnt(1)
	v_mul_f64 v[4:5], v[60:61], v[124:125]
	s_waitcnt vmcnt(23)
	v_fmac_f64_e32 v[4:5], v[62:63], v[174:175]
	v_add_f64 v[2:3], v[2:3], v[4:5]
	s_waitcnt vmcnt(21) lgkmcnt(0)
	v_mul_f64 v[4:5], v[12:13], v[136:137]
	ds_read_b128 v[16:19], v112 offset:1872
	ds_read_b128 v[8:11], v112 offset:1888
	s_waitcnt vmcnt(20)
	v_fmac_f64_e32 v[4:5], v[14:15], v[134:135]
	s_waitcnt vmcnt(18)
	v_mul_f64 v[6:7], v[68:69], v[172:173]
	v_add_f64 v[4:5], v[2:3], v[4:5]
	s_waitcnt vmcnt(16)
	v_fmac_f64_e32 v[6:7], v[70:71], v[176:177]
	v_add_f64 v[4:5], v[4:5], v[6:7]
	v_mul_f64 v[6:7], v[156:157], v[198:199]
	v_fma_f64 v[52:53], v[154:155], v[196:197], -v[6:7]
	ds_read_b128 v[154:157], v112 offset:1904
	s_waitcnt vmcnt(14) lgkmcnt(2)
	v_mul_f64 v[6:7], v[16:17], v[78:79]
	s_waitcnt vmcnt(12)
	v_fmac_f64_e32 v[6:7], v[18:19], v[166:167]
	v_add_f64 v[4:5], v[4:5], v[6:7]
	s_waitcnt vmcnt(9) lgkmcnt(1)
	v_mul_f64 v[6:7], v[8:9], v[186:187]
	s_waitcnt vmcnt(7)
	v_fmac_f64_e32 v[6:7], v[10:11], v[188:189]
	v_add_f64 v[4:5], v[4:5], v[6:7]
	;; [unrolled: 5-line block ×3, first 2 shown]
	ds_read_b128 v[4:7], v112 offset:1920
	buffer_load_dword v196, off, s[0:3], 0 offset:936
	buffer_load_dword v197, off, s[0:3], 0 offset:940
	;; [unrolled: 1-line block ×4, first 2 shown]
	v_mul_f64 v[2:3], v[56:57], v[102:103]
	v_fma_f64 v[50:51], v[54:55], v[114:115], -v[2:3]
	v_pk_mov_b32 v[58:59], v[0:1], v[0:1] op_sel:[0,1]
	s_waitcnt vmcnt(6) lgkmcnt(0)
	v_mul_f64 v[22:23], v[4:5], v[72:73]
	s_waitcnt vmcnt(4)
	v_fmac_f64_e32 v[22:23], v[6:7], v[34:35]
	v_add_f64 v[92:93], v[20:21], v[22:23]
	ds_read_b128 v[20:23], v112 offset:1936
	buffer_load_dword v201, off, s[0:3], 0 offset:956
	buffer_load_dword v200, off, s[0:3], 0 offset:952
	buffer_load_dword v203, off, s[0:3], 0 offset:948
	buffer_load_dword v202, off, s[0:3], 0 offset:944
	s_waitcnt vmcnt(6) lgkmcnt(0)
	v_mul_f64 v[94:95], v[20:21], v[196:197]
	s_waitcnt vmcnt(4)
	v_fmac_f64_e32 v[94:95], v[22:23], v[198:199]
	v_add_f64 v[96:97], v[92:93], v[94:95]
	ds_read_b128 v[92:95], v112 offset:1952
	buffer_load_dword v204, off, s[0:3], 0 offset:968
	buffer_load_dword v205, off, s[0:3], 0 offset:972
	buffer_load_dword v206, off, s[0:3], 0 offset:960
	buffer_load_dword v207, off, s[0:3], 0 offset:964
	;; [unrolled: 10-line block ×5, first 2 shown]
	s_waitcnt vmcnt(6) lgkmcnt(0)
	v_mul_f64 v[110:111], v[104:105], v[212:213]
	s_waitcnt vmcnt(4)
	v_fmac_f64_e32 v[110:111], v[106:107], v[214:215]
	v_add_f64 v[114:115], v[108:109], v[110:111]
	ds_read_b128 v[108:111], v112 offset:2016
	s_waitcnt vmcnt(2) lgkmcnt(0)
	v_mul_f64 v[222:223], v[108:109], v[216:217]
	s_waitcnt vmcnt(0)
	v_fmac_f64_e32 v[222:223], v[110:111], v[218:219]
	v_add_f64 v[0:1], v[114:115], v[222:223]
	buffer_load_dword v222, off, s[0:3], 0 offset:1032
	buffer_load_dword v223, off, s[0:3], 0 offset:1036
	;; [unrolled: 1-line block ×4, first 2 shown]
	ds_read_b128 v[112:115], v112 offset:2032
	buffer_load_dword v232, off, s[0:3], 0 offset:16
	buffer_load_dword v233, off, s[0:3], 0 offset:20
	;; [unrolled: 1-line block ×4, first 2 shown]
	s_waitcnt vmcnt(6) lgkmcnt(0)
	v_mul_f64 v[2:3], v[112:113], v[222:223]
	s_waitcnt vmcnt(4)
	v_fmac_f64_e32 v[2:3], v[114:115], v[224:225]
	v_add_f64 v[48:49], v[0:1], v[2:3]
	v_accvgpr_read_b32 v0, a248
	v_accvgpr_read_b32 v1, a249
	;; [unrolled: 1-line block ×3, first 2 shown]
	v_add_f64 v[0:1], v[0:1], 0
	v_accvgpr_read_b32 v3, a251
	v_add_f64 v[0:1], v[0:1], v[2:3]
	v_accvgpr_read_b32 v2, a252
	v_accvgpr_read_b32 v3, a253
	v_add_f64 v[0:1], v[0:1], v[2:3]
	v_add_f64 v[0:1], v[0:1], v[236:237]
	;; [unrolled: 1-line block ×28, first 2 shown]
	v_accvgpr_read_b32 v24, a192
	v_accvgpr_read_b32 v2, a196
	v_add_f64 v[0:1], v[0:1], v[82:83]
	v_accvgpr_read_b32 v26, a194
	v_accvgpr_read_b32 v27, a195
	v_accvgpr_read_b32 v3, a197
	v_add_f64 v[0:1], v[0:1], v[144:145]
	v_mul_f64 v[2:3], v[26:27], v[2:3]
	v_accvgpr_read_b32 v26, a198
	v_add_f64 v[0:1], v[0:1], v[50:51]
	v_accvgpr_read_b32 v25, a193
	v_accvgpr_read_b32 v27, a199
	v_add_f64 v[0:1], v[0:1], v[52:53]
	v_fma_f64 v[2:3], v[24:25], v[26:27], -v[2:3]
	v_add_f64 v[0:1], v[0:1], v[2:3]
	v_accvgpr_read_b32 v24, a200
	v_accvgpr_read_b32 v2, a204
	v_accvgpr_read_b32 v26, a202
	v_accvgpr_read_b32 v27, a203
	v_accvgpr_read_b32 v3, a205
	v_mul_f64 v[2:3], v[26:27], v[2:3]
	v_accvgpr_read_b32 v26, a206
	v_accvgpr_read_b32 v25, a201
	v_accvgpr_read_b32 v27, a207
	v_fma_f64 v[2:3], v[24:25], v[26:27], -v[2:3]
	v_add_f64 v[0:1], v[0:1], v[2:3]
	v_accvgpr_read_b32 v24, a208
	v_accvgpr_read_b32 v2, a216
	v_accvgpr_read_b32 v26, a210
	v_accvgpr_read_b32 v27, a211
	v_accvgpr_read_b32 v3, a217
	v_mul_f64 v[2:3], v[26:27], v[2:3]
	v_accvgpr_read_b32 v26, a218
	v_accvgpr_read_b32 v25, a209
	v_accvgpr_read_b32 v27, a219
	;; [unrolled: 11-line block ×5, first 2 shown]
	v_fma_f64 v[2:3], v[24:25], v[26:27], -v[2:3]
	v_add_f64 v[0:1], v[0:1], v[2:3]
	v_accvgpr_read_b32 v2, a240
	v_accvgpr_read_b32 v3, a241
	;; [unrolled: 1-line block ×3, first 2 shown]
	v_mul_f64 v[2:3], v[140:141], v[2:3]
	v_accvgpr_read_b32 v25, a243
	v_fma_f64 v[2:3], v[138:139], v[24:25], -v[2:3]
	v_add_f64 v[0:1], v[0:1], v[2:3]
	v_accvgpr_read_b32 v2, a244
	v_accvgpr_read_b32 v3, a245
	v_mul_f64 v[2:3], v[248:249], v[2:3]
	v_fma_f64 v[2:3], v[246:247], v[226:227], -v[2:3]
	v_accvgpr_read_b32 v24, a246
	v_add_f64 v[0:1], v[0:1], v[2:3]
	v_mul_f64 v[2:3], v[170:171], v[58:59]
	v_accvgpr_read_b32 v25, a247
	v_fma_f64 v[2:3], v[168:169], v[24:25], -v[2:3]
	v_add_f64 v[0:1], v[0:1], v[2:3]
	v_mul_f64 v[2:3], v[122:123], v[250:251]
	v_fma_f64 v[2:3], v[120:121], v[254:255], -v[2:3]
	v_add_f64 v[0:1], v[0:1], v[2:3]
	v_mul_f64 v[2:3], v[148:149], v[130:131]
	;; [unrolled: 3-line block ×20, first 2 shown]
	v_fma_f64 v[2:3], v[112:113], v[224:225], -v[2:3]
	v_add_f64 v[0:1], v[0:1], v[2:3]
	s_waitcnt vmcnt(2)
	v_add_f64 v[0:1], v[232:233], -v[0:1]
	s_waitcnt vmcnt(0)
	v_add_f64 v[2:3], v[230:231], -v[48:49]
	buffer_store_dword v1, off, s[0:3], 0 offset:20
	buffer_store_dword v0, off, s[0:3], 0 offset:16
	buffer_store_dword v3, off, s[0:3], 0 offset:28
	buffer_store_dword v2, off, s[0:3], 0 offset:24
	s_cbranch_vccz .LBB63_537
; %bb.410:
	v_pk_mov_b32 v[0:1], s[20:21], s[20:21] op_sel:[0,1]
	flat_load_dword v0, v[0:1] offset:248
	s_waitcnt vmcnt(0) lgkmcnt(0)
	v_add_u32_e32 v0, -1, v0
	v_cmp_ne_u32_e32 vcc, 62, v0
	s_and_saveexec_b64 s[4:5], vcc
	s_cbranch_execz .LBB63_412
; %bb.411:
	v_mov_b32_e32 v1, 16
	v_accvgpr_read_b32 v9, a129
	v_lshl_add_u32 v0, v0, 4, v1
	buffer_load_dword v1, v9, s[0:3], 0 offen offset:4
	buffer_load_dword v2, v9, s[0:3], 0 offen offset:8
	buffer_load_dword v3, v9, s[0:3], 0 offen offset:12
	buffer_load_dword v4, v0, s[0:3], 0 offen
	buffer_load_dword v5, v0, s[0:3], 0 offen offset:4
	buffer_load_dword v6, v0, s[0:3], 0 offen offset:8
	buffer_load_dword v7, v0, s[0:3], 0 offen offset:12
	buffer_load_dword v8, v9, s[0:3], 0 offen
	s_waitcnt vmcnt(4)
	buffer_store_dword v4, v9, s[0:3], 0 offen
	s_waitcnt vmcnt(4)
	buffer_store_dword v5, v9, s[0:3], 0 offen offset:4
	s_waitcnt vmcnt(4)
	buffer_store_dword v6, v9, s[0:3], 0 offen offset:8
	s_waitcnt vmcnt(4)
	buffer_store_dword v7, v9, s[0:3], 0 offen offset:12
	buffer_store_dword v3, v0, s[0:3], 0 offen offset:12
	buffer_store_dword v2, v0, s[0:3], 0 offen offset:8
	buffer_store_dword v1, v0, s[0:3], 0 offen offset:4
	s_waitcnt vmcnt(7)
	buffer_store_dword v8, v0, s[0:3], 0 offen
.LBB63_412:
	s_or_b64 exec, exec, s[4:5]
	v_pk_mov_b32 v[0:1], s[20:21], s[20:21] op_sel:[0,1]
	flat_load_dword v0, v[0:1] offset:244
	s_waitcnt vmcnt(0) lgkmcnt(0)
	v_add_u32_e32 v0, -1, v0
	v_cmp_ne_u32_e32 vcc, 61, v0
	s_and_saveexec_b64 s[4:5], vcc
	s_cbranch_execz .LBB63_414
; %bb.413:
	v_mov_b32_e32 v1, 16
	v_accvgpr_read_b32 v9, a130
	v_lshl_add_u32 v0, v0, 4, v1
	buffer_load_dword v1, v9, s[0:3], 0 offen offset:4
	buffer_load_dword v2, v9, s[0:3], 0 offen offset:8
	buffer_load_dword v3, v9, s[0:3], 0 offen offset:12
	buffer_load_dword v4, v0, s[0:3], 0 offen
	buffer_load_dword v5, v0, s[0:3], 0 offen offset:4
	buffer_load_dword v6, v0, s[0:3], 0 offen offset:8
	buffer_load_dword v7, v0, s[0:3], 0 offen offset:12
	buffer_load_dword v8, v9, s[0:3], 0 offen
	s_waitcnt vmcnt(4)
	buffer_store_dword v4, v9, s[0:3], 0 offen
	s_waitcnt vmcnt(4)
	buffer_store_dword v5, v9, s[0:3], 0 offen offset:4
	s_waitcnt vmcnt(4)
	buffer_store_dword v6, v9, s[0:3], 0 offen offset:8
	s_waitcnt vmcnt(4)
	buffer_store_dword v7, v9, s[0:3], 0 offen offset:12
	buffer_store_dword v3, v0, s[0:3], 0 offen offset:12
	buffer_store_dword v2, v0, s[0:3], 0 offen offset:8
	buffer_store_dword v1, v0, s[0:3], 0 offen offset:4
	s_waitcnt vmcnt(7)
	buffer_store_dword v8, v0, s[0:3], 0 offen
.LBB63_414:
	s_or_b64 exec, exec, s[4:5]
	;; [unrolled: 34-line block ×62, first 2 shown]
	v_pk_mov_b32 v[0:1], s[20:21], s[20:21] op_sel:[0,1]
	flat_load_dword v0, v[0:1]
	s_waitcnt vmcnt(0) lgkmcnt(0)
	v_add_u32_e32 v0, -1, v0
	v_cmp_ne_u32_e32 vcc, 0, v0
	s_and_saveexec_b64 s[4:5], vcc
	s_cbranch_execz .LBB63_536
; %bb.535:
	v_mov_b32_e32 v1, 16
	v_lshl_add_u32 v0, v0, 4, v1
	buffer_load_dword v1, v0, s[0:3], 0 offen
	buffer_load_dword v2, v0, s[0:3], 0 offen offset:4
	buffer_load_dword v3, v0, s[0:3], 0 offen offset:8
	;; [unrolled: 1-line block ×3, first 2 shown]
	buffer_load_dword v5, off, s[0:3], 0 offset:28
	buffer_load_dword v6, off, s[0:3], 0 offset:24
	;; [unrolled: 1-line block ×4, first 2 shown]
	s_waitcnt vmcnt(7)
	buffer_store_dword v1, off, s[0:3], 0 offset:16
	s_waitcnt vmcnt(7)
	buffer_store_dword v2, off, s[0:3], 0 offset:20
	;; [unrolled: 2-line block ×4, first 2 shown]
	s_waitcnt vmcnt(7)
	buffer_store_dword v5, v0, s[0:3], 0 offen offset:12
	s_waitcnt vmcnt(7)
	buffer_store_dword v6, v0, s[0:3], 0 offen offset:8
	;; [unrolled: 2-line block ×3, first 2 shown]
	s_waitcnt vmcnt(7)
	buffer_store_dword v8, v0, s[0:3], 0 offen
.LBB63_536:
	s_or_b64 exec, exec, s[4:5]
.LBB63_537:
	buffer_load_dword v0, off, s[0:3], 0 offset:16
	buffer_load_dword v1, off, s[0:3], 0 offset:20
	;; [unrolled: 1-line block ×4, first 2 shown]
	v_accvgpr_read_b32 v4, a72
	v_accvgpr_read_b32 v5, a73
	s_waitcnt vmcnt(0)
	global_store_dwordx4 v[4:5], v[0:3], off
	s_nop 0
	v_accvgpr_read_b32 v3, a190
	buffer_load_dword v0, v3, s[0:3], 0 offen
	buffer_load_dword v1, v3, s[0:3], 0 offen offset:4
	buffer_load_dword v2, v3, s[0:3], 0 offen offset:8
	s_nop 0
	buffer_load_dword v3, v3, s[0:3], 0 offen offset:12
	v_accvgpr_read_b32 v4, a58
	v_accvgpr_read_b32 v5, a59
	s_waitcnt vmcnt(0)
	global_store_dwordx4 v[4:5], v[0:3], off
	s_nop 0
	v_accvgpr_read_b32 v3, a189
	buffer_load_dword v0, v3, s[0:3], 0 offen
	buffer_load_dword v1, v3, s[0:3], 0 offen offset:4
	buffer_load_dword v2, v3, s[0:3], 0 offen offset:8
	s_nop 0
	buffer_load_dword v3, v3, s[0:3], 0 offen offset:12
	;; [unrolled: 11-line block ×22, first 2 shown]
	v_accvgpr_read_b32 v4, a30
	v_accvgpr_read_b32 v5, a31
	s_waitcnt vmcnt(0)
	global_store_dwordx4 v[4:5], v[0:3], off
	v_accvgpr_read_b32 v4, a168
	buffer_load_dword v0, v4, s[0:3], 0 offen
	buffer_load_dword v1, v4, s[0:3], 0 offen offset:4
	buffer_load_dword v2, v4, s[0:3], 0 offen offset:8
	buffer_load_dword v3, v4, s[0:3], 0 offen offset:12
	v_accvgpr_read_b32 v4, a124
	v_accvgpr_read_b32 v5, a125
	s_waitcnt vmcnt(0)
	global_store_dwordx4 v[4:5], v[0:3], off
	v_accvgpr_read_b32 v4, a167
	buffer_load_dword v0, v4, s[0:3], 0 offen
	buffer_load_dword v1, v4, s[0:3], 0 offen offset:4
	buffer_load_dword v2, v4, s[0:3], 0 offen offset:8
	buffer_load_dword v3, v4, s[0:3], 0 offen offset:12
	;; [unrolled: 9-line block ×41, first 2 shown]
	v_accvgpr_read_b32 v5, a1
	v_accvgpr_read_b32 v4, a0
	s_waitcnt vmcnt(0)
	global_store_dwordx4 v[4:5], v[0:3], off
	s_endpgm
	.section	.rodata,"a",@progbits
	.p2align	6, 0x0
	.amdhsa_kernel _ZN9rocsolver6v33100L18getri_kernel_smallILi64E19rocblas_complex_numIdEPS3_EEvT1_iilPiilS6_bb
		.amdhsa_group_segment_fixed_size 2056
		.amdhsa_private_segment_fixed_size 1056
		.amdhsa_kernarg_size 60
		.amdhsa_user_sgpr_count 8
		.amdhsa_user_sgpr_private_segment_buffer 1
		.amdhsa_user_sgpr_dispatch_ptr 0
		.amdhsa_user_sgpr_queue_ptr 0
		.amdhsa_user_sgpr_kernarg_segment_ptr 1
		.amdhsa_user_sgpr_dispatch_id 0
		.amdhsa_user_sgpr_flat_scratch_init 1
		.amdhsa_user_sgpr_kernarg_preload_length 0
		.amdhsa_user_sgpr_kernarg_preload_offset 0
		.amdhsa_user_sgpr_private_segment_size 0
		.amdhsa_uses_dynamic_stack 0
		.amdhsa_system_sgpr_private_segment_wavefront_offset 1
		.amdhsa_system_sgpr_workgroup_id_x 1
		.amdhsa_system_sgpr_workgroup_id_y 0
		.amdhsa_system_sgpr_workgroup_id_z 0
		.amdhsa_system_sgpr_workgroup_info 0
		.amdhsa_system_vgpr_workitem_id 0
		.amdhsa_next_free_vgpr 510
		.amdhsa_next_free_sgpr 30
		.amdhsa_accum_offset 256
		.amdhsa_reserve_vcc 1
		.amdhsa_reserve_flat_scratch 1
		.amdhsa_float_round_mode_32 0
		.amdhsa_float_round_mode_16_64 0
		.amdhsa_float_denorm_mode_32 3
		.amdhsa_float_denorm_mode_16_64 3
		.amdhsa_dx10_clamp 1
		.amdhsa_ieee_mode 1
		.amdhsa_fp16_overflow 0
		.amdhsa_tg_split 0
		.amdhsa_exception_fp_ieee_invalid_op 0
		.amdhsa_exception_fp_denorm_src 0
		.amdhsa_exception_fp_ieee_div_zero 0
		.amdhsa_exception_fp_ieee_overflow 0
		.amdhsa_exception_fp_ieee_underflow 0
		.amdhsa_exception_fp_ieee_inexact 0
		.amdhsa_exception_int_div_zero 0
	.end_amdhsa_kernel
	.section	.text._ZN9rocsolver6v33100L18getri_kernel_smallILi64E19rocblas_complex_numIdEPS3_EEvT1_iilPiilS6_bb,"axG",@progbits,_ZN9rocsolver6v33100L18getri_kernel_smallILi64E19rocblas_complex_numIdEPS3_EEvT1_iilPiilS6_bb,comdat
.Lfunc_end63:
	.size	_ZN9rocsolver6v33100L18getri_kernel_smallILi64E19rocblas_complex_numIdEPS3_EEvT1_iilPiilS6_bb, .Lfunc_end63-_ZN9rocsolver6v33100L18getri_kernel_smallILi64E19rocblas_complex_numIdEPS3_EEvT1_iilPiilS6_bb
                                        ; -- End function
	.section	.AMDGPU.csdata,"",@progbits
; Kernel info:
; codeLenInByte = 254232
; NumSgprs: 36
; NumVgprs: 256
; NumAgprs: 254
; TotalNumVgprs: 510
; ScratchSize: 1056
; MemoryBound: 0
; FloatMode: 240
; IeeeMode: 1
; LDSByteSize: 2056 bytes/workgroup (compile time only)
; SGPRBlocks: 4
; VGPRBlocks: 63
; NumSGPRsForWavesPerEU: 36
; NumVGPRsForWavesPerEU: 510
; AccumOffset: 256
; Occupancy: 1
; WaveLimiterHint : 1
; COMPUTE_PGM_RSRC2:SCRATCH_EN: 1
; COMPUTE_PGM_RSRC2:USER_SGPR: 8
; COMPUTE_PGM_RSRC2:TRAP_HANDLER: 0
; COMPUTE_PGM_RSRC2:TGID_X_EN: 1
; COMPUTE_PGM_RSRC2:TGID_Y_EN: 0
; COMPUTE_PGM_RSRC2:TGID_Z_EN: 0
; COMPUTE_PGM_RSRC2:TIDIG_COMP_CNT: 0
; COMPUTE_PGM_RSRC3_GFX90A:ACCUM_OFFSET: 63
; COMPUTE_PGM_RSRC3_GFX90A:TG_SPLIT: 0
	.section	.text._ZN9rocsolver6v33100L18getri_kernel_smallILi1E19rocblas_complex_numIdEPKPS3_EEvT1_iilPiilS8_bb,"axG",@progbits,_ZN9rocsolver6v33100L18getri_kernel_smallILi1E19rocblas_complex_numIdEPKPS3_EEvT1_iilPiilS8_bb,comdat
	.globl	_ZN9rocsolver6v33100L18getri_kernel_smallILi1E19rocblas_complex_numIdEPKPS3_EEvT1_iilPiilS8_bb ; -- Begin function _ZN9rocsolver6v33100L18getri_kernel_smallILi1E19rocblas_complex_numIdEPKPS3_EEvT1_iilPiilS8_bb
	.p2align	8
	.type	_ZN9rocsolver6v33100L18getri_kernel_smallILi1E19rocblas_complex_numIdEPKPS3_EEvT1_iilPiilS8_bb,@function
_ZN9rocsolver6v33100L18getri_kernel_smallILi1E19rocblas_complex_numIdEPKPS3_EEvT1_iilPiilS8_bb: ; @_ZN9rocsolver6v33100L18getri_kernel_smallILi1E19rocblas_complex_numIdEPKPS3_EEvT1_iilPiilS8_bb
; %bb.0:
	v_cmp_eq_u32_e32 vcc, 0, v0
	s_and_saveexec_b64 s[0:1], vcc
	s_cbranch_execz .LBB64_13
; %bb.1:
	s_load_dword s0, s[4:5], 0x8
	s_load_dword s7, s[4:5], 0x38
	s_load_dwordx2 s[2:3], s[4:5], 0x0
	s_load_dwordx2 s[12:13], s[4:5], 0x30
	s_waitcnt lgkmcnt(0)
	s_ashr_i32 s1, s0, 31
	s_bitcmp1_b32 s7, 0
	s_cselect_b64 s[4:5], -1, 0
	s_ashr_i32 s7, s6, 31
	s_lshl_b64 s[8:9], s[6:7], 3
	s_add_u32 s2, s2, s8
	s_addc_u32 s3, s3, s9
	s_load_dwordx2 s[2:3], s[2:3], 0x0
	s_lshl_b64 s[0:1], s[0:1], 4
	s_waitcnt lgkmcnt(0)
	s_add_u32 s2, s2, s0
	s_addc_u32 s3, s3, s1
	s_load_dwordx4 s[8:11], s[2:3], 0x0
	s_and_b64 vcc, exec, s[4:5]
	s_cbranch_vccnz .LBB64_4
; %bb.2:
	s_lshl_b64 s[0:1], s[6:7], 2
	s_add_u32 s0, s12, s0
	s_addc_u32 s1, s13, s1
	s_load_dword s4, s[0:1], 0x0
	s_waitcnt lgkmcnt(0)
	s_cmp_eq_u32 s4, 0
	s_cselect_b64 s[4:5], -1, 0
	s_cbranch_execz .LBB64_5
; %bb.3:
	s_waitcnt lgkmcnt(0)
	v_pk_mov_b32 v[2:3], s[10:11], s[10:11] op_sel:[0,1]
	v_pk_mov_b32 v[0:1], s[8:9], s[8:9] op_sel:[0,1]
	s_and_b64 vcc, exec, s[4:5]
	s_cbranch_vccnz .LBB64_12
	s_branch .LBB64_13
.LBB64_4:
	s_mov_b64 s[4:5], 0
.LBB64_5:
	s_waitcnt lgkmcnt(0)
	v_cmp_eq_f64_e64 s[0:1], s[8:9], 0
	v_cmp_eq_f64_e64 s[14:15], s[10:11], 0
	s_and_b64 s[0:1], s[0:1], s[14:15]
	v_mov_b32_e32 v0, 0
	s_andn2_b64 vcc, exec, s[0:1]
	ds_write_b32 v0, v0
	s_waitcnt lgkmcnt(0)
	; wave barrier
	s_waitcnt lgkmcnt(0)
	s_cbranch_vccnz .LBB64_10
; %bb.6:
	ds_read_b32 v1, v0
	s_waitcnt lgkmcnt(0)
	v_readfirstlane_b32 s14, v1
	s_cmp_lg_u32 s14, 0
	s_cselect_b64 s[0:1], -1, 0
	s_cmp_lt_i32 s14, 2
	s_cselect_b64 s[14:15], -1, 0
	s_and_b64 s[0:1], s[0:1], s[14:15]
	s_and_b64 vcc, exec, s[0:1]
	s_cbranch_vccnz .LBB64_10
; %bb.7:
	s_mov_b64 s[14:15], 0
	v_mov_b32_e32 v2, 1
	v_mov_b32_e32 v3, 0
.LBB64_8:                               ; =>This Inner Loop Header: Depth=1
	ds_cmpst_rtn_b32 v1, v3, v1, v2
	s_waitcnt lgkmcnt(0)
	v_cmp_ne_u32_e32 vcc, 0, v1
	v_cmp_gt_i32_e64 s[0:1], 2, v1
	s_and_b64 s[0:1], vcc, s[0:1]
	s_and_b64 s[0:1], exec, s[0:1]
	s_or_b64 s[14:15], s[0:1], s[14:15]
	s_andn2_b64 exec, exec, s[14:15]
	s_cbranch_execnz .LBB64_8
; %bb.9:
	s_or_b64 exec, exec, s[14:15]
.LBB64_10:
	s_waitcnt lgkmcnt(0)
	; wave barrier
	ds_read_b32 v1, v0
	s_lshl_b64 s[0:1], s[6:7], 2
	s_add_u32 s0, s12, s0
	s_addc_u32 s1, s13, s1
	s_waitcnt lgkmcnt(0)
	v_cmp_ne_u32_e32 vcc, 0, v1
	global_store_dword v0, v1, s[0:1]
	s_cbranch_vccz .LBB64_14
; %bb.11:
                                        ; implicit-def: $vgpr0_vgpr1
	s_and_b64 vcc, exec, s[4:5]
	s_cbranch_vccz .LBB64_13
.LBB64_12:
	v_mov_b32_e32 v4, 0
	global_store_dwordx4 v4, v[0:3], s[2:3]
.LBB64_13:
	s_endpgm
.LBB64_14:
	v_cmp_lt_f64_e64 s[4:5], s[8:9], 0
	s_xor_b32 s6, s9, 0x80000000
	s_and_b64 s[4:5], s[4:5], exec
	s_cselect_b32 s5, s6, s9
	s_cselect_b32 s4, s8, s8
	v_cmp_lt_f64_e64 s[6:7], s[10:11], 0
	s_xor_b32 s12, s11, 0x80000000
	s_and_b64 s[6:7], s[6:7], exec
	s_cselect_b32 s6, s12, s11
	s_cselect_b32 s7, s10, s10
	v_mov_b32_e32 v0, s7
	v_mov_b32_e32 v1, s6
	v_cmp_ngt_f64_e32 vcc, s[4:5], v[0:1]
	s_mov_b64 s[0:1], 0
	s_cbranch_vccz .LBB64_16
; %bb.15:
	v_pk_mov_b32 v[0:1], s[8:9], s[8:9] op_sel:[0,1]
	v_div_scale_f64 v[2:3], s[4:5], s[10:11], s[10:11], v[0:1]
	v_rcp_f64_e32 v[4:5], v[2:3]
	v_pk_mov_b32 v[6:7], s[10:11], s[10:11] op_sel:[0,1]
	v_fma_f64 v[8:9], -v[2:3], v[4:5], 1.0
	v_fmac_f64_e32 v[4:5], v[4:5], v[8:9]
	v_fma_f64 v[8:9], -v[2:3], v[4:5], 1.0
	v_fmac_f64_e32 v[4:5], v[4:5], v[8:9]
	v_div_scale_f64 v[8:9], vcc, s[8:9], v[6:7], s[8:9]
	v_mul_f64 v[10:11], v[8:9], v[4:5]
	v_fma_f64 v[2:3], -v[2:3], v[10:11], v[8:9]
	s_nop 1
	v_div_fmas_f64 v[2:3], v[2:3], v[4:5], v[10:11]
	v_div_fixup_f64 v[0:1], v[2:3], s[10:11], v[0:1]
	v_fma_f64 v[2:3], s[8:9], v[0:1], v[6:7]
	v_div_scale_f64 v[4:5], s[4:5], v[2:3], v[2:3], 1.0
	v_rcp_f64_e32 v[6:7], v[4:5]
	v_fma_f64 v[8:9], -v[4:5], v[6:7], 1.0
	v_fmac_f64_e32 v[6:7], v[6:7], v[8:9]
	v_fma_f64 v[8:9], -v[4:5], v[6:7], 1.0
	v_fmac_f64_e32 v[6:7], v[6:7], v[8:9]
	v_div_scale_f64 v[8:9], vcc, 1.0, v[2:3], 1.0
	v_mul_f64 v[10:11], v[8:9], v[6:7]
	v_fma_f64 v[4:5], -v[4:5], v[10:11], v[8:9]
	s_nop 1
	v_div_fmas_f64 v[4:5], v[4:5], v[6:7], v[10:11]
	v_div_fixup_f64 v[2:3], v[4:5], v[2:3], 1.0
	v_mul_f64 v[0:1], v[0:1], v[2:3]
	v_xor_b32_e32 v3, 0x80000000, v3
	s_andn2_b64 vcc, exec, s[0:1]
	s_cbranch_vccz .LBB64_17
	s_branch .LBB64_18
.LBB64_16:
                                        ; implicit-def: $vgpr0_vgpr1
.LBB64_17:
	v_pk_mov_b32 v[0:1], s[10:11], s[10:11] op_sel:[0,1]
	v_div_scale_f64 v[2:3], s[0:1], s[8:9], s[8:9], v[0:1]
	v_rcp_f64_e32 v[4:5], v[2:3]
	v_pk_mov_b32 v[6:7], s[8:9], s[8:9] op_sel:[0,1]
	v_fma_f64 v[8:9], -v[2:3], v[4:5], 1.0
	v_fmac_f64_e32 v[4:5], v[4:5], v[8:9]
	v_fma_f64 v[8:9], -v[2:3], v[4:5], 1.0
	v_fmac_f64_e32 v[4:5], v[4:5], v[8:9]
	v_div_scale_f64 v[8:9], vcc, s[10:11], v[6:7], s[10:11]
	v_mul_f64 v[10:11], v[8:9], v[4:5]
	v_fma_f64 v[2:3], -v[2:3], v[10:11], v[8:9]
	s_nop 1
	v_div_fmas_f64 v[2:3], v[2:3], v[4:5], v[10:11]
	v_div_fixup_f64 v[2:3], v[2:3], s[8:9], v[0:1]
	v_fma_f64 v[0:1], s[10:11], v[2:3], v[6:7]
	v_div_scale_f64 v[4:5], s[0:1], v[0:1], v[0:1], 1.0
	v_rcp_f64_e32 v[6:7], v[4:5]
	v_fma_f64 v[8:9], -v[4:5], v[6:7], 1.0
	v_fmac_f64_e32 v[6:7], v[6:7], v[8:9]
	v_fma_f64 v[8:9], -v[4:5], v[6:7], 1.0
	v_fmac_f64_e32 v[6:7], v[6:7], v[8:9]
	v_div_scale_f64 v[8:9], vcc, 1.0, v[0:1], 1.0
	v_mul_f64 v[10:11], v[8:9], v[6:7]
	v_fma_f64 v[4:5], -v[4:5], v[10:11], v[8:9]
	s_nop 1
	v_div_fmas_f64 v[4:5], v[4:5], v[6:7], v[10:11]
	v_div_fixup_f64 v[0:1], v[4:5], v[0:1], 1.0
	v_mul_f64 v[2:3], v[2:3], -v[0:1]
.LBB64_18:
	s_cbranch_execnz .LBB64_12
	s_branch .LBB64_13
	.section	.rodata,"a",@progbits
	.p2align	6, 0x0
	.amdhsa_kernel _ZN9rocsolver6v33100L18getri_kernel_smallILi1E19rocblas_complex_numIdEPKPS3_EEvT1_iilPiilS8_bb
		.amdhsa_group_segment_fixed_size 4
		.amdhsa_private_segment_fixed_size 0
		.amdhsa_kernarg_size 60
		.amdhsa_user_sgpr_count 6
		.amdhsa_user_sgpr_private_segment_buffer 1
		.amdhsa_user_sgpr_dispatch_ptr 0
		.amdhsa_user_sgpr_queue_ptr 0
		.amdhsa_user_sgpr_kernarg_segment_ptr 1
		.amdhsa_user_sgpr_dispatch_id 0
		.amdhsa_user_sgpr_flat_scratch_init 0
		.amdhsa_user_sgpr_kernarg_preload_length 0
		.amdhsa_user_sgpr_kernarg_preload_offset 0
		.amdhsa_user_sgpr_private_segment_size 0
		.amdhsa_uses_dynamic_stack 0
		.amdhsa_system_sgpr_private_segment_wavefront_offset 0
		.amdhsa_system_sgpr_workgroup_id_x 1
		.amdhsa_system_sgpr_workgroup_id_y 0
		.amdhsa_system_sgpr_workgroup_id_z 0
		.amdhsa_system_sgpr_workgroup_info 0
		.amdhsa_system_vgpr_workitem_id 0
		.amdhsa_next_free_vgpr 12
		.amdhsa_next_free_sgpr 16
		.amdhsa_accum_offset 12
		.amdhsa_reserve_vcc 1
		.amdhsa_reserve_flat_scratch 0
		.amdhsa_float_round_mode_32 0
		.amdhsa_float_round_mode_16_64 0
		.amdhsa_float_denorm_mode_32 3
		.amdhsa_float_denorm_mode_16_64 3
		.amdhsa_dx10_clamp 1
		.amdhsa_ieee_mode 1
		.amdhsa_fp16_overflow 0
		.amdhsa_tg_split 0
		.amdhsa_exception_fp_ieee_invalid_op 0
		.amdhsa_exception_fp_denorm_src 0
		.amdhsa_exception_fp_ieee_div_zero 0
		.amdhsa_exception_fp_ieee_overflow 0
		.amdhsa_exception_fp_ieee_underflow 0
		.amdhsa_exception_fp_ieee_inexact 0
		.amdhsa_exception_int_div_zero 0
	.end_amdhsa_kernel
	.section	.text._ZN9rocsolver6v33100L18getri_kernel_smallILi1E19rocblas_complex_numIdEPKPS3_EEvT1_iilPiilS8_bb,"axG",@progbits,_ZN9rocsolver6v33100L18getri_kernel_smallILi1E19rocblas_complex_numIdEPKPS3_EEvT1_iilPiilS8_bb,comdat
.Lfunc_end64:
	.size	_ZN9rocsolver6v33100L18getri_kernel_smallILi1E19rocblas_complex_numIdEPKPS3_EEvT1_iilPiilS8_bb, .Lfunc_end64-_ZN9rocsolver6v33100L18getri_kernel_smallILi1E19rocblas_complex_numIdEPKPS3_EEvT1_iilPiilS8_bb
                                        ; -- End function
	.section	.AMDGPU.csdata,"",@progbits
; Kernel info:
; codeLenInByte = 900
; NumSgprs: 20
; NumVgprs: 12
; NumAgprs: 0
; TotalNumVgprs: 12
; ScratchSize: 0
; MemoryBound: 0
; FloatMode: 240
; IeeeMode: 1
; LDSByteSize: 4 bytes/workgroup (compile time only)
; SGPRBlocks: 2
; VGPRBlocks: 1
; NumSGPRsForWavesPerEU: 20
; NumVGPRsForWavesPerEU: 12
; AccumOffset: 12
; Occupancy: 8
; WaveLimiterHint : 1
; COMPUTE_PGM_RSRC2:SCRATCH_EN: 0
; COMPUTE_PGM_RSRC2:USER_SGPR: 6
; COMPUTE_PGM_RSRC2:TRAP_HANDLER: 0
; COMPUTE_PGM_RSRC2:TGID_X_EN: 1
; COMPUTE_PGM_RSRC2:TGID_Y_EN: 0
; COMPUTE_PGM_RSRC2:TGID_Z_EN: 0
; COMPUTE_PGM_RSRC2:TIDIG_COMP_CNT: 0
; COMPUTE_PGM_RSRC3_GFX90A:ACCUM_OFFSET: 2
; COMPUTE_PGM_RSRC3_GFX90A:TG_SPLIT: 0
	.section	.text._ZN9rocsolver6v33100L18getri_kernel_smallILi2E19rocblas_complex_numIdEPKPS3_EEvT1_iilPiilS8_bb,"axG",@progbits,_ZN9rocsolver6v33100L18getri_kernel_smallILi2E19rocblas_complex_numIdEPKPS3_EEvT1_iilPiilS8_bb,comdat
	.globl	_ZN9rocsolver6v33100L18getri_kernel_smallILi2E19rocblas_complex_numIdEPKPS3_EEvT1_iilPiilS8_bb ; -- Begin function _ZN9rocsolver6v33100L18getri_kernel_smallILi2E19rocblas_complex_numIdEPKPS3_EEvT1_iilPiilS8_bb
	.p2align	8
	.type	_ZN9rocsolver6v33100L18getri_kernel_smallILi2E19rocblas_complex_numIdEPKPS3_EEvT1_iilPiilS8_bb,@function
_ZN9rocsolver6v33100L18getri_kernel_smallILi2E19rocblas_complex_numIdEPKPS3_EEvT1_iilPiilS8_bb: ; @_ZN9rocsolver6v33100L18getri_kernel_smallILi2E19rocblas_complex_numIdEPKPS3_EEvT1_iilPiilS8_bb
; %bb.0:
	s_add_u32 flat_scratch_lo, s8, s11
	s_addc_u32 flat_scratch_hi, s9, 0
	s_add_u32 s0, s0, s11
	v_and_b32_e32 v1, 0x3ff, v0
	s_addc_u32 s1, s1, 0
	v_cmp_gt_u32_e32 vcc, 2, v1
	s_and_saveexec_b64 s[8:9], vcc
	s_cbranch_execz .LBB65_22
; %bb.1:
	s_load_dword s20, s[6:7], 0x38
	s_load_dwordx2 s[8:9], s[6:7], 0x0
	s_load_dwordx4 s[12:15], s[6:7], 0x28
	s_waitcnt lgkmcnt(0)
	s_bitcmp1_b32 s20, 8
	s_cselect_b64 s[16:17], -1, 0
	s_ashr_i32 s11, s10, 31
	s_lshl_b64 s[18:19], s[10:11], 3
	s_add_u32 s8, s8, s18
	s_addc_u32 s9, s9, s19
	s_load_dwordx2 s[8:9], s[8:9], 0x0
	s_bfe_u32 s18, s20, 0x10008
	s_cmp_eq_u32 s18, 0
                                        ; implicit-def: $sgpr18_sgpr19
	s_cbranch_scc1 .LBB65_3
; %bb.2:
	s_load_dword s18, s[6:7], 0x20
	s_load_dwordx2 s[22:23], s[6:7], 0x18
	s_mul_i32 s13, s10, s13
	s_mul_hi_u32 s19, s10, s12
	s_add_i32 s13, s19, s13
	s_mul_i32 s21, s11, s12
	s_add_i32 s13, s13, s21
	s_mul_i32 s12, s10, s12
	s_waitcnt lgkmcnt(0)
	s_ashr_i32 s19, s18, 31
	s_lshl_b64 s[12:13], s[12:13], 2
	s_add_u32 s21, s22, s12
	s_addc_u32 s22, s23, s13
	s_lshl_b64 s[12:13], s[18:19], 2
	s_add_u32 s18, s21, s12
	s_addc_u32 s19, s22, s13
.LBB65_3:
	s_load_dwordx2 s[6:7], s[6:7], 0x8
	v_lshlrev_b32_e32 v17, 4, v1
	v_mov_b32_e32 v14, 0
	v_add_u32_e32 v16, 16, v14
	s_waitcnt lgkmcnt(0)
	s_ashr_i32 s13, s6, 31
	s_mov_b32 s12, s6
	s_lshl_b64 s[12:13], s[12:13], 4
	s_add_u32 s8, s8, s12
	s_addc_u32 s9, s9, s13
	v_mov_b32_e32 v2, s9
	v_add_co_u32_e32 v6, vcc, s8, v17
	v_addc_co_u32_e32 v7, vcc, 0, v2, vcc
	global_load_dwordx4 v[2:5], v17, s[8:9]
	s_ashr_i32 s9, s7, 31
	s_mov_b32 s8, s7
	s_lshl_b64 s[6:7], s[8:9], 4
	v_mov_b32_e32 v9, s7
	v_add_co_u32_e32 v8, vcc, s6, v6
	v_addc_co_u32_e32 v9, vcc, v7, v9, vcc
	global_load_dwordx4 v[10:13], v[8:9], off
	s_bitcmp0_b32 s20, 0
	s_mov_b64 s[8:9], -1
	s_waitcnt vmcnt(1)
	buffer_store_dword v5, off, s[0:3], 0 offset:12
	buffer_store_dword v4, off, s[0:3], 0 offset:8
	;; [unrolled: 1-line block ×3, first 2 shown]
	buffer_store_dword v2, off, s[0:3], 0
	s_waitcnt vmcnt(4)
	buffer_store_dword v13, off, s[0:3], 0 offset:28
	buffer_store_dword v12, off, s[0:3], 0 offset:24
	;; [unrolled: 1-line block ×4, first 2 shown]
	s_cbranch_scc1 .LBB65_20
; %bb.4:
	v_cmp_eq_u32_e64 s[6:7], 0, v1
	s_and_saveexec_b64 s[8:9], s[6:7]
	s_cbranch_execz .LBB65_6
; %bb.5:
	v_mov_b32_e32 v2, 0
	ds_write_b32 v2, v2 offset:64
.LBB65_6:
	s_or_b64 exec, exec, s[8:9]
	v_mov_b32_e32 v2, 0
	v_lshl_add_u32 v18, v1, 4, v2
	s_waitcnt lgkmcnt(0)
	; wave barrier
	s_waitcnt lgkmcnt(0)
	buffer_load_dword v2, v18, s[0:3], 0 offen
	buffer_load_dword v3, v18, s[0:3], 0 offen offset:4
	buffer_load_dword v4, v18, s[0:3], 0 offen offset:8
	;; [unrolled: 1-line block ×3, first 2 shown]
	s_waitcnt vmcnt(2)
	v_cmp_eq_f64_e32 vcc, 0, v[2:3]
	s_waitcnt vmcnt(0)
	v_cmp_eq_f64_e64 s[8:9], 0, v[4:5]
	s_and_b64 s[8:9], vcc, s[8:9]
	s_and_saveexec_b64 s[12:13], s[8:9]
	s_cbranch_execz .LBB65_10
; %bb.7:
	v_mov_b32_e32 v2, 0
	ds_read_b32 v4, v2 offset:64
	v_add_u32_e32 v3, 1, v1
	s_waitcnt lgkmcnt(0)
	v_readfirstlane_b32 s8, v4
	s_cmp_eq_u32 s8, 0
	s_cselect_b64 s[20:21], -1, 0
	v_cmp_gt_i32_e32 vcc, s8, v3
	s_or_b64 s[20:21], s[20:21], vcc
	s_and_b64 exec, exec, s[20:21]
	s_cbranch_execz .LBB65_10
; %bb.8:
	s_mov_b64 s[20:21], 0
	v_mov_b32_e32 v4, s8
.LBB65_9:                               ; =>This Inner Loop Header: Depth=1
	ds_cmpst_rtn_b32 v4, v2, v4, v3 offset:64
	s_waitcnt lgkmcnt(0)
	v_cmp_ne_u32_e32 vcc, 0, v4
	v_cmp_le_i32_e64 s[8:9], v4, v3
	s_and_b64 s[8:9], vcc, s[8:9]
	s_and_b64 s[8:9], exec, s[8:9]
	s_or_b64 s[20:21], s[8:9], s[20:21]
	s_andn2_b64 exec, exec, s[20:21]
	s_cbranch_execnz .LBB65_9
.LBB65_10:
	s_or_b64 exec, exec, s[12:13]
	v_mov_b32_e32 v3, 0
	s_waitcnt lgkmcnt(0)
	; wave barrier
	ds_read_b32 v2, v3 offset:64
	s_and_saveexec_b64 s[8:9], s[6:7]
	s_cbranch_execz .LBB65_12
; %bb.11:
	s_lshl_b64 s[12:13], s[10:11], 2
	s_add_u32 s12, s14, s12
	s_addc_u32 s13, s15, s13
	s_waitcnt lgkmcnt(0)
	global_store_dword v3, v2, s[12:13]
.LBB65_12:
	s_or_b64 exec, exec, s[8:9]
	s_waitcnt lgkmcnt(0)
	v_cmp_ne_u32_e32 vcc, 0, v2
	s_mov_b64 s[8:9], 0
	s_cbranch_vccnz .LBB65_20
; %bb.13:
	buffer_load_dword v11, v18, s[0:3], 0 offen offset:4
	buffer_load_dword v10, v18, s[0:3], 0 offen
	buffer_load_dword v13, v18, s[0:3], 0 offen offset:12
	buffer_load_dword v12, v18, s[0:3], 0 offen offset:8
                                        ; implicit-def: $vgpr14_vgpr15
	s_waitcnt vmcnt(3)
	v_xor_b32_e32 v3, 0x80000000, v11
	s_waitcnt vmcnt(2)
	v_cmp_gt_f64_e32 vcc, 0, v[10:11]
	s_waitcnt vmcnt(1)
	v_xor_b32_e32 v4, 0x80000000, v13
	v_cndmask_b32_e32 v3, v11, v3, vcc
	s_waitcnt vmcnt(0)
	v_cmp_gt_f64_e32 vcc, 0, v[12:13]
	v_mov_b32_e32 v2, v10
	v_cndmask_b32_e32 v5, v13, v4, vcc
	v_mov_b32_e32 v4, v12
	v_cmp_ngt_f64_e32 vcc, v[2:3], v[4:5]
                                        ; implicit-def: $vgpr4_vgpr5
	s_and_saveexec_b64 s[8:9], vcc
	s_xor_b64 s[8:9], exec, s[8:9]
	s_cbranch_execz .LBB65_15
; %bb.14:
	v_div_scale_f64 v[2:3], s[12:13], v[12:13], v[12:13], v[10:11]
	v_rcp_f64_e32 v[4:5], v[2:3]
	v_div_scale_f64 v[14:15], vcc, v[10:11], v[12:13], v[10:11]
	v_fma_f64 v[20:21], -v[2:3], v[4:5], 1.0
	v_fmac_f64_e32 v[4:5], v[4:5], v[20:21]
	v_fma_f64 v[20:21], -v[2:3], v[4:5], 1.0
	v_fmac_f64_e32 v[4:5], v[4:5], v[20:21]
	v_mul_f64 v[20:21], v[14:15], v[4:5]
	v_fma_f64 v[2:3], -v[2:3], v[20:21], v[14:15]
	v_div_fmas_f64 v[2:3], v[2:3], v[4:5], v[20:21]
	v_div_fixup_f64 v[2:3], v[2:3], v[12:13], v[10:11]
	v_fmac_f64_e32 v[12:13], v[10:11], v[2:3]
	v_div_scale_f64 v[4:5], s[12:13], v[12:13], v[12:13], 1.0
	v_rcp_f64_e32 v[10:11], v[4:5]
	v_fma_f64 v[14:15], -v[4:5], v[10:11], 1.0
	v_fmac_f64_e32 v[10:11], v[10:11], v[14:15]
	v_fma_f64 v[14:15], -v[4:5], v[10:11], 1.0
	v_fmac_f64_e32 v[10:11], v[10:11], v[14:15]
	v_div_scale_f64 v[14:15], vcc, 1.0, v[12:13], 1.0
	v_mul_f64 v[20:21], v[14:15], v[10:11]
	v_fma_f64 v[4:5], -v[4:5], v[20:21], v[14:15]
	s_nop 1
	v_div_fmas_f64 v[4:5], v[4:5], v[10:11], v[20:21]
	v_div_fixup_f64 v[4:5], v[4:5], v[12:13], 1.0
	v_mul_f64 v[14:15], v[2:3], v[4:5]
	v_xor_b32_e32 v5, 0x80000000, v5
	v_xor_b32_e32 v3, 0x80000000, v15
	v_mov_b32_e32 v2, v14
                                        ; implicit-def: $vgpr10_vgpr11
                                        ; implicit-def: $vgpr12_vgpr13
.LBB65_15:
	s_andn2_saveexec_b64 s[8:9], s[8:9]
	s_cbranch_execz .LBB65_17
; %bb.16:
	v_div_scale_f64 v[2:3], s[12:13], v[10:11], v[10:11], v[12:13]
	v_rcp_f64_e32 v[4:5], v[2:3]
	v_div_scale_f64 v[14:15], vcc, v[12:13], v[10:11], v[12:13]
	v_fma_f64 v[20:21], -v[2:3], v[4:5], 1.0
	v_fmac_f64_e32 v[4:5], v[4:5], v[20:21]
	v_fma_f64 v[20:21], -v[2:3], v[4:5], 1.0
	v_fmac_f64_e32 v[4:5], v[4:5], v[20:21]
	v_mul_f64 v[20:21], v[14:15], v[4:5]
	v_fma_f64 v[2:3], -v[2:3], v[20:21], v[14:15]
	v_div_fmas_f64 v[2:3], v[2:3], v[4:5], v[20:21]
	v_div_fixup_f64 v[4:5], v[2:3], v[10:11], v[12:13]
	v_fmac_f64_e32 v[10:11], v[12:13], v[4:5]
	v_div_scale_f64 v[2:3], s[12:13], v[10:11], v[10:11], 1.0
	v_rcp_f64_e32 v[12:13], v[2:3]
	v_fma_f64 v[14:15], -v[2:3], v[12:13], 1.0
	v_fmac_f64_e32 v[12:13], v[12:13], v[14:15]
	v_fma_f64 v[14:15], -v[2:3], v[12:13], 1.0
	v_fmac_f64_e32 v[12:13], v[12:13], v[14:15]
	v_div_scale_f64 v[14:15], vcc, 1.0, v[10:11], 1.0
	v_mul_f64 v[20:21], v[14:15], v[12:13]
	v_fma_f64 v[2:3], -v[2:3], v[20:21], v[14:15]
	s_nop 1
	v_div_fmas_f64 v[2:3], v[2:3], v[12:13], v[20:21]
	v_div_fixup_f64 v[14:15], v[2:3], v[10:11], 1.0
	v_xor_b32_e32 v3, 0x80000000, v15
	v_mov_b32_e32 v2, v14
	v_mul_f64 v[4:5], v[4:5], -v[14:15]
.LBB65_17:
	s_or_b64 exec, exec, s[8:9]
	buffer_store_dword v15, v18, s[0:3], 0 offen offset:4
	buffer_store_dword v14, v18, s[0:3], 0 offen
	buffer_store_dword v5, v18, s[0:3], 0 offen offset:12
	buffer_store_dword v4, v18, s[0:3], 0 offen offset:8
	buffer_load_dword v13, v16, s[0:3], 0 offen offset:12
	buffer_load_dword v12, v16, s[0:3], 0 offen offset:8
	;; [unrolled: 1-line block ×3, first 2 shown]
	buffer_load_dword v10, v16, s[0:3], 0 offen
	v_xor_b32_e32 v5, 0x80000000, v5
	ds_write_b128 v17, v[2:5]
	s_waitcnt vmcnt(0)
	ds_write_b128 v17, v[10:13] offset:32
	s_waitcnt lgkmcnt(0)
	; wave barrier
	s_waitcnt lgkmcnt(0)
	s_and_saveexec_b64 s[8:9], s[6:7]
	s_cbranch_execz .LBB65_19
; %bb.18:
	buffer_load_dword v14, off, s[0:3], 0 offset:8
	buffer_load_dword v15, off, s[0:3], 0 offset:12
	buffer_load_dword v18, off, s[0:3], 0
	buffer_load_dword v19, off, s[0:3], 0 offset:4
	v_mov_b32_e32 v10, 0
	ds_read_b128 v[2:5], v10 offset:32
	ds_read_b128 v[10:13], v10 offset:16
	s_waitcnt vmcnt(2) lgkmcnt(1)
	v_mul_f64 v[20:21], v[4:5], v[14:15]
	v_mul_f64 v[14:15], v[2:3], v[14:15]
	s_waitcnt vmcnt(0)
	v_fmac_f64_e32 v[14:15], v[4:5], v[18:19]
	v_fma_f64 v[2:3], v[2:3], v[18:19], -v[20:21]
	v_add_f64 v[4:5], v[14:15], 0
	v_add_f64 v[2:3], v[2:3], 0
	s_waitcnt lgkmcnt(0)
	v_mul_f64 v[14:15], v[4:5], v[12:13]
	v_mul_f64 v[12:13], v[2:3], v[12:13]
	v_fma_f64 v[2:3], v[2:3], v[10:11], -v[14:15]
	v_fmac_f64_e32 v[12:13], v[4:5], v[10:11]
	buffer_store_dword v3, off, s[0:3], 0 offset:20
	buffer_store_dword v2, off, s[0:3], 0 offset:16
	;; [unrolled: 1-line block ×4, first 2 shown]
.LBB65_19:
	s_or_b64 exec, exec, s[8:9]
	s_mov_b64 s[8:9], -1
	s_waitcnt lgkmcnt(0)
	; wave barrier
.LBB65_20:
	s_and_b64 vcc, exec, s[8:9]
	s_cbranch_vccz .LBB65_22
; %bb.21:
	s_lshl_b64 s[6:7], s[10:11], 2
	s_add_u32 s6, s14, s6
	s_addc_u32 s7, s15, s7
	v_mov_b32_e32 v2, 0
	global_load_dword v2, v2, s[6:7]
	s_waitcnt vmcnt(0)
	v_cmp_ne_u32_e32 vcc, 0, v2
	s_cbranch_vccz .LBB65_23
.LBB65_22:
	s_endpgm
.LBB65_23:
	v_cmp_eq_u32_e32 vcc, 1, v1
	s_and_saveexec_b64 s[6:7], vcc
	s_cbranch_execz .LBB65_25
; %bb.24:
	buffer_load_dword v2, off, s[0:3], 0
	buffer_load_dword v3, off, s[0:3], 0 offset:4
	buffer_load_dword v4, off, s[0:3], 0 offset:8
	;; [unrolled: 1-line block ×3, first 2 shown]
	v_mov_b32_e32 v10, 0
	buffer_store_dword v10, off, s[0:3], 0
	buffer_store_dword v10, off, s[0:3], 0 offset:4
	buffer_store_dword v10, off, s[0:3], 0 offset:8
	;; [unrolled: 1-line block ×3, first 2 shown]
	s_waitcnt vmcnt(4)
	ds_write_b128 v10, v[2:5] offset:48
.LBB65_25:
	s_or_b64 exec, exec, s[6:7]
	s_waitcnt lgkmcnt(0)
	; wave barrier
	s_waitcnt lgkmcnt(0)
	buffer_load_dword v10, off, s[0:3], 0 offset:24
	buffer_load_dword v11, off, s[0:3], 0 offset:28
	;; [unrolled: 1-line block ×4, first 2 shown]
	buffer_load_dword v14, off, s[0:3], 0
	buffer_load_dword v15, off, s[0:3], 0 offset:4
	buffer_load_dword v18, off, s[0:3], 0 offset:8
	;; [unrolled: 1-line block ×3, first 2 shown]
	v_mov_b32_e32 v2, 0
	ds_read_b128 v[2:5], v2 offset:48
	s_andn2_b64 vcc, exec, s[16:17]
	s_waitcnt vmcnt(6) lgkmcnt(0)
	v_mul_f64 v[20:21], v[4:5], v[10:11]
	v_mul_f64 v[10:11], v[2:3], v[10:11]
	s_waitcnt vmcnt(4)
	v_fma_f64 v[2:3], v[2:3], v[12:13], -v[20:21]
	v_fmac_f64_e32 v[10:11], v[4:5], v[12:13]
	v_add_f64 v[2:3], v[2:3], 0
	v_add_f64 v[4:5], v[10:11], 0
	s_waitcnt vmcnt(2)
	v_add_f64 v[2:3], v[14:15], -v[2:3]
	s_waitcnt vmcnt(0)
	v_add_f64 v[4:5], v[18:19], -v[4:5]
	buffer_store_dword v2, off, s[0:3], 0
	buffer_store_dword v3, off, s[0:3], 0 offset:4
	buffer_store_dword v4, off, s[0:3], 0 offset:8
	;; [unrolled: 1-line block ×3, first 2 shown]
	s_cbranch_vccnz .LBB65_29
; %bb.26:
	v_pk_mov_b32 v[2:3], s[18:19], s[18:19] op_sel:[0,1]
	flat_load_dword v2, v[2:3]
	s_waitcnt vmcnt(0) lgkmcnt(0)
	v_add_u32_e32 v2, -1, v2
	v_cmp_ne_u32_e32 vcc, 0, v2
	s_and_saveexec_b64 s[6:7], vcc
	s_cbranch_execz .LBB65_28
; %bb.27:
	v_mov_b32_e32 v3, 0
	v_lshl_add_u32 v10, v2, 4, v3
	buffer_load_dword v2, off, s[0:3], 0
	buffer_load_dword v3, off, s[0:3], 0 offset:4
	buffer_load_dword v4, off, s[0:3], 0 offset:8
	;; [unrolled: 1-line block ×3, first 2 shown]
	buffer_load_dword v11, v10, s[0:3], 0 offen
	buffer_load_dword v12, v10, s[0:3], 0 offen offset:4
	buffer_load_dword v13, v10, s[0:3], 0 offen offset:8
	buffer_load_dword v14, v10, s[0:3], 0 offen offset:12
	s_load_dwordx2 s[4:5], s[4:5], 0x4
	v_bfe_u32 v15, v0, 10, 10
	v_bfe_u32 v0, v0, 20, 10
	s_waitcnt lgkmcnt(0)
	s_lshr_b32 s4, s4, 16
	v_mul_u32_u24_e32 v15, s5, v15
	s_mul_i32 s4, s4, s5
	v_mad_u32_u24 v1, s4, v1, v15
	v_add_lshl_u32 v0, v1, v0, 4
	s_waitcnt vmcnt(4)
	ds_write2_b64 v0, v[2:3], v[4:5] offset0:9 offset1:10
	s_waitcnt vmcnt(3)
	buffer_store_dword v11, off, s[0:3], 0
	s_waitcnt vmcnt(3)
	buffer_store_dword v12, off, s[0:3], 0 offset:4
	s_waitcnt vmcnt(3)
	buffer_store_dword v13, off, s[0:3], 0 offset:8
	;; [unrolled: 2-line block ×3, first 2 shown]
	buffer_store_dword v5, v10, s[0:3], 0 offen offset:12
	buffer_store_dword v4, v10, s[0:3], 0 offen offset:8
	;; [unrolled: 1-line block ×3, first 2 shown]
	buffer_store_dword v2, v10, s[0:3], 0 offen
.LBB65_28:
	s_or_b64 exec, exec, s[6:7]
.LBB65_29:
	buffer_load_dword v0, off, s[0:3], 0
	buffer_load_dword v1, off, s[0:3], 0 offset:4
	buffer_load_dword v2, off, s[0:3], 0 offset:8
	;; [unrolled: 1-line block ×3, first 2 shown]
	buffer_load_dword v10, v16, s[0:3], 0 offen
	buffer_load_dword v11, v16, s[0:3], 0 offen offset:4
	buffer_load_dword v12, v16, s[0:3], 0 offen offset:8
	buffer_load_dword v13, v16, s[0:3], 0 offen offset:12
	s_waitcnt vmcnt(4)
	global_store_dwordx4 v[6:7], v[0:3], off
	s_waitcnt vmcnt(1)
	global_store_dwordx4 v[8:9], v[10:13], off
	s_endpgm
	.section	.rodata,"a",@progbits
	.p2align	6, 0x0
	.amdhsa_kernel _ZN9rocsolver6v33100L18getri_kernel_smallILi2E19rocblas_complex_numIdEPKPS3_EEvT1_iilPiilS8_bb
		.amdhsa_group_segment_fixed_size 1096
		.amdhsa_private_segment_fixed_size 48
		.amdhsa_kernarg_size 60
		.amdhsa_user_sgpr_count 10
		.amdhsa_user_sgpr_private_segment_buffer 1
		.amdhsa_user_sgpr_dispatch_ptr 1
		.amdhsa_user_sgpr_queue_ptr 0
		.amdhsa_user_sgpr_kernarg_segment_ptr 1
		.amdhsa_user_sgpr_dispatch_id 0
		.amdhsa_user_sgpr_flat_scratch_init 1
		.amdhsa_user_sgpr_kernarg_preload_length 0
		.amdhsa_user_sgpr_kernarg_preload_offset 0
		.amdhsa_user_sgpr_private_segment_size 0
		.amdhsa_uses_dynamic_stack 0
		.amdhsa_system_sgpr_private_segment_wavefront_offset 1
		.amdhsa_system_sgpr_workgroup_id_x 1
		.amdhsa_system_sgpr_workgroup_id_y 0
		.amdhsa_system_sgpr_workgroup_id_z 0
		.amdhsa_system_sgpr_workgroup_info 0
		.amdhsa_system_vgpr_workitem_id 2
		.amdhsa_next_free_vgpr 22
		.amdhsa_next_free_sgpr 24
		.amdhsa_accum_offset 24
		.amdhsa_reserve_vcc 1
		.amdhsa_reserve_flat_scratch 1
		.amdhsa_float_round_mode_32 0
		.amdhsa_float_round_mode_16_64 0
		.amdhsa_float_denorm_mode_32 3
		.amdhsa_float_denorm_mode_16_64 3
		.amdhsa_dx10_clamp 1
		.amdhsa_ieee_mode 1
		.amdhsa_fp16_overflow 0
		.amdhsa_tg_split 0
		.amdhsa_exception_fp_ieee_invalid_op 0
		.amdhsa_exception_fp_denorm_src 0
		.amdhsa_exception_fp_ieee_div_zero 0
		.amdhsa_exception_fp_ieee_overflow 0
		.amdhsa_exception_fp_ieee_underflow 0
		.amdhsa_exception_fp_ieee_inexact 0
		.amdhsa_exception_int_div_zero 0
	.end_amdhsa_kernel
	.section	.text._ZN9rocsolver6v33100L18getri_kernel_smallILi2E19rocblas_complex_numIdEPKPS3_EEvT1_iilPiilS8_bb,"axG",@progbits,_ZN9rocsolver6v33100L18getri_kernel_smallILi2E19rocblas_complex_numIdEPKPS3_EEvT1_iilPiilS8_bb,comdat
.Lfunc_end65:
	.size	_ZN9rocsolver6v33100L18getri_kernel_smallILi2E19rocblas_complex_numIdEPKPS3_EEvT1_iilPiilS8_bb, .Lfunc_end65-_ZN9rocsolver6v33100L18getri_kernel_smallILi2E19rocblas_complex_numIdEPKPS3_EEvT1_iilPiilS8_bb
                                        ; -- End function
	.section	.AMDGPU.csdata,"",@progbits
; Kernel info:
; codeLenInByte = 2124
; NumSgprs: 30
; NumVgprs: 22
; NumAgprs: 0
; TotalNumVgprs: 22
; ScratchSize: 48
; MemoryBound: 0
; FloatMode: 240
; IeeeMode: 1
; LDSByteSize: 1096 bytes/workgroup (compile time only)
; SGPRBlocks: 3
; VGPRBlocks: 2
; NumSGPRsForWavesPerEU: 30
; NumVGPRsForWavesPerEU: 22
; AccumOffset: 24
; Occupancy: 8
; WaveLimiterHint : 1
; COMPUTE_PGM_RSRC2:SCRATCH_EN: 1
; COMPUTE_PGM_RSRC2:USER_SGPR: 10
; COMPUTE_PGM_RSRC2:TRAP_HANDLER: 0
; COMPUTE_PGM_RSRC2:TGID_X_EN: 1
; COMPUTE_PGM_RSRC2:TGID_Y_EN: 0
; COMPUTE_PGM_RSRC2:TGID_Z_EN: 0
; COMPUTE_PGM_RSRC2:TIDIG_COMP_CNT: 2
; COMPUTE_PGM_RSRC3_GFX90A:ACCUM_OFFSET: 5
; COMPUTE_PGM_RSRC3_GFX90A:TG_SPLIT: 0
	.section	.text._ZN9rocsolver6v33100L18getri_kernel_smallILi3E19rocblas_complex_numIdEPKPS3_EEvT1_iilPiilS8_bb,"axG",@progbits,_ZN9rocsolver6v33100L18getri_kernel_smallILi3E19rocblas_complex_numIdEPKPS3_EEvT1_iilPiilS8_bb,comdat
	.globl	_ZN9rocsolver6v33100L18getri_kernel_smallILi3E19rocblas_complex_numIdEPKPS3_EEvT1_iilPiilS8_bb ; -- Begin function _ZN9rocsolver6v33100L18getri_kernel_smallILi3E19rocblas_complex_numIdEPKPS3_EEvT1_iilPiilS8_bb
	.p2align	8
	.type	_ZN9rocsolver6v33100L18getri_kernel_smallILi3E19rocblas_complex_numIdEPKPS3_EEvT1_iilPiilS8_bb,@function
_ZN9rocsolver6v33100L18getri_kernel_smallILi3E19rocblas_complex_numIdEPKPS3_EEvT1_iilPiilS8_bb: ; @_ZN9rocsolver6v33100L18getri_kernel_smallILi3E19rocblas_complex_numIdEPKPS3_EEvT1_iilPiilS8_bb
; %bb.0:
	s_add_u32 flat_scratch_lo, s8, s11
	s_addc_u32 flat_scratch_hi, s9, 0
	s_add_u32 s0, s0, s11
	v_and_b32_e32 v1, 0x3ff, v0
	s_addc_u32 s1, s1, 0
	v_cmp_gt_u32_e32 vcc, 3, v1
	s_and_saveexec_b64 s[8:9], vcc
	s_cbranch_execz .LBB66_26
; %bb.1:
	s_load_dword s20, s[6:7], 0x38
	s_load_dwordx2 s[8:9], s[6:7], 0x0
	s_load_dwordx4 s[12:15], s[6:7], 0x28
	s_waitcnt lgkmcnt(0)
	s_bitcmp1_b32 s20, 8
	s_cselect_b64 s[18:19], -1, 0
	s_ashr_i32 s11, s10, 31
	s_lshl_b64 s[16:17], s[10:11], 3
	s_add_u32 s8, s8, s16
	s_addc_u32 s9, s9, s17
	s_load_dwordx2 s[8:9], s[8:9], 0x0
	s_bfe_u32 s16, s20, 0x10008
	s_cmp_eq_u32 s16, 0
                                        ; implicit-def: $sgpr16_sgpr17
	s_cbranch_scc1 .LBB66_3
; %bb.2:
	s_load_dword s16, s[6:7], 0x20
	s_load_dwordx2 s[22:23], s[6:7], 0x18
	s_mul_i32 s13, s10, s13
	s_mul_hi_u32 s17, s10, s12
	s_add_i32 s13, s17, s13
	s_mul_i32 s21, s11, s12
	s_add_i32 s13, s13, s21
	s_mul_i32 s12, s10, s12
	s_waitcnt lgkmcnt(0)
	s_ashr_i32 s17, s16, 31
	s_lshl_b64 s[12:13], s[12:13], 2
	s_add_u32 s21, s22, s12
	s_addc_u32 s22, s23, s13
	s_lshl_b64 s[12:13], s[16:17], 2
	s_add_u32 s16, s21, s12
	s_addc_u32 s17, s22, s13
.LBB66_3:
	s_load_dwordx2 s[6:7], s[6:7], 0x8
	v_lshlrev_b32_e32 v21, 4, v1
	s_waitcnt lgkmcnt(0)
	s_ashr_i32 s13, s6, 31
	s_mov_b32 s12, s6
	s_lshl_b64 s[12:13], s[12:13], 4
	s_add_u32 s8, s8, s12
	s_addc_u32 s9, s9, s13
	v_mov_b32_e32 v2, s9
	v_add_co_u32_e32 v6, vcc, s8, v21
	v_addc_co_u32_e32 v7, vcc, 0, v2, vcc
	global_load_dwordx4 v[2:5], v21, s[8:9]
	s_ashr_i32 s13, s7, 31
	s_mov_b32 s12, s7
	s_lshl_b64 s[12:13], s[12:13], 4
	v_mov_b32_e32 v9, s13
	v_add_co_u32_e32 v8, vcc, s12, v6
	s_add_i32 s6, s7, s7
	v_addc_co_u32_e32 v9, vcc, v7, v9, vcc
	global_load_dwordx4 v[12:15], v[8:9], off
	v_add_u32_e32 v10, s6, v1
	v_ashrrev_i32_e32 v11, 31, v10
	v_lshlrev_b64 v[10:11], 4, v[10:11]
	v_mov_b32_e32 v16, s9
	v_add_co_u32_e32 v10, vcc, s8, v10
	v_addc_co_u32_e32 v11, vcc, v16, v11, vcc
	global_load_dwordx4 v[22:25], v[10:11], off
	v_mov_b32_e32 v16, 0
	v_add_u32_e32 v19, 16, v16
	v_add_u32_e32 v18, 32, v16
	s_bitcmp0_b32 s20, 0
	s_mov_b64 s[8:9], -1
	s_waitcnt vmcnt(2)
	buffer_store_dword v5, off, s[0:3], 0 offset:12
	buffer_store_dword v4, off, s[0:3], 0 offset:8
	;; [unrolled: 1-line block ×3, first 2 shown]
	buffer_store_dword v2, off, s[0:3], 0
	s_waitcnt vmcnt(5)
	buffer_store_dword v15, off, s[0:3], 0 offset:28
	buffer_store_dword v14, off, s[0:3], 0 offset:24
	;; [unrolled: 1-line block ×4, first 2 shown]
	s_waitcnt vmcnt(8)
	buffer_store_dword v25, off, s[0:3], 0 offset:44
	buffer_store_dword v24, off, s[0:3], 0 offset:40
	;; [unrolled: 1-line block ×4, first 2 shown]
	s_cbranch_scc1 .LBB66_24
; %bb.4:
	v_cmp_eq_u32_e64 s[6:7], 0, v1
	s_and_saveexec_b64 s[8:9], s[6:7]
	s_cbranch_execz .LBB66_6
; %bb.5:
	v_mov_b32_e32 v2, 0
	ds_write_b32 v2, v2 offset:96
.LBB66_6:
	s_or_b64 exec, exec, s[8:9]
	v_mov_b32_e32 v2, 0
	v_lshl_add_u32 v20, v1, 4, v2
	s_waitcnt lgkmcnt(0)
	; wave barrier
	s_waitcnt lgkmcnt(0)
	buffer_load_dword v2, v20, s[0:3], 0 offen
	buffer_load_dword v3, v20, s[0:3], 0 offen offset:4
	buffer_load_dword v4, v20, s[0:3], 0 offen offset:8
	;; [unrolled: 1-line block ×3, first 2 shown]
	s_waitcnt vmcnt(2)
	v_cmp_eq_f64_e32 vcc, 0, v[2:3]
	s_waitcnt vmcnt(0)
	v_cmp_eq_f64_e64 s[8:9], 0, v[4:5]
	s_and_b64 s[8:9], vcc, s[8:9]
	s_and_saveexec_b64 s[12:13], s[8:9]
	s_cbranch_execz .LBB66_10
; %bb.7:
	v_mov_b32_e32 v2, 0
	ds_read_b32 v4, v2 offset:96
	v_add_u32_e32 v3, 1, v1
	s_waitcnt lgkmcnt(0)
	v_readfirstlane_b32 s8, v4
	s_cmp_eq_u32 s8, 0
	s_cselect_b64 s[20:21], -1, 0
	v_cmp_gt_i32_e32 vcc, s8, v3
	s_or_b64 s[20:21], s[20:21], vcc
	s_and_b64 exec, exec, s[20:21]
	s_cbranch_execz .LBB66_10
; %bb.8:
	s_mov_b64 s[20:21], 0
	v_mov_b32_e32 v4, s8
.LBB66_9:                               ; =>This Inner Loop Header: Depth=1
	ds_cmpst_rtn_b32 v4, v2, v4, v3 offset:96
	s_waitcnt lgkmcnt(0)
	v_cmp_ne_u32_e32 vcc, 0, v4
	v_cmp_le_i32_e64 s[8:9], v4, v3
	s_and_b64 s[8:9], vcc, s[8:9]
	s_and_b64 s[8:9], exec, s[8:9]
	s_or_b64 s[20:21], s[8:9], s[20:21]
	s_andn2_b64 exec, exec, s[20:21]
	s_cbranch_execnz .LBB66_9
.LBB66_10:
	s_or_b64 exec, exec, s[12:13]
	v_mov_b32_e32 v3, 0
	s_waitcnt lgkmcnt(0)
	; wave barrier
	ds_read_b32 v2, v3 offset:96
	s_and_saveexec_b64 s[8:9], s[6:7]
	s_cbranch_execz .LBB66_12
; %bb.11:
	s_lshl_b64 s[12:13], s[10:11], 2
	s_add_u32 s12, s14, s12
	s_addc_u32 s13, s15, s13
	s_waitcnt lgkmcnt(0)
	global_store_dword v3, v2, s[12:13]
.LBB66_12:
	s_or_b64 exec, exec, s[8:9]
	s_waitcnt lgkmcnt(0)
	v_cmp_ne_u32_e32 vcc, 0, v2
	s_mov_b64 s[8:9], 0
	s_cbranch_vccnz .LBB66_24
; %bb.13:
	buffer_load_dword v13, v20, s[0:3], 0 offen offset:4
	buffer_load_dword v12, v20, s[0:3], 0 offen
	buffer_load_dword v15, v20, s[0:3], 0 offen offset:12
	buffer_load_dword v14, v20, s[0:3], 0 offen offset:8
                                        ; implicit-def: $vgpr16_vgpr17
	s_waitcnt vmcnt(3)
	v_xor_b32_e32 v3, 0x80000000, v13
	s_waitcnt vmcnt(2)
	v_cmp_gt_f64_e32 vcc, 0, v[12:13]
	s_waitcnt vmcnt(1)
	v_xor_b32_e32 v4, 0x80000000, v15
	v_cndmask_b32_e32 v3, v13, v3, vcc
	s_waitcnt vmcnt(0)
	v_cmp_gt_f64_e32 vcc, 0, v[14:15]
	v_mov_b32_e32 v2, v12
	v_cndmask_b32_e32 v5, v15, v4, vcc
	v_mov_b32_e32 v4, v14
	v_cmp_ngt_f64_e32 vcc, v[2:3], v[4:5]
                                        ; implicit-def: $vgpr4_vgpr5
	s_and_saveexec_b64 s[8:9], vcc
	s_xor_b64 s[8:9], exec, s[8:9]
	s_cbranch_execz .LBB66_15
; %bb.14:
	v_div_scale_f64 v[2:3], s[12:13], v[14:15], v[14:15], v[12:13]
	v_rcp_f64_e32 v[4:5], v[2:3]
	v_div_scale_f64 v[16:17], vcc, v[12:13], v[14:15], v[12:13]
	v_fma_f64 v[22:23], -v[2:3], v[4:5], 1.0
	v_fmac_f64_e32 v[4:5], v[4:5], v[22:23]
	v_fma_f64 v[22:23], -v[2:3], v[4:5], 1.0
	v_fmac_f64_e32 v[4:5], v[4:5], v[22:23]
	v_mul_f64 v[22:23], v[16:17], v[4:5]
	v_fma_f64 v[2:3], -v[2:3], v[22:23], v[16:17]
	v_div_fmas_f64 v[2:3], v[2:3], v[4:5], v[22:23]
	v_div_fixup_f64 v[2:3], v[2:3], v[14:15], v[12:13]
	v_fmac_f64_e32 v[14:15], v[12:13], v[2:3]
	v_div_scale_f64 v[4:5], s[12:13], v[14:15], v[14:15], 1.0
	v_rcp_f64_e32 v[12:13], v[4:5]
	v_fma_f64 v[16:17], -v[4:5], v[12:13], 1.0
	v_fmac_f64_e32 v[12:13], v[12:13], v[16:17]
	v_fma_f64 v[16:17], -v[4:5], v[12:13], 1.0
	v_fmac_f64_e32 v[12:13], v[12:13], v[16:17]
	v_div_scale_f64 v[16:17], vcc, 1.0, v[14:15], 1.0
	v_mul_f64 v[22:23], v[16:17], v[12:13]
	v_fma_f64 v[4:5], -v[4:5], v[22:23], v[16:17]
	s_nop 1
	v_div_fmas_f64 v[4:5], v[4:5], v[12:13], v[22:23]
	v_div_fixup_f64 v[4:5], v[4:5], v[14:15], 1.0
	v_mul_f64 v[16:17], v[2:3], v[4:5]
	v_xor_b32_e32 v5, 0x80000000, v5
	v_xor_b32_e32 v3, 0x80000000, v17
	v_mov_b32_e32 v2, v16
                                        ; implicit-def: $vgpr12_vgpr13
                                        ; implicit-def: $vgpr14_vgpr15
.LBB66_15:
	s_andn2_saveexec_b64 s[8:9], s[8:9]
	s_cbranch_execz .LBB66_17
; %bb.16:
	v_div_scale_f64 v[2:3], s[12:13], v[12:13], v[12:13], v[14:15]
	v_rcp_f64_e32 v[4:5], v[2:3]
	v_div_scale_f64 v[16:17], vcc, v[14:15], v[12:13], v[14:15]
	v_fma_f64 v[22:23], -v[2:3], v[4:5], 1.0
	v_fmac_f64_e32 v[4:5], v[4:5], v[22:23]
	v_fma_f64 v[22:23], -v[2:3], v[4:5], 1.0
	v_fmac_f64_e32 v[4:5], v[4:5], v[22:23]
	v_mul_f64 v[22:23], v[16:17], v[4:5]
	v_fma_f64 v[2:3], -v[2:3], v[22:23], v[16:17]
	v_div_fmas_f64 v[2:3], v[2:3], v[4:5], v[22:23]
	v_div_fixup_f64 v[4:5], v[2:3], v[12:13], v[14:15]
	v_fmac_f64_e32 v[12:13], v[14:15], v[4:5]
	v_div_scale_f64 v[2:3], s[12:13], v[12:13], v[12:13], 1.0
	v_rcp_f64_e32 v[14:15], v[2:3]
	v_fma_f64 v[16:17], -v[2:3], v[14:15], 1.0
	v_fmac_f64_e32 v[14:15], v[14:15], v[16:17]
	v_fma_f64 v[16:17], -v[2:3], v[14:15], 1.0
	v_fmac_f64_e32 v[14:15], v[14:15], v[16:17]
	v_div_scale_f64 v[16:17], vcc, 1.0, v[12:13], 1.0
	v_mul_f64 v[22:23], v[16:17], v[14:15]
	v_fma_f64 v[2:3], -v[2:3], v[22:23], v[16:17]
	s_nop 1
	v_div_fmas_f64 v[2:3], v[2:3], v[14:15], v[22:23]
	v_div_fixup_f64 v[16:17], v[2:3], v[12:13], 1.0
	v_xor_b32_e32 v3, 0x80000000, v17
	v_mov_b32_e32 v2, v16
	v_mul_f64 v[4:5], v[4:5], -v[16:17]
.LBB66_17:
	s_or_b64 exec, exec, s[8:9]
	buffer_store_dword v17, v20, s[0:3], 0 offen offset:4
	buffer_store_dword v16, v20, s[0:3], 0 offen
	buffer_store_dword v5, v20, s[0:3], 0 offen offset:12
	buffer_store_dword v4, v20, s[0:3], 0 offen offset:8
	buffer_load_dword v17, v19, s[0:3], 0 offen offset:12
	s_nop 0
	buffer_load_dword v16, v19, s[0:3], 0 offen offset:8
	buffer_load_dword v15, v19, s[0:3], 0 offen offset:4
	buffer_load_dword v14, v19, s[0:3], 0 offen
	v_xor_b32_e32 v5, 0x80000000, v5
	v_add_u32_e32 v12, 48, v21
	ds_write_b128 v21, v[2:5]
	s_waitcnt vmcnt(0)
	ds_write_b128 v21, v[14:17] offset:48
	s_waitcnt lgkmcnt(0)
	; wave barrier
	s_waitcnt lgkmcnt(0)
	s_and_saveexec_b64 s[8:9], s[6:7]
	s_cbranch_execz .LBB66_19
; %bb.18:
	buffer_load_dword v22, v20, s[0:3], 0 offen offset:8
	buffer_load_dword v23, v20, s[0:3], 0 offen offset:12
	buffer_load_dword v24, v20, s[0:3], 0 offen
	buffer_load_dword v25, v20, s[0:3], 0 offen offset:4
	ds_read_b128 v[2:5], v12
	v_mov_b32_e32 v13, 0
	ds_read_b128 v[14:17], v13 offset:16
	s_waitcnt vmcnt(2) lgkmcnt(1)
	v_mul_f64 v[26:27], v[4:5], v[22:23]
	v_mul_f64 v[22:23], v[2:3], v[22:23]
	s_waitcnt vmcnt(0)
	v_fmac_f64_e32 v[22:23], v[4:5], v[24:25]
	v_fma_f64 v[2:3], v[2:3], v[24:25], -v[26:27]
	v_add_f64 v[4:5], v[22:23], 0
	v_add_f64 v[2:3], v[2:3], 0
	s_waitcnt lgkmcnt(0)
	v_mul_f64 v[22:23], v[4:5], v[16:17]
	v_mul_f64 v[16:17], v[2:3], v[16:17]
	v_fma_f64 v[2:3], v[2:3], v[14:15], -v[22:23]
	v_fmac_f64_e32 v[16:17], v[4:5], v[14:15]
	buffer_store_dword v2, off, s[0:3], 0 offset:16
	buffer_store_dword v3, off, s[0:3], 0 offset:20
	;; [unrolled: 1-line block ×4, first 2 shown]
.LBB66_19:
	s_or_b64 exec, exec, s[8:9]
	s_waitcnt lgkmcnt(0)
	; wave barrier
	buffer_load_dword v2, v18, s[0:3], 0 offen
	buffer_load_dword v3, v18, s[0:3], 0 offen offset:4
	buffer_load_dword v4, v18, s[0:3], 0 offen offset:8
	;; [unrolled: 1-line block ×3, first 2 shown]
	v_cmp_ne_u32_e32 vcc, 2, v1
	s_waitcnt vmcnt(0)
	ds_write_b128 v12, v[2:5]
	s_waitcnt lgkmcnt(0)
	; wave barrier
	s_waitcnt lgkmcnt(0)
	s_and_saveexec_b64 s[8:9], vcc
	s_cbranch_execz .LBB66_23
; %bb.20:
	buffer_load_dword v14, v20, s[0:3], 0 offen offset:8
	buffer_load_dword v15, v20, s[0:3], 0 offen offset:12
	buffer_load_dword v16, v20, s[0:3], 0 offen
	buffer_load_dword v17, v20, s[0:3], 0 offen offset:4
	ds_read_b128 v[2:5], v12
	s_waitcnt vmcnt(2) lgkmcnt(0)
	v_mul_f64 v[12:13], v[4:5], v[14:15]
	v_mul_f64 v[14:15], v[2:3], v[14:15]
	s_waitcnt vmcnt(0)
	v_fma_f64 v[2:3], v[2:3], v[16:17], -v[12:13]
	v_fmac_f64_e32 v[14:15], v[4:5], v[16:17]
	v_add_f64 v[4:5], v[2:3], 0
	v_add_f64 v[2:3], v[14:15], 0
	s_and_saveexec_b64 s[12:13], s[6:7]
	s_cbranch_execz .LBB66_22
; %bb.21:
	buffer_load_dword v16, off, s[0:3], 0 offset:24
	buffer_load_dword v17, off, s[0:3], 0 offset:28
	;; [unrolled: 1-line block ×4, first 2 shown]
	v_mov_b32_e32 v12, 0
	ds_read_b128 v[12:15], v12 offset:64
	s_waitcnt vmcnt(2) lgkmcnt(0)
	v_mul_f64 v[22:23], v[12:13], v[16:17]
	v_mul_f64 v[16:17], v[14:15], v[16:17]
	s_waitcnt vmcnt(0)
	v_fmac_f64_e32 v[22:23], v[14:15], v[20:21]
	v_fma_f64 v[12:13], v[12:13], v[20:21], -v[16:17]
	v_add_f64 v[2:3], v[2:3], v[22:23]
	v_add_f64 v[4:5], v[4:5], v[12:13]
.LBB66_22:
	s_or_b64 exec, exec, s[12:13]
	v_mov_b32_e32 v12, 0
	ds_read_b128 v[12:15], v12 offset:32
	s_waitcnt lgkmcnt(0)
	v_mul_f64 v[16:17], v[2:3], v[14:15]
	v_mul_f64 v[14:15], v[4:5], v[14:15]
	v_fma_f64 v[4:5], v[4:5], v[12:13], -v[16:17]
	v_fmac_f64_e32 v[14:15], v[2:3], v[12:13]
	buffer_store_dword v5, off, s[0:3], 0 offset:36
	buffer_store_dword v4, off, s[0:3], 0 offset:32
	;; [unrolled: 1-line block ×4, first 2 shown]
.LBB66_23:
	s_or_b64 exec, exec, s[8:9]
	s_mov_b64 s[8:9], -1
	s_waitcnt lgkmcnt(0)
	; wave barrier
.LBB66_24:
	s_and_b64 vcc, exec, s[8:9]
	s_cbranch_vccz .LBB66_26
; %bb.25:
	s_lshl_b64 s[6:7], s[10:11], 2
	s_add_u32 s6, s14, s6
	s_addc_u32 s7, s15, s7
	v_mov_b32_e32 v2, 0
	global_load_dword v2, v2, s[6:7]
	s_waitcnt vmcnt(0)
	v_cmp_ne_u32_e32 vcc, 0, v2
	s_cbranch_vccz .LBB66_27
.LBB66_26:
	s_endpgm
.LBB66_27:
	v_lshl_add_u32 v2, v1, 4, 48
	v_cmp_eq_u32_e32 vcc, 2, v1
	s_and_saveexec_b64 s[6:7], vcc
	s_cbranch_execz .LBB66_29
; %bb.28:
	buffer_load_dword v12, v19, s[0:3], 0 offen
	buffer_load_dword v13, v19, s[0:3], 0 offen offset:4
	buffer_load_dword v14, v19, s[0:3], 0 offen offset:8
	;; [unrolled: 1-line block ×3, first 2 shown]
	v_mov_b32_e32 v3, 0
	buffer_store_dword v3, off, s[0:3], 0 offset:16
	buffer_store_dword v3, off, s[0:3], 0 offset:20
	;; [unrolled: 1-line block ×4, first 2 shown]
	s_waitcnt vmcnt(4)
	ds_write_b128 v2, v[12:15]
.LBB66_29:
	s_or_b64 exec, exec, s[6:7]
	s_waitcnt lgkmcnt(0)
	; wave barrier
	s_waitcnt lgkmcnt(0)
	buffer_load_dword v4, off, s[0:3], 0 offset:40
	buffer_load_dword v5, off, s[0:3], 0 offset:44
	;; [unrolled: 1-line block ×8, first 2 shown]
	v_mov_b32_e32 v3, 0
	ds_read_b128 v[12:15], v3 offset:80
	v_cmp_ne_u32_e32 vcc, 0, v1
	s_waitcnt vmcnt(6) lgkmcnt(0)
	v_mul_f64 v[24:25], v[12:13], v[4:5]
	v_mul_f64 v[4:5], v[14:15], v[4:5]
	s_waitcnt vmcnt(4)
	v_fma_f64 v[4:5], v[12:13], v[16:17], -v[4:5]
	v_fmac_f64_e32 v[24:25], v[14:15], v[16:17]
	v_add_f64 v[4:5], v[4:5], 0
	v_add_f64 v[12:13], v[24:25], 0
	s_waitcnt vmcnt(2)
	v_add_f64 v[4:5], v[20:21], -v[4:5]
	s_waitcnt vmcnt(0)
	v_add_f64 v[12:13], v[22:23], -v[12:13]
	buffer_store_dword v4, off, s[0:3], 0 offset:16
	buffer_store_dword v5, off, s[0:3], 0 offset:20
	;; [unrolled: 1-line block ×4, first 2 shown]
	s_and_saveexec_b64 s[6:7], vcc
	s_cbranch_execz .LBB66_31
; %bb.30:
	buffer_load_dword v12, off, s[0:3], 0
	buffer_load_dword v13, off, s[0:3], 0 offset:4
	buffer_load_dword v14, off, s[0:3], 0 offset:8
	;; [unrolled: 1-line block ×3, first 2 shown]
	s_nop 0
	buffer_store_dword v3, off, s[0:3], 0
	buffer_store_dword v3, off, s[0:3], 0 offset:4
	buffer_store_dword v3, off, s[0:3], 0 offset:8
	;; [unrolled: 1-line block ×3, first 2 shown]
	s_waitcnt vmcnt(4)
	ds_write_b128 v2, v[12:15]
.LBB66_31:
	s_or_b64 exec, exec, s[6:7]
	s_waitcnt lgkmcnt(0)
	; wave barrier
	s_waitcnt lgkmcnt(0)
	buffer_load_dword v16, off, s[0:3], 0 offset:24
	buffer_load_dword v17, off, s[0:3], 0 offset:28
	buffer_load_dword v20, off, s[0:3], 0 offset:40
	buffer_load_dword v21, off, s[0:3], 0 offset:44
	buffer_load_dword v22, off, s[0:3], 0 offset:16
	buffer_load_dword v23, off, s[0:3], 0 offset:20
	buffer_load_dword v24, off, s[0:3], 0 offset:32
	buffer_load_dword v25, off, s[0:3], 0 offset:36
	buffer_load_dword v26, off, s[0:3], 0
	buffer_load_dword v27, off, s[0:3], 0 offset:4
	buffer_load_dword v28, off, s[0:3], 0 offset:8
	;; [unrolled: 1-line block ×3, first 2 shown]
	ds_read_b128 v[12:15], v3 offset:64
	ds_read_b128 v[2:5], v3 offset:80
	s_and_b64 vcc, exec, s[18:19]
	s_waitcnt vmcnt(10) lgkmcnt(1)
	v_mul_f64 v[30:31], v[12:13], v[16:17]
	v_mul_f64 v[16:17], v[14:15], v[16:17]
	s_waitcnt vmcnt(8) lgkmcnt(0)
	v_mul_f64 v[32:33], v[2:3], v[20:21]
	v_mul_f64 v[20:21], v[4:5], v[20:21]
	s_waitcnt vmcnt(6)
	v_fmac_f64_e32 v[30:31], v[14:15], v[22:23]
	s_waitcnt vmcnt(4)
	v_fmac_f64_e32 v[32:33], v[4:5], v[24:25]
	v_fma_f64 v[4:5], v[12:13], v[22:23], -v[16:17]
	v_fma_f64 v[2:3], v[2:3], v[24:25], -v[20:21]
	v_add_f64 v[4:5], v[4:5], 0
	v_add_f64 v[12:13], v[30:31], 0
	;; [unrolled: 1-line block ×4, first 2 shown]
	s_waitcnt vmcnt(2)
	v_add_f64 v[2:3], v[26:27], -v[2:3]
	s_waitcnt vmcnt(0)
	v_add_f64 v[4:5], v[28:29], -v[12:13]
	buffer_store_dword v2, off, s[0:3], 0
	buffer_store_dword v3, off, s[0:3], 0 offset:4
	buffer_store_dword v4, off, s[0:3], 0 offset:8
	;; [unrolled: 1-line block ×3, first 2 shown]
	s_cbranch_vccz .LBB66_37
; %bb.32:
	v_pk_mov_b32 v[2:3], s[16:17], s[16:17] op_sel:[0,1]
	flat_load_dword v2, v[2:3] offset:4
	s_load_dwordx2 s[4:5], s[4:5], 0x4
	v_bfe_u32 v3, v0, 10, 10
	v_bfe_u32 v0, v0, 20, 10
	s_waitcnt lgkmcnt(0)
	s_lshr_b32 s4, s4, 16
	s_mul_i32 s4, s4, s5
	v_mul_u32_u24_e32 v1, s4, v1
	v_mul_u32_u24_e32 v3, s5, v3
	v_add3_u32 v0, v1, v3, v0
	v_mov_b32_e32 v1, 0x68
	v_lshl_add_u32 v0, v0, 4, v1
	s_waitcnt vmcnt(0)
	v_add_u32_e32 v1, -1, v2
	v_cmp_ne_u32_e32 vcc, 1, v1
	s_and_saveexec_b64 s[4:5], vcc
	s_cbranch_execz .LBB66_34
; %bb.33:
	v_mov_b32_e32 v2, 0
	v_lshl_add_u32 v1, v1, 4, v2
	buffer_load_dword v2, v19, s[0:3], 0 offen
	buffer_load_dword v3, v19, s[0:3], 0 offen offset:4
	buffer_load_dword v4, v19, s[0:3], 0 offen offset:8
	;; [unrolled: 1-line block ×3, first 2 shown]
	buffer_load_dword v12, v1, s[0:3], 0 offen
	buffer_load_dword v13, v1, s[0:3], 0 offen offset:4
	buffer_load_dword v14, v1, s[0:3], 0 offen offset:8
	;; [unrolled: 1-line block ×3, first 2 shown]
	s_waitcnt vmcnt(4)
	ds_write2_b64 v0, v[2:3], v[4:5] offset1:1
	s_waitcnt vmcnt(3)
	buffer_store_dword v12, v19, s[0:3], 0 offen
	s_waitcnt vmcnt(3)
	buffer_store_dword v13, v19, s[0:3], 0 offen offset:4
	s_waitcnt vmcnt(3)
	buffer_store_dword v14, v19, s[0:3], 0 offen offset:8
	;; [unrolled: 2-line block ×3, first 2 shown]
	buffer_store_dword v5, v1, s[0:3], 0 offen offset:12
	buffer_store_dword v4, v1, s[0:3], 0 offen offset:8
	;; [unrolled: 1-line block ×3, first 2 shown]
	buffer_store_dword v2, v1, s[0:3], 0 offen
.LBB66_34:
	s_or_b64 exec, exec, s[4:5]
	v_pk_mov_b32 v[2:3], s[16:17], s[16:17] op_sel:[0,1]
	flat_load_dword v1, v[2:3]
	s_waitcnt vmcnt(0) lgkmcnt(0)
	v_add_u32_e32 v1, -1, v1
	v_cmp_ne_u32_e32 vcc, 0, v1
	s_and_saveexec_b64 s[4:5], vcc
	s_cbranch_execz .LBB66_36
; %bb.35:
	v_mov_b32_e32 v2, 0
	v_lshl_add_u32 v1, v1, 4, v2
	buffer_load_dword v2, off, s[0:3], 0
	buffer_load_dword v3, off, s[0:3], 0 offset:4
	buffer_load_dword v4, off, s[0:3], 0 offset:8
	;; [unrolled: 1-line block ×3, first 2 shown]
	buffer_load_dword v12, v1, s[0:3], 0 offen
	buffer_load_dword v13, v1, s[0:3], 0 offen offset:4
	buffer_load_dword v14, v1, s[0:3], 0 offen offset:8
	;; [unrolled: 1-line block ×3, first 2 shown]
	s_waitcnt vmcnt(4)
	ds_write2_b64 v0, v[2:3], v[4:5] offset1:1
	s_waitcnt vmcnt(3)
	buffer_store_dword v12, off, s[0:3], 0
	s_waitcnt vmcnt(3)
	buffer_store_dword v13, off, s[0:3], 0 offset:4
	s_waitcnt vmcnt(3)
	buffer_store_dword v14, off, s[0:3], 0 offset:8
	;; [unrolled: 2-line block ×3, first 2 shown]
	buffer_store_dword v5, v1, s[0:3], 0 offen offset:12
	buffer_store_dword v4, v1, s[0:3], 0 offen offset:8
	;; [unrolled: 1-line block ×3, first 2 shown]
	buffer_store_dword v2, v1, s[0:3], 0 offen
.LBB66_36:
	s_or_b64 exec, exec, s[4:5]
.LBB66_37:
	buffer_load_dword v0, v19, s[0:3], 0 offen
	buffer_load_dword v1, v19, s[0:3], 0 offen offset:4
	buffer_load_dword v2, v19, s[0:3], 0 offen offset:8
	;; [unrolled: 1-line block ×3, first 2 shown]
                                        ; kill: killed $vgpr19
	buffer_load_dword v12, off, s[0:3], 0
	buffer_load_dword v13, off, s[0:3], 0 offset:4
	buffer_load_dword v14, off, s[0:3], 0 offset:8
	;; [unrolled: 1-line block ×3, first 2 shown]
	buffer_load_dword v20, v18, s[0:3], 0 offen
	buffer_load_dword v21, v18, s[0:3], 0 offen offset:4
	buffer_load_dword v22, v18, s[0:3], 0 offen offset:8
	;; [unrolled: 1-line block ×3, first 2 shown]
	s_waitcnt vmcnt(4)
	global_store_dwordx4 v[6:7], v[12:15], off
	global_store_dwordx4 v[8:9], v[0:3], off
	s_waitcnt vmcnt(2)
	global_store_dwordx4 v[10:11], v[20:23], off
	s_endpgm
	.section	.rodata,"a",@progbits
	.p2align	6, 0x0
	.amdhsa_kernel _ZN9rocsolver6v33100L18getri_kernel_smallILi3E19rocblas_complex_numIdEPKPS3_EEvT1_iilPiilS8_bb
		.amdhsa_group_segment_fixed_size 1128
		.amdhsa_private_segment_fixed_size 64
		.amdhsa_kernarg_size 60
		.amdhsa_user_sgpr_count 10
		.amdhsa_user_sgpr_private_segment_buffer 1
		.amdhsa_user_sgpr_dispatch_ptr 1
		.amdhsa_user_sgpr_queue_ptr 0
		.amdhsa_user_sgpr_kernarg_segment_ptr 1
		.amdhsa_user_sgpr_dispatch_id 0
		.amdhsa_user_sgpr_flat_scratch_init 1
		.amdhsa_user_sgpr_kernarg_preload_length 0
		.amdhsa_user_sgpr_kernarg_preload_offset 0
		.amdhsa_user_sgpr_private_segment_size 0
		.amdhsa_uses_dynamic_stack 0
		.amdhsa_system_sgpr_private_segment_wavefront_offset 1
		.amdhsa_system_sgpr_workgroup_id_x 1
		.amdhsa_system_sgpr_workgroup_id_y 0
		.amdhsa_system_sgpr_workgroup_id_z 0
		.amdhsa_system_sgpr_workgroup_info 0
		.amdhsa_system_vgpr_workitem_id 2
		.amdhsa_next_free_vgpr 34
		.amdhsa_next_free_sgpr 24
		.amdhsa_accum_offset 36
		.amdhsa_reserve_vcc 1
		.amdhsa_reserve_flat_scratch 1
		.amdhsa_float_round_mode_32 0
		.amdhsa_float_round_mode_16_64 0
		.amdhsa_float_denorm_mode_32 3
		.amdhsa_float_denorm_mode_16_64 3
		.amdhsa_dx10_clamp 1
		.amdhsa_ieee_mode 1
		.amdhsa_fp16_overflow 0
		.amdhsa_tg_split 0
		.amdhsa_exception_fp_ieee_invalid_op 0
		.amdhsa_exception_fp_denorm_src 0
		.amdhsa_exception_fp_ieee_div_zero 0
		.amdhsa_exception_fp_ieee_overflow 0
		.amdhsa_exception_fp_ieee_underflow 0
		.amdhsa_exception_fp_ieee_inexact 0
		.amdhsa_exception_int_div_zero 0
	.end_amdhsa_kernel
	.section	.text._ZN9rocsolver6v33100L18getri_kernel_smallILi3E19rocblas_complex_numIdEPKPS3_EEvT1_iilPiilS8_bb,"axG",@progbits,_ZN9rocsolver6v33100L18getri_kernel_smallILi3E19rocblas_complex_numIdEPKPS3_EEvT1_iilPiilS8_bb,comdat
.Lfunc_end66:
	.size	_ZN9rocsolver6v33100L18getri_kernel_smallILi3E19rocblas_complex_numIdEPKPS3_EEvT1_iilPiilS8_bb, .Lfunc_end66-_ZN9rocsolver6v33100L18getri_kernel_smallILi3E19rocblas_complex_numIdEPKPS3_EEvT1_iilPiilS8_bb
                                        ; -- End function
	.section	.AMDGPU.csdata,"",@progbits
; Kernel info:
; codeLenInByte = 3204
; NumSgprs: 30
; NumVgprs: 34
; NumAgprs: 0
; TotalNumVgprs: 34
; ScratchSize: 64
; MemoryBound: 0
; FloatMode: 240
; IeeeMode: 1
; LDSByteSize: 1128 bytes/workgroup (compile time only)
; SGPRBlocks: 3
; VGPRBlocks: 4
; NumSGPRsForWavesPerEU: 30
; NumVGPRsForWavesPerEU: 34
; AccumOffset: 36
; Occupancy: 8
; WaveLimiterHint : 1
; COMPUTE_PGM_RSRC2:SCRATCH_EN: 1
; COMPUTE_PGM_RSRC2:USER_SGPR: 10
; COMPUTE_PGM_RSRC2:TRAP_HANDLER: 0
; COMPUTE_PGM_RSRC2:TGID_X_EN: 1
; COMPUTE_PGM_RSRC2:TGID_Y_EN: 0
; COMPUTE_PGM_RSRC2:TGID_Z_EN: 0
; COMPUTE_PGM_RSRC2:TIDIG_COMP_CNT: 2
; COMPUTE_PGM_RSRC3_GFX90A:ACCUM_OFFSET: 8
; COMPUTE_PGM_RSRC3_GFX90A:TG_SPLIT: 0
	.section	.text._ZN9rocsolver6v33100L18getri_kernel_smallILi4E19rocblas_complex_numIdEPKPS3_EEvT1_iilPiilS8_bb,"axG",@progbits,_ZN9rocsolver6v33100L18getri_kernel_smallILi4E19rocblas_complex_numIdEPKPS3_EEvT1_iilPiilS8_bb,comdat
	.globl	_ZN9rocsolver6v33100L18getri_kernel_smallILi4E19rocblas_complex_numIdEPKPS3_EEvT1_iilPiilS8_bb ; -- Begin function _ZN9rocsolver6v33100L18getri_kernel_smallILi4E19rocblas_complex_numIdEPKPS3_EEvT1_iilPiilS8_bb
	.p2align	8
	.type	_ZN9rocsolver6v33100L18getri_kernel_smallILi4E19rocblas_complex_numIdEPKPS3_EEvT1_iilPiilS8_bb,@function
_ZN9rocsolver6v33100L18getri_kernel_smallILi4E19rocblas_complex_numIdEPKPS3_EEvT1_iilPiilS8_bb: ; @_ZN9rocsolver6v33100L18getri_kernel_smallILi4E19rocblas_complex_numIdEPKPS3_EEvT1_iilPiilS8_bb
; %bb.0:
	s_add_u32 flat_scratch_lo, s8, s11
	s_addc_u32 flat_scratch_hi, s9, 0
	s_add_u32 s0, s0, s11
	v_and_b32_e32 v22, 0x3ff, v0
	s_addc_u32 s1, s1, 0
	v_cmp_gt_u32_e32 vcc, 4, v22
	s_and_saveexec_b64 s[8:9], vcc
	s_cbranch_execz .LBB67_30
; %bb.1:
	s_load_dword s20, s[6:7], 0x38
	s_load_dwordx2 s[8:9], s[6:7], 0x0
	s_load_dwordx4 s[12:15], s[6:7], 0x28
	s_waitcnt lgkmcnt(0)
	s_bitcmp1_b32 s20, 8
	s_cselect_b64 s[18:19], -1, 0
	s_ashr_i32 s11, s10, 31
	s_lshl_b64 s[16:17], s[10:11], 3
	s_add_u32 s8, s8, s16
	s_addc_u32 s9, s9, s17
	s_load_dwordx2 s[8:9], s[8:9], 0x0
	s_bfe_u32 s16, s20, 0x10008
	s_cmp_eq_u32 s16, 0
                                        ; implicit-def: $sgpr16_sgpr17
	s_cbranch_scc1 .LBB67_3
; %bb.2:
	s_load_dword s16, s[6:7], 0x20
	s_load_dwordx2 s[22:23], s[6:7], 0x18
	s_mul_i32 s13, s10, s13
	s_mul_hi_u32 s17, s10, s12
	s_add_i32 s13, s17, s13
	s_mul_i32 s21, s11, s12
	s_add_i32 s13, s13, s21
	s_mul_i32 s12, s10, s12
	s_waitcnt lgkmcnt(0)
	s_ashr_i32 s17, s16, 31
	s_lshl_b64 s[12:13], s[12:13], 2
	s_add_u32 s21, s22, s12
	s_addc_u32 s22, s23, s13
	s_lshl_b64 s[12:13], s[16:17], 2
	s_add_u32 s16, s21, s12
	s_addc_u32 s17, s22, s13
.LBB67_3:
	s_load_dwordx2 s[6:7], s[6:7], 0x8
	v_lshlrev_b32_e32 v23, 4, v22
	s_waitcnt lgkmcnt(0)
	s_ashr_i32 s13, s6, 31
	s_mov_b32 s12, s6
	s_lshl_b64 s[12:13], s[12:13], 4
	s_add_u32 s8, s8, s12
	s_addc_u32 s9, s9, s13
	v_mov_b32_e32 v1, s9
	v_add_co_u32_e32 v6, vcc, s8, v23
	s_ashr_i32 s13, s7, 31
	s_mov_b32 s12, s7
	s_add_i32 s6, s7, s7
	v_addc_co_u32_e32 v7, vcc, 0, v1, vcc
	s_lshl_b64 s[12:13], s[12:13], 4
	v_add_u32_e32 v12, s6, v22
	v_mov_b32_e32 v1, s13
	v_add_co_u32_e32 v8, vcc, s12, v6
	v_ashrrev_i32_e32 v13, 31, v12
	v_addc_co_u32_e32 v9, vcc, v7, v1, vcc
	v_lshlrev_b64 v[10:11], 4, v[12:13]
	v_mov_b32_e32 v1, s9
	v_add_co_u32_e32 v10, vcc, s8, v10
	global_load_dwordx4 v[2:5], v23, s[8:9]
	v_addc_co_u32_e32 v11, vcc, v1, v11, vcc
	global_load_dwordx4 v[14:17], v[8:9], off
	global_load_dwordx4 v[24:27], v[10:11], off
	v_add_u32_e32 v12, s7, v12
	v_ashrrev_i32_e32 v13, 31, v12
	v_lshlrev_b64 v[12:13], 4, v[12:13]
	v_add_co_u32_e32 v12, vcc, s8, v12
	v_addc_co_u32_e32 v13, vcc, v1, v13, vcc
	global_load_dwordx4 v[28:31], v[12:13], off
	v_mov_b32_e32 v1, 0
	v_add_u32_e32 v20, 16, v1
	v_add_u32_e32 v21, 32, v1
	;; [unrolled: 1-line block ×3, first 2 shown]
	s_bitcmp0_b32 s20, 0
	s_mov_b64 s[8:9], -1
	s_waitcnt vmcnt(3)
	buffer_store_dword v5, off, s[0:3], 0 offset:12
	buffer_store_dword v4, off, s[0:3], 0 offset:8
	;; [unrolled: 1-line block ×3, first 2 shown]
	buffer_store_dword v2, off, s[0:3], 0
	s_waitcnt vmcnt(6)
	buffer_store_dword v17, off, s[0:3], 0 offset:28
	buffer_store_dword v16, off, s[0:3], 0 offset:24
	buffer_store_dword v15, off, s[0:3], 0 offset:20
	buffer_store_dword v14, off, s[0:3], 0 offset:16
	s_waitcnt vmcnt(9)
	buffer_store_dword v27, off, s[0:3], 0 offset:44
	buffer_store_dword v26, off, s[0:3], 0 offset:40
	buffer_store_dword v25, off, s[0:3], 0 offset:36
	buffer_store_dword v24, off, s[0:3], 0 offset:32
	;; [unrolled: 5-line block ×3, first 2 shown]
	s_cbranch_scc1 .LBB67_28
; %bb.4:
	v_cmp_eq_u32_e64 s[6:7], 0, v22
	s_and_saveexec_b64 s[8:9], s[6:7]
	s_cbranch_execz .LBB67_6
; %bb.5:
	v_mov_b32_e32 v2, 0
	ds_write_b32 v2, v2 offset:128
.LBB67_6:
	s_or_b64 exec, exec, s[8:9]
	v_mov_b32_e32 v2, 0
	v_lshl_add_u32 v24, v22, 4, v2
	s_waitcnt lgkmcnt(0)
	; wave barrier
	s_waitcnt lgkmcnt(0)
	buffer_load_dword v2, v24, s[0:3], 0 offen
	buffer_load_dword v3, v24, s[0:3], 0 offen offset:4
	buffer_load_dword v4, v24, s[0:3], 0 offen offset:8
	;; [unrolled: 1-line block ×3, first 2 shown]
	s_waitcnt vmcnt(2)
	v_cmp_eq_f64_e32 vcc, 0, v[2:3]
	s_waitcnt vmcnt(0)
	v_cmp_eq_f64_e64 s[8:9], 0, v[4:5]
	s_and_b64 s[8:9], vcc, s[8:9]
	s_and_saveexec_b64 s[12:13], s[8:9]
	s_cbranch_execz .LBB67_10
; %bb.7:
	v_mov_b32_e32 v2, 0
	ds_read_b32 v4, v2 offset:128
	v_add_u32_e32 v3, 1, v22
	s_waitcnt lgkmcnt(0)
	v_readfirstlane_b32 s8, v4
	s_cmp_eq_u32 s8, 0
	s_cselect_b64 s[20:21], -1, 0
	v_cmp_gt_i32_e32 vcc, s8, v3
	s_or_b64 s[20:21], s[20:21], vcc
	s_and_b64 exec, exec, s[20:21]
	s_cbranch_execz .LBB67_10
; %bb.8:
	s_mov_b64 s[20:21], 0
	v_mov_b32_e32 v4, s8
.LBB67_9:                               ; =>This Inner Loop Header: Depth=1
	ds_cmpst_rtn_b32 v4, v2, v4, v3 offset:128
	s_waitcnt lgkmcnt(0)
	v_cmp_ne_u32_e32 vcc, 0, v4
	v_cmp_le_i32_e64 s[8:9], v4, v3
	s_and_b64 s[8:9], vcc, s[8:9]
	s_and_b64 s[8:9], exec, s[8:9]
	s_or_b64 s[20:21], s[8:9], s[20:21]
	s_andn2_b64 exec, exec, s[20:21]
	s_cbranch_execnz .LBB67_9
.LBB67_10:
	s_or_b64 exec, exec, s[12:13]
	v_mov_b32_e32 v3, 0
	s_waitcnt lgkmcnt(0)
	; wave barrier
	ds_read_b32 v2, v3 offset:128
	s_and_saveexec_b64 s[8:9], s[6:7]
	s_cbranch_execz .LBB67_12
; %bb.11:
	s_lshl_b64 s[12:13], s[10:11], 2
	s_add_u32 s12, s14, s12
	s_addc_u32 s13, s15, s13
	s_waitcnt lgkmcnt(0)
	global_store_dword v3, v2, s[12:13]
.LBB67_12:
	s_or_b64 exec, exec, s[8:9]
	s_waitcnt lgkmcnt(0)
	v_cmp_ne_u32_e32 vcc, 0, v2
	s_mov_b64 s[8:9], 0
	s_cbranch_vccnz .LBB67_28
; %bb.13:
	buffer_load_dword v15, v24, s[0:3], 0 offen offset:4
	buffer_load_dword v14, v24, s[0:3], 0 offen
	buffer_load_dword v17, v24, s[0:3], 0 offen offset:12
	buffer_load_dword v16, v24, s[0:3], 0 offen offset:8
                                        ; implicit-def: $vgpr18_vgpr19
	s_waitcnt vmcnt(3)
	v_xor_b32_e32 v3, 0x80000000, v15
	s_waitcnt vmcnt(2)
	v_cmp_gt_f64_e32 vcc, 0, v[14:15]
	s_waitcnt vmcnt(1)
	v_xor_b32_e32 v4, 0x80000000, v17
	v_cndmask_b32_e32 v3, v15, v3, vcc
	s_waitcnt vmcnt(0)
	v_cmp_gt_f64_e32 vcc, 0, v[16:17]
	v_mov_b32_e32 v2, v14
	v_cndmask_b32_e32 v5, v17, v4, vcc
	v_mov_b32_e32 v4, v16
	v_cmp_ngt_f64_e32 vcc, v[2:3], v[4:5]
                                        ; implicit-def: $vgpr4_vgpr5
	s_and_saveexec_b64 s[8:9], vcc
	s_xor_b64 s[8:9], exec, s[8:9]
	s_cbranch_execz .LBB67_15
; %bb.14:
	v_div_scale_f64 v[2:3], s[12:13], v[16:17], v[16:17], v[14:15]
	v_rcp_f64_e32 v[4:5], v[2:3]
	v_div_scale_f64 v[18:19], vcc, v[14:15], v[16:17], v[14:15]
	v_fma_f64 v[26:27], -v[2:3], v[4:5], 1.0
	v_fmac_f64_e32 v[4:5], v[4:5], v[26:27]
	v_fma_f64 v[26:27], -v[2:3], v[4:5], 1.0
	v_fmac_f64_e32 v[4:5], v[4:5], v[26:27]
	v_mul_f64 v[26:27], v[18:19], v[4:5]
	v_fma_f64 v[2:3], -v[2:3], v[26:27], v[18:19]
	v_div_fmas_f64 v[2:3], v[2:3], v[4:5], v[26:27]
	v_div_fixup_f64 v[2:3], v[2:3], v[16:17], v[14:15]
	v_fmac_f64_e32 v[16:17], v[14:15], v[2:3]
	v_div_scale_f64 v[4:5], s[12:13], v[16:17], v[16:17], 1.0
	v_rcp_f64_e32 v[14:15], v[4:5]
	v_fma_f64 v[18:19], -v[4:5], v[14:15], 1.0
	v_fmac_f64_e32 v[14:15], v[14:15], v[18:19]
	v_fma_f64 v[18:19], -v[4:5], v[14:15], 1.0
	v_fmac_f64_e32 v[14:15], v[14:15], v[18:19]
	v_div_scale_f64 v[18:19], vcc, 1.0, v[16:17], 1.0
	v_mul_f64 v[26:27], v[18:19], v[14:15]
	v_fma_f64 v[4:5], -v[4:5], v[26:27], v[18:19]
	s_nop 1
	v_div_fmas_f64 v[4:5], v[4:5], v[14:15], v[26:27]
	v_div_fixup_f64 v[4:5], v[4:5], v[16:17], 1.0
	v_mul_f64 v[18:19], v[2:3], v[4:5]
	v_xor_b32_e32 v5, 0x80000000, v5
	v_xor_b32_e32 v3, 0x80000000, v19
	v_mov_b32_e32 v2, v18
                                        ; implicit-def: $vgpr14_vgpr15
                                        ; implicit-def: $vgpr16_vgpr17
.LBB67_15:
	s_andn2_saveexec_b64 s[8:9], s[8:9]
	s_cbranch_execz .LBB67_17
; %bb.16:
	v_div_scale_f64 v[2:3], s[12:13], v[14:15], v[14:15], v[16:17]
	v_rcp_f64_e32 v[4:5], v[2:3]
	v_div_scale_f64 v[18:19], vcc, v[16:17], v[14:15], v[16:17]
	v_fma_f64 v[26:27], -v[2:3], v[4:5], 1.0
	v_fmac_f64_e32 v[4:5], v[4:5], v[26:27]
	v_fma_f64 v[26:27], -v[2:3], v[4:5], 1.0
	v_fmac_f64_e32 v[4:5], v[4:5], v[26:27]
	v_mul_f64 v[26:27], v[18:19], v[4:5]
	v_fma_f64 v[2:3], -v[2:3], v[26:27], v[18:19]
	v_div_fmas_f64 v[2:3], v[2:3], v[4:5], v[26:27]
	v_div_fixup_f64 v[4:5], v[2:3], v[14:15], v[16:17]
	v_fmac_f64_e32 v[14:15], v[16:17], v[4:5]
	v_div_scale_f64 v[2:3], s[12:13], v[14:15], v[14:15], 1.0
	v_rcp_f64_e32 v[16:17], v[2:3]
	v_fma_f64 v[18:19], -v[2:3], v[16:17], 1.0
	v_fmac_f64_e32 v[16:17], v[16:17], v[18:19]
	v_fma_f64 v[18:19], -v[2:3], v[16:17], 1.0
	v_fmac_f64_e32 v[16:17], v[16:17], v[18:19]
	v_div_scale_f64 v[18:19], vcc, 1.0, v[14:15], 1.0
	v_mul_f64 v[26:27], v[18:19], v[16:17]
	v_fma_f64 v[2:3], -v[2:3], v[26:27], v[18:19]
	s_nop 1
	v_div_fmas_f64 v[2:3], v[2:3], v[16:17], v[26:27]
	v_div_fixup_f64 v[18:19], v[2:3], v[14:15], 1.0
	v_xor_b32_e32 v3, 0x80000000, v19
	v_mov_b32_e32 v2, v18
	v_mul_f64 v[4:5], v[4:5], -v[18:19]
.LBB67_17:
	s_or_b64 exec, exec, s[8:9]
	buffer_store_dword v19, v24, s[0:3], 0 offen offset:4
	buffer_store_dword v18, v24, s[0:3], 0 offen
	buffer_store_dword v5, v24, s[0:3], 0 offen offset:12
	buffer_store_dword v4, v24, s[0:3], 0 offen offset:8
	buffer_load_dword v19, v20, s[0:3], 0 offen offset:12
	s_nop 0
	buffer_load_dword v18, v20, s[0:3], 0 offen offset:8
	buffer_load_dword v17, v20, s[0:3], 0 offen offset:4
	buffer_load_dword v16, v20, s[0:3], 0 offen
	v_xor_b32_e32 v5, 0x80000000, v5
	v_add_u32_e32 v14, 64, v23
	ds_write_b128 v23, v[2:5]
	s_waitcnt vmcnt(0)
	ds_write_b128 v23, v[16:19] offset:64
	s_waitcnt lgkmcnt(0)
	; wave barrier
	s_waitcnt lgkmcnt(0)
	s_and_saveexec_b64 s[8:9], s[6:7]
	s_cbranch_execz .LBB67_19
; %bb.18:
	buffer_load_dword v26, v24, s[0:3], 0 offen offset:8
	buffer_load_dword v27, v24, s[0:3], 0 offen offset:12
	buffer_load_dword v28, v24, s[0:3], 0 offen
	buffer_load_dword v29, v24, s[0:3], 0 offen offset:4
	ds_read_b128 v[2:5], v14
	v_mov_b32_e32 v15, 0
	ds_read_b128 v[16:19], v15 offset:16
	s_waitcnt vmcnt(2) lgkmcnt(1)
	v_mul_f64 v[30:31], v[4:5], v[26:27]
	v_mul_f64 v[26:27], v[2:3], v[26:27]
	s_waitcnt vmcnt(0)
	v_fmac_f64_e32 v[26:27], v[4:5], v[28:29]
	v_fma_f64 v[2:3], v[2:3], v[28:29], -v[30:31]
	v_add_f64 v[4:5], v[26:27], 0
	v_add_f64 v[2:3], v[2:3], 0
	s_waitcnt lgkmcnt(0)
	v_mul_f64 v[26:27], v[4:5], v[18:19]
	v_mul_f64 v[18:19], v[2:3], v[18:19]
	v_fma_f64 v[2:3], v[2:3], v[16:17], -v[26:27]
	v_fmac_f64_e32 v[18:19], v[4:5], v[16:17]
	buffer_store_dword v2, off, s[0:3], 0 offset:16
	buffer_store_dword v3, off, s[0:3], 0 offset:20
	;; [unrolled: 1-line block ×4, first 2 shown]
.LBB67_19:
	s_or_b64 exec, exec, s[8:9]
	s_waitcnt lgkmcnt(0)
	; wave barrier
	buffer_load_dword v2, v21, s[0:3], 0 offen
	buffer_load_dword v3, v21, s[0:3], 0 offen offset:4
	buffer_load_dword v4, v21, s[0:3], 0 offen offset:8
	;; [unrolled: 1-line block ×3, first 2 shown]
	v_cmp_gt_u32_e32 vcc, 2, v22
	s_waitcnt vmcnt(0)
	ds_write_b128 v14, v[2:5]
	s_waitcnt lgkmcnt(0)
	; wave barrier
	s_waitcnt lgkmcnt(0)
	s_and_saveexec_b64 s[8:9], vcc
	s_cbranch_execz .LBB67_23
; %bb.20:
	buffer_load_dword v16, v24, s[0:3], 0 offen offset:8
	buffer_load_dword v17, v24, s[0:3], 0 offen offset:12
	buffer_load_dword v18, v24, s[0:3], 0 offen
	buffer_load_dword v19, v24, s[0:3], 0 offen offset:4
	ds_read_b128 v[2:5], v14
	s_waitcnt vmcnt(2) lgkmcnt(0)
	v_mul_f64 v[24:25], v[4:5], v[16:17]
	v_mul_f64 v[16:17], v[2:3], v[16:17]
	s_waitcnt vmcnt(0)
	v_fma_f64 v[2:3], v[2:3], v[18:19], -v[24:25]
	v_fmac_f64_e32 v[16:17], v[4:5], v[18:19]
	v_add_f64 v[4:5], v[2:3], 0
	v_add_f64 v[2:3], v[16:17], 0
	s_and_saveexec_b64 s[12:13], s[6:7]
	s_cbranch_execz .LBB67_22
; %bb.21:
	buffer_load_dword v24, off, s[0:3], 0 offset:24
	buffer_load_dword v25, off, s[0:3], 0 offset:28
	;; [unrolled: 1-line block ×4, first 2 shown]
	v_mov_b32_e32 v15, 0
	ds_read_b128 v[16:19], v15 offset:80
	s_waitcnt vmcnt(2) lgkmcnt(0)
	v_mul_f64 v[28:29], v[16:17], v[24:25]
	v_mul_f64 v[24:25], v[18:19], v[24:25]
	s_waitcnt vmcnt(0)
	v_fmac_f64_e32 v[28:29], v[18:19], v[26:27]
	v_fma_f64 v[16:17], v[16:17], v[26:27], -v[24:25]
	v_add_f64 v[2:3], v[2:3], v[28:29]
	v_add_f64 v[4:5], v[4:5], v[16:17]
.LBB67_22:
	s_or_b64 exec, exec, s[12:13]
	v_mov_b32_e32 v15, 0
	ds_read_b128 v[16:19], v15 offset:32
	s_waitcnt lgkmcnt(0)
	v_mul_f64 v[24:25], v[2:3], v[18:19]
	v_mul_f64 v[18:19], v[4:5], v[18:19]
	v_fma_f64 v[4:5], v[4:5], v[16:17], -v[24:25]
	v_fmac_f64_e32 v[18:19], v[2:3], v[16:17]
	buffer_store_dword v5, off, s[0:3], 0 offset:36
	buffer_store_dword v4, off, s[0:3], 0 offset:32
	;; [unrolled: 1-line block ×4, first 2 shown]
.LBB67_23:
	s_or_b64 exec, exec, s[8:9]
	s_waitcnt lgkmcnt(0)
	; wave barrier
	buffer_load_dword v2, v1, s[0:3], 0 offen
	buffer_load_dword v3, v1, s[0:3], 0 offen offset:4
	buffer_load_dword v4, v1, s[0:3], 0 offen offset:8
	;; [unrolled: 1-line block ×3, first 2 shown]
	v_cmp_ne_u32_e32 vcc, 3, v22
	s_waitcnt vmcnt(0)
	ds_write_b128 v14, v[2:5]
	s_waitcnt lgkmcnt(0)
	; wave barrier
	s_waitcnt lgkmcnt(0)
	s_and_saveexec_b64 s[6:7], vcc
	s_cbranch_execz .LBB67_27
; %bb.24:
	v_pk_mov_b32 v[2:3], 0, 0
	v_add_u32_e32 v15, -1, v22
	v_add_u32_e32 v16, 0, v23
	s_mov_b64 s[8:9], 0
	v_pk_mov_b32 v[4:5], v[2:3], v[2:3] op_sel:[0,1]
.LBB67_25:                              ; =>This Inner Loop Header: Depth=1
	buffer_load_dword v18, v16, s[0:3], 0 offen offset:8
	buffer_load_dword v19, v16, s[0:3], 0 offen offset:12
	buffer_load_dword v28, v16, s[0:3], 0 offen
	buffer_load_dword v29, v16, s[0:3], 0 offen offset:4
	ds_read_b128 v[24:27], v14
	v_add_u32_e32 v15, 1, v15
	v_cmp_lt_u32_e32 vcc, 1, v15
	v_add_u32_e32 v14, 16, v14
	v_add_u32_e32 v16, 16, v16
	s_or_b64 s[8:9], vcc, s[8:9]
	s_waitcnt vmcnt(2) lgkmcnt(0)
	v_mul_f64 v[30:31], v[26:27], v[18:19]
	v_mul_f64 v[18:19], v[24:25], v[18:19]
	s_waitcnt vmcnt(0)
	v_fma_f64 v[24:25], v[24:25], v[28:29], -v[30:31]
	v_fmac_f64_e32 v[18:19], v[26:27], v[28:29]
	v_add_f64 v[4:5], v[4:5], v[24:25]
	v_add_f64 v[2:3], v[2:3], v[18:19]
	s_andn2_b64 exec, exec, s[8:9]
	s_cbranch_execnz .LBB67_25
; %bb.26:
	s_or_b64 exec, exec, s[8:9]
	v_mov_b32_e32 v14, 0
	ds_read_b128 v[14:17], v14 offset:48
	s_waitcnt lgkmcnt(0)
	v_mul_f64 v[18:19], v[2:3], v[16:17]
	v_mul_f64 v[16:17], v[4:5], v[16:17]
	v_fma_f64 v[4:5], v[4:5], v[14:15], -v[18:19]
	v_fmac_f64_e32 v[16:17], v[2:3], v[14:15]
	buffer_store_dword v5, off, s[0:3], 0 offset:52
	buffer_store_dword v4, off, s[0:3], 0 offset:48
	buffer_store_dword v17, off, s[0:3], 0 offset:60
	buffer_store_dword v16, off, s[0:3], 0 offset:56
.LBB67_27:
	s_or_b64 exec, exec, s[6:7]
	s_mov_b64 s[8:9], -1
	s_waitcnt lgkmcnt(0)
	; wave barrier
.LBB67_28:
	s_and_b64 vcc, exec, s[8:9]
	s_cbranch_vccz .LBB67_30
; %bb.29:
	s_lshl_b64 s[6:7], s[10:11], 2
	s_add_u32 s6, s14, s6
	s_addc_u32 s7, s15, s7
	v_mov_b32_e32 v2, 0
	global_load_dword v2, v2, s[6:7]
	s_waitcnt vmcnt(0)
	v_cmp_ne_u32_e32 vcc, 0, v2
	s_cbranch_vccz .LBB67_31
.LBB67_30:
	s_endpgm
.LBB67_31:
	v_lshl_add_u32 v2, v22, 4, 64
	v_cmp_eq_u32_e32 vcc, 3, v22
	s_and_saveexec_b64 s[6:7], vcc
	s_cbranch_execz .LBB67_33
; %bb.32:
	buffer_load_dword v14, v21, s[0:3], 0 offen
	buffer_load_dword v15, v21, s[0:3], 0 offen offset:4
	buffer_load_dword v16, v21, s[0:3], 0 offen offset:8
	;; [unrolled: 1-line block ×3, first 2 shown]
	v_mov_b32_e32 v3, 0
	buffer_store_dword v3, off, s[0:3], 0 offset:32
	buffer_store_dword v3, off, s[0:3], 0 offset:36
	;; [unrolled: 1-line block ×4, first 2 shown]
	s_waitcnt vmcnt(4)
	ds_write_b128 v2, v[14:17]
.LBB67_33:
	s_or_b64 exec, exec, s[6:7]
	s_waitcnt lgkmcnt(0)
	; wave barrier
	s_waitcnt lgkmcnt(0)
	buffer_load_dword v4, off, s[0:3], 0 offset:56
	buffer_load_dword v5, off, s[0:3], 0 offset:60
	;; [unrolled: 1-line block ×8, first 2 shown]
	v_mov_b32_e32 v3, 0
	ds_read_b128 v[14:17], v3 offset:112
	v_cmp_lt_u32_e32 vcc, 1, v22
	s_waitcnt vmcnt(6) lgkmcnt(0)
	v_mul_f64 v[28:29], v[14:15], v[4:5]
	v_mul_f64 v[4:5], v[16:17], v[4:5]
	s_waitcnt vmcnt(4)
	v_fma_f64 v[4:5], v[14:15], v[18:19], -v[4:5]
	v_fmac_f64_e32 v[28:29], v[16:17], v[18:19]
	v_add_f64 v[4:5], v[4:5], 0
	v_add_f64 v[14:15], v[28:29], 0
	s_waitcnt vmcnt(2)
	v_add_f64 v[4:5], v[24:25], -v[4:5]
	s_waitcnt vmcnt(0)
	v_add_f64 v[14:15], v[26:27], -v[14:15]
	buffer_store_dword v4, off, s[0:3], 0 offset:32
	buffer_store_dword v5, off, s[0:3], 0 offset:36
	;; [unrolled: 1-line block ×4, first 2 shown]
	s_and_saveexec_b64 s[6:7], vcc
	s_cbranch_execz .LBB67_35
; %bb.34:
	buffer_load_dword v14, v20, s[0:3], 0 offen
	buffer_load_dword v15, v20, s[0:3], 0 offen offset:4
	buffer_load_dword v16, v20, s[0:3], 0 offen offset:8
	;; [unrolled: 1-line block ×3, first 2 shown]
	s_nop 0
	buffer_store_dword v3, off, s[0:3], 0 offset:16
	buffer_store_dword v3, off, s[0:3], 0 offset:20
	;; [unrolled: 1-line block ×4, first 2 shown]
	s_waitcnt vmcnt(4)
	ds_write_b128 v2, v[14:17]
.LBB67_35:
	s_or_b64 exec, exec, s[6:7]
	s_waitcnt lgkmcnt(0)
	; wave barrier
	s_waitcnt lgkmcnt(0)
	buffer_load_dword v4, off, s[0:3], 0 offset:40
	buffer_load_dword v5, off, s[0:3], 0 offset:44
	buffer_load_dword v18, off, s[0:3], 0 offset:56
	buffer_load_dword v19, off, s[0:3], 0 offset:60
	buffer_load_dword v28, off, s[0:3], 0 offset:32
	buffer_load_dword v29, off, s[0:3], 0 offset:36
	buffer_load_dword v30, off, s[0:3], 0 offset:48
	buffer_load_dword v31, off, s[0:3], 0 offset:52
	buffer_load_dword v32, off, s[0:3], 0 offset:16
	buffer_load_dword v33, off, s[0:3], 0 offset:20
	buffer_load_dword v34, off, s[0:3], 0 offset:24
	buffer_load_dword v35, off, s[0:3], 0 offset:28
	ds_read_b128 v[14:17], v3 offset:96
	ds_read_b128 v[24:27], v3 offset:112
	v_cmp_ne_u32_e32 vcc, 0, v22
	s_waitcnt vmcnt(10) lgkmcnt(1)
	v_mul_f64 v[36:37], v[14:15], v[4:5]
	v_mul_f64 v[4:5], v[16:17], v[4:5]
	s_waitcnt vmcnt(8) lgkmcnt(0)
	v_mul_f64 v[38:39], v[24:25], v[18:19]
	v_mul_f64 v[18:19], v[26:27], v[18:19]
	s_waitcnt vmcnt(6)
	v_fma_f64 v[4:5], v[14:15], v[28:29], -v[4:5]
	v_fmac_f64_e32 v[36:37], v[16:17], v[28:29]
	s_waitcnt vmcnt(4)
	v_fma_f64 v[14:15], v[24:25], v[30:31], -v[18:19]
	v_add_f64 v[4:5], v[4:5], 0
	v_fmac_f64_e32 v[38:39], v[26:27], v[30:31]
	v_add_f64 v[16:17], v[36:37], 0
	v_add_f64 v[4:5], v[4:5], v[14:15]
	;; [unrolled: 1-line block ×3, first 2 shown]
	s_waitcnt vmcnt(2)
	v_add_f64 v[4:5], v[32:33], -v[4:5]
	s_waitcnt vmcnt(0)
	v_add_f64 v[14:15], v[34:35], -v[16:17]
	buffer_store_dword v4, off, s[0:3], 0 offset:16
	buffer_store_dword v5, off, s[0:3], 0 offset:20
	;; [unrolled: 1-line block ×4, first 2 shown]
	s_and_saveexec_b64 s[6:7], vcc
	s_cbranch_execz .LBB67_37
; %bb.36:
	buffer_load_dword v14, off, s[0:3], 0
	buffer_load_dword v15, off, s[0:3], 0 offset:4
	buffer_load_dword v16, off, s[0:3], 0 offset:8
	;; [unrolled: 1-line block ×3, first 2 shown]
	v_mov_b32_e32 v3, 0
	buffer_store_dword v3, off, s[0:3], 0
	buffer_store_dword v3, off, s[0:3], 0 offset:4
	buffer_store_dword v3, off, s[0:3], 0 offset:8
	;; [unrolled: 1-line block ×3, first 2 shown]
	s_waitcnt vmcnt(4)
	ds_write_b128 v2, v[14:17]
.LBB67_37:
	s_or_b64 exec, exec, s[6:7]
	s_waitcnt lgkmcnt(0)
	; wave barrier
	s_waitcnt lgkmcnt(0)
	buffer_load_dword v18, off, s[0:3], 0 offset:24
	buffer_load_dword v19, off, s[0:3], 0 offset:28
	;; [unrolled: 1-line block ×12, first 2 shown]
	buffer_load_dword v38, off, s[0:3], 0
	buffer_load_dword v39, off, s[0:3], 0 offset:4
	buffer_load_dword v40, off, s[0:3], 0 offset:8
	;; [unrolled: 1-line block ×3, first 2 shown]
	v_mov_b32_e32 v23, 0
	ds_read_b128 v[2:5], v23 offset:80
	ds_read_b128 v[14:17], v23 offset:96
	;; [unrolled: 1-line block ×3, first 2 shown]
	s_and_b64 vcc, exec, s[18:19]
	s_waitcnt vmcnt(14) lgkmcnt(2)
	v_mul_f64 v[42:43], v[2:3], v[18:19]
	v_mul_f64 v[18:19], v[4:5], v[18:19]
	s_waitcnt vmcnt(12) lgkmcnt(1)
	v_mul_f64 v[44:45], v[14:15], v[28:29]
	v_mul_f64 v[28:29], v[16:17], v[28:29]
	s_waitcnt vmcnt(10) lgkmcnt(0)
	v_mul_f64 v[46:47], v[24:25], v[30:31]
	v_mul_f64 v[30:31], v[26:27], v[30:31]
	s_waitcnt vmcnt(8)
	v_fma_f64 v[2:3], v[2:3], v[32:33], -v[18:19]
	v_fmac_f64_e32 v[42:43], v[4:5], v[32:33]
	s_waitcnt vmcnt(6)
	v_fma_f64 v[4:5], v[14:15], v[34:35], -v[28:29]
	v_add_f64 v[2:3], v[2:3], 0
	v_fmac_f64_e32 v[44:45], v[16:17], v[34:35]
	s_waitcnt vmcnt(4)
	v_fma_f64 v[14:15], v[24:25], v[36:37], -v[30:31]
	v_add_f64 v[16:17], v[42:43], 0
	v_add_f64 v[2:3], v[2:3], v[4:5]
	v_fmac_f64_e32 v[46:47], v[26:27], v[36:37]
	v_add_f64 v[16:17], v[16:17], v[44:45]
	v_add_f64 v[2:3], v[2:3], v[14:15]
	;; [unrolled: 1-line block ×3, first 2 shown]
	s_waitcnt vmcnt(2)
	v_add_f64 v[2:3], v[38:39], -v[2:3]
	s_waitcnt vmcnt(0)
	v_add_f64 v[4:5], v[40:41], -v[4:5]
	buffer_store_dword v2, off, s[0:3], 0
	buffer_store_dword v3, off, s[0:3], 0 offset:4
	buffer_store_dword v4, off, s[0:3], 0 offset:8
	;; [unrolled: 1-line block ×3, first 2 shown]
	s_cbranch_vccz .LBB67_45
; %bb.38:
	v_pk_mov_b32 v[2:3], s[16:17], s[16:17] op_sel:[0,1]
	flat_load_dword v2, v[2:3] offset:8
	s_load_dwordx2 s[4:5], s[4:5], 0x4
	v_bfe_u32 v4, v0, 10, 10
	v_bfe_u32 v0, v0, 20, 10
	s_waitcnt lgkmcnt(0)
	s_lshr_b32 s4, s4, 16
	s_mul_i32 s4, s4, s5
	v_mul_u32_u24_e32 v3, s4, v22
	v_mul_u32_u24_e32 v4, s5, v4
	v_add3_u32 v0, v3, v4, v0
	v_mov_b32_e32 v3, 0x88
	v_lshl_add_u32 v0, v0, 4, v3
	s_waitcnt vmcnt(0)
	v_add_u32_e32 v2, -1, v2
	v_cmp_ne_u32_e32 vcc, 2, v2
	s_and_saveexec_b64 s[4:5], vcc
	s_cbranch_execz .LBB67_40
; %bb.39:
	v_mov_b32_e32 v3, 0
	v_lshl_add_u32 v14, v2, 4, v3
	buffer_load_dword v2, v21, s[0:3], 0 offen
	buffer_load_dword v3, v21, s[0:3], 0 offen offset:4
	buffer_load_dword v4, v21, s[0:3], 0 offen offset:8
	;; [unrolled: 1-line block ×3, first 2 shown]
	buffer_load_dword v15, v14, s[0:3], 0 offen
	buffer_load_dword v16, v14, s[0:3], 0 offen offset:4
	buffer_load_dword v17, v14, s[0:3], 0 offen offset:8
	;; [unrolled: 1-line block ×3, first 2 shown]
	s_waitcnt vmcnt(4)
	ds_write2_b64 v0, v[2:3], v[4:5] offset1:1
	s_waitcnt vmcnt(3)
	buffer_store_dword v15, v21, s[0:3], 0 offen
	s_waitcnt vmcnt(3)
	buffer_store_dword v16, v21, s[0:3], 0 offen offset:4
	s_waitcnt vmcnt(3)
	buffer_store_dword v17, v21, s[0:3], 0 offen offset:8
	;; [unrolled: 2-line block ×3, first 2 shown]
	buffer_store_dword v5, v14, s[0:3], 0 offen offset:12
	buffer_store_dword v4, v14, s[0:3], 0 offen offset:8
	;; [unrolled: 1-line block ×3, first 2 shown]
	buffer_store_dword v2, v14, s[0:3], 0 offen
.LBB67_40:
	s_or_b64 exec, exec, s[4:5]
	v_pk_mov_b32 v[2:3], s[16:17], s[16:17] op_sel:[0,1]
	flat_load_dword v2, v[2:3] offset:4
	s_waitcnt vmcnt(0) lgkmcnt(0)
	v_add_u32_e32 v2, -1, v2
	v_cmp_ne_u32_e32 vcc, 1, v2
	s_and_saveexec_b64 s[4:5], vcc
	s_cbranch_execz .LBB67_42
; %bb.41:
	v_mov_b32_e32 v3, 0
	v_lshl_add_u32 v14, v2, 4, v3
	buffer_load_dword v2, v20, s[0:3], 0 offen
	buffer_load_dword v3, v20, s[0:3], 0 offen offset:4
	buffer_load_dword v4, v20, s[0:3], 0 offen offset:8
	buffer_load_dword v5, v20, s[0:3], 0 offen offset:12
	buffer_load_dword v15, v14, s[0:3], 0 offen
	buffer_load_dword v16, v14, s[0:3], 0 offen offset:4
	buffer_load_dword v17, v14, s[0:3], 0 offen offset:8
	;; [unrolled: 1-line block ×3, first 2 shown]
	s_waitcnt vmcnt(4)
	ds_write2_b64 v0, v[2:3], v[4:5] offset1:1
	s_waitcnt vmcnt(3)
	buffer_store_dword v15, v20, s[0:3], 0 offen
	s_waitcnt vmcnt(3)
	buffer_store_dword v16, v20, s[0:3], 0 offen offset:4
	s_waitcnt vmcnt(3)
	buffer_store_dword v17, v20, s[0:3], 0 offen offset:8
	;; [unrolled: 2-line block ×3, first 2 shown]
	buffer_store_dword v5, v14, s[0:3], 0 offen offset:12
	buffer_store_dword v4, v14, s[0:3], 0 offen offset:8
	;; [unrolled: 1-line block ×3, first 2 shown]
	buffer_store_dword v2, v14, s[0:3], 0 offen
.LBB67_42:
	s_or_b64 exec, exec, s[4:5]
	v_pk_mov_b32 v[2:3], s[16:17], s[16:17] op_sel:[0,1]
	flat_load_dword v2, v[2:3]
	s_waitcnt vmcnt(0) lgkmcnt(0)
	v_add_u32_e32 v2, -1, v2
	v_cmp_ne_u32_e32 vcc, 0, v2
	s_and_saveexec_b64 s[4:5], vcc
	s_cbranch_execz .LBB67_44
; %bb.43:
	v_mov_b32_e32 v3, 0
	v_lshl_add_u32 v14, v2, 4, v3
	buffer_load_dword v2, off, s[0:3], 0
	buffer_load_dword v3, off, s[0:3], 0 offset:4
	buffer_load_dword v4, off, s[0:3], 0 offset:8
	;; [unrolled: 1-line block ×3, first 2 shown]
	buffer_load_dword v15, v14, s[0:3], 0 offen
	buffer_load_dword v16, v14, s[0:3], 0 offen offset:4
	buffer_load_dword v17, v14, s[0:3], 0 offen offset:8
	;; [unrolled: 1-line block ×3, first 2 shown]
	s_waitcnt vmcnt(4)
	ds_write2_b64 v0, v[2:3], v[4:5] offset1:1
	s_waitcnt vmcnt(3)
	buffer_store_dword v15, off, s[0:3], 0
	s_waitcnt vmcnt(3)
	buffer_store_dword v16, off, s[0:3], 0 offset:4
	s_waitcnt vmcnt(3)
	buffer_store_dword v17, off, s[0:3], 0 offset:8
	;; [unrolled: 2-line block ×3, first 2 shown]
	buffer_store_dword v5, v14, s[0:3], 0 offen offset:12
	buffer_store_dword v4, v14, s[0:3], 0 offen offset:8
	;; [unrolled: 1-line block ×3, first 2 shown]
	buffer_store_dword v2, v14, s[0:3], 0 offen
.LBB67_44:
	s_or_b64 exec, exec, s[4:5]
.LBB67_45:
	buffer_load_dword v3, v20, s[0:3], 0 offen offset:4
	buffer_load_dword v4, v20, s[0:3], 0 offen offset:8
	;; [unrolled: 1-line block ×3, first 2 shown]
	buffer_load_dword v14, v21, s[0:3], 0 offen
	buffer_load_dword v15, v21, s[0:3], 0 offen offset:4
	buffer_load_dword v16, v21, s[0:3], 0 offen offset:8
	buffer_load_dword v2, v20, s[0:3], 0 offen
	buffer_load_dword v17, v21, s[0:3], 0 offen offset:12
                                        ; kill: killed $vgpr21
                                        ; kill: killed $vgpr20
	buffer_load_dword v18, off, s[0:3], 0
	buffer_load_dword v19, off, s[0:3], 0 offset:4
	s_nop 0
	buffer_load_dword v20, off, s[0:3], 0 offset:8
	buffer_load_dword v21, off, s[0:3], 0 offset:12
	buffer_load_dword v22, v1, s[0:3], 0 offen
	buffer_load_dword v23, v1, s[0:3], 0 offen offset:4
	buffer_load_dword v24, v1, s[0:3], 0 offen offset:8
	;; [unrolled: 1-line block ×3, first 2 shown]
	s_waitcnt vmcnt(4)
	global_store_dwordx4 v[6:7], v[18:21], off
	global_store_dwordx4 v[8:9], v[2:5], off
	;; [unrolled: 1-line block ×3, first 2 shown]
	s_waitcnt vmcnt(3)
	global_store_dwordx4 v[12:13], v[22:25], off
	s_endpgm
	.section	.rodata,"a",@progbits
	.p2align	6, 0x0
	.amdhsa_kernel _ZN9rocsolver6v33100L18getri_kernel_smallILi4E19rocblas_complex_numIdEPKPS3_EEvT1_iilPiilS8_bb
		.amdhsa_group_segment_fixed_size 1160
		.amdhsa_private_segment_fixed_size 80
		.amdhsa_kernarg_size 60
		.amdhsa_user_sgpr_count 10
		.amdhsa_user_sgpr_private_segment_buffer 1
		.amdhsa_user_sgpr_dispatch_ptr 1
		.amdhsa_user_sgpr_queue_ptr 0
		.amdhsa_user_sgpr_kernarg_segment_ptr 1
		.amdhsa_user_sgpr_dispatch_id 0
		.amdhsa_user_sgpr_flat_scratch_init 1
		.amdhsa_user_sgpr_kernarg_preload_length 0
		.amdhsa_user_sgpr_kernarg_preload_offset 0
		.amdhsa_user_sgpr_private_segment_size 0
		.amdhsa_uses_dynamic_stack 0
		.amdhsa_system_sgpr_private_segment_wavefront_offset 1
		.amdhsa_system_sgpr_workgroup_id_x 1
		.amdhsa_system_sgpr_workgroup_id_y 0
		.amdhsa_system_sgpr_workgroup_id_z 0
		.amdhsa_system_sgpr_workgroup_info 0
		.amdhsa_system_vgpr_workitem_id 2
		.amdhsa_next_free_vgpr 48
		.amdhsa_next_free_sgpr 24
		.amdhsa_accum_offset 48
		.amdhsa_reserve_vcc 1
		.amdhsa_reserve_flat_scratch 1
		.amdhsa_float_round_mode_32 0
		.amdhsa_float_round_mode_16_64 0
		.amdhsa_float_denorm_mode_32 3
		.amdhsa_float_denorm_mode_16_64 3
		.amdhsa_dx10_clamp 1
		.amdhsa_ieee_mode 1
		.amdhsa_fp16_overflow 0
		.amdhsa_tg_split 0
		.amdhsa_exception_fp_ieee_invalid_op 0
		.amdhsa_exception_fp_denorm_src 0
		.amdhsa_exception_fp_ieee_div_zero 0
		.amdhsa_exception_fp_ieee_overflow 0
		.amdhsa_exception_fp_ieee_underflow 0
		.amdhsa_exception_fp_ieee_inexact 0
		.amdhsa_exception_int_div_zero 0
	.end_amdhsa_kernel
	.section	.text._ZN9rocsolver6v33100L18getri_kernel_smallILi4E19rocblas_complex_numIdEPKPS3_EEvT1_iilPiilS8_bb,"axG",@progbits,_ZN9rocsolver6v33100L18getri_kernel_smallILi4E19rocblas_complex_numIdEPKPS3_EEvT1_iilPiilS8_bb,comdat
.Lfunc_end67:
	.size	_ZN9rocsolver6v33100L18getri_kernel_smallILi4E19rocblas_complex_numIdEPKPS3_EEvT1_iilPiilS8_bb, .Lfunc_end67-_ZN9rocsolver6v33100L18getri_kernel_smallILi4E19rocblas_complex_numIdEPKPS3_EEvT1_iilPiilS8_bb
                                        ; -- End function
	.section	.AMDGPU.csdata,"",@progbits
; Kernel info:
; codeLenInByte = 4300
; NumSgprs: 30
; NumVgprs: 48
; NumAgprs: 0
; TotalNumVgprs: 48
; ScratchSize: 80
; MemoryBound: 0
; FloatMode: 240
; IeeeMode: 1
; LDSByteSize: 1160 bytes/workgroup (compile time only)
; SGPRBlocks: 3
; VGPRBlocks: 5
; NumSGPRsForWavesPerEU: 30
; NumVGPRsForWavesPerEU: 48
; AccumOffset: 48
; Occupancy: 8
; WaveLimiterHint : 1
; COMPUTE_PGM_RSRC2:SCRATCH_EN: 1
; COMPUTE_PGM_RSRC2:USER_SGPR: 10
; COMPUTE_PGM_RSRC2:TRAP_HANDLER: 0
; COMPUTE_PGM_RSRC2:TGID_X_EN: 1
; COMPUTE_PGM_RSRC2:TGID_Y_EN: 0
; COMPUTE_PGM_RSRC2:TGID_Z_EN: 0
; COMPUTE_PGM_RSRC2:TIDIG_COMP_CNT: 2
; COMPUTE_PGM_RSRC3_GFX90A:ACCUM_OFFSET: 11
; COMPUTE_PGM_RSRC3_GFX90A:TG_SPLIT: 0
	.section	.text._ZN9rocsolver6v33100L18getri_kernel_smallILi5E19rocblas_complex_numIdEPKPS3_EEvT1_iilPiilS8_bb,"axG",@progbits,_ZN9rocsolver6v33100L18getri_kernel_smallILi5E19rocblas_complex_numIdEPKPS3_EEvT1_iilPiilS8_bb,comdat
	.globl	_ZN9rocsolver6v33100L18getri_kernel_smallILi5E19rocblas_complex_numIdEPKPS3_EEvT1_iilPiilS8_bb ; -- Begin function _ZN9rocsolver6v33100L18getri_kernel_smallILi5E19rocblas_complex_numIdEPKPS3_EEvT1_iilPiilS8_bb
	.p2align	8
	.type	_ZN9rocsolver6v33100L18getri_kernel_smallILi5E19rocblas_complex_numIdEPKPS3_EEvT1_iilPiilS8_bb,@function
_ZN9rocsolver6v33100L18getri_kernel_smallILi5E19rocblas_complex_numIdEPKPS3_EEvT1_iilPiilS8_bb: ; @_ZN9rocsolver6v33100L18getri_kernel_smallILi5E19rocblas_complex_numIdEPKPS3_EEvT1_iilPiilS8_bb
; %bb.0:
	s_add_u32 flat_scratch_lo, s8, s11
	s_addc_u32 flat_scratch_hi, s9, 0
	s_add_u32 s0, s0, s11
	v_and_b32_e32 v25, 0x3ff, v0
	s_addc_u32 s1, s1, 0
	v_cmp_gt_u32_e32 vcc, 5, v25
	s_and_saveexec_b64 s[8:9], vcc
	s_cbranch_execz .LBB68_34
; %bb.1:
	s_load_dword s20, s[6:7], 0x38
	s_load_dwordx2 s[8:9], s[6:7], 0x0
	s_load_dwordx4 s[12:15], s[6:7], 0x28
	s_waitcnt lgkmcnt(0)
	s_bitcmp1_b32 s20, 8
	s_cselect_b64 s[18:19], -1, 0
	s_ashr_i32 s11, s10, 31
	s_lshl_b64 s[16:17], s[10:11], 3
	s_add_u32 s8, s8, s16
	s_addc_u32 s9, s9, s17
	s_load_dwordx2 s[8:9], s[8:9], 0x0
	s_bfe_u32 s16, s20, 0x10008
	s_cmp_eq_u32 s16, 0
                                        ; implicit-def: $sgpr16_sgpr17
	s_cbranch_scc1 .LBB68_3
; %bb.2:
	s_load_dword s16, s[6:7], 0x20
	s_load_dwordx2 s[22:23], s[6:7], 0x18
	s_mul_i32 s13, s10, s13
	s_mul_hi_u32 s17, s10, s12
	s_add_i32 s13, s17, s13
	s_mul_i32 s21, s11, s12
	s_add_i32 s13, s13, s21
	s_mul_i32 s12, s10, s12
	s_waitcnt lgkmcnt(0)
	s_ashr_i32 s17, s16, 31
	s_lshl_b64 s[12:13], s[12:13], 2
	s_add_u32 s21, s22, s12
	s_addc_u32 s22, s23, s13
	s_lshl_b64 s[12:13], s[16:17], 2
	s_add_u32 s16, s21, s12
	s_addc_u32 s17, s22, s13
.LBB68_3:
	s_load_dwordx2 s[6:7], s[6:7], 0x8
	v_lshlrev_b32_e32 v26, 4, v25
	s_waitcnt lgkmcnt(0)
	s_ashr_i32 s13, s6, 31
	s_mov_b32 s12, s6
	s_lshl_b64 s[12:13], s[12:13], 4
	s_add_u32 s8, s8, s12
	s_addc_u32 s9, s9, s13
	v_mov_b32_e32 v1, s9
	v_add_co_u32_e32 v6, vcc, s8, v26
	s_ashr_i32 s13, s7, 31
	s_mov_b32 s12, s7
	s_add_i32 s6, s7, s7
	v_addc_co_u32_e32 v7, vcc, 0, v1, vcc
	s_lshl_b64 s[12:13], s[12:13], 4
	v_add_u32_e32 v12, s6, v25
	v_mov_b32_e32 v1, s13
	v_add_co_u32_e32 v8, vcc, s12, v6
	v_ashrrev_i32_e32 v13, 31, v12
	v_addc_co_u32_e32 v9, vcc, v7, v1, vcc
	v_lshlrev_b64 v[10:11], 4, v[12:13]
	v_mov_b32_e32 v1, s9
	v_add_co_u32_e32 v10, vcc, s8, v10
	global_load_dwordx4 v[2:5], v26, s[8:9]
	v_addc_co_u32_e32 v11, vcc, v1, v11, vcc
	global_load_dwordx4 v[16:19], v[8:9], off
	global_load_dwordx4 v[28:31], v[10:11], off
	v_add_u32_e32 v14, s7, v12
	v_ashrrev_i32_e32 v15, 31, v14
	v_lshlrev_b64 v[12:13], 4, v[14:15]
	v_add_co_u32_e32 v12, vcc, s8, v12
	v_addc_co_u32_e32 v13, vcc, v1, v13, vcc
	v_add_u32_e32 v14, s7, v14
	global_load_dwordx4 v[32:35], v[12:13], off
	v_ashrrev_i32_e32 v15, 31, v14
	v_lshlrev_b64 v[14:15], 4, v[14:15]
	v_add_co_u32_e32 v14, vcc, s8, v14
	v_addc_co_u32_e32 v15, vcc, v1, v15, vcc
	global_load_dwordx4 v[36:39], v[14:15], off
	v_mov_b32_e32 v1, 0
	v_add_u32_e32 v22, 16, v1
	v_add_u32_e32 v24, 32, v1
	v_add_u32_e32 v23, 48, v1
	v_add_u32_e32 v1, 64, v1
	s_bitcmp0_b32 s20, 0
	s_mov_b64 s[8:9], -1
	s_waitcnt vmcnt(4)
	buffer_store_dword v5, off, s[0:3], 0 offset:12
	buffer_store_dword v4, off, s[0:3], 0 offset:8
	;; [unrolled: 1-line block ×3, first 2 shown]
	buffer_store_dword v2, off, s[0:3], 0
	s_waitcnt vmcnt(7)
	buffer_store_dword v19, off, s[0:3], 0 offset:28
	buffer_store_dword v18, off, s[0:3], 0 offset:24
	buffer_store_dword v17, off, s[0:3], 0 offset:20
	buffer_store_dword v16, off, s[0:3], 0 offset:16
	s_waitcnt vmcnt(10)
	buffer_store_dword v31, off, s[0:3], 0 offset:44
	buffer_store_dword v30, off, s[0:3], 0 offset:40
	buffer_store_dword v29, off, s[0:3], 0 offset:36
	buffer_store_dword v28, off, s[0:3], 0 offset:32
	;; [unrolled: 5-line block ×4, first 2 shown]
	s_cbranch_scc1 .LBB68_32
; %bb.4:
	v_cmp_eq_u32_e64 s[6:7], 0, v25
	s_and_saveexec_b64 s[8:9], s[6:7]
	s_cbranch_execz .LBB68_6
; %bb.5:
	v_mov_b32_e32 v2, 0
	ds_write_b32 v2, v2 offset:160
.LBB68_6:
	s_or_b64 exec, exec, s[8:9]
	v_mov_b32_e32 v2, 0
	v_lshl_add_u32 v27, v25, 4, v2
	s_waitcnt lgkmcnt(0)
	; wave barrier
	s_waitcnt lgkmcnt(0)
	buffer_load_dword v2, v27, s[0:3], 0 offen
	buffer_load_dword v3, v27, s[0:3], 0 offen offset:4
	buffer_load_dword v4, v27, s[0:3], 0 offen offset:8
	;; [unrolled: 1-line block ×3, first 2 shown]
	s_waitcnt vmcnt(2)
	v_cmp_eq_f64_e32 vcc, 0, v[2:3]
	s_waitcnt vmcnt(0)
	v_cmp_eq_f64_e64 s[8:9], 0, v[4:5]
	s_and_b64 s[8:9], vcc, s[8:9]
	s_and_saveexec_b64 s[12:13], s[8:9]
	s_cbranch_execz .LBB68_10
; %bb.7:
	v_mov_b32_e32 v2, 0
	ds_read_b32 v4, v2 offset:160
	v_add_u32_e32 v3, 1, v25
	s_waitcnt lgkmcnt(0)
	v_readfirstlane_b32 s8, v4
	s_cmp_eq_u32 s8, 0
	s_cselect_b64 s[20:21], -1, 0
	v_cmp_gt_i32_e32 vcc, s8, v3
	s_or_b64 s[20:21], s[20:21], vcc
	s_and_b64 exec, exec, s[20:21]
	s_cbranch_execz .LBB68_10
; %bb.8:
	s_mov_b64 s[20:21], 0
	v_mov_b32_e32 v4, s8
.LBB68_9:                               ; =>This Inner Loop Header: Depth=1
	ds_cmpst_rtn_b32 v4, v2, v4, v3 offset:160
	s_waitcnt lgkmcnt(0)
	v_cmp_ne_u32_e32 vcc, 0, v4
	v_cmp_le_i32_e64 s[8:9], v4, v3
	s_and_b64 s[8:9], vcc, s[8:9]
	s_and_b64 s[8:9], exec, s[8:9]
	s_or_b64 s[20:21], s[8:9], s[20:21]
	s_andn2_b64 exec, exec, s[20:21]
	s_cbranch_execnz .LBB68_9
.LBB68_10:
	s_or_b64 exec, exec, s[12:13]
	v_mov_b32_e32 v3, 0
	s_waitcnt lgkmcnt(0)
	; wave barrier
	ds_read_b32 v2, v3 offset:160
	s_and_saveexec_b64 s[8:9], s[6:7]
	s_cbranch_execz .LBB68_12
; %bb.11:
	s_lshl_b64 s[12:13], s[10:11], 2
	s_add_u32 s12, s14, s12
	s_addc_u32 s13, s15, s13
	s_waitcnt lgkmcnt(0)
	global_store_dword v3, v2, s[12:13]
.LBB68_12:
	s_or_b64 exec, exec, s[8:9]
	s_waitcnt lgkmcnt(0)
	v_cmp_ne_u32_e32 vcc, 0, v2
	s_mov_b64 s[8:9], 0
	s_cbranch_vccnz .LBB68_32
; %bb.13:
	buffer_load_dword v17, v27, s[0:3], 0 offen offset:4
	buffer_load_dword v16, v27, s[0:3], 0 offen
	buffer_load_dword v19, v27, s[0:3], 0 offen offset:12
	buffer_load_dword v18, v27, s[0:3], 0 offen offset:8
                                        ; implicit-def: $vgpr20_vgpr21
	s_waitcnt vmcnt(3)
	v_xor_b32_e32 v3, 0x80000000, v17
	s_waitcnt vmcnt(2)
	v_cmp_gt_f64_e32 vcc, 0, v[16:17]
	s_waitcnt vmcnt(1)
	v_xor_b32_e32 v4, 0x80000000, v19
	v_cndmask_b32_e32 v3, v17, v3, vcc
	s_waitcnt vmcnt(0)
	v_cmp_gt_f64_e32 vcc, 0, v[18:19]
	v_mov_b32_e32 v2, v16
	v_cndmask_b32_e32 v5, v19, v4, vcc
	v_mov_b32_e32 v4, v18
	v_cmp_ngt_f64_e32 vcc, v[2:3], v[4:5]
                                        ; implicit-def: $vgpr4_vgpr5
	s_and_saveexec_b64 s[8:9], vcc
	s_xor_b64 s[8:9], exec, s[8:9]
	s_cbranch_execz .LBB68_15
; %bb.14:
	v_div_scale_f64 v[2:3], s[12:13], v[18:19], v[18:19], v[16:17]
	v_rcp_f64_e32 v[4:5], v[2:3]
	v_div_scale_f64 v[20:21], vcc, v[16:17], v[18:19], v[16:17]
	v_fma_f64 v[28:29], -v[2:3], v[4:5], 1.0
	v_fmac_f64_e32 v[4:5], v[4:5], v[28:29]
	v_fma_f64 v[28:29], -v[2:3], v[4:5], 1.0
	v_fmac_f64_e32 v[4:5], v[4:5], v[28:29]
	v_mul_f64 v[28:29], v[20:21], v[4:5]
	v_fma_f64 v[2:3], -v[2:3], v[28:29], v[20:21]
	v_div_fmas_f64 v[2:3], v[2:3], v[4:5], v[28:29]
	v_div_fixup_f64 v[2:3], v[2:3], v[18:19], v[16:17]
	v_fmac_f64_e32 v[18:19], v[16:17], v[2:3]
	v_div_scale_f64 v[4:5], s[12:13], v[18:19], v[18:19], 1.0
	v_rcp_f64_e32 v[16:17], v[4:5]
	v_fma_f64 v[20:21], -v[4:5], v[16:17], 1.0
	v_fmac_f64_e32 v[16:17], v[16:17], v[20:21]
	v_fma_f64 v[20:21], -v[4:5], v[16:17], 1.0
	v_fmac_f64_e32 v[16:17], v[16:17], v[20:21]
	v_div_scale_f64 v[20:21], vcc, 1.0, v[18:19], 1.0
	v_mul_f64 v[28:29], v[20:21], v[16:17]
	v_fma_f64 v[4:5], -v[4:5], v[28:29], v[20:21]
	s_nop 1
	v_div_fmas_f64 v[4:5], v[4:5], v[16:17], v[28:29]
	v_div_fixup_f64 v[4:5], v[4:5], v[18:19], 1.0
	v_mul_f64 v[20:21], v[2:3], v[4:5]
	v_xor_b32_e32 v5, 0x80000000, v5
	v_xor_b32_e32 v3, 0x80000000, v21
	v_mov_b32_e32 v2, v20
                                        ; implicit-def: $vgpr16_vgpr17
                                        ; implicit-def: $vgpr18_vgpr19
.LBB68_15:
	s_andn2_saveexec_b64 s[8:9], s[8:9]
	s_cbranch_execz .LBB68_17
; %bb.16:
	v_div_scale_f64 v[2:3], s[12:13], v[16:17], v[16:17], v[18:19]
	v_rcp_f64_e32 v[4:5], v[2:3]
	v_div_scale_f64 v[20:21], vcc, v[18:19], v[16:17], v[18:19]
	v_fma_f64 v[28:29], -v[2:3], v[4:5], 1.0
	v_fmac_f64_e32 v[4:5], v[4:5], v[28:29]
	v_fma_f64 v[28:29], -v[2:3], v[4:5], 1.0
	v_fmac_f64_e32 v[4:5], v[4:5], v[28:29]
	v_mul_f64 v[28:29], v[20:21], v[4:5]
	v_fma_f64 v[2:3], -v[2:3], v[28:29], v[20:21]
	v_div_fmas_f64 v[2:3], v[2:3], v[4:5], v[28:29]
	v_div_fixup_f64 v[4:5], v[2:3], v[16:17], v[18:19]
	v_fmac_f64_e32 v[16:17], v[18:19], v[4:5]
	v_div_scale_f64 v[2:3], s[12:13], v[16:17], v[16:17], 1.0
	v_rcp_f64_e32 v[18:19], v[2:3]
	v_fma_f64 v[20:21], -v[2:3], v[18:19], 1.0
	v_fmac_f64_e32 v[18:19], v[18:19], v[20:21]
	v_fma_f64 v[20:21], -v[2:3], v[18:19], 1.0
	v_fmac_f64_e32 v[18:19], v[18:19], v[20:21]
	v_div_scale_f64 v[20:21], vcc, 1.0, v[16:17], 1.0
	v_mul_f64 v[28:29], v[20:21], v[18:19]
	v_fma_f64 v[2:3], -v[2:3], v[28:29], v[20:21]
	s_nop 1
	v_div_fmas_f64 v[2:3], v[2:3], v[18:19], v[28:29]
	v_div_fixup_f64 v[20:21], v[2:3], v[16:17], 1.0
	v_xor_b32_e32 v3, 0x80000000, v21
	v_mov_b32_e32 v2, v20
	v_mul_f64 v[4:5], v[4:5], -v[20:21]
.LBB68_17:
	s_or_b64 exec, exec, s[8:9]
	buffer_store_dword v21, v27, s[0:3], 0 offen offset:4
	buffer_store_dword v20, v27, s[0:3], 0 offen
	buffer_store_dword v5, v27, s[0:3], 0 offen offset:12
	buffer_store_dword v4, v27, s[0:3], 0 offen offset:8
	buffer_load_dword v21, v22, s[0:3], 0 offen offset:12
	s_nop 0
	buffer_load_dword v20, v22, s[0:3], 0 offen offset:8
	buffer_load_dword v19, v22, s[0:3], 0 offen offset:4
	buffer_load_dword v18, v22, s[0:3], 0 offen
	v_xor_b32_e32 v5, 0x80000000, v5
	v_add_u32_e32 v16, 0x50, v26
	ds_write_b128 v26, v[2:5]
	s_waitcnt vmcnt(0)
	ds_write_b128 v26, v[18:21] offset:80
	s_waitcnt lgkmcnt(0)
	; wave barrier
	s_waitcnt lgkmcnt(0)
	s_and_saveexec_b64 s[8:9], s[6:7]
	s_cbranch_execz .LBB68_19
; %bb.18:
	buffer_load_dword v28, v27, s[0:3], 0 offen offset:8
	buffer_load_dword v29, v27, s[0:3], 0 offen offset:12
	buffer_load_dword v30, v27, s[0:3], 0 offen
	buffer_load_dword v31, v27, s[0:3], 0 offen offset:4
	ds_read_b128 v[2:5], v16
	v_mov_b32_e32 v17, 0
	ds_read_b128 v[18:21], v17 offset:16
	s_waitcnt vmcnt(2) lgkmcnt(1)
	v_mul_f64 v[32:33], v[4:5], v[28:29]
	v_mul_f64 v[28:29], v[2:3], v[28:29]
	s_waitcnt vmcnt(0)
	v_fmac_f64_e32 v[28:29], v[4:5], v[30:31]
	v_fma_f64 v[2:3], v[2:3], v[30:31], -v[32:33]
	v_add_f64 v[4:5], v[28:29], 0
	v_add_f64 v[2:3], v[2:3], 0
	s_waitcnt lgkmcnt(0)
	v_mul_f64 v[28:29], v[4:5], v[20:21]
	v_mul_f64 v[20:21], v[2:3], v[20:21]
	v_fma_f64 v[2:3], v[2:3], v[18:19], -v[28:29]
	v_fmac_f64_e32 v[20:21], v[4:5], v[18:19]
	buffer_store_dword v2, off, s[0:3], 0 offset:16
	buffer_store_dword v3, off, s[0:3], 0 offset:20
	;; [unrolled: 1-line block ×4, first 2 shown]
.LBB68_19:
	s_or_b64 exec, exec, s[8:9]
	s_waitcnt lgkmcnt(0)
	; wave barrier
	buffer_load_dword v2, v24, s[0:3], 0 offen
	buffer_load_dword v3, v24, s[0:3], 0 offen offset:4
	buffer_load_dword v4, v24, s[0:3], 0 offen offset:8
	;; [unrolled: 1-line block ×3, first 2 shown]
	v_cmp_gt_u32_e32 vcc, 2, v25
	s_waitcnt vmcnt(0)
	ds_write_b128 v16, v[2:5]
	s_waitcnt lgkmcnt(0)
	; wave barrier
	s_waitcnt lgkmcnt(0)
	s_and_saveexec_b64 s[8:9], vcc
	s_cbranch_execz .LBB68_23
; %bb.20:
	buffer_load_dword v18, v27, s[0:3], 0 offen offset:8
	buffer_load_dword v19, v27, s[0:3], 0 offen offset:12
	buffer_load_dword v20, v27, s[0:3], 0 offen
	buffer_load_dword v21, v27, s[0:3], 0 offen offset:4
	ds_read_b128 v[2:5], v16
	s_waitcnt vmcnt(2) lgkmcnt(0)
	v_mul_f64 v[28:29], v[4:5], v[18:19]
	v_mul_f64 v[18:19], v[2:3], v[18:19]
	s_waitcnt vmcnt(0)
	v_fma_f64 v[2:3], v[2:3], v[20:21], -v[28:29]
	v_fmac_f64_e32 v[18:19], v[4:5], v[20:21]
	v_add_f64 v[4:5], v[2:3], 0
	v_add_f64 v[2:3], v[18:19], 0
	s_and_saveexec_b64 s[12:13], s[6:7]
	s_cbranch_execz .LBB68_22
; %bb.21:
	buffer_load_dword v28, off, s[0:3], 0 offset:24
	buffer_load_dword v29, off, s[0:3], 0 offset:28
	;; [unrolled: 1-line block ×4, first 2 shown]
	v_mov_b32_e32 v17, 0
	ds_read_b128 v[18:21], v17 offset:96
	s_waitcnt vmcnt(2) lgkmcnt(0)
	v_mul_f64 v[32:33], v[18:19], v[28:29]
	v_mul_f64 v[28:29], v[20:21], v[28:29]
	s_waitcnt vmcnt(0)
	v_fmac_f64_e32 v[32:33], v[20:21], v[30:31]
	v_fma_f64 v[18:19], v[18:19], v[30:31], -v[28:29]
	v_add_f64 v[2:3], v[2:3], v[32:33]
	v_add_f64 v[4:5], v[4:5], v[18:19]
.LBB68_22:
	s_or_b64 exec, exec, s[12:13]
	v_mov_b32_e32 v17, 0
	ds_read_b128 v[18:21], v17 offset:32
	s_waitcnt lgkmcnt(0)
	v_mul_f64 v[28:29], v[2:3], v[20:21]
	v_mul_f64 v[20:21], v[4:5], v[20:21]
	v_fma_f64 v[4:5], v[4:5], v[18:19], -v[28:29]
	v_fmac_f64_e32 v[20:21], v[2:3], v[18:19]
	buffer_store_dword v5, off, s[0:3], 0 offset:36
	buffer_store_dword v4, off, s[0:3], 0 offset:32
	;; [unrolled: 1-line block ×4, first 2 shown]
.LBB68_23:
	s_or_b64 exec, exec, s[8:9]
	s_waitcnt lgkmcnt(0)
	; wave barrier
	buffer_load_dword v2, v23, s[0:3], 0 offen
	buffer_load_dword v3, v23, s[0:3], 0 offen offset:4
	buffer_load_dword v4, v23, s[0:3], 0 offen offset:8
	;; [unrolled: 1-line block ×3, first 2 shown]
	v_cmp_gt_u32_e32 vcc, 3, v25
	v_add_u32_e32 v17, -1, v25
	s_waitcnt vmcnt(0)
	ds_write_b128 v16, v[2:5]
	s_waitcnt lgkmcnt(0)
	; wave barrier
	s_waitcnt lgkmcnt(0)
	s_and_saveexec_b64 s[6:7], vcc
	s_cbranch_execz .LBB68_27
; %bb.24:
	v_pk_mov_b32 v[2:3], 0, 0
	v_add_u32_e32 v18, -1, v25
	v_add_u32_e32 v19, 0x50, v26
	v_add_u32_e32 v20, 0, v26
	s_mov_b64 s[8:9], 0
	v_pk_mov_b32 v[4:5], v[2:3], v[2:3] op_sel:[0,1]
.LBB68_25:                              ; =>This Inner Loop Header: Depth=1
	buffer_load_dword v32, v20, s[0:3], 0 offen offset:8
	buffer_load_dword v33, v20, s[0:3], 0 offen offset:12
	buffer_load_dword v34, v20, s[0:3], 0 offen
	buffer_load_dword v35, v20, s[0:3], 0 offen offset:4
	ds_read_b128 v[28:31], v19
	v_add_u32_e32 v18, 1, v18
	v_cmp_lt_u32_e32 vcc, 1, v18
	v_add_u32_e32 v19, 16, v19
	v_add_u32_e32 v20, 16, v20
	s_or_b64 s[8:9], vcc, s[8:9]
	s_waitcnt vmcnt(2) lgkmcnt(0)
	v_mul_f64 v[36:37], v[30:31], v[32:33]
	v_mul_f64 v[32:33], v[28:29], v[32:33]
	s_waitcnt vmcnt(0)
	v_fma_f64 v[28:29], v[28:29], v[34:35], -v[36:37]
	v_fmac_f64_e32 v[32:33], v[30:31], v[34:35]
	v_add_f64 v[4:5], v[4:5], v[28:29]
	v_add_f64 v[2:3], v[2:3], v[32:33]
	s_andn2_b64 exec, exec, s[8:9]
	s_cbranch_execnz .LBB68_25
; %bb.26:
	s_or_b64 exec, exec, s[8:9]
	v_mov_b32_e32 v18, 0
	ds_read_b128 v[18:21], v18 offset:48
	s_waitcnt lgkmcnt(0)
	v_mul_f64 v[28:29], v[2:3], v[20:21]
	v_mul_f64 v[20:21], v[4:5], v[20:21]
	v_fma_f64 v[4:5], v[4:5], v[18:19], -v[28:29]
	v_fmac_f64_e32 v[20:21], v[2:3], v[18:19]
	buffer_store_dword v5, off, s[0:3], 0 offset:52
	buffer_store_dword v4, off, s[0:3], 0 offset:48
	buffer_store_dword v21, off, s[0:3], 0 offset:60
	buffer_store_dword v20, off, s[0:3], 0 offset:56
.LBB68_27:
	s_or_b64 exec, exec, s[6:7]
	s_waitcnt lgkmcnt(0)
	; wave barrier
	buffer_load_dword v2, v1, s[0:3], 0 offen
	buffer_load_dword v3, v1, s[0:3], 0 offen offset:4
	buffer_load_dword v4, v1, s[0:3], 0 offen offset:8
	;; [unrolled: 1-line block ×3, first 2 shown]
	v_cmp_ne_u32_e32 vcc, 4, v25
	s_waitcnt vmcnt(0)
	ds_write_b128 v16, v[2:5]
	s_waitcnt lgkmcnt(0)
	; wave barrier
	s_waitcnt lgkmcnt(0)
	s_and_saveexec_b64 s[6:7], vcc
	s_cbranch_execz .LBB68_31
; %bb.28:
	v_pk_mov_b32 v[2:3], 0, 0
	v_add_u32_e32 v16, 0x50, v26
	v_add_u32_e32 v18, 0, v26
	s_mov_b64 s[8:9], 0
	v_pk_mov_b32 v[4:5], v[2:3], v[2:3] op_sel:[0,1]
.LBB68_29:                              ; =>This Inner Loop Header: Depth=1
	buffer_load_dword v20, v18, s[0:3], 0 offen offset:8
	buffer_load_dword v21, v18, s[0:3], 0 offen offset:12
	buffer_load_dword v30, v18, s[0:3], 0 offen
	buffer_load_dword v31, v18, s[0:3], 0 offen offset:4
	ds_read_b128 v[26:29], v16
	v_add_u32_e32 v17, 1, v17
	v_cmp_lt_u32_e32 vcc, 2, v17
	v_add_u32_e32 v16, 16, v16
	v_add_u32_e32 v18, 16, v18
	s_or_b64 s[8:9], vcc, s[8:9]
	s_waitcnt vmcnt(2) lgkmcnt(0)
	v_mul_f64 v[32:33], v[28:29], v[20:21]
	v_mul_f64 v[20:21], v[26:27], v[20:21]
	s_waitcnt vmcnt(0)
	v_fma_f64 v[26:27], v[26:27], v[30:31], -v[32:33]
	v_fmac_f64_e32 v[20:21], v[28:29], v[30:31]
	v_add_f64 v[4:5], v[4:5], v[26:27]
	v_add_f64 v[2:3], v[2:3], v[20:21]
	s_andn2_b64 exec, exec, s[8:9]
	s_cbranch_execnz .LBB68_29
; %bb.30:
	s_or_b64 exec, exec, s[8:9]
	v_mov_b32_e32 v16, 0
	ds_read_b128 v[16:19], v16 offset:64
	s_waitcnt lgkmcnt(0)
	v_mul_f64 v[20:21], v[2:3], v[18:19]
	v_mul_f64 v[18:19], v[4:5], v[18:19]
	v_fma_f64 v[4:5], v[4:5], v[16:17], -v[20:21]
	v_fmac_f64_e32 v[18:19], v[2:3], v[16:17]
	buffer_store_dword v5, off, s[0:3], 0 offset:68
	buffer_store_dword v4, off, s[0:3], 0 offset:64
	;; [unrolled: 1-line block ×4, first 2 shown]
.LBB68_31:
	s_or_b64 exec, exec, s[6:7]
	s_mov_b64 s[8:9], -1
	s_waitcnt lgkmcnt(0)
	; wave barrier
.LBB68_32:
	s_and_b64 vcc, exec, s[8:9]
	s_cbranch_vccz .LBB68_34
; %bb.33:
	s_lshl_b64 s[6:7], s[10:11], 2
	s_add_u32 s6, s14, s6
	s_addc_u32 s7, s15, s7
	v_mov_b32_e32 v2, 0
	global_load_dword v2, v2, s[6:7]
	s_waitcnt vmcnt(0)
	v_cmp_ne_u32_e32 vcc, 0, v2
	s_cbranch_vccz .LBB68_35
.LBB68_34:
	s_endpgm
.LBB68_35:
	v_mov_b32_e32 v2, 0x50
	v_lshl_add_u32 v2, v25, 4, v2
	v_cmp_eq_u32_e32 vcc, 4, v25
	s_and_saveexec_b64 s[6:7], vcc
	s_cbranch_execz .LBB68_37
; %bb.36:
	buffer_load_dword v16, v23, s[0:3], 0 offen
	buffer_load_dword v17, v23, s[0:3], 0 offen offset:4
	buffer_load_dword v18, v23, s[0:3], 0 offen offset:8
	;; [unrolled: 1-line block ×3, first 2 shown]
	v_mov_b32_e32 v3, 0
	buffer_store_dword v3, off, s[0:3], 0 offset:48
	buffer_store_dword v3, off, s[0:3], 0 offset:52
	;; [unrolled: 1-line block ×4, first 2 shown]
	s_waitcnt vmcnt(4)
	ds_write_b128 v2, v[16:19]
.LBB68_37:
	s_or_b64 exec, exec, s[6:7]
	s_waitcnt lgkmcnt(0)
	; wave barrier
	s_waitcnt lgkmcnt(0)
	buffer_load_dword v4, off, s[0:3], 0 offset:72
	buffer_load_dword v5, off, s[0:3], 0 offset:76
	;; [unrolled: 1-line block ×8, first 2 shown]
	v_mov_b32_e32 v3, 0
	ds_read_b128 v[16:19], v3 offset:144
	v_cmp_lt_u32_e32 vcc, 2, v25
	s_waitcnt vmcnt(6) lgkmcnt(0)
	v_mul_f64 v[30:31], v[16:17], v[4:5]
	v_mul_f64 v[4:5], v[18:19], v[4:5]
	s_waitcnt vmcnt(4)
	v_fma_f64 v[4:5], v[16:17], v[20:21], -v[4:5]
	v_fmac_f64_e32 v[30:31], v[18:19], v[20:21]
	v_add_f64 v[4:5], v[4:5], 0
	v_add_f64 v[16:17], v[30:31], 0
	s_waitcnt vmcnt(2)
	v_add_f64 v[4:5], v[26:27], -v[4:5]
	s_waitcnt vmcnt(0)
	v_add_f64 v[16:17], v[28:29], -v[16:17]
	buffer_store_dword v4, off, s[0:3], 0 offset:48
	buffer_store_dword v5, off, s[0:3], 0 offset:52
	;; [unrolled: 1-line block ×4, first 2 shown]
	s_and_saveexec_b64 s[6:7], vcc
	s_cbranch_execz .LBB68_39
; %bb.38:
	buffer_load_dword v16, v24, s[0:3], 0 offen
	buffer_load_dword v17, v24, s[0:3], 0 offen offset:4
	buffer_load_dword v18, v24, s[0:3], 0 offen offset:8
	;; [unrolled: 1-line block ×3, first 2 shown]
	s_nop 0
	buffer_store_dword v3, off, s[0:3], 0 offset:32
	buffer_store_dword v3, off, s[0:3], 0 offset:36
	;; [unrolled: 1-line block ×4, first 2 shown]
	s_waitcnt vmcnt(4)
	ds_write_b128 v2, v[16:19]
.LBB68_39:
	s_or_b64 exec, exec, s[6:7]
	s_waitcnt lgkmcnt(0)
	; wave barrier
	s_waitcnt lgkmcnt(0)
	buffer_load_dword v4, off, s[0:3], 0 offset:56
	buffer_load_dword v5, off, s[0:3], 0 offset:60
	;; [unrolled: 1-line block ×12, first 2 shown]
	ds_read_b128 v[16:19], v3 offset:128
	ds_read_b128 v[26:29], v3 offset:144
	v_cmp_lt_u32_e32 vcc, 1, v25
	s_waitcnt vmcnt(10) lgkmcnt(1)
	v_mul_f64 v[38:39], v[16:17], v[4:5]
	v_mul_f64 v[4:5], v[18:19], v[4:5]
	s_waitcnt vmcnt(8) lgkmcnt(0)
	v_mul_f64 v[40:41], v[26:27], v[20:21]
	v_mul_f64 v[20:21], v[28:29], v[20:21]
	s_waitcnt vmcnt(6)
	v_fma_f64 v[4:5], v[16:17], v[30:31], -v[4:5]
	v_fmac_f64_e32 v[38:39], v[18:19], v[30:31]
	s_waitcnt vmcnt(4)
	v_fma_f64 v[16:17], v[26:27], v[32:33], -v[20:21]
	v_add_f64 v[4:5], v[4:5], 0
	v_fmac_f64_e32 v[40:41], v[28:29], v[32:33]
	v_add_f64 v[18:19], v[38:39], 0
	v_add_f64 v[4:5], v[4:5], v[16:17]
	;; [unrolled: 1-line block ×3, first 2 shown]
	s_waitcnt vmcnt(2)
	v_add_f64 v[4:5], v[34:35], -v[4:5]
	s_waitcnt vmcnt(0)
	v_add_f64 v[16:17], v[36:37], -v[18:19]
	buffer_store_dword v4, off, s[0:3], 0 offset:32
	buffer_store_dword v5, off, s[0:3], 0 offset:36
	;; [unrolled: 1-line block ×4, first 2 shown]
	s_and_saveexec_b64 s[6:7], vcc
	s_cbranch_execz .LBB68_41
; %bb.40:
	buffer_load_dword v16, v22, s[0:3], 0 offen
	buffer_load_dword v17, v22, s[0:3], 0 offen offset:4
	buffer_load_dword v18, v22, s[0:3], 0 offen offset:8
	;; [unrolled: 1-line block ×3, first 2 shown]
	v_mov_b32_e32 v3, 0
	buffer_store_dword v3, off, s[0:3], 0 offset:16
	buffer_store_dword v3, off, s[0:3], 0 offset:20
	;; [unrolled: 1-line block ×4, first 2 shown]
	s_waitcnt vmcnt(4)
	ds_write_b128 v2, v[16:19]
.LBB68_41:
	s_or_b64 exec, exec, s[6:7]
	s_waitcnt lgkmcnt(0)
	; wave barrier
	s_waitcnt lgkmcnt(0)
	buffer_load_dword v4, off, s[0:3], 0 offset:40
	buffer_load_dword v5, off, s[0:3], 0 offset:44
	;; [unrolled: 1-line block ×16, first 2 shown]
	v_mov_b32_e32 v3, 0
	ds_read_b128 v[16:19], v3 offset:112
	ds_read_b128 v[26:29], v3 offset:128
	;; [unrolled: 1-line block ×3, first 2 shown]
	v_cmp_ne_u32_e32 vcc, 0, v25
	s_waitcnt vmcnt(14) lgkmcnt(2)
	v_mul_f64 v[46:47], v[16:17], v[4:5]
	v_mul_f64 v[4:5], v[18:19], v[4:5]
	s_waitcnt vmcnt(12) lgkmcnt(1)
	v_mul_f64 v[48:49], v[26:27], v[20:21]
	v_mul_f64 v[20:21], v[28:29], v[20:21]
	;; [unrolled: 3-line block ×3, first 2 shown]
	s_waitcnt vmcnt(8)
	v_fma_f64 v[4:5], v[16:17], v[36:37], -v[4:5]
	v_fmac_f64_e32 v[46:47], v[18:19], v[36:37]
	s_waitcnt vmcnt(6)
	v_fma_f64 v[16:17], v[26:27], v[38:39], -v[20:21]
	v_add_f64 v[4:5], v[4:5], 0
	v_fmac_f64_e32 v[48:49], v[28:29], v[38:39]
	s_waitcnt vmcnt(4)
	v_fma_f64 v[18:19], v[30:31], v[40:41], -v[34:35]
	v_add_f64 v[20:21], v[46:47], 0
	v_add_f64 v[4:5], v[4:5], v[16:17]
	v_fmac_f64_e32 v[50:51], v[32:33], v[40:41]
	v_add_f64 v[20:21], v[20:21], v[48:49]
	v_add_f64 v[4:5], v[4:5], v[18:19]
	;; [unrolled: 1-line block ×3, first 2 shown]
	s_waitcnt vmcnt(2)
	v_add_f64 v[4:5], v[42:43], -v[4:5]
	s_waitcnt vmcnt(0)
	v_add_f64 v[16:17], v[44:45], -v[16:17]
	buffer_store_dword v4, off, s[0:3], 0 offset:16
	buffer_store_dword v5, off, s[0:3], 0 offset:20
	;; [unrolled: 1-line block ×4, first 2 shown]
	s_and_saveexec_b64 s[6:7], vcc
	s_cbranch_execz .LBB68_43
; %bb.42:
	buffer_load_dword v16, off, s[0:3], 0
	buffer_load_dword v17, off, s[0:3], 0 offset:4
	buffer_load_dword v18, off, s[0:3], 0 offset:8
	;; [unrolled: 1-line block ×3, first 2 shown]
	s_nop 0
	buffer_store_dword v3, off, s[0:3], 0
	buffer_store_dword v3, off, s[0:3], 0 offset:4
	buffer_store_dword v3, off, s[0:3], 0 offset:8
	;; [unrolled: 1-line block ×3, first 2 shown]
	s_waitcnt vmcnt(4)
	ds_write_b128 v2, v[16:19]
.LBB68_43:
	s_or_b64 exec, exec, s[6:7]
	s_waitcnt lgkmcnt(0)
	; wave barrier
	s_waitcnt lgkmcnt(0)
	buffer_load_dword v20, off, s[0:3], 0 offset:24
	buffer_load_dword v21, off, s[0:3], 0 offset:28
	;; [unrolled: 1-line block ×16, first 2 shown]
	buffer_load_dword v48, off, s[0:3], 0
	buffer_load_dword v49, off, s[0:3], 0 offset:4
	buffer_load_dword v50, off, s[0:3], 0 offset:8
	;; [unrolled: 1-line block ×3, first 2 shown]
	ds_read_b128 v[16:19], v3 offset:96
	ds_read_b128 v[26:29], v3 offset:112
	;; [unrolled: 1-line block ×4, first 2 shown]
	s_and_b64 vcc, exec, s[18:19]
	s_waitcnt vmcnt(18) lgkmcnt(3)
	v_mul_f64 v[52:53], v[16:17], v[20:21]
	v_mul_f64 v[20:21], v[18:19], v[20:21]
	s_waitcnt vmcnt(16) lgkmcnt(2)
	v_mul_f64 v[54:55], v[26:27], v[34:35]
	v_mul_f64 v[34:35], v[28:29], v[34:35]
	;; [unrolled: 3-line block ×4, first 2 shown]
	s_waitcnt vmcnt(10)
	v_fmac_f64_e32 v[52:53], v[18:19], v[40:41]
	s_waitcnt vmcnt(8)
	v_fmac_f64_e32 v[54:55], v[28:29], v[42:43]
	s_waitcnt vmcnt(6)
	v_fma_f64 v[18:19], v[30:31], v[44:45], -v[36:37]
	v_fmac_f64_e32 v[56:57], v[32:33], v[44:45]
	s_waitcnt vmcnt(4)
	v_fmac_f64_e32 v[58:59], v[4:5], v[46:47]
	v_fma_f64 v[4:5], v[16:17], v[40:41], -v[20:21]
	v_fma_f64 v[16:17], v[26:27], v[42:43], -v[34:35]
	v_add_f64 v[4:5], v[4:5], 0
	v_add_f64 v[20:21], v[52:53], 0
	;; [unrolled: 1-line block ×3, first 2 shown]
	v_fma_f64 v[2:3], v[2:3], v[46:47], -v[38:39]
	v_add_f64 v[20:21], v[20:21], v[54:55]
	v_add_f64 v[4:5], v[4:5], v[18:19]
	;; [unrolled: 1-line block ×5, first 2 shown]
	s_waitcnt vmcnt(2)
	v_add_f64 v[2:3], v[48:49], -v[2:3]
	s_waitcnt vmcnt(0)
	v_add_f64 v[4:5], v[50:51], -v[16:17]
	buffer_store_dword v2, off, s[0:3], 0
	buffer_store_dword v3, off, s[0:3], 0 offset:4
	buffer_store_dword v4, off, s[0:3], 0 offset:8
	;; [unrolled: 1-line block ×3, first 2 shown]
	s_cbranch_vccz .LBB68_53
; %bb.44:
	v_pk_mov_b32 v[2:3], s[16:17], s[16:17] op_sel:[0,1]
	flat_load_dword v2, v[2:3] offset:12
	s_load_dwordx2 s[4:5], s[4:5], 0x4
	v_bfe_u32 v4, v0, 10, 10
	v_bfe_u32 v0, v0, 20, 10
	s_waitcnt lgkmcnt(0)
	s_lshr_b32 s4, s4, 16
	s_mul_i32 s4, s4, s5
	v_mul_u32_u24_e32 v3, s4, v25
	v_mul_u32_u24_e32 v4, s5, v4
	v_add3_u32 v0, v3, v4, v0
	v_mov_b32_e32 v3, 0xa8
	v_lshl_add_u32 v0, v0, 4, v3
	s_waitcnt vmcnt(0)
	v_add_u32_e32 v2, -1, v2
	v_cmp_ne_u32_e32 vcc, 3, v2
	s_and_saveexec_b64 s[4:5], vcc
	s_cbranch_execz .LBB68_46
; %bb.45:
	v_mov_b32_e32 v3, 0
	v_lshl_add_u32 v16, v2, 4, v3
	buffer_load_dword v2, v23, s[0:3], 0 offen
	buffer_load_dword v3, v23, s[0:3], 0 offen offset:4
	buffer_load_dword v4, v23, s[0:3], 0 offen offset:8
	;; [unrolled: 1-line block ×3, first 2 shown]
	buffer_load_dword v17, v16, s[0:3], 0 offen
	buffer_load_dword v18, v16, s[0:3], 0 offen offset:4
	buffer_load_dword v19, v16, s[0:3], 0 offen offset:8
	;; [unrolled: 1-line block ×3, first 2 shown]
	s_waitcnt vmcnt(4)
	ds_write2_b64 v0, v[2:3], v[4:5] offset1:1
	s_waitcnt vmcnt(3)
	buffer_store_dword v17, v23, s[0:3], 0 offen
	s_waitcnt vmcnt(3)
	buffer_store_dword v18, v23, s[0:3], 0 offen offset:4
	s_waitcnt vmcnt(3)
	buffer_store_dword v19, v23, s[0:3], 0 offen offset:8
	;; [unrolled: 2-line block ×3, first 2 shown]
	buffer_store_dword v5, v16, s[0:3], 0 offen offset:12
	buffer_store_dword v4, v16, s[0:3], 0 offen offset:8
	;; [unrolled: 1-line block ×3, first 2 shown]
	buffer_store_dword v2, v16, s[0:3], 0 offen
.LBB68_46:
	s_or_b64 exec, exec, s[4:5]
	v_pk_mov_b32 v[2:3], s[16:17], s[16:17] op_sel:[0,1]
	flat_load_dword v2, v[2:3] offset:8
	s_waitcnt vmcnt(0) lgkmcnt(0)
	v_add_u32_e32 v2, -1, v2
	v_cmp_ne_u32_e32 vcc, 2, v2
	s_and_saveexec_b64 s[4:5], vcc
	s_cbranch_execz .LBB68_48
; %bb.47:
	v_mov_b32_e32 v3, 0
	v_lshl_add_u32 v16, v2, 4, v3
	buffer_load_dword v2, v24, s[0:3], 0 offen
	buffer_load_dword v3, v24, s[0:3], 0 offen offset:4
	buffer_load_dword v4, v24, s[0:3], 0 offen offset:8
	;; [unrolled: 1-line block ×3, first 2 shown]
	buffer_load_dword v17, v16, s[0:3], 0 offen
	buffer_load_dword v18, v16, s[0:3], 0 offen offset:4
	buffer_load_dword v19, v16, s[0:3], 0 offen offset:8
	;; [unrolled: 1-line block ×3, first 2 shown]
	s_waitcnt vmcnt(4)
	ds_write2_b64 v0, v[2:3], v[4:5] offset1:1
	s_waitcnt vmcnt(3)
	buffer_store_dword v17, v24, s[0:3], 0 offen
	s_waitcnt vmcnt(3)
	buffer_store_dword v18, v24, s[0:3], 0 offen offset:4
	s_waitcnt vmcnt(3)
	buffer_store_dword v19, v24, s[0:3], 0 offen offset:8
	s_waitcnt vmcnt(3)
	buffer_store_dword v20, v24, s[0:3], 0 offen offset:12
	buffer_store_dword v5, v16, s[0:3], 0 offen offset:12
	buffer_store_dword v4, v16, s[0:3], 0 offen offset:8
	;; [unrolled: 1-line block ×3, first 2 shown]
	buffer_store_dword v2, v16, s[0:3], 0 offen
.LBB68_48:
	s_or_b64 exec, exec, s[4:5]
	v_pk_mov_b32 v[2:3], s[16:17], s[16:17] op_sel:[0,1]
	flat_load_dword v2, v[2:3] offset:4
	s_waitcnt vmcnt(0) lgkmcnt(0)
	v_add_u32_e32 v2, -1, v2
	v_cmp_ne_u32_e32 vcc, 1, v2
	s_and_saveexec_b64 s[4:5], vcc
	s_cbranch_execz .LBB68_50
; %bb.49:
	v_mov_b32_e32 v3, 0
	v_lshl_add_u32 v16, v2, 4, v3
	buffer_load_dword v2, v22, s[0:3], 0 offen
	buffer_load_dword v3, v22, s[0:3], 0 offen offset:4
	buffer_load_dword v4, v22, s[0:3], 0 offen offset:8
	;; [unrolled: 1-line block ×3, first 2 shown]
	buffer_load_dword v17, v16, s[0:3], 0 offen
	buffer_load_dword v18, v16, s[0:3], 0 offen offset:4
	buffer_load_dword v19, v16, s[0:3], 0 offen offset:8
	;; [unrolled: 1-line block ×3, first 2 shown]
	s_waitcnt vmcnt(4)
	ds_write2_b64 v0, v[2:3], v[4:5] offset1:1
	s_waitcnt vmcnt(3)
	buffer_store_dword v17, v22, s[0:3], 0 offen
	s_waitcnt vmcnt(3)
	buffer_store_dword v18, v22, s[0:3], 0 offen offset:4
	s_waitcnt vmcnt(3)
	buffer_store_dword v19, v22, s[0:3], 0 offen offset:8
	;; [unrolled: 2-line block ×3, first 2 shown]
	buffer_store_dword v5, v16, s[0:3], 0 offen offset:12
	buffer_store_dword v4, v16, s[0:3], 0 offen offset:8
	;; [unrolled: 1-line block ×3, first 2 shown]
	buffer_store_dword v2, v16, s[0:3], 0 offen
.LBB68_50:
	s_or_b64 exec, exec, s[4:5]
	v_pk_mov_b32 v[2:3], s[16:17], s[16:17] op_sel:[0,1]
	flat_load_dword v2, v[2:3]
	s_waitcnt vmcnt(0) lgkmcnt(0)
	v_add_u32_e32 v2, -1, v2
	v_cmp_ne_u32_e32 vcc, 0, v2
	s_and_saveexec_b64 s[4:5], vcc
	s_cbranch_execz .LBB68_52
; %bb.51:
	v_mov_b32_e32 v3, 0
	v_lshl_add_u32 v16, v2, 4, v3
	buffer_load_dword v2, off, s[0:3], 0
	buffer_load_dword v3, off, s[0:3], 0 offset:4
	buffer_load_dword v4, off, s[0:3], 0 offset:8
	;; [unrolled: 1-line block ×3, first 2 shown]
	buffer_load_dword v17, v16, s[0:3], 0 offen
	buffer_load_dword v18, v16, s[0:3], 0 offen offset:4
	buffer_load_dword v19, v16, s[0:3], 0 offen offset:8
	;; [unrolled: 1-line block ×3, first 2 shown]
	s_waitcnt vmcnt(4)
	ds_write2_b64 v0, v[2:3], v[4:5] offset1:1
	s_waitcnt vmcnt(3)
	buffer_store_dword v17, off, s[0:3], 0
	s_waitcnt vmcnt(3)
	buffer_store_dword v18, off, s[0:3], 0 offset:4
	s_waitcnt vmcnt(3)
	buffer_store_dword v19, off, s[0:3], 0 offset:8
	;; [unrolled: 2-line block ×3, first 2 shown]
	buffer_store_dword v5, v16, s[0:3], 0 offen offset:12
	buffer_store_dword v4, v16, s[0:3], 0 offen offset:8
	;; [unrolled: 1-line block ×3, first 2 shown]
	buffer_store_dword v2, v16, s[0:3], 0 offen
.LBB68_52:
	s_or_b64 exec, exec, s[4:5]
.LBB68_53:
	buffer_load_dword v2, v22, s[0:3], 0 offen
	buffer_load_dword v3, v22, s[0:3], 0 offen offset:4
	buffer_load_dword v4, v22, s[0:3], 0 offen offset:8
	;; [unrolled: 1-line block ×6, first 2 shown]
	buffer_load_dword v26, v23, s[0:3], 0 offen
	buffer_load_dword v27, v23, s[0:3], 0 offen offset:4
	buffer_load_dword v28, v23, s[0:3], 0 offen offset:8
	buffer_load_dword v16, v24, s[0:3], 0 offen
	buffer_load_dword v29, v23, s[0:3], 0 offen offset:12
                                        ; kill: killed $vgpr24
                                        ; kill: killed $vgpr22
                                        ; kill: killed $vgpr23
	buffer_load_dword v20, off, s[0:3], 0
	buffer_load_dword v21, off, s[0:3], 0 offset:4
	buffer_load_dword v22, off, s[0:3], 0 offset:8
	s_nop 0
	buffer_load_dword v23, off, s[0:3], 0 offset:12
	buffer_load_dword v30, v1, s[0:3], 0 offen
	buffer_load_dword v31, v1, s[0:3], 0 offen offset:4
	buffer_load_dword v32, v1, s[0:3], 0 offen offset:8
	;; [unrolled: 1-line block ×3, first 2 shown]
	s_waitcnt vmcnt(4)
	global_store_dwordx4 v[6:7], v[20:23], off
	global_store_dwordx4 v[8:9], v[2:5], off
	;; [unrolled: 1-line block ×4, first 2 shown]
	s_waitcnt vmcnt(4)
	global_store_dwordx4 v[14:15], v[30:33], off
	s_endpgm
	.section	.rodata,"a",@progbits
	.p2align	6, 0x0
	.amdhsa_kernel _ZN9rocsolver6v33100L18getri_kernel_smallILi5E19rocblas_complex_numIdEPKPS3_EEvT1_iilPiilS8_bb
		.amdhsa_group_segment_fixed_size 1192
		.amdhsa_private_segment_fixed_size 96
		.amdhsa_kernarg_size 60
		.amdhsa_user_sgpr_count 10
		.amdhsa_user_sgpr_private_segment_buffer 1
		.amdhsa_user_sgpr_dispatch_ptr 1
		.amdhsa_user_sgpr_queue_ptr 0
		.amdhsa_user_sgpr_kernarg_segment_ptr 1
		.amdhsa_user_sgpr_dispatch_id 0
		.amdhsa_user_sgpr_flat_scratch_init 1
		.amdhsa_user_sgpr_kernarg_preload_length 0
		.amdhsa_user_sgpr_kernarg_preload_offset 0
		.amdhsa_user_sgpr_private_segment_size 0
		.amdhsa_uses_dynamic_stack 0
		.amdhsa_system_sgpr_private_segment_wavefront_offset 1
		.amdhsa_system_sgpr_workgroup_id_x 1
		.amdhsa_system_sgpr_workgroup_id_y 0
		.amdhsa_system_sgpr_workgroup_id_z 0
		.amdhsa_system_sgpr_workgroup_info 0
		.amdhsa_system_vgpr_workitem_id 2
		.amdhsa_next_free_vgpr 60
		.amdhsa_next_free_sgpr 24
		.amdhsa_accum_offset 60
		.amdhsa_reserve_vcc 1
		.amdhsa_reserve_flat_scratch 1
		.amdhsa_float_round_mode_32 0
		.amdhsa_float_round_mode_16_64 0
		.amdhsa_float_denorm_mode_32 3
		.amdhsa_float_denorm_mode_16_64 3
		.amdhsa_dx10_clamp 1
		.amdhsa_ieee_mode 1
		.amdhsa_fp16_overflow 0
		.amdhsa_tg_split 0
		.amdhsa_exception_fp_ieee_invalid_op 0
		.amdhsa_exception_fp_denorm_src 0
		.amdhsa_exception_fp_ieee_div_zero 0
		.amdhsa_exception_fp_ieee_overflow 0
		.amdhsa_exception_fp_ieee_underflow 0
		.amdhsa_exception_fp_ieee_inexact 0
		.amdhsa_exception_int_div_zero 0
	.end_amdhsa_kernel
	.section	.text._ZN9rocsolver6v33100L18getri_kernel_smallILi5E19rocblas_complex_numIdEPKPS3_EEvT1_iilPiilS8_bb,"axG",@progbits,_ZN9rocsolver6v33100L18getri_kernel_smallILi5E19rocblas_complex_numIdEPKPS3_EEvT1_iilPiilS8_bb,comdat
.Lfunc_end68:
	.size	_ZN9rocsolver6v33100L18getri_kernel_smallILi5E19rocblas_complex_numIdEPKPS3_EEvT1_iilPiilS8_bb, .Lfunc_end68-_ZN9rocsolver6v33100L18getri_kernel_smallILi5E19rocblas_complex_numIdEPKPS3_EEvT1_iilPiilS8_bb
                                        ; -- End function
	.section	.AMDGPU.csdata,"",@progbits
; Kernel info:
; codeLenInByte = 5508
; NumSgprs: 30
; NumVgprs: 60
; NumAgprs: 0
; TotalNumVgprs: 60
; ScratchSize: 96
; MemoryBound: 0
; FloatMode: 240
; IeeeMode: 1
; LDSByteSize: 1192 bytes/workgroup (compile time only)
; SGPRBlocks: 3
; VGPRBlocks: 7
; NumSGPRsForWavesPerEU: 30
; NumVGPRsForWavesPerEU: 60
; AccumOffset: 60
; Occupancy: 8
; WaveLimiterHint : 1
; COMPUTE_PGM_RSRC2:SCRATCH_EN: 1
; COMPUTE_PGM_RSRC2:USER_SGPR: 10
; COMPUTE_PGM_RSRC2:TRAP_HANDLER: 0
; COMPUTE_PGM_RSRC2:TGID_X_EN: 1
; COMPUTE_PGM_RSRC2:TGID_Y_EN: 0
; COMPUTE_PGM_RSRC2:TGID_Z_EN: 0
; COMPUTE_PGM_RSRC2:TIDIG_COMP_CNT: 2
; COMPUTE_PGM_RSRC3_GFX90A:ACCUM_OFFSET: 14
; COMPUTE_PGM_RSRC3_GFX90A:TG_SPLIT: 0
	.section	.text._ZN9rocsolver6v33100L18getri_kernel_smallILi6E19rocblas_complex_numIdEPKPS3_EEvT1_iilPiilS8_bb,"axG",@progbits,_ZN9rocsolver6v33100L18getri_kernel_smallILi6E19rocblas_complex_numIdEPKPS3_EEvT1_iilPiilS8_bb,comdat
	.globl	_ZN9rocsolver6v33100L18getri_kernel_smallILi6E19rocblas_complex_numIdEPKPS3_EEvT1_iilPiilS8_bb ; -- Begin function _ZN9rocsolver6v33100L18getri_kernel_smallILi6E19rocblas_complex_numIdEPKPS3_EEvT1_iilPiilS8_bb
	.p2align	8
	.type	_ZN9rocsolver6v33100L18getri_kernel_smallILi6E19rocblas_complex_numIdEPKPS3_EEvT1_iilPiilS8_bb,@function
_ZN9rocsolver6v33100L18getri_kernel_smallILi6E19rocblas_complex_numIdEPKPS3_EEvT1_iilPiilS8_bb: ; @_ZN9rocsolver6v33100L18getri_kernel_smallILi6E19rocblas_complex_numIdEPKPS3_EEvT1_iilPiilS8_bb
; %bb.0:
	s_add_u32 flat_scratch_lo, s8, s11
	s_addc_u32 flat_scratch_hi, s9, 0
	s_add_u32 s0, s0, s11
	v_and_b32_e32 v28, 0x3ff, v0
	s_addc_u32 s1, s1, 0
	v_cmp_gt_u32_e32 vcc, 6, v28
	s_and_saveexec_b64 s[8:9], vcc
	s_cbranch_execz .LBB69_38
; %bb.1:
	s_load_dword s20, s[6:7], 0x38
	s_load_dwordx2 s[8:9], s[6:7], 0x0
	s_load_dwordx4 s[12:15], s[6:7], 0x28
	s_waitcnt lgkmcnt(0)
	s_bitcmp1_b32 s20, 8
	s_cselect_b64 s[18:19], -1, 0
	s_ashr_i32 s11, s10, 31
	s_lshl_b64 s[16:17], s[10:11], 3
	s_add_u32 s8, s8, s16
	s_addc_u32 s9, s9, s17
	s_load_dwordx2 s[8:9], s[8:9], 0x0
	s_bfe_u32 s16, s20, 0x10008
	s_cmp_eq_u32 s16, 0
                                        ; implicit-def: $sgpr16_sgpr17
	s_cbranch_scc1 .LBB69_3
; %bb.2:
	s_load_dword s16, s[6:7], 0x20
	s_load_dwordx2 s[22:23], s[6:7], 0x18
	s_mul_i32 s13, s10, s13
	s_mul_hi_u32 s17, s10, s12
	s_add_i32 s13, s17, s13
	s_mul_i32 s21, s11, s12
	s_add_i32 s13, s13, s21
	s_mul_i32 s12, s10, s12
	s_waitcnt lgkmcnt(0)
	s_ashr_i32 s17, s16, 31
	s_lshl_b64 s[12:13], s[12:13], 2
	s_add_u32 s21, s22, s12
	s_addc_u32 s22, s23, s13
	s_lshl_b64 s[12:13], s[16:17], 2
	s_add_u32 s16, s21, s12
	s_addc_u32 s17, s22, s13
.LBB69_3:
	s_load_dwordx2 s[6:7], s[6:7], 0x8
	v_lshlrev_b32_e32 v29, 4, v28
	v_mov_b32_e32 v22, 0
	v_add_u32_e32 v26, 16, v22
	v_add_u32_e32 v25, 32, v22
	s_waitcnt lgkmcnt(0)
	s_ashr_i32 s13, s6, 31
	s_mov_b32 s12, s6
	s_lshl_b64 s[12:13], s[12:13], 4
	s_add_u32 s8, s8, s12
	s_addc_u32 s9, s9, s13
	v_mov_b32_e32 v1, s9
	v_add_co_u32_e32 v6, vcc, s8, v29
	s_ashr_i32 s13, s7, 31
	s_mov_b32 s12, s7
	s_add_i32 s6, s7, s7
	v_addc_co_u32_e32 v7, vcc, 0, v1, vcc
	s_lshl_b64 s[12:13], s[12:13], 4
	v_add_u32_e32 v12, s6, v28
	v_mov_b32_e32 v1, s13
	v_add_co_u32_e32 v8, vcc, s12, v6
	v_ashrrev_i32_e32 v13, 31, v12
	v_addc_co_u32_e32 v9, vcc, v7, v1, vcc
	v_lshlrev_b64 v[10:11], 4, v[12:13]
	v_add_u32_e32 v14, s7, v12
	v_mov_b32_e32 v1, s9
	v_add_co_u32_e32 v10, vcc, s8, v10
	v_ashrrev_i32_e32 v15, 31, v14
	v_addc_co_u32_e32 v11, vcc, v1, v11, vcc
	v_lshlrev_b64 v[12:13], 4, v[14:15]
	v_add_u32_e32 v16, s7, v14
	v_add_co_u32_e32 v12, vcc, s8, v12
	v_ashrrev_i32_e32 v17, 31, v16
	v_addc_co_u32_e32 v13, vcc, v1, v13, vcc
	v_lshlrev_b64 v[14:15], 4, v[16:17]
	v_add_co_u32_e32 v14, vcc, s8, v14
	global_load_dwordx4 v[2:5], v29, s[8:9]
	global_load_dwordx4 v[18:21], v[8:9], off
	global_load_dwordx4 v[30:33], v[10:11], off
	v_addc_co_u32_e32 v15, vcc, v1, v15, vcc
	global_load_dwordx4 v[34:37], v[12:13], off
	global_load_dwordx4 v[38:41], v[14:15], off
	v_add_u32_e32 v16, s7, v16
	v_ashrrev_i32_e32 v17, 31, v16
	v_lshlrev_b64 v[16:17], 4, v[16:17]
	v_add_co_u32_e32 v16, vcc, s8, v16
	v_addc_co_u32_e32 v17, vcc, v1, v17, vcc
	global_load_dwordx4 v[42:45], v[16:17], off
	v_add_u32_e32 v27, 48, v22
	v_add_u32_e32 v1, 64, v22
	;; [unrolled: 1-line block ×3, first 2 shown]
	s_bitcmp0_b32 s20, 0
	s_mov_b64 s[8:9], -1
	s_waitcnt vmcnt(5)
	buffer_store_dword v5, off, s[0:3], 0 offset:12
	buffer_store_dword v4, off, s[0:3], 0 offset:8
	;; [unrolled: 1-line block ×3, first 2 shown]
	buffer_store_dword v2, off, s[0:3], 0
	s_waitcnt vmcnt(8)
	buffer_store_dword v21, off, s[0:3], 0 offset:28
	buffer_store_dword v20, off, s[0:3], 0 offset:24
	buffer_store_dword v19, off, s[0:3], 0 offset:20
	buffer_store_dword v18, off, s[0:3], 0 offset:16
	s_waitcnt vmcnt(11)
	buffer_store_dword v33, off, s[0:3], 0 offset:44
	buffer_store_dword v32, off, s[0:3], 0 offset:40
	buffer_store_dword v31, off, s[0:3], 0 offset:36
	buffer_store_dword v30, off, s[0:3], 0 offset:32
	;; [unrolled: 5-line block ×5, first 2 shown]
	s_cbranch_scc1 .LBB69_36
; %bb.4:
	v_cmp_eq_u32_e64 s[6:7], 0, v28
	s_and_saveexec_b64 s[8:9], s[6:7]
	s_cbranch_execz .LBB69_6
; %bb.5:
	v_mov_b32_e32 v2, 0
	ds_write_b32 v2, v2 offset:192
.LBB69_6:
	s_or_b64 exec, exec, s[8:9]
	v_mov_b32_e32 v2, 0
	v_lshl_add_u32 v30, v28, 4, v2
	s_waitcnt lgkmcnt(0)
	; wave barrier
	s_waitcnt lgkmcnt(0)
	buffer_load_dword v2, v30, s[0:3], 0 offen
	buffer_load_dword v3, v30, s[0:3], 0 offen offset:4
	buffer_load_dword v4, v30, s[0:3], 0 offen offset:8
	;; [unrolled: 1-line block ×3, first 2 shown]
	s_waitcnt vmcnt(2)
	v_cmp_eq_f64_e32 vcc, 0, v[2:3]
	s_waitcnt vmcnt(0)
	v_cmp_eq_f64_e64 s[8:9], 0, v[4:5]
	s_and_b64 s[8:9], vcc, s[8:9]
	s_and_saveexec_b64 s[12:13], s[8:9]
	s_cbranch_execz .LBB69_10
; %bb.7:
	v_mov_b32_e32 v2, 0
	ds_read_b32 v4, v2 offset:192
	v_add_u32_e32 v3, 1, v28
	s_waitcnt lgkmcnt(0)
	v_readfirstlane_b32 s8, v4
	s_cmp_eq_u32 s8, 0
	s_cselect_b64 s[20:21], -1, 0
	v_cmp_gt_i32_e32 vcc, s8, v3
	s_or_b64 s[20:21], s[20:21], vcc
	s_and_b64 exec, exec, s[20:21]
	s_cbranch_execz .LBB69_10
; %bb.8:
	s_mov_b64 s[20:21], 0
	v_mov_b32_e32 v4, s8
.LBB69_9:                               ; =>This Inner Loop Header: Depth=1
	ds_cmpst_rtn_b32 v4, v2, v4, v3 offset:192
	s_waitcnt lgkmcnt(0)
	v_cmp_ne_u32_e32 vcc, 0, v4
	v_cmp_le_i32_e64 s[8:9], v4, v3
	s_and_b64 s[8:9], vcc, s[8:9]
	s_and_b64 s[8:9], exec, s[8:9]
	s_or_b64 s[20:21], s[8:9], s[20:21]
	s_andn2_b64 exec, exec, s[20:21]
	s_cbranch_execnz .LBB69_9
.LBB69_10:
	s_or_b64 exec, exec, s[12:13]
	v_mov_b32_e32 v3, 0
	s_waitcnt lgkmcnt(0)
	; wave barrier
	ds_read_b32 v2, v3 offset:192
	s_and_saveexec_b64 s[8:9], s[6:7]
	s_cbranch_execz .LBB69_12
; %bb.11:
	s_lshl_b64 s[12:13], s[10:11], 2
	s_add_u32 s12, s14, s12
	s_addc_u32 s13, s15, s13
	s_waitcnt lgkmcnt(0)
	global_store_dword v3, v2, s[12:13]
.LBB69_12:
	s_or_b64 exec, exec, s[8:9]
	s_waitcnt lgkmcnt(0)
	v_cmp_ne_u32_e32 vcc, 0, v2
	s_mov_b64 s[8:9], 0
	s_cbranch_vccnz .LBB69_36
; %bb.13:
	buffer_load_dword v19, v30, s[0:3], 0 offen offset:4
	buffer_load_dword v18, v30, s[0:3], 0 offen
	buffer_load_dword v21, v30, s[0:3], 0 offen offset:12
	buffer_load_dword v20, v30, s[0:3], 0 offen offset:8
                                        ; implicit-def: $vgpr22_vgpr23
	s_waitcnt vmcnt(3)
	v_xor_b32_e32 v3, 0x80000000, v19
	s_waitcnt vmcnt(2)
	v_cmp_gt_f64_e32 vcc, 0, v[18:19]
	s_waitcnt vmcnt(1)
	v_xor_b32_e32 v4, 0x80000000, v21
	v_cndmask_b32_e32 v3, v19, v3, vcc
	s_waitcnt vmcnt(0)
	v_cmp_gt_f64_e32 vcc, 0, v[20:21]
	v_mov_b32_e32 v2, v18
	v_cndmask_b32_e32 v5, v21, v4, vcc
	v_mov_b32_e32 v4, v20
	v_cmp_ngt_f64_e32 vcc, v[2:3], v[4:5]
                                        ; implicit-def: $vgpr4_vgpr5
	s_and_saveexec_b64 s[8:9], vcc
	s_xor_b64 s[8:9], exec, s[8:9]
	s_cbranch_execz .LBB69_15
; %bb.14:
	v_div_scale_f64 v[2:3], s[12:13], v[20:21], v[20:21], v[18:19]
	v_rcp_f64_e32 v[4:5], v[2:3]
	v_div_scale_f64 v[22:23], vcc, v[18:19], v[20:21], v[18:19]
	v_fma_f64 v[32:33], -v[2:3], v[4:5], 1.0
	v_fmac_f64_e32 v[4:5], v[4:5], v[32:33]
	v_fma_f64 v[32:33], -v[2:3], v[4:5], 1.0
	v_fmac_f64_e32 v[4:5], v[4:5], v[32:33]
	v_mul_f64 v[32:33], v[22:23], v[4:5]
	v_fma_f64 v[2:3], -v[2:3], v[32:33], v[22:23]
	v_div_fmas_f64 v[2:3], v[2:3], v[4:5], v[32:33]
	v_div_fixup_f64 v[2:3], v[2:3], v[20:21], v[18:19]
	v_fmac_f64_e32 v[20:21], v[18:19], v[2:3]
	v_div_scale_f64 v[4:5], s[12:13], v[20:21], v[20:21], 1.0
	v_rcp_f64_e32 v[18:19], v[4:5]
	v_fma_f64 v[22:23], -v[4:5], v[18:19], 1.0
	v_fmac_f64_e32 v[18:19], v[18:19], v[22:23]
	v_fma_f64 v[22:23], -v[4:5], v[18:19], 1.0
	v_fmac_f64_e32 v[18:19], v[18:19], v[22:23]
	v_div_scale_f64 v[22:23], vcc, 1.0, v[20:21], 1.0
	v_mul_f64 v[32:33], v[22:23], v[18:19]
	v_fma_f64 v[4:5], -v[4:5], v[32:33], v[22:23]
	s_nop 1
	v_div_fmas_f64 v[4:5], v[4:5], v[18:19], v[32:33]
	v_div_fixup_f64 v[4:5], v[4:5], v[20:21], 1.0
	v_mul_f64 v[22:23], v[2:3], v[4:5]
	v_xor_b32_e32 v5, 0x80000000, v5
	v_xor_b32_e32 v3, 0x80000000, v23
	v_mov_b32_e32 v2, v22
                                        ; implicit-def: $vgpr18_vgpr19
                                        ; implicit-def: $vgpr20_vgpr21
.LBB69_15:
	s_andn2_saveexec_b64 s[8:9], s[8:9]
	s_cbranch_execz .LBB69_17
; %bb.16:
	v_div_scale_f64 v[2:3], s[12:13], v[18:19], v[18:19], v[20:21]
	v_rcp_f64_e32 v[4:5], v[2:3]
	v_div_scale_f64 v[22:23], vcc, v[20:21], v[18:19], v[20:21]
	v_fma_f64 v[32:33], -v[2:3], v[4:5], 1.0
	v_fmac_f64_e32 v[4:5], v[4:5], v[32:33]
	v_fma_f64 v[32:33], -v[2:3], v[4:5], 1.0
	v_fmac_f64_e32 v[4:5], v[4:5], v[32:33]
	v_mul_f64 v[32:33], v[22:23], v[4:5]
	v_fma_f64 v[2:3], -v[2:3], v[32:33], v[22:23]
	v_div_fmas_f64 v[2:3], v[2:3], v[4:5], v[32:33]
	v_div_fixup_f64 v[4:5], v[2:3], v[18:19], v[20:21]
	v_fmac_f64_e32 v[18:19], v[20:21], v[4:5]
	v_div_scale_f64 v[2:3], s[12:13], v[18:19], v[18:19], 1.0
	v_rcp_f64_e32 v[20:21], v[2:3]
	v_fma_f64 v[22:23], -v[2:3], v[20:21], 1.0
	v_fmac_f64_e32 v[20:21], v[20:21], v[22:23]
	v_fma_f64 v[22:23], -v[2:3], v[20:21], 1.0
	v_fmac_f64_e32 v[20:21], v[20:21], v[22:23]
	v_div_scale_f64 v[22:23], vcc, 1.0, v[18:19], 1.0
	v_mul_f64 v[32:33], v[22:23], v[20:21]
	v_fma_f64 v[2:3], -v[2:3], v[32:33], v[22:23]
	s_nop 1
	v_div_fmas_f64 v[2:3], v[2:3], v[20:21], v[32:33]
	v_div_fixup_f64 v[22:23], v[2:3], v[18:19], 1.0
	v_xor_b32_e32 v3, 0x80000000, v23
	v_mov_b32_e32 v2, v22
	v_mul_f64 v[4:5], v[4:5], -v[22:23]
.LBB69_17:
	s_or_b64 exec, exec, s[8:9]
	buffer_store_dword v23, v30, s[0:3], 0 offen offset:4
	buffer_store_dword v22, v30, s[0:3], 0 offen
	buffer_store_dword v5, v30, s[0:3], 0 offen offset:12
	buffer_store_dword v4, v30, s[0:3], 0 offen offset:8
	buffer_load_dword v23, v26, s[0:3], 0 offen offset:12
	s_nop 0
	buffer_load_dword v22, v26, s[0:3], 0 offen offset:8
	buffer_load_dword v21, v26, s[0:3], 0 offen offset:4
	buffer_load_dword v20, v26, s[0:3], 0 offen
	v_xor_b32_e32 v5, 0x80000000, v5
	v_add_u32_e32 v18, 0x60, v29
	ds_write_b128 v29, v[2:5]
	s_waitcnt vmcnt(0)
	ds_write_b128 v29, v[20:23] offset:96
	s_waitcnt lgkmcnt(0)
	; wave barrier
	s_waitcnt lgkmcnt(0)
	s_and_saveexec_b64 s[8:9], s[6:7]
	s_cbranch_execz .LBB69_19
; %bb.18:
	buffer_load_dword v32, v30, s[0:3], 0 offen offset:8
	buffer_load_dword v33, v30, s[0:3], 0 offen offset:12
	buffer_load_dword v34, v30, s[0:3], 0 offen
	buffer_load_dword v35, v30, s[0:3], 0 offen offset:4
	ds_read_b128 v[2:5], v18
	v_mov_b32_e32 v19, 0
	ds_read_b128 v[20:23], v19 offset:16
	s_waitcnt vmcnt(2) lgkmcnt(1)
	v_mul_f64 v[36:37], v[4:5], v[32:33]
	v_mul_f64 v[32:33], v[2:3], v[32:33]
	s_waitcnt vmcnt(0)
	v_fmac_f64_e32 v[32:33], v[4:5], v[34:35]
	v_fma_f64 v[2:3], v[2:3], v[34:35], -v[36:37]
	v_add_f64 v[4:5], v[32:33], 0
	v_add_f64 v[2:3], v[2:3], 0
	s_waitcnt lgkmcnt(0)
	v_mul_f64 v[32:33], v[4:5], v[22:23]
	v_mul_f64 v[22:23], v[2:3], v[22:23]
	v_fma_f64 v[2:3], v[2:3], v[20:21], -v[32:33]
	v_fmac_f64_e32 v[22:23], v[4:5], v[20:21]
	buffer_store_dword v2, off, s[0:3], 0 offset:16
	buffer_store_dword v3, off, s[0:3], 0 offset:20
	;; [unrolled: 1-line block ×4, first 2 shown]
.LBB69_19:
	s_or_b64 exec, exec, s[8:9]
	s_waitcnt lgkmcnt(0)
	; wave barrier
	buffer_load_dword v2, v25, s[0:3], 0 offen
	buffer_load_dword v3, v25, s[0:3], 0 offen offset:4
	buffer_load_dword v4, v25, s[0:3], 0 offen offset:8
	;; [unrolled: 1-line block ×3, first 2 shown]
	v_cmp_gt_u32_e32 vcc, 2, v28
	s_waitcnt vmcnt(0)
	ds_write_b128 v18, v[2:5]
	s_waitcnt lgkmcnt(0)
	; wave barrier
	s_waitcnt lgkmcnt(0)
	s_and_saveexec_b64 s[8:9], vcc
	s_cbranch_execz .LBB69_23
; %bb.20:
	buffer_load_dword v20, v30, s[0:3], 0 offen offset:8
	buffer_load_dword v21, v30, s[0:3], 0 offen offset:12
	buffer_load_dword v22, v30, s[0:3], 0 offen
	buffer_load_dword v23, v30, s[0:3], 0 offen offset:4
	ds_read_b128 v[2:5], v18
	s_waitcnt vmcnt(2) lgkmcnt(0)
	v_mul_f64 v[30:31], v[4:5], v[20:21]
	v_mul_f64 v[20:21], v[2:3], v[20:21]
	s_waitcnt vmcnt(0)
	v_fma_f64 v[2:3], v[2:3], v[22:23], -v[30:31]
	v_fmac_f64_e32 v[20:21], v[4:5], v[22:23]
	v_add_f64 v[4:5], v[2:3], 0
	v_add_f64 v[2:3], v[20:21], 0
	s_and_saveexec_b64 s[12:13], s[6:7]
	s_cbranch_execz .LBB69_22
; %bb.21:
	buffer_load_dword v30, off, s[0:3], 0 offset:24
	buffer_load_dword v31, off, s[0:3], 0 offset:28
	;; [unrolled: 1-line block ×4, first 2 shown]
	v_mov_b32_e32 v19, 0
	ds_read_b128 v[20:23], v19 offset:112
	s_waitcnt vmcnt(2) lgkmcnt(0)
	v_mul_f64 v[34:35], v[20:21], v[30:31]
	v_mul_f64 v[30:31], v[22:23], v[30:31]
	s_waitcnt vmcnt(0)
	v_fmac_f64_e32 v[34:35], v[22:23], v[32:33]
	v_fma_f64 v[20:21], v[20:21], v[32:33], -v[30:31]
	v_add_f64 v[2:3], v[2:3], v[34:35]
	v_add_f64 v[4:5], v[4:5], v[20:21]
.LBB69_22:
	s_or_b64 exec, exec, s[12:13]
	v_mov_b32_e32 v19, 0
	ds_read_b128 v[20:23], v19 offset:32
	s_waitcnt lgkmcnt(0)
	v_mul_f64 v[30:31], v[2:3], v[22:23]
	v_mul_f64 v[22:23], v[4:5], v[22:23]
	v_fma_f64 v[4:5], v[4:5], v[20:21], -v[30:31]
	v_fmac_f64_e32 v[22:23], v[2:3], v[20:21]
	buffer_store_dword v5, off, s[0:3], 0 offset:36
	buffer_store_dword v4, off, s[0:3], 0 offset:32
	;; [unrolled: 1-line block ×4, first 2 shown]
.LBB69_23:
	s_or_b64 exec, exec, s[8:9]
	s_waitcnt lgkmcnt(0)
	; wave barrier
	buffer_load_dword v2, v27, s[0:3], 0 offen
	buffer_load_dword v3, v27, s[0:3], 0 offen offset:4
	buffer_load_dword v4, v27, s[0:3], 0 offen offset:8
	;; [unrolled: 1-line block ×3, first 2 shown]
	v_cmp_gt_u32_e32 vcc, 3, v28
	v_add_u32_e32 v19, -1, v28
	s_waitcnt vmcnt(0)
	ds_write_b128 v18, v[2:5]
	s_waitcnt lgkmcnt(0)
	; wave barrier
	s_waitcnt lgkmcnt(0)
	s_and_saveexec_b64 s[6:7], vcc
	s_cbranch_execz .LBB69_27
; %bb.24:
	v_pk_mov_b32 v[2:3], 0, 0
	v_add_u32_e32 v20, -1, v28
	v_add_u32_e32 v21, 0x60, v29
	v_add_u32_e32 v22, 0, v29
	s_mov_b64 s[8:9], 0
	v_pk_mov_b32 v[4:5], v[2:3], v[2:3] op_sel:[0,1]
.LBB69_25:                              ; =>This Inner Loop Header: Depth=1
	buffer_load_dword v34, v22, s[0:3], 0 offen offset:8
	buffer_load_dword v35, v22, s[0:3], 0 offen offset:12
	buffer_load_dword v36, v22, s[0:3], 0 offen
	buffer_load_dword v37, v22, s[0:3], 0 offen offset:4
	ds_read_b128 v[30:33], v21
	v_add_u32_e32 v20, 1, v20
	v_cmp_lt_u32_e32 vcc, 1, v20
	v_add_u32_e32 v21, 16, v21
	v_add_u32_e32 v22, 16, v22
	s_or_b64 s[8:9], vcc, s[8:9]
	s_waitcnt vmcnt(2) lgkmcnt(0)
	v_mul_f64 v[38:39], v[32:33], v[34:35]
	v_mul_f64 v[34:35], v[30:31], v[34:35]
	s_waitcnt vmcnt(0)
	v_fma_f64 v[30:31], v[30:31], v[36:37], -v[38:39]
	v_fmac_f64_e32 v[34:35], v[32:33], v[36:37]
	v_add_f64 v[4:5], v[4:5], v[30:31]
	v_add_f64 v[2:3], v[2:3], v[34:35]
	s_andn2_b64 exec, exec, s[8:9]
	s_cbranch_execnz .LBB69_25
; %bb.26:
	s_or_b64 exec, exec, s[8:9]
	v_mov_b32_e32 v20, 0
	ds_read_b128 v[20:23], v20 offset:48
	s_waitcnt lgkmcnt(0)
	v_mul_f64 v[30:31], v[2:3], v[22:23]
	v_mul_f64 v[22:23], v[4:5], v[22:23]
	v_fma_f64 v[4:5], v[4:5], v[20:21], -v[30:31]
	v_fmac_f64_e32 v[22:23], v[2:3], v[20:21]
	buffer_store_dword v5, off, s[0:3], 0 offset:52
	buffer_store_dword v4, off, s[0:3], 0 offset:48
	;; [unrolled: 1-line block ×4, first 2 shown]
.LBB69_27:
	s_or_b64 exec, exec, s[6:7]
	s_waitcnt lgkmcnt(0)
	; wave barrier
	buffer_load_dword v2, v1, s[0:3], 0 offen
	buffer_load_dword v3, v1, s[0:3], 0 offen offset:4
	buffer_load_dword v4, v1, s[0:3], 0 offen offset:8
	;; [unrolled: 1-line block ×3, first 2 shown]
	v_cmp_gt_u32_e32 vcc, 4, v28
	s_waitcnt vmcnt(0)
	ds_write_b128 v18, v[2:5]
	s_waitcnt lgkmcnt(0)
	; wave barrier
	s_waitcnt lgkmcnt(0)
	s_and_saveexec_b64 s[6:7], vcc
	s_cbranch_execz .LBB69_31
; %bb.28:
	v_pk_mov_b32 v[2:3], 0, 0
	v_add_u32_e32 v20, -1, v28
	v_add_u32_e32 v21, 0x60, v29
	v_add_u32_e32 v22, 0, v29
	s_mov_b64 s[8:9], 0
	v_pk_mov_b32 v[4:5], v[2:3], v[2:3] op_sel:[0,1]
.LBB69_29:                              ; =>This Inner Loop Header: Depth=1
	buffer_load_dword v34, v22, s[0:3], 0 offen offset:8
	buffer_load_dword v35, v22, s[0:3], 0 offen offset:12
	buffer_load_dword v36, v22, s[0:3], 0 offen
	buffer_load_dword v37, v22, s[0:3], 0 offen offset:4
	ds_read_b128 v[30:33], v21
	v_add_u32_e32 v20, 1, v20
	v_cmp_lt_u32_e32 vcc, 2, v20
	v_add_u32_e32 v21, 16, v21
	v_add_u32_e32 v22, 16, v22
	s_or_b64 s[8:9], vcc, s[8:9]
	s_waitcnt vmcnt(2) lgkmcnt(0)
	v_mul_f64 v[38:39], v[32:33], v[34:35]
	v_mul_f64 v[34:35], v[30:31], v[34:35]
	s_waitcnt vmcnt(0)
	v_fma_f64 v[30:31], v[30:31], v[36:37], -v[38:39]
	v_fmac_f64_e32 v[34:35], v[32:33], v[36:37]
	v_add_f64 v[4:5], v[4:5], v[30:31]
	v_add_f64 v[2:3], v[2:3], v[34:35]
	s_andn2_b64 exec, exec, s[8:9]
	s_cbranch_execnz .LBB69_29
; %bb.30:
	s_or_b64 exec, exec, s[8:9]
	v_mov_b32_e32 v20, 0
	ds_read_b128 v[20:23], v20 offset:64
	s_waitcnt lgkmcnt(0)
	v_mul_f64 v[30:31], v[2:3], v[22:23]
	v_mul_f64 v[22:23], v[4:5], v[22:23]
	v_fma_f64 v[4:5], v[4:5], v[20:21], -v[30:31]
	v_fmac_f64_e32 v[22:23], v[2:3], v[20:21]
	buffer_store_dword v5, off, s[0:3], 0 offset:68
	buffer_store_dword v4, off, s[0:3], 0 offset:64
	;; [unrolled: 1-line block ×4, first 2 shown]
.LBB69_31:
	s_or_b64 exec, exec, s[6:7]
	s_waitcnt lgkmcnt(0)
	; wave barrier
	buffer_load_dword v2, v24, s[0:3], 0 offen
	buffer_load_dword v3, v24, s[0:3], 0 offen offset:4
	buffer_load_dword v4, v24, s[0:3], 0 offen offset:8
	;; [unrolled: 1-line block ×3, first 2 shown]
	v_cmp_ne_u32_e32 vcc, 5, v28
	s_waitcnt vmcnt(0)
	ds_write_b128 v18, v[2:5]
	s_waitcnt lgkmcnt(0)
	; wave barrier
	s_waitcnt lgkmcnt(0)
	s_and_saveexec_b64 s[6:7], vcc
	s_cbranch_execz .LBB69_35
; %bb.32:
	v_pk_mov_b32 v[2:3], 0, 0
	v_add_u32_e32 v18, 0x60, v29
	v_add_u32_e32 v20, 0, v29
	s_mov_b64 s[8:9], 0
	v_pk_mov_b32 v[4:5], v[2:3], v[2:3] op_sel:[0,1]
.LBB69_33:                              ; =>This Inner Loop Header: Depth=1
	buffer_load_dword v22, v20, s[0:3], 0 offen offset:8
	buffer_load_dword v23, v20, s[0:3], 0 offen offset:12
	buffer_load_dword v34, v20, s[0:3], 0 offen
	buffer_load_dword v35, v20, s[0:3], 0 offen offset:4
	ds_read_b128 v[30:33], v18
	v_add_u32_e32 v19, 1, v19
	v_cmp_lt_u32_e32 vcc, 3, v19
	v_add_u32_e32 v18, 16, v18
	v_add_u32_e32 v20, 16, v20
	s_or_b64 s[8:9], vcc, s[8:9]
	s_waitcnt vmcnt(2) lgkmcnt(0)
	v_mul_f64 v[36:37], v[32:33], v[22:23]
	v_mul_f64 v[22:23], v[30:31], v[22:23]
	s_waitcnt vmcnt(0)
	v_fma_f64 v[30:31], v[30:31], v[34:35], -v[36:37]
	v_fmac_f64_e32 v[22:23], v[32:33], v[34:35]
	v_add_f64 v[4:5], v[4:5], v[30:31]
	v_add_f64 v[2:3], v[2:3], v[22:23]
	s_andn2_b64 exec, exec, s[8:9]
	s_cbranch_execnz .LBB69_33
; %bb.34:
	s_or_b64 exec, exec, s[8:9]
	v_mov_b32_e32 v18, 0
	ds_read_b128 v[18:21], v18 offset:80
	s_waitcnt lgkmcnt(0)
	v_mul_f64 v[22:23], v[2:3], v[20:21]
	v_mul_f64 v[20:21], v[4:5], v[20:21]
	v_fma_f64 v[4:5], v[4:5], v[18:19], -v[22:23]
	v_fmac_f64_e32 v[20:21], v[2:3], v[18:19]
	buffer_store_dword v5, off, s[0:3], 0 offset:84
	buffer_store_dword v4, off, s[0:3], 0 offset:80
	;; [unrolled: 1-line block ×4, first 2 shown]
.LBB69_35:
	s_or_b64 exec, exec, s[6:7]
	s_mov_b64 s[8:9], -1
	s_waitcnt lgkmcnt(0)
	; wave barrier
.LBB69_36:
	s_and_b64 vcc, exec, s[8:9]
	s_cbranch_vccz .LBB69_38
; %bb.37:
	s_lshl_b64 s[6:7], s[10:11], 2
	s_add_u32 s6, s14, s6
	s_addc_u32 s7, s15, s7
	v_mov_b32_e32 v2, 0
	global_load_dword v2, v2, s[6:7]
	s_waitcnt vmcnt(0)
	v_cmp_ne_u32_e32 vcc, 0, v2
	s_cbranch_vccz .LBB69_39
.LBB69_38:
	s_endpgm
.LBB69_39:
	v_mov_b32_e32 v2, 0x60
	v_lshl_add_u32 v2, v28, 4, v2
	v_cmp_eq_u32_e32 vcc, 5, v28
	s_and_saveexec_b64 s[6:7], vcc
	s_cbranch_execz .LBB69_41
; %bb.40:
	buffer_load_dword v18, v1, s[0:3], 0 offen
	buffer_load_dword v19, v1, s[0:3], 0 offen offset:4
	buffer_load_dword v20, v1, s[0:3], 0 offen offset:8
	buffer_load_dword v21, v1, s[0:3], 0 offen offset:12
	v_mov_b32_e32 v3, 0
	buffer_store_dword v3, off, s[0:3], 0 offset:64
	buffer_store_dword v3, off, s[0:3], 0 offset:68
	;; [unrolled: 1-line block ×4, first 2 shown]
	s_waitcnt vmcnt(4)
	ds_write_b128 v2, v[18:21]
.LBB69_41:
	s_or_b64 exec, exec, s[6:7]
	s_waitcnt lgkmcnt(0)
	; wave barrier
	s_waitcnt lgkmcnt(0)
	buffer_load_dword v4, off, s[0:3], 0 offset:88
	buffer_load_dword v5, off, s[0:3], 0 offset:92
	;; [unrolled: 1-line block ×8, first 2 shown]
	v_mov_b32_e32 v3, 0
	ds_read_b128 v[18:21], v3 offset:176
	v_cmp_lt_u32_e32 vcc, 3, v28
	s_waitcnt vmcnt(6) lgkmcnt(0)
	v_mul_f64 v[34:35], v[18:19], v[4:5]
	v_mul_f64 v[4:5], v[20:21], v[4:5]
	s_waitcnt vmcnt(4)
	v_fma_f64 v[4:5], v[18:19], v[22:23], -v[4:5]
	v_fmac_f64_e32 v[34:35], v[20:21], v[22:23]
	v_add_f64 v[4:5], v[4:5], 0
	v_add_f64 v[18:19], v[34:35], 0
	s_waitcnt vmcnt(2)
	v_add_f64 v[4:5], v[30:31], -v[4:5]
	s_waitcnt vmcnt(0)
	v_add_f64 v[18:19], v[32:33], -v[18:19]
	buffer_store_dword v4, off, s[0:3], 0 offset:64
	buffer_store_dword v5, off, s[0:3], 0 offset:68
	;; [unrolled: 1-line block ×4, first 2 shown]
	s_and_saveexec_b64 s[6:7], vcc
	s_cbranch_execz .LBB69_43
; %bb.42:
	buffer_load_dword v18, v27, s[0:3], 0 offen
	buffer_load_dword v19, v27, s[0:3], 0 offen offset:4
	buffer_load_dword v20, v27, s[0:3], 0 offen offset:8
	;; [unrolled: 1-line block ×3, first 2 shown]
	s_nop 0
	buffer_store_dword v3, off, s[0:3], 0 offset:48
	buffer_store_dword v3, off, s[0:3], 0 offset:52
	;; [unrolled: 1-line block ×4, first 2 shown]
	s_waitcnt vmcnt(4)
	ds_write_b128 v2, v[18:21]
.LBB69_43:
	s_or_b64 exec, exec, s[6:7]
	s_waitcnt lgkmcnt(0)
	; wave barrier
	s_waitcnt lgkmcnt(0)
	buffer_load_dword v4, off, s[0:3], 0 offset:72
	buffer_load_dword v5, off, s[0:3], 0 offset:76
	;; [unrolled: 1-line block ×12, first 2 shown]
	ds_read_b128 v[18:21], v3 offset:160
	ds_read_b128 v[30:33], v3 offset:176
	v_cmp_lt_u32_e32 vcc, 2, v28
	s_waitcnt vmcnt(10) lgkmcnt(1)
	v_mul_f64 v[42:43], v[18:19], v[4:5]
	v_mul_f64 v[4:5], v[20:21], v[4:5]
	s_waitcnt vmcnt(8) lgkmcnt(0)
	v_mul_f64 v[44:45], v[30:31], v[22:23]
	v_mul_f64 v[22:23], v[32:33], v[22:23]
	s_waitcnt vmcnt(6)
	v_fma_f64 v[4:5], v[18:19], v[34:35], -v[4:5]
	v_fmac_f64_e32 v[42:43], v[20:21], v[34:35]
	s_waitcnt vmcnt(4)
	v_fma_f64 v[18:19], v[30:31], v[36:37], -v[22:23]
	v_add_f64 v[4:5], v[4:5], 0
	v_fmac_f64_e32 v[44:45], v[32:33], v[36:37]
	v_add_f64 v[20:21], v[42:43], 0
	v_add_f64 v[4:5], v[4:5], v[18:19]
	;; [unrolled: 1-line block ×3, first 2 shown]
	s_waitcnt vmcnt(2)
	v_add_f64 v[4:5], v[38:39], -v[4:5]
	s_waitcnt vmcnt(0)
	v_add_f64 v[18:19], v[40:41], -v[20:21]
	buffer_store_dword v4, off, s[0:3], 0 offset:48
	buffer_store_dword v5, off, s[0:3], 0 offset:52
	;; [unrolled: 1-line block ×4, first 2 shown]
	s_and_saveexec_b64 s[6:7], vcc
	s_cbranch_execz .LBB69_45
; %bb.44:
	buffer_load_dword v18, v25, s[0:3], 0 offen
	buffer_load_dword v19, v25, s[0:3], 0 offen offset:4
	buffer_load_dword v20, v25, s[0:3], 0 offen offset:8
	;; [unrolled: 1-line block ×3, first 2 shown]
	v_mov_b32_e32 v3, 0
	buffer_store_dword v3, off, s[0:3], 0 offset:32
	buffer_store_dword v3, off, s[0:3], 0 offset:36
	;; [unrolled: 1-line block ×4, first 2 shown]
	s_waitcnt vmcnt(4)
	ds_write_b128 v2, v[18:21]
.LBB69_45:
	s_or_b64 exec, exec, s[6:7]
	s_waitcnt lgkmcnt(0)
	; wave barrier
	s_waitcnt lgkmcnt(0)
	buffer_load_dword v4, off, s[0:3], 0 offset:56
	buffer_load_dword v5, off, s[0:3], 0 offset:60
	;; [unrolled: 1-line block ×16, first 2 shown]
	v_mov_b32_e32 v3, 0
	ds_read_b128 v[18:21], v3 offset:144
	ds_read_b128 v[30:33], v3 offset:160
	;; [unrolled: 1-line block ×3, first 2 shown]
	v_cmp_lt_u32_e32 vcc, 1, v28
	s_waitcnt vmcnt(14) lgkmcnt(2)
	v_mul_f64 v[50:51], v[18:19], v[4:5]
	v_mul_f64 v[4:5], v[20:21], v[4:5]
	s_waitcnt vmcnt(12) lgkmcnt(1)
	v_mul_f64 v[52:53], v[30:31], v[22:23]
	v_mul_f64 v[22:23], v[32:33], v[22:23]
	;; [unrolled: 3-line block ×3, first 2 shown]
	s_waitcnt vmcnt(8)
	v_fma_f64 v[4:5], v[18:19], v[40:41], -v[4:5]
	v_fmac_f64_e32 v[50:51], v[20:21], v[40:41]
	s_waitcnt vmcnt(6)
	v_fma_f64 v[18:19], v[30:31], v[42:43], -v[22:23]
	v_add_f64 v[4:5], v[4:5], 0
	v_fmac_f64_e32 v[52:53], v[32:33], v[42:43]
	s_waitcnt vmcnt(4)
	v_fma_f64 v[20:21], v[34:35], v[44:45], -v[38:39]
	v_add_f64 v[22:23], v[50:51], 0
	v_add_f64 v[4:5], v[4:5], v[18:19]
	v_fmac_f64_e32 v[54:55], v[36:37], v[44:45]
	v_add_f64 v[22:23], v[22:23], v[52:53]
	v_add_f64 v[4:5], v[4:5], v[20:21]
	;; [unrolled: 1-line block ×3, first 2 shown]
	s_waitcnt vmcnt(2)
	v_add_f64 v[4:5], v[46:47], -v[4:5]
	s_waitcnt vmcnt(0)
	v_add_f64 v[18:19], v[48:49], -v[18:19]
	buffer_store_dword v4, off, s[0:3], 0 offset:32
	buffer_store_dword v5, off, s[0:3], 0 offset:36
	buffer_store_dword v18, off, s[0:3], 0 offset:40
	buffer_store_dword v19, off, s[0:3], 0 offset:44
	s_and_saveexec_b64 s[6:7], vcc
	s_cbranch_execz .LBB69_47
; %bb.46:
	buffer_load_dword v18, v26, s[0:3], 0 offen
	buffer_load_dword v19, v26, s[0:3], 0 offen offset:4
	buffer_load_dword v20, v26, s[0:3], 0 offen offset:8
	;; [unrolled: 1-line block ×3, first 2 shown]
	s_nop 0
	buffer_store_dword v3, off, s[0:3], 0 offset:16
	buffer_store_dword v3, off, s[0:3], 0 offset:20
	;; [unrolled: 1-line block ×4, first 2 shown]
	s_waitcnt vmcnt(4)
	ds_write_b128 v2, v[18:21]
.LBB69_47:
	s_or_b64 exec, exec, s[6:7]
	s_waitcnt lgkmcnt(0)
	; wave barrier
	s_waitcnt lgkmcnt(0)
	buffer_load_dword v4, off, s[0:3], 0 offset:40
	buffer_load_dword v5, off, s[0:3], 0 offset:44
	;; [unrolled: 1-line block ×20, first 2 shown]
	ds_read_b128 v[18:21], v3 offset:128
	ds_read_b128 v[30:33], v3 offset:144
	;; [unrolled: 1-line block ×4, first 2 shown]
	v_cmp_ne_u32_e32 vcc, 0, v28
	s_waitcnt vmcnt(18) lgkmcnt(3)
	v_mul_f64 v[58:59], v[18:19], v[4:5]
	v_mul_f64 v[4:5], v[20:21], v[4:5]
	s_waitcnt vmcnt(16) lgkmcnt(2)
	v_mul_f64 v[60:61], v[30:31], v[22:23]
	v_mul_f64 v[22:23], v[32:33], v[22:23]
	;; [unrolled: 3-line block ×4, first 2 shown]
	s_waitcnt vmcnt(10)
	v_fma_f64 v[4:5], v[18:19], v[46:47], -v[4:5]
	v_fmac_f64_e32 v[58:59], v[20:21], v[46:47]
	s_waitcnt vmcnt(8)
	v_fma_f64 v[18:19], v[30:31], v[48:49], -v[22:23]
	v_add_f64 v[4:5], v[4:5], 0
	v_fmac_f64_e32 v[60:61], v[32:33], v[48:49]
	s_waitcnt vmcnt(6)
	v_fma_f64 v[20:21], v[34:35], v[50:51], -v[42:43]
	v_add_f64 v[30:31], v[58:59], 0
	v_add_f64 v[4:5], v[4:5], v[18:19]
	v_fmac_f64_e32 v[62:63], v[36:37], v[50:51]
	s_waitcnt vmcnt(4)
	v_fma_f64 v[22:23], v[38:39], v[52:53], -v[44:45]
	v_add_f64 v[30:31], v[30:31], v[60:61]
	v_add_f64 v[4:5], v[4:5], v[20:21]
	v_fmac_f64_e32 v[64:65], v[40:41], v[52:53]
	v_add_f64 v[18:19], v[30:31], v[62:63]
	v_add_f64 v[4:5], v[4:5], v[22:23]
	;; [unrolled: 1-line block ×3, first 2 shown]
	s_waitcnt vmcnt(2)
	v_add_f64 v[4:5], v[54:55], -v[4:5]
	s_waitcnt vmcnt(0)
	v_add_f64 v[18:19], v[56:57], -v[18:19]
	buffer_store_dword v4, off, s[0:3], 0 offset:16
	buffer_store_dword v5, off, s[0:3], 0 offset:20
	;; [unrolled: 1-line block ×4, first 2 shown]
	s_and_saveexec_b64 s[6:7], vcc
	s_cbranch_execz .LBB69_49
; %bb.48:
	buffer_load_dword v18, off, s[0:3], 0
	buffer_load_dword v19, off, s[0:3], 0 offset:4
	buffer_load_dword v20, off, s[0:3], 0 offset:8
	;; [unrolled: 1-line block ×3, first 2 shown]
	v_mov_b32_e32 v3, 0
	buffer_store_dword v3, off, s[0:3], 0
	buffer_store_dword v3, off, s[0:3], 0 offset:4
	buffer_store_dword v3, off, s[0:3], 0 offset:8
	;; [unrolled: 1-line block ×3, first 2 shown]
	s_waitcnt vmcnt(4)
	ds_write_b128 v2, v[18:21]
.LBB69_49:
	s_or_b64 exec, exec, s[6:7]
	s_waitcnt lgkmcnt(0)
	; wave barrier
	s_waitcnt lgkmcnt(0)
	buffer_load_dword v22, off, s[0:3], 0 offset:24
	buffer_load_dword v23, off, s[0:3], 0 offset:28
	buffer_load_dword v42, off, s[0:3], 0 offset:40
	buffer_load_dword v43, off, s[0:3], 0 offset:44
	buffer_load_dword v44, off, s[0:3], 0 offset:56
	buffer_load_dword v45, off, s[0:3], 0 offset:60
	buffer_load_dword v46, off, s[0:3], 0 offset:88
	buffer_load_dword v48, off, s[0:3], 0 offset:80
	buffer_load_dword v51, off, s[0:3], 0 offset:76
	buffer_load_dword v50, off, s[0:3], 0 offset:72
	buffer_load_dword v47, off, s[0:3], 0 offset:92
	buffer_load_dword v52, off, s[0:3], 0 offset:16
	buffer_load_dword v53, off, s[0:3], 0 offset:20
	buffer_load_dword v54, off, s[0:3], 0 offset:32
	buffer_load_dword v55, off, s[0:3], 0 offset:36
	buffer_load_dword v56, off, s[0:3], 0 offset:48
	buffer_load_dword v57, off, s[0:3], 0 offset:52
	buffer_load_dword v59, off, s[0:3], 0 offset:68
	buffer_load_dword v58, off, s[0:3], 0 offset:64
	buffer_load_dword v49, off, s[0:3], 0 offset:84
	buffer_load_dword v60, off, s[0:3], 0
	buffer_load_dword v61, off, s[0:3], 0 offset:4
	buffer_load_dword v62, off, s[0:3], 0 offset:8
	;; [unrolled: 1-line block ×3, first 2 shown]
	v_mov_b32_e32 v29, 0
	ds_read_b128 v[2:5], v29 offset:112
	ds_read_b128 v[18:21], v29 offset:128
	;; [unrolled: 1-line block ×5, first 2 shown]
	s_and_b64 vcc, exec, s[18:19]
	s_waitcnt vmcnt(22) lgkmcnt(4)
	v_mul_f64 v[64:65], v[2:3], v[22:23]
	v_mul_f64 v[22:23], v[4:5], v[22:23]
	s_waitcnt vmcnt(20) lgkmcnt(3)
	v_mul_f64 v[66:67], v[18:19], v[42:43]
	v_mul_f64 v[42:43], v[20:21], v[42:43]
	;; [unrolled: 3-line block ×4, first 2 shown]
	s_waitcnt vmcnt(13) lgkmcnt(0)
	v_mul_f64 v[72:73], v[38:39], v[46:47]
	s_waitcnt vmcnt(11)
	v_fma_f64 v[2:3], v[2:3], v[52:53], -v[22:23]
	v_fmac_f64_e32 v[64:65], v[4:5], v[52:53]
	s_waitcnt vmcnt(9)
	v_fma_f64 v[4:5], v[18:19], v[54:55], -v[42:43]
	v_add_f64 v[2:3], v[2:3], 0
	v_fmac_f64_e32 v[66:67], v[20:21], v[54:55]
	s_waitcnt vmcnt(7)
	v_fma_f64 v[18:19], v[30:31], v[56:57], -v[44:45]
	v_add_f64 v[30:31], v[64:65], 0
	v_add_f64 v[2:3], v[2:3], v[4:5]
	v_mul_f64 v[46:47], v[40:41], v[46:47]
	v_fmac_f64_e32 v[68:69], v[32:33], v[56:57]
	s_waitcnt vmcnt(5)
	v_fma_f64 v[20:21], v[34:35], v[58:59], -v[50:51]
	v_add_f64 v[30:31], v[30:31], v[66:67]
	v_add_f64 v[2:3], v[2:3], v[18:19]
	v_fmac_f64_e32 v[70:71], v[36:37], v[58:59]
	s_waitcnt vmcnt(4)
	v_fma_f64 v[22:23], v[38:39], v[48:49], -v[46:47]
	v_add_f64 v[4:5], v[30:31], v[68:69]
	v_add_f64 v[2:3], v[2:3], v[20:21]
	v_fmac_f64_e32 v[72:73], v[40:41], v[48:49]
	v_add_f64 v[4:5], v[4:5], v[70:71]
	v_add_f64 v[2:3], v[2:3], v[22:23]
	;; [unrolled: 1-line block ×3, first 2 shown]
	s_waitcnt vmcnt(2)
	v_add_f64 v[2:3], v[60:61], -v[2:3]
	s_waitcnt vmcnt(0)
	v_add_f64 v[4:5], v[62:63], -v[4:5]
	buffer_store_dword v3, off, s[0:3], 0 offset:4
	buffer_store_dword v2, off, s[0:3], 0
	buffer_store_dword v5, off, s[0:3], 0 offset:12
	buffer_store_dword v4, off, s[0:3], 0 offset:8
	s_cbranch_vccz .LBB69_61
; %bb.50:
	v_pk_mov_b32 v[2:3], s[16:17], s[16:17] op_sel:[0,1]
	flat_load_dword v2, v[2:3] offset:16
	s_load_dwordx2 s[4:5], s[4:5], 0x4
	v_bfe_u32 v4, v0, 10, 10
	v_bfe_u32 v0, v0, 20, 10
	s_waitcnt lgkmcnt(0)
	s_lshr_b32 s4, s4, 16
	s_mul_i32 s4, s4, s5
	v_mul_u32_u24_e32 v3, s4, v28
	v_mul_u32_u24_e32 v4, s5, v4
	v_add3_u32 v0, v3, v4, v0
	v_mov_b32_e32 v3, 0xc8
	v_lshl_add_u32 v0, v0, 4, v3
	s_waitcnt vmcnt(0)
	v_add_u32_e32 v2, -1, v2
	v_cmp_ne_u32_e32 vcc, 4, v2
	s_and_saveexec_b64 s[4:5], vcc
	s_cbranch_execz .LBB69_52
; %bb.51:
	v_mov_b32_e32 v3, 0
	v_lshl_add_u32 v18, v2, 4, v3
	buffer_load_dword v2, v1, s[0:3], 0 offen
	buffer_load_dword v3, v1, s[0:3], 0 offen offset:4
	buffer_load_dword v4, v1, s[0:3], 0 offen offset:8
	buffer_load_dword v5, v1, s[0:3], 0 offen offset:12
	buffer_load_dword v19, v18, s[0:3], 0 offen
	buffer_load_dword v20, v18, s[0:3], 0 offen offset:4
	buffer_load_dword v21, v18, s[0:3], 0 offen offset:8
	buffer_load_dword v22, v18, s[0:3], 0 offen offset:12
	s_waitcnt vmcnt(4)
	ds_write2_b64 v0, v[2:3], v[4:5] offset1:1
	s_waitcnt vmcnt(3)
	buffer_store_dword v19, v1, s[0:3], 0 offen
	s_waitcnt vmcnt(3)
	buffer_store_dword v20, v1, s[0:3], 0 offen offset:4
	s_waitcnt vmcnt(3)
	buffer_store_dword v21, v1, s[0:3], 0 offen offset:8
	s_waitcnt vmcnt(3)
	buffer_store_dword v22, v1, s[0:3], 0 offen offset:12
	buffer_store_dword v5, v18, s[0:3], 0 offen offset:12
	buffer_store_dword v4, v18, s[0:3], 0 offen offset:8
	buffer_store_dword v3, v18, s[0:3], 0 offen offset:4
	buffer_store_dword v2, v18, s[0:3], 0 offen
.LBB69_52:
	s_or_b64 exec, exec, s[4:5]
	v_pk_mov_b32 v[2:3], s[16:17], s[16:17] op_sel:[0,1]
	flat_load_dword v2, v[2:3] offset:12
	s_waitcnt vmcnt(0) lgkmcnt(0)
	v_add_u32_e32 v2, -1, v2
	v_cmp_ne_u32_e32 vcc, 3, v2
	s_and_saveexec_b64 s[4:5], vcc
	s_cbranch_execz .LBB69_54
; %bb.53:
	v_mov_b32_e32 v3, 0
	v_lshl_add_u32 v18, v2, 4, v3
	buffer_load_dword v2, v27, s[0:3], 0 offen
	buffer_load_dword v3, v27, s[0:3], 0 offen offset:4
	buffer_load_dword v4, v27, s[0:3], 0 offen offset:8
	buffer_load_dword v5, v27, s[0:3], 0 offen offset:12
	buffer_load_dword v19, v18, s[0:3], 0 offen
	buffer_load_dword v20, v18, s[0:3], 0 offen offset:4
	buffer_load_dword v21, v18, s[0:3], 0 offen offset:8
	buffer_load_dword v22, v18, s[0:3], 0 offen offset:12
	s_waitcnt vmcnt(4)
	ds_write2_b64 v0, v[2:3], v[4:5] offset1:1
	s_waitcnt vmcnt(3)
	buffer_store_dword v19, v27, s[0:3], 0 offen
	s_waitcnt vmcnt(3)
	buffer_store_dword v20, v27, s[0:3], 0 offen offset:4
	s_waitcnt vmcnt(3)
	buffer_store_dword v21, v27, s[0:3], 0 offen offset:8
	s_waitcnt vmcnt(3)
	buffer_store_dword v22, v27, s[0:3], 0 offen offset:12
	buffer_store_dword v5, v18, s[0:3], 0 offen offset:12
	buffer_store_dword v4, v18, s[0:3], 0 offen offset:8
	buffer_store_dword v3, v18, s[0:3], 0 offen offset:4
	buffer_store_dword v2, v18, s[0:3], 0 offen
.LBB69_54:
	s_or_b64 exec, exec, s[4:5]
	v_pk_mov_b32 v[2:3], s[16:17], s[16:17] op_sel:[0,1]
	flat_load_dword v2, v[2:3] offset:8
	s_waitcnt vmcnt(0) lgkmcnt(0)
	;; [unrolled: 34-line block ×3, first 2 shown]
	v_add_u32_e32 v2, -1, v2
	v_cmp_ne_u32_e32 vcc, 1, v2
	s_and_saveexec_b64 s[4:5], vcc
	s_cbranch_execz .LBB69_58
; %bb.57:
	v_mov_b32_e32 v3, 0
	v_lshl_add_u32 v18, v2, 4, v3
	buffer_load_dword v2, v26, s[0:3], 0 offen
	buffer_load_dword v3, v26, s[0:3], 0 offen offset:4
	buffer_load_dword v4, v26, s[0:3], 0 offen offset:8
	;; [unrolled: 1-line block ×3, first 2 shown]
	buffer_load_dword v19, v18, s[0:3], 0 offen
	buffer_load_dword v20, v18, s[0:3], 0 offen offset:4
	buffer_load_dword v21, v18, s[0:3], 0 offen offset:8
	;; [unrolled: 1-line block ×3, first 2 shown]
	s_waitcnt vmcnt(4)
	ds_write2_b64 v0, v[2:3], v[4:5] offset1:1
	s_waitcnt vmcnt(3)
	buffer_store_dword v19, v26, s[0:3], 0 offen
	s_waitcnt vmcnt(3)
	buffer_store_dword v20, v26, s[0:3], 0 offen offset:4
	s_waitcnt vmcnt(3)
	buffer_store_dword v21, v26, s[0:3], 0 offen offset:8
	s_waitcnt vmcnt(3)
	buffer_store_dword v22, v26, s[0:3], 0 offen offset:12
	buffer_store_dword v5, v18, s[0:3], 0 offen offset:12
	buffer_store_dword v4, v18, s[0:3], 0 offen offset:8
	;; [unrolled: 1-line block ×3, first 2 shown]
	buffer_store_dword v2, v18, s[0:3], 0 offen
.LBB69_58:
	s_or_b64 exec, exec, s[4:5]
	v_pk_mov_b32 v[2:3], s[16:17], s[16:17] op_sel:[0,1]
	flat_load_dword v2, v[2:3]
	s_waitcnt vmcnt(0) lgkmcnt(0)
	v_add_u32_e32 v2, -1, v2
	v_cmp_ne_u32_e32 vcc, 0, v2
	s_and_saveexec_b64 s[4:5], vcc
	s_cbranch_execz .LBB69_60
; %bb.59:
	v_mov_b32_e32 v3, 0
	v_lshl_add_u32 v18, v2, 4, v3
	buffer_load_dword v2, off, s[0:3], 0
	buffer_load_dword v3, off, s[0:3], 0 offset:4
	buffer_load_dword v4, off, s[0:3], 0 offset:8
	buffer_load_dword v5, off, s[0:3], 0 offset:12
	buffer_load_dword v19, v18, s[0:3], 0 offen
	buffer_load_dword v20, v18, s[0:3], 0 offen offset:4
	buffer_load_dword v21, v18, s[0:3], 0 offen offset:8
	;; [unrolled: 1-line block ×3, first 2 shown]
	s_waitcnt vmcnt(4)
	ds_write2_b64 v0, v[2:3], v[4:5] offset1:1
	s_waitcnt vmcnt(3)
	buffer_store_dword v19, off, s[0:3], 0
	s_waitcnt vmcnt(3)
	buffer_store_dword v20, off, s[0:3], 0 offset:4
	s_waitcnt vmcnt(3)
	buffer_store_dword v21, off, s[0:3], 0 offset:8
	;; [unrolled: 2-line block ×3, first 2 shown]
	buffer_store_dword v5, v18, s[0:3], 0 offen offset:12
	buffer_store_dword v4, v18, s[0:3], 0 offen offset:8
	buffer_store_dword v3, v18, s[0:3], 0 offen offset:4
	buffer_store_dword v2, v18, s[0:3], 0 offen
.LBB69_60:
	s_or_b64 exec, exec, s[4:5]
.LBB69_61:
	buffer_load_dword v2, off, s[0:3], 0
	buffer_load_dword v3, off, s[0:3], 0 offset:4
	buffer_load_dword v4, off, s[0:3], 0 offset:8
	;; [unrolled: 1-line block ×3, first 2 shown]
	buffer_load_dword v19, v26, s[0:3], 0 offen offset:4
	buffer_load_dword v20, v26, s[0:3], 0 offen offset:8
	;; [unrolled: 1-line block ×3, first 2 shown]
	buffer_load_dword v28, v25, s[0:3], 0 offen
	buffer_load_dword v29, v25, s[0:3], 0 offen offset:4
	buffer_load_dword v30, v25, s[0:3], 0 offen offset:8
	buffer_load_dword v18, v26, s[0:3], 0 offen
	buffer_load_dword v31, v25, s[0:3], 0 offen offset:12
	buffer_load_dword v33, v27, s[0:3], 0 offen offset:4
	;; [unrolled: 1-line block ×4, first 2 shown]
	buffer_load_dword v36, v1, s[0:3], 0 offen
	buffer_load_dword v37, v1, s[0:3], 0 offen offset:4
	buffer_load_dword v38, v1, s[0:3], 0 offen offset:8
	buffer_load_dword v32, v27, s[0:3], 0 offen
                                        ; kill: killed $vgpr26
                                        ; kill: killed $vgpr27
                                        ; kill: killed $vgpr25
	buffer_load_dword v39, v1, s[0:3], 0 offen offset:12
	buffer_load_dword v40, v24, s[0:3], 0 offen
	buffer_load_dword v41, v24, s[0:3], 0 offen offset:4
	buffer_load_dword v42, v24, s[0:3], 0 offen offset:8
	;; [unrolled: 1-line block ×3, first 2 shown]
	s_waitcnt vmcnt(20)
	global_store_dwordx4 v[6:7], v[2:5], off
	s_waitcnt vmcnt(14)
	global_store_dwordx4 v[8:9], v[18:21], off
	;; [unrolled: 2-line block ×6, first 2 shown]
	s_endpgm
	.section	.rodata,"a",@progbits
	.p2align	6, 0x0
	.amdhsa_kernel _ZN9rocsolver6v33100L18getri_kernel_smallILi6E19rocblas_complex_numIdEPKPS3_EEvT1_iilPiilS8_bb
		.amdhsa_group_segment_fixed_size 1224
		.amdhsa_private_segment_fixed_size 112
		.amdhsa_kernarg_size 60
		.amdhsa_user_sgpr_count 10
		.amdhsa_user_sgpr_private_segment_buffer 1
		.amdhsa_user_sgpr_dispatch_ptr 1
		.amdhsa_user_sgpr_queue_ptr 0
		.amdhsa_user_sgpr_kernarg_segment_ptr 1
		.amdhsa_user_sgpr_dispatch_id 0
		.amdhsa_user_sgpr_flat_scratch_init 1
		.amdhsa_user_sgpr_kernarg_preload_length 0
		.amdhsa_user_sgpr_kernarg_preload_offset 0
		.amdhsa_user_sgpr_private_segment_size 0
		.amdhsa_uses_dynamic_stack 0
		.amdhsa_system_sgpr_private_segment_wavefront_offset 1
		.amdhsa_system_sgpr_workgroup_id_x 1
		.amdhsa_system_sgpr_workgroup_id_y 0
		.amdhsa_system_sgpr_workgroup_id_z 0
		.amdhsa_system_sgpr_workgroup_info 0
		.amdhsa_system_vgpr_workitem_id 2
		.amdhsa_next_free_vgpr 74
		.amdhsa_next_free_sgpr 24
		.amdhsa_accum_offset 76
		.amdhsa_reserve_vcc 1
		.amdhsa_reserve_flat_scratch 1
		.amdhsa_float_round_mode_32 0
		.amdhsa_float_round_mode_16_64 0
		.amdhsa_float_denorm_mode_32 3
		.amdhsa_float_denorm_mode_16_64 3
		.amdhsa_dx10_clamp 1
		.amdhsa_ieee_mode 1
		.amdhsa_fp16_overflow 0
		.amdhsa_tg_split 0
		.amdhsa_exception_fp_ieee_invalid_op 0
		.amdhsa_exception_fp_denorm_src 0
		.amdhsa_exception_fp_ieee_div_zero 0
		.amdhsa_exception_fp_ieee_overflow 0
		.amdhsa_exception_fp_ieee_underflow 0
		.amdhsa_exception_fp_ieee_inexact 0
		.amdhsa_exception_int_div_zero 0
	.end_amdhsa_kernel
	.section	.text._ZN9rocsolver6v33100L18getri_kernel_smallILi6E19rocblas_complex_numIdEPKPS3_EEvT1_iilPiilS8_bb,"axG",@progbits,_ZN9rocsolver6v33100L18getri_kernel_smallILi6E19rocblas_complex_numIdEPKPS3_EEvT1_iilPiilS8_bb,comdat
.Lfunc_end69:
	.size	_ZN9rocsolver6v33100L18getri_kernel_smallILi6E19rocblas_complex_numIdEPKPS3_EEvT1_iilPiilS8_bb, .Lfunc_end69-_ZN9rocsolver6v33100L18getri_kernel_smallILi6E19rocblas_complex_numIdEPKPS3_EEvT1_iilPiilS8_bb
                                        ; -- End function
	.section	.AMDGPU.csdata,"",@progbits
; Kernel info:
; codeLenInByte = 6808
; NumSgprs: 30
; NumVgprs: 74
; NumAgprs: 0
; TotalNumVgprs: 74
; ScratchSize: 112
; MemoryBound: 0
; FloatMode: 240
; IeeeMode: 1
; LDSByteSize: 1224 bytes/workgroup (compile time only)
; SGPRBlocks: 3
; VGPRBlocks: 9
; NumSGPRsForWavesPerEU: 30
; NumVGPRsForWavesPerEU: 74
; AccumOffset: 76
; Occupancy: 6
; WaveLimiterHint : 1
; COMPUTE_PGM_RSRC2:SCRATCH_EN: 1
; COMPUTE_PGM_RSRC2:USER_SGPR: 10
; COMPUTE_PGM_RSRC2:TRAP_HANDLER: 0
; COMPUTE_PGM_RSRC2:TGID_X_EN: 1
; COMPUTE_PGM_RSRC2:TGID_Y_EN: 0
; COMPUTE_PGM_RSRC2:TGID_Z_EN: 0
; COMPUTE_PGM_RSRC2:TIDIG_COMP_CNT: 2
; COMPUTE_PGM_RSRC3_GFX90A:ACCUM_OFFSET: 18
; COMPUTE_PGM_RSRC3_GFX90A:TG_SPLIT: 0
	.section	.text._ZN9rocsolver6v33100L18getri_kernel_smallILi7E19rocblas_complex_numIdEPKPS3_EEvT1_iilPiilS8_bb,"axG",@progbits,_ZN9rocsolver6v33100L18getri_kernel_smallILi7E19rocblas_complex_numIdEPKPS3_EEvT1_iilPiilS8_bb,comdat
	.globl	_ZN9rocsolver6v33100L18getri_kernel_smallILi7E19rocblas_complex_numIdEPKPS3_EEvT1_iilPiilS8_bb ; -- Begin function _ZN9rocsolver6v33100L18getri_kernel_smallILi7E19rocblas_complex_numIdEPKPS3_EEvT1_iilPiilS8_bb
	.p2align	8
	.type	_ZN9rocsolver6v33100L18getri_kernel_smallILi7E19rocblas_complex_numIdEPKPS3_EEvT1_iilPiilS8_bb,@function
_ZN9rocsolver6v33100L18getri_kernel_smallILi7E19rocblas_complex_numIdEPKPS3_EEvT1_iilPiilS8_bb: ; @_ZN9rocsolver6v33100L18getri_kernel_smallILi7E19rocblas_complex_numIdEPKPS3_EEvT1_iilPiilS8_bb
; %bb.0:
	s_add_u32 flat_scratch_lo, s8, s11
	s_addc_u32 flat_scratch_hi, s9, 0
	s_add_u32 s0, s0, s11
	v_and_b32_e32 v31, 0x3ff, v0
	s_addc_u32 s1, s1, 0
	v_cmp_gt_u32_e32 vcc, 7, v31
	s_and_saveexec_b64 s[8:9], vcc
	s_cbranch_execz .LBB70_42
; %bb.1:
	s_load_dword s20, s[6:7], 0x38
	s_load_dwordx2 s[8:9], s[6:7], 0x0
	s_load_dwordx4 s[12:15], s[6:7], 0x28
	s_waitcnt lgkmcnt(0)
	s_bitcmp1_b32 s20, 8
	s_cselect_b64 s[18:19], -1, 0
	s_ashr_i32 s11, s10, 31
	s_lshl_b64 s[16:17], s[10:11], 3
	s_add_u32 s8, s8, s16
	s_addc_u32 s9, s9, s17
	s_load_dwordx2 s[8:9], s[8:9], 0x0
	s_bfe_u32 s16, s20, 0x10008
	s_cmp_eq_u32 s16, 0
                                        ; implicit-def: $sgpr16_sgpr17
	s_cbranch_scc1 .LBB70_3
; %bb.2:
	s_load_dword s16, s[6:7], 0x20
	s_load_dwordx2 s[22:23], s[6:7], 0x18
	s_mul_i32 s13, s10, s13
	s_mul_hi_u32 s17, s10, s12
	s_add_i32 s13, s17, s13
	s_mul_i32 s21, s11, s12
	s_add_i32 s13, s13, s21
	s_mul_i32 s12, s10, s12
	s_waitcnt lgkmcnt(0)
	s_ashr_i32 s17, s16, 31
	s_lshl_b64 s[12:13], s[12:13], 2
	s_add_u32 s21, s22, s12
	s_addc_u32 s22, s23, s13
	s_lshl_b64 s[12:13], s[16:17], 2
	s_add_u32 s16, s21, s12
	s_addc_u32 s17, s22, s13
.LBB70_3:
	s_load_dwordx2 s[6:7], s[6:7], 0x8
	v_lshlrev_b32_e32 v32, 4, v31
	v_mov_b32_e32 v24, 0
	v_add_u32_e32 v27, 16, v24
	v_add_u32_e32 v29, 32, v24
	s_waitcnt lgkmcnt(0)
	s_ashr_i32 s13, s6, 31
	s_mov_b32 s12, s6
	s_lshl_b64 s[12:13], s[12:13], 4
	s_add_u32 s8, s8, s12
	s_addc_u32 s9, s9, s13
	v_mov_b32_e32 v1, s9
	v_add_co_u32_e32 v6, vcc, s8, v32
	s_ashr_i32 s13, s7, 31
	s_mov_b32 s12, s7
	s_add_i32 s6, s7, s7
	v_addc_co_u32_e32 v7, vcc, 0, v1, vcc
	s_lshl_b64 s[12:13], s[12:13], 4
	v_add_u32_e32 v12, s6, v31
	v_mov_b32_e32 v1, s13
	v_add_co_u32_e32 v8, vcc, s12, v6
	v_ashrrev_i32_e32 v13, 31, v12
	v_addc_co_u32_e32 v9, vcc, v7, v1, vcc
	v_lshlrev_b64 v[10:11], 4, v[12:13]
	v_add_u32_e32 v14, s7, v12
	v_mov_b32_e32 v1, s9
	v_add_co_u32_e32 v10, vcc, s8, v10
	v_ashrrev_i32_e32 v15, 31, v14
	v_addc_co_u32_e32 v11, vcc, v1, v11, vcc
	v_lshlrev_b64 v[12:13], 4, v[14:15]
	v_add_u32_e32 v16, s7, v14
	v_add_co_u32_e32 v12, vcc, s8, v12
	v_ashrrev_i32_e32 v17, 31, v16
	v_addc_co_u32_e32 v13, vcc, v1, v13, vcc
	v_lshlrev_b64 v[14:15], 4, v[16:17]
	v_add_u32_e32 v18, s7, v16
	;; [unrolled: 5-line block ×3, first 2 shown]
	v_add_co_u32_e32 v16, vcc, s8, v16
	v_ashrrev_i32_e32 v19, 31, v18
	v_addc_co_u32_e32 v17, vcc, v1, v17, vcc
	v_lshlrev_b64 v[18:19], 4, v[18:19]
	v_add_co_u32_e32 v18, vcc, s8, v18
	v_addc_co_u32_e32 v19, vcc, v1, v19, vcc
	global_load_dwordx4 v[2:5], v32, s[8:9]
	global_load_dwordx4 v[20:23], v[8:9], off
	global_load_dwordx4 v[34:37], v[10:11], off
	;; [unrolled: 1-line block ×6, first 2 shown]
	v_add_u32_e32 v28, 48, v24
	v_add_u32_e32 v26, 64, v24
	;; [unrolled: 1-line block ×4, first 2 shown]
	s_bitcmp0_b32 s20, 0
	s_mov_b64 s[8:9], -1
	s_waitcnt vmcnt(6)
	buffer_store_dword v5, off, s[0:3], 0 offset:12
	buffer_store_dword v4, off, s[0:3], 0 offset:8
	;; [unrolled: 1-line block ×3, first 2 shown]
	buffer_store_dword v2, off, s[0:3], 0
	s_waitcnt vmcnt(9)
	buffer_store_dword v23, off, s[0:3], 0 offset:28
	buffer_store_dword v22, off, s[0:3], 0 offset:24
	buffer_store_dword v21, off, s[0:3], 0 offset:20
	buffer_store_dword v20, off, s[0:3], 0 offset:16
	s_waitcnt vmcnt(12)
	buffer_store_dword v37, off, s[0:3], 0 offset:44
	buffer_store_dword v36, off, s[0:3], 0 offset:40
	buffer_store_dword v35, off, s[0:3], 0 offset:36
	buffer_store_dword v34, off, s[0:3], 0 offset:32
	;; [unrolled: 5-line block ×6, first 2 shown]
	s_cbranch_scc1 .LBB70_40
; %bb.4:
	v_cmp_eq_u32_e64 s[6:7], 0, v31
	s_and_saveexec_b64 s[8:9], s[6:7]
	s_cbranch_execz .LBB70_6
; %bb.5:
	v_mov_b32_e32 v2, 0
	ds_write_b32 v2, v2 offset:224
.LBB70_6:
	s_or_b64 exec, exec, s[8:9]
	v_mov_b32_e32 v2, 0
	v_lshl_add_u32 v33, v31, 4, v2
	s_waitcnt lgkmcnt(0)
	; wave barrier
	s_waitcnt lgkmcnt(0)
	buffer_load_dword v2, v33, s[0:3], 0 offen
	buffer_load_dword v3, v33, s[0:3], 0 offen offset:4
	buffer_load_dword v4, v33, s[0:3], 0 offen offset:8
	buffer_load_dword v5, v33, s[0:3], 0 offen offset:12
	s_waitcnt vmcnt(2)
	v_cmp_eq_f64_e32 vcc, 0, v[2:3]
	s_waitcnt vmcnt(0)
	v_cmp_eq_f64_e64 s[8:9], 0, v[4:5]
	s_and_b64 s[8:9], vcc, s[8:9]
	s_and_saveexec_b64 s[12:13], s[8:9]
	s_cbranch_execz .LBB70_10
; %bb.7:
	v_mov_b32_e32 v2, 0
	ds_read_b32 v4, v2 offset:224
	v_add_u32_e32 v3, 1, v31
	s_waitcnt lgkmcnt(0)
	v_readfirstlane_b32 s8, v4
	s_cmp_eq_u32 s8, 0
	s_cselect_b64 s[20:21], -1, 0
	v_cmp_gt_i32_e32 vcc, s8, v3
	s_or_b64 s[20:21], s[20:21], vcc
	s_and_b64 exec, exec, s[20:21]
	s_cbranch_execz .LBB70_10
; %bb.8:
	s_mov_b64 s[20:21], 0
	v_mov_b32_e32 v4, s8
.LBB70_9:                               ; =>This Inner Loop Header: Depth=1
	ds_cmpst_rtn_b32 v4, v2, v4, v3 offset:224
	s_waitcnt lgkmcnt(0)
	v_cmp_ne_u32_e32 vcc, 0, v4
	v_cmp_le_i32_e64 s[8:9], v4, v3
	s_and_b64 s[8:9], vcc, s[8:9]
	s_and_b64 s[8:9], exec, s[8:9]
	s_or_b64 s[20:21], s[8:9], s[20:21]
	s_andn2_b64 exec, exec, s[20:21]
	s_cbranch_execnz .LBB70_9
.LBB70_10:
	s_or_b64 exec, exec, s[12:13]
	v_mov_b32_e32 v3, 0
	s_waitcnt lgkmcnt(0)
	; wave barrier
	ds_read_b32 v2, v3 offset:224
	s_and_saveexec_b64 s[8:9], s[6:7]
	s_cbranch_execz .LBB70_12
; %bb.11:
	s_lshl_b64 s[12:13], s[10:11], 2
	s_add_u32 s12, s14, s12
	s_addc_u32 s13, s15, s13
	s_waitcnt lgkmcnt(0)
	global_store_dword v3, v2, s[12:13]
.LBB70_12:
	s_or_b64 exec, exec, s[8:9]
	s_waitcnt lgkmcnt(0)
	v_cmp_ne_u32_e32 vcc, 0, v2
	s_mov_b64 s[8:9], 0
	s_cbranch_vccnz .LBB70_40
; %bb.13:
	buffer_load_dword v21, v33, s[0:3], 0 offen offset:4
	buffer_load_dword v20, v33, s[0:3], 0 offen
	buffer_load_dword v23, v33, s[0:3], 0 offen offset:12
	buffer_load_dword v22, v33, s[0:3], 0 offen offset:8
                                        ; implicit-def: $vgpr24_vgpr25
	s_waitcnt vmcnt(3)
	v_xor_b32_e32 v3, 0x80000000, v21
	s_waitcnt vmcnt(2)
	v_cmp_gt_f64_e32 vcc, 0, v[20:21]
	s_waitcnt vmcnt(1)
	v_xor_b32_e32 v4, 0x80000000, v23
	v_cndmask_b32_e32 v3, v21, v3, vcc
	s_waitcnt vmcnt(0)
	v_cmp_gt_f64_e32 vcc, 0, v[22:23]
	v_mov_b32_e32 v2, v20
	v_cndmask_b32_e32 v5, v23, v4, vcc
	v_mov_b32_e32 v4, v22
	v_cmp_ngt_f64_e32 vcc, v[2:3], v[4:5]
                                        ; implicit-def: $vgpr4_vgpr5
	s_and_saveexec_b64 s[8:9], vcc
	s_xor_b64 s[8:9], exec, s[8:9]
	s_cbranch_execz .LBB70_15
; %bb.14:
	v_div_scale_f64 v[2:3], s[12:13], v[22:23], v[22:23], v[20:21]
	v_rcp_f64_e32 v[4:5], v[2:3]
	v_div_scale_f64 v[24:25], vcc, v[20:21], v[22:23], v[20:21]
	v_fma_f64 v[34:35], -v[2:3], v[4:5], 1.0
	v_fmac_f64_e32 v[4:5], v[4:5], v[34:35]
	v_fma_f64 v[34:35], -v[2:3], v[4:5], 1.0
	v_fmac_f64_e32 v[4:5], v[4:5], v[34:35]
	v_mul_f64 v[34:35], v[24:25], v[4:5]
	v_fma_f64 v[2:3], -v[2:3], v[34:35], v[24:25]
	v_div_fmas_f64 v[2:3], v[2:3], v[4:5], v[34:35]
	v_div_fixup_f64 v[2:3], v[2:3], v[22:23], v[20:21]
	v_fmac_f64_e32 v[22:23], v[20:21], v[2:3]
	v_div_scale_f64 v[4:5], s[12:13], v[22:23], v[22:23], 1.0
	v_rcp_f64_e32 v[20:21], v[4:5]
	v_fma_f64 v[24:25], -v[4:5], v[20:21], 1.0
	v_fmac_f64_e32 v[20:21], v[20:21], v[24:25]
	v_fma_f64 v[24:25], -v[4:5], v[20:21], 1.0
	v_fmac_f64_e32 v[20:21], v[20:21], v[24:25]
	v_div_scale_f64 v[24:25], vcc, 1.0, v[22:23], 1.0
	v_mul_f64 v[34:35], v[24:25], v[20:21]
	v_fma_f64 v[4:5], -v[4:5], v[34:35], v[24:25]
	s_nop 1
	v_div_fmas_f64 v[4:5], v[4:5], v[20:21], v[34:35]
	v_div_fixup_f64 v[4:5], v[4:5], v[22:23], 1.0
	v_mul_f64 v[24:25], v[2:3], v[4:5]
	v_xor_b32_e32 v5, 0x80000000, v5
	v_xor_b32_e32 v3, 0x80000000, v25
	v_mov_b32_e32 v2, v24
                                        ; implicit-def: $vgpr20_vgpr21
                                        ; implicit-def: $vgpr22_vgpr23
.LBB70_15:
	s_andn2_saveexec_b64 s[8:9], s[8:9]
	s_cbranch_execz .LBB70_17
; %bb.16:
	v_div_scale_f64 v[2:3], s[12:13], v[20:21], v[20:21], v[22:23]
	v_rcp_f64_e32 v[4:5], v[2:3]
	v_div_scale_f64 v[24:25], vcc, v[22:23], v[20:21], v[22:23]
	v_fma_f64 v[34:35], -v[2:3], v[4:5], 1.0
	v_fmac_f64_e32 v[4:5], v[4:5], v[34:35]
	v_fma_f64 v[34:35], -v[2:3], v[4:5], 1.0
	v_fmac_f64_e32 v[4:5], v[4:5], v[34:35]
	v_mul_f64 v[34:35], v[24:25], v[4:5]
	v_fma_f64 v[2:3], -v[2:3], v[34:35], v[24:25]
	v_div_fmas_f64 v[2:3], v[2:3], v[4:5], v[34:35]
	v_div_fixup_f64 v[4:5], v[2:3], v[20:21], v[22:23]
	v_fmac_f64_e32 v[20:21], v[22:23], v[4:5]
	v_div_scale_f64 v[2:3], s[12:13], v[20:21], v[20:21], 1.0
	v_rcp_f64_e32 v[22:23], v[2:3]
	v_fma_f64 v[24:25], -v[2:3], v[22:23], 1.0
	v_fmac_f64_e32 v[22:23], v[22:23], v[24:25]
	v_fma_f64 v[24:25], -v[2:3], v[22:23], 1.0
	v_fmac_f64_e32 v[22:23], v[22:23], v[24:25]
	v_div_scale_f64 v[24:25], vcc, 1.0, v[20:21], 1.0
	v_mul_f64 v[34:35], v[24:25], v[22:23]
	v_fma_f64 v[2:3], -v[2:3], v[34:35], v[24:25]
	s_nop 1
	v_div_fmas_f64 v[2:3], v[2:3], v[22:23], v[34:35]
	v_div_fixup_f64 v[24:25], v[2:3], v[20:21], 1.0
	v_xor_b32_e32 v3, 0x80000000, v25
	v_mov_b32_e32 v2, v24
	v_mul_f64 v[4:5], v[4:5], -v[24:25]
.LBB70_17:
	s_or_b64 exec, exec, s[8:9]
	buffer_store_dword v25, v33, s[0:3], 0 offen offset:4
	buffer_store_dword v24, v33, s[0:3], 0 offen
	buffer_store_dword v5, v33, s[0:3], 0 offen offset:12
	buffer_store_dword v4, v33, s[0:3], 0 offen offset:8
	buffer_load_dword v25, v27, s[0:3], 0 offen offset:12
	s_nop 0
	buffer_load_dword v24, v27, s[0:3], 0 offen offset:8
	buffer_load_dword v23, v27, s[0:3], 0 offen offset:4
	buffer_load_dword v22, v27, s[0:3], 0 offen
	v_xor_b32_e32 v5, 0x80000000, v5
	v_add_u32_e32 v20, 0x70, v32
	ds_write_b128 v32, v[2:5]
	s_waitcnt vmcnt(0)
	ds_write_b128 v32, v[22:25] offset:112
	s_waitcnt lgkmcnt(0)
	; wave barrier
	s_waitcnt lgkmcnt(0)
	s_and_saveexec_b64 s[8:9], s[6:7]
	s_cbranch_execz .LBB70_19
; %bb.18:
	buffer_load_dword v34, v33, s[0:3], 0 offen offset:8
	buffer_load_dword v35, v33, s[0:3], 0 offen offset:12
	buffer_load_dword v36, v33, s[0:3], 0 offen
	buffer_load_dword v37, v33, s[0:3], 0 offen offset:4
	ds_read_b128 v[2:5], v20
	v_mov_b32_e32 v21, 0
	ds_read_b128 v[22:25], v21 offset:16
	s_waitcnt vmcnt(2) lgkmcnt(1)
	v_mul_f64 v[38:39], v[4:5], v[34:35]
	v_mul_f64 v[34:35], v[2:3], v[34:35]
	s_waitcnt vmcnt(0)
	v_fmac_f64_e32 v[34:35], v[4:5], v[36:37]
	v_fma_f64 v[2:3], v[2:3], v[36:37], -v[38:39]
	v_add_f64 v[4:5], v[34:35], 0
	v_add_f64 v[2:3], v[2:3], 0
	s_waitcnt lgkmcnt(0)
	v_mul_f64 v[34:35], v[4:5], v[24:25]
	v_mul_f64 v[24:25], v[2:3], v[24:25]
	v_fma_f64 v[2:3], v[2:3], v[22:23], -v[34:35]
	v_fmac_f64_e32 v[24:25], v[4:5], v[22:23]
	buffer_store_dword v2, off, s[0:3], 0 offset:16
	buffer_store_dword v3, off, s[0:3], 0 offset:20
	;; [unrolled: 1-line block ×4, first 2 shown]
.LBB70_19:
	s_or_b64 exec, exec, s[8:9]
	s_waitcnt lgkmcnt(0)
	; wave barrier
	buffer_load_dword v2, v29, s[0:3], 0 offen
	buffer_load_dword v3, v29, s[0:3], 0 offen offset:4
	buffer_load_dword v4, v29, s[0:3], 0 offen offset:8
	;; [unrolled: 1-line block ×3, first 2 shown]
	v_cmp_gt_u32_e32 vcc, 2, v31
	s_waitcnt vmcnt(0)
	ds_write_b128 v20, v[2:5]
	s_waitcnt lgkmcnt(0)
	; wave barrier
	s_waitcnt lgkmcnt(0)
	s_and_saveexec_b64 s[8:9], vcc
	s_cbranch_execz .LBB70_23
; %bb.20:
	buffer_load_dword v22, v33, s[0:3], 0 offen offset:8
	buffer_load_dword v23, v33, s[0:3], 0 offen offset:12
	buffer_load_dword v24, v33, s[0:3], 0 offen
	buffer_load_dword v25, v33, s[0:3], 0 offen offset:4
	ds_read_b128 v[2:5], v20
	s_waitcnt vmcnt(2) lgkmcnt(0)
	v_mul_f64 v[34:35], v[4:5], v[22:23]
	v_mul_f64 v[22:23], v[2:3], v[22:23]
	s_waitcnt vmcnt(0)
	v_fma_f64 v[2:3], v[2:3], v[24:25], -v[34:35]
	v_fmac_f64_e32 v[22:23], v[4:5], v[24:25]
	v_add_f64 v[4:5], v[2:3], 0
	v_add_f64 v[2:3], v[22:23], 0
	s_and_saveexec_b64 s[12:13], s[6:7]
	s_cbranch_execz .LBB70_22
; %bb.21:
	buffer_load_dword v34, off, s[0:3], 0 offset:24
	buffer_load_dword v35, off, s[0:3], 0 offset:28
	;; [unrolled: 1-line block ×4, first 2 shown]
	v_mov_b32_e32 v21, 0
	ds_read_b128 v[22:25], v21 offset:128
	s_waitcnt vmcnt(2) lgkmcnt(0)
	v_mul_f64 v[38:39], v[22:23], v[34:35]
	v_mul_f64 v[34:35], v[24:25], v[34:35]
	s_waitcnt vmcnt(0)
	v_fmac_f64_e32 v[38:39], v[24:25], v[36:37]
	v_fma_f64 v[22:23], v[22:23], v[36:37], -v[34:35]
	v_add_f64 v[2:3], v[2:3], v[38:39]
	v_add_f64 v[4:5], v[4:5], v[22:23]
.LBB70_22:
	s_or_b64 exec, exec, s[12:13]
	v_mov_b32_e32 v21, 0
	ds_read_b128 v[22:25], v21 offset:32
	s_waitcnt lgkmcnt(0)
	v_mul_f64 v[34:35], v[2:3], v[24:25]
	v_mul_f64 v[24:25], v[4:5], v[24:25]
	v_fma_f64 v[4:5], v[4:5], v[22:23], -v[34:35]
	v_fmac_f64_e32 v[24:25], v[2:3], v[22:23]
	buffer_store_dword v5, off, s[0:3], 0 offset:36
	buffer_store_dword v4, off, s[0:3], 0 offset:32
	;; [unrolled: 1-line block ×4, first 2 shown]
.LBB70_23:
	s_or_b64 exec, exec, s[8:9]
	s_waitcnt lgkmcnt(0)
	; wave barrier
	buffer_load_dword v2, v28, s[0:3], 0 offen
	buffer_load_dword v3, v28, s[0:3], 0 offen offset:4
	buffer_load_dword v4, v28, s[0:3], 0 offen offset:8
	;; [unrolled: 1-line block ×3, first 2 shown]
	v_cmp_gt_u32_e32 vcc, 3, v31
	v_add_u32_e32 v21, -1, v31
	s_waitcnt vmcnt(0)
	ds_write_b128 v20, v[2:5]
	s_waitcnt lgkmcnt(0)
	; wave barrier
	s_waitcnt lgkmcnt(0)
	s_and_saveexec_b64 s[6:7], vcc
	s_cbranch_execz .LBB70_27
; %bb.24:
	v_pk_mov_b32 v[2:3], 0, 0
	v_add_u32_e32 v22, -1, v31
	v_add_u32_e32 v23, 0x70, v32
	v_add_u32_e32 v24, 0, v32
	s_mov_b64 s[8:9], 0
	v_pk_mov_b32 v[4:5], v[2:3], v[2:3] op_sel:[0,1]
.LBB70_25:                              ; =>This Inner Loop Header: Depth=1
	buffer_load_dword v38, v24, s[0:3], 0 offen offset:8
	buffer_load_dword v39, v24, s[0:3], 0 offen offset:12
	buffer_load_dword v40, v24, s[0:3], 0 offen
	buffer_load_dword v41, v24, s[0:3], 0 offen offset:4
	ds_read_b128 v[34:37], v23
	v_add_u32_e32 v22, 1, v22
	v_cmp_lt_u32_e32 vcc, 1, v22
	v_add_u32_e32 v23, 16, v23
	v_add_u32_e32 v24, 16, v24
	s_or_b64 s[8:9], vcc, s[8:9]
	s_waitcnt vmcnt(2) lgkmcnt(0)
	v_mul_f64 v[42:43], v[36:37], v[38:39]
	v_mul_f64 v[38:39], v[34:35], v[38:39]
	s_waitcnt vmcnt(0)
	v_fma_f64 v[34:35], v[34:35], v[40:41], -v[42:43]
	v_fmac_f64_e32 v[38:39], v[36:37], v[40:41]
	v_add_f64 v[4:5], v[4:5], v[34:35]
	v_add_f64 v[2:3], v[2:3], v[38:39]
	s_andn2_b64 exec, exec, s[8:9]
	s_cbranch_execnz .LBB70_25
; %bb.26:
	s_or_b64 exec, exec, s[8:9]
	v_mov_b32_e32 v22, 0
	ds_read_b128 v[22:25], v22 offset:48
	s_waitcnt lgkmcnt(0)
	v_mul_f64 v[34:35], v[2:3], v[24:25]
	v_mul_f64 v[24:25], v[4:5], v[24:25]
	v_fma_f64 v[4:5], v[4:5], v[22:23], -v[34:35]
	v_fmac_f64_e32 v[24:25], v[2:3], v[22:23]
	buffer_store_dword v5, off, s[0:3], 0 offset:52
	buffer_store_dword v4, off, s[0:3], 0 offset:48
	;; [unrolled: 1-line block ×4, first 2 shown]
.LBB70_27:
	s_or_b64 exec, exec, s[6:7]
	s_waitcnt lgkmcnt(0)
	; wave barrier
	buffer_load_dword v2, v26, s[0:3], 0 offen
	buffer_load_dword v3, v26, s[0:3], 0 offen offset:4
	buffer_load_dword v4, v26, s[0:3], 0 offen offset:8
	buffer_load_dword v5, v26, s[0:3], 0 offen offset:12
	v_cmp_gt_u32_e32 vcc, 4, v31
	s_waitcnt vmcnt(0)
	ds_write_b128 v20, v[2:5]
	s_waitcnt lgkmcnt(0)
	; wave barrier
	s_waitcnt lgkmcnt(0)
	s_and_saveexec_b64 s[6:7], vcc
	s_cbranch_execz .LBB70_31
; %bb.28:
	v_pk_mov_b32 v[2:3], 0, 0
	v_add_u32_e32 v22, -1, v31
	v_add_u32_e32 v23, 0x70, v32
	v_add_u32_e32 v24, 0, v32
	s_mov_b64 s[8:9], 0
	v_pk_mov_b32 v[4:5], v[2:3], v[2:3] op_sel:[0,1]
.LBB70_29:                              ; =>This Inner Loop Header: Depth=1
	buffer_load_dword v38, v24, s[0:3], 0 offen offset:8
	buffer_load_dword v39, v24, s[0:3], 0 offen offset:12
	buffer_load_dword v40, v24, s[0:3], 0 offen
	buffer_load_dword v41, v24, s[0:3], 0 offen offset:4
	ds_read_b128 v[34:37], v23
	v_add_u32_e32 v22, 1, v22
	v_cmp_lt_u32_e32 vcc, 2, v22
	v_add_u32_e32 v23, 16, v23
	v_add_u32_e32 v24, 16, v24
	s_or_b64 s[8:9], vcc, s[8:9]
	s_waitcnt vmcnt(2) lgkmcnt(0)
	v_mul_f64 v[42:43], v[36:37], v[38:39]
	v_mul_f64 v[38:39], v[34:35], v[38:39]
	s_waitcnt vmcnt(0)
	v_fma_f64 v[34:35], v[34:35], v[40:41], -v[42:43]
	v_fmac_f64_e32 v[38:39], v[36:37], v[40:41]
	v_add_f64 v[4:5], v[4:5], v[34:35]
	v_add_f64 v[2:3], v[2:3], v[38:39]
	s_andn2_b64 exec, exec, s[8:9]
	s_cbranch_execnz .LBB70_29
; %bb.30:
	s_or_b64 exec, exec, s[8:9]
	v_mov_b32_e32 v22, 0
	ds_read_b128 v[22:25], v22 offset:64
	s_waitcnt lgkmcnt(0)
	v_mul_f64 v[34:35], v[2:3], v[24:25]
	v_mul_f64 v[24:25], v[4:5], v[24:25]
	v_fma_f64 v[4:5], v[4:5], v[22:23], -v[34:35]
	v_fmac_f64_e32 v[24:25], v[2:3], v[22:23]
	buffer_store_dword v5, off, s[0:3], 0 offset:68
	buffer_store_dword v4, off, s[0:3], 0 offset:64
	;; [unrolled: 1-line block ×4, first 2 shown]
.LBB70_31:
	s_or_b64 exec, exec, s[6:7]
	s_waitcnt lgkmcnt(0)
	; wave barrier
	buffer_load_dword v2, v1, s[0:3], 0 offen
	buffer_load_dword v3, v1, s[0:3], 0 offen offset:4
	buffer_load_dword v4, v1, s[0:3], 0 offen offset:8
	;; [unrolled: 1-line block ×3, first 2 shown]
	v_cmp_gt_u32_e32 vcc, 5, v31
	s_waitcnt vmcnt(0)
	ds_write_b128 v20, v[2:5]
	s_waitcnt lgkmcnt(0)
	; wave barrier
	s_waitcnt lgkmcnt(0)
	s_and_saveexec_b64 s[6:7], vcc
	s_cbranch_execz .LBB70_35
; %bb.32:
	v_pk_mov_b32 v[2:3], 0, 0
	v_add_u32_e32 v22, -1, v31
	v_add_u32_e32 v23, 0x70, v32
	v_add_u32_e32 v24, 0, v32
	s_mov_b64 s[8:9], 0
	v_pk_mov_b32 v[4:5], v[2:3], v[2:3] op_sel:[0,1]
.LBB70_33:                              ; =>This Inner Loop Header: Depth=1
	buffer_load_dword v38, v24, s[0:3], 0 offen offset:8
	buffer_load_dword v39, v24, s[0:3], 0 offen offset:12
	buffer_load_dword v40, v24, s[0:3], 0 offen
	buffer_load_dword v41, v24, s[0:3], 0 offen offset:4
	ds_read_b128 v[34:37], v23
	v_add_u32_e32 v22, 1, v22
	v_cmp_lt_u32_e32 vcc, 3, v22
	v_add_u32_e32 v23, 16, v23
	v_add_u32_e32 v24, 16, v24
	s_or_b64 s[8:9], vcc, s[8:9]
	s_waitcnt vmcnt(2) lgkmcnt(0)
	v_mul_f64 v[42:43], v[36:37], v[38:39]
	v_mul_f64 v[38:39], v[34:35], v[38:39]
	s_waitcnt vmcnt(0)
	v_fma_f64 v[34:35], v[34:35], v[40:41], -v[42:43]
	v_fmac_f64_e32 v[38:39], v[36:37], v[40:41]
	v_add_f64 v[4:5], v[4:5], v[34:35]
	v_add_f64 v[2:3], v[2:3], v[38:39]
	s_andn2_b64 exec, exec, s[8:9]
	s_cbranch_execnz .LBB70_33
; %bb.34:
	s_or_b64 exec, exec, s[8:9]
	v_mov_b32_e32 v22, 0
	ds_read_b128 v[22:25], v22 offset:80
	s_waitcnt lgkmcnt(0)
	v_mul_f64 v[34:35], v[2:3], v[24:25]
	v_mul_f64 v[24:25], v[4:5], v[24:25]
	v_fma_f64 v[4:5], v[4:5], v[22:23], -v[34:35]
	v_fmac_f64_e32 v[24:25], v[2:3], v[22:23]
	buffer_store_dword v5, off, s[0:3], 0 offset:84
	buffer_store_dword v4, off, s[0:3], 0 offset:80
	;; [unrolled: 1-line block ×4, first 2 shown]
.LBB70_35:
	s_or_b64 exec, exec, s[6:7]
	s_waitcnt lgkmcnt(0)
	; wave barrier
	buffer_load_dword v2, v30, s[0:3], 0 offen
	buffer_load_dword v3, v30, s[0:3], 0 offen offset:4
	buffer_load_dword v4, v30, s[0:3], 0 offen offset:8
	;; [unrolled: 1-line block ×3, first 2 shown]
	v_cmp_ne_u32_e32 vcc, 6, v31
	s_waitcnt vmcnt(0)
	ds_write_b128 v20, v[2:5]
	s_waitcnt lgkmcnt(0)
	; wave barrier
	s_waitcnt lgkmcnt(0)
	s_and_saveexec_b64 s[6:7], vcc
	s_cbranch_execz .LBB70_39
; %bb.36:
	v_pk_mov_b32 v[2:3], 0, 0
	v_add_u32_e32 v20, 0x70, v32
	v_add_u32_e32 v22, 0, v32
	s_mov_b64 s[8:9], 0
	v_pk_mov_b32 v[4:5], v[2:3], v[2:3] op_sel:[0,1]
.LBB70_37:                              ; =>This Inner Loop Header: Depth=1
	buffer_load_dword v24, v22, s[0:3], 0 offen offset:8
	buffer_load_dword v25, v22, s[0:3], 0 offen offset:12
	buffer_load_dword v36, v22, s[0:3], 0 offen
	buffer_load_dword v37, v22, s[0:3], 0 offen offset:4
	ds_read_b128 v[32:35], v20
	v_add_u32_e32 v21, 1, v21
	v_cmp_lt_u32_e32 vcc, 4, v21
	v_add_u32_e32 v20, 16, v20
	v_add_u32_e32 v22, 16, v22
	s_or_b64 s[8:9], vcc, s[8:9]
	s_waitcnt vmcnt(2) lgkmcnt(0)
	v_mul_f64 v[38:39], v[34:35], v[24:25]
	v_mul_f64 v[24:25], v[32:33], v[24:25]
	s_waitcnt vmcnt(0)
	v_fma_f64 v[32:33], v[32:33], v[36:37], -v[38:39]
	v_fmac_f64_e32 v[24:25], v[34:35], v[36:37]
	v_add_f64 v[4:5], v[4:5], v[32:33]
	v_add_f64 v[2:3], v[2:3], v[24:25]
	s_andn2_b64 exec, exec, s[8:9]
	s_cbranch_execnz .LBB70_37
; %bb.38:
	s_or_b64 exec, exec, s[8:9]
	v_mov_b32_e32 v20, 0
	ds_read_b128 v[20:23], v20 offset:96
	s_waitcnt lgkmcnt(0)
	v_mul_f64 v[24:25], v[2:3], v[22:23]
	v_mul_f64 v[22:23], v[4:5], v[22:23]
	v_fma_f64 v[4:5], v[4:5], v[20:21], -v[24:25]
	v_fmac_f64_e32 v[22:23], v[2:3], v[20:21]
	buffer_store_dword v5, off, s[0:3], 0 offset:100
	buffer_store_dword v4, off, s[0:3], 0 offset:96
	;; [unrolled: 1-line block ×4, first 2 shown]
.LBB70_39:
	s_or_b64 exec, exec, s[6:7]
	s_mov_b64 s[8:9], -1
	s_waitcnt lgkmcnt(0)
	; wave barrier
.LBB70_40:
	s_and_b64 vcc, exec, s[8:9]
	s_cbranch_vccz .LBB70_42
; %bb.41:
	s_lshl_b64 s[6:7], s[10:11], 2
	s_add_u32 s6, s14, s6
	s_addc_u32 s7, s15, s7
	v_mov_b32_e32 v2, 0
	global_load_dword v2, v2, s[6:7]
	s_waitcnt vmcnt(0)
	v_cmp_ne_u32_e32 vcc, 0, v2
	s_cbranch_vccz .LBB70_43
.LBB70_42:
	s_endpgm
.LBB70_43:
	v_mov_b32_e32 v2, 0x70
	v_lshl_add_u32 v2, v31, 4, v2
	v_cmp_eq_u32_e32 vcc, 6, v31
	s_and_saveexec_b64 s[6:7], vcc
	s_cbranch_execz .LBB70_45
; %bb.44:
	buffer_load_dword v20, v1, s[0:3], 0 offen
	buffer_load_dword v21, v1, s[0:3], 0 offen offset:4
	buffer_load_dword v22, v1, s[0:3], 0 offen offset:8
	;; [unrolled: 1-line block ×3, first 2 shown]
	v_mov_b32_e32 v3, 0
	buffer_store_dword v3, off, s[0:3], 0 offset:80
	buffer_store_dword v3, off, s[0:3], 0 offset:84
	;; [unrolled: 1-line block ×4, first 2 shown]
	s_waitcnt vmcnt(4)
	ds_write_b128 v2, v[20:23]
.LBB70_45:
	s_or_b64 exec, exec, s[6:7]
	s_waitcnt lgkmcnt(0)
	; wave barrier
	s_waitcnt lgkmcnt(0)
	buffer_load_dword v4, off, s[0:3], 0 offset:104
	buffer_load_dword v5, off, s[0:3], 0 offset:108
	;; [unrolled: 1-line block ×8, first 2 shown]
	v_mov_b32_e32 v3, 0
	ds_read_b128 v[20:23], v3 offset:208
	v_cmp_lt_u32_e32 vcc, 4, v31
	s_waitcnt vmcnt(6) lgkmcnt(0)
	v_mul_f64 v[36:37], v[20:21], v[4:5]
	v_mul_f64 v[4:5], v[22:23], v[4:5]
	s_waitcnt vmcnt(4)
	v_fma_f64 v[4:5], v[20:21], v[24:25], -v[4:5]
	v_fmac_f64_e32 v[36:37], v[22:23], v[24:25]
	v_add_f64 v[4:5], v[4:5], 0
	v_add_f64 v[20:21], v[36:37], 0
	s_waitcnt vmcnt(2)
	v_add_f64 v[4:5], v[32:33], -v[4:5]
	s_waitcnt vmcnt(0)
	v_add_f64 v[20:21], v[34:35], -v[20:21]
	buffer_store_dword v4, off, s[0:3], 0 offset:80
	buffer_store_dword v5, off, s[0:3], 0 offset:84
	;; [unrolled: 1-line block ×4, first 2 shown]
	s_and_saveexec_b64 s[6:7], vcc
	s_cbranch_execz .LBB70_47
; %bb.46:
	buffer_load_dword v20, v26, s[0:3], 0 offen
	buffer_load_dword v21, v26, s[0:3], 0 offen offset:4
	buffer_load_dword v22, v26, s[0:3], 0 offen offset:8
	;; [unrolled: 1-line block ×3, first 2 shown]
	s_nop 0
	buffer_store_dword v3, off, s[0:3], 0 offset:64
	buffer_store_dword v3, off, s[0:3], 0 offset:68
	;; [unrolled: 1-line block ×4, first 2 shown]
	s_waitcnt vmcnt(4)
	ds_write_b128 v2, v[20:23]
.LBB70_47:
	s_or_b64 exec, exec, s[6:7]
	s_waitcnt lgkmcnt(0)
	; wave barrier
	s_waitcnt lgkmcnt(0)
	buffer_load_dword v4, off, s[0:3], 0 offset:88
	buffer_load_dword v5, off, s[0:3], 0 offset:92
	;; [unrolled: 1-line block ×12, first 2 shown]
	ds_read_b128 v[20:23], v3 offset:192
	ds_read_b128 v[32:35], v3 offset:208
	v_cmp_lt_u32_e32 vcc, 3, v31
	s_waitcnt vmcnt(10) lgkmcnt(1)
	v_mul_f64 v[44:45], v[20:21], v[4:5]
	v_mul_f64 v[4:5], v[22:23], v[4:5]
	s_waitcnt vmcnt(8) lgkmcnt(0)
	v_mul_f64 v[46:47], v[32:33], v[24:25]
	v_mul_f64 v[24:25], v[34:35], v[24:25]
	s_waitcnt vmcnt(6)
	v_fma_f64 v[4:5], v[20:21], v[36:37], -v[4:5]
	v_fmac_f64_e32 v[44:45], v[22:23], v[36:37]
	s_waitcnt vmcnt(4)
	v_fma_f64 v[20:21], v[32:33], v[38:39], -v[24:25]
	v_add_f64 v[4:5], v[4:5], 0
	v_fmac_f64_e32 v[46:47], v[34:35], v[38:39]
	v_add_f64 v[22:23], v[44:45], 0
	v_add_f64 v[4:5], v[4:5], v[20:21]
	;; [unrolled: 1-line block ×3, first 2 shown]
	s_waitcnt vmcnt(2)
	v_add_f64 v[4:5], v[40:41], -v[4:5]
	s_waitcnt vmcnt(0)
	v_add_f64 v[20:21], v[42:43], -v[22:23]
	buffer_store_dword v4, off, s[0:3], 0 offset:64
	buffer_store_dword v5, off, s[0:3], 0 offset:68
	;; [unrolled: 1-line block ×4, first 2 shown]
	s_and_saveexec_b64 s[6:7], vcc
	s_cbranch_execz .LBB70_49
; %bb.48:
	buffer_load_dword v20, v28, s[0:3], 0 offen
	buffer_load_dword v21, v28, s[0:3], 0 offen offset:4
	buffer_load_dword v22, v28, s[0:3], 0 offen offset:8
	;; [unrolled: 1-line block ×3, first 2 shown]
	v_mov_b32_e32 v3, 0
	buffer_store_dword v3, off, s[0:3], 0 offset:48
	buffer_store_dword v3, off, s[0:3], 0 offset:52
	;; [unrolled: 1-line block ×4, first 2 shown]
	s_waitcnt vmcnt(4)
	ds_write_b128 v2, v[20:23]
.LBB70_49:
	s_or_b64 exec, exec, s[6:7]
	s_waitcnt lgkmcnt(0)
	; wave barrier
	s_waitcnt lgkmcnt(0)
	buffer_load_dword v4, off, s[0:3], 0 offset:72
	buffer_load_dword v5, off, s[0:3], 0 offset:76
	;; [unrolled: 1-line block ×16, first 2 shown]
	v_mov_b32_e32 v3, 0
	ds_read_b128 v[20:23], v3 offset:176
	ds_read_b128 v[32:35], v3 offset:192
	;; [unrolled: 1-line block ×3, first 2 shown]
	v_cmp_lt_u32_e32 vcc, 2, v31
	s_waitcnt vmcnt(14) lgkmcnt(2)
	v_mul_f64 v[52:53], v[20:21], v[4:5]
	v_mul_f64 v[4:5], v[22:23], v[4:5]
	s_waitcnt vmcnt(12) lgkmcnt(1)
	v_mul_f64 v[54:55], v[32:33], v[24:25]
	v_mul_f64 v[24:25], v[34:35], v[24:25]
	;; [unrolled: 3-line block ×3, first 2 shown]
	s_waitcnt vmcnt(8)
	v_fma_f64 v[4:5], v[20:21], v[42:43], -v[4:5]
	v_fmac_f64_e32 v[52:53], v[22:23], v[42:43]
	s_waitcnt vmcnt(6)
	v_fma_f64 v[20:21], v[32:33], v[44:45], -v[24:25]
	v_add_f64 v[4:5], v[4:5], 0
	v_fmac_f64_e32 v[54:55], v[34:35], v[44:45]
	s_waitcnt vmcnt(4)
	v_fma_f64 v[22:23], v[36:37], v[46:47], -v[40:41]
	v_add_f64 v[24:25], v[52:53], 0
	v_add_f64 v[4:5], v[4:5], v[20:21]
	v_fmac_f64_e32 v[56:57], v[38:39], v[46:47]
	v_add_f64 v[24:25], v[24:25], v[54:55]
	v_add_f64 v[4:5], v[4:5], v[22:23]
	;; [unrolled: 1-line block ×3, first 2 shown]
	s_waitcnt vmcnt(2)
	v_add_f64 v[4:5], v[48:49], -v[4:5]
	s_waitcnt vmcnt(0)
	v_add_f64 v[20:21], v[50:51], -v[20:21]
	buffer_store_dword v4, off, s[0:3], 0 offset:48
	buffer_store_dword v5, off, s[0:3], 0 offset:52
	;; [unrolled: 1-line block ×4, first 2 shown]
	s_and_saveexec_b64 s[6:7], vcc
	s_cbranch_execz .LBB70_51
; %bb.50:
	buffer_load_dword v20, v29, s[0:3], 0 offen
	buffer_load_dword v21, v29, s[0:3], 0 offen offset:4
	buffer_load_dword v22, v29, s[0:3], 0 offen offset:8
	;; [unrolled: 1-line block ×3, first 2 shown]
	s_nop 0
	buffer_store_dword v3, off, s[0:3], 0 offset:32
	buffer_store_dword v3, off, s[0:3], 0 offset:36
	;; [unrolled: 1-line block ×4, first 2 shown]
	s_waitcnt vmcnt(4)
	ds_write_b128 v2, v[20:23]
.LBB70_51:
	s_or_b64 exec, exec, s[6:7]
	s_waitcnt lgkmcnt(0)
	; wave barrier
	s_waitcnt lgkmcnt(0)
	buffer_load_dword v4, off, s[0:3], 0 offset:56
	buffer_load_dword v5, off, s[0:3], 0 offset:60
	;; [unrolled: 1-line block ×20, first 2 shown]
	ds_read_b128 v[20:23], v3 offset:160
	ds_read_b128 v[32:35], v3 offset:176
	;; [unrolled: 1-line block ×4, first 2 shown]
	v_cmp_lt_u32_e32 vcc, 1, v31
	s_waitcnt vmcnt(18) lgkmcnt(3)
	v_mul_f64 v[60:61], v[20:21], v[4:5]
	v_mul_f64 v[4:5], v[22:23], v[4:5]
	s_waitcnt vmcnt(16) lgkmcnt(2)
	v_mul_f64 v[62:63], v[32:33], v[24:25]
	v_mul_f64 v[24:25], v[34:35], v[24:25]
	;; [unrolled: 3-line block ×4, first 2 shown]
	s_waitcnt vmcnt(10)
	v_fma_f64 v[4:5], v[20:21], v[48:49], -v[4:5]
	v_fmac_f64_e32 v[60:61], v[22:23], v[48:49]
	s_waitcnt vmcnt(8)
	v_fma_f64 v[20:21], v[32:33], v[50:51], -v[24:25]
	v_add_f64 v[4:5], v[4:5], 0
	v_fmac_f64_e32 v[62:63], v[34:35], v[50:51]
	s_waitcnt vmcnt(6)
	v_fma_f64 v[22:23], v[36:37], v[52:53], -v[44:45]
	v_add_f64 v[32:33], v[60:61], 0
	v_add_f64 v[4:5], v[4:5], v[20:21]
	v_fmac_f64_e32 v[64:65], v[38:39], v[52:53]
	s_waitcnt vmcnt(4)
	v_fma_f64 v[24:25], v[40:41], v[54:55], -v[46:47]
	v_add_f64 v[32:33], v[32:33], v[62:63]
	v_add_f64 v[4:5], v[4:5], v[22:23]
	v_fmac_f64_e32 v[66:67], v[42:43], v[54:55]
	v_add_f64 v[20:21], v[32:33], v[64:65]
	v_add_f64 v[4:5], v[4:5], v[24:25]
	;; [unrolled: 1-line block ×3, first 2 shown]
	s_waitcnt vmcnt(2)
	v_add_f64 v[4:5], v[56:57], -v[4:5]
	s_waitcnt vmcnt(0)
	v_add_f64 v[20:21], v[58:59], -v[20:21]
	buffer_store_dword v4, off, s[0:3], 0 offset:32
	buffer_store_dword v5, off, s[0:3], 0 offset:36
	;; [unrolled: 1-line block ×4, first 2 shown]
	s_and_saveexec_b64 s[6:7], vcc
	s_cbranch_execz .LBB70_53
; %bb.52:
	buffer_load_dword v20, v27, s[0:3], 0 offen
	buffer_load_dword v21, v27, s[0:3], 0 offen offset:4
	buffer_load_dword v22, v27, s[0:3], 0 offen offset:8
	;; [unrolled: 1-line block ×3, first 2 shown]
	v_mov_b32_e32 v3, 0
	buffer_store_dword v3, off, s[0:3], 0 offset:16
	buffer_store_dword v3, off, s[0:3], 0 offset:20
	;; [unrolled: 1-line block ×4, first 2 shown]
	s_waitcnt vmcnt(4)
	ds_write_b128 v2, v[20:23]
.LBB70_53:
	s_or_b64 exec, exec, s[6:7]
	s_waitcnt lgkmcnt(0)
	; wave barrier
	s_waitcnt lgkmcnt(0)
	buffer_load_dword v4, off, s[0:3], 0 offset:40
	buffer_load_dword v5, off, s[0:3], 0 offset:44
	buffer_load_dword v24, off, s[0:3], 0 offset:56
	buffer_load_dword v25, off, s[0:3], 0 offset:60
	buffer_load_dword v48, off, s[0:3], 0 offset:72
	buffer_load_dword v49, off, s[0:3], 0 offset:76
	buffer_load_dword v50, off, s[0:3], 0 offset:104
	buffer_load_dword v52, off, s[0:3], 0 offset:96
	buffer_load_dword v55, off, s[0:3], 0 offset:92
	buffer_load_dword v54, off, s[0:3], 0 offset:88
	buffer_load_dword v51, off, s[0:3], 0 offset:108
	buffer_load_dword v56, off, s[0:3], 0 offset:32
	buffer_load_dword v57, off, s[0:3], 0 offset:36
	buffer_load_dword v58, off, s[0:3], 0 offset:48
	buffer_load_dword v59, off, s[0:3], 0 offset:52
	buffer_load_dword v60, off, s[0:3], 0 offset:64
	buffer_load_dword v61, off, s[0:3], 0 offset:68
	buffer_load_dword v63, off, s[0:3], 0 offset:84
	buffer_load_dword v62, off, s[0:3], 0 offset:80
	buffer_load_dword v53, off, s[0:3], 0 offset:100
	buffer_load_dword v64, off, s[0:3], 0 offset:16
	buffer_load_dword v65, off, s[0:3], 0 offset:20
	buffer_load_dword v66, off, s[0:3], 0 offset:24
	buffer_load_dword v67, off, s[0:3], 0 offset:28
	v_mov_b32_e32 v3, 0
	ds_read_b128 v[20:23], v3 offset:144
	ds_read_b128 v[32:35], v3 offset:160
	;; [unrolled: 1-line block ×5, first 2 shown]
	v_cmp_ne_u32_e32 vcc, 0, v31
	s_waitcnt vmcnt(22) lgkmcnt(4)
	v_mul_f64 v[68:69], v[20:21], v[4:5]
	v_mul_f64 v[4:5], v[22:23], v[4:5]
	s_waitcnt vmcnt(20) lgkmcnt(3)
	v_mul_f64 v[70:71], v[32:33], v[24:25]
	v_mul_f64 v[24:25], v[34:35], v[24:25]
	;; [unrolled: 3-line block ×4, first 2 shown]
	s_waitcnt vmcnt(13) lgkmcnt(0)
	v_mul_f64 v[76:77], v[44:45], v[50:51]
	s_waitcnt vmcnt(11)
	v_fma_f64 v[4:5], v[20:21], v[56:57], -v[4:5]
	v_fmac_f64_e32 v[68:69], v[22:23], v[56:57]
	s_waitcnt vmcnt(9)
	v_fma_f64 v[20:21], v[32:33], v[58:59], -v[24:25]
	v_add_f64 v[4:5], v[4:5], 0
	v_fmac_f64_e32 v[70:71], v[34:35], v[58:59]
	s_waitcnt vmcnt(7)
	v_fma_f64 v[22:23], v[36:37], v[60:61], -v[48:49]
	v_add_f64 v[34:35], v[68:69], 0
	v_add_f64 v[4:5], v[4:5], v[20:21]
	v_mul_f64 v[50:51], v[46:47], v[50:51]
	v_fmac_f64_e32 v[72:73], v[38:39], v[60:61]
	s_waitcnt vmcnt(5)
	v_fma_f64 v[24:25], v[40:41], v[62:63], -v[54:55]
	v_add_f64 v[34:35], v[34:35], v[70:71]
	v_add_f64 v[4:5], v[4:5], v[22:23]
	v_fmac_f64_e32 v[74:75], v[42:43], v[62:63]
	s_waitcnt vmcnt(4)
	v_fma_f64 v[32:33], v[44:45], v[52:53], -v[50:51]
	v_add_f64 v[20:21], v[34:35], v[72:73]
	v_add_f64 v[4:5], v[4:5], v[24:25]
	v_fmac_f64_e32 v[76:77], v[46:47], v[52:53]
	v_add_f64 v[20:21], v[20:21], v[74:75]
	v_add_f64 v[4:5], v[4:5], v[32:33]
	;; [unrolled: 1-line block ×3, first 2 shown]
	s_waitcnt vmcnt(2)
	v_add_f64 v[4:5], v[64:65], -v[4:5]
	s_waitcnt vmcnt(0)
	v_add_f64 v[20:21], v[66:67], -v[20:21]
	buffer_store_dword v5, off, s[0:3], 0 offset:20
	buffer_store_dword v4, off, s[0:3], 0 offset:16
	;; [unrolled: 1-line block ×4, first 2 shown]
	s_and_saveexec_b64 s[6:7], vcc
	s_cbranch_execz .LBB70_55
; %bb.54:
	buffer_load_dword v20, off, s[0:3], 0
	buffer_load_dword v21, off, s[0:3], 0 offset:4
	buffer_load_dword v22, off, s[0:3], 0 offset:8
	;; [unrolled: 1-line block ×3, first 2 shown]
	s_nop 0
	buffer_store_dword v3, off, s[0:3], 0
	buffer_store_dword v3, off, s[0:3], 0 offset:4
	buffer_store_dword v3, off, s[0:3], 0 offset:8
	buffer_store_dword v3, off, s[0:3], 0 offset:12
	s_waitcnt vmcnt(4)
	ds_write_b128 v2, v[20:23]
.LBB70_55:
	s_or_b64 exec, exec, s[6:7]
	s_waitcnt lgkmcnt(0)
	; wave barrier
	s_waitcnt lgkmcnt(0)
	buffer_load_dword v24, off, s[0:3], 0 offset:24
	buffer_load_dword v25, off, s[0:3], 0 offset:28
	;; [unrolled: 1-line block ×24, first 2 shown]
	buffer_load_dword v70, off, s[0:3], 0
	buffer_load_dword v71, off, s[0:3], 0 offset:4
	buffer_load_dword v72, off, s[0:3], 0 offset:8
	;; [unrolled: 1-line block ×3, first 2 shown]
	ds_read_b128 v[20:23], v3 offset:128
	ds_read_b128 v[32:35], v3 offset:144
	ds_read_b128 v[36:39], v3 offset:160
	ds_read_b128 v[40:43], v3 offset:176
	ds_read_b128 v[44:47], v3 offset:192
	ds_read_b128 v[2:5], v3 offset:208
	s_and_b64 vcc, exec, s[18:19]
	s_waitcnt vmcnt(26) lgkmcnt(5)
	v_mul_f64 v[74:75], v[20:21], v[24:25]
	v_mul_f64 v[24:25], v[22:23], v[24:25]
	s_waitcnt vmcnt(24) lgkmcnt(4)
	v_mul_f64 v[76:77], v[32:33], v[48:49]
	v_mul_f64 v[48:49], v[34:35], v[48:49]
	;; [unrolled: 3-line block ×4, first 2 shown]
	s_waitcnt vmcnt(17)
	v_mul_f64 v[80:81], v[40:41], v[56:57]
	v_mul_f64 v[56:57], v[42:43], v[56:57]
	s_waitcnt vmcnt(15) lgkmcnt(0)
	v_mul_f64 v[84:85], v[2:3], v[58:59]
	v_mul_f64 v[58:59], v[4:5], v[58:59]
	s_waitcnt vmcnt(14)
	v_fmac_f64_e32 v[82:83], v[46:47], v[54:55]
	s_waitcnt vmcnt(12)
	v_fmac_f64_e32 v[74:75], v[22:23], v[60:61]
	;; [unrolled: 2-line block ×3, first 2 shown]
	v_add_f64 v[34:35], v[74:75], 0
	s_waitcnt vmcnt(8)
	v_fma_f64 v[22:23], v[36:37], v[64:65], -v[50:51]
	v_fmac_f64_e32 v[78:79], v[38:39], v[64:65]
	v_add_f64 v[34:35], v[34:35], v[76:77]
	s_waitcnt vmcnt(6)
	v_fmac_f64_e32 v[80:81], v[42:43], v[66:67]
	s_waitcnt vmcnt(4)
	v_fmac_f64_e32 v[84:85], v[4:5], v[68:69]
	v_fma_f64 v[4:5], v[20:21], v[60:61], -v[24:25]
	v_fma_f64 v[20:21], v[32:33], v[62:63], -v[48:49]
	v_add_f64 v[4:5], v[4:5], 0
	v_add_f64 v[4:5], v[4:5], v[20:21]
	v_fma_f64 v[24:25], v[40:41], v[66:67], -v[56:57]
	v_add_f64 v[4:5], v[4:5], v[22:23]
	v_fma_f64 v[32:33], v[44:45], v[54:55], -v[52:53]
	v_add_f64 v[20:21], v[34:35], v[78:79]
	v_add_f64 v[4:5], v[4:5], v[24:25]
	v_fma_f64 v[2:3], v[2:3], v[68:69], -v[58:59]
	v_add_f64 v[20:21], v[20:21], v[80:81]
	v_add_f64 v[4:5], v[4:5], v[32:33]
	v_add_f64 v[20:21], v[20:21], v[82:83]
	v_add_f64 v[2:3], v[4:5], v[2:3]
	v_add_f64 v[20:21], v[20:21], v[84:85]
	s_waitcnt vmcnt(2)
	v_add_f64 v[2:3], v[70:71], -v[2:3]
	s_waitcnt vmcnt(0)
	v_add_f64 v[4:5], v[72:73], -v[20:21]
	buffer_store_dword v3, off, s[0:3], 0 offset:4
	buffer_store_dword v2, off, s[0:3], 0
	buffer_store_dword v5, off, s[0:3], 0 offset:12
	buffer_store_dword v4, off, s[0:3], 0 offset:8
	s_cbranch_vccz .LBB70_69
; %bb.56:
	v_pk_mov_b32 v[2:3], s[16:17], s[16:17] op_sel:[0,1]
	flat_load_dword v2, v[2:3] offset:20
	s_load_dwordx2 s[4:5], s[4:5], 0x4
	v_bfe_u32 v4, v0, 10, 10
	v_bfe_u32 v0, v0, 20, 10
	s_waitcnt lgkmcnt(0)
	s_lshr_b32 s4, s4, 16
	s_mul_i32 s4, s4, s5
	v_mul_u32_u24_e32 v3, s4, v31
	v_mul_u32_u24_e32 v4, s5, v4
	v_add3_u32 v0, v3, v4, v0
	v_mov_b32_e32 v3, 0xe8
	v_lshl_add_u32 v0, v0, 4, v3
	s_waitcnt vmcnt(0)
	v_add_u32_e32 v2, -1, v2
	v_cmp_ne_u32_e32 vcc, 5, v2
	s_and_saveexec_b64 s[4:5], vcc
	s_cbranch_execz .LBB70_58
; %bb.57:
	v_mov_b32_e32 v3, 0
	v_lshl_add_u32 v20, v2, 4, v3
	buffer_load_dword v2, v1, s[0:3], 0 offen
	buffer_load_dword v3, v1, s[0:3], 0 offen offset:4
	buffer_load_dword v4, v1, s[0:3], 0 offen offset:8
	buffer_load_dword v5, v1, s[0:3], 0 offen offset:12
	buffer_load_dword v21, v20, s[0:3], 0 offen
	buffer_load_dword v22, v20, s[0:3], 0 offen offset:4
	buffer_load_dword v23, v20, s[0:3], 0 offen offset:8
	buffer_load_dword v24, v20, s[0:3], 0 offen offset:12
	s_waitcnt vmcnt(4)
	ds_write2_b64 v0, v[2:3], v[4:5] offset1:1
	s_waitcnt vmcnt(3)
	buffer_store_dword v21, v1, s[0:3], 0 offen
	s_waitcnt vmcnt(3)
	buffer_store_dword v22, v1, s[0:3], 0 offen offset:4
	s_waitcnt vmcnt(3)
	buffer_store_dword v23, v1, s[0:3], 0 offen offset:8
	s_waitcnt vmcnt(3)
	buffer_store_dword v24, v1, s[0:3], 0 offen offset:12
	buffer_store_dword v5, v20, s[0:3], 0 offen offset:12
	buffer_store_dword v4, v20, s[0:3], 0 offen offset:8
	buffer_store_dword v3, v20, s[0:3], 0 offen offset:4
	buffer_store_dword v2, v20, s[0:3], 0 offen
.LBB70_58:
	s_or_b64 exec, exec, s[4:5]
	v_pk_mov_b32 v[2:3], s[16:17], s[16:17] op_sel:[0,1]
	flat_load_dword v2, v[2:3] offset:16
	s_waitcnt vmcnt(0) lgkmcnt(0)
	v_add_u32_e32 v2, -1, v2
	v_cmp_ne_u32_e32 vcc, 4, v2
	s_and_saveexec_b64 s[4:5], vcc
	s_cbranch_execz .LBB70_60
; %bb.59:
	v_mov_b32_e32 v3, 0
	v_lshl_add_u32 v20, v2, 4, v3
	buffer_load_dword v2, v26, s[0:3], 0 offen
	buffer_load_dword v3, v26, s[0:3], 0 offen offset:4
	buffer_load_dword v4, v26, s[0:3], 0 offen offset:8
	buffer_load_dword v5, v26, s[0:3], 0 offen offset:12
	buffer_load_dword v21, v20, s[0:3], 0 offen
	buffer_load_dword v22, v20, s[0:3], 0 offen offset:4
	buffer_load_dword v23, v20, s[0:3], 0 offen offset:8
	buffer_load_dword v24, v20, s[0:3], 0 offen offset:12
	s_waitcnt vmcnt(4)
	ds_write2_b64 v0, v[2:3], v[4:5] offset1:1
	s_waitcnt vmcnt(3)
	buffer_store_dword v21, v26, s[0:3], 0 offen
	s_waitcnt vmcnt(3)
	buffer_store_dword v22, v26, s[0:3], 0 offen offset:4
	s_waitcnt vmcnt(3)
	buffer_store_dword v23, v26, s[0:3], 0 offen offset:8
	s_waitcnt vmcnt(3)
	buffer_store_dword v24, v26, s[0:3], 0 offen offset:12
	buffer_store_dword v5, v20, s[0:3], 0 offen offset:12
	buffer_store_dword v4, v20, s[0:3], 0 offen offset:8
	buffer_store_dword v3, v20, s[0:3], 0 offen offset:4
	buffer_store_dword v2, v20, s[0:3], 0 offen
.LBB70_60:
	s_or_b64 exec, exec, s[4:5]
	v_pk_mov_b32 v[2:3], s[16:17], s[16:17] op_sel:[0,1]
	flat_load_dword v2, v[2:3] offset:12
	s_waitcnt vmcnt(0) lgkmcnt(0)
	;; [unrolled: 34-line block ×4, first 2 shown]
	v_add_u32_e32 v2, -1, v2
	v_cmp_ne_u32_e32 vcc, 1, v2
	s_and_saveexec_b64 s[4:5], vcc
	s_cbranch_execz .LBB70_66
; %bb.65:
	v_mov_b32_e32 v3, 0
	v_lshl_add_u32 v20, v2, 4, v3
	buffer_load_dword v2, v27, s[0:3], 0 offen
	buffer_load_dword v3, v27, s[0:3], 0 offen offset:4
	buffer_load_dword v4, v27, s[0:3], 0 offen offset:8
	;; [unrolled: 1-line block ×3, first 2 shown]
	buffer_load_dword v21, v20, s[0:3], 0 offen
	buffer_load_dword v22, v20, s[0:3], 0 offen offset:4
	buffer_load_dword v23, v20, s[0:3], 0 offen offset:8
	;; [unrolled: 1-line block ×3, first 2 shown]
	s_waitcnt vmcnt(4)
	ds_write2_b64 v0, v[2:3], v[4:5] offset1:1
	s_waitcnt vmcnt(3)
	buffer_store_dword v21, v27, s[0:3], 0 offen
	s_waitcnt vmcnt(3)
	buffer_store_dword v22, v27, s[0:3], 0 offen offset:4
	s_waitcnt vmcnt(3)
	buffer_store_dword v23, v27, s[0:3], 0 offen offset:8
	s_waitcnt vmcnt(3)
	buffer_store_dword v24, v27, s[0:3], 0 offen offset:12
	buffer_store_dword v5, v20, s[0:3], 0 offen offset:12
	buffer_store_dword v4, v20, s[0:3], 0 offen offset:8
	buffer_store_dword v3, v20, s[0:3], 0 offen offset:4
	buffer_store_dword v2, v20, s[0:3], 0 offen
.LBB70_66:
	s_or_b64 exec, exec, s[4:5]
	v_pk_mov_b32 v[2:3], s[16:17], s[16:17] op_sel:[0,1]
	flat_load_dword v2, v[2:3]
	s_waitcnt vmcnt(0) lgkmcnt(0)
	v_add_u32_e32 v2, -1, v2
	v_cmp_ne_u32_e32 vcc, 0, v2
	s_and_saveexec_b64 s[4:5], vcc
	s_cbranch_execz .LBB70_68
; %bb.67:
	v_mov_b32_e32 v3, 0
	v_lshl_add_u32 v20, v2, 4, v3
	buffer_load_dword v2, off, s[0:3], 0
	buffer_load_dword v3, off, s[0:3], 0 offset:4
	buffer_load_dword v4, off, s[0:3], 0 offset:8
	;; [unrolled: 1-line block ×3, first 2 shown]
	buffer_load_dword v21, v20, s[0:3], 0 offen
	buffer_load_dword v22, v20, s[0:3], 0 offen offset:4
	buffer_load_dword v23, v20, s[0:3], 0 offen offset:8
	;; [unrolled: 1-line block ×3, first 2 shown]
	s_waitcnt vmcnt(4)
	ds_write2_b64 v0, v[2:3], v[4:5] offset1:1
	s_waitcnt vmcnt(3)
	buffer_store_dword v21, off, s[0:3], 0
	s_waitcnt vmcnt(3)
	buffer_store_dword v22, off, s[0:3], 0 offset:4
	s_waitcnt vmcnt(3)
	buffer_store_dword v23, off, s[0:3], 0 offset:8
	;; [unrolled: 2-line block ×3, first 2 shown]
	buffer_store_dword v5, v20, s[0:3], 0 offen offset:12
	buffer_store_dword v4, v20, s[0:3], 0 offen offset:8
	;; [unrolled: 1-line block ×3, first 2 shown]
	buffer_store_dword v2, v20, s[0:3], 0 offen
.LBB70_68:
	s_or_b64 exec, exec, s[4:5]
.LBB70_69:
	buffer_load_dword v2, off, s[0:3], 0
	buffer_load_dword v3, off, s[0:3], 0 offset:4
	buffer_load_dword v4, off, s[0:3], 0 offset:8
	buffer_load_dword v5, off, s[0:3], 0 offset:12
	buffer_load_dword v20, v27, s[0:3], 0 offen
	buffer_load_dword v21, v27, s[0:3], 0 offen offset:4
	buffer_load_dword v22, v27, s[0:3], 0 offen offset:8
	;; [unrolled: 1-line block ×6, first 2 shown]
	buffer_load_dword v36, v28, s[0:3], 0 offen
	buffer_load_dword v37, v28, s[0:3], 0 offen offset:4
	buffer_load_dword v38, v28, s[0:3], 0 offen offset:8
	buffer_load_dword v32, v29, s[0:3], 0 offen
	buffer_load_dword v39, v28, s[0:3], 0 offen offset:12
	buffer_load_dword v41, v26, s[0:3], 0 offen offset:4
	buffer_load_dword v42, v26, s[0:3], 0 offen offset:8
	buffer_load_dword v43, v26, s[0:3], 0 offen offset:12
                                        ; kill: killed $vgpr29
                                        ; kill: killed $vgpr27
                                        ; kill: killed $vgpr28
	buffer_load_dword v44, v1, s[0:3], 0 offen
	buffer_load_dword v45, v1, s[0:3], 0 offen offset:4
	buffer_load_dword v46, v1, s[0:3], 0 offen offset:8
	buffer_load_dword v40, v26, s[0:3], 0 offen
	buffer_load_dword v47, v1, s[0:3], 0 offen offset:12
	buffer_load_dword v48, v30, s[0:3], 0 offen
	buffer_load_dword v49, v30, s[0:3], 0 offen offset:4
	buffer_load_dword v50, v30, s[0:3], 0 offen offset:8
	;; [unrolled: 1-line block ×3, first 2 shown]
	s_waitcnt vmcnt(24)
	global_store_dwordx4 v[6:7], v[2:5], off
	s_waitcnt vmcnt(21)
	global_store_dwordx4 v[8:9], v[20:23], off
	;; [unrolled: 2-line block ×7, first 2 shown]
	s_endpgm
	.section	.rodata,"a",@progbits
	.p2align	6, 0x0
	.amdhsa_kernel _ZN9rocsolver6v33100L18getri_kernel_smallILi7E19rocblas_complex_numIdEPKPS3_EEvT1_iilPiilS8_bb
		.amdhsa_group_segment_fixed_size 1256
		.amdhsa_private_segment_fixed_size 128
		.amdhsa_kernarg_size 60
		.amdhsa_user_sgpr_count 10
		.amdhsa_user_sgpr_private_segment_buffer 1
		.amdhsa_user_sgpr_dispatch_ptr 1
		.amdhsa_user_sgpr_queue_ptr 0
		.amdhsa_user_sgpr_kernarg_segment_ptr 1
		.amdhsa_user_sgpr_dispatch_id 0
		.amdhsa_user_sgpr_flat_scratch_init 1
		.amdhsa_user_sgpr_kernarg_preload_length 0
		.amdhsa_user_sgpr_kernarg_preload_offset 0
		.amdhsa_user_sgpr_private_segment_size 0
		.amdhsa_uses_dynamic_stack 0
		.amdhsa_system_sgpr_private_segment_wavefront_offset 1
		.amdhsa_system_sgpr_workgroup_id_x 1
		.amdhsa_system_sgpr_workgroup_id_y 0
		.amdhsa_system_sgpr_workgroup_id_z 0
		.amdhsa_system_sgpr_workgroup_info 0
		.amdhsa_system_vgpr_workitem_id 2
		.amdhsa_next_free_vgpr 86
		.amdhsa_next_free_sgpr 24
		.amdhsa_accum_offset 88
		.amdhsa_reserve_vcc 1
		.amdhsa_reserve_flat_scratch 1
		.amdhsa_float_round_mode_32 0
		.amdhsa_float_round_mode_16_64 0
		.amdhsa_float_denorm_mode_32 3
		.amdhsa_float_denorm_mode_16_64 3
		.amdhsa_dx10_clamp 1
		.amdhsa_ieee_mode 1
		.amdhsa_fp16_overflow 0
		.amdhsa_tg_split 0
		.amdhsa_exception_fp_ieee_invalid_op 0
		.amdhsa_exception_fp_denorm_src 0
		.amdhsa_exception_fp_ieee_div_zero 0
		.amdhsa_exception_fp_ieee_overflow 0
		.amdhsa_exception_fp_ieee_underflow 0
		.amdhsa_exception_fp_ieee_inexact 0
		.amdhsa_exception_int_div_zero 0
	.end_amdhsa_kernel
	.section	.text._ZN9rocsolver6v33100L18getri_kernel_smallILi7E19rocblas_complex_numIdEPKPS3_EEvT1_iilPiilS8_bb,"axG",@progbits,_ZN9rocsolver6v33100L18getri_kernel_smallILi7E19rocblas_complex_numIdEPKPS3_EEvT1_iilPiilS8_bb,comdat
.Lfunc_end70:
	.size	_ZN9rocsolver6v33100L18getri_kernel_smallILi7E19rocblas_complex_numIdEPKPS3_EEvT1_iilPiilS8_bb, .Lfunc_end70-_ZN9rocsolver6v33100L18getri_kernel_smallILi7E19rocblas_complex_numIdEPKPS3_EEvT1_iilPiilS8_bb
                                        ; -- End function
	.section	.AMDGPU.csdata,"",@progbits
; Kernel info:
; codeLenInByte = 8188
; NumSgprs: 30
; NumVgprs: 86
; NumAgprs: 0
; TotalNumVgprs: 86
; ScratchSize: 128
; MemoryBound: 0
; FloatMode: 240
; IeeeMode: 1
; LDSByteSize: 1256 bytes/workgroup (compile time only)
; SGPRBlocks: 3
; VGPRBlocks: 10
; NumSGPRsForWavesPerEU: 30
; NumVGPRsForWavesPerEU: 86
; AccumOffset: 88
; Occupancy: 5
; WaveLimiterHint : 1
; COMPUTE_PGM_RSRC2:SCRATCH_EN: 1
; COMPUTE_PGM_RSRC2:USER_SGPR: 10
; COMPUTE_PGM_RSRC2:TRAP_HANDLER: 0
; COMPUTE_PGM_RSRC2:TGID_X_EN: 1
; COMPUTE_PGM_RSRC2:TGID_Y_EN: 0
; COMPUTE_PGM_RSRC2:TGID_Z_EN: 0
; COMPUTE_PGM_RSRC2:TIDIG_COMP_CNT: 2
; COMPUTE_PGM_RSRC3_GFX90A:ACCUM_OFFSET: 21
; COMPUTE_PGM_RSRC3_GFX90A:TG_SPLIT: 0
	.section	.text._ZN9rocsolver6v33100L18getri_kernel_smallILi8E19rocblas_complex_numIdEPKPS3_EEvT1_iilPiilS8_bb,"axG",@progbits,_ZN9rocsolver6v33100L18getri_kernel_smallILi8E19rocblas_complex_numIdEPKPS3_EEvT1_iilPiilS8_bb,comdat
	.globl	_ZN9rocsolver6v33100L18getri_kernel_smallILi8E19rocblas_complex_numIdEPKPS3_EEvT1_iilPiilS8_bb ; -- Begin function _ZN9rocsolver6v33100L18getri_kernel_smallILi8E19rocblas_complex_numIdEPKPS3_EEvT1_iilPiilS8_bb
	.p2align	8
	.type	_ZN9rocsolver6v33100L18getri_kernel_smallILi8E19rocblas_complex_numIdEPKPS3_EEvT1_iilPiilS8_bb,@function
_ZN9rocsolver6v33100L18getri_kernel_smallILi8E19rocblas_complex_numIdEPKPS3_EEvT1_iilPiilS8_bb: ; @_ZN9rocsolver6v33100L18getri_kernel_smallILi8E19rocblas_complex_numIdEPKPS3_EEvT1_iilPiilS8_bb
; %bb.0:
	s_add_u32 flat_scratch_lo, s8, s11
	s_addc_u32 flat_scratch_hi, s9, 0
	s_add_u32 s0, s0, s11
	v_and_b32_e32 v34, 0x3ff, v0
	s_addc_u32 s1, s1, 0
	v_cmp_gt_u32_e32 vcc, 8, v34
	s_and_saveexec_b64 s[8:9], vcc
	s_cbranch_execz .LBB71_46
; %bb.1:
	s_load_dword s20, s[6:7], 0x38
	s_load_dwordx2 s[8:9], s[6:7], 0x0
	s_load_dwordx4 s[12:15], s[6:7], 0x28
	s_waitcnt lgkmcnt(0)
	s_bitcmp1_b32 s20, 8
	s_cselect_b64 s[18:19], -1, 0
	s_ashr_i32 s11, s10, 31
	s_lshl_b64 s[16:17], s[10:11], 3
	s_add_u32 s8, s8, s16
	s_addc_u32 s9, s9, s17
	s_load_dwordx2 s[8:9], s[8:9], 0x0
	s_bfe_u32 s16, s20, 0x10008
	s_cmp_eq_u32 s16, 0
                                        ; implicit-def: $sgpr16_sgpr17
	s_cbranch_scc1 .LBB71_3
; %bb.2:
	s_load_dword s16, s[6:7], 0x20
	s_load_dwordx2 s[22:23], s[6:7], 0x18
	s_mul_i32 s13, s10, s13
	s_mul_hi_u32 s17, s10, s12
	s_add_i32 s13, s17, s13
	s_mul_i32 s21, s11, s12
	s_add_i32 s13, s13, s21
	s_mul_i32 s12, s10, s12
	s_waitcnt lgkmcnt(0)
	s_ashr_i32 s17, s16, 31
	s_lshl_b64 s[12:13], s[12:13], 2
	s_add_u32 s21, s22, s12
	s_addc_u32 s22, s23, s13
	s_lshl_b64 s[12:13], s[16:17], 2
	s_add_u32 s16, s21, s12
	s_addc_u32 s17, s22, s13
.LBB71_3:
	s_load_dwordx2 s[6:7], s[6:7], 0x8
	v_lshlrev_b32_e32 v35, 4, v34
	v_mov_b32_e32 v30, 0
	v_add_u32_e32 v32, 16, v30
	v_add_u32_e32 v31, 32, v30
	s_waitcnt lgkmcnt(0)
	s_ashr_i32 s13, s6, 31
	s_mov_b32 s12, s6
	s_lshl_b64 s[12:13], s[12:13], 4
	s_add_u32 s8, s8, s12
	s_addc_u32 s9, s9, s13
	v_mov_b32_e32 v1, s9
	v_add_co_u32_e32 v6, vcc, s8, v35
	s_ashr_i32 s13, s7, 31
	s_mov_b32 s12, s7
	s_add_i32 s6, s7, s7
	v_addc_co_u32_e32 v7, vcc, 0, v1, vcc
	s_lshl_b64 s[12:13], s[12:13], 4
	v_add_u32_e32 v12, s6, v34
	v_mov_b32_e32 v1, s13
	v_add_co_u32_e32 v8, vcc, s12, v6
	v_ashrrev_i32_e32 v13, 31, v12
	v_addc_co_u32_e32 v9, vcc, v7, v1, vcc
	v_lshlrev_b64 v[10:11], 4, v[12:13]
	v_add_u32_e32 v14, s7, v12
	v_mov_b32_e32 v1, s9
	v_add_co_u32_e32 v10, vcc, s8, v10
	v_ashrrev_i32_e32 v15, 31, v14
	v_addc_co_u32_e32 v11, vcc, v1, v11, vcc
	v_lshlrev_b64 v[12:13], 4, v[14:15]
	v_add_u32_e32 v16, s7, v14
	v_add_co_u32_e32 v12, vcc, s8, v12
	v_ashrrev_i32_e32 v17, 31, v16
	v_addc_co_u32_e32 v13, vcc, v1, v13, vcc
	v_lshlrev_b64 v[14:15], 4, v[16:17]
	v_add_u32_e32 v18, s7, v16
	v_add_co_u32_e32 v14, vcc, s8, v14
	v_ashrrev_i32_e32 v19, 31, v18
	v_addc_co_u32_e32 v15, vcc, v1, v15, vcc
	v_lshlrev_b64 v[16:17], 4, v[18:19]
	v_add_u32_e32 v20, s7, v18
	v_add_co_u32_e32 v16, vcc, s8, v16
	v_ashrrev_i32_e32 v21, 31, v20
	v_addc_co_u32_e32 v17, vcc, v1, v17, vcc
	v_lshlrev_b64 v[18:19], 4, v[20:21]
	v_add_u32_e32 v20, s7, v20
	v_add_co_u32_e32 v18, vcc, s8, v18
	v_ashrrev_i32_e32 v21, 31, v20
	v_addc_co_u32_e32 v19, vcc, v1, v19, vcc
	v_lshlrev_b64 v[20:21], 4, v[20:21]
	v_add_co_u32_e32 v20, vcc, s8, v20
	global_load_dwordx4 v[2:5], v35, s[8:9]
	global_load_dwordx4 v[22:25], v[8:9], off
	global_load_dwordx4 v[26:29], v[10:11], off
	v_addc_co_u32_e32 v21, vcc, v1, v21, vcc
	global_load_dwordx4 v[36:39], v[12:13], off
	global_load_dwordx4 v[40:43], v[14:15], off
	;; [unrolled: 1-line block ×5, first 2 shown]
	v_add_u32_e32 v33, 48, v30
	v_add_u32_e32 v1, 64, v30
	s_bitcmp0_b32 s20, 0
	s_mov_b64 s[8:9], -1
	s_waitcnt vmcnt(7)
	buffer_store_dword v5, off, s[0:3], 0 offset:12
	buffer_store_dword v4, off, s[0:3], 0 offset:8
	;; [unrolled: 1-line block ×3, first 2 shown]
	buffer_store_dword v2, off, s[0:3], 0
	s_waitcnt vmcnt(10)
	buffer_store_dword v25, off, s[0:3], 0 offset:28
	buffer_store_dword v24, off, s[0:3], 0 offset:24
	buffer_store_dword v23, off, s[0:3], 0 offset:20
	buffer_store_dword v22, off, s[0:3], 0 offset:16
	s_waitcnt vmcnt(13)
	buffer_store_dword v29, off, s[0:3], 0 offset:44
	buffer_store_dword v28, off, s[0:3], 0 offset:40
	buffer_store_dword v27, off, s[0:3], 0 offset:36
	buffer_store_dword v26, off, s[0:3], 0 offset:32
	;; [unrolled: 5-line block ×3, first 2 shown]
	v_add_u32_e32 v28, 0x50, v30
	v_add_u32_e32 v29, 0x60, v30
	v_add_u32_e32 v30, 0x70, v30
	s_waitcnt vmcnt(19)
	buffer_store_dword v43, off, s[0:3], 0 offset:76
	buffer_store_dword v42, off, s[0:3], 0 offset:72
	buffer_store_dword v41, off, s[0:3], 0 offset:68
	buffer_store_dword v40, off, s[0:3], 0 offset:64
	s_waitcnt vmcnt(22)
	buffer_store_dword v47, off, s[0:3], 0 offset:92
	buffer_store_dword v46, off, s[0:3], 0 offset:88
	buffer_store_dword v45, off, s[0:3], 0 offset:84
	buffer_store_dword v44, off, s[0:3], 0 offset:80
	;; [unrolled: 5-line block ×4, first 2 shown]
	s_cbranch_scc1 .LBB71_44
; %bb.4:
	v_cmp_eq_u32_e64 s[6:7], 0, v34
	s_and_saveexec_b64 s[8:9], s[6:7]
	s_cbranch_execz .LBB71_6
; %bb.5:
	v_mov_b32_e32 v2, 0
	ds_write_b32 v2, v2 offset:256
.LBB71_6:
	s_or_b64 exec, exec, s[8:9]
	v_mov_b32_e32 v2, 0
	v_lshl_add_u32 v36, v34, 4, v2
	s_waitcnt lgkmcnt(0)
	; wave barrier
	s_waitcnt lgkmcnt(0)
	buffer_load_dword v2, v36, s[0:3], 0 offen
	buffer_load_dword v3, v36, s[0:3], 0 offen offset:4
	buffer_load_dword v4, v36, s[0:3], 0 offen offset:8
	;; [unrolled: 1-line block ×3, first 2 shown]
	s_waitcnt vmcnt(2)
	v_cmp_eq_f64_e32 vcc, 0, v[2:3]
	s_waitcnt vmcnt(0)
	v_cmp_eq_f64_e64 s[8:9], 0, v[4:5]
	s_and_b64 s[8:9], vcc, s[8:9]
	s_and_saveexec_b64 s[12:13], s[8:9]
	s_cbranch_execz .LBB71_10
; %bb.7:
	v_mov_b32_e32 v2, 0
	ds_read_b32 v4, v2 offset:256
	v_add_u32_e32 v3, 1, v34
	s_waitcnt lgkmcnt(0)
	v_readfirstlane_b32 s8, v4
	s_cmp_eq_u32 s8, 0
	s_cselect_b64 s[20:21], -1, 0
	v_cmp_gt_i32_e32 vcc, s8, v3
	s_or_b64 s[20:21], s[20:21], vcc
	s_and_b64 exec, exec, s[20:21]
	s_cbranch_execz .LBB71_10
; %bb.8:
	s_mov_b64 s[20:21], 0
	v_mov_b32_e32 v4, s8
.LBB71_9:                               ; =>This Inner Loop Header: Depth=1
	ds_cmpst_rtn_b32 v4, v2, v4, v3 offset:256
	s_waitcnt lgkmcnt(0)
	v_cmp_ne_u32_e32 vcc, 0, v4
	v_cmp_le_i32_e64 s[8:9], v4, v3
	s_and_b64 s[8:9], vcc, s[8:9]
	s_and_b64 s[8:9], exec, s[8:9]
	s_or_b64 s[20:21], s[8:9], s[20:21]
	s_andn2_b64 exec, exec, s[20:21]
	s_cbranch_execnz .LBB71_9
.LBB71_10:
	s_or_b64 exec, exec, s[12:13]
	v_mov_b32_e32 v3, 0
	s_waitcnt lgkmcnt(0)
	; wave barrier
	ds_read_b32 v2, v3 offset:256
	s_and_saveexec_b64 s[8:9], s[6:7]
	s_cbranch_execz .LBB71_12
; %bb.11:
	s_lshl_b64 s[12:13], s[10:11], 2
	s_add_u32 s12, s14, s12
	s_addc_u32 s13, s15, s13
	s_waitcnt lgkmcnt(0)
	global_store_dword v3, v2, s[12:13]
.LBB71_12:
	s_or_b64 exec, exec, s[8:9]
	s_waitcnt lgkmcnt(0)
	v_cmp_ne_u32_e32 vcc, 0, v2
	s_mov_b64 s[8:9], 0
	s_cbranch_vccnz .LBB71_44
; %bb.13:
	buffer_load_dword v23, v36, s[0:3], 0 offen offset:4
	buffer_load_dword v22, v36, s[0:3], 0 offen
	buffer_load_dword v25, v36, s[0:3], 0 offen offset:12
	buffer_load_dword v24, v36, s[0:3], 0 offen offset:8
                                        ; implicit-def: $vgpr26_vgpr27
	s_waitcnt vmcnt(3)
	v_xor_b32_e32 v3, 0x80000000, v23
	s_waitcnt vmcnt(2)
	v_cmp_gt_f64_e32 vcc, 0, v[22:23]
	s_waitcnt vmcnt(1)
	v_xor_b32_e32 v4, 0x80000000, v25
	v_cndmask_b32_e32 v3, v23, v3, vcc
	s_waitcnt vmcnt(0)
	v_cmp_gt_f64_e32 vcc, 0, v[24:25]
	v_mov_b32_e32 v2, v22
	v_cndmask_b32_e32 v5, v25, v4, vcc
	v_mov_b32_e32 v4, v24
	v_cmp_ngt_f64_e32 vcc, v[2:3], v[4:5]
                                        ; implicit-def: $vgpr4_vgpr5
	s_and_saveexec_b64 s[8:9], vcc
	s_xor_b64 s[8:9], exec, s[8:9]
	s_cbranch_execz .LBB71_15
; %bb.14:
	v_div_scale_f64 v[2:3], s[12:13], v[24:25], v[24:25], v[22:23]
	v_rcp_f64_e32 v[4:5], v[2:3]
	v_div_scale_f64 v[26:27], vcc, v[22:23], v[24:25], v[22:23]
	v_fma_f64 v[38:39], -v[2:3], v[4:5], 1.0
	v_fmac_f64_e32 v[4:5], v[4:5], v[38:39]
	v_fma_f64 v[38:39], -v[2:3], v[4:5], 1.0
	v_fmac_f64_e32 v[4:5], v[4:5], v[38:39]
	v_mul_f64 v[38:39], v[26:27], v[4:5]
	v_fma_f64 v[2:3], -v[2:3], v[38:39], v[26:27]
	v_div_fmas_f64 v[2:3], v[2:3], v[4:5], v[38:39]
	v_div_fixup_f64 v[2:3], v[2:3], v[24:25], v[22:23]
	v_fmac_f64_e32 v[24:25], v[22:23], v[2:3]
	v_div_scale_f64 v[4:5], s[12:13], v[24:25], v[24:25], 1.0
	v_rcp_f64_e32 v[22:23], v[4:5]
	v_fma_f64 v[26:27], -v[4:5], v[22:23], 1.0
	v_fmac_f64_e32 v[22:23], v[22:23], v[26:27]
	v_fma_f64 v[26:27], -v[4:5], v[22:23], 1.0
	v_fmac_f64_e32 v[22:23], v[22:23], v[26:27]
	v_div_scale_f64 v[26:27], vcc, 1.0, v[24:25], 1.0
	v_mul_f64 v[38:39], v[26:27], v[22:23]
	v_fma_f64 v[4:5], -v[4:5], v[38:39], v[26:27]
	s_nop 1
	v_div_fmas_f64 v[4:5], v[4:5], v[22:23], v[38:39]
	v_div_fixup_f64 v[4:5], v[4:5], v[24:25], 1.0
	v_mul_f64 v[26:27], v[2:3], v[4:5]
	v_xor_b32_e32 v5, 0x80000000, v5
	v_xor_b32_e32 v3, 0x80000000, v27
	v_mov_b32_e32 v2, v26
                                        ; implicit-def: $vgpr22_vgpr23
                                        ; implicit-def: $vgpr24_vgpr25
.LBB71_15:
	s_andn2_saveexec_b64 s[8:9], s[8:9]
	s_cbranch_execz .LBB71_17
; %bb.16:
	v_div_scale_f64 v[2:3], s[12:13], v[22:23], v[22:23], v[24:25]
	v_rcp_f64_e32 v[4:5], v[2:3]
	v_div_scale_f64 v[26:27], vcc, v[24:25], v[22:23], v[24:25]
	v_fma_f64 v[38:39], -v[2:3], v[4:5], 1.0
	v_fmac_f64_e32 v[4:5], v[4:5], v[38:39]
	v_fma_f64 v[38:39], -v[2:3], v[4:5], 1.0
	v_fmac_f64_e32 v[4:5], v[4:5], v[38:39]
	v_mul_f64 v[38:39], v[26:27], v[4:5]
	v_fma_f64 v[2:3], -v[2:3], v[38:39], v[26:27]
	v_div_fmas_f64 v[2:3], v[2:3], v[4:5], v[38:39]
	v_div_fixup_f64 v[4:5], v[2:3], v[22:23], v[24:25]
	v_fmac_f64_e32 v[22:23], v[24:25], v[4:5]
	v_div_scale_f64 v[2:3], s[12:13], v[22:23], v[22:23], 1.0
	v_rcp_f64_e32 v[24:25], v[2:3]
	v_fma_f64 v[26:27], -v[2:3], v[24:25], 1.0
	v_fmac_f64_e32 v[24:25], v[24:25], v[26:27]
	v_fma_f64 v[26:27], -v[2:3], v[24:25], 1.0
	v_fmac_f64_e32 v[24:25], v[24:25], v[26:27]
	v_div_scale_f64 v[26:27], vcc, 1.0, v[22:23], 1.0
	v_mul_f64 v[38:39], v[26:27], v[24:25]
	v_fma_f64 v[2:3], -v[2:3], v[38:39], v[26:27]
	s_nop 1
	v_div_fmas_f64 v[2:3], v[2:3], v[24:25], v[38:39]
	v_div_fixup_f64 v[26:27], v[2:3], v[22:23], 1.0
	v_xor_b32_e32 v3, 0x80000000, v27
	v_mov_b32_e32 v2, v26
	v_mul_f64 v[4:5], v[4:5], -v[26:27]
.LBB71_17:
	s_or_b64 exec, exec, s[8:9]
	buffer_store_dword v27, v36, s[0:3], 0 offen offset:4
	buffer_store_dword v26, v36, s[0:3], 0 offen
	buffer_store_dword v5, v36, s[0:3], 0 offen offset:12
	buffer_store_dword v4, v36, s[0:3], 0 offen offset:8
	buffer_load_dword v27, v32, s[0:3], 0 offen offset:12
	s_nop 0
	buffer_load_dword v26, v32, s[0:3], 0 offen offset:8
	buffer_load_dword v25, v32, s[0:3], 0 offen offset:4
	buffer_load_dword v24, v32, s[0:3], 0 offen
	v_xor_b32_e32 v5, 0x80000000, v5
	v_add_u32_e32 v22, 0x80, v35
	ds_write_b128 v35, v[2:5]
	s_waitcnt vmcnt(0)
	ds_write_b128 v35, v[24:27] offset:128
	s_waitcnt lgkmcnt(0)
	; wave barrier
	s_waitcnt lgkmcnt(0)
	s_and_saveexec_b64 s[8:9], s[6:7]
	s_cbranch_execz .LBB71_19
; %bb.18:
	buffer_load_dword v38, v36, s[0:3], 0 offen offset:8
	buffer_load_dword v39, v36, s[0:3], 0 offen offset:12
	buffer_load_dword v40, v36, s[0:3], 0 offen
	buffer_load_dword v41, v36, s[0:3], 0 offen offset:4
	ds_read_b128 v[2:5], v22
	v_mov_b32_e32 v23, 0
	ds_read_b128 v[24:27], v23 offset:16
	s_waitcnt vmcnt(2) lgkmcnt(1)
	v_mul_f64 v[42:43], v[4:5], v[38:39]
	v_mul_f64 v[38:39], v[2:3], v[38:39]
	s_waitcnt vmcnt(0)
	v_fmac_f64_e32 v[38:39], v[4:5], v[40:41]
	v_fma_f64 v[2:3], v[2:3], v[40:41], -v[42:43]
	v_add_f64 v[4:5], v[38:39], 0
	v_add_f64 v[2:3], v[2:3], 0
	s_waitcnt lgkmcnt(0)
	v_mul_f64 v[38:39], v[4:5], v[26:27]
	v_mul_f64 v[26:27], v[2:3], v[26:27]
	v_fma_f64 v[2:3], v[2:3], v[24:25], -v[38:39]
	v_fmac_f64_e32 v[26:27], v[4:5], v[24:25]
	buffer_store_dword v2, off, s[0:3], 0 offset:16
	buffer_store_dword v3, off, s[0:3], 0 offset:20
	;; [unrolled: 1-line block ×4, first 2 shown]
.LBB71_19:
	s_or_b64 exec, exec, s[8:9]
	s_waitcnt lgkmcnt(0)
	; wave barrier
	buffer_load_dword v2, v31, s[0:3], 0 offen
	buffer_load_dword v3, v31, s[0:3], 0 offen offset:4
	buffer_load_dword v4, v31, s[0:3], 0 offen offset:8
	buffer_load_dword v5, v31, s[0:3], 0 offen offset:12
	v_cmp_gt_u32_e32 vcc, 2, v34
	s_waitcnt vmcnt(0)
	ds_write_b128 v22, v[2:5]
	s_waitcnt lgkmcnt(0)
	; wave barrier
	s_waitcnt lgkmcnt(0)
	s_and_saveexec_b64 s[8:9], vcc
	s_cbranch_execz .LBB71_23
; %bb.20:
	buffer_load_dword v24, v36, s[0:3], 0 offen offset:8
	buffer_load_dword v25, v36, s[0:3], 0 offen offset:12
	buffer_load_dword v26, v36, s[0:3], 0 offen
	buffer_load_dword v27, v36, s[0:3], 0 offen offset:4
	ds_read_b128 v[2:5], v22
	s_waitcnt vmcnt(2) lgkmcnt(0)
	v_mul_f64 v[36:37], v[4:5], v[24:25]
	v_mul_f64 v[24:25], v[2:3], v[24:25]
	s_waitcnt vmcnt(0)
	v_fma_f64 v[2:3], v[2:3], v[26:27], -v[36:37]
	v_fmac_f64_e32 v[24:25], v[4:5], v[26:27]
	v_add_f64 v[4:5], v[2:3], 0
	v_add_f64 v[2:3], v[24:25], 0
	s_and_saveexec_b64 s[12:13], s[6:7]
	s_cbranch_execz .LBB71_22
; %bb.21:
	buffer_load_dword v36, off, s[0:3], 0 offset:24
	buffer_load_dword v37, off, s[0:3], 0 offset:28
	;; [unrolled: 1-line block ×4, first 2 shown]
	v_mov_b32_e32 v23, 0
	ds_read_b128 v[24:27], v23 offset:144
	s_waitcnt vmcnt(2) lgkmcnt(0)
	v_mul_f64 v[40:41], v[24:25], v[36:37]
	v_mul_f64 v[36:37], v[26:27], v[36:37]
	s_waitcnt vmcnt(0)
	v_fmac_f64_e32 v[40:41], v[26:27], v[38:39]
	v_fma_f64 v[24:25], v[24:25], v[38:39], -v[36:37]
	v_add_f64 v[2:3], v[2:3], v[40:41]
	v_add_f64 v[4:5], v[4:5], v[24:25]
.LBB71_22:
	s_or_b64 exec, exec, s[12:13]
	v_mov_b32_e32 v23, 0
	ds_read_b128 v[24:27], v23 offset:32
	s_waitcnt lgkmcnt(0)
	v_mul_f64 v[36:37], v[2:3], v[26:27]
	v_mul_f64 v[26:27], v[4:5], v[26:27]
	v_fma_f64 v[4:5], v[4:5], v[24:25], -v[36:37]
	v_fmac_f64_e32 v[26:27], v[2:3], v[24:25]
	buffer_store_dword v5, off, s[0:3], 0 offset:36
	buffer_store_dword v4, off, s[0:3], 0 offset:32
	buffer_store_dword v27, off, s[0:3], 0 offset:44
	buffer_store_dword v26, off, s[0:3], 0 offset:40
.LBB71_23:
	s_or_b64 exec, exec, s[8:9]
	s_waitcnt lgkmcnt(0)
	; wave barrier
	buffer_load_dword v2, v33, s[0:3], 0 offen
	buffer_load_dword v3, v33, s[0:3], 0 offen offset:4
	buffer_load_dword v4, v33, s[0:3], 0 offen offset:8
	;; [unrolled: 1-line block ×3, first 2 shown]
	v_cmp_gt_u32_e32 vcc, 3, v34
	v_add_u32_e32 v23, -1, v34
	s_waitcnt vmcnt(0)
	ds_write_b128 v22, v[2:5]
	s_waitcnt lgkmcnt(0)
	; wave barrier
	s_waitcnt lgkmcnt(0)
	s_and_saveexec_b64 s[6:7], vcc
	s_cbranch_execz .LBB71_27
; %bb.24:
	v_pk_mov_b32 v[2:3], 0, 0
	v_add_u32_e32 v24, -1, v34
	v_add_u32_e32 v25, 0x80, v35
	v_add_u32_e32 v26, 0, v35
	s_mov_b64 s[8:9], 0
	v_pk_mov_b32 v[4:5], v[2:3], v[2:3] op_sel:[0,1]
.LBB71_25:                              ; =>This Inner Loop Header: Depth=1
	buffer_load_dword v40, v26, s[0:3], 0 offen offset:8
	buffer_load_dword v41, v26, s[0:3], 0 offen offset:12
	buffer_load_dword v42, v26, s[0:3], 0 offen
	buffer_load_dword v43, v26, s[0:3], 0 offen offset:4
	ds_read_b128 v[36:39], v25
	v_add_u32_e32 v24, 1, v24
	v_cmp_lt_u32_e32 vcc, 1, v24
	v_add_u32_e32 v25, 16, v25
	v_add_u32_e32 v26, 16, v26
	s_or_b64 s[8:9], vcc, s[8:9]
	s_waitcnt vmcnt(2) lgkmcnt(0)
	v_mul_f64 v[44:45], v[38:39], v[40:41]
	v_mul_f64 v[40:41], v[36:37], v[40:41]
	s_waitcnt vmcnt(0)
	v_fma_f64 v[36:37], v[36:37], v[42:43], -v[44:45]
	v_fmac_f64_e32 v[40:41], v[38:39], v[42:43]
	v_add_f64 v[4:5], v[4:5], v[36:37]
	v_add_f64 v[2:3], v[2:3], v[40:41]
	s_andn2_b64 exec, exec, s[8:9]
	s_cbranch_execnz .LBB71_25
; %bb.26:
	s_or_b64 exec, exec, s[8:9]
	v_mov_b32_e32 v24, 0
	ds_read_b128 v[24:27], v24 offset:48
	s_waitcnt lgkmcnt(0)
	v_mul_f64 v[36:37], v[2:3], v[26:27]
	v_mul_f64 v[26:27], v[4:5], v[26:27]
	v_fma_f64 v[4:5], v[4:5], v[24:25], -v[36:37]
	v_fmac_f64_e32 v[26:27], v[2:3], v[24:25]
	buffer_store_dword v5, off, s[0:3], 0 offset:52
	buffer_store_dword v4, off, s[0:3], 0 offset:48
	buffer_store_dword v27, off, s[0:3], 0 offset:60
	buffer_store_dword v26, off, s[0:3], 0 offset:56
.LBB71_27:
	s_or_b64 exec, exec, s[6:7]
	s_waitcnt lgkmcnt(0)
	; wave barrier
	buffer_load_dword v2, v1, s[0:3], 0 offen
	buffer_load_dword v3, v1, s[0:3], 0 offen offset:4
	buffer_load_dword v4, v1, s[0:3], 0 offen offset:8
	buffer_load_dword v5, v1, s[0:3], 0 offen offset:12
	v_cmp_gt_u32_e32 vcc, 4, v34
	s_waitcnt vmcnt(0)
	ds_write_b128 v22, v[2:5]
	s_waitcnt lgkmcnt(0)
	; wave barrier
	s_waitcnt lgkmcnt(0)
	s_and_saveexec_b64 s[6:7], vcc
	s_cbranch_execz .LBB71_31
; %bb.28:
	v_pk_mov_b32 v[2:3], 0, 0
	v_add_u32_e32 v24, -1, v34
	v_add_u32_e32 v25, 0x80, v35
	v_add_u32_e32 v26, 0, v35
	s_mov_b64 s[8:9], 0
	v_pk_mov_b32 v[4:5], v[2:3], v[2:3] op_sel:[0,1]
.LBB71_29:                              ; =>This Inner Loop Header: Depth=1
	buffer_load_dword v40, v26, s[0:3], 0 offen offset:8
	buffer_load_dword v41, v26, s[0:3], 0 offen offset:12
	buffer_load_dword v42, v26, s[0:3], 0 offen
	buffer_load_dword v43, v26, s[0:3], 0 offen offset:4
	ds_read_b128 v[36:39], v25
	v_add_u32_e32 v24, 1, v24
	v_cmp_lt_u32_e32 vcc, 2, v24
	v_add_u32_e32 v25, 16, v25
	v_add_u32_e32 v26, 16, v26
	s_or_b64 s[8:9], vcc, s[8:9]
	s_waitcnt vmcnt(2) lgkmcnt(0)
	v_mul_f64 v[44:45], v[38:39], v[40:41]
	v_mul_f64 v[40:41], v[36:37], v[40:41]
	s_waitcnt vmcnt(0)
	v_fma_f64 v[36:37], v[36:37], v[42:43], -v[44:45]
	v_fmac_f64_e32 v[40:41], v[38:39], v[42:43]
	v_add_f64 v[4:5], v[4:5], v[36:37]
	v_add_f64 v[2:3], v[2:3], v[40:41]
	s_andn2_b64 exec, exec, s[8:9]
	s_cbranch_execnz .LBB71_29
; %bb.30:
	s_or_b64 exec, exec, s[8:9]
	v_mov_b32_e32 v24, 0
	ds_read_b128 v[24:27], v24 offset:64
	s_waitcnt lgkmcnt(0)
	v_mul_f64 v[36:37], v[2:3], v[26:27]
	v_mul_f64 v[26:27], v[4:5], v[26:27]
	v_fma_f64 v[4:5], v[4:5], v[24:25], -v[36:37]
	v_fmac_f64_e32 v[26:27], v[2:3], v[24:25]
	buffer_store_dword v5, off, s[0:3], 0 offset:68
	buffer_store_dword v4, off, s[0:3], 0 offset:64
	buffer_store_dword v27, off, s[0:3], 0 offset:76
	buffer_store_dword v26, off, s[0:3], 0 offset:72
.LBB71_31:
	s_or_b64 exec, exec, s[6:7]
	s_waitcnt lgkmcnt(0)
	; wave barrier
	buffer_load_dword v2, v28, s[0:3], 0 offen
	buffer_load_dword v3, v28, s[0:3], 0 offen offset:4
	buffer_load_dword v4, v28, s[0:3], 0 offen offset:8
	buffer_load_dword v5, v28, s[0:3], 0 offen offset:12
	v_cmp_gt_u32_e32 vcc, 5, v34
	;; [unrolled: 57-line block ×3, first 2 shown]
	s_waitcnt vmcnt(0)
	ds_write_b128 v22, v[2:5]
	s_waitcnt lgkmcnt(0)
	; wave barrier
	s_waitcnt lgkmcnt(0)
	s_and_saveexec_b64 s[6:7], vcc
	s_cbranch_execz .LBB71_39
; %bb.36:
	v_pk_mov_b32 v[2:3], 0, 0
	v_add_u32_e32 v24, -1, v34
	v_add_u32_e32 v25, 0x80, v35
	v_add_u32_e32 v26, 0, v35
	s_mov_b64 s[8:9], 0
	v_pk_mov_b32 v[4:5], v[2:3], v[2:3] op_sel:[0,1]
.LBB71_37:                              ; =>This Inner Loop Header: Depth=1
	buffer_load_dword v40, v26, s[0:3], 0 offen offset:8
	buffer_load_dword v41, v26, s[0:3], 0 offen offset:12
	buffer_load_dword v42, v26, s[0:3], 0 offen
	buffer_load_dword v43, v26, s[0:3], 0 offen offset:4
	ds_read_b128 v[36:39], v25
	v_add_u32_e32 v24, 1, v24
	v_cmp_lt_u32_e32 vcc, 4, v24
	v_add_u32_e32 v25, 16, v25
	v_add_u32_e32 v26, 16, v26
	s_or_b64 s[8:9], vcc, s[8:9]
	s_waitcnt vmcnt(2) lgkmcnt(0)
	v_mul_f64 v[44:45], v[38:39], v[40:41]
	v_mul_f64 v[40:41], v[36:37], v[40:41]
	s_waitcnt vmcnt(0)
	v_fma_f64 v[36:37], v[36:37], v[42:43], -v[44:45]
	v_fmac_f64_e32 v[40:41], v[38:39], v[42:43]
	v_add_f64 v[4:5], v[4:5], v[36:37]
	v_add_f64 v[2:3], v[2:3], v[40:41]
	s_andn2_b64 exec, exec, s[8:9]
	s_cbranch_execnz .LBB71_37
; %bb.38:
	s_or_b64 exec, exec, s[8:9]
	v_mov_b32_e32 v24, 0
	ds_read_b128 v[24:27], v24 offset:96
	s_waitcnt lgkmcnt(0)
	v_mul_f64 v[36:37], v[2:3], v[26:27]
	v_mul_f64 v[26:27], v[4:5], v[26:27]
	v_fma_f64 v[4:5], v[4:5], v[24:25], -v[36:37]
	v_fmac_f64_e32 v[26:27], v[2:3], v[24:25]
	buffer_store_dword v5, off, s[0:3], 0 offset:100
	buffer_store_dword v4, off, s[0:3], 0 offset:96
	;; [unrolled: 1-line block ×4, first 2 shown]
.LBB71_39:
	s_or_b64 exec, exec, s[6:7]
	s_waitcnt lgkmcnt(0)
	; wave barrier
	buffer_load_dword v2, v30, s[0:3], 0 offen
	buffer_load_dword v3, v30, s[0:3], 0 offen offset:4
	buffer_load_dword v4, v30, s[0:3], 0 offen offset:8
	;; [unrolled: 1-line block ×3, first 2 shown]
	v_cmp_ne_u32_e32 vcc, 7, v34
	s_waitcnt vmcnt(0)
	ds_write_b128 v22, v[2:5]
	s_waitcnt lgkmcnt(0)
	; wave barrier
	s_waitcnt lgkmcnt(0)
	s_and_saveexec_b64 s[6:7], vcc
	s_cbranch_execz .LBB71_43
; %bb.40:
	v_pk_mov_b32 v[2:3], 0, 0
	v_add_u32_e32 v22, 0x80, v35
	v_add_u32_e32 v24, 0, v35
	s_mov_b64 s[8:9], 0
	v_pk_mov_b32 v[4:5], v[2:3], v[2:3] op_sel:[0,1]
.LBB71_41:                              ; =>This Inner Loop Header: Depth=1
	buffer_load_dword v26, v24, s[0:3], 0 offen offset:8
	buffer_load_dword v27, v24, s[0:3], 0 offen offset:12
	buffer_load_dword v40, v24, s[0:3], 0 offen
	buffer_load_dword v41, v24, s[0:3], 0 offen offset:4
	ds_read_b128 v[36:39], v22
	v_add_u32_e32 v23, 1, v23
	v_cmp_lt_u32_e32 vcc, 5, v23
	v_add_u32_e32 v22, 16, v22
	v_add_u32_e32 v24, 16, v24
	s_or_b64 s[8:9], vcc, s[8:9]
	s_waitcnt vmcnt(2) lgkmcnt(0)
	v_mul_f64 v[42:43], v[38:39], v[26:27]
	v_mul_f64 v[26:27], v[36:37], v[26:27]
	s_waitcnt vmcnt(0)
	v_fma_f64 v[36:37], v[36:37], v[40:41], -v[42:43]
	v_fmac_f64_e32 v[26:27], v[38:39], v[40:41]
	v_add_f64 v[4:5], v[4:5], v[36:37]
	v_add_f64 v[2:3], v[2:3], v[26:27]
	s_andn2_b64 exec, exec, s[8:9]
	s_cbranch_execnz .LBB71_41
; %bb.42:
	s_or_b64 exec, exec, s[8:9]
	v_mov_b32_e32 v22, 0
	ds_read_b128 v[22:25], v22 offset:112
	s_waitcnt lgkmcnt(0)
	v_mul_f64 v[26:27], v[2:3], v[24:25]
	v_mul_f64 v[24:25], v[4:5], v[24:25]
	v_fma_f64 v[4:5], v[4:5], v[22:23], -v[26:27]
	v_fmac_f64_e32 v[24:25], v[2:3], v[22:23]
	buffer_store_dword v5, off, s[0:3], 0 offset:116
	buffer_store_dword v4, off, s[0:3], 0 offset:112
	;; [unrolled: 1-line block ×4, first 2 shown]
.LBB71_43:
	s_or_b64 exec, exec, s[6:7]
	s_mov_b64 s[8:9], -1
	s_waitcnt lgkmcnt(0)
	; wave barrier
.LBB71_44:
	s_and_b64 vcc, exec, s[8:9]
	s_cbranch_vccz .LBB71_46
; %bb.45:
	s_lshl_b64 s[6:7], s[10:11], 2
	s_add_u32 s6, s14, s6
	s_addc_u32 s7, s15, s7
	v_mov_b32_e32 v2, 0
	global_load_dword v2, v2, s[6:7]
	s_waitcnt vmcnt(0)
	v_cmp_ne_u32_e32 vcc, 0, v2
	s_cbranch_vccz .LBB71_47
.LBB71_46:
	s_endpgm
.LBB71_47:
	v_mov_b32_e32 v2, 0x80
	v_lshl_add_u32 v2, v34, 4, v2
	v_cmp_eq_u32_e32 vcc, 7, v34
	s_and_saveexec_b64 s[6:7], vcc
	s_cbranch_execz .LBB71_49
; %bb.48:
	buffer_load_dword v22, v29, s[0:3], 0 offen
	buffer_load_dword v23, v29, s[0:3], 0 offen offset:4
	buffer_load_dword v24, v29, s[0:3], 0 offen offset:8
	;; [unrolled: 1-line block ×3, first 2 shown]
	v_mov_b32_e32 v3, 0
	buffer_store_dword v3, off, s[0:3], 0 offset:96
	buffer_store_dword v3, off, s[0:3], 0 offset:100
	;; [unrolled: 1-line block ×4, first 2 shown]
	s_waitcnt vmcnt(4)
	ds_write_b128 v2, v[22:25]
.LBB71_49:
	s_or_b64 exec, exec, s[6:7]
	s_waitcnt lgkmcnt(0)
	; wave barrier
	s_waitcnt lgkmcnt(0)
	buffer_load_dword v4, off, s[0:3], 0 offset:120
	buffer_load_dword v5, off, s[0:3], 0 offset:124
	;; [unrolled: 1-line block ×8, first 2 shown]
	v_mov_b32_e32 v3, 0
	ds_read_b128 v[22:25], v3 offset:240
	v_cmp_lt_u32_e32 vcc, 5, v34
	s_waitcnt vmcnt(6) lgkmcnt(0)
	v_mul_f64 v[40:41], v[22:23], v[4:5]
	v_mul_f64 v[4:5], v[24:25], v[4:5]
	s_waitcnt vmcnt(4)
	v_fma_f64 v[4:5], v[22:23], v[26:27], -v[4:5]
	v_fmac_f64_e32 v[40:41], v[24:25], v[26:27]
	v_add_f64 v[4:5], v[4:5], 0
	v_add_f64 v[22:23], v[40:41], 0
	s_waitcnt vmcnt(2)
	v_add_f64 v[4:5], v[36:37], -v[4:5]
	s_waitcnt vmcnt(0)
	v_add_f64 v[22:23], v[38:39], -v[22:23]
	buffer_store_dword v4, off, s[0:3], 0 offset:96
	buffer_store_dword v5, off, s[0:3], 0 offset:100
	;; [unrolled: 1-line block ×4, first 2 shown]
	s_and_saveexec_b64 s[6:7], vcc
	s_cbranch_execz .LBB71_51
; %bb.50:
	buffer_load_dword v22, v28, s[0:3], 0 offen
	buffer_load_dword v23, v28, s[0:3], 0 offen offset:4
	buffer_load_dword v24, v28, s[0:3], 0 offen offset:8
	;; [unrolled: 1-line block ×3, first 2 shown]
	s_nop 0
	buffer_store_dword v3, off, s[0:3], 0 offset:80
	buffer_store_dword v3, off, s[0:3], 0 offset:84
	;; [unrolled: 1-line block ×4, first 2 shown]
	s_waitcnt vmcnt(4)
	ds_write_b128 v2, v[22:25]
.LBB71_51:
	s_or_b64 exec, exec, s[6:7]
	s_waitcnt lgkmcnt(0)
	; wave barrier
	s_waitcnt lgkmcnt(0)
	buffer_load_dword v4, off, s[0:3], 0 offset:104
	buffer_load_dword v5, off, s[0:3], 0 offset:108
	;; [unrolled: 1-line block ×12, first 2 shown]
	ds_read_b128 v[22:25], v3 offset:224
	ds_read_b128 v[36:39], v3 offset:240
	v_cmp_lt_u32_e32 vcc, 4, v34
	s_waitcnt vmcnt(10) lgkmcnt(1)
	v_mul_f64 v[48:49], v[22:23], v[4:5]
	v_mul_f64 v[4:5], v[24:25], v[4:5]
	s_waitcnt vmcnt(8) lgkmcnt(0)
	v_mul_f64 v[50:51], v[36:37], v[26:27]
	v_mul_f64 v[26:27], v[38:39], v[26:27]
	s_waitcnt vmcnt(6)
	v_fma_f64 v[4:5], v[22:23], v[40:41], -v[4:5]
	v_fmac_f64_e32 v[48:49], v[24:25], v[40:41]
	s_waitcnt vmcnt(4)
	v_fma_f64 v[22:23], v[36:37], v[42:43], -v[26:27]
	v_add_f64 v[4:5], v[4:5], 0
	v_fmac_f64_e32 v[50:51], v[38:39], v[42:43]
	v_add_f64 v[24:25], v[48:49], 0
	v_add_f64 v[4:5], v[4:5], v[22:23]
	;; [unrolled: 1-line block ×3, first 2 shown]
	s_waitcnt vmcnt(2)
	v_add_f64 v[4:5], v[44:45], -v[4:5]
	s_waitcnt vmcnt(0)
	v_add_f64 v[22:23], v[46:47], -v[24:25]
	buffer_store_dword v4, off, s[0:3], 0 offset:80
	buffer_store_dword v5, off, s[0:3], 0 offset:84
	;; [unrolled: 1-line block ×4, first 2 shown]
	s_and_saveexec_b64 s[6:7], vcc
	s_cbranch_execz .LBB71_53
; %bb.52:
	buffer_load_dword v22, v1, s[0:3], 0 offen
	buffer_load_dword v23, v1, s[0:3], 0 offen offset:4
	buffer_load_dword v24, v1, s[0:3], 0 offen offset:8
	;; [unrolled: 1-line block ×3, first 2 shown]
	v_mov_b32_e32 v3, 0
	buffer_store_dword v3, off, s[0:3], 0 offset:64
	buffer_store_dword v3, off, s[0:3], 0 offset:68
	;; [unrolled: 1-line block ×4, first 2 shown]
	s_waitcnt vmcnt(4)
	ds_write_b128 v2, v[22:25]
.LBB71_53:
	s_or_b64 exec, exec, s[6:7]
	s_waitcnt lgkmcnt(0)
	; wave barrier
	s_waitcnt lgkmcnt(0)
	buffer_load_dword v4, off, s[0:3], 0 offset:88
	buffer_load_dword v5, off, s[0:3], 0 offset:92
	;; [unrolled: 1-line block ×16, first 2 shown]
	v_mov_b32_e32 v3, 0
	ds_read_b128 v[22:25], v3 offset:208
	ds_read_b128 v[36:39], v3 offset:224
	;; [unrolled: 1-line block ×3, first 2 shown]
	v_cmp_lt_u32_e32 vcc, 3, v34
	s_waitcnt vmcnt(14) lgkmcnt(2)
	v_mul_f64 v[56:57], v[22:23], v[4:5]
	v_mul_f64 v[4:5], v[24:25], v[4:5]
	s_waitcnt vmcnt(12) lgkmcnt(1)
	v_mul_f64 v[58:59], v[36:37], v[26:27]
	v_mul_f64 v[26:27], v[38:39], v[26:27]
	;; [unrolled: 3-line block ×3, first 2 shown]
	s_waitcnt vmcnt(8)
	v_fma_f64 v[4:5], v[22:23], v[46:47], -v[4:5]
	v_fmac_f64_e32 v[56:57], v[24:25], v[46:47]
	s_waitcnt vmcnt(6)
	v_fma_f64 v[22:23], v[36:37], v[48:49], -v[26:27]
	v_add_f64 v[4:5], v[4:5], 0
	v_fmac_f64_e32 v[58:59], v[38:39], v[48:49]
	s_waitcnt vmcnt(4)
	v_fma_f64 v[24:25], v[40:41], v[50:51], -v[44:45]
	v_add_f64 v[26:27], v[56:57], 0
	v_add_f64 v[4:5], v[4:5], v[22:23]
	v_fmac_f64_e32 v[60:61], v[42:43], v[50:51]
	v_add_f64 v[26:27], v[26:27], v[58:59]
	v_add_f64 v[4:5], v[4:5], v[24:25]
	;; [unrolled: 1-line block ×3, first 2 shown]
	s_waitcnt vmcnt(2)
	v_add_f64 v[4:5], v[52:53], -v[4:5]
	s_waitcnt vmcnt(0)
	v_add_f64 v[22:23], v[54:55], -v[22:23]
	buffer_store_dword v4, off, s[0:3], 0 offset:64
	buffer_store_dword v5, off, s[0:3], 0 offset:68
	;; [unrolled: 1-line block ×4, first 2 shown]
	s_and_saveexec_b64 s[6:7], vcc
	s_cbranch_execz .LBB71_55
; %bb.54:
	buffer_load_dword v22, v33, s[0:3], 0 offen
	buffer_load_dword v23, v33, s[0:3], 0 offen offset:4
	buffer_load_dword v24, v33, s[0:3], 0 offen offset:8
	;; [unrolled: 1-line block ×3, first 2 shown]
	s_nop 0
	buffer_store_dword v3, off, s[0:3], 0 offset:48
	buffer_store_dword v3, off, s[0:3], 0 offset:52
	;; [unrolled: 1-line block ×4, first 2 shown]
	s_waitcnt vmcnt(4)
	ds_write_b128 v2, v[22:25]
.LBB71_55:
	s_or_b64 exec, exec, s[6:7]
	s_waitcnt lgkmcnt(0)
	; wave barrier
	s_waitcnt lgkmcnt(0)
	buffer_load_dword v4, off, s[0:3], 0 offset:72
	buffer_load_dword v5, off, s[0:3], 0 offset:76
	;; [unrolled: 1-line block ×20, first 2 shown]
	ds_read_b128 v[22:25], v3 offset:192
	ds_read_b128 v[36:39], v3 offset:208
	;; [unrolled: 1-line block ×4, first 2 shown]
	v_cmp_lt_u32_e32 vcc, 2, v34
	s_waitcnt vmcnt(18) lgkmcnt(3)
	v_mul_f64 v[64:65], v[22:23], v[4:5]
	v_mul_f64 v[4:5], v[24:25], v[4:5]
	s_waitcnt vmcnt(16) lgkmcnt(2)
	v_mul_f64 v[66:67], v[36:37], v[26:27]
	v_mul_f64 v[26:27], v[38:39], v[26:27]
	;; [unrolled: 3-line block ×4, first 2 shown]
	s_waitcnt vmcnt(10)
	v_fma_f64 v[4:5], v[22:23], v[52:53], -v[4:5]
	v_fmac_f64_e32 v[64:65], v[24:25], v[52:53]
	s_waitcnt vmcnt(8)
	v_fma_f64 v[22:23], v[36:37], v[54:55], -v[26:27]
	v_add_f64 v[4:5], v[4:5], 0
	v_fmac_f64_e32 v[66:67], v[38:39], v[54:55]
	s_waitcnt vmcnt(6)
	v_fma_f64 v[24:25], v[40:41], v[56:57], -v[48:49]
	v_add_f64 v[36:37], v[64:65], 0
	v_add_f64 v[4:5], v[4:5], v[22:23]
	v_fmac_f64_e32 v[68:69], v[42:43], v[56:57]
	s_waitcnt vmcnt(4)
	v_fma_f64 v[26:27], v[44:45], v[58:59], -v[50:51]
	v_add_f64 v[36:37], v[36:37], v[66:67]
	v_add_f64 v[4:5], v[4:5], v[24:25]
	v_fmac_f64_e32 v[70:71], v[46:47], v[58:59]
	v_add_f64 v[22:23], v[36:37], v[68:69]
	v_add_f64 v[4:5], v[4:5], v[26:27]
	;; [unrolled: 1-line block ×3, first 2 shown]
	s_waitcnt vmcnt(2)
	v_add_f64 v[4:5], v[60:61], -v[4:5]
	s_waitcnt vmcnt(0)
	v_add_f64 v[22:23], v[62:63], -v[22:23]
	buffer_store_dword v4, off, s[0:3], 0 offset:48
	buffer_store_dword v5, off, s[0:3], 0 offset:52
	;; [unrolled: 1-line block ×4, first 2 shown]
	s_and_saveexec_b64 s[6:7], vcc
	s_cbranch_execz .LBB71_57
; %bb.56:
	buffer_load_dword v22, v31, s[0:3], 0 offen
	buffer_load_dword v23, v31, s[0:3], 0 offen offset:4
	buffer_load_dword v24, v31, s[0:3], 0 offen offset:8
	buffer_load_dword v25, v31, s[0:3], 0 offen offset:12
	v_mov_b32_e32 v3, 0
	buffer_store_dword v3, off, s[0:3], 0 offset:32
	buffer_store_dword v3, off, s[0:3], 0 offset:36
	;; [unrolled: 1-line block ×4, first 2 shown]
	s_waitcnt vmcnt(4)
	ds_write_b128 v2, v[22:25]
.LBB71_57:
	s_or_b64 exec, exec, s[6:7]
	s_waitcnt lgkmcnt(0)
	; wave barrier
	s_waitcnt lgkmcnt(0)
	buffer_load_dword v4, off, s[0:3], 0 offset:56
	buffer_load_dword v5, off, s[0:3], 0 offset:60
	;; [unrolled: 1-line block ×24, first 2 shown]
	v_mov_b32_e32 v3, 0
	ds_read_b128 v[22:25], v3 offset:176
	ds_read_b128 v[36:39], v3 offset:192
	;; [unrolled: 1-line block ×5, first 2 shown]
	v_cmp_lt_u32_e32 vcc, 1, v34
	s_waitcnt vmcnt(22) lgkmcnt(4)
	v_mul_f64 v[72:73], v[22:23], v[4:5]
	v_mul_f64 v[4:5], v[24:25], v[4:5]
	s_waitcnt vmcnt(20) lgkmcnt(3)
	v_mul_f64 v[74:75], v[36:37], v[26:27]
	v_mul_f64 v[26:27], v[38:39], v[26:27]
	;; [unrolled: 3-line block ×4, first 2 shown]
	s_waitcnt vmcnt(13) lgkmcnt(0)
	v_mul_f64 v[80:81], v[48:49], v[54:55]
	s_waitcnt vmcnt(11)
	v_fma_f64 v[4:5], v[22:23], v[60:61], -v[4:5]
	v_fmac_f64_e32 v[72:73], v[24:25], v[60:61]
	s_waitcnt vmcnt(9)
	v_fma_f64 v[22:23], v[36:37], v[62:63], -v[26:27]
	v_add_f64 v[4:5], v[4:5], 0
	v_fmac_f64_e32 v[74:75], v[38:39], v[62:63]
	s_waitcnt vmcnt(7)
	v_fma_f64 v[24:25], v[40:41], v[64:65], -v[52:53]
	v_add_f64 v[38:39], v[72:73], 0
	v_add_f64 v[4:5], v[4:5], v[22:23]
	v_mul_f64 v[54:55], v[50:51], v[54:55]
	v_fmac_f64_e32 v[76:77], v[42:43], v[64:65]
	s_waitcnt vmcnt(5)
	v_fma_f64 v[26:27], v[44:45], v[66:67], -v[58:59]
	v_add_f64 v[38:39], v[38:39], v[74:75]
	v_add_f64 v[4:5], v[4:5], v[24:25]
	v_fmac_f64_e32 v[78:79], v[46:47], v[66:67]
	s_waitcnt vmcnt(4)
	v_fma_f64 v[36:37], v[48:49], v[56:57], -v[54:55]
	v_add_f64 v[22:23], v[38:39], v[76:77]
	v_add_f64 v[4:5], v[4:5], v[26:27]
	v_fmac_f64_e32 v[80:81], v[50:51], v[56:57]
	v_add_f64 v[22:23], v[22:23], v[78:79]
	v_add_f64 v[4:5], v[4:5], v[36:37]
	;; [unrolled: 1-line block ×3, first 2 shown]
	s_waitcnt vmcnt(2)
	v_add_f64 v[4:5], v[68:69], -v[4:5]
	s_waitcnt vmcnt(0)
	v_add_f64 v[22:23], v[70:71], -v[22:23]
	buffer_store_dword v5, off, s[0:3], 0 offset:36
	buffer_store_dword v4, off, s[0:3], 0 offset:32
	;; [unrolled: 1-line block ×4, first 2 shown]
	s_and_saveexec_b64 s[6:7], vcc
	s_cbranch_execz .LBB71_59
; %bb.58:
	buffer_load_dword v22, v32, s[0:3], 0 offen
	buffer_load_dword v23, v32, s[0:3], 0 offen offset:4
	buffer_load_dword v24, v32, s[0:3], 0 offen offset:8
	;; [unrolled: 1-line block ×3, first 2 shown]
	s_nop 0
	buffer_store_dword v3, off, s[0:3], 0 offset:16
	buffer_store_dword v3, off, s[0:3], 0 offset:20
	;; [unrolled: 1-line block ×4, first 2 shown]
	s_waitcnt vmcnt(4)
	ds_write_b128 v2, v[22:25]
.LBB71_59:
	s_or_b64 exec, exec, s[6:7]
	s_waitcnt lgkmcnt(0)
	; wave barrier
	s_waitcnt lgkmcnt(0)
	buffer_load_dword v4, off, s[0:3], 0 offset:40
	buffer_load_dword v5, off, s[0:3], 0 offset:44
	;; [unrolled: 1-line block ×28, first 2 shown]
	ds_read_b128 v[22:25], v3 offset:160
	ds_read_b128 v[36:39], v3 offset:176
	;; [unrolled: 1-line block ×6, first 2 shown]
	v_cmp_ne_u32_e32 vcc, 0, v34
	s_waitcnt vmcnt(26) lgkmcnt(5)
	v_mul_f64 v[80:81], v[22:23], v[4:5]
	v_mul_f64 v[4:5], v[24:25], v[4:5]
	s_waitcnt vmcnt(24) lgkmcnt(4)
	v_mul_f64 v[82:83], v[36:37], v[26:27]
	v_mul_f64 v[26:27], v[38:39], v[26:27]
	;; [unrolled: 3-line block ×4, first 2 shown]
	s_waitcnt vmcnt(17)
	v_mul_f64 v[86:87], v[44:45], v[62:63]
	v_mul_f64 v[62:63], v[46:47], v[62:63]
	s_waitcnt vmcnt(15) lgkmcnt(0)
	v_mul_f64 v[90:91], v[52:53], v[64:65]
	v_mul_f64 v[64:65], v[54:55], v[64:65]
	s_waitcnt vmcnt(14)
	v_fmac_f64_e32 v[88:89], v[50:51], v[60:61]
	s_waitcnt vmcnt(12)
	v_fma_f64 v[4:5], v[22:23], v[66:67], -v[4:5]
	v_fmac_f64_e32 v[80:81], v[24:25], v[66:67]
	s_waitcnt vmcnt(10)
	v_fma_f64 v[22:23], v[36:37], v[68:69], -v[26:27]
	v_add_f64 v[4:5], v[4:5], 0
	v_fmac_f64_e32 v[82:83], v[38:39], v[68:69]
	s_waitcnt vmcnt(8)
	v_fma_f64 v[24:25], v[40:41], v[70:71], -v[56:57]
	v_add_f64 v[40:41], v[80:81], 0
	v_add_f64 v[4:5], v[4:5], v[22:23]
	v_fmac_f64_e32 v[84:85], v[42:43], v[70:71]
	s_waitcnt vmcnt(6)
	v_fma_f64 v[26:27], v[44:45], v[72:73], -v[62:63]
	v_add_f64 v[40:41], v[40:41], v[82:83]
	v_add_f64 v[4:5], v[4:5], v[24:25]
	v_fmac_f64_e32 v[86:87], v[46:47], v[72:73]
	v_fma_f64 v[36:37], v[48:49], v[60:61], -v[58:59]
	v_add_f64 v[22:23], v[40:41], v[84:85]
	v_add_f64 v[4:5], v[4:5], v[26:27]
	s_waitcnt vmcnt(4)
	v_fma_f64 v[38:39], v[52:53], v[74:75], -v[64:65]
	v_add_f64 v[22:23], v[22:23], v[86:87]
	v_add_f64 v[4:5], v[4:5], v[36:37]
	v_fmac_f64_e32 v[90:91], v[54:55], v[74:75]
	v_add_f64 v[22:23], v[22:23], v[88:89]
	v_add_f64 v[4:5], v[4:5], v[38:39]
	;; [unrolled: 1-line block ×3, first 2 shown]
	s_waitcnt vmcnt(2)
	v_add_f64 v[4:5], v[76:77], -v[4:5]
	s_waitcnt vmcnt(0)
	v_add_f64 v[22:23], v[78:79], -v[22:23]
	buffer_store_dword v5, off, s[0:3], 0 offset:20
	buffer_store_dword v4, off, s[0:3], 0 offset:16
	;; [unrolled: 1-line block ×4, first 2 shown]
	s_and_saveexec_b64 s[6:7], vcc
	s_cbranch_execz .LBB71_61
; %bb.60:
	buffer_load_dword v22, off, s[0:3], 0
	buffer_load_dword v23, off, s[0:3], 0 offset:4
	buffer_load_dword v24, off, s[0:3], 0 offset:8
	;; [unrolled: 1-line block ×3, first 2 shown]
	v_mov_b32_e32 v3, 0
	buffer_store_dword v3, off, s[0:3], 0
	buffer_store_dword v3, off, s[0:3], 0 offset:4
	buffer_store_dword v3, off, s[0:3], 0 offset:8
	;; [unrolled: 1-line block ×3, first 2 shown]
	s_waitcnt vmcnt(4)
	ds_write_b128 v2, v[22:25]
.LBB71_61:
	s_or_b64 exec, exec, s[6:7]
	s_waitcnt lgkmcnt(0)
	; wave barrier
	s_waitcnt lgkmcnt(0)
	buffer_load_dword v26, off, s[0:3], 0 offset:24
	buffer_load_dword v27, off, s[0:3], 0 offset:28
	;; [unrolled: 1-line block ×28, first 2 shown]
	buffer_load_dword v82, off, s[0:3], 0
	buffer_load_dword v83, off, s[0:3], 0 offset:4
	buffer_load_dword v84, off, s[0:3], 0 offset:8
	;; [unrolled: 1-line block ×3, first 2 shown]
	v_mov_b32_e32 v35, 0
	ds_read_b128 v[2:5], v35 offset:144
	ds_read_b128 v[22:25], v35 offset:160
	;; [unrolled: 1-line block ×7, first 2 shown]
	s_and_b64 vcc, exec, s[18:19]
	s_waitcnt vmcnt(30) lgkmcnt(6)
	v_mul_f64 v[86:87], v[2:3], v[26:27]
	v_mul_f64 v[26:27], v[4:5], v[26:27]
	s_waitcnt vmcnt(28) lgkmcnt(5)
	v_mul_f64 v[88:89], v[22:23], v[56:57]
	v_mul_f64 v[56:57], v[24:25], v[56:57]
	;; [unrolled: 3-line block ×4, first 2 shown]
	s_waitcnt vmcnt(21)
	v_mul_f64 v[92:93], v[40:41], v[64:65]
	v_mul_f64 v[64:65], v[42:43], v[64:65]
	s_waitcnt vmcnt(17) lgkmcnt(1)
	v_mul_f64 v[96:97], v[48:49], v[70:71]
	v_mul_f64 v[70:71], v[50:51], v[70:71]
	s_waitcnt vmcnt(16) lgkmcnt(0)
	v_mul_f64 v[98:99], v[52:53], v[66:67]
	v_mul_f64 v[66:67], v[54:55], v[66:67]
	s_waitcnt vmcnt(13)
	v_fma_f64 v[2:3], v[2:3], v[72:73], -v[26:27]
	v_fmac_f64_e32 v[86:87], v[4:5], v[72:73]
	s_waitcnt vmcnt(11)
	v_fma_f64 v[4:5], v[22:23], v[74:75], -v[56:57]
	v_add_f64 v[2:3], v[2:3], 0
	v_fmac_f64_e32 v[88:89], v[24:25], v[74:75]
	s_waitcnt vmcnt(9)
	v_fma_f64 v[22:23], v[36:37], v[76:77], -v[58:59]
	s_waitcnt vmcnt(7)
	v_fma_f64 v[24:25], v[40:41], v[78:79], -v[64:65]
	v_add_f64 v[40:41], v[86:87], 0
	v_add_f64 v[2:3], v[2:3], v[4:5]
	v_fmac_f64_e32 v[90:91], v[38:39], v[76:77]
	v_add_f64 v[40:41], v[40:41], v[88:89]
	v_add_f64 v[2:3], v[2:3], v[22:23]
	v_fmac_f64_e32 v[92:93], v[42:43], v[78:79]
	v_fma_f64 v[26:27], v[44:45], v[62:63], -v[60:61]
	v_add_f64 v[4:5], v[40:41], v[90:91]
	v_add_f64 v[2:3], v[2:3], v[24:25]
	v_fmac_f64_e32 v[94:95], v[46:47], v[62:63]
	s_waitcnt vmcnt(5)
	v_fma_f64 v[36:37], v[48:49], v[80:81], -v[70:71]
	v_add_f64 v[4:5], v[4:5], v[92:93]
	v_add_f64 v[2:3], v[2:3], v[26:27]
	v_fmac_f64_e32 v[96:97], v[50:51], v[80:81]
	s_waitcnt vmcnt(4)
	v_fma_f64 v[38:39], v[52:53], v[68:69], -v[66:67]
	v_add_f64 v[4:5], v[4:5], v[94:95]
	v_add_f64 v[2:3], v[2:3], v[36:37]
	v_fmac_f64_e32 v[98:99], v[54:55], v[68:69]
	v_add_f64 v[4:5], v[4:5], v[96:97]
	v_add_f64 v[2:3], v[2:3], v[38:39]
	v_add_f64 v[4:5], v[4:5], v[98:99]
	s_waitcnt vmcnt(2)
	v_add_f64 v[2:3], v[82:83], -v[2:3]
	s_waitcnt vmcnt(0)
	v_add_f64 v[4:5], v[84:85], -v[4:5]
	buffer_store_dword v3, off, s[0:3], 0 offset:4
	buffer_store_dword v2, off, s[0:3], 0
	buffer_store_dword v5, off, s[0:3], 0 offset:12
	buffer_store_dword v4, off, s[0:3], 0 offset:8
	s_cbranch_vccz .LBB71_77
; %bb.62:
	v_pk_mov_b32 v[2:3], s[16:17], s[16:17] op_sel:[0,1]
	flat_load_dword v2, v[2:3] offset:24
	s_load_dwordx2 s[4:5], s[4:5], 0x4
	v_bfe_u32 v4, v0, 10, 10
	v_bfe_u32 v0, v0, 20, 10
	s_waitcnt lgkmcnt(0)
	s_lshr_b32 s4, s4, 16
	s_mul_i32 s4, s4, s5
	v_mul_u32_u24_e32 v3, s4, v34
	v_mul_u32_u24_e32 v4, s5, v4
	v_add3_u32 v0, v3, v4, v0
	v_mov_b32_e32 v3, 0x108
	v_lshl_add_u32 v0, v0, 4, v3
	s_waitcnt vmcnt(0)
	v_add_u32_e32 v2, -1, v2
	v_cmp_ne_u32_e32 vcc, 6, v2
	s_and_saveexec_b64 s[4:5], vcc
	s_cbranch_execz .LBB71_64
; %bb.63:
	v_mov_b32_e32 v3, 0
	v_lshl_add_u32 v22, v2, 4, v3
	buffer_load_dword v2, v29, s[0:3], 0 offen
	buffer_load_dword v3, v29, s[0:3], 0 offen offset:4
	buffer_load_dword v4, v29, s[0:3], 0 offen offset:8
	buffer_load_dword v5, v29, s[0:3], 0 offen offset:12
	buffer_load_dword v23, v22, s[0:3], 0 offen
	buffer_load_dword v24, v22, s[0:3], 0 offen offset:4
	buffer_load_dword v25, v22, s[0:3], 0 offen offset:8
	buffer_load_dword v26, v22, s[0:3], 0 offen offset:12
	s_waitcnt vmcnt(4)
	ds_write2_b64 v0, v[2:3], v[4:5] offset1:1
	s_waitcnt vmcnt(3)
	buffer_store_dword v23, v29, s[0:3], 0 offen
	s_waitcnt vmcnt(3)
	buffer_store_dword v24, v29, s[0:3], 0 offen offset:4
	s_waitcnt vmcnt(3)
	buffer_store_dword v25, v29, s[0:3], 0 offen offset:8
	s_waitcnt vmcnt(3)
	buffer_store_dword v26, v29, s[0:3], 0 offen offset:12
	buffer_store_dword v5, v22, s[0:3], 0 offen offset:12
	buffer_store_dword v4, v22, s[0:3], 0 offen offset:8
	buffer_store_dword v3, v22, s[0:3], 0 offen offset:4
	buffer_store_dword v2, v22, s[0:3], 0 offen
.LBB71_64:
	s_or_b64 exec, exec, s[4:5]
	v_pk_mov_b32 v[2:3], s[16:17], s[16:17] op_sel:[0,1]
	flat_load_dword v2, v[2:3] offset:20
	s_waitcnt vmcnt(0) lgkmcnt(0)
	v_add_u32_e32 v2, -1, v2
	v_cmp_ne_u32_e32 vcc, 5, v2
	s_and_saveexec_b64 s[4:5], vcc
	s_cbranch_execz .LBB71_66
; %bb.65:
	v_mov_b32_e32 v3, 0
	v_lshl_add_u32 v22, v2, 4, v3
	buffer_load_dword v2, v28, s[0:3], 0 offen
	buffer_load_dword v3, v28, s[0:3], 0 offen offset:4
	buffer_load_dword v4, v28, s[0:3], 0 offen offset:8
	buffer_load_dword v5, v28, s[0:3], 0 offen offset:12
	buffer_load_dword v23, v22, s[0:3], 0 offen
	buffer_load_dword v24, v22, s[0:3], 0 offen offset:4
	buffer_load_dword v25, v22, s[0:3], 0 offen offset:8
	buffer_load_dword v26, v22, s[0:3], 0 offen offset:12
	s_waitcnt vmcnt(4)
	ds_write2_b64 v0, v[2:3], v[4:5] offset1:1
	s_waitcnt vmcnt(3)
	buffer_store_dword v23, v28, s[0:3], 0 offen
	s_waitcnt vmcnt(3)
	buffer_store_dword v24, v28, s[0:3], 0 offen offset:4
	s_waitcnt vmcnt(3)
	buffer_store_dword v25, v28, s[0:3], 0 offen offset:8
	s_waitcnt vmcnt(3)
	buffer_store_dword v26, v28, s[0:3], 0 offen offset:12
	buffer_store_dword v5, v22, s[0:3], 0 offen offset:12
	buffer_store_dword v4, v22, s[0:3], 0 offen offset:8
	buffer_store_dword v3, v22, s[0:3], 0 offen offset:4
	buffer_store_dword v2, v22, s[0:3], 0 offen
.LBB71_66:
	s_or_b64 exec, exec, s[4:5]
	v_pk_mov_b32 v[2:3], s[16:17], s[16:17] op_sel:[0,1]
	flat_load_dword v2, v[2:3] offset:16
	s_waitcnt vmcnt(0) lgkmcnt(0)
	;; [unrolled: 34-line block ×5, first 2 shown]
	v_add_u32_e32 v2, -1, v2
	v_cmp_ne_u32_e32 vcc, 1, v2
	s_and_saveexec_b64 s[4:5], vcc
	s_cbranch_execz .LBB71_74
; %bb.73:
	v_mov_b32_e32 v3, 0
	v_lshl_add_u32 v22, v2, 4, v3
	buffer_load_dword v2, v32, s[0:3], 0 offen
	buffer_load_dword v3, v32, s[0:3], 0 offen offset:4
	buffer_load_dword v4, v32, s[0:3], 0 offen offset:8
	;; [unrolled: 1-line block ×3, first 2 shown]
	buffer_load_dword v23, v22, s[0:3], 0 offen
	buffer_load_dword v24, v22, s[0:3], 0 offen offset:4
	buffer_load_dword v25, v22, s[0:3], 0 offen offset:8
	;; [unrolled: 1-line block ×3, first 2 shown]
	s_waitcnt vmcnt(4)
	ds_write2_b64 v0, v[2:3], v[4:5] offset1:1
	s_waitcnt vmcnt(3)
	buffer_store_dword v23, v32, s[0:3], 0 offen
	s_waitcnt vmcnt(3)
	buffer_store_dword v24, v32, s[0:3], 0 offen offset:4
	s_waitcnt vmcnt(3)
	buffer_store_dword v25, v32, s[0:3], 0 offen offset:8
	;; [unrolled: 2-line block ×3, first 2 shown]
	buffer_store_dword v5, v22, s[0:3], 0 offen offset:12
	buffer_store_dword v4, v22, s[0:3], 0 offen offset:8
	;; [unrolled: 1-line block ×3, first 2 shown]
	buffer_store_dword v2, v22, s[0:3], 0 offen
.LBB71_74:
	s_or_b64 exec, exec, s[4:5]
	v_pk_mov_b32 v[2:3], s[16:17], s[16:17] op_sel:[0,1]
	flat_load_dword v2, v[2:3]
	s_waitcnt vmcnt(0) lgkmcnt(0)
	v_add_u32_e32 v2, -1, v2
	v_cmp_ne_u32_e32 vcc, 0, v2
	s_and_saveexec_b64 s[4:5], vcc
	s_cbranch_execz .LBB71_76
; %bb.75:
	v_mov_b32_e32 v3, 0
	v_lshl_add_u32 v22, v2, 4, v3
	buffer_load_dword v2, off, s[0:3], 0
	buffer_load_dword v3, off, s[0:3], 0 offset:4
	buffer_load_dword v4, off, s[0:3], 0 offset:8
	;; [unrolled: 1-line block ×3, first 2 shown]
	buffer_load_dword v23, v22, s[0:3], 0 offen
	buffer_load_dword v24, v22, s[0:3], 0 offen offset:4
	buffer_load_dword v25, v22, s[0:3], 0 offen offset:8
	;; [unrolled: 1-line block ×3, first 2 shown]
	s_waitcnt vmcnt(4)
	ds_write2_b64 v0, v[2:3], v[4:5] offset1:1
	s_waitcnt vmcnt(3)
	buffer_store_dword v23, off, s[0:3], 0
	s_waitcnt vmcnt(3)
	buffer_store_dword v24, off, s[0:3], 0 offset:4
	s_waitcnt vmcnt(3)
	buffer_store_dword v25, off, s[0:3], 0 offset:8
	;; [unrolled: 2-line block ×3, first 2 shown]
	buffer_store_dword v5, v22, s[0:3], 0 offen offset:12
	buffer_store_dword v4, v22, s[0:3], 0 offen offset:8
	;; [unrolled: 1-line block ×3, first 2 shown]
	buffer_store_dword v2, v22, s[0:3], 0 offen
.LBB71_76:
	s_or_b64 exec, exec, s[4:5]
.LBB71_77:
	buffer_load_dword v2, off, s[0:3], 0
	buffer_load_dword v3, off, s[0:3], 0 offset:4
	buffer_load_dword v4, off, s[0:3], 0 offset:8
	;; [unrolled: 1-line block ×3, first 2 shown]
	buffer_load_dword v23, v32, s[0:3], 0 offen offset:4
	buffer_load_dword v24, v32, s[0:3], 0 offen offset:8
	;; [unrolled: 1-line block ×3, first 2 shown]
	buffer_load_dword v34, v31, s[0:3], 0 offen
	buffer_load_dword v35, v31, s[0:3], 0 offen offset:4
	buffer_load_dword v36, v31, s[0:3], 0 offen offset:8
	buffer_load_dword v22, v32, s[0:3], 0 offen
	buffer_load_dword v37, v31, s[0:3], 0 offen offset:12
	buffer_load_dword v39, v33, s[0:3], 0 offen offset:4
	;; [unrolled: 1-line block ×4, first 2 shown]
	buffer_load_dword v42, v1, s[0:3], 0 offen
	buffer_load_dword v43, v1, s[0:3], 0 offen offset:4
	buffer_load_dword v44, v1, s[0:3], 0 offen offset:8
	buffer_load_dword v38, v33, s[0:3], 0 offen
                                        ; kill: killed $vgpr32
                                        ; kill: killed $vgpr33
                                        ; kill: killed $vgpr31
	buffer_load_dword v45, v1, s[0:3], 0 offen offset:12
	buffer_load_dword v47, v28, s[0:3], 0 offen offset:4
	;; [unrolled: 1-line block ×4, first 2 shown]
	buffer_load_dword v50, v29, s[0:3], 0 offen
	buffer_load_dword v51, v29, s[0:3], 0 offen offset:4
	buffer_load_dword v52, v29, s[0:3], 0 offen offset:8
	buffer_load_dword v46, v28, s[0:3], 0 offen
	buffer_load_dword v53, v29, s[0:3], 0 offen offset:12
	buffer_load_dword v54, v30, s[0:3], 0 offen
	buffer_load_dword v55, v30, s[0:3], 0 offen offset:4
	buffer_load_dword v56, v30, s[0:3], 0 offen offset:8
	;; [unrolled: 1-line block ×3, first 2 shown]
	s_waitcnt vmcnt(28)
	global_store_dwordx4 v[6:7], v[2:5], off
	s_waitcnt vmcnt(22)
	global_store_dwordx4 v[8:9], v[22:25], off
	;; [unrolled: 2-line block ×8, first 2 shown]
	s_endpgm
	.section	.rodata,"a",@progbits
	.p2align	6, 0x0
	.amdhsa_kernel _ZN9rocsolver6v33100L18getri_kernel_smallILi8E19rocblas_complex_numIdEPKPS3_EEvT1_iilPiilS8_bb
		.amdhsa_group_segment_fixed_size 1288
		.amdhsa_private_segment_fixed_size 144
		.amdhsa_kernarg_size 60
		.amdhsa_user_sgpr_count 10
		.amdhsa_user_sgpr_private_segment_buffer 1
		.amdhsa_user_sgpr_dispatch_ptr 1
		.amdhsa_user_sgpr_queue_ptr 0
		.amdhsa_user_sgpr_kernarg_segment_ptr 1
		.amdhsa_user_sgpr_dispatch_id 0
		.amdhsa_user_sgpr_flat_scratch_init 1
		.amdhsa_user_sgpr_kernarg_preload_length 0
		.amdhsa_user_sgpr_kernarg_preload_offset 0
		.amdhsa_user_sgpr_private_segment_size 0
		.amdhsa_uses_dynamic_stack 0
		.amdhsa_system_sgpr_private_segment_wavefront_offset 1
		.amdhsa_system_sgpr_workgroup_id_x 1
		.amdhsa_system_sgpr_workgroup_id_y 0
		.amdhsa_system_sgpr_workgroup_id_z 0
		.amdhsa_system_sgpr_workgroup_info 0
		.amdhsa_system_vgpr_workitem_id 2
		.amdhsa_next_free_vgpr 100
		.amdhsa_next_free_sgpr 24
		.amdhsa_accum_offset 100
		.amdhsa_reserve_vcc 1
		.amdhsa_reserve_flat_scratch 1
		.amdhsa_float_round_mode_32 0
		.amdhsa_float_round_mode_16_64 0
		.amdhsa_float_denorm_mode_32 3
		.amdhsa_float_denorm_mode_16_64 3
		.amdhsa_dx10_clamp 1
		.amdhsa_ieee_mode 1
		.amdhsa_fp16_overflow 0
		.amdhsa_tg_split 0
		.amdhsa_exception_fp_ieee_invalid_op 0
		.amdhsa_exception_fp_denorm_src 0
		.amdhsa_exception_fp_ieee_div_zero 0
		.amdhsa_exception_fp_ieee_overflow 0
		.amdhsa_exception_fp_ieee_underflow 0
		.amdhsa_exception_fp_ieee_inexact 0
		.amdhsa_exception_int_div_zero 0
	.end_amdhsa_kernel
	.section	.text._ZN9rocsolver6v33100L18getri_kernel_smallILi8E19rocblas_complex_numIdEPKPS3_EEvT1_iilPiilS8_bb,"axG",@progbits,_ZN9rocsolver6v33100L18getri_kernel_smallILi8E19rocblas_complex_numIdEPKPS3_EEvT1_iilPiilS8_bb,comdat
.Lfunc_end71:
	.size	_ZN9rocsolver6v33100L18getri_kernel_smallILi8E19rocblas_complex_numIdEPKPS3_EEvT1_iilPiilS8_bb, .Lfunc_end71-_ZN9rocsolver6v33100L18getri_kernel_smallILi8E19rocblas_complex_numIdEPKPS3_EEvT1_iilPiilS8_bb
                                        ; -- End function
	.section	.AMDGPU.csdata,"",@progbits
; Kernel info:
; codeLenInByte = 9660
; NumSgprs: 30
; NumVgprs: 100
; NumAgprs: 0
; TotalNumVgprs: 100
; ScratchSize: 144
; MemoryBound: 0
; FloatMode: 240
; IeeeMode: 1
; LDSByteSize: 1288 bytes/workgroup (compile time only)
; SGPRBlocks: 3
; VGPRBlocks: 12
; NumSGPRsForWavesPerEU: 30
; NumVGPRsForWavesPerEU: 100
; AccumOffset: 100
; Occupancy: 4
; WaveLimiterHint : 1
; COMPUTE_PGM_RSRC2:SCRATCH_EN: 1
; COMPUTE_PGM_RSRC2:USER_SGPR: 10
; COMPUTE_PGM_RSRC2:TRAP_HANDLER: 0
; COMPUTE_PGM_RSRC2:TGID_X_EN: 1
; COMPUTE_PGM_RSRC2:TGID_Y_EN: 0
; COMPUTE_PGM_RSRC2:TGID_Z_EN: 0
; COMPUTE_PGM_RSRC2:TIDIG_COMP_CNT: 2
; COMPUTE_PGM_RSRC3_GFX90A:ACCUM_OFFSET: 24
; COMPUTE_PGM_RSRC3_GFX90A:TG_SPLIT: 0
	.section	.text._ZN9rocsolver6v33100L18getri_kernel_smallILi9E19rocblas_complex_numIdEPKPS3_EEvT1_iilPiilS8_bb,"axG",@progbits,_ZN9rocsolver6v33100L18getri_kernel_smallILi9E19rocblas_complex_numIdEPKPS3_EEvT1_iilPiilS8_bb,comdat
	.globl	_ZN9rocsolver6v33100L18getri_kernel_smallILi9E19rocblas_complex_numIdEPKPS3_EEvT1_iilPiilS8_bb ; -- Begin function _ZN9rocsolver6v33100L18getri_kernel_smallILi9E19rocblas_complex_numIdEPKPS3_EEvT1_iilPiilS8_bb
	.p2align	8
	.type	_ZN9rocsolver6v33100L18getri_kernel_smallILi9E19rocblas_complex_numIdEPKPS3_EEvT1_iilPiilS8_bb,@function
_ZN9rocsolver6v33100L18getri_kernel_smallILi9E19rocblas_complex_numIdEPKPS3_EEvT1_iilPiilS8_bb: ; @_ZN9rocsolver6v33100L18getri_kernel_smallILi9E19rocblas_complex_numIdEPKPS3_EEvT1_iilPiilS8_bb
; %bb.0:
	s_add_u32 flat_scratch_lo, s8, s11
	s_addc_u32 flat_scratch_hi, s9, 0
	s_add_u32 s0, s0, s11
	v_and_b32_e32 v37, 0x3ff, v0
	s_addc_u32 s1, s1, 0
	v_cmp_gt_u32_e32 vcc, 9, v37
	s_and_saveexec_b64 s[8:9], vcc
	s_cbranch_execz .LBB72_50
; %bb.1:
	s_load_dword s20, s[6:7], 0x38
	s_load_dwordx2 s[8:9], s[6:7], 0x0
	s_load_dwordx4 s[12:15], s[6:7], 0x28
	s_waitcnt lgkmcnt(0)
	s_bitcmp1_b32 s20, 8
	s_cselect_b64 s[18:19], -1, 0
	s_ashr_i32 s11, s10, 31
	s_lshl_b64 s[16:17], s[10:11], 3
	s_add_u32 s8, s8, s16
	s_addc_u32 s9, s9, s17
	s_load_dwordx2 s[8:9], s[8:9], 0x0
	s_bfe_u32 s16, s20, 0x10008
	s_cmp_eq_u32 s16, 0
                                        ; implicit-def: $sgpr16_sgpr17
	s_cbranch_scc1 .LBB72_3
; %bb.2:
	s_load_dword s16, s[6:7], 0x20
	s_load_dwordx2 s[22:23], s[6:7], 0x18
	s_mul_i32 s13, s10, s13
	s_mul_hi_u32 s17, s10, s12
	s_add_i32 s13, s17, s13
	s_mul_i32 s21, s11, s12
	s_add_i32 s13, s13, s21
	s_mul_i32 s12, s10, s12
	s_waitcnt lgkmcnt(0)
	s_ashr_i32 s17, s16, 31
	s_lshl_b64 s[12:13], s[12:13], 2
	s_add_u32 s21, s22, s12
	s_addc_u32 s22, s23, s13
	s_lshl_b64 s[12:13], s[16:17], 2
	s_add_u32 s16, s21, s12
	s_addc_u32 s17, s22, s13
.LBB72_3:
	s_load_dwordx2 s[6:7], s[6:7], 0x8
	v_lshlrev_b32_e32 v38, 4, v37
	v_mov_b32_e32 v32, 0
	v_add_u32_e32 v34, 16, v32
	v_add_u32_e32 v35, 32, v32
	s_waitcnt lgkmcnt(0)
	s_ashr_i32 s13, s6, 31
	s_mov_b32 s12, s6
	s_lshl_b64 s[12:13], s[12:13], 4
	s_add_u32 s8, s8, s12
	s_addc_u32 s9, s9, s13
	v_mov_b32_e32 v1, s9
	v_add_co_u32_e32 v6, vcc, s8, v38
	s_ashr_i32 s13, s7, 31
	s_mov_b32 s12, s7
	s_add_i32 s6, s7, s7
	v_addc_co_u32_e32 v7, vcc, 0, v1, vcc
	s_lshl_b64 s[12:13], s[12:13], 4
	v_add_u32_e32 v12, s6, v37
	v_mov_b32_e32 v1, s13
	v_add_co_u32_e32 v8, vcc, s12, v6
	v_ashrrev_i32_e32 v13, 31, v12
	v_addc_co_u32_e32 v9, vcc, v7, v1, vcc
	v_lshlrev_b64 v[10:11], 4, v[12:13]
	v_add_u32_e32 v14, s7, v12
	v_mov_b32_e32 v1, s9
	v_add_co_u32_e32 v10, vcc, s8, v10
	v_ashrrev_i32_e32 v15, 31, v14
	v_addc_co_u32_e32 v11, vcc, v1, v11, vcc
	v_lshlrev_b64 v[12:13], 4, v[14:15]
	v_add_u32_e32 v16, s7, v14
	v_add_co_u32_e32 v12, vcc, s8, v12
	v_ashrrev_i32_e32 v17, 31, v16
	v_addc_co_u32_e32 v13, vcc, v1, v13, vcc
	v_lshlrev_b64 v[14:15], 4, v[16:17]
	v_add_u32_e32 v18, s7, v16
	;; [unrolled: 5-line block ×5, first 2 shown]
	v_add_co_u32_e32 v20, vcc, s8, v20
	v_ashrrev_i32_e32 v23, 31, v22
	v_addc_co_u32_e32 v21, vcc, v1, v21, vcc
	v_lshlrev_b64 v[22:23], 4, v[22:23]
	v_add_co_u32_e32 v22, vcc, s8, v22
	global_load_dwordx4 v[2:5], v38, s[8:9]
	global_load_dwordx4 v[24:27], v[8:9], off
	global_load_dwordx4 v[28:31], v[10:11], off
	v_addc_co_u32_e32 v23, vcc, v1, v23, vcc
	global_load_dwordx4 v[40:43], v[12:13], off
	global_load_dwordx4 v[44:47], v[14:15], off
	;; [unrolled: 1-line block ×6, first 2 shown]
	v_add_u32_e32 v36, 48, v32
	v_add_u32_e32 v1, 64, v32
	;; [unrolled: 1-line block ×3, first 2 shown]
	s_bitcmp0_b32 s20, 0
	s_mov_b64 s[8:9], -1
	s_waitcnt vmcnt(8)
	buffer_store_dword v5, off, s[0:3], 0 offset:12
	buffer_store_dword v4, off, s[0:3], 0 offset:8
	;; [unrolled: 1-line block ×3, first 2 shown]
	buffer_store_dword v2, off, s[0:3], 0
	s_waitcnt vmcnt(11)
	buffer_store_dword v27, off, s[0:3], 0 offset:28
	buffer_store_dword v26, off, s[0:3], 0 offset:24
	;; [unrolled: 1-line block ×4, first 2 shown]
	s_waitcnt vmcnt(14)
	buffer_store_dword v31, off, s[0:3], 0 offset:44
	buffer_store_dword v30, off, s[0:3], 0 offset:40
	;; [unrolled: 1-line block ×4, first 2 shown]
	v_add_u32_e32 v30, 0x50, v32
	v_add_u32_e32 v31, 0x60, v32
	;; [unrolled: 1-line block ×3, first 2 shown]
	s_waitcnt vmcnt(17)
	buffer_store_dword v43, off, s[0:3], 0 offset:60
	buffer_store_dword v42, off, s[0:3], 0 offset:56
	buffer_store_dword v41, off, s[0:3], 0 offset:52
	buffer_store_dword v40, off, s[0:3], 0 offset:48
	s_waitcnt vmcnt(20)
	buffer_store_dword v47, off, s[0:3], 0 offset:76
	buffer_store_dword v46, off, s[0:3], 0 offset:72
	buffer_store_dword v45, off, s[0:3], 0 offset:68
	buffer_store_dword v44, off, s[0:3], 0 offset:64
	;; [unrolled: 5-line block ×6, first 2 shown]
	s_cbranch_scc1 .LBB72_48
; %bb.4:
	v_cmp_eq_u32_e64 s[6:7], 0, v37
	s_and_saveexec_b64 s[8:9], s[6:7]
	s_cbranch_execz .LBB72_6
; %bb.5:
	v_mov_b32_e32 v2, 0
	ds_write_b32 v2, v2 offset:288
.LBB72_6:
	s_or_b64 exec, exec, s[8:9]
	v_mov_b32_e32 v2, 0
	v_lshl_add_u32 v39, v37, 4, v2
	s_waitcnt lgkmcnt(0)
	; wave barrier
	s_waitcnt lgkmcnt(0)
	buffer_load_dword v2, v39, s[0:3], 0 offen
	buffer_load_dword v3, v39, s[0:3], 0 offen offset:4
	buffer_load_dword v4, v39, s[0:3], 0 offen offset:8
	buffer_load_dword v5, v39, s[0:3], 0 offen offset:12
	s_waitcnt vmcnt(2)
	v_cmp_eq_f64_e32 vcc, 0, v[2:3]
	s_waitcnt vmcnt(0)
	v_cmp_eq_f64_e64 s[8:9], 0, v[4:5]
	s_and_b64 s[8:9], vcc, s[8:9]
	s_and_saveexec_b64 s[12:13], s[8:9]
	s_cbranch_execz .LBB72_10
; %bb.7:
	v_mov_b32_e32 v2, 0
	ds_read_b32 v4, v2 offset:288
	v_add_u32_e32 v3, 1, v37
	s_waitcnt lgkmcnt(0)
	v_readfirstlane_b32 s8, v4
	s_cmp_eq_u32 s8, 0
	s_cselect_b64 s[20:21], -1, 0
	v_cmp_gt_i32_e32 vcc, s8, v3
	s_or_b64 s[20:21], s[20:21], vcc
	s_and_b64 exec, exec, s[20:21]
	s_cbranch_execz .LBB72_10
; %bb.8:
	s_mov_b64 s[20:21], 0
	v_mov_b32_e32 v4, s8
.LBB72_9:                               ; =>This Inner Loop Header: Depth=1
	ds_cmpst_rtn_b32 v4, v2, v4, v3 offset:288
	s_waitcnt lgkmcnt(0)
	v_cmp_ne_u32_e32 vcc, 0, v4
	v_cmp_le_i32_e64 s[8:9], v4, v3
	s_and_b64 s[8:9], vcc, s[8:9]
	s_and_b64 s[8:9], exec, s[8:9]
	s_or_b64 s[20:21], s[8:9], s[20:21]
	s_andn2_b64 exec, exec, s[20:21]
	s_cbranch_execnz .LBB72_9
.LBB72_10:
	s_or_b64 exec, exec, s[12:13]
	v_mov_b32_e32 v3, 0
	s_waitcnt lgkmcnt(0)
	; wave barrier
	ds_read_b32 v2, v3 offset:288
	s_and_saveexec_b64 s[8:9], s[6:7]
	s_cbranch_execz .LBB72_12
; %bb.11:
	s_lshl_b64 s[12:13], s[10:11], 2
	s_add_u32 s12, s14, s12
	s_addc_u32 s13, s15, s13
	s_waitcnt lgkmcnt(0)
	global_store_dword v3, v2, s[12:13]
.LBB72_12:
	s_or_b64 exec, exec, s[8:9]
	s_waitcnt lgkmcnt(0)
	v_cmp_ne_u32_e32 vcc, 0, v2
	s_mov_b64 s[8:9], 0
	s_cbranch_vccnz .LBB72_48
; %bb.13:
	buffer_load_dword v25, v39, s[0:3], 0 offen offset:4
	buffer_load_dword v24, v39, s[0:3], 0 offen
	buffer_load_dword v27, v39, s[0:3], 0 offen offset:12
	buffer_load_dword v26, v39, s[0:3], 0 offen offset:8
                                        ; implicit-def: $vgpr28_vgpr29
	s_waitcnt vmcnt(3)
	v_xor_b32_e32 v3, 0x80000000, v25
	s_waitcnt vmcnt(2)
	v_cmp_gt_f64_e32 vcc, 0, v[24:25]
	s_waitcnt vmcnt(1)
	v_xor_b32_e32 v4, 0x80000000, v27
	v_cndmask_b32_e32 v3, v25, v3, vcc
	s_waitcnt vmcnt(0)
	v_cmp_gt_f64_e32 vcc, 0, v[26:27]
	v_mov_b32_e32 v2, v24
	v_cndmask_b32_e32 v5, v27, v4, vcc
	v_mov_b32_e32 v4, v26
	v_cmp_ngt_f64_e32 vcc, v[2:3], v[4:5]
                                        ; implicit-def: $vgpr4_vgpr5
	s_and_saveexec_b64 s[8:9], vcc
	s_xor_b64 s[8:9], exec, s[8:9]
	s_cbranch_execz .LBB72_15
; %bb.14:
	v_div_scale_f64 v[2:3], s[12:13], v[26:27], v[26:27], v[24:25]
	v_rcp_f64_e32 v[4:5], v[2:3]
	v_div_scale_f64 v[28:29], vcc, v[24:25], v[26:27], v[24:25]
	v_fma_f64 v[40:41], -v[2:3], v[4:5], 1.0
	v_fmac_f64_e32 v[4:5], v[4:5], v[40:41]
	v_fma_f64 v[40:41], -v[2:3], v[4:5], 1.0
	v_fmac_f64_e32 v[4:5], v[4:5], v[40:41]
	v_mul_f64 v[40:41], v[28:29], v[4:5]
	v_fma_f64 v[2:3], -v[2:3], v[40:41], v[28:29]
	v_div_fmas_f64 v[2:3], v[2:3], v[4:5], v[40:41]
	v_div_fixup_f64 v[2:3], v[2:3], v[26:27], v[24:25]
	v_fmac_f64_e32 v[26:27], v[24:25], v[2:3]
	v_div_scale_f64 v[4:5], s[12:13], v[26:27], v[26:27], 1.0
	v_rcp_f64_e32 v[24:25], v[4:5]
	v_fma_f64 v[28:29], -v[4:5], v[24:25], 1.0
	v_fmac_f64_e32 v[24:25], v[24:25], v[28:29]
	v_fma_f64 v[28:29], -v[4:5], v[24:25], 1.0
	v_fmac_f64_e32 v[24:25], v[24:25], v[28:29]
	v_div_scale_f64 v[28:29], vcc, 1.0, v[26:27], 1.0
	v_mul_f64 v[40:41], v[28:29], v[24:25]
	v_fma_f64 v[4:5], -v[4:5], v[40:41], v[28:29]
	s_nop 1
	v_div_fmas_f64 v[4:5], v[4:5], v[24:25], v[40:41]
	v_div_fixup_f64 v[4:5], v[4:5], v[26:27], 1.0
	v_mul_f64 v[28:29], v[2:3], v[4:5]
	v_xor_b32_e32 v5, 0x80000000, v5
	v_xor_b32_e32 v3, 0x80000000, v29
	v_mov_b32_e32 v2, v28
                                        ; implicit-def: $vgpr24_vgpr25
                                        ; implicit-def: $vgpr26_vgpr27
.LBB72_15:
	s_andn2_saveexec_b64 s[8:9], s[8:9]
	s_cbranch_execz .LBB72_17
; %bb.16:
	v_div_scale_f64 v[2:3], s[12:13], v[24:25], v[24:25], v[26:27]
	v_rcp_f64_e32 v[4:5], v[2:3]
	v_div_scale_f64 v[28:29], vcc, v[26:27], v[24:25], v[26:27]
	v_fma_f64 v[40:41], -v[2:3], v[4:5], 1.0
	v_fmac_f64_e32 v[4:5], v[4:5], v[40:41]
	v_fma_f64 v[40:41], -v[2:3], v[4:5], 1.0
	v_fmac_f64_e32 v[4:5], v[4:5], v[40:41]
	v_mul_f64 v[40:41], v[28:29], v[4:5]
	v_fma_f64 v[2:3], -v[2:3], v[40:41], v[28:29]
	v_div_fmas_f64 v[2:3], v[2:3], v[4:5], v[40:41]
	v_div_fixup_f64 v[4:5], v[2:3], v[24:25], v[26:27]
	v_fmac_f64_e32 v[24:25], v[26:27], v[4:5]
	v_div_scale_f64 v[2:3], s[12:13], v[24:25], v[24:25], 1.0
	v_rcp_f64_e32 v[26:27], v[2:3]
	v_fma_f64 v[28:29], -v[2:3], v[26:27], 1.0
	v_fmac_f64_e32 v[26:27], v[26:27], v[28:29]
	v_fma_f64 v[28:29], -v[2:3], v[26:27], 1.0
	v_fmac_f64_e32 v[26:27], v[26:27], v[28:29]
	v_div_scale_f64 v[28:29], vcc, 1.0, v[24:25], 1.0
	v_mul_f64 v[40:41], v[28:29], v[26:27]
	v_fma_f64 v[2:3], -v[2:3], v[40:41], v[28:29]
	s_nop 1
	v_div_fmas_f64 v[2:3], v[2:3], v[26:27], v[40:41]
	v_div_fixup_f64 v[28:29], v[2:3], v[24:25], 1.0
	v_xor_b32_e32 v3, 0x80000000, v29
	v_mov_b32_e32 v2, v28
	v_mul_f64 v[4:5], v[4:5], -v[28:29]
.LBB72_17:
	s_or_b64 exec, exec, s[8:9]
	buffer_store_dword v29, v39, s[0:3], 0 offen offset:4
	buffer_store_dword v28, v39, s[0:3], 0 offen
	buffer_store_dword v5, v39, s[0:3], 0 offen offset:12
	buffer_store_dword v4, v39, s[0:3], 0 offen offset:8
	buffer_load_dword v29, v34, s[0:3], 0 offen offset:12
	s_nop 0
	buffer_load_dword v28, v34, s[0:3], 0 offen offset:8
	buffer_load_dword v27, v34, s[0:3], 0 offen offset:4
	buffer_load_dword v26, v34, s[0:3], 0 offen
	v_xor_b32_e32 v5, 0x80000000, v5
	v_add_u32_e32 v24, 0x90, v38
	ds_write_b128 v38, v[2:5]
	s_waitcnt vmcnt(0)
	ds_write_b128 v38, v[26:29] offset:144
	s_waitcnt lgkmcnt(0)
	; wave barrier
	s_waitcnt lgkmcnt(0)
	s_and_saveexec_b64 s[8:9], s[6:7]
	s_cbranch_execz .LBB72_19
; %bb.18:
	buffer_load_dword v40, v39, s[0:3], 0 offen offset:8
	buffer_load_dword v41, v39, s[0:3], 0 offen offset:12
	buffer_load_dword v42, v39, s[0:3], 0 offen
	buffer_load_dword v43, v39, s[0:3], 0 offen offset:4
	ds_read_b128 v[2:5], v24
	v_mov_b32_e32 v25, 0
	ds_read_b128 v[26:29], v25 offset:16
	s_waitcnt vmcnt(2) lgkmcnt(1)
	v_mul_f64 v[44:45], v[4:5], v[40:41]
	v_mul_f64 v[40:41], v[2:3], v[40:41]
	s_waitcnt vmcnt(0)
	v_fmac_f64_e32 v[40:41], v[4:5], v[42:43]
	v_fma_f64 v[2:3], v[2:3], v[42:43], -v[44:45]
	v_add_f64 v[4:5], v[40:41], 0
	v_add_f64 v[2:3], v[2:3], 0
	s_waitcnt lgkmcnt(0)
	v_mul_f64 v[40:41], v[4:5], v[28:29]
	v_mul_f64 v[28:29], v[2:3], v[28:29]
	v_fma_f64 v[2:3], v[2:3], v[26:27], -v[40:41]
	v_fmac_f64_e32 v[28:29], v[4:5], v[26:27]
	buffer_store_dword v2, off, s[0:3], 0 offset:16
	buffer_store_dword v3, off, s[0:3], 0 offset:20
	;; [unrolled: 1-line block ×4, first 2 shown]
.LBB72_19:
	s_or_b64 exec, exec, s[8:9]
	s_waitcnt lgkmcnt(0)
	; wave barrier
	buffer_load_dword v2, v35, s[0:3], 0 offen
	buffer_load_dword v3, v35, s[0:3], 0 offen offset:4
	buffer_load_dword v4, v35, s[0:3], 0 offen offset:8
	;; [unrolled: 1-line block ×3, first 2 shown]
	v_cmp_gt_u32_e32 vcc, 2, v37
	s_waitcnt vmcnt(0)
	ds_write_b128 v24, v[2:5]
	s_waitcnt lgkmcnt(0)
	; wave barrier
	s_waitcnt lgkmcnt(0)
	s_and_saveexec_b64 s[8:9], vcc
	s_cbranch_execz .LBB72_23
; %bb.20:
	buffer_load_dword v26, v39, s[0:3], 0 offen offset:8
	buffer_load_dword v27, v39, s[0:3], 0 offen offset:12
	buffer_load_dword v28, v39, s[0:3], 0 offen
	buffer_load_dword v29, v39, s[0:3], 0 offen offset:4
	ds_read_b128 v[2:5], v24
	s_waitcnt vmcnt(2) lgkmcnt(0)
	v_mul_f64 v[40:41], v[4:5], v[26:27]
	v_mul_f64 v[26:27], v[2:3], v[26:27]
	s_waitcnt vmcnt(0)
	v_fma_f64 v[2:3], v[2:3], v[28:29], -v[40:41]
	v_fmac_f64_e32 v[26:27], v[4:5], v[28:29]
	v_add_f64 v[4:5], v[2:3], 0
	v_add_f64 v[2:3], v[26:27], 0
	s_and_saveexec_b64 s[12:13], s[6:7]
	s_cbranch_execz .LBB72_22
; %bb.21:
	buffer_load_dword v40, off, s[0:3], 0 offset:24
	buffer_load_dword v41, off, s[0:3], 0 offset:28
	;; [unrolled: 1-line block ×4, first 2 shown]
	v_mov_b32_e32 v25, 0
	ds_read_b128 v[26:29], v25 offset:160
	s_waitcnt vmcnt(2) lgkmcnt(0)
	v_mul_f64 v[44:45], v[26:27], v[40:41]
	v_mul_f64 v[40:41], v[28:29], v[40:41]
	s_waitcnt vmcnt(0)
	v_fmac_f64_e32 v[44:45], v[28:29], v[42:43]
	v_fma_f64 v[26:27], v[26:27], v[42:43], -v[40:41]
	v_add_f64 v[2:3], v[2:3], v[44:45]
	v_add_f64 v[4:5], v[4:5], v[26:27]
.LBB72_22:
	s_or_b64 exec, exec, s[12:13]
	v_mov_b32_e32 v25, 0
	ds_read_b128 v[26:29], v25 offset:32
	s_waitcnt lgkmcnt(0)
	v_mul_f64 v[40:41], v[2:3], v[28:29]
	v_mul_f64 v[28:29], v[4:5], v[28:29]
	v_fma_f64 v[4:5], v[4:5], v[26:27], -v[40:41]
	v_fmac_f64_e32 v[28:29], v[2:3], v[26:27]
	buffer_store_dword v5, off, s[0:3], 0 offset:36
	buffer_store_dword v4, off, s[0:3], 0 offset:32
	;; [unrolled: 1-line block ×4, first 2 shown]
.LBB72_23:
	s_or_b64 exec, exec, s[8:9]
	s_waitcnt lgkmcnt(0)
	; wave barrier
	buffer_load_dword v2, v36, s[0:3], 0 offen
	buffer_load_dword v3, v36, s[0:3], 0 offen offset:4
	buffer_load_dword v4, v36, s[0:3], 0 offen offset:8
	;; [unrolled: 1-line block ×3, first 2 shown]
	v_cmp_gt_u32_e32 vcc, 3, v37
	v_add_u32_e32 v25, -1, v37
	s_waitcnt vmcnt(0)
	ds_write_b128 v24, v[2:5]
	s_waitcnt lgkmcnt(0)
	; wave barrier
	s_waitcnt lgkmcnt(0)
	s_and_saveexec_b64 s[6:7], vcc
	s_cbranch_execz .LBB72_27
; %bb.24:
	v_pk_mov_b32 v[2:3], 0, 0
	v_add_u32_e32 v26, -1, v37
	v_add_u32_e32 v27, 0x90, v38
	v_add_u32_e32 v28, 0, v38
	s_mov_b64 s[8:9], 0
	v_pk_mov_b32 v[4:5], v[2:3], v[2:3] op_sel:[0,1]
.LBB72_25:                              ; =>This Inner Loop Header: Depth=1
	buffer_load_dword v44, v28, s[0:3], 0 offen offset:8
	buffer_load_dword v45, v28, s[0:3], 0 offen offset:12
	buffer_load_dword v46, v28, s[0:3], 0 offen
	buffer_load_dword v47, v28, s[0:3], 0 offen offset:4
	ds_read_b128 v[40:43], v27
	v_add_u32_e32 v26, 1, v26
	v_cmp_lt_u32_e32 vcc, 1, v26
	v_add_u32_e32 v27, 16, v27
	v_add_u32_e32 v28, 16, v28
	s_or_b64 s[8:9], vcc, s[8:9]
	s_waitcnt vmcnt(2) lgkmcnt(0)
	v_mul_f64 v[48:49], v[42:43], v[44:45]
	v_mul_f64 v[44:45], v[40:41], v[44:45]
	s_waitcnt vmcnt(0)
	v_fma_f64 v[40:41], v[40:41], v[46:47], -v[48:49]
	v_fmac_f64_e32 v[44:45], v[42:43], v[46:47]
	v_add_f64 v[4:5], v[4:5], v[40:41]
	v_add_f64 v[2:3], v[2:3], v[44:45]
	s_andn2_b64 exec, exec, s[8:9]
	s_cbranch_execnz .LBB72_25
; %bb.26:
	s_or_b64 exec, exec, s[8:9]
	v_mov_b32_e32 v26, 0
	ds_read_b128 v[26:29], v26 offset:48
	s_waitcnt lgkmcnt(0)
	v_mul_f64 v[40:41], v[2:3], v[28:29]
	v_mul_f64 v[28:29], v[4:5], v[28:29]
	v_fma_f64 v[4:5], v[4:5], v[26:27], -v[40:41]
	v_fmac_f64_e32 v[28:29], v[2:3], v[26:27]
	buffer_store_dword v5, off, s[0:3], 0 offset:52
	buffer_store_dword v4, off, s[0:3], 0 offset:48
	buffer_store_dword v29, off, s[0:3], 0 offset:60
	buffer_store_dword v28, off, s[0:3], 0 offset:56
.LBB72_27:
	s_or_b64 exec, exec, s[6:7]
	s_waitcnt lgkmcnt(0)
	; wave barrier
	buffer_load_dword v2, v1, s[0:3], 0 offen
	buffer_load_dword v3, v1, s[0:3], 0 offen offset:4
	buffer_load_dword v4, v1, s[0:3], 0 offen offset:8
	buffer_load_dword v5, v1, s[0:3], 0 offen offset:12
	v_cmp_gt_u32_e32 vcc, 4, v37
	s_waitcnt vmcnt(0)
	ds_write_b128 v24, v[2:5]
	s_waitcnt lgkmcnt(0)
	; wave barrier
	s_waitcnt lgkmcnt(0)
	s_and_saveexec_b64 s[6:7], vcc
	s_cbranch_execz .LBB72_31
; %bb.28:
	v_pk_mov_b32 v[2:3], 0, 0
	v_add_u32_e32 v26, -1, v37
	v_add_u32_e32 v27, 0x90, v38
	v_add_u32_e32 v28, 0, v38
	s_mov_b64 s[8:9], 0
	v_pk_mov_b32 v[4:5], v[2:3], v[2:3] op_sel:[0,1]
.LBB72_29:                              ; =>This Inner Loop Header: Depth=1
	buffer_load_dword v44, v28, s[0:3], 0 offen offset:8
	buffer_load_dword v45, v28, s[0:3], 0 offen offset:12
	buffer_load_dword v46, v28, s[0:3], 0 offen
	buffer_load_dword v47, v28, s[0:3], 0 offen offset:4
	ds_read_b128 v[40:43], v27
	v_add_u32_e32 v26, 1, v26
	v_cmp_lt_u32_e32 vcc, 2, v26
	v_add_u32_e32 v27, 16, v27
	v_add_u32_e32 v28, 16, v28
	s_or_b64 s[8:9], vcc, s[8:9]
	s_waitcnt vmcnt(2) lgkmcnt(0)
	v_mul_f64 v[48:49], v[42:43], v[44:45]
	v_mul_f64 v[44:45], v[40:41], v[44:45]
	s_waitcnt vmcnt(0)
	v_fma_f64 v[40:41], v[40:41], v[46:47], -v[48:49]
	v_fmac_f64_e32 v[44:45], v[42:43], v[46:47]
	v_add_f64 v[4:5], v[4:5], v[40:41]
	v_add_f64 v[2:3], v[2:3], v[44:45]
	s_andn2_b64 exec, exec, s[8:9]
	s_cbranch_execnz .LBB72_29
; %bb.30:
	s_or_b64 exec, exec, s[8:9]
	v_mov_b32_e32 v26, 0
	ds_read_b128 v[26:29], v26 offset:64
	s_waitcnt lgkmcnt(0)
	v_mul_f64 v[40:41], v[2:3], v[28:29]
	v_mul_f64 v[28:29], v[4:5], v[28:29]
	v_fma_f64 v[4:5], v[4:5], v[26:27], -v[40:41]
	v_fmac_f64_e32 v[28:29], v[2:3], v[26:27]
	buffer_store_dword v5, off, s[0:3], 0 offset:68
	buffer_store_dword v4, off, s[0:3], 0 offset:64
	buffer_store_dword v29, off, s[0:3], 0 offset:76
	buffer_store_dword v28, off, s[0:3], 0 offset:72
.LBB72_31:
	s_or_b64 exec, exec, s[6:7]
	s_waitcnt lgkmcnt(0)
	; wave barrier
	buffer_load_dword v2, v30, s[0:3], 0 offen
	buffer_load_dword v3, v30, s[0:3], 0 offen offset:4
	buffer_load_dword v4, v30, s[0:3], 0 offen offset:8
	buffer_load_dword v5, v30, s[0:3], 0 offen offset:12
	v_cmp_gt_u32_e32 vcc, 5, v37
	;; [unrolled: 57-line block ×4, first 2 shown]
	s_waitcnt vmcnt(0)
	ds_write_b128 v24, v[2:5]
	s_waitcnt lgkmcnt(0)
	; wave barrier
	s_waitcnt lgkmcnt(0)
	s_and_saveexec_b64 s[6:7], vcc
	s_cbranch_execz .LBB72_43
; %bb.40:
	v_pk_mov_b32 v[2:3], 0, 0
	v_add_u32_e32 v26, -1, v37
	v_add_u32_e32 v27, 0x90, v38
	v_add_u32_e32 v28, 0, v38
	s_mov_b64 s[8:9], 0
	v_pk_mov_b32 v[4:5], v[2:3], v[2:3] op_sel:[0,1]
.LBB72_41:                              ; =>This Inner Loop Header: Depth=1
	buffer_load_dword v44, v28, s[0:3], 0 offen offset:8
	buffer_load_dword v45, v28, s[0:3], 0 offen offset:12
	buffer_load_dword v46, v28, s[0:3], 0 offen
	buffer_load_dword v47, v28, s[0:3], 0 offen offset:4
	ds_read_b128 v[40:43], v27
	v_add_u32_e32 v26, 1, v26
	v_cmp_lt_u32_e32 vcc, 5, v26
	v_add_u32_e32 v27, 16, v27
	v_add_u32_e32 v28, 16, v28
	s_or_b64 s[8:9], vcc, s[8:9]
	s_waitcnt vmcnt(2) lgkmcnt(0)
	v_mul_f64 v[48:49], v[42:43], v[44:45]
	v_mul_f64 v[44:45], v[40:41], v[44:45]
	s_waitcnt vmcnt(0)
	v_fma_f64 v[40:41], v[40:41], v[46:47], -v[48:49]
	v_fmac_f64_e32 v[44:45], v[42:43], v[46:47]
	v_add_f64 v[4:5], v[4:5], v[40:41]
	v_add_f64 v[2:3], v[2:3], v[44:45]
	s_andn2_b64 exec, exec, s[8:9]
	s_cbranch_execnz .LBB72_41
; %bb.42:
	s_or_b64 exec, exec, s[8:9]
	v_mov_b32_e32 v26, 0
	ds_read_b128 v[26:29], v26 offset:112
	s_waitcnt lgkmcnt(0)
	v_mul_f64 v[40:41], v[2:3], v[28:29]
	v_mul_f64 v[28:29], v[4:5], v[28:29]
	v_fma_f64 v[4:5], v[4:5], v[26:27], -v[40:41]
	v_fmac_f64_e32 v[28:29], v[2:3], v[26:27]
	buffer_store_dword v5, off, s[0:3], 0 offset:116
	buffer_store_dword v4, off, s[0:3], 0 offset:112
	;; [unrolled: 1-line block ×4, first 2 shown]
.LBB72_43:
	s_or_b64 exec, exec, s[6:7]
	s_waitcnt lgkmcnt(0)
	; wave barrier
	buffer_load_dword v2, v32, s[0:3], 0 offen
	buffer_load_dword v3, v32, s[0:3], 0 offen offset:4
	buffer_load_dword v4, v32, s[0:3], 0 offen offset:8
	;; [unrolled: 1-line block ×3, first 2 shown]
	v_cmp_ne_u32_e32 vcc, 8, v37
	s_waitcnt vmcnt(0)
	ds_write_b128 v24, v[2:5]
	s_waitcnt lgkmcnt(0)
	; wave barrier
	s_waitcnt lgkmcnt(0)
	s_and_saveexec_b64 s[6:7], vcc
	s_cbranch_execz .LBB72_47
; %bb.44:
	v_pk_mov_b32 v[2:3], 0, 0
	v_add_u32_e32 v24, 0x90, v38
	v_add_u32_e32 v26, 0, v38
	s_mov_b64 s[8:9], 0
	v_pk_mov_b32 v[4:5], v[2:3], v[2:3] op_sel:[0,1]
.LBB72_45:                              ; =>This Inner Loop Header: Depth=1
	buffer_load_dword v28, v26, s[0:3], 0 offen offset:8
	buffer_load_dword v29, v26, s[0:3], 0 offen offset:12
	buffer_load_dword v42, v26, s[0:3], 0 offen
	buffer_load_dword v43, v26, s[0:3], 0 offen offset:4
	ds_read_b128 v[38:41], v24
	v_add_u32_e32 v25, 1, v25
	v_cmp_lt_u32_e32 vcc, 6, v25
	v_add_u32_e32 v24, 16, v24
	v_add_u32_e32 v26, 16, v26
	s_or_b64 s[8:9], vcc, s[8:9]
	s_waitcnt vmcnt(2) lgkmcnt(0)
	v_mul_f64 v[44:45], v[40:41], v[28:29]
	v_mul_f64 v[28:29], v[38:39], v[28:29]
	s_waitcnt vmcnt(0)
	v_fma_f64 v[38:39], v[38:39], v[42:43], -v[44:45]
	v_fmac_f64_e32 v[28:29], v[40:41], v[42:43]
	v_add_f64 v[4:5], v[4:5], v[38:39]
	v_add_f64 v[2:3], v[2:3], v[28:29]
	s_andn2_b64 exec, exec, s[8:9]
	s_cbranch_execnz .LBB72_45
; %bb.46:
	s_or_b64 exec, exec, s[8:9]
	v_mov_b32_e32 v24, 0
	ds_read_b128 v[24:27], v24 offset:128
	s_waitcnt lgkmcnt(0)
	v_mul_f64 v[28:29], v[2:3], v[26:27]
	v_mul_f64 v[26:27], v[4:5], v[26:27]
	v_fma_f64 v[4:5], v[4:5], v[24:25], -v[28:29]
	v_fmac_f64_e32 v[26:27], v[2:3], v[24:25]
	buffer_store_dword v5, off, s[0:3], 0 offset:132
	buffer_store_dword v4, off, s[0:3], 0 offset:128
	;; [unrolled: 1-line block ×4, first 2 shown]
.LBB72_47:
	s_or_b64 exec, exec, s[6:7]
	s_mov_b64 s[8:9], -1
	s_waitcnt lgkmcnt(0)
	; wave barrier
.LBB72_48:
	s_and_b64 vcc, exec, s[8:9]
	s_cbranch_vccz .LBB72_50
; %bb.49:
	s_lshl_b64 s[6:7], s[10:11], 2
	s_add_u32 s6, s14, s6
	s_addc_u32 s7, s15, s7
	v_mov_b32_e32 v2, 0
	global_load_dword v2, v2, s[6:7]
	s_waitcnt vmcnt(0)
	v_cmp_ne_u32_e32 vcc, 0, v2
	s_cbranch_vccz .LBB72_51
.LBB72_50:
	s_endpgm
.LBB72_51:
	v_mov_b32_e32 v2, 0x90
	v_lshl_add_u32 v2, v37, 4, v2
	v_cmp_eq_u32_e32 vcc, 8, v37
	s_and_saveexec_b64 s[6:7], vcc
	s_cbranch_execz .LBB72_53
; %bb.52:
	buffer_load_dword v24, v33, s[0:3], 0 offen
	buffer_load_dword v25, v33, s[0:3], 0 offen offset:4
	buffer_load_dword v26, v33, s[0:3], 0 offen offset:8
	;; [unrolled: 1-line block ×3, first 2 shown]
	v_mov_b32_e32 v3, 0
	buffer_store_dword v3, off, s[0:3], 0 offset:112
	buffer_store_dword v3, off, s[0:3], 0 offset:116
	;; [unrolled: 1-line block ×4, first 2 shown]
	s_waitcnt vmcnt(4)
	ds_write_b128 v2, v[24:27]
.LBB72_53:
	s_or_b64 exec, exec, s[6:7]
	s_waitcnt lgkmcnt(0)
	; wave barrier
	s_waitcnt lgkmcnt(0)
	buffer_load_dword v4, off, s[0:3], 0 offset:136
	buffer_load_dword v5, off, s[0:3], 0 offset:140
	;; [unrolled: 1-line block ×8, first 2 shown]
	v_mov_b32_e32 v3, 0
	ds_read_b128 v[24:27], v3 offset:272
	v_cmp_lt_u32_e32 vcc, 6, v37
	s_waitcnt vmcnt(6) lgkmcnt(0)
	v_mul_f64 v[42:43], v[24:25], v[4:5]
	v_mul_f64 v[4:5], v[26:27], v[4:5]
	s_waitcnt vmcnt(4)
	v_fma_f64 v[4:5], v[24:25], v[28:29], -v[4:5]
	v_fmac_f64_e32 v[42:43], v[26:27], v[28:29]
	v_add_f64 v[4:5], v[4:5], 0
	v_add_f64 v[24:25], v[42:43], 0
	s_waitcnt vmcnt(2)
	v_add_f64 v[4:5], v[38:39], -v[4:5]
	s_waitcnt vmcnt(0)
	v_add_f64 v[24:25], v[40:41], -v[24:25]
	buffer_store_dword v4, off, s[0:3], 0 offset:112
	buffer_store_dword v5, off, s[0:3], 0 offset:116
	;; [unrolled: 1-line block ×4, first 2 shown]
	s_and_saveexec_b64 s[6:7], vcc
	s_cbranch_execz .LBB72_55
; %bb.54:
	buffer_load_dword v24, v31, s[0:3], 0 offen
	buffer_load_dword v25, v31, s[0:3], 0 offen offset:4
	buffer_load_dword v26, v31, s[0:3], 0 offen offset:8
	buffer_load_dword v27, v31, s[0:3], 0 offen offset:12
	s_nop 0
	buffer_store_dword v3, off, s[0:3], 0 offset:96
	buffer_store_dword v3, off, s[0:3], 0 offset:100
	buffer_store_dword v3, off, s[0:3], 0 offset:104
	buffer_store_dword v3, off, s[0:3], 0 offset:108
	s_waitcnt vmcnt(4)
	ds_write_b128 v2, v[24:27]
.LBB72_55:
	s_or_b64 exec, exec, s[6:7]
	s_waitcnt lgkmcnt(0)
	; wave barrier
	s_waitcnt lgkmcnt(0)
	buffer_load_dword v4, off, s[0:3], 0 offset:120
	buffer_load_dword v5, off, s[0:3], 0 offset:124
	;; [unrolled: 1-line block ×12, first 2 shown]
	ds_read_b128 v[24:27], v3 offset:256
	ds_read_b128 v[38:41], v3 offset:272
	v_cmp_lt_u32_e32 vcc, 5, v37
	s_waitcnt vmcnt(10) lgkmcnt(1)
	v_mul_f64 v[50:51], v[24:25], v[4:5]
	v_mul_f64 v[4:5], v[26:27], v[4:5]
	s_waitcnt vmcnt(8) lgkmcnt(0)
	v_mul_f64 v[52:53], v[38:39], v[28:29]
	v_mul_f64 v[28:29], v[40:41], v[28:29]
	s_waitcnt vmcnt(6)
	v_fma_f64 v[4:5], v[24:25], v[42:43], -v[4:5]
	v_fmac_f64_e32 v[50:51], v[26:27], v[42:43]
	s_waitcnt vmcnt(4)
	v_fma_f64 v[24:25], v[38:39], v[44:45], -v[28:29]
	v_add_f64 v[4:5], v[4:5], 0
	v_fmac_f64_e32 v[52:53], v[40:41], v[44:45]
	v_add_f64 v[26:27], v[50:51], 0
	v_add_f64 v[4:5], v[4:5], v[24:25]
	;; [unrolled: 1-line block ×3, first 2 shown]
	s_waitcnt vmcnt(2)
	v_add_f64 v[4:5], v[46:47], -v[4:5]
	s_waitcnt vmcnt(0)
	v_add_f64 v[24:25], v[48:49], -v[26:27]
	buffer_store_dword v4, off, s[0:3], 0 offset:96
	buffer_store_dword v5, off, s[0:3], 0 offset:100
	;; [unrolled: 1-line block ×4, first 2 shown]
	s_and_saveexec_b64 s[6:7], vcc
	s_cbranch_execz .LBB72_57
; %bb.56:
	buffer_load_dword v24, v30, s[0:3], 0 offen
	buffer_load_dword v25, v30, s[0:3], 0 offen offset:4
	buffer_load_dword v26, v30, s[0:3], 0 offen offset:8
	;; [unrolled: 1-line block ×3, first 2 shown]
	v_mov_b32_e32 v3, 0
	buffer_store_dword v3, off, s[0:3], 0 offset:80
	buffer_store_dword v3, off, s[0:3], 0 offset:84
	;; [unrolled: 1-line block ×4, first 2 shown]
	s_waitcnt vmcnt(4)
	ds_write_b128 v2, v[24:27]
.LBB72_57:
	s_or_b64 exec, exec, s[6:7]
	s_waitcnt lgkmcnt(0)
	; wave barrier
	s_waitcnt lgkmcnt(0)
	buffer_load_dword v4, off, s[0:3], 0 offset:104
	buffer_load_dword v5, off, s[0:3], 0 offset:108
	;; [unrolled: 1-line block ×16, first 2 shown]
	v_mov_b32_e32 v3, 0
	ds_read_b128 v[24:27], v3 offset:240
	ds_read_b128 v[38:41], v3 offset:256
	;; [unrolled: 1-line block ×3, first 2 shown]
	v_cmp_lt_u32_e32 vcc, 4, v37
	s_waitcnt vmcnt(14) lgkmcnt(2)
	v_mul_f64 v[58:59], v[24:25], v[4:5]
	v_mul_f64 v[4:5], v[26:27], v[4:5]
	s_waitcnt vmcnt(12) lgkmcnt(1)
	v_mul_f64 v[60:61], v[38:39], v[28:29]
	v_mul_f64 v[28:29], v[40:41], v[28:29]
	;; [unrolled: 3-line block ×3, first 2 shown]
	s_waitcnt vmcnt(8)
	v_fma_f64 v[4:5], v[24:25], v[48:49], -v[4:5]
	v_fmac_f64_e32 v[58:59], v[26:27], v[48:49]
	s_waitcnt vmcnt(6)
	v_fma_f64 v[24:25], v[38:39], v[50:51], -v[28:29]
	v_add_f64 v[4:5], v[4:5], 0
	v_fmac_f64_e32 v[60:61], v[40:41], v[50:51]
	s_waitcnt vmcnt(4)
	v_fma_f64 v[26:27], v[42:43], v[52:53], -v[46:47]
	v_add_f64 v[28:29], v[58:59], 0
	v_add_f64 v[4:5], v[4:5], v[24:25]
	v_fmac_f64_e32 v[62:63], v[44:45], v[52:53]
	v_add_f64 v[28:29], v[28:29], v[60:61]
	v_add_f64 v[4:5], v[4:5], v[26:27]
	;; [unrolled: 1-line block ×3, first 2 shown]
	s_waitcnt vmcnt(2)
	v_add_f64 v[4:5], v[54:55], -v[4:5]
	s_waitcnt vmcnt(0)
	v_add_f64 v[24:25], v[56:57], -v[24:25]
	buffer_store_dword v4, off, s[0:3], 0 offset:80
	buffer_store_dword v5, off, s[0:3], 0 offset:84
	;; [unrolled: 1-line block ×4, first 2 shown]
	s_and_saveexec_b64 s[6:7], vcc
	s_cbranch_execz .LBB72_59
; %bb.58:
	buffer_load_dword v24, v1, s[0:3], 0 offen
	buffer_load_dword v25, v1, s[0:3], 0 offen offset:4
	buffer_load_dword v26, v1, s[0:3], 0 offen offset:8
	;; [unrolled: 1-line block ×3, first 2 shown]
	s_nop 0
	buffer_store_dword v3, off, s[0:3], 0 offset:64
	buffer_store_dword v3, off, s[0:3], 0 offset:68
	;; [unrolled: 1-line block ×4, first 2 shown]
	s_waitcnt vmcnt(4)
	ds_write_b128 v2, v[24:27]
.LBB72_59:
	s_or_b64 exec, exec, s[6:7]
	s_waitcnt lgkmcnt(0)
	; wave barrier
	s_waitcnt lgkmcnt(0)
	buffer_load_dword v4, off, s[0:3], 0 offset:88
	buffer_load_dword v5, off, s[0:3], 0 offset:92
	;; [unrolled: 1-line block ×20, first 2 shown]
	ds_read_b128 v[24:27], v3 offset:224
	ds_read_b128 v[38:41], v3 offset:240
	;; [unrolled: 1-line block ×4, first 2 shown]
	v_cmp_lt_u32_e32 vcc, 3, v37
	s_waitcnt vmcnt(18) lgkmcnt(3)
	v_mul_f64 v[66:67], v[24:25], v[4:5]
	v_mul_f64 v[4:5], v[26:27], v[4:5]
	s_waitcnt vmcnt(16) lgkmcnt(2)
	v_mul_f64 v[68:69], v[38:39], v[28:29]
	v_mul_f64 v[28:29], v[40:41], v[28:29]
	;; [unrolled: 3-line block ×4, first 2 shown]
	s_waitcnt vmcnt(10)
	v_fma_f64 v[4:5], v[24:25], v[54:55], -v[4:5]
	v_fmac_f64_e32 v[66:67], v[26:27], v[54:55]
	s_waitcnt vmcnt(8)
	v_fma_f64 v[24:25], v[38:39], v[56:57], -v[28:29]
	v_add_f64 v[4:5], v[4:5], 0
	v_fmac_f64_e32 v[68:69], v[40:41], v[56:57]
	s_waitcnt vmcnt(6)
	v_fma_f64 v[26:27], v[42:43], v[58:59], -v[50:51]
	v_add_f64 v[38:39], v[66:67], 0
	v_add_f64 v[4:5], v[4:5], v[24:25]
	v_fmac_f64_e32 v[70:71], v[44:45], v[58:59]
	s_waitcnt vmcnt(4)
	v_fma_f64 v[28:29], v[46:47], v[60:61], -v[52:53]
	v_add_f64 v[38:39], v[38:39], v[68:69]
	v_add_f64 v[4:5], v[4:5], v[26:27]
	v_fmac_f64_e32 v[72:73], v[48:49], v[60:61]
	v_add_f64 v[24:25], v[38:39], v[70:71]
	v_add_f64 v[4:5], v[4:5], v[28:29]
	;; [unrolled: 1-line block ×3, first 2 shown]
	s_waitcnt vmcnt(2)
	v_add_f64 v[4:5], v[62:63], -v[4:5]
	s_waitcnt vmcnt(0)
	v_add_f64 v[24:25], v[64:65], -v[24:25]
	buffer_store_dword v4, off, s[0:3], 0 offset:64
	buffer_store_dword v5, off, s[0:3], 0 offset:68
	;; [unrolled: 1-line block ×4, first 2 shown]
	s_and_saveexec_b64 s[6:7], vcc
	s_cbranch_execz .LBB72_61
; %bb.60:
	buffer_load_dword v24, v36, s[0:3], 0 offen
	buffer_load_dword v25, v36, s[0:3], 0 offen offset:4
	buffer_load_dword v26, v36, s[0:3], 0 offen offset:8
	;; [unrolled: 1-line block ×3, first 2 shown]
	v_mov_b32_e32 v3, 0
	buffer_store_dword v3, off, s[0:3], 0 offset:48
	buffer_store_dword v3, off, s[0:3], 0 offset:52
	;; [unrolled: 1-line block ×4, first 2 shown]
	s_waitcnt vmcnt(4)
	ds_write_b128 v2, v[24:27]
.LBB72_61:
	s_or_b64 exec, exec, s[6:7]
	s_waitcnt lgkmcnt(0)
	; wave barrier
	s_waitcnt lgkmcnt(0)
	buffer_load_dword v4, off, s[0:3], 0 offset:72
	buffer_load_dword v5, off, s[0:3], 0 offset:76
	;; [unrolled: 1-line block ×24, first 2 shown]
	v_mov_b32_e32 v3, 0
	ds_read_b128 v[24:27], v3 offset:208
	ds_read_b128 v[38:41], v3 offset:224
	;; [unrolled: 1-line block ×5, first 2 shown]
	v_cmp_lt_u32_e32 vcc, 2, v37
	s_waitcnt vmcnt(22) lgkmcnt(4)
	v_mul_f64 v[74:75], v[24:25], v[4:5]
	v_mul_f64 v[4:5], v[26:27], v[4:5]
	s_waitcnt vmcnt(20) lgkmcnt(3)
	v_mul_f64 v[76:77], v[38:39], v[28:29]
	v_mul_f64 v[28:29], v[40:41], v[28:29]
	;; [unrolled: 3-line block ×4, first 2 shown]
	s_waitcnt vmcnt(13) lgkmcnt(0)
	v_mul_f64 v[82:83], v[50:51], v[56:57]
	s_waitcnt vmcnt(11)
	v_fma_f64 v[4:5], v[24:25], v[62:63], -v[4:5]
	v_fmac_f64_e32 v[74:75], v[26:27], v[62:63]
	s_waitcnt vmcnt(9)
	v_fma_f64 v[24:25], v[38:39], v[64:65], -v[28:29]
	v_add_f64 v[4:5], v[4:5], 0
	v_fmac_f64_e32 v[76:77], v[40:41], v[64:65]
	s_waitcnt vmcnt(7)
	v_fma_f64 v[26:27], v[42:43], v[66:67], -v[54:55]
	v_add_f64 v[40:41], v[74:75], 0
	v_add_f64 v[4:5], v[4:5], v[24:25]
	v_mul_f64 v[56:57], v[52:53], v[56:57]
	v_fmac_f64_e32 v[78:79], v[44:45], v[66:67]
	s_waitcnt vmcnt(5)
	v_fma_f64 v[28:29], v[46:47], v[68:69], -v[60:61]
	v_add_f64 v[40:41], v[40:41], v[76:77]
	v_add_f64 v[4:5], v[4:5], v[26:27]
	v_fmac_f64_e32 v[80:81], v[48:49], v[68:69]
	s_waitcnt vmcnt(4)
	v_fma_f64 v[38:39], v[50:51], v[58:59], -v[56:57]
	v_add_f64 v[24:25], v[40:41], v[78:79]
	v_add_f64 v[4:5], v[4:5], v[28:29]
	v_fmac_f64_e32 v[82:83], v[52:53], v[58:59]
	v_add_f64 v[24:25], v[24:25], v[80:81]
	v_add_f64 v[4:5], v[4:5], v[38:39]
	;; [unrolled: 1-line block ×3, first 2 shown]
	s_waitcnt vmcnt(2)
	v_add_f64 v[4:5], v[70:71], -v[4:5]
	s_waitcnt vmcnt(0)
	v_add_f64 v[24:25], v[72:73], -v[24:25]
	buffer_store_dword v5, off, s[0:3], 0 offset:52
	buffer_store_dword v4, off, s[0:3], 0 offset:48
	;; [unrolled: 1-line block ×4, first 2 shown]
	s_and_saveexec_b64 s[6:7], vcc
	s_cbranch_execz .LBB72_63
; %bb.62:
	buffer_load_dword v24, v35, s[0:3], 0 offen
	buffer_load_dword v25, v35, s[0:3], 0 offen offset:4
	buffer_load_dword v26, v35, s[0:3], 0 offen offset:8
	;; [unrolled: 1-line block ×3, first 2 shown]
	s_nop 0
	buffer_store_dword v3, off, s[0:3], 0 offset:32
	buffer_store_dword v3, off, s[0:3], 0 offset:36
	buffer_store_dword v3, off, s[0:3], 0 offset:40
	buffer_store_dword v3, off, s[0:3], 0 offset:44
	s_waitcnt vmcnt(4)
	ds_write_b128 v2, v[24:27]
.LBB72_63:
	s_or_b64 exec, exec, s[6:7]
	s_waitcnt lgkmcnt(0)
	; wave barrier
	s_waitcnt lgkmcnt(0)
	buffer_load_dword v4, off, s[0:3], 0 offset:56
	buffer_load_dword v5, off, s[0:3], 0 offset:60
	;; [unrolled: 1-line block ×28, first 2 shown]
	ds_read_b128 v[24:27], v3 offset:192
	ds_read_b128 v[38:41], v3 offset:208
	;; [unrolled: 1-line block ×6, first 2 shown]
	v_cmp_lt_u32_e32 vcc, 1, v37
	s_waitcnt vmcnt(26) lgkmcnt(5)
	v_mul_f64 v[82:83], v[24:25], v[4:5]
	v_mul_f64 v[4:5], v[26:27], v[4:5]
	s_waitcnt vmcnt(24) lgkmcnt(4)
	v_mul_f64 v[84:85], v[38:39], v[28:29]
	v_mul_f64 v[28:29], v[40:41], v[28:29]
	;; [unrolled: 3-line block ×4, first 2 shown]
	s_waitcnt vmcnt(17)
	v_mul_f64 v[88:89], v[46:47], v[64:65]
	v_mul_f64 v[64:65], v[48:49], v[64:65]
	s_waitcnt vmcnt(15) lgkmcnt(0)
	v_mul_f64 v[92:93], v[54:55], v[66:67]
	v_mul_f64 v[66:67], v[56:57], v[66:67]
	s_waitcnt vmcnt(14)
	v_fmac_f64_e32 v[90:91], v[52:53], v[62:63]
	s_waitcnt vmcnt(12)
	v_fma_f64 v[4:5], v[24:25], v[68:69], -v[4:5]
	v_fmac_f64_e32 v[82:83], v[26:27], v[68:69]
	s_waitcnt vmcnt(10)
	v_fma_f64 v[24:25], v[38:39], v[70:71], -v[28:29]
	v_add_f64 v[4:5], v[4:5], 0
	v_fmac_f64_e32 v[84:85], v[40:41], v[70:71]
	s_waitcnt vmcnt(8)
	v_fma_f64 v[26:27], v[42:43], v[72:73], -v[58:59]
	v_add_f64 v[42:43], v[82:83], 0
	v_add_f64 v[4:5], v[4:5], v[24:25]
	v_fmac_f64_e32 v[86:87], v[44:45], v[72:73]
	s_waitcnt vmcnt(6)
	v_fma_f64 v[28:29], v[46:47], v[74:75], -v[64:65]
	v_add_f64 v[42:43], v[42:43], v[84:85]
	v_add_f64 v[4:5], v[4:5], v[26:27]
	v_fmac_f64_e32 v[88:89], v[48:49], v[74:75]
	v_fma_f64 v[38:39], v[50:51], v[62:63], -v[60:61]
	v_add_f64 v[24:25], v[42:43], v[86:87]
	v_add_f64 v[4:5], v[4:5], v[28:29]
	s_waitcnt vmcnt(4)
	v_fma_f64 v[40:41], v[54:55], v[76:77], -v[66:67]
	v_add_f64 v[24:25], v[24:25], v[88:89]
	v_add_f64 v[4:5], v[4:5], v[38:39]
	v_fmac_f64_e32 v[92:93], v[56:57], v[76:77]
	v_add_f64 v[24:25], v[24:25], v[90:91]
	v_add_f64 v[4:5], v[4:5], v[40:41]
	;; [unrolled: 1-line block ×3, first 2 shown]
	s_waitcnt vmcnt(2)
	v_add_f64 v[4:5], v[78:79], -v[4:5]
	s_waitcnt vmcnt(0)
	v_add_f64 v[24:25], v[80:81], -v[24:25]
	buffer_store_dword v5, off, s[0:3], 0 offset:36
	buffer_store_dword v4, off, s[0:3], 0 offset:32
	;; [unrolled: 1-line block ×4, first 2 shown]
	s_and_saveexec_b64 s[6:7], vcc
	s_cbranch_execz .LBB72_65
; %bb.64:
	buffer_load_dword v24, v34, s[0:3], 0 offen
	buffer_load_dword v25, v34, s[0:3], 0 offen offset:4
	buffer_load_dword v26, v34, s[0:3], 0 offen offset:8
	;; [unrolled: 1-line block ×3, first 2 shown]
	v_mov_b32_e32 v3, 0
	buffer_store_dword v3, off, s[0:3], 0 offset:16
	buffer_store_dword v3, off, s[0:3], 0 offset:20
	;; [unrolled: 1-line block ×4, first 2 shown]
	s_waitcnt vmcnt(4)
	ds_write_b128 v2, v[24:27]
.LBB72_65:
	s_or_b64 exec, exec, s[6:7]
	s_waitcnt lgkmcnt(0)
	; wave barrier
	s_waitcnt lgkmcnt(0)
	buffer_load_dword v4, off, s[0:3], 0 offset:40
	buffer_load_dword v5, off, s[0:3], 0 offset:44
	buffer_load_dword v28, off, s[0:3], 0 offset:56
	buffer_load_dword v29, off, s[0:3], 0 offset:60
	buffer_load_dword v62, off, s[0:3], 0 offset:72
	buffer_load_dword v63, off, s[0:3], 0 offset:76
	buffer_load_dword v65, off, s[0:3], 0 offset:108
	buffer_load_dword v64, off, s[0:3], 0 offset:104
	buffer_load_dword v66, off, s[0:3], 0 offset:96
	buffer_load_dword v69, off, s[0:3], 0 offset:92
	buffer_load_dword v68, off, s[0:3], 0 offset:88
	buffer_load_dword v70, off, s[0:3], 0 offset:136
	buffer_load_dword v72, off, s[0:3], 0 offset:128
	buffer_load_dword v75, off, s[0:3], 0 offset:124
	buffer_load_dword v74, off, s[0:3], 0 offset:120
	buffer_load_dword v71, off, s[0:3], 0 offset:140
	buffer_load_dword v67, off, s[0:3], 0 offset:100
	buffer_load_dword v76, off, s[0:3], 0 offset:32
	buffer_load_dword v77, off, s[0:3], 0 offset:36
	buffer_load_dword v78, off, s[0:3], 0 offset:48
	buffer_load_dword v79, off, s[0:3], 0 offset:52
	buffer_load_dword v80, off, s[0:3], 0 offset:64
	buffer_load_dword v81, off, s[0:3], 0 offset:68
	buffer_load_dword v83, off, s[0:3], 0 offset:84
	buffer_load_dword v82, off, s[0:3], 0 offset:80
	buffer_load_dword v85, off, s[0:3], 0 offset:116
	buffer_load_dword v84, off, s[0:3], 0 offset:112
	buffer_load_dword v73, off, s[0:3], 0 offset:132
	buffer_load_dword v86, off, s[0:3], 0 offset:16
	buffer_load_dword v87, off, s[0:3], 0 offset:20
	buffer_load_dword v88, off, s[0:3], 0 offset:24
	buffer_load_dword v89, off, s[0:3], 0 offset:28
	v_mov_b32_e32 v3, 0
	ds_read_b128 v[24:27], v3 offset:176
	ds_read_b128 v[38:41], v3 offset:192
	;; [unrolled: 1-line block ×7, first 2 shown]
	v_cmp_ne_u32_e32 vcc, 0, v37
	s_waitcnt vmcnt(30) lgkmcnt(6)
	v_mul_f64 v[90:91], v[24:25], v[4:5]
	v_mul_f64 v[4:5], v[26:27], v[4:5]
	s_waitcnt vmcnt(28) lgkmcnt(5)
	v_mul_f64 v[92:93], v[38:39], v[28:29]
	v_mul_f64 v[28:29], v[40:41], v[28:29]
	;; [unrolled: 3-line block ×4, first 2 shown]
	s_waitcnt vmcnt(21)
	v_mul_f64 v[96:97], v[46:47], v[68:69]
	v_mul_f64 v[68:69], v[48:49], v[68:69]
	s_waitcnt vmcnt(17) lgkmcnt(1)
	v_mul_f64 v[100:101], v[54:55], v[74:75]
	v_mul_f64 v[74:75], v[56:57], v[74:75]
	s_waitcnt vmcnt(16) lgkmcnt(0)
	v_mul_f64 v[102:103], v[58:59], v[70:71]
	v_mul_f64 v[70:71], v[60:61], v[70:71]
	s_waitcnt vmcnt(13)
	v_fma_f64 v[4:5], v[24:25], v[76:77], -v[4:5]
	v_fmac_f64_e32 v[90:91], v[26:27], v[76:77]
	s_waitcnt vmcnt(11)
	v_fma_f64 v[24:25], v[38:39], v[78:79], -v[28:29]
	v_add_f64 v[4:5], v[4:5], 0
	v_fmac_f64_e32 v[92:93], v[40:41], v[78:79]
	s_waitcnt vmcnt(9)
	v_fmac_f64_e32 v[94:95], v[44:45], v[80:81]
	v_fma_f64 v[26:27], v[42:43], v[80:81], -v[62:63]
	v_add_f64 v[44:45], v[90:91], 0
	v_add_f64 v[4:5], v[4:5], v[24:25]
	s_waitcnt vmcnt(7)
	v_fma_f64 v[28:29], v[46:47], v[82:83], -v[68:69]
	v_add_f64 v[44:45], v[44:45], v[92:93]
	v_add_f64 v[4:5], v[4:5], v[26:27]
	v_fmac_f64_e32 v[96:97], v[48:49], v[82:83]
	v_fma_f64 v[38:39], v[50:51], v[66:67], -v[64:65]
	v_add_f64 v[24:25], v[44:45], v[94:95]
	v_add_f64 v[4:5], v[4:5], v[28:29]
	v_fmac_f64_e32 v[98:99], v[52:53], v[66:67]
	s_waitcnt vmcnt(5)
	v_fma_f64 v[40:41], v[54:55], v[84:85], -v[74:75]
	v_add_f64 v[24:25], v[24:25], v[96:97]
	v_add_f64 v[4:5], v[4:5], v[38:39]
	v_fmac_f64_e32 v[100:101], v[56:57], v[84:85]
	s_waitcnt vmcnt(4)
	v_fma_f64 v[42:43], v[58:59], v[72:73], -v[70:71]
	v_add_f64 v[24:25], v[24:25], v[98:99]
	v_add_f64 v[4:5], v[4:5], v[40:41]
	v_fmac_f64_e32 v[102:103], v[60:61], v[72:73]
	v_add_f64 v[24:25], v[24:25], v[100:101]
	v_add_f64 v[4:5], v[4:5], v[42:43]
	;; [unrolled: 1-line block ×3, first 2 shown]
	s_waitcnt vmcnt(2)
	v_add_f64 v[4:5], v[86:87], -v[4:5]
	s_waitcnt vmcnt(0)
	v_add_f64 v[24:25], v[88:89], -v[24:25]
	buffer_store_dword v5, off, s[0:3], 0 offset:20
	buffer_store_dword v4, off, s[0:3], 0 offset:16
	;; [unrolled: 1-line block ×4, first 2 shown]
	s_and_saveexec_b64 s[6:7], vcc
	s_cbranch_execz .LBB72_67
; %bb.66:
	buffer_load_dword v24, off, s[0:3], 0
	buffer_load_dword v25, off, s[0:3], 0 offset:4
	buffer_load_dword v26, off, s[0:3], 0 offset:8
	;; [unrolled: 1-line block ×3, first 2 shown]
	s_nop 0
	buffer_store_dword v3, off, s[0:3], 0
	buffer_store_dword v3, off, s[0:3], 0 offset:4
	buffer_store_dword v3, off, s[0:3], 0 offset:8
	;; [unrolled: 1-line block ×3, first 2 shown]
	s_waitcnt vmcnt(4)
	ds_write_b128 v2, v[24:27]
.LBB72_67:
	s_or_b64 exec, exec, s[6:7]
	s_waitcnt lgkmcnt(0)
	; wave barrier
	s_waitcnt lgkmcnt(0)
	buffer_load_dword v28, off, s[0:3], 0 offset:24
	buffer_load_dword v29, off, s[0:3], 0 offset:28
	;; [unrolled: 1-line block ×32, first 2 shown]
	buffer_load_dword v92, off, s[0:3], 0
	buffer_load_dword v93, off, s[0:3], 0 offset:4
	buffer_load_dword v94, off, s[0:3], 0 offset:8
	;; [unrolled: 1-line block ×3, first 2 shown]
	ds_read_b128 v[24:27], v3 offset:160
	ds_read_b128 v[38:41], v3 offset:176
	;; [unrolled: 1-line block ×8, first 2 shown]
	s_and_b64 vcc, exec, s[18:19]
	s_waitcnt vmcnt(34) lgkmcnt(7)
	v_mul_f64 v[96:97], v[24:25], v[28:29]
	v_mul_f64 v[28:29], v[26:27], v[28:29]
	s_waitcnt vmcnt(32) lgkmcnt(6)
	v_mul_f64 v[98:99], v[38:39], v[62:63]
	v_mul_f64 v[62:63], v[40:41], v[62:63]
	;; [unrolled: 3-line block ×4, first 2 shown]
	s_waitcnt vmcnt(25)
	v_mul_f64 v[102:103], v[46:47], v[70:71]
	v_mul_f64 v[70:71], v[48:49], v[70:71]
	s_waitcnt vmcnt(23) lgkmcnt(1)
	v_mul_f64 v[108:109], v[58:59], v[72:73]
	v_mul_f64 v[72:73], v[60:61], v[72:73]
	s_waitcnt vmcnt(20)
	v_mul_f64 v[106:107], v[54:55], v[76:77]
	v_mul_f64 v[76:77], v[56:57], v[76:77]
	s_waitcnt vmcnt(18) lgkmcnt(0)
	v_mul_f64 v[110:111], v[2:3], v[78:79]
	s_waitcnt vmcnt(17)
	v_fmac_f64_e32 v[104:105], v[52:53], v[68:69]
	s_waitcnt vmcnt(16)
	v_fmac_f64_e32 v[108:109], v[60:61], v[74:75]
	s_waitcnt vmcnt(14)
	v_fma_f64 v[24:25], v[24:25], v[80:81], -v[28:29]
	v_fmac_f64_e32 v[96:97], v[26:27], v[80:81]
	s_waitcnt vmcnt(12)
	v_fma_f64 v[26:27], v[38:39], v[82:83], -v[62:63]
	v_add_f64 v[24:25], v[24:25], 0
	v_fmac_f64_e32 v[98:99], v[40:41], v[82:83]
	s_waitcnt vmcnt(10)
	v_fma_f64 v[28:29], v[42:43], v[84:85], -v[64:65]
	s_waitcnt vmcnt(8)
	v_fma_f64 v[38:39], v[46:47], v[86:87], -v[70:71]
	v_add_f64 v[46:47], v[96:97], 0
	v_add_f64 v[24:25], v[24:25], v[26:27]
	v_fmac_f64_e32 v[100:101], v[44:45], v[84:85]
	v_add_f64 v[46:47], v[46:47], v[98:99]
	v_add_f64 v[24:25], v[24:25], v[28:29]
	v_fmac_f64_e32 v[102:103], v[48:49], v[86:87]
	v_fma_f64 v[40:41], v[50:51], v[68:69], -v[66:67]
	v_add_f64 v[26:27], v[46:47], v[100:101]
	v_add_f64 v[24:25], v[24:25], v[38:39]
	s_waitcnt vmcnt(6)
	v_fma_f64 v[42:43], v[54:55], v[88:89], -v[76:77]
	v_add_f64 v[26:27], v[26:27], v[102:103]
	v_add_f64 v[24:25], v[24:25], v[40:41]
	v_fmac_f64_e32 v[106:107], v[56:57], v[88:89]
	s_waitcnt vmcnt(4)
	v_fmac_f64_e32 v[110:111], v[4:5], v[90:91]
	v_fma_f64 v[44:45], v[58:59], v[74:75], -v[72:73]
	v_add_f64 v[26:27], v[26:27], v[104:105]
	v_add_f64 v[24:25], v[24:25], v[42:43]
	v_mul_f64 v[4:5], v[4:5], v[78:79]
	v_add_f64 v[26:27], v[26:27], v[106:107]
	v_add_f64 v[24:25], v[24:25], v[44:45]
	v_fma_f64 v[2:3], v[2:3], v[90:91], -v[4:5]
	v_add_f64 v[26:27], v[26:27], v[108:109]
	v_add_f64 v[2:3], v[24:25], v[2:3]
	;; [unrolled: 1-line block ×3, first 2 shown]
	s_waitcnt vmcnt(2)
	v_add_f64 v[2:3], v[92:93], -v[2:3]
	s_waitcnt vmcnt(0)
	v_add_f64 v[4:5], v[94:95], -v[26:27]
	buffer_store_dword v3, off, s[0:3], 0 offset:4
	buffer_store_dword v2, off, s[0:3], 0
	buffer_store_dword v5, off, s[0:3], 0 offset:12
	buffer_store_dword v4, off, s[0:3], 0 offset:8
	s_cbranch_vccz .LBB72_85
; %bb.68:
	v_pk_mov_b32 v[2:3], s[16:17], s[16:17] op_sel:[0,1]
	flat_load_dword v2, v[2:3] offset:28
	s_load_dwordx2 s[4:5], s[4:5], 0x4
	v_bfe_u32 v4, v0, 10, 10
	v_bfe_u32 v0, v0, 20, 10
	s_waitcnt lgkmcnt(0)
	s_lshr_b32 s4, s4, 16
	s_mul_i32 s4, s4, s5
	v_mul_u32_u24_e32 v3, s4, v37
	v_mul_u32_u24_e32 v4, s5, v4
	v_add3_u32 v0, v3, v4, v0
	v_mov_b32_e32 v3, 0x128
	v_lshl_add_u32 v0, v0, 4, v3
	s_waitcnt vmcnt(0)
	v_add_u32_e32 v2, -1, v2
	v_cmp_ne_u32_e32 vcc, 7, v2
	s_and_saveexec_b64 s[4:5], vcc
	s_cbranch_execz .LBB72_70
; %bb.69:
	v_mov_b32_e32 v3, 0
	v_lshl_add_u32 v24, v2, 4, v3
	buffer_load_dword v2, v33, s[0:3], 0 offen
	buffer_load_dword v3, v33, s[0:3], 0 offen offset:4
	buffer_load_dword v4, v33, s[0:3], 0 offen offset:8
	buffer_load_dword v5, v33, s[0:3], 0 offen offset:12
	buffer_load_dword v25, v24, s[0:3], 0 offen
	buffer_load_dword v26, v24, s[0:3], 0 offen offset:4
	buffer_load_dword v27, v24, s[0:3], 0 offen offset:8
	buffer_load_dword v28, v24, s[0:3], 0 offen offset:12
	s_waitcnt vmcnt(4)
	ds_write2_b64 v0, v[2:3], v[4:5] offset1:1
	s_waitcnt vmcnt(3)
	buffer_store_dword v25, v33, s[0:3], 0 offen
	s_waitcnt vmcnt(3)
	buffer_store_dword v26, v33, s[0:3], 0 offen offset:4
	s_waitcnt vmcnt(3)
	buffer_store_dword v27, v33, s[0:3], 0 offen offset:8
	s_waitcnt vmcnt(3)
	buffer_store_dword v28, v33, s[0:3], 0 offen offset:12
	buffer_store_dword v5, v24, s[0:3], 0 offen offset:12
	buffer_store_dword v4, v24, s[0:3], 0 offen offset:8
	buffer_store_dword v3, v24, s[0:3], 0 offen offset:4
	buffer_store_dword v2, v24, s[0:3], 0 offen
.LBB72_70:
	s_or_b64 exec, exec, s[4:5]
	v_pk_mov_b32 v[2:3], s[16:17], s[16:17] op_sel:[0,1]
	flat_load_dword v2, v[2:3] offset:24
	s_waitcnt vmcnt(0) lgkmcnt(0)
	v_add_u32_e32 v2, -1, v2
	v_cmp_ne_u32_e32 vcc, 6, v2
	s_and_saveexec_b64 s[4:5], vcc
	s_cbranch_execz .LBB72_72
; %bb.71:
	v_mov_b32_e32 v3, 0
	v_lshl_add_u32 v24, v2, 4, v3
	buffer_load_dword v2, v31, s[0:3], 0 offen
	buffer_load_dword v3, v31, s[0:3], 0 offen offset:4
	buffer_load_dword v4, v31, s[0:3], 0 offen offset:8
	buffer_load_dword v5, v31, s[0:3], 0 offen offset:12
	buffer_load_dword v25, v24, s[0:3], 0 offen
	buffer_load_dword v26, v24, s[0:3], 0 offen offset:4
	buffer_load_dword v27, v24, s[0:3], 0 offen offset:8
	buffer_load_dword v28, v24, s[0:3], 0 offen offset:12
	s_waitcnt vmcnt(4)
	ds_write2_b64 v0, v[2:3], v[4:5] offset1:1
	s_waitcnt vmcnt(3)
	buffer_store_dword v25, v31, s[0:3], 0 offen
	s_waitcnt vmcnt(3)
	buffer_store_dword v26, v31, s[0:3], 0 offen offset:4
	s_waitcnt vmcnt(3)
	buffer_store_dword v27, v31, s[0:3], 0 offen offset:8
	s_waitcnt vmcnt(3)
	buffer_store_dword v28, v31, s[0:3], 0 offen offset:12
	buffer_store_dword v5, v24, s[0:3], 0 offen offset:12
	buffer_store_dword v4, v24, s[0:3], 0 offen offset:8
	buffer_store_dword v3, v24, s[0:3], 0 offen offset:4
	buffer_store_dword v2, v24, s[0:3], 0 offen
.LBB72_72:
	s_or_b64 exec, exec, s[4:5]
	v_pk_mov_b32 v[2:3], s[16:17], s[16:17] op_sel:[0,1]
	flat_load_dword v2, v[2:3] offset:20
	s_waitcnt vmcnt(0) lgkmcnt(0)
	;; [unrolled: 34-line block ×6, first 2 shown]
	v_add_u32_e32 v2, -1, v2
	v_cmp_ne_u32_e32 vcc, 1, v2
	s_and_saveexec_b64 s[4:5], vcc
	s_cbranch_execz .LBB72_82
; %bb.81:
	v_mov_b32_e32 v3, 0
	v_lshl_add_u32 v24, v2, 4, v3
	buffer_load_dword v2, v34, s[0:3], 0 offen
	buffer_load_dword v3, v34, s[0:3], 0 offen offset:4
	buffer_load_dword v4, v34, s[0:3], 0 offen offset:8
	;; [unrolled: 1-line block ×3, first 2 shown]
	buffer_load_dword v25, v24, s[0:3], 0 offen
	buffer_load_dword v26, v24, s[0:3], 0 offen offset:4
	buffer_load_dword v27, v24, s[0:3], 0 offen offset:8
	;; [unrolled: 1-line block ×3, first 2 shown]
	s_waitcnt vmcnt(4)
	ds_write2_b64 v0, v[2:3], v[4:5] offset1:1
	s_waitcnt vmcnt(3)
	buffer_store_dword v25, v34, s[0:3], 0 offen
	s_waitcnt vmcnt(3)
	buffer_store_dword v26, v34, s[0:3], 0 offen offset:4
	s_waitcnt vmcnt(3)
	buffer_store_dword v27, v34, s[0:3], 0 offen offset:8
	;; [unrolled: 2-line block ×3, first 2 shown]
	buffer_store_dword v5, v24, s[0:3], 0 offen offset:12
	buffer_store_dword v4, v24, s[0:3], 0 offen offset:8
	;; [unrolled: 1-line block ×3, first 2 shown]
	buffer_store_dword v2, v24, s[0:3], 0 offen
.LBB72_82:
	s_or_b64 exec, exec, s[4:5]
	v_pk_mov_b32 v[2:3], s[16:17], s[16:17] op_sel:[0,1]
	flat_load_dword v2, v[2:3]
	s_waitcnt vmcnt(0) lgkmcnt(0)
	v_add_u32_e32 v2, -1, v2
	v_cmp_ne_u32_e32 vcc, 0, v2
	s_and_saveexec_b64 s[4:5], vcc
	s_cbranch_execz .LBB72_84
; %bb.83:
	v_mov_b32_e32 v3, 0
	v_lshl_add_u32 v24, v2, 4, v3
	buffer_load_dword v2, off, s[0:3], 0
	buffer_load_dword v3, off, s[0:3], 0 offset:4
	buffer_load_dword v4, off, s[0:3], 0 offset:8
	;; [unrolled: 1-line block ×3, first 2 shown]
	buffer_load_dword v25, v24, s[0:3], 0 offen
	buffer_load_dword v26, v24, s[0:3], 0 offen offset:4
	buffer_load_dword v27, v24, s[0:3], 0 offen offset:8
	;; [unrolled: 1-line block ×3, first 2 shown]
	s_waitcnt vmcnt(4)
	ds_write2_b64 v0, v[2:3], v[4:5] offset1:1
	s_waitcnt vmcnt(3)
	buffer_store_dword v25, off, s[0:3], 0
	s_waitcnt vmcnt(3)
	buffer_store_dword v26, off, s[0:3], 0 offset:4
	s_waitcnt vmcnt(3)
	buffer_store_dword v27, off, s[0:3], 0 offset:8
	;; [unrolled: 2-line block ×3, first 2 shown]
	buffer_store_dword v5, v24, s[0:3], 0 offen offset:12
	buffer_store_dword v4, v24, s[0:3], 0 offen offset:8
	;; [unrolled: 1-line block ×3, first 2 shown]
	buffer_store_dword v2, v24, s[0:3], 0 offen
.LBB72_84:
	s_or_b64 exec, exec, s[4:5]
.LBB72_85:
	buffer_load_dword v2, off, s[0:3], 0
	buffer_load_dword v3, off, s[0:3], 0 offset:4
	buffer_load_dword v4, off, s[0:3], 0 offset:8
	;; [unrolled: 1-line block ×3, first 2 shown]
	buffer_load_dword v24, v34, s[0:3], 0 offen
	buffer_load_dword v25, v34, s[0:3], 0 offen offset:4
	buffer_load_dword v26, v34, s[0:3], 0 offen offset:8
	;; [unrolled: 1-line block ×6, first 2 shown]
	buffer_load_dword v42, v36, s[0:3], 0 offen
	buffer_load_dword v43, v36, s[0:3], 0 offen offset:4
	buffer_load_dword v44, v36, s[0:3], 0 offen offset:8
	buffer_load_dword v38, v35, s[0:3], 0 offen
	buffer_load_dword v45, v36, s[0:3], 0 offen offset:12
	buffer_load_dword v47, v1, s[0:3], 0 offen offset:4
	;; [unrolled: 1-line block ×4, first 2 shown]
                                        ; kill: killed $vgpr34
                                        ; kill: killed $vgpr36
                                        ; kill: killed $vgpr35
	buffer_load_dword v34, v30, s[0:3], 0 offen
	buffer_load_dword v35, v30, s[0:3], 0 offen offset:4
	buffer_load_dword v36, v30, s[0:3], 0 offen offset:8
	buffer_load_dword v46, v1, s[0:3], 0 offen
	buffer_load_dword v37, v30, s[0:3], 0 offen offset:12
	buffer_load_dword v51, v31, s[0:3], 0 offen offset:4
	;; [unrolled: 1-line block ×4, first 2 shown]
	buffer_load_dword v54, v33, s[0:3], 0 offen
	buffer_load_dword v55, v33, s[0:3], 0 offen offset:4
	buffer_load_dword v56, v33, s[0:3], 0 offen offset:8
	buffer_load_dword v50, v31, s[0:3], 0 offen
	buffer_load_dword v57, v33, s[0:3], 0 offen offset:12
	buffer_load_dword v28, v32, s[0:3], 0 offen
	buffer_load_dword v29, v32, s[0:3], 0 offen offset:4
                                        ; kill: killed $vgpr30
                                        ; kill: killed $vgpr33
                                        ; kill: killed $vgpr1
                                        ; kill: killed $vgpr31
	buffer_load_dword v30, v32, s[0:3], 0 offen offset:8
	s_nop 0
	buffer_load_dword v31, v32, s[0:3], 0 offen offset:12
	s_waitcnt vmcnt(32)
	global_store_dwordx4 v[6:7], v[2:5], off
	s_waitcnt vmcnt(29)
	global_store_dwordx4 v[8:9], v[24:27], off
	;; [unrolled: 2-line block ×9, first 2 shown]
	s_endpgm
	.section	.rodata,"a",@progbits
	.p2align	6, 0x0
	.amdhsa_kernel _ZN9rocsolver6v33100L18getri_kernel_smallILi9E19rocblas_complex_numIdEPKPS3_EEvT1_iilPiilS8_bb
		.amdhsa_group_segment_fixed_size 1320
		.amdhsa_private_segment_fixed_size 160
		.amdhsa_kernarg_size 60
		.amdhsa_user_sgpr_count 10
		.amdhsa_user_sgpr_private_segment_buffer 1
		.amdhsa_user_sgpr_dispatch_ptr 1
		.amdhsa_user_sgpr_queue_ptr 0
		.amdhsa_user_sgpr_kernarg_segment_ptr 1
		.amdhsa_user_sgpr_dispatch_id 0
		.amdhsa_user_sgpr_flat_scratch_init 1
		.amdhsa_user_sgpr_kernarg_preload_length 0
		.amdhsa_user_sgpr_kernarg_preload_offset 0
		.amdhsa_user_sgpr_private_segment_size 0
		.amdhsa_uses_dynamic_stack 0
		.amdhsa_system_sgpr_private_segment_wavefront_offset 1
		.amdhsa_system_sgpr_workgroup_id_x 1
		.amdhsa_system_sgpr_workgroup_id_y 0
		.amdhsa_system_sgpr_workgroup_id_z 0
		.amdhsa_system_sgpr_workgroup_info 0
		.amdhsa_system_vgpr_workitem_id 2
		.amdhsa_next_free_vgpr 112
		.amdhsa_next_free_sgpr 24
		.amdhsa_accum_offset 112
		.amdhsa_reserve_vcc 1
		.amdhsa_reserve_flat_scratch 1
		.amdhsa_float_round_mode_32 0
		.amdhsa_float_round_mode_16_64 0
		.amdhsa_float_denorm_mode_32 3
		.amdhsa_float_denorm_mode_16_64 3
		.amdhsa_dx10_clamp 1
		.amdhsa_ieee_mode 1
		.amdhsa_fp16_overflow 0
		.amdhsa_tg_split 0
		.amdhsa_exception_fp_ieee_invalid_op 0
		.amdhsa_exception_fp_denorm_src 0
		.amdhsa_exception_fp_ieee_div_zero 0
		.amdhsa_exception_fp_ieee_overflow 0
		.amdhsa_exception_fp_ieee_underflow 0
		.amdhsa_exception_fp_ieee_inexact 0
		.amdhsa_exception_int_div_zero 0
	.end_amdhsa_kernel
	.section	.text._ZN9rocsolver6v33100L18getri_kernel_smallILi9E19rocblas_complex_numIdEPKPS3_EEvT1_iilPiilS8_bb,"axG",@progbits,_ZN9rocsolver6v33100L18getri_kernel_smallILi9E19rocblas_complex_numIdEPKPS3_EEvT1_iilPiilS8_bb,comdat
.Lfunc_end72:
	.size	_ZN9rocsolver6v33100L18getri_kernel_smallILi9E19rocblas_complex_numIdEPKPS3_EEvT1_iilPiilS8_bb, .Lfunc_end72-_ZN9rocsolver6v33100L18getri_kernel_smallILi9E19rocblas_complex_numIdEPKPS3_EEvT1_iilPiilS8_bb
                                        ; -- End function
	.section	.AMDGPU.csdata,"",@progbits
; Kernel info:
; codeLenInByte = 11228
; NumSgprs: 30
; NumVgprs: 112
; NumAgprs: 0
; TotalNumVgprs: 112
; ScratchSize: 160
; MemoryBound: 0
; FloatMode: 240
; IeeeMode: 1
; LDSByteSize: 1320 bytes/workgroup (compile time only)
; SGPRBlocks: 3
; VGPRBlocks: 13
; NumSGPRsForWavesPerEU: 30
; NumVGPRsForWavesPerEU: 112
; AccumOffset: 112
; Occupancy: 4
; WaveLimiterHint : 1
; COMPUTE_PGM_RSRC2:SCRATCH_EN: 1
; COMPUTE_PGM_RSRC2:USER_SGPR: 10
; COMPUTE_PGM_RSRC2:TRAP_HANDLER: 0
; COMPUTE_PGM_RSRC2:TGID_X_EN: 1
; COMPUTE_PGM_RSRC2:TGID_Y_EN: 0
; COMPUTE_PGM_RSRC2:TGID_Z_EN: 0
; COMPUTE_PGM_RSRC2:TIDIG_COMP_CNT: 2
; COMPUTE_PGM_RSRC3_GFX90A:ACCUM_OFFSET: 27
; COMPUTE_PGM_RSRC3_GFX90A:TG_SPLIT: 0
	.section	.text._ZN9rocsolver6v33100L18getri_kernel_smallILi10E19rocblas_complex_numIdEPKPS3_EEvT1_iilPiilS8_bb,"axG",@progbits,_ZN9rocsolver6v33100L18getri_kernel_smallILi10E19rocblas_complex_numIdEPKPS3_EEvT1_iilPiilS8_bb,comdat
	.globl	_ZN9rocsolver6v33100L18getri_kernel_smallILi10E19rocblas_complex_numIdEPKPS3_EEvT1_iilPiilS8_bb ; -- Begin function _ZN9rocsolver6v33100L18getri_kernel_smallILi10E19rocblas_complex_numIdEPKPS3_EEvT1_iilPiilS8_bb
	.p2align	8
	.type	_ZN9rocsolver6v33100L18getri_kernel_smallILi10E19rocblas_complex_numIdEPKPS3_EEvT1_iilPiilS8_bb,@function
_ZN9rocsolver6v33100L18getri_kernel_smallILi10E19rocblas_complex_numIdEPKPS3_EEvT1_iilPiilS8_bb: ; @_ZN9rocsolver6v33100L18getri_kernel_smallILi10E19rocblas_complex_numIdEPKPS3_EEvT1_iilPiilS8_bb
; %bb.0:
	s_add_u32 flat_scratch_lo, s8, s11
	s_addc_u32 flat_scratch_hi, s9, 0
	s_add_u32 s0, s0, s11
	v_and_b32_e32 v40, 0x3ff, v0
	s_addc_u32 s1, s1, 0
	v_cmp_gt_u32_e32 vcc, 10, v40
	s_and_saveexec_b64 s[8:9], vcc
	s_cbranch_execz .LBB73_54
; %bb.1:
	s_load_dword s20, s[6:7], 0x38
	s_load_dwordx2 s[8:9], s[6:7], 0x0
	s_load_dwordx4 s[12:15], s[6:7], 0x28
	s_waitcnt lgkmcnt(0)
	s_bitcmp1_b32 s20, 8
	s_cselect_b64 s[18:19], -1, 0
	s_ashr_i32 s11, s10, 31
	s_lshl_b64 s[16:17], s[10:11], 3
	s_add_u32 s8, s8, s16
	s_addc_u32 s9, s9, s17
	s_load_dwordx2 s[8:9], s[8:9], 0x0
	s_bfe_u32 s16, s20, 0x10008
	s_cmp_eq_u32 s16, 0
                                        ; implicit-def: $sgpr16_sgpr17
	s_cbranch_scc1 .LBB73_3
; %bb.2:
	s_load_dword s16, s[6:7], 0x20
	s_load_dwordx2 s[22:23], s[6:7], 0x18
	s_mul_i32 s13, s10, s13
	s_mul_hi_u32 s17, s10, s12
	s_add_i32 s13, s17, s13
	s_mul_i32 s21, s11, s12
	s_add_i32 s13, s13, s21
	s_mul_i32 s12, s10, s12
	s_waitcnt lgkmcnt(0)
	s_ashr_i32 s17, s16, 31
	s_lshl_b64 s[12:13], s[12:13], 2
	s_add_u32 s21, s22, s12
	s_addc_u32 s22, s23, s13
	s_lshl_b64 s[12:13], s[16:17], 2
	s_add_u32 s16, s21, s12
	s_addc_u32 s17, s22, s13
.LBB73_3:
	s_load_dwordx2 s[6:7], s[6:7], 0x8
	v_lshlrev_b32_e32 v41, 4, v40
	s_waitcnt lgkmcnt(0)
	s_ashr_i32 s13, s6, 31
	s_mov_b32 s12, s6
	s_lshl_b64 s[12:13], s[12:13], 4
	s_add_u32 s8, s8, s12
	s_addc_u32 s9, s9, s13
	s_mov_b32 s22, s7
	s_ashr_i32 s23, s7, 31
	s_add_i32 s6, s7, s7
	v_mov_b32_e32 v1, s9
	v_add_co_u32_e32 v6, vcc, s8, v41
	s_lshl_b64 s[12:13], s[22:23], 4
	v_add_u32_e32 v10, s6, v40
	v_addc_co_u32_e32 v7, vcc, 0, v1, vcc
	v_mov_b32_e32 v1, s13
	v_ashrrev_i32_e32 v11, 31, v10
	v_add_co_u32_e32 v8, vcc, s12, v6
	v_add_u32_e32 v12, s7, v10
	v_addc_co_u32_e32 v9, vcc, v7, v1, vcc
	v_lshlrev_b64 v[10:11], 4, v[10:11]
	v_mov_b32_e32 v15, s9
	v_ashrrev_i32_e32 v13, 31, v12
	v_add_co_u32_e32 v10, vcc, s8, v10
	v_add_u32_e32 v14, s7, v12
	v_addc_co_u32_e32 v11, vcc, v15, v11, vcc
	v_lshlrev_b64 v[12:13], 4, v[12:13]
	;; [unrolled: 6-line block ×6, first 2 shown]
	v_mov_b32_e32 v25, s9
	v_add_u32_e32 v24, s7, v22
	v_add_co_u32_e32 v20, vcc, s8, v20
	v_ashrrev_i32_e32 v23, 31, v22
	v_addc_co_u32_e32 v21, vcc, v25, v21, vcc
	v_ashrrev_i32_e32 v25, 31, v24
	v_lshlrev_b64 v[22:23], 4, v[22:23]
	v_lshlrev_b64 v[34:35], 4, v[24:25]
	v_mov_b32_e32 v1, s9
	v_add_co_u32_e32 v24, vcc, s8, v22
	v_addc_co_u32_e32 v25, vcc, v1, v23, vcc
	global_load_dwordx4 v[2:5], v41, s[8:9]
	v_mov_b32_e32 v36, s9
	v_add_co_u32_e32 v22, vcc, s8, v34
	global_load_dwordx4 v[26:29], v[8:9], off
	global_load_dwordx4 v[30:33], v[10:11], off
	v_addc_co_u32_e32 v23, vcc, v36, v35, vcc
	global_load_dwordx4 v[42:45], v[12:13], off
	global_load_dwordx4 v[46:49], v[14:15], off
	;; [unrolled: 1-line block ×7, first 2 shown]
	s_waitcnt vmcnt(9)
	buffer_store_dword v5, off, s[0:3], 0 offset:12
	buffer_store_dword v4, off, s[0:3], 0 offset:8
	;; [unrolled: 1-line block ×3, first 2 shown]
	buffer_store_dword v2, off, s[0:3], 0
	v_mov_b32_e32 v2, 0
	v_add_u32_e32 v37, 16, v2
	s_waitcnt vmcnt(12)
	buffer_store_dword v29, off, s[0:3], 0 offset:28
	buffer_store_dword v28, off, s[0:3], 0 offset:24
	;; [unrolled: 1-line block ×4, first 2 shown]
	v_add_u32_e32 v38, 32, v2
	s_waitcnt vmcnt(15)
	buffer_store_dword v33, off, s[0:3], 0 offset:44
	buffer_store_dword v32, off, s[0:3], 0 offset:40
	;; [unrolled: 1-line block ×4, first 2 shown]
	v_add_u32_e32 v39, 48, v2
	v_add_u32_e32 v32, 64, v2
	;; [unrolled: 1-line block ×7, first 2 shown]
	s_bitcmp0_b32 s20, 0
	s_mov_b64 s[8:9], -1
	s_waitcnt vmcnt(18)
	buffer_store_dword v45, off, s[0:3], 0 offset:60
	buffer_store_dword v44, off, s[0:3], 0 offset:56
	buffer_store_dword v43, off, s[0:3], 0 offset:52
	buffer_store_dword v42, off, s[0:3], 0 offset:48
	s_waitcnt vmcnt(21)
	buffer_store_dword v49, off, s[0:3], 0 offset:76
	buffer_store_dword v48, off, s[0:3], 0 offset:72
	buffer_store_dword v47, off, s[0:3], 0 offset:68
	buffer_store_dword v46, off, s[0:3], 0 offset:64
	;; [unrolled: 5-line block ×6, first 2 shown]
	buffer_store_dword v66, off, s[0:3], 0 offset:144
	buffer_store_dword v67, off, s[0:3], 0 offset:148
	;; [unrolled: 1-line block ×4, first 2 shown]
	s_cbranch_scc1 .LBB73_52
; %bb.4:
	v_cmp_eq_u32_e64 s[6:7], 0, v40
	s_and_saveexec_b64 s[8:9], s[6:7]
	s_cbranch_execz .LBB73_6
; %bb.5:
	v_mov_b32_e32 v2, 0
	ds_write_b32 v2, v2 offset:320
.LBB73_6:
	s_or_b64 exec, exec, s[8:9]
	v_mov_b32_e32 v2, 0
	v_lshl_add_u32 v42, v40, 4, v2
	s_waitcnt lgkmcnt(0)
	; wave barrier
	s_waitcnt lgkmcnt(0)
	buffer_load_dword v2, v42, s[0:3], 0 offen
	buffer_load_dword v3, v42, s[0:3], 0 offen offset:4
	buffer_load_dword v4, v42, s[0:3], 0 offen offset:8
	;; [unrolled: 1-line block ×3, first 2 shown]
	s_waitcnt vmcnt(2)
	v_cmp_eq_f64_e32 vcc, 0, v[2:3]
	s_waitcnt vmcnt(0)
	v_cmp_eq_f64_e64 s[8:9], 0, v[4:5]
	s_and_b64 s[8:9], vcc, s[8:9]
	s_and_saveexec_b64 s[12:13], s[8:9]
	s_cbranch_execz .LBB73_10
; %bb.7:
	v_mov_b32_e32 v2, 0
	ds_read_b32 v4, v2 offset:320
	v_add_u32_e32 v3, 1, v40
	s_waitcnt lgkmcnt(0)
	v_readfirstlane_b32 s8, v4
	s_cmp_eq_u32 s8, 0
	s_cselect_b64 s[20:21], -1, 0
	v_cmp_gt_i32_e32 vcc, s8, v3
	s_or_b64 s[20:21], s[20:21], vcc
	s_and_b64 exec, exec, s[20:21]
	s_cbranch_execz .LBB73_10
; %bb.8:
	s_mov_b64 s[20:21], 0
	v_mov_b32_e32 v4, s8
.LBB73_9:                               ; =>This Inner Loop Header: Depth=1
	ds_cmpst_rtn_b32 v4, v2, v4, v3 offset:320
	s_waitcnt lgkmcnt(0)
	v_cmp_ne_u32_e32 vcc, 0, v4
	v_cmp_le_i32_e64 s[8:9], v4, v3
	s_and_b64 s[8:9], vcc, s[8:9]
	s_and_b64 s[8:9], exec, s[8:9]
	s_or_b64 s[20:21], s[8:9], s[20:21]
	s_andn2_b64 exec, exec, s[20:21]
	s_cbranch_execnz .LBB73_9
.LBB73_10:
	s_or_b64 exec, exec, s[12:13]
	v_mov_b32_e32 v3, 0
	s_waitcnt lgkmcnt(0)
	; wave barrier
	ds_read_b32 v2, v3 offset:320
	s_and_saveexec_b64 s[8:9], s[6:7]
	s_cbranch_execz .LBB73_12
; %bb.11:
	s_lshl_b64 s[12:13], s[10:11], 2
	s_add_u32 s12, s14, s12
	s_addc_u32 s13, s15, s13
	s_waitcnt lgkmcnt(0)
	global_store_dword v3, v2, s[12:13]
.LBB73_12:
	s_or_b64 exec, exec, s[8:9]
	s_waitcnt lgkmcnt(0)
	v_cmp_ne_u32_e32 vcc, 0, v2
	s_mov_b64 s[8:9], 0
	s_cbranch_vccnz .LBB73_52
; %bb.13:
	buffer_load_dword v27, v42, s[0:3], 0 offen offset:4
	buffer_load_dword v26, v42, s[0:3], 0 offen
	buffer_load_dword v29, v42, s[0:3], 0 offen offset:12
	buffer_load_dword v28, v42, s[0:3], 0 offen offset:8
                                        ; implicit-def: $vgpr30_vgpr31
	s_waitcnt vmcnt(3)
	v_xor_b32_e32 v3, 0x80000000, v27
	s_waitcnt vmcnt(2)
	v_cmp_gt_f64_e32 vcc, 0, v[26:27]
	s_waitcnt vmcnt(1)
	v_xor_b32_e32 v4, 0x80000000, v29
	v_cndmask_b32_e32 v3, v27, v3, vcc
	s_waitcnt vmcnt(0)
	v_cmp_gt_f64_e32 vcc, 0, v[28:29]
	v_mov_b32_e32 v2, v26
	v_cndmask_b32_e32 v5, v29, v4, vcc
	v_mov_b32_e32 v4, v28
	v_cmp_ngt_f64_e32 vcc, v[2:3], v[4:5]
                                        ; implicit-def: $vgpr4_vgpr5
	s_and_saveexec_b64 s[8:9], vcc
	s_xor_b64 s[8:9], exec, s[8:9]
	s_cbranch_execz .LBB73_15
; %bb.14:
	v_div_scale_f64 v[2:3], s[12:13], v[28:29], v[28:29], v[26:27]
	v_rcp_f64_e32 v[4:5], v[2:3]
	v_div_scale_f64 v[30:31], vcc, v[26:27], v[28:29], v[26:27]
	v_fma_f64 v[44:45], -v[2:3], v[4:5], 1.0
	v_fmac_f64_e32 v[4:5], v[4:5], v[44:45]
	v_fma_f64 v[44:45], -v[2:3], v[4:5], 1.0
	v_fmac_f64_e32 v[4:5], v[4:5], v[44:45]
	v_mul_f64 v[44:45], v[30:31], v[4:5]
	v_fma_f64 v[2:3], -v[2:3], v[44:45], v[30:31]
	v_div_fmas_f64 v[2:3], v[2:3], v[4:5], v[44:45]
	v_div_fixup_f64 v[2:3], v[2:3], v[28:29], v[26:27]
	v_fmac_f64_e32 v[28:29], v[26:27], v[2:3]
	v_div_scale_f64 v[4:5], s[12:13], v[28:29], v[28:29], 1.0
	v_rcp_f64_e32 v[26:27], v[4:5]
	v_fma_f64 v[30:31], -v[4:5], v[26:27], 1.0
	v_fmac_f64_e32 v[26:27], v[26:27], v[30:31]
	v_fma_f64 v[30:31], -v[4:5], v[26:27], 1.0
	v_fmac_f64_e32 v[26:27], v[26:27], v[30:31]
	v_div_scale_f64 v[30:31], vcc, 1.0, v[28:29], 1.0
	v_mul_f64 v[44:45], v[30:31], v[26:27]
	v_fma_f64 v[4:5], -v[4:5], v[44:45], v[30:31]
	s_nop 1
	v_div_fmas_f64 v[4:5], v[4:5], v[26:27], v[44:45]
	v_div_fixup_f64 v[4:5], v[4:5], v[28:29], 1.0
	v_mul_f64 v[30:31], v[2:3], v[4:5]
	v_xor_b32_e32 v5, 0x80000000, v5
	v_xor_b32_e32 v3, 0x80000000, v31
	v_mov_b32_e32 v2, v30
                                        ; implicit-def: $vgpr26_vgpr27
                                        ; implicit-def: $vgpr28_vgpr29
.LBB73_15:
	s_andn2_saveexec_b64 s[8:9], s[8:9]
	s_cbranch_execz .LBB73_17
; %bb.16:
	v_div_scale_f64 v[2:3], s[12:13], v[26:27], v[26:27], v[28:29]
	v_rcp_f64_e32 v[4:5], v[2:3]
	v_div_scale_f64 v[30:31], vcc, v[28:29], v[26:27], v[28:29]
	v_fma_f64 v[44:45], -v[2:3], v[4:5], 1.0
	v_fmac_f64_e32 v[4:5], v[4:5], v[44:45]
	v_fma_f64 v[44:45], -v[2:3], v[4:5], 1.0
	v_fmac_f64_e32 v[4:5], v[4:5], v[44:45]
	v_mul_f64 v[44:45], v[30:31], v[4:5]
	v_fma_f64 v[2:3], -v[2:3], v[44:45], v[30:31]
	v_div_fmas_f64 v[2:3], v[2:3], v[4:5], v[44:45]
	v_div_fixup_f64 v[4:5], v[2:3], v[26:27], v[28:29]
	v_fmac_f64_e32 v[26:27], v[28:29], v[4:5]
	v_div_scale_f64 v[2:3], s[12:13], v[26:27], v[26:27], 1.0
	v_rcp_f64_e32 v[28:29], v[2:3]
	v_fma_f64 v[30:31], -v[2:3], v[28:29], 1.0
	v_fmac_f64_e32 v[28:29], v[28:29], v[30:31]
	v_fma_f64 v[30:31], -v[2:3], v[28:29], 1.0
	v_fmac_f64_e32 v[28:29], v[28:29], v[30:31]
	v_div_scale_f64 v[30:31], vcc, 1.0, v[26:27], 1.0
	v_mul_f64 v[44:45], v[30:31], v[28:29]
	v_fma_f64 v[2:3], -v[2:3], v[44:45], v[30:31]
	s_nop 1
	v_div_fmas_f64 v[2:3], v[2:3], v[28:29], v[44:45]
	v_div_fixup_f64 v[30:31], v[2:3], v[26:27], 1.0
	v_xor_b32_e32 v3, 0x80000000, v31
	v_mov_b32_e32 v2, v30
	v_mul_f64 v[4:5], v[4:5], -v[30:31]
.LBB73_17:
	s_or_b64 exec, exec, s[8:9]
	buffer_store_dword v31, v42, s[0:3], 0 offen offset:4
	buffer_store_dword v30, v42, s[0:3], 0 offen
	buffer_store_dword v5, v42, s[0:3], 0 offen offset:12
	buffer_store_dword v4, v42, s[0:3], 0 offen offset:8
	buffer_load_dword v31, v37, s[0:3], 0 offen offset:12
	s_nop 0
	buffer_load_dword v30, v37, s[0:3], 0 offen offset:8
	buffer_load_dword v29, v37, s[0:3], 0 offen offset:4
	buffer_load_dword v28, v37, s[0:3], 0 offen
	v_xor_b32_e32 v5, 0x80000000, v5
	v_add_u32_e32 v26, 0xa0, v41
	ds_write_b128 v41, v[2:5]
	s_waitcnt vmcnt(0)
	ds_write_b128 v41, v[28:31] offset:160
	s_waitcnt lgkmcnt(0)
	; wave barrier
	s_waitcnt lgkmcnt(0)
	s_and_saveexec_b64 s[8:9], s[6:7]
	s_cbranch_execz .LBB73_19
; %bb.18:
	buffer_load_dword v44, v42, s[0:3], 0 offen offset:8
	buffer_load_dword v45, v42, s[0:3], 0 offen offset:12
	buffer_load_dword v46, v42, s[0:3], 0 offen
	buffer_load_dword v47, v42, s[0:3], 0 offen offset:4
	ds_read_b128 v[2:5], v26
	v_mov_b32_e32 v27, 0
	ds_read_b128 v[28:31], v27 offset:16
	s_waitcnt vmcnt(2) lgkmcnt(1)
	v_mul_f64 v[48:49], v[4:5], v[44:45]
	v_mul_f64 v[44:45], v[2:3], v[44:45]
	s_waitcnt vmcnt(0)
	v_fmac_f64_e32 v[44:45], v[4:5], v[46:47]
	v_fma_f64 v[2:3], v[2:3], v[46:47], -v[48:49]
	v_add_f64 v[4:5], v[44:45], 0
	v_add_f64 v[2:3], v[2:3], 0
	s_waitcnt lgkmcnt(0)
	v_mul_f64 v[44:45], v[4:5], v[30:31]
	v_mul_f64 v[30:31], v[2:3], v[30:31]
	v_fma_f64 v[2:3], v[2:3], v[28:29], -v[44:45]
	v_fmac_f64_e32 v[30:31], v[4:5], v[28:29]
	buffer_store_dword v2, off, s[0:3], 0 offset:16
	buffer_store_dword v3, off, s[0:3], 0 offset:20
	;; [unrolled: 1-line block ×4, first 2 shown]
.LBB73_19:
	s_or_b64 exec, exec, s[8:9]
	s_waitcnt lgkmcnt(0)
	; wave barrier
	buffer_load_dword v2, v38, s[0:3], 0 offen
	buffer_load_dword v3, v38, s[0:3], 0 offen offset:4
	buffer_load_dword v4, v38, s[0:3], 0 offen offset:8
	;; [unrolled: 1-line block ×3, first 2 shown]
	v_cmp_gt_u32_e32 vcc, 2, v40
	s_waitcnt vmcnt(0)
	ds_write_b128 v26, v[2:5]
	s_waitcnt lgkmcnt(0)
	; wave barrier
	s_waitcnt lgkmcnt(0)
	s_and_saveexec_b64 s[8:9], vcc
	s_cbranch_execz .LBB73_23
; %bb.20:
	buffer_load_dword v28, v42, s[0:3], 0 offen offset:8
	buffer_load_dword v29, v42, s[0:3], 0 offen offset:12
	buffer_load_dword v30, v42, s[0:3], 0 offen
	buffer_load_dword v31, v42, s[0:3], 0 offen offset:4
	ds_read_b128 v[2:5], v26
	s_waitcnt vmcnt(2) lgkmcnt(0)
	v_mul_f64 v[42:43], v[4:5], v[28:29]
	v_mul_f64 v[28:29], v[2:3], v[28:29]
	s_waitcnt vmcnt(0)
	v_fma_f64 v[2:3], v[2:3], v[30:31], -v[42:43]
	v_fmac_f64_e32 v[28:29], v[4:5], v[30:31]
	v_add_f64 v[4:5], v[2:3], 0
	v_add_f64 v[2:3], v[28:29], 0
	s_and_saveexec_b64 s[12:13], s[6:7]
	s_cbranch_execz .LBB73_22
; %bb.21:
	buffer_load_dword v42, off, s[0:3], 0 offset:24
	buffer_load_dword v43, off, s[0:3], 0 offset:28
	;; [unrolled: 1-line block ×4, first 2 shown]
	v_mov_b32_e32 v27, 0
	ds_read_b128 v[28:31], v27 offset:176
	s_waitcnt vmcnt(2) lgkmcnt(0)
	v_mul_f64 v[46:47], v[28:29], v[42:43]
	v_mul_f64 v[42:43], v[30:31], v[42:43]
	s_waitcnt vmcnt(0)
	v_fmac_f64_e32 v[46:47], v[30:31], v[44:45]
	v_fma_f64 v[28:29], v[28:29], v[44:45], -v[42:43]
	v_add_f64 v[2:3], v[2:3], v[46:47]
	v_add_f64 v[4:5], v[4:5], v[28:29]
.LBB73_22:
	s_or_b64 exec, exec, s[12:13]
	v_mov_b32_e32 v27, 0
	ds_read_b128 v[28:31], v27 offset:32
	s_waitcnt lgkmcnt(0)
	v_mul_f64 v[42:43], v[2:3], v[30:31]
	v_mul_f64 v[30:31], v[4:5], v[30:31]
	v_fma_f64 v[4:5], v[4:5], v[28:29], -v[42:43]
	v_fmac_f64_e32 v[30:31], v[2:3], v[28:29]
	buffer_store_dword v5, off, s[0:3], 0 offset:36
	buffer_store_dword v4, off, s[0:3], 0 offset:32
	buffer_store_dword v31, off, s[0:3], 0 offset:44
	buffer_store_dword v30, off, s[0:3], 0 offset:40
.LBB73_23:
	s_or_b64 exec, exec, s[8:9]
	s_waitcnt lgkmcnt(0)
	; wave barrier
	buffer_load_dword v2, v39, s[0:3], 0 offen
	buffer_load_dword v3, v39, s[0:3], 0 offen offset:4
	buffer_load_dword v4, v39, s[0:3], 0 offen offset:8
	;; [unrolled: 1-line block ×3, first 2 shown]
	v_cmp_gt_u32_e32 vcc, 3, v40
	v_add_u32_e32 v27, -1, v40
	s_waitcnt vmcnt(0)
	ds_write_b128 v26, v[2:5]
	s_waitcnt lgkmcnt(0)
	; wave barrier
	s_waitcnt lgkmcnt(0)
	s_and_saveexec_b64 s[6:7], vcc
	s_cbranch_execz .LBB73_27
; %bb.24:
	v_pk_mov_b32 v[2:3], 0, 0
	v_add_u32_e32 v28, -1, v40
	v_add_u32_e32 v29, 0xa0, v41
	v_add_u32_e32 v30, 0, v41
	s_mov_b64 s[8:9], 0
	v_pk_mov_b32 v[4:5], v[2:3], v[2:3] op_sel:[0,1]
.LBB73_25:                              ; =>This Inner Loop Header: Depth=1
	buffer_load_dword v46, v30, s[0:3], 0 offen offset:8
	buffer_load_dword v47, v30, s[0:3], 0 offen offset:12
	buffer_load_dword v48, v30, s[0:3], 0 offen
	buffer_load_dword v49, v30, s[0:3], 0 offen offset:4
	ds_read_b128 v[42:45], v29
	v_add_u32_e32 v28, 1, v28
	v_cmp_lt_u32_e32 vcc, 1, v28
	v_add_u32_e32 v29, 16, v29
	v_add_u32_e32 v30, 16, v30
	s_or_b64 s[8:9], vcc, s[8:9]
	s_waitcnt vmcnt(2) lgkmcnt(0)
	v_mul_f64 v[50:51], v[44:45], v[46:47]
	v_mul_f64 v[46:47], v[42:43], v[46:47]
	s_waitcnt vmcnt(0)
	v_fma_f64 v[42:43], v[42:43], v[48:49], -v[50:51]
	v_fmac_f64_e32 v[46:47], v[44:45], v[48:49]
	v_add_f64 v[4:5], v[4:5], v[42:43]
	v_add_f64 v[2:3], v[2:3], v[46:47]
	s_andn2_b64 exec, exec, s[8:9]
	s_cbranch_execnz .LBB73_25
; %bb.26:
	s_or_b64 exec, exec, s[8:9]
	v_mov_b32_e32 v28, 0
	ds_read_b128 v[28:31], v28 offset:48
	s_waitcnt lgkmcnt(0)
	v_mul_f64 v[42:43], v[2:3], v[30:31]
	v_mul_f64 v[30:31], v[4:5], v[30:31]
	v_fma_f64 v[4:5], v[4:5], v[28:29], -v[42:43]
	v_fmac_f64_e32 v[30:31], v[2:3], v[28:29]
	buffer_store_dword v5, off, s[0:3], 0 offset:52
	buffer_store_dword v4, off, s[0:3], 0 offset:48
	buffer_store_dword v31, off, s[0:3], 0 offset:60
	buffer_store_dword v30, off, s[0:3], 0 offset:56
.LBB73_27:
	s_or_b64 exec, exec, s[6:7]
	s_waitcnt lgkmcnt(0)
	; wave barrier
	buffer_load_dword v2, v32, s[0:3], 0 offen
	buffer_load_dword v3, v32, s[0:3], 0 offen offset:4
	buffer_load_dword v4, v32, s[0:3], 0 offen offset:8
	buffer_load_dword v5, v32, s[0:3], 0 offen offset:12
	v_cmp_gt_u32_e32 vcc, 4, v40
	s_waitcnt vmcnt(0)
	ds_write_b128 v26, v[2:5]
	s_waitcnt lgkmcnt(0)
	; wave barrier
	s_waitcnt lgkmcnt(0)
	s_and_saveexec_b64 s[6:7], vcc
	s_cbranch_execz .LBB73_31
; %bb.28:
	v_pk_mov_b32 v[2:3], 0, 0
	v_add_u32_e32 v28, -1, v40
	v_add_u32_e32 v29, 0xa0, v41
	v_add_u32_e32 v30, 0, v41
	s_mov_b64 s[8:9], 0
	v_pk_mov_b32 v[4:5], v[2:3], v[2:3] op_sel:[0,1]
.LBB73_29:                              ; =>This Inner Loop Header: Depth=1
	buffer_load_dword v46, v30, s[0:3], 0 offen offset:8
	buffer_load_dword v47, v30, s[0:3], 0 offen offset:12
	buffer_load_dword v48, v30, s[0:3], 0 offen
	buffer_load_dword v49, v30, s[0:3], 0 offen offset:4
	ds_read_b128 v[42:45], v29
	v_add_u32_e32 v28, 1, v28
	v_cmp_lt_u32_e32 vcc, 2, v28
	v_add_u32_e32 v29, 16, v29
	v_add_u32_e32 v30, 16, v30
	s_or_b64 s[8:9], vcc, s[8:9]
	s_waitcnt vmcnt(2) lgkmcnt(0)
	v_mul_f64 v[50:51], v[44:45], v[46:47]
	v_mul_f64 v[46:47], v[42:43], v[46:47]
	s_waitcnt vmcnt(0)
	v_fma_f64 v[42:43], v[42:43], v[48:49], -v[50:51]
	v_fmac_f64_e32 v[46:47], v[44:45], v[48:49]
	v_add_f64 v[4:5], v[4:5], v[42:43]
	v_add_f64 v[2:3], v[2:3], v[46:47]
	s_andn2_b64 exec, exec, s[8:9]
	s_cbranch_execnz .LBB73_29
; %bb.30:
	s_or_b64 exec, exec, s[8:9]
	v_mov_b32_e32 v28, 0
	ds_read_b128 v[28:31], v28 offset:64
	s_waitcnt lgkmcnt(0)
	v_mul_f64 v[42:43], v[2:3], v[30:31]
	v_mul_f64 v[30:31], v[4:5], v[30:31]
	v_fma_f64 v[4:5], v[4:5], v[28:29], -v[42:43]
	v_fmac_f64_e32 v[30:31], v[2:3], v[28:29]
	buffer_store_dword v5, off, s[0:3], 0 offset:68
	buffer_store_dword v4, off, s[0:3], 0 offset:64
	buffer_store_dword v31, off, s[0:3], 0 offset:76
	buffer_store_dword v30, off, s[0:3], 0 offset:72
.LBB73_31:
	s_or_b64 exec, exec, s[6:7]
	s_waitcnt lgkmcnt(0)
	; wave barrier
	buffer_load_dword v2, v33, s[0:3], 0 offen
	buffer_load_dword v3, v33, s[0:3], 0 offen offset:4
	buffer_load_dword v4, v33, s[0:3], 0 offen offset:8
	buffer_load_dword v5, v33, s[0:3], 0 offen offset:12
	v_cmp_gt_u32_e32 vcc, 5, v40
	;; [unrolled: 57-line block ×5, first 2 shown]
	s_waitcnt vmcnt(0)
	ds_write_b128 v26, v[2:5]
	s_waitcnt lgkmcnt(0)
	; wave barrier
	s_waitcnt lgkmcnt(0)
	s_and_saveexec_b64 s[6:7], vcc
	s_cbranch_execz .LBB73_47
; %bb.44:
	v_pk_mov_b32 v[2:3], 0, 0
	v_add_u32_e32 v28, -1, v40
	v_add_u32_e32 v29, 0xa0, v41
	v_add_u32_e32 v30, 0, v41
	s_mov_b64 s[8:9], 0
	v_pk_mov_b32 v[4:5], v[2:3], v[2:3] op_sel:[0,1]
.LBB73_45:                              ; =>This Inner Loop Header: Depth=1
	buffer_load_dword v46, v30, s[0:3], 0 offen offset:8
	buffer_load_dword v47, v30, s[0:3], 0 offen offset:12
	buffer_load_dword v48, v30, s[0:3], 0 offen
	buffer_load_dword v49, v30, s[0:3], 0 offen offset:4
	ds_read_b128 v[42:45], v29
	v_add_u32_e32 v28, 1, v28
	v_cmp_lt_u32_e32 vcc, 6, v28
	v_add_u32_e32 v29, 16, v29
	v_add_u32_e32 v30, 16, v30
	s_or_b64 s[8:9], vcc, s[8:9]
	s_waitcnt vmcnt(2) lgkmcnt(0)
	v_mul_f64 v[50:51], v[44:45], v[46:47]
	v_mul_f64 v[46:47], v[42:43], v[46:47]
	s_waitcnt vmcnt(0)
	v_fma_f64 v[42:43], v[42:43], v[48:49], -v[50:51]
	v_fmac_f64_e32 v[46:47], v[44:45], v[48:49]
	v_add_f64 v[4:5], v[4:5], v[42:43]
	v_add_f64 v[2:3], v[2:3], v[46:47]
	s_andn2_b64 exec, exec, s[8:9]
	s_cbranch_execnz .LBB73_45
; %bb.46:
	s_or_b64 exec, exec, s[8:9]
	v_mov_b32_e32 v28, 0
	ds_read_b128 v[28:31], v28 offset:128
	s_waitcnt lgkmcnt(0)
	v_mul_f64 v[42:43], v[2:3], v[30:31]
	v_mul_f64 v[30:31], v[4:5], v[30:31]
	v_fma_f64 v[4:5], v[4:5], v[28:29], -v[42:43]
	v_fmac_f64_e32 v[30:31], v[2:3], v[28:29]
	buffer_store_dword v5, off, s[0:3], 0 offset:132
	buffer_store_dword v4, off, s[0:3], 0 offset:128
	;; [unrolled: 1-line block ×4, first 2 shown]
.LBB73_47:
	s_or_b64 exec, exec, s[6:7]
	s_waitcnt lgkmcnt(0)
	; wave barrier
	buffer_load_dword v2, v36, s[0:3], 0 offen
	buffer_load_dword v3, v36, s[0:3], 0 offen offset:4
	buffer_load_dword v4, v36, s[0:3], 0 offen offset:8
	buffer_load_dword v5, v36, s[0:3], 0 offen offset:12
	v_cmp_ne_u32_e32 vcc, 9, v40
	s_waitcnt vmcnt(0)
	ds_write_b128 v26, v[2:5]
	s_waitcnt lgkmcnt(0)
	; wave barrier
	s_waitcnt lgkmcnt(0)
	s_and_saveexec_b64 s[6:7], vcc
	s_cbranch_execz .LBB73_51
; %bb.48:
	v_pk_mov_b32 v[2:3], 0, 0
	v_add_u32_e32 v26, 0xa0, v41
	v_add_u32_e32 v28, 0, v41
	s_mov_b64 s[8:9], 0
	v_pk_mov_b32 v[4:5], v[2:3], v[2:3] op_sel:[0,1]
.LBB73_49:                              ; =>This Inner Loop Header: Depth=1
	buffer_load_dword v30, v28, s[0:3], 0 offen offset:8
	buffer_load_dword v31, v28, s[0:3], 0 offen offset:12
	buffer_load_dword v46, v28, s[0:3], 0 offen
	buffer_load_dword v47, v28, s[0:3], 0 offen offset:4
	ds_read_b128 v[42:45], v26
	v_add_u32_e32 v27, 1, v27
	v_cmp_lt_u32_e32 vcc, 7, v27
	v_add_u32_e32 v26, 16, v26
	v_add_u32_e32 v28, 16, v28
	s_or_b64 s[8:9], vcc, s[8:9]
	s_waitcnt vmcnt(2) lgkmcnt(0)
	v_mul_f64 v[48:49], v[44:45], v[30:31]
	v_mul_f64 v[30:31], v[42:43], v[30:31]
	s_waitcnt vmcnt(0)
	v_fma_f64 v[42:43], v[42:43], v[46:47], -v[48:49]
	v_fmac_f64_e32 v[30:31], v[44:45], v[46:47]
	v_add_f64 v[4:5], v[4:5], v[42:43]
	v_add_f64 v[2:3], v[2:3], v[30:31]
	s_andn2_b64 exec, exec, s[8:9]
	s_cbranch_execnz .LBB73_49
; %bb.50:
	s_or_b64 exec, exec, s[8:9]
	v_mov_b32_e32 v26, 0
	ds_read_b128 v[26:29], v26 offset:144
	s_waitcnt lgkmcnt(0)
	v_mul_f64 v[30:31], v[2:3], v[28:29]
	v_mul_f64 v[28:29], v[4:5], v[28:29]
	v_fma_f64 v[4:5], v[4:5], v[26:27], -v[30:31]
	v_fmac_f64_e32 v[28:29], v[2:3], v[26:27]
	buffer_store_dword v5, off, s[0:3], 0 offset:148
	buffer_store_dword v4, off, s[0:3], 0 offset:144
	;; [unrolled: 1-line block ×4, first 2 shown]
.LBB73_51:
	s_or_b64 exec, exec, s[6:7]
	s_mov_b64 s[8:9], -1
	s_waitcnt lgkmcnt(0)
	; wave barrier
.LBB73_52:
	s_and_b64 vcc, exec, s[8:9]
	s_cbranch_vccz .LBB73_54
; %bb.53:
	s_lshl_b64 s[6:7], s[10:11], 2
	s_add_u32 s6, s14, s6
	s_addc_u32 s7, s15, s7
	v_mov_b32_e32 v2, 0
	global_load_dword v2, v2, s[6:7]
	s_waitcnt vmcnt(0)
	v_cmp_ne_u32_e32 vcc, 0, v2
	s_cbranch_vccz .LBB73_55
.LBB73_54:
	s_endpgm
.LBB73_55:
	v_mov_b32_e32 v2, 0xa0
	v_lshl_add_u32 v2, v40, 4, v2
	v_cmp_eq_u32_e32 vcc, 9, v40
	s_and_saveexec_b64 s[6:7], vcc
	s_cbranch_execz .LBB73_57
; %bb.56:
	buffer_load_dword v26, v34, s[0:3], 0 offen
	buffer_load_dword v27, v34, s[0:3], 0 offen offset:4
	buffer_load_dword v28, v34, s[0:3], 0 offen offset:8
	;; [unrolled: 1-line block ×3, first 2 shown]
	v_mov_b32_e32 v3, 0
	buffer_store_dword v3, off, s[0:3], 0 offset:128
	buffer_store_dword v3, off, s[0:3], 0 offset:132
	;; [unrolled: 1-line block ×4, first 2 shown]
	s_waitcnt vmcnt(4)
	ds_write_b128 v2, v[26:29]
.LBB73_57:
	s_or_b64 exec, exec, s[6:7]
	s_waitcnt lgkmcnt(0)
	; wave barrier
	s_waitcnt lgkmcnt(0)
	buffer_load_dword v4, off, s[0:3], 0 offset:152
	buffer_load_dword v5, off, s[0:3], 0 offset:156
	;; [unrolled: 1-line block ×8, first 2 shown]
	v_mov_b32_e32 v3, 0
	ds_read_b128 v[26:29], v3 offset:304
	v_cmp_lt_u32_e32 vcc, 7, v40
	s_waitcnt vmcnt(6) lgkmcnt(0)
	v_mul_f64 v[46:47], v[26:27], v[4:5]
	v_mul_f64 v[4:5], v[28:29], v[4:5]
	s_waitcnt vmcnt(4)
	v_fma_f64 v[4:5], v[26:27], v[30:31], -v[4:5]
	v_fmac_f64_e32 v[46:47], v[28:29], v[30:31]
	v_add_f64 v[4:5], v[4:5], 0
	v_add_f64 v[26:27], v[46:47], 0
	s_waitcnt vmcnt(2)
	v_add_f64 v[4:5], v[42:43], -v[4:5]
	s_waitcnt vmcnt(0)
	v_add_f64 v[26:27], v[44:45], -v[26:27]
	buffer_store_dword v4, off, s[0:3], 0 offset:128
	buffer_store_dword v5, off, s[0:3], 0 offset:132
	;; [unrolled: 1-line block ×4, first 2 shown]
	s_and_saveexec_b64 s[6:7], vcc
	s_cbranch_execz .LBB73_59
; %bb.58:
	buffer_load_dword v26, v1, s[0:3], 0 offen
	buffer_load_dword v27, v1, s[0:3], 0 offen offset:4
	buffer_load_dword v28, v1, s[0:3], 0 offen offset:8
	;; [unrolled: 1-line block ×3, first 2 shown]
	s_nop 0
	buffer_store_dword v3, off, s[0:3], 0 offset:112
	buffer_store_dword v3, off, s[0:3], 0 offset:116
	;; [unrolled: 1-line block ×4, first 2 shown]
	s_waitcnt vmcnt(4)
	ds_write_b128 v2, v[26:29]
.LBB73_59:
	s_or_b64 exec, exec, s[6:7]
	s_waitcnt lgkmcnt(0)
	; wave barrier
	s_waitcnt lgkmcnt(0)
	buffer_load_dword v4, off, s[0:3], 0 offset:136
	buffer_load_dword v5, off, s[0:3], 0 offset:140
	;; [unrolled: 1-line block ×12, first 2 shown]
	ds_read_b128 v[26:29], v3 offset:288
	ds_read_b128 v[42:45], v3 offset:304
	v_cmp_lt_u32_e32 vcc, 6, v40
	s_waitcnt vmcnt(10) lgkmcnt(1)
	v_mul_f64 v[54:55], v[26:27], v[4:5]
	v_mul_f64 v[4:5], v[28:29], v[4:5]
	s_waitcnt vmcnt(8) lgkmcnt(0)
	v_mul_f64 v[56:57], v[42:43], v[30:31]
	v_mul_f64 v[30:31], v[44:45], v[30:31]
	s_waitcnt vmcnt(6)
	v_fma_f64 v[4:5], v[26:27], v[46:47], -v[4:5]
	v_fmac_f64_e32 v[54:55], v[28:29], v[46:47]
	s_waitcnt vmcnt(4)
	v_fma_f64 v[26:27], v[42:43], v[48:49], -v[30:31]
	v_add_f64 v[4:5], v[4:5], 0
	v_fmac_f64_e32 v[56:57], v[44:45], v[48:49]
	v_add_f64 v[28:29], v[54:55], 0
	v_add_f64 v[4:5], v[4:5], v[26:27]
	;; [unrolled: 1-line block ×3, first 2 shown]
	s_waitcnt vmcnt(2)
	v_add_f64 v[4:5], v[50:51], -v[4:5]
	s_waitcnt vmcnt(0)
	v_add_f64 v[26:27], v[52:53], -v[28:29]
	buffer_store_dword v4, off, s[0:3], 0 offset:112
	buffer_store_dword v5, off, s[0:3], 0 offset:116
	;; [unrolled: 1-line block ×4, first 2 shown]
	s_and_saveexec_b64 s[6:7], vcc
	s_cbranch_execz .LBB73_61
; %bb.60:
	buffer_load_dword v26, v35, s[0:3], 0 offen
	buffer_load_dword v27, v35, s[0:3], 0 offen offset:4
	buffer_load_dword v28, v35, s[0:3], 0 offen offset:8
	;; [unrolled: 1-line block ×3, first 2 shown]
	v_mov_b32_e32 v3, 0
	buffer_store_dword v3, off, s[0:3], 0 offset:96
	buffer_store_dword v3, off, s[0:3], 0 offset:100
	;; [unrolled: 1-line block ×4, first 2 shown]
	s_waitcnt vmcnt(4)
	ds_write_b128 v2, v[26:29]
.LBB73_61:
	s_or_b64 exec, exec, s[6:7]
	s_waitcnt lgkmcnt(0)
	; wave barrier
	s_waitcnt lgkmcnt(0)
	buffer_load_dword v4, off, s[0:3], 0 offset:120
	buffer_load_dword v5, off, s[0:3], 0 offset:124
	;; [unrolled: 1-line block ×16, first 2 shown]
	v_mov_b32_e32 v3, 0
	ds_read_b128 v[26:29], v3 offset:272
	ds_read_b128 v[42:45], v3 offset:288
	;; [unrolled: 1-line block ×3, first 2 shown]
	v_cmp_lt_u32_e32 vcc, 5, v40
	s_waitcnt vmcnt(14) lgkmcnt(2)
	v_mul_f64 v[62:63], v[26:27], v[4:5]
	v_mul_f64 v[4:5], v[28:29], v[4:5]
	s_waitcnt vmcnt(12) lgkmcnt(1)
	v_mul_f64 v[64:65], v[42:43], v[30:31]
	v_mul_f64 v[30:31], v[44:45], v[30:31]
	;; [unrolled: 3-line block ×3, first 2 shown]
	s_waitcnt vmcnt(8)
	v_fma_f64 v[4:5], v[26:27], v[52:53], -v[4:5]
	v_fmac_f64_e32 v[62:63], v[28:29], v[52:53]
	s_waitcnt vmcnt(6)
	v_fma_f64 v[26:27], v[42:43], v[54:55], -v[30:31]
	v_add_f64 v[4:5], v[4:5], 0
	v_fmac_f64_e32 v[64:65], v[44:45], v[54:55]
	s_waitcnt vmcnt(4)
	v_fma_f64 v[28:29], v[46:47], v[56:57], -v[50:51]
	v_add_f64 v[30:31], v[62:63], 0
	v_add_f64 v[4:5], v[4:5], v[26:27]
	v_fmac_f64_e32 v[66:67], v[48:49], v[56:57]
	v_add_f64 v[30:31], v[30:31], v[64:65]
	v_add_f64 v[4:5], v[4:5], v[28:29]
	;; [unrolled: 1-line block ×3, first 2 shown]
	s_waitcnt vmcnt(2)
	v_add_f64 v[4:5], v[58:59], -v[4:5]
	s_waitcnt vmcnt(0)
	v_add_f64 v[26:27], v[60:61], -v[26:27]
	buffer_store_dword v4, off, s[0:3], 0 offset:96
	buffer_store_dword v5, off, s[0:3], 0 offset:100
	;; [unrolled: 1-line block ×4, first 2 shown]
	s_and_saveexec_b64 s[6:7], vcc
	s_cbranch_execz .LBB73_63
; %bb.62:
	buffer_load_dword v26, v33, s[0:3], 0 offen
	buffer_load_dword v27, v33, s[0:3], 0 offen offset:4
	buffer_load_dword v28, v33, s[0:3], 0 offen offset:8
	;; [unrolled: 1-line block ×3, first 2 shown]
	s_nop 0
	buffer_store_dword v3, off, s[0:3], 0 offset:80
	buffer_store_dword v3, off, s[0:3], 0 offset:84
	;; [unrolled: 1-line block ×4, first 2 shown]
	s_waitcnt vmcnt(4)
	ds_write_b128 v2, v[26:29]
.LBB73_63:
	s_or_b64 exec, exec, s[6:7]
	s_waitcnt lgkmcnt(0)
	; wave barrier
	s_waitcnt lgkmcnt(0)
	buffer_load_dword v4, off, s[0:3], 0 offset:104
	buffer_load_dword v5, off, s[0:3], 0 offset:108
	;; [unrolled: 1-line block ×20, first 2 shown]
	ds_read_b128 v[26:29], v3 offset:256
	ds_read_b128 v[42:45], v3 offset:272
	;; [unrolled: 1-line block ×4, first 2 shown]
	v_cmp_lt_u32_e32 vcc, 4, v40
	s_waitcnt vmcnt(18) lgkmcnt(3)
	v_mul_f64 v[70:71], v[26:27], v[4:5]
	v_mul_f64 v[4:5], v[28:29], v[4:5]
	s_waitcnt vmcnt(16) lgkmcnt(2)
	v_mul_f64 v[72:73], v[42:43], v[30:31]
	v_mul_f64 v[30:31], v[44:45], v[30:31]
	;; [unrolled: 3-line block ×4, first 2 shown]
	s_waitcnt vmcnt(10)
	v_fma_f64 v[4:5], v[26:27], v[58:59], -v[4:5]
	v_fmac_f64_e32 v[70:71], v[28:29], v[58:59]
	s_waitcnt vmcnt(8)
	v_fma_f64 v[26:27], v[42:43], v[60:61], -v[30:31]
	v_add_f64 v[4:5], v[4:5], 0
	v_fmac_f64_e32 v[72:73], v[44:45], v[60:61]
	s_waitcnt vmcnt(6)
	v_fma_f64 v[28:29], v[46:47], v[62:63], -v[54:55]
	v_add_f64 v[42:43], v[70:71], 0
	v_add_f64 v[4:5], v[4:5], v[26:27]
	v_fmac_f64_e32 v[74:75], v[48:49], v[62:63]
	s_waitcnt vmcnt(4)
	v_fma_f64 v[30:31], v[50:51], v[64:65], -v[56:57]
	v_add_f64 v[42:43], v[42:43], v[72:73]
	v_add_f64 v[4:5], v[4:5], v[28:29]
	v_fmac_f64_e32 v[76:77], v[52:53], v[64:65]
	v_add_f64 v[26:27], v[42:43], v[74:75]
	v_add_f64 v[4:5], v[4:5], v[30:31]
	;; [unrolled: 1-line block ×3, first 2 shown]
	s_waitcnt vmcnt(2)
	v_add_f64 v[4:5], v[66:67], -v[4:5]
	s_waitcnt vmcnt(0)
	v_add_f64 v[26:27], v[68:69], -v[26:27]
	buffer_store_dword v4, off, s[0:3], 0 offset:80
	buffer_store_dword v5, off, s[0:3], 0 offset:84
	;; [unrolled: 1-line block ×4, first 2 shown]
	s_and_saveexec_b64 s[6:7], vcc
	s_cbranch_execz .LBB73_65
; %bb.64:
	buffer_load_dword v26, v32, s[0:3], 0 offen
	buffer_load_dword v27, v32, s[0:3], 0 offen offset:4
	buffer_load_dword v28, v32, s[0:3], 0 offen offset:8
	;; [unrolled: 1-line block ×3, first 2 shown]
	v_mov_b32_e32 v3, 0
	buffer_store_dword v3, off, s[0:3], 0 offset:64
	buffer_store_dword v3, off, s[0:3], 0 offset:68
	buffer_store_dword v3, off, s[0:3], 0 offset:72
	buffer_store_dword v3, off, s[0:3], 0 offset:76
	s_waitcnt vmcnt(4)
	ds_write_b128 v2, v[26:29]
.LBB73_65:
	s_or_b64 exec, exec, s[6:7]
	s_waitcnt lgkmcnt(0)
	; wave barrier
	s_waitcnt lgkmcnt(0)
	buffer_load_dword v4, off, s[0:3], 0 offset:88
	buffer_load_dword v5, off, s[0:3], 0 offset:92
	;; [unrolled: 1-line block ×24, first 2 shown]
	v_mov_b32_e32 v3, 0
	ds_read_b128 v[26:29], v3 offset:240
	ds_read_b128 v[42:45], v3 offset:256
	;; [unrolled: 1-line block ×5, first 2 shown]
	v_cmp_lt_u32_e32 vcc, 3, v40
	s_waitcnt vmcnt(22) lgkmcnt(4)
	v_mul_f64 v[78:79], v[26:27], v[4:5]
	v_mul_f64 v[4:5], v[28:29], v[4:5]
	s_waitcnt vmcnt(20) lgkmcnt(3)
	v_mul_f64 v[80:81], v[42:43], v[30:31]
	v_mul_f64 v[30:31], v[44:45], v[30:31]
	;; [unrolled: 3-line block ×4, first 2 shown]
	s_waitcnt vmcnt(13) lgkmcnt(0)
	v_mul_f64 v[86:87], v[54:55], v[60:61]
	s_waitcnt vmcnt(11)
	v_fma_f64 v[4:5], v[26:27], v[66:67], -v[4:5]
	v_fmac_f64_e32 v[78:79], v[28:29], v[66:67]
	s_waitcnt vmcnt(9)
	v_fma_f64 v[26:27], v[42:43], v[68:69], -v[30:31]
	v_add_f64 v[4:5], v[4:5], 0
	v_fmac_f64_e32 v[80:81], v[44:45], v[68:69]
	s_waitcnt vmcnt(7)
	v_fma_f64 v[28:29], v[46:47], v[70:71], -v[58:59]
	v_add_f64 v[44:45], v[78:79], 0
	v_add_f64 v[4:5], v[4:5], v[26:27]
	v_mul_f64 v[60:61], v[56:57], v[60:61]
	v_fmac_f64_e32 v[82:83], v[48:49], v[70:71]
	s_waitcnt vmcnt(5)
	v_fma_f64 v[30:31], v[50:51], v[72:73], -v[64:65]
	v_add_f64 v[44:45], v[44:45], v[80:81]
	v_add_f64 v[4:5], v[4:5], v[28:29]
	v_fmac_f64_e32 v[84:85], v[52:53], v[72:73]
	s_waitcnt vmcnt(4)
	v_fma_f64 v[42:43], v[54:55], v[62:63], -v[60:61]
	v_add_f64 v[26:27], v[44:45], v[82:83]
	v_add_f64 v[4:5], v[4:5], v[30:31]
	v_fmac_f64_e32 v[86:87], v[56:57], v[62:63]
	v_add_f64 v[26:27], v[26:27], v[84:85]
	v_add_f64 v[4:5], v[4:5], v[42:43]
	;; [unrolled: 1-line block ×3, first 2 shown]
	s_waitcnt vmcnt(2)
	v_add_f64 v[4:5], v[74:75], -v[4:5]
	s_waitcnt vmcnt(0)
	v_add_f64 v[26:27], v[76:77], -v[26:27]
	buffer_store_dword v5, off, s[0:3], 0 offset:68
	buffer_store_dword v4, off, s[0:3], 0 offset:64
	;; [unrolled: 1-line block ×4, first 2 shown]
	s_and_saveexec_b64 s[6:7], vcc
	s_cbranch_execz .LBB73_67
; %bb.66:
	buffer_load_dword v26, v39, s[0:3], 0 offen
	buffer_load_dword v27, v39, s[0:3], 0 offen offset:4
	buffer_load_dword v28, v39, s[0:3], 0 offen offset:8
	;; [unrolled: 1-line block ×3, first 2 shown]
	s_nop 0
	buffer_store_dword v3, off, s[0:3], 0 offset:48
	buffer_store_dword v3, off, s[0:3], 0 offset:52
	;; [unrolled: 1-line block ×4, first 2 shown]
	s_waitcnt vmcnt(4)
	ds_write_b128 v2, v[26:29]
.LBB73_67:
	s_or_b64 exec, exec, s[6:7]
	s_waitcnt lgkmcnt(0)
	; wave barrier
	s_waitcnt lgkmcnt(0)
	buffer_load_dword v4, off, s[0:3], 0 offset:72
	buffer_load_dword v5, off, s[0:3], 0 offset:76
	;; [unrolled: 1-line block ×28, first 2 shown]
	ds_read_b128 v[26:29], v3 offset:224
	ds_read_b128 v[42:45], v3 offset:240
	ds_read_b128 v[46:49], v3 offset:256
	ds_read_b128 v[50:53], v3 offset:272
	ds_read_b128 v[54:57], v3 offset:288
	ds_read_b128 v[58:61], v3 offset:304
	v_cmp_lt_u32_e32 vcc, 2, v40
	s_waitcnt vmcnt(26) lgkmcnt(5)
	v_mul_f64 v[86:87], v[26:27], v[4:5]
	v_mul_f64 v[4:5], v[28:29], v[4:5]
	s_waitcnt vmcnt(24) lgkmcnt(4)
	v_mul_f64 v[88:89], v[42:43], v[30:31]
	v_mul_f64 v[30:31], v[44:45], v[30:31]
	s_waitcnt vmcnt(22) lgkmcnt(3)
	v_mul_f64 v[90:91], v[46:47], v[62:63]
	v_mul_f64 v[62:63], v[48:49], v[62:63]
	s_waitcnt vmcnt(20) lgkmcnt(1)
	v_mul_f64 v[94:95], v[54:55], v[64:65]
	v_mul_f64 v[64:65], v[56:57], v[64:65]
	s_waitcnt vmcnt(18)
	v_mul_f64 v[92:93], v[50:51], v[66:67]
	v_mul_f64 v[66:67], v[52:53], v[66:67]
	s_waitcnt vmcnt(16) lgkmcnt(0)
	v_mul_f64 v[96:97], v[58:59], v[68:69]
	v_mul_f64 v[68:69], v[60:61], v[68:69]
	s_waitcnt vmcnt(14)
	v_fmac_f64_e32 v[94:95], v[56:57], v[70:71]
	s_waitcnt vmcnt(12)
	v_fma_f64 v[4:5], v[26:27], v[72:73], -v[4:5]
	v_fmac_f64_e32 v[86:87], v[28:29], v[72:73]
	s_waitcnt vmcnt(10)
	v_fma_f64 v[26:27], v[42:43], v[74:75], -v[30:31]
	v_add_f64 v[4:5], v[4:5], 0
	v_fmac_f64_e32 v[88:89], v[44:45], v[74:75]
	s_waitcnt vmcnt(8)
	v_fma_f64 v[28:29], v[46:47], v[76:77], -v[62:63]
	v_add_f64 v[46:47], v[86:87], 0
	v_add_f64 v[4:5], v[4:5], v[26:27]
	v_fmac_f64_e32 v[90:91], v[48:49], v[76:77]
	s_waitcnt vmcnt(6)
	v_fma_f64 v[30:31], v[50:51], v[78:79], -v[66:67]
	v_add_f64 v[46:47], v[46:47], v[88:89]
	v_add_f64 v[4:5], v[4:5], v[28:29]
	v_fmac_f64_e32 v[92:93], v[52:53], v[78:79]
	v_fma_f64 v[42:43], v[54:55], v[70:71], -v[64:65]
	v_add_f64 v[26:27], v[46:47], v[90:91]
	v_add_f64 v[4:5], v[4:5], v[30:31]
	s_waitcnt vmcnt(4)
	v_fma_f64 v[44:45], v[58:59], v[80:81], -v[68:69]
	v_add_f64 v[26:27], v[26:27], v[92:93]
	v_add_f64 v[4:5], v[4:5], v[42:43]
	v_fmac_f64_e32 v[96:97], v[60:61], v[80:81]
	v_add_f64 v[26:27], v[26:27], v[94:95]
	v_add_f64 v[4:5], v[4:5], v[44:45]
	;; [unrolled: 1-line block ×3, first 2 shown]
	s_waitcnt vmcnt(2)
	v_add_f64 v[4:5], v[82:83], -v[4:5]
	s_waitcnt vmcnt(0)
	v_add_f64 v[26:27], v[84:85], -v[26:27]
	buffer_store_dword v5, off, s[0:3], 0 offset:52
	buffer_store_dword v4, off, s[0:3], 0 offset:48
	;; [unrolled: 1-line block ×4, first 2 shown]
	s_and_saveexec_b64 s[6:7], vcc
	s_cbranch_execz .LBB73_69
; %bb.68:
	buffer_load_dword v26, v38, s[0:3], 0 offen
	buffer_load_dword v27, v38, s[0:3], 0 offen offset:4
	buffer_load_dword v28, v38, s[0:3], 0 offen offset:8
	;; [unrolled: 1-line block ×3, first 2 shown]
	v_mov_b32_e32 v3, 0
	buffer_store_dword v3, off, s[0:3], 0 offset:32
	buffer_store_dword v3, off, s[0:3], 0 offset:36
	;; [unrolled: 1-line block ×4, first 2 shown]
	s_waitcnt vmcnt(4)
	ds_write_b128 v2, v[26:29]
.LBB73_69:
	s_or_b64 exec, exec, s[6:7]
	s_waitcnt lgkmcnt(0)
	; wave barrier
	s_waitcnt lgkmcnt(0)
	buffer_load_dword v4, off, s[0:3], 0 offset:56
	buffer_load_dword v5, off, s[0:3], 0 offset:60
	buffer_load_dword v30, off, s[0:3], 0 offset:72
	buffer_load_dword v31, off, s[0:3], 0 offset:76
	buffer_load_dword v66, off, s[0:3], 0 offset:88
	buffer_load_dword v67, off, s[0:3], 0 offset:92
	buffer_load_dword v69, off, s[0:3], 0 offset:124
	buffer_load_dword v68, off, s[0:3], 0 offset:120
	buffer_load_dword v70, off, s[0:3], 0 offset:112
	buffer_load_dword v73, off, s[0:3], 0 offset:108
	buffer_load_dword v72, off, s[0:3], 0 offset:104
	buffer_load_dword v74, off, s[0:3], 0 offset:152
	buffer_load_dword v76, off, s[0:3], 0 offset:144
	buffer_load_dword v79, off, s[0:3], 0 offset:140
	buffer_load_dword v78, off, s[0:3], 0 offset:136
	buffer_load_dword v75, off, s[0:3], 0 offset:156
	buffer_load_dword v71, off, s[0:3], 0 offset:116
	buffer_load_dword v80, off, s[0:3], 0 offset:48
	buffer_load_dword v81, off, s[0:3], 0 offset:52
	buffer_load_dword v82, off, s[0:3], 0 offset:64
	buffer_load_dword v83, off, s[0:3], 0 offset:68
	buffer_load_dword v84, off, s[0:3], 0 offset:80
	buffer_load_dword v85, off, s[0:3], 0 offset:84
	buffer_load_dword v87, off, s[0:3], 0 offset:100
	buffer_load_dword v86, off, s[0:3], 0 offset:96
	buffer_load_dword v89, off, s[0:3], 0 offset:132
	buffer_load_dword v88, off, s[0:3], 0 offset:128
	buffer_load_dword v77, off, s[0:3], 0 offset:148
	buffer_load_dword v90, off, s[0:3], 0 offset:32
	buffer_load_dword v91, off, s[0:3], 0 offset:36
	buffer_load_dword v92, off, s[0:3], 0 offset:40
	buffer_load_dword v93, off, s[0:3], 0 offset:44
	v_mov_b32_e32 v3, 0
	ds_read_b128 v[26:29], v3 offset:208
	ds_read_b128 v[42:45], v3 offset:224
	;; [unrolled: 1-line block ×7, first 2 shown]
	v_cmp_lt_u32_e32 vcc, 1, v40
	s_waitcnt vmcnt(30) lgkmcnt(6)
	v_mul_f64 v[94:95], v[26:27], v[4:5]
	v_mul_f64 v[4:5], v[28:29], v[4:5]
	s_waitcnt vmcnt(28) lgkmcnt(5)
	v_mul_f64 v[96:97], v[42:43], v[30:31]
	v_mul_f64 v[30:31], v[44:45], v[30:31]
	s_waitcnt vmcnt(26) lgkmcnt(4)
	v_mul_f64 v[98:99], v[46:47], v[66:67]
	v_mul_f64 v[66:67], v[48:49], v[66:67]
	s_waitcnt vmcnt(24) lgkmcnt(2)
	v_mul_f64 v[102:103], v[54:55], v[68:69]
	v_mul_f64 v[68:69], v[56:57], v[68:69]
	s_waitcnt vmcnt(21)
	v_mul_f64 v[100:101], v[50:51], v[72:73]
	v_mul_f64 v[72:73], v[52:53], v[72:73]
	s_waitcnt vmcnt(17) lgkmcnt(1)
	v_mul_f64 v[104:105], v[58:59], v[78:79]
	v_mul_f64 v[78:79], v[60:61], v[78:79]
	s_waitcnt vmcnt(16) lgkmcnt(0)
	v_mul_f64 v[106:107], v[62:63], v[74:75]
	v_mul_f64 v[74:75], v[64:65], v[74:75]
	s_waitcnt vmcnt(13)
	v_fma_f64 v[4:5], v[26:27], v[80:81], -v[4:5]
	v_fmac_f64_e32 v[94:95], v[28:29], v[80:81]
	s_waitcnt vmcnt(11)
	v_fma_f64 v[26:27], v[42:43], v[82:83], -v[30:31]
	v_add_f64 v[4:5], v[4:5], 0
	v_fmac_f64_e32 v[96:97], v[44:45], v[82:83]
	s_waitcnt vmcnt(9)
	v_fmac_f64_e32 v[98:99], v[48:49], v[84:85]
	v_fma_f64 v[28:29], v[46:47], v[84:85], -v[66:67]
	v_add_f64 v[48:49], v[94:95], 0
	v_add_f64 v[4:5], v[4:5], v[26:27]
	s_waitcnt vmcnt(7)
	v_fma_f64 v[30:31], v[50:51], v[86:87], -v[72:73]
	v_add_f64 v[48:49], v[48:49], v[96:97]
	v_add_f64 v[4:5], v[4:5], v[28:29]
	v_fmac_f64_e32 v[100:101], v[52:53], v[86:87]
	v_fma_f64 v[42:43], v[54:55], v[70:71], -v[68:69]
	v_add_f64 v[26:27], v[48:49], v[98:99]
	v_add_f64 v[4:5], v[4:5], v[30:31]
	v_fmac_f64_e32 v[102:103], v[56:57], v[70:71]
	s_waitcnt vmcnt(5)
	v_fma_f64 v[44:45], v[58:59], v[88:89], -v[78:79]
	v_add_f64 v[26:27], v[26:27], v[100:101]
	v_add_f64 v[4:5], v[4:5], v[42:43]
	v_fmac_f64_e32 v[104:105], v[60:61], v[88:89]
	s_waitcnt vmcnt(4)
	v_fma_f64 v[46:47], v[62:63], v[76:77], -v[74:75]
	v_add_f64 v[26:27], v[26:27], v[102:103]
	v_add_f64 v[4:5], v[4:5], v[44:45]
	v_fmac_f64_e32 v[106:107], v[64:65], v[76:77]
	v_add_f64 v[26:27], v[26:27], v[104:105]
	v_add_f64 v[4:5], v[4:5], v[46:47]
	;; [unrolled: 1-line block ×3, first 2 shown]
	s_waitcnt vmcnt(2)
	v_add_f64 v[4:5], v[90:91], -v[4:5]
	s_waitcnt vmcnt(0)
	v_add_f64 v[26:27], v[92:93], -v[26:27]
	buffer_store_dword v5, off, s[0:3], 0 offset:36
	buffer_store_dword v4, off, s[0:3], 0 offset:32
	;; [unrolled: 1-line block ×4, first 2 shown]
	s_and_saveexec_b64 s[6:7], vcc
	s_cbranch_execz .LBB73_71
; %bb.70:
	buffer_load_dword v26, v37, s[0:3], 0 offen
	buffer_load_dword v27, v37, s[0:3], 0 offen offset:4
	buffer_load_dword v28, v37, s[0:3], 0 offen offset:8
	;; [unrolled: 1-line block ×3, first 2 shown]
	s_nop 0
	buffer_store_dword v3, off, s[0:3], 0 offset:16
	buffer_store_dword v3, off, s[0:3], 0 offset:20
	;; [unrolled: 1-line block ×4, first 2 shown]
	s_waitcnt vmcnt(4)
	ds_write_b128 v2, v[26:29]
.LBB73_71:
	s_or_b64 exec, exec, s[6:7]
	s_waitcnt lgkmcnt(0)
	; wave barrier
	s_waitcnt lgkmcnt(0)
	buffer_load_dword v4, off, s[0:3], 0 offset:40
	buffer_load_dword v5, off, s[0:3], 0 offset:44
	buffer_load_dword v30, off, s[0:3], 0 offset:56
	buffer_load_dword v31, off, s[0:3], 0 offset:60
	buffer_load_dword v70, off, s[0:3], 0 offset:72
	buffer_load_dword v71, off, s[0:3], 0 offset:76
	buffer_load_dword v73, off, s[0:3], 0 offset:108
	buffer_load_dword v72, off, s[0:3], 0 offset:104
	buffer_load_dword v74, off, s[0:3], 0 offset:96
	buffer_load_dword v77, off, s[0:3], 0 offset:92
	buffer_load_dword v76, off, s[0:3], 0 offset:88
	buffer_load_dword v79, off, s[0:3], 0 offset:140
	buffer_load_dword v78, off, s[0:3], 0 offset:136
	buffer_load_dword v80, off, s[0:3], 0 offset:128
	buffer_load_dword v83, off, s[0:3], 0 offset:124
	buffer_load_dword v82, off, s[0:3], 0 offset:120
	buffer_load_dword v85, off, s[0:3], 0 offset:156
	buffer_load_dword v84, off, s[0:3], 0 offset:152
	buffer_load_dword v75, off, s[0:3], 0 offset:100
	buffer_load_dword v81, off, s[0:3], 0 offset:132
	buffer_load_dword v86, off, s[0:3], 0 offset:32
	buffer_load_dword v87, off, s[0:3], 0 offset:36
	buffer_load_dword v88, off, s[0:3], 0 offset:48
	buffer_load_dword v89, off, s[0:3], 0 offset:52
	buffer_load_dword v90, off, s[0:3], 0 offset:64
	buffer_load_dword v91, off, s[0:3], 0 offset:68
	buffer_load_dword v93, off, s[0:3], 0 offset:84
	buffer_load_dword v92, off, s[0:3], 0 offset:80
	buffer_load_dword v95, off, s[0:3], 0 offset:116
	buffer_load_dword v94, off, s[0:3], 0 offset:112
	buffer_load_dword v97, off, s[0:3], 0 offset:148
	buffer_load_dword v96, off, s[0:3], 0 offset:144
	buffer_load_dword v98, off, s[0:3], 0 offset:16
	buffer_load_dword v99, off, s[0:3], 0 offset:20
	buffer_load_dword v100, off, s[0:3], 0 offset:24
	buffer_load_dword v101, off, s[0:3], 0 offset:28
	ds_read_b128 v[26:29], v3 offset:192
	ds_read_b128 v[42:45], v3 offset:208
	;; [unrolled: 1-line block ×8, first 2 shown]
	v_cmp_ne_u32_e32 vcc, 0, v40
	s_waitcnt vmcnt(34) lgkmcnt(7)
	v_mul_f64 v[102:103], v[26:27], v[4:5]
	v_mul_f64 v[4:5], v[28:29], v[4:5]
	s_waitcnt vmcnt(32) lgkmcnt(6)
	v_mul_f64 v[104:105], v[42:43], v[30:31]
	v_mul_f64 v[30:31], v[44:45], v[30:31]
	;; [unrolled: 3-line block ×4, first 2 shown]
	s_waitcnt vmcnt(25)
	v_mul_f64 v[108:109], v[50:51], v[76:77]
	v_mul_f64 v[76:77], v[52:53], v[76:77]
	s_waitcnt vmcnt(23) lgkmcnt(1)
	v_mul_f64 v[114:115], v[62:63], v[78:79]
	v_mul_f64 v[78:79], v[64:65], v[78:79]
	s_waitcnt vmcnt(20)
	v_mul_f64 v[112:113], v[58:59], v[82:83]
	v_mul_f64 v[82:83], v[60:61], v[82:83]
	s_waitcnt vmcnt(18) lgkmcnt(0)
	v_mul_f64 v[116:117], v[66:67], v[84:85]
	s_waitcnt vmcnt(17)
	v_fmac_f64_e32 v[110:111], v[56:57], v[74:75]
	s_waitcnt vmcnt(16)
	v_fmac_f64_e32 v[114:115], v[64:65], v[80:81]
	s_waitcnt vmcnt(14)
	v_fma_f64 v[4:5], v[26:27], v[86:87], -v[4:5]
	v_fmac_f64_e32 v[102:103], v[28:29], v[86:87]
	s_waitcnt vmcnt(12)
	v_fma_f64 v[26:27], v[42:43], v[88:89], -v[30:31]
	v_add_f64 v[4:5], v[4:5], 0
	v_fmac_f64_e32 v[104:105], v[44:45], v[88:89]
	s_waitcnt vmcnt(10)
	v_fmac_f64_e32 v[106:107], v[48:49], v[90:91]
	v_fma_f64 v[28:29], v[46:47], v[90:91], -v[70:71]
	v_add_f64 v[48:49], v[102:103], 0
	v_add_f64 v[4:5], v[4:5], v[26:27]
	s_waitcnt vmcnt(8)
	v_fma_f64 v[30:31], v[50:51], v[92:93], -v[76:77]
	v_add_f64 v[48:49], v[48:49], v[104:105]
	v_add_f64 v[4:5], v[4:5], v[28:29]
	v_fmac_f64_e32 v[108:109], v[52:53], v[92:93]
	v_fma_f64 v[42:43], v[54:55], v[74:75], -v[72:73]
	v_add_f64 v[26:27], v[48:49], v[106:107]
	v_add_f64 v[4:5], v[4:5], v[30:31]
	s_waitcnt vmcnt(6)
	v_fma_f64 v[44:45], v[58:59], v[94:95], -v[82:83]
	v_add_f64 v[26:27], v[26:27], v[108:109]
	v_add_f64 v[4:5], v[4:5], v[42:43]
	v_fmac_f64_e32 v[112:113], v[60:61], v[94:95]
	v_fma_f64 v[46:47], v[62:63], v[80:81], -v[78:79]
	v_add_f64 v[26:27], v[26:27], v[110:111]
	v_add_f64 v[4:5], v[4:5], v[44:45]
	v_mul_f64 v[28:29], v[68:69], v[84:85]
	v_add_f64 v[26:27], v[26:27], v[112:113]
	v_add_f64 v[4:5], v[4:5], v[46:47]
	s_waitcnt vmcnt(4)
	v_fma_f64 v[28:29], v[66:67], v[96:97], -v[28:29]
	v_fmac_f64_e32 v[116:117], v[68:69], v[96:97]
	v_add_f64 v[26:27], v[26:27], v[114:115]
	v_add_f64 v[4:5], v[4:5], v[28:29]
	;; [unrolled: 1-line block ×3, first 2 shown]
	s_waitcnt vmcnt(2)
	v_add_f64 v[4:5], v[98:99], -v[4:5]
	s_waitcnt vmcnt(0)
	v_add_f64 v[26:27], v[100:101], -v[26:27]
	buffer_store_dword v5, off, s[0:3], 0 offset:20
	buffer_store_dword v4, off, s[0:3], 0 offset:16
	;; [unrolled: 1-line block ×4, first 2 shown]
	s_and_saveexec_b64 s[6:7], vcc
	s_cbranch_execz .LBB73_73
; %bb.72:
	buffer_load_dword v26, off, s[0:3], 0
	buffer_load_dword v27, off, s[0:3], 0 offset:4
	buffer_load_dword v28, off, s[0:3], 0 offset:8
	buffer_load_dword v29, off, s[0:3], 0 offset:12
	v_mov_b32_e32 v3, 0
	buffer_store_dword v3, off, s[0:3], 0
	buffer_store_dword v3, off, s[0:3], 0 offset:4
	buffer_store_dword v3, off, s[0:3], 0 offset:8
	buffer_store_dword v3, off, s[0:3], 0 offset:12
	s_waitcnt vmcnt(4)
	ds_write_b128 v2, v[26:29]
.LBB73_73:
	s_or_b64 exec, exec, s[6:7]
	s_waitcnt lgkmcnt(0)
	; wave barrier
	s_waitcnt lgkmcnt(0)
	buffer_load_dword v30, off, s[0:3], 0 offset:24
	buffer_load_dword v31, off, s[0:3], 0 offset:28
	buffer_load_dword v70, off, s[0:3], 0 offset:40
	buffer_load_dword v71, off, s[0:3], 0 offset:44
	buffer_load_dword v72, off, s[0:3], 0 offset:56
	buffer_load_dword v73, off, s[0:3], 0 offset:60
	buffer_load_dword v75, off, s[0:3], 0 offset:92
	buffer_load_dword v74, off, s[0:3], 0 offset:88
	buffer_load_dword v77, off, s[0:3], 0 offset:84
	buffer_load_dword v76, off, s[0:3], 0 offset:80
	buffer_load_dword v79, off, s[0:3], 0 offset:76
	buffer_load_dword v78, off, s[0:3], 0 offset:72
	buffer_load_dword v81, off, s[0:3], 0 offset:124
	buffer_load_dword v80, off, s[0:3], 0 offset:120
	buffer_load_dword v83, off, s[0:3], 0 offset:116
	buffer_load_dword v82, off, s[0:3], 0 offset:112
	buffer_load_dword v85, off, s[0:3], 0 offset:108
	buffer_load_dword v84, off, s[0:3], 0 offset:104
	buffer_load_dword v86, off, s[0:3], 0 offset:152
	buffer_load_dword v88, off, s[0:3], 0 offset:144
	buffer_load_dword v91, off, s[0:3], 0 offset:140
	buffer_load_dword v90, off, s[0:3], 0 offset:136
	buffer_load_dword v87, off, s[0:3], 0 offset:156
	buffer_load_dword v92, off, s[0:3], 0 offset:16
	buffer_load_dword v93, off, s[0:3], 0 offset:20
	buffer_load_dword v94, off, s[0:3], 0 offset:32
	buffer_load_dword v95, off, s[0:3], 0 offset:36
	buffer_load_dword v96, off, s[0:3], 0 offset:48
	buffer_load_dword v97, off, s[0:3], 0 offset:52
	buffer_load_dword v99, off, s[0:3], 0 offset:68
	buffer_load_dword v98, off, s[0:3], 0 offset:64
	buffer_load_dword v101, off, s[0:3], 0 offset:100
	buffer_load_dword v100, off, s[0:3], 0 offset:96
	buffer_load_dword v103, off, s[0:3], 0 offset:132
	buffer_load_dword v102, off, s[0:3], 0 offset:128
	buffer_load_dword v89, off, s[0:3], 0 offset:148
	buffer_load_dword v104, off, s[0:3], 0
	buffer_load_dword v105, off, s[0:3], 0 offset:4
	buffer_load_dword v106, off, s[0:3], 0 offset:8
	;; [unrolled: 1-line block ×3, first 2 shown]
	v_mov_b32_e32 v41, 0
	ds_read_b128 v[2:5], v41 offset:176
	ds_read_b128 v[26:29], v41 offset:192
	;; [unrolled: 1-line block ×9, first 2 shown]
	s_and_b64 vcc, exec, s[18:19]
	s_waitcnt vmcnt(38) lgkmcnt(8)
	v_mul_f64 v[108:109], v[2:3], v[30:31]
	v_mul_f64 v[30:31], v[4:5], v[30:31]
	s_waitcnt vmcnt(36) lgkmcnt(7)
	v_mul_f64 v[110:111], v[26:27], v[70:71]
	v_mul_f64 v[70:71], v[28:29], v[70:71]
	;; [unrolled: 3-line block ×3, first 2 shown]
	s_waitcnt vmcnt(32) lgkmcnt(4)
	v_mul_f64 v[116:117], v[50:51], v[74:75]
	s_waitcnt vmcnt(30)
	v_fmac_f64_e32 v[116:117], v[52:53], v[76:77]
	s_waitcnt vmcnt(28)
	v_mul_f64 v[114:115], v[46:47], v[78:79]
	v_mul_f64 v[78:79], v[48:49], v[78:79]
	s_waitcnt vmcnt(26) lgkmcnt(2)
	v_mul_f64 v[120:121], v[58:59], v[80:81]
	s_waitcnt vmcnt(24)
	v_fmac_f64_e32 v[120:121], v[60:61], v[82:83]
	s_waitcnt vmcnt(22)
	v_mul_f64 v[118:119], v[54:55], v[84:85]
	s_waitcnt vmcnt(18) lgkmcnt(1)
	v_mul_f64 v[122:123], v[62:63], v[90:91]
	s_waitcnt vmcnt(17) lgkmcnt(0)
	v_mul_f64 v[124:125], v[66:67], v[86:87]
	s_waitcnt vmcnt(15)
	v_fma_f64 v[2:3], v[2:3], v[92:93], -v[30:31]
	v_fmac_f64_e32 v[108:109], v[4:5], v[92:93]
	s_waitcnt vmcnt(13)
	v_fma_f64 v[4:5], v[26:27], v[94:95], -v[70:71]
	v_add_f64 v[2:3], v[2:3], 0
	s_waitcnt vmcnt(11)
	v_fma_f64 v[26:27], v[42:43], v[96:97], -v[72:73]
	v_add_f64 v[2:3], v[2:3], v[4:5]
	v_fmac_f64_e32 v[110:111], v[28:29], v[94:95]
	s_waitcnt vmcnt(9)
	v_fma_f64 v[28:29], v[46:47], v[98:99], -v[78:79]
	v_add_f64 v[2:3], v[2:3], v[26:27]
	v_mul_f64 v[26:27], v[52:53], v[74:75]
	v_add_f64 v[2:3], v[2:3], v[28:29]
	v_fma_f64 v[26:27], v[50:51], v[76:77], -v[26:27]
	v_add_f64 v[2:3], v[2:3], v[26:27]
	v_mul_f64 v[26:27], v[56:57], v[84:85]
	v_add_f64 v[30:31], v[108:109], 0
	s_waitcnt vmcnt(7)
	v_fma_f64 v[26:27], v[54:55], v[100:101], -v[26:27]
	v_fmac_f64_e32 v[112:113], v[44:45], v[96:97]
	v_add_f64 v[30:31], v[30:31], v[110:111]
	v_add_f64 v[2:3], v[2:3], v[26:27]
	v_mul_f64 v[26:27], v[60:61], v[80:81]
	v_fmac_f64_e32 v[114:115], v[48:49], v[98:99]
	v_add_f64 v[4:5], v[30:31], v[112:113]
	v_fma_f64 v[26:27], v[58:59], v[82:83], -v[26:27]
	v_add_f64 v[4:5], v[4:5], v[114:115]
	v_add_f64 v[2:3], v[2:3], v[26:27]
	v_mul_f64 v[26:27], v[64:65], v[90:91]
	v_fmac_f64_e32 v[118:119], v[56:57], v[100:101]
	v_add_f64 v[4:5], v[4:5], v[116:117]
	s_waitcnt vmcnt(5)
	v_fma_f64 v[26:27], v[62:63], v[102:103], -v[26:27]
	v_add_f64 v[4:5], v[4:5], v[118:119]
	v_add_f64 v[2:3], v[2:3], v[26:27]
	v_mul_f64 v[26:27], v[68:69], v[86:87]
	v_fmac_f64_e32 v[122:123], v[64:65], v[102:103]
	v_add_f64 v[4:5], v[4:5], v[120:121]
	s_waitcnt vmcnt(4)
	v_fma_f64 v[26:27], v[66:67], v[88:89], -v[26:27]
	v_fmac_f64_e32 v[124:125], v[68:69], v[88:89]
	v_add_f64 v[4:5], v[4:5], v[122:123]
	v_add_f64 v[2:3], v[2:3], v[26:27]
	;; [unrolled: 1-line block ×3, first 2 shown]
	s_waitcnt vmcnt(2)
	v_add_f64 v[2:3], v[104:105], -v[2:3]
	s_waitcnt vmcnt(0)
	v_add_f64 v[4:5], v[106:107], -v[4:5]
	buffer_store_dword v3, off, s[0:3], 0 offset:4
	buffer_store_dword v2, off, s[0:3], 0
	buffer_store_dword v5, off, s[0:3], 0 offset:12
	buffer_store_dword v4, off, s[0:3], 0 offset:8
	s_cbranch_vccz .LBB73_93
; %bb.74:
	v_pk_mov_b32 v[2:3], s[16:17], s[16:17] op_sel:[0,1]
	flat_load_dword v2, v[2:3] offset:32
	s_load_dwordx2 s[4:5], s[4:5], 0x4
	v_bfe_u32 v4, v0, 10, 10
	v_bfe_u32 v0, v0, 20, 10
	s_waitcnt lgkmcnt(0)
	s_lshr_b32 s4, s4, 16
	s_mul_i32 s4, s4, s5
	v_mul_u32_u24_e32 v3, s4, v40
	v_mul_u32_u24_e32 v4, s5, v4
	v_add3_u32 v0, v3, v4, v0
	v_mov_b32_e32 v3, 0x148
	v_lshl_add_u32 v0, v0, 4, v3
	s_waitcnt vmcnt(0)
	v_add_u32_e32 v2, -1, v2
	v_cmp_ne_u32_e32 vcc, 8, v2
	s_and_saveexec_b64 s[4:5], vcc
	s_cbranch_execz .LBB73_76
; %bb.75:
	v_mov_b32_e32 v3, 0
	v_lshl_add_u32 v26, v2, 4, v3
	buffer_load_dword v2, v34, s[0:3], 0 offen
	buffer_load_dword v3, v34, s[0:3], 0 offen offset:4
	buffer_load_dword v4, v34, s[0:3], 0 offen offset:8
	buffer_load_dword v5, v34, s[0:3], 0 offen offset:12
	buffer_load_dword v27, v26, s[0:3], 0 offen
	buffer_load_dword v28, v26, s[0:3], 0 offen offset:4
	buffer_load_dword v29, v26, s[0:3], 0 offen offset:8
	buffer_load_dword v30, v26, s[0:3], 0 offen offset:12
	s_waitcnt vmcnt(4)
	ds_write2_b64 v0, v[2:3], v[4:5] offset1:1
	s_waitcnt vmcnt(3)
	buffer_store_dword v27, v34, s[0:3], 0 offen
	s_waitcnt vmcnt(3)
	buffer_store_dword v28, v34, s[0:3], 0 offen offset:4
	s_waitcnt vmcnt(3)
	buffer_store_dword v29, v34, s[0:3], 0 offen offset:8
	s_waitcnt vmcnt(3)
	buffer_store_dword v30, v34, s[0:3], 0 offen offset:12
	buffer_store_dword v5, v26, s[0:3], 0 offen offset:12
	buffer_store_dword v4, v26, s[0:3], 0 offen offset:8
	buffer_store_dword v3, v26, s[0:3], 0 offen offset:4
	buffer_store_dword v2, v26, s[0:3], 0 offen
.LBB73_76:
	s_or_b64 exec, exec, s[4:5]
	v_pk_mov_b32 v[2:3], s[16:17], s[16:17] op_sel:[0,1]
	flat_load_dword v2, v[2:3] offset:28
	s_waitcnt vmcnt(0) lgkmcnt(0)
	v_add_u32_e32 v2, -1, v2
	v_cmp_ne_u32_e32 vcc, 7, v2
	s_and_saveexec_b64 s[4:5], vcc
	s_cbranch_execz .LBB73_78
; %bb.77:
	v_mov_b32_e32 v3, 0
	v_lshl_add_u32 v26, v2, 4, v3
	buffer_load_dword v2, v1, s[0:3], 0 offen
	buffer_load_dword v3, v1, s[0:3], 0 offen offset:4
	buffer_load_dword v4, v1, s[0:3], 0 offen offset:8
	buffer_load_dword v5, v1, s[0:3], 0 offen offset:12
	buffer_load_dword v27, v26, s[0:3], 0 offen
	buffer_load_dword v28, v26, s[0:3], 0 offen offset:4
	buffer_load_dword v29, v26, s[0:3], 0 offen offset:8
	buffer_load_dword v30, v26, s[0:3], 0 offen offset:12
	s_waitcnt vmcnt(4)
	ds_write2_b64 v0, v[2:3], v[4:5] offset1:1
	s_waitcnt vmcnt(3)
	buffer_store_dword v27, v1, s[0:3], 0 offen
	s_waitcnt vmcnt(3)
	buffer_store_dword v28, v1, s[0:3], 0 offen offset:4
	s_waitcnt vmcnt(3)
	buffer_store_dword v29, v1, s[0:3], 0 offen offset:8
	s_waitcnt vmcnt(3)
	buffer_store_dword v30, v1, s[0:3], 0 offen offset:12
	buffer_store_dword v5, v26, s[0:3], 0 offen offset:12
	buffer_store_dword v4, v26, s[0:3], 0 offen offset:8
	buffer_store_dword v3, v26, s[0:3], 0 offen offset:4
	buffer_store_dword v2, v26, s[0:3], 0 offen
.LBB73_78:
	s_or_b64 exec, exec, s[4:5]
	v_pk_mov_b32 v[2:3], s[16:17], s[16:17] op_sel:[0,1]
	flat_load_dword v2, v[2:3] offset:24
	s_waitcnt vmcnt(0) lgkmcnt(0)
	;; [unrolled: 34-line block ×7, first 2 shown]
	v_add_u32_e32 v2, -1, v2
	v_cmp_ne_u32_e32 vcc, 1, v2
	s_and_saveexec_b64 s[4:5], vcc
	s_cbranch_execz .LBB73_90
; %bb.89:
	v_mov_b32_e32 v3, 0
	v_lshl_add_u32 v26, v2, 4, v3
	buffer_load_dword v2, v37, s[0:3], 0 offen
	buffer_load_dword v3, v37, s[0:3], 0 offen offset:4
	buffer_load_dword v4, v37, s[0:3], 0 offen offset:8
	;; [unrolled: 1-line block ×3, first 2 shown]
	buffer_load_dword v27, v26, s[0:3], 0 offen
	buffer_load_dword v28, v26, s[0:3], 0 offen offset:4
	buffer_load_dword v29, v26, s[0:3], 0 offen offset:8
	;; [unrolled: 1-line block ×3, first 2 shown]
	s_waitcnt vmcnt(4)
	ds_write2_b64 v0, v[2:3], v[4:5] offset1:1
	s_waitcnt vmcnt(3)
	buffer_store_dword v27, v37, s[0:3], 0 offen
	s_waitcnt vmcnt(3)
	buffer_store_dword v28, v37, s[0:3], 0 offen offset:4
	s_waitcnt vmcnt(3)
	buffer_store_dword v29, v37, s[0:3], 0 offen offset:8
	;; [unrolled: 2-line block ×3, first 2 shown]
	buffer_store_dword v5, v26, s[0:3], 0 offen offset:12
	buffer_store_dword v4, v26, s[0:3], 0 offen offset:8
	buffer_store_dword v3, v26, s[0:3], 0 offen offset:4
	buffer_store_dword v2, v26, s[0:3], 0 offen
.LBB73_90:
	s_or_b64 exec, exec, s[4:5]
	v_pk_mov_b32 v[2:3], s[16:17], s[16:17] op_sel:[0,1]
	flat_load_dword v2, v[2:3]
	s_waitcnt vmcnt(0) lgkmcnt(0)
	v_add_u32_e32 v2, -1, v2
	v_cmp_ne_u32_e32 vcc, 0, v2
	s_and_saveexec_b64 s[4:5], vcc
	s_cbranch_execz .LBB73_92
; %bb.91:
	v_mov_b32_e32 v3, 0
	v_lshl_add_u32 v26, v2, 4, v3
	buffer_load_dword v2, off, s[0:3], 0
	buffer_load_dword v3, off, s[0:3], 0 offset:4
	buffer_load_dword v4, off, s[0:3], 0 offset:8
	;; [unrolled: 1-line block ×3, first 2 shown]
	buffer_load_dword v27, v26, s[0:3], 0 offen
	buffer_load_dword v28, v26, s[0:3], 0 offen offset:4
	buffer_load_dword v29, v26, s[0:3], 0 offen offset:8
	;; [unrolled: 1-line block ×3, first 2 shown]
	s_waitcnt vmcnt(4)
	ds_write2_b64 v0, v[2:3], v[4:5] offset1:1
	s_waitcnt vmcnt(3)
	buffer_store_dword v27, off, s[0:3], 0
	s_waitcnt vmcnt(3)
	buffer_store_dword v28, off, s[0:3], 0 offset:4
	s_waitcnt vmcnt(3)
	buffer_store_dword v29, off, s[0:3], 0 offset:8
	;; [unrolled: 2-line block ×3, first 2 shown]
	buffer_store_dword v5, v26, s[0:3], 0 offen offset:12
	buffer_store_dword v4, v26, s[0:3], 0 offen offset:8
	;; [unrolled: 1-line block ×3, first 2 shown]
	buffer_store_dword v2, v26, s[0:3], 0 offen
.LBB73_92:
	s_or_b64 exec, exec, s[4:5]
.LBB73_93:
	buffer_load_dword v2, off, s[0:3], 0
	buffer_load_dword v3, off, s[0:3], 0 offset:4
	buffer_load_dword v4, off, s[0:3], 0 offset:8
	;; [unrolled: 1-line block ×3, first 2 shown]
	buffer_load_dword v27, v37, s[0:3], 0 offen offset:4
	buffer_load_dword v28, v37, s[0:3], 0 offen offset:8
	;; [unrolled: 1-line block ×3, first 2 shown]
	buffer_load_dword v40, v38, s[0:3], 0 offen
	buffer_load_dword v41, v38, s[0:3], 0 offen offset:4
	buffer_load_dword v42, v38, s[0:3], 0 offen offset:8
	buffer_load_dword v26, v37, s[0:3], 0 offen
	buffer_load_dword v43, v38, s[0:3], 0 offen offset:12
	buffer_load_dword v45, v39, s[0:3], 0 offen offset:4
	;; [unrolled: 1-line block ×4, first 2 shown]
	buffer_load_dword v48, v32, s[0:3], 0 offen
	buffer_load_dword v49, v32, s[0:3], 0 offen offset:4
	buffer_load_dword v50, v32, s[0:3], 0 offen offset:8
	buffer_load_dword v44, v39, s[0:3], 0 offen
                                        ; kill: killed $vgpr37
                                        ; kill: killed $vgpr39
                                        ; kill: killed $vgpr38
	buffer_load_dword v51, v32, s[0:3], 0 offen offset:12
	buffer_load_dword v53, v33, s[0:3], 0 offen offset:4
	;; [unrolled: 1-line block ×4, first 2 shown]
	buffer_load_dword v56, v35, s[0:3], 0 offen
	buffer_load_dword v57, v35, s[0:3], 0 offen offset:4
	buffer_load_dword v58, v35, s[0:3], 0 offen offset:8
	buffer_load_dword v52, v33, s[0:3], 0 offen
	buffer_load_dword v59, v35, s[0:3], 0 offen offset:12
	buffer_load_dword v61, v1, s[0:3], 0 offen offset:4
	;; [unrolled: 1-line block ×4, first 2 shown]
	buffer_load_dword v64, v34, s[0:3], 0 offen
	buffer_load_dword v65, v34, s[0:3], 0 offen offset:4
	buffer_load_dword v66, v34, s[0:3], 0 offen offset:8
                                        ; kill: killed $vgpr32
                                        ; kill: killed $vgpr35
                                        ; kill: killed $vgpr33
	buffer_load_dword v60, v1, s[0:3], 0 offen
	buffer_load_dword v67, v34, s[0:3], 0 offen offset:12
	buffer_load_dword v30, v36, s[0:3], 0 offen
	buffer_load_dword v31, v36, s[0:3], 0 offen offset:4
	buffer_load_dword v32, v36, s[0:3], 0 offen offset:8
	;; [unrolled: 1-line block ×3, first 2 shown]
	s_waitcnt vmcnt(36)
	global_store_dwordx4 v[6:7], v[2:5], off
	s_waitcnt vmcnt(30)
	global_store_dwordx4 v[8:9], v[26:29], off
	s_waitcnt vmcnt(30)
	global_store_dwordx4 v[10:11], v[40:43], off
	s_waitcnt vmcnt(24)
	global_store_dwordx4 v[12:13], v[44:47], off
	s_waitcnt vmcnt(24)
	global_store_dwordx4 v[14:15], v[48:51], off
	s_waitcnt vmcnt(18)
	global_store_dwordx4 v[16:17], v[52:55], off
	s_waitcnt vmcnt(18)
	global_store_dwordx4 v[18:19], v[56:59], off
	s_waitcnt vmcnt(12)
	global_store_dwordx4 v[20:21], v[60:63], off
	s_waitcnt vmcnt(12)
	global_store_dwordx4 v[24:25], v[64:67], off
	s_waitcnt vmcnt(9)
	global_store_dwordx4 v[22:23], v[30:33], off
	s_endpgm
	.section	.rodata,"a",@progbits
	.p2align	6, 0x0
	.amdhsa_kernel _ZN9rocsolver6v33100L18getri_kernel_smallILi10E19rocblas_complex_numIdEPKPS3_EEvT1_iilPiilS8_bb
		.amdhsa_group_segment_fixed_size 1352
		.amdhsa_private_segment_fixed_size 176
		.amdhsa_kernarg_size 60
		.amdhsa_user_sgpr_count 10
		.amdhsa_user_sgpr_private_segment_buffer 1
		.amdhsa_user_sgpr_dispatch_ptr 1
		.amdhsa_user_sgpr_queue_ptr 0
		.amdhsa_user_sgpr_kernarg_segment_ptr 1
		.amdhsa_user_sgpr_dispatch_id 0
		.amdhsa_user_sgpr_flat_scratch_init 1
		.amdhsa_user_sgpr_kernarg_preload_length 0
		.amdhsa_user_sgpr_kernarg_preload_offset 0
		.amdhsa_user_sgpr_private_segment_size 0
		.amdhsa_uses_dynamic_stack 0
		.amdhsa_system_sgpr_private_segment_wavefront_offset 1
		.amdhsa_system_sgpr_workgroup_id_x 1
		.amdhsa_system_sgpr_workgroup_id_y 0
		.amdhsa_system_sgpr_workgroup_id_z 0
		.amdhsa_system_sgpr_workgroup_info 0
		.amdhsa_system_vgpr_workitem_id 2
		.amdhsa_next_free_vgpr 126
		.amdhsa_next_free_sgpr 24
		.amdhsa_accum_offset 128
		.amdhsa_reserve_vcc 1
		.amdhsa_reserve_flat_scratch 1
		.amdhsa_float_round_mode_32 0
		.amdhsa_float_round_mode_16_64 0
		.amdhsa_float_denorm_mode_32 3
		.amdhsa_float_denorm_mode_16_64 3
		.amdhsa_dx10_clamp 1
		.amdhsa_ieee_mode 1
		.amdhsa_fp16_overflow 0
		.amdhsa_tg_split 0
		.amdhsa_exception_fp_ieee_invalid_op 0
		.amdhsa_exception_fp_denorm_src 0
		.amdhsa_exception_fp_ieee_div_zero 0
		.amdhsa_exception_fp_ieee_overflow 0
		.amdhsa_exception_fp_ieee_underflow 0
		.amdhsa_exception_fp_ieee_inexact 0
		.amdhsa_exception_int_div_zero 0
	.end_amdhsa_kernel
	.section	.text._ZN9rocsolver6v33100L18getri_kernel_smallILi10E19rocblas_complex_numIdEPKPS3_EEvT1_iilPiilS8_bb,"axG",@progbits,_ZN9rocsolver6v33100L18getri_kernel_smallILi10E19rocblas_complex_numIdEPKPS3_EEvT1_iilPiilS8_bb,comdat
.Lfunc_end73:
	.size	_ZN9rocsolver6v33100L18getri_kernel_smallILi10E19rocblas_complex_numIdEPKPS3_EEvT1_iilPiilS8_bb, .Lfunc_end73-_ZN9rocsolver6v33100L18getri_kernel_smallILi10E19rocblas_complex_numIdEPKPS3_EEvT1_iilPiilS8_bb
                                        ; -- End function
	.section	.AMDGPU.csdata,"",@progbits
; Kernel info:
; codeLenInByte = 12908
; NumSgprs: 30
; NumVgprs: 126
; NumAgprs: 0
; TotalNumVgprs: 126
; ScratchSize: 176
; MemoryBound: 0
; FloatMode: 240
; IeeeMode: 1
; LDSByteSize: 1352 bytes/workgroup (compile time only)
; SGPRBlocks: 3
; VGPRBlocks: 15
; NumSGPRsForWavesPerEU: 30
; NumVGPRsForWavesPerEU: 126
; AccumOffset: 128
; Occupancy: 4
; WaveLimiterHint : 1
; COMPUTE_PGM_RSRC2:SCRATCH_EN: 1
; COMPUTE_PGM_RSRC2:USER_SGPR: 10
; COMPUTE_PGM_RSRC2:TRAP_HANDLER: 0
; COMPUTE_PGM_RSRC2:TGID_X_EN: 1
; COMPUTE_PGM_RSRC2:TGID_Y_EN: 0
; COMPUTE_PGM_RSRC2:TGID_Z_EN: 0
; COMPUTE_PGM_RSRC2:TIDIG_COMP_CNT: 2
; COMPUTE_PGM_RSRC3_GFX90A:ACCUM_OFFSET: 31
; COMPUTE_PGM_RSRC3_GFX90A:TG_SPLIT: 0
	.section	.text._ZN9rocsolver6v33100L18getri_kernel_smallILi11E19rocblas_complex_numIdEPKPS3_EEvT1_iilPiilS8_bb,"axG",@progbits,_ZN9rocsolver6v33100L18getri_kernel_smallILi11E19rocblas_complex_numIdEPKPS3_EEvT1_iilPiilS8_bb,comdat
	.globl	_ZN9rocsolver6v33100L18getri_kernel_smallILi11E19rocblas_complex_numIdEPKPS3_EEvT1_iilPiilS8_bb ; -- Begin function _ZN9rocsolver6v33100L18getri_kernel_smallILi11E19rocblas_complex_numIdEPKPS3_EEvT1_iilPiilS8_bb
	.p2align	8
	.type	_ZN9rocsolver6v33100L18getri_kernel_smallILi11E19rocblas_complex_numIdEPKPS3_EEvT1_iilPiilS8_bb,@function
_ZN9rocsolver6v33100L18getri_kernel_smallILi11E19rocblas_complex_numIdEPKPS3_EEvT1_iilPiilS8_bb: ; @_ZN9rocsolver6v33100L18getri_kernel_smallILi11E19rocblas_complex_numIdEPKPS3_EEvT1_iilPiilS8_bb
; %bb.0:
	s_add_u32 flat_scratch_lo, s8, s11
	s_addc_u32 flat_scratch_hi, s9, 0
	s_add_u32 s0, s0, s11
	v_and_b32_e32 v75, 0x3ff, v0
	s_addc_u32 s1, s1, 0
	v_cmp_gt_u32_e32 vcc, 11, v75
	s_and_saveexec_b64 s[8:9], vcc
	s_cbranch_execz .LBB74_58
; %bb.1:
	s_load_dword s20, s[6:7], 0x38
	s_load_dwordx2 s[8:9], s[6:7], 0x0
	s_load_dwordx4 s[12:15], s[6:7], 0x28
	s_waitcnt lgkmcnt(0)
	s_bitcmp1_b32 s20, 8
	s_cselect_b64 s[18:19], -1, 0
	s_ashr_i32 s11, s10, 31
	s_lshl_b64 s[16:17], s[10:11], 3
	s_add_u32 s8, s8, s16
	s_addc_u32 s9, s9, s17
	s_load_dwordx2 s[8:9], s[8:9], 0x0
	s_bfe_u32 s16, s20, 0x10008
	s_cmp_eq_u32 s16, 0
                                        ; implicit-def: $sgpr16_sgpr17
	s_cbranch_scc1 .LBB74_3
; %bb.2:
	s_load_dword s16, s[6:7], 0x20
	s_load_dwordx2 s[22:23], s[6:7], 0x18
	s_mul_i32 s13, s10, s13
	s_mul_hi_u32 s17, s10, s12
	s_add_i32 s13, s17, s13
	s_mul_i32 s21, s11, s12
	s_add_i32 s13, s13, s21
	s_mul_i32 s12, s10, s12
	s_waitcnt lgkmcnt(0)
	s_ashr_i32 s17, s16, 31
	s_lshl_b64 s[12:13], s[12:13], 2
	s_add_u32 s21, s22, s12
	s_addc_u32 s22, s23, s13
	s_lshl_b64 s[12:13], s[16:17], 2
	s_add_u32 s16, s21, s12
	s_addc_u32 s17, s22, s13
.LBB74_3:
	s_load_dwordx2 s[6:7], s[6:7], 0x8
	v_lshlrev_b32_e32 v12, 4, v75
	s_waitcnt lgkmcnt(0)
	s_ashr_i32 s13, s6, 31
	s_mov_b32 s12, s6
	s_lshl_b64 s[12:13], s[12:13], 4
	s_add_u32 s8, s8, s12
	s_addc_u32 s9, s9, s13
	v_mov_b32_e32 v1, s9
	v_add_co_u32_e32 v22, vcc, s8, v12
	s_ashr_i32 s13, s7, 31
	s_mov_b32 s12, s7
	s_add_i32 s6, s7, s7
	v_addc_co_u32_e32 v23, vcc, 0, v1, vcc
	s_lshl_b64 s[12:13], s[12:13], 4
	v_add_u32_e32 v6, s6, v75
	v_mov_b32_e32 v1, s13
	v_add_co_u32_e32 v24, vcc, s12, v22
	v_ashrrev_i32_e32 v7, 31, v6
	v_addc_co_u32_e32 v25, vcc, v23, v1, vcc
	v_add_u32_e32 v8, s7, v6
	v_lshlrev_b64 v[6:7], 4, v[6:7]
	v_mov_b32_e32 v1, s9
	v_ashrrev_i32_e32 v9, 31, v8
	v_add_co_u32_e32 v26, vcc, s8, v6
	v_add_u32_e32 v10, s7, v8
	v_addc_co_u32_e32 v27, vcc, v1, v7, vcc
	v_lshlrev_b64 v[18:19], 4, v[8:9]
	v_mov_b32_e32 v13, s9
	v_ashrrev_i32_e32 v11, 31, v10
	v_add_co_u32_e32 v28, vcc, s8, v18
	v_add_u32_e32 v20, s7, v10
	v_addc_co_u32_e32 v29, vcc, v13, v19, vcc
	;; [unrolled: 6-line block ×5, first 2 shown]
	v_lshlrev_b64 v[10:11], 4, v[36:37]
	v_mov_b32_e32 v39, s9
	v_ashrrev_i32_e32 v41, 31, v40
	v_add_co_u32_e32 v36, vcc, s8, v10
	v_addc_co_u32_e32 v37, vcc, v39, v11, vcc
	v_lshlrev_b64 v[10:11], 4, v[40:41]
	v_mov_b32_e32 v42, s9
	v_add_co_u32_e32 v38, vcc, s8, v10
	v_add_u32_e32 v10, s7, v40
	v_addc_co_u32_e32 v39, vcc, v42, v11, vcc
	v_ashrrev_i32_e32 v11, 31, v10
	v_lshlrev_b64 v[40:41], 4, v[10:11]
	v_add_u32_e32 v10, s7, v10
	v_add_co_u32_e32 v40, vcc, s8, v40
	v_ashrrev_i32_e32 v11, 31, v10
	v_addc_co_u32_e32 v41, vcc, v1, v41, vcc
	v_lshlrev_b64 v[10:11], 4, v[10:11]
	global_load_dwordx4 v[2:5], v12, s[8:9]
	global_load_dwordx4 v[6:9], v[24:25], off
	global_load_dwordx4 v[14:17], v[26:27], off
	v_add_co_u32_e32 v42, vcc, s8, v10
	v_addc_co_u32_e32 v43, vcc, v1, v11, vcc
	global_load_dwordx4 v[18:21], v[28:29], off
	global_load_dwordx4 v[44:47], v[30:31], off
	;; [unrolled: 1-line block ×8, first 2 shown]
	s_waitcnt vmcnt(10)
	buffer_store_dword v5, off, s[0:3], 0 offset:12
	buffer_store_dword v4, off, s[0:3], 0 offset:8
	;; [unrolled: 1-line block ×3, first 2 shown]
	buffer_store_dword v2, off, s[0:3], 0
	s_waitcnt vmcnt(13)
	buffer_store_dword v9, off, s[0:3], 0 offset:28
	buffer_store_dword v8, off, s[0:3], 0 offset:24
	buffer_store_dword v7, off, s[0:3], 0 offset:20
	buffer_store_dword v6, off, s[0:3], 0 offset:16
	s_waitcnt vmcnt(16)
	buffer_store_dword v17, off, s[0:3], 0 offset:44
	buffer_store_dword v16, off, s[0:3], 0 offset:40
	;; [unrolled: 1-line block ×4, first 2 shown]
	v_mov_b32_e32 v2, 0
	v_add_u32_e32 v72, 16, v2
	v_add_u32_e32 v74, 32, v2
	;; [unrolled: 1-line block ×10, first 2 shown]
	s_bitcmp0_b32 s20, 0
	s_mov_b64 s[8:9], -1
	s_waitcnt vmcnt(19)
	buffer_store_dword v21, off, s[0:3], 0 offset:60
	buffer_store_dword v20, off, s[0:3], 0 offset:56
	buffer_store_dword v19, off, s[0:3], 0 offset:52
	buffer_store_dword v18, off, s[0:3], 0 offset:48
	s_waitcnt vmcnt(22)
	buffer_store_dword v47, off, s[0:3], 0 offset:76
	buffer_store_dword v46, off, s[0:3], 0 offset:72
	buffer_store_dword v45, off, s[0:3], 0 offset:68
	buffer_store_dword v44, off, s[0:3], 0 offset:64
	s_waitcnt vmcnt(25)
	buffer_store_dword v51, off, s[0:3], 0 offset:92
	buffer_store_dword v50, off, s[0:3], 0 offset:88
	buffer_store_dword v49, off, s[0:3], 0 offset:84
	buffer_store_dword v48, off, s[0:3], 0 offset:80
	s_waitcnt vmcnt(28)
	buffer_store_dword v55, off, s[0:3], 0 offset:108
	buffer_store_dword v54, off, s[0:3], 0 offset:104
	buffer_store_dword v53, off, s[0:3], 0 offset:100
	buffer_store_dword v52, off, s[0:3], 0 offset:96
	s_waitcnt vmcnt(31)
	buffer_store_dword v59, off, s[0:3], 0 offset:124
	buffer_store_dword v58, off, s[0:3], 0 offset:120
	buffer_store_dword v57, off, s[0:3], 0 offset:116
	buffer_store_dword v56, off, s[0:3], 0 offset:112
	s_waitcnt vmcnt(34)
	buffer_store_dword v63, off, s[0:3], 0 offset:140
	buffer_store_dword v62, off, s[0:3], 0 offset:136
	buffer_store_dword v61, off, s[0:3], 0 offset:132
	buffer_store_dword v60, off, s[0:3], 0 offset:128
	s_waitcnt vmcnt(37)
	buffer_store_dword v76, off, s[0:3], 0 offset:144
	buffer_store_dword v77, off, s[0:3], 0 offset:148
	buffer_store_dword v78, off, s[0:3], 0 offset:152
	buffer_store_dword v79, off, s[0:3], 0 offset:156
	s_waitcnt vmcnt(40)
	buffer_store_dword v80, off, s[0:3], 0 offset:160
	buffer_store_dword v81, off, s[0:3], 0 offset:164
	buffer_store_dword v82, off, s[0:3], 0 offset:168
	buffer_store_dword v83, off, s[0:3], 0 offset:172
	s_cbranch_scc1 .LBB74_56
; %bb.4:
	v_cmp_eq_u32_e64 s[6:7], 0, v75
	s_and_saveexec_b64 s[8:9], s[6:7]
	s_cbranch_execz .LBB74_6
; %bb.5:
	v_mov_b32_e32 v2, 0
	ds_write_b32 v2, v2 offset:352
.LBB74_6:
	s_or_b64 exec, exec, s[8:9]
	v_mov_b32_e32 v2, 0
	v_lshl_add_u32 v13, v75, 4, v2
	s_waitcnt lgkmcnt(0)
	; wave barrier
	s_waitcnt lgkmcnt(0)
	buffer_load_dword v2, v13, s[0:3], 0 offen
	buffer_load_dword v3, v13, s[0:3], 0 offen offset:4
	buffer_load_dword v4, v13, s[0:3], 0 offen offset:8
	;; [unrolled: 1-line block ×3, first 2 shown]
	s_waitcnt vmcnt(2)
	v_cmp_eq_f64_e32 vcc, 0, v[2:3]
	s_waitcnt vmcnt(0)
	v_cmp_eq_f64_e64 s[8:9], 0, v[4:5]
	s_and_b64 s[8:9], vcc, s[8:9]
	s_and_saveexec_b64 s[12:13], s[8:9]
	s_cbranch_execz .LBB74_10
; %bb.7:
	v_mov_b32_e32 v2, 0
	ds_read_b32 v4, v2 offset:352
	v_add_u32_e32 v3, 1, v75
	s_waitcnt lgkmcnt(0)
	v_readfirstlane_b32 s8, v4
	s_cmp_eq_u32 s8, 0
	s_cselect_b64 s[20:21], -1, 0
	v_cmp_gt_i32_e32 vcc, s8, v3
	s_or_b64 s[20:21], s[20:21], vcc
	s_and_b64 exec, exec, s[20:21]
	s_cbranch_execz .LBB74_10
; %bb.8:
	s_mov_b64 s[20:21], 0
	v_mov_b32_e32 v4, s8
.LBB74_9:                               ; =>This Inner Loop Header: Depth=1
	ds_cmpst_rtn_b32 v4, v2, v4, v3 offset:352
	s_waitcnt lgkmcnt(0)
	v_cmp_ne_u32_e32 vcc, 0, v4
	v_cmp_le_i32_e64 s[8:9], v4, v3
	s_and_b64 s[8:9], vcc, s[8:9]
	s_and_b64 s[8:9], exec, s[8:9]
	s_or_b64 s[20:21], s[8:9], s[20:21]
	s_andn2_b64 exec, exec, s[20:21]
	s_cbranch_execnz .LBB74_9
.LBB74_10:
	s_or_b64 exec, exec, s[12:13]
	v_mov_b32_e32 v3, 0
	s_waitcnt lgkmcnt(0)
	; wave barrier
	ds_read_b32 v2, v3 offset:352
	s_and_saveexec_b64 s[8:9], s[6:7]
	s_cbranch_execz .LBB74_12
; %bb.11:
	s_lshl_b64 s[12:13], s[10:11], 2
	s_add_u32 s12, s14, s12
	s_addc_u32 s13, s15, s13
	s_waitcnt lgkmcnt(0)
	global_store_dword v3, v2, s[12:13]
.LBB74_12:
	s_or_b64 exec, exec, s[8:9]
	s_waitcnt lgkmcnt(0)
	v_cmp_ne_u32_e32 vcc, 0, v2
	s_mov_b64 s[8:9], 0
	s_cbranch_vccnz .LBB74_56
; %bb.13:
	buffer_load_dword v7, v13, s[0:3], 0 offen offset:4
	buffer_load_dword v6, v13, s[0:3], 0 offen
	buffer_load_dword v9, v13, s[0:3], 0 offen offset:12
	buffer_load_dword v8, v13, s[0:3], 0 offen offset:8
                                        ; implicit-def: $vgpr10_vgpr11
	s_waitcnt vmcnt(3)
	v_xor_b32_e32 v3, 0x80000000, v7
	s_waitcnt vmcnt(2)
	v_cmp_gt_f64_e32 vcc, 0, v[6:7]
	s_waitcnt vmcnt(1)
	v_xor_b32_e32 v4, 0x80000000, v9
	v_cndmask_b32_e32 v3, v7, v3, vcc
	s_waitcnt vmcnt(0)
	v_cmp_gt_f64_e32 vcc, 0, v[8:9]
	v_mov_b32_e32 v2, v6
	v_cndmask_b32_e32 v5, v9, v4, vcc
	v_mov_b32_e32 v4, v8
	v_cmp_ngt_f64_e32 vcc, v[2:3], v[4:5]
                                        ; implicit-def: $vgpr4_vgpr5
	s_and_saveexec_b64 s[8:9], vcc
	s_xor_b64 s[8:9], exec, s[8:9]
	s_cbranch_execz .LBB74_15
; %bb.14:
	v_div_scale_f64 v[2:3], s[12:13], v[8:9], v[8:9], v[6:7]
	v_rcp_f64_e32 v[4:5], v[2:3]
	v_div_scale_f64 v[10:11], vcc, v[6:7], v[8:9], v[6:7]
	v_fma_f64 v[14:15], -v[2:3], v[4:5], 1.0
	v_fmac_f64_e32 v[4:5], v[4:5], v[14:15]
	v_fma_f64 v[14:15], -v[2:3], v[4:5], 1.0
	v_fmac_f64_e32 v[4:5], v[4:5], v[14:15]
	v_mul_f64 v[14:15], v[10:11], v[4:5]
	v_fma_f64 v[2:3], -v[2:3], v[14:15], v[10:11]
	v_div_fmas_f64 v[2:3], v[2:3], v[4:5], v[14:15]
	v_div_fixup_f64 v[2:3], v[2:3], v[8:9], v[6:7]
	v_fmac_f64_e32 v[8:9], v[6:7], v[2:3]
	v_div_scale_f64 v[4:5], s[12:13], v[8:9], v[8:9], 1.0
	v_rcp_f64_e32 v[6:7], v[4:5]
	v_fma_f64 v[10:11], -v[4:5], v[6:7], 1.0
	v_fmac_f64_e32 v[6:7], v[6:7], v[10:11]
	v_fma_f64 v[10:11], -v[4:5], v[6:7], 1.0
	v_fmac_f64_e32 v[6:7], v[6:7], v[10:11]
	v_div_scale_f64 v[10:11], vcc, 1.0, v[8:9], 1.0
	v_mul_f64 v[14:15], v[10:11], v[6:7]
	v_fma_f64 v[4:5], -v[4:5], v[14:15], v[10:11]
	s_nop 1
	v_div_fmas_f64 v[4:5], v[4:5], v[6:7], v[14:15]
	v_div_fixup_f64 v[4:5], v[4:5], v[8:9], 1.0
	v_mul_f64 v[10:11], v[2:3], v[4:5]
	v_xor_b32_e32 v5, 0x80000000, v5
	v_xor_b32_e32 v3, 0x80000000, v11
	v_mov_b32_e32 v2, v10
                                        ; implicit-def: $vgpr6_vgpr7
                                        ; implicit-def: $vgpr8_vgpr9
.LBB74_15:
	s_andn2_saveexec_b64 s[8:9], s[8:9]
	s_cbranch_execz .LBB74_17
; %bb.16:
	v_div_scale_f64 v[2:3], s[12:13], v[6:7], v[6:7], v[8:9]
	v_rcp_f64_e32 v[4:5], v[2:3]
	v_div_scale_f64 v[10:11], vcc, v[8:9], v[6:7], v[8:9]
	v_fma_f64 v[14:15], -v[2:3], v[4:5], 1.0
	v_fmac_f64_e32 v[4:5], v[4:5], v[14:15]
	v_fma_f64 v[14:15], -v[2:3], v[4:5], 1.0
	v_fmac_f64_e32 v[4:5], v[4:5], v[14:15]
	v_mul_f64 v[14:15], v[10:11], v[4:5]
	v_fma_f64 v[2:3], -v[2:3], v[14:15], v[10:11]
	v_div_fmas_f64 v[2:3], v[2:3], v[4:5], v[14:15]
	v_div_fixup_f64 v[4:5], v[2:3], v[6:7], v[8:9]
	v_fmac_f64_e32 v[6:7], v[8:9], v[4:5]
	v_div_scale_f64 v[2:3], s[12:13], v[6:7], v[6:7], 1.0
	v_rcp_f64_e32 v[8:9], v[2:3]
	v_fma_f64 v[10:11], -v[2:3], v[8:9], 1.0
	v_fmac_f64_e32 v[8:9], v[8:9], v[10:11]
	v_fma_f64 v[10:11], -v[2:3], v[8:9], 1.0
	v_fmac_f64_e32 v[8:9], v[8:9], v[10:11]
	v_div_scale_f64 v[10:11], vcc, 1.0, v[6:7], 1.0
	v_mul_f64 v[14:15], v[10:11], v[8:9]
	v_fma_f64 v[2:3], -v[2:3], v[14:15], v[10:11]
	s_nop 1
	v_div_fmas_f64 v[2:3], v[2:3], v[8:9], v[14:15]
	v_div_fixup_f64 v[10:11], v[2:3], v[6:7], 1.0
	v_xor_b32_e32 v3, 0x80000000, v11
	v_mov_b32_e32 v2, v10
	v_mul_f64 v[4:5], v[4:5], -v[10:11]
.LBB74_17:
	s_or_b64 exec, exec, s[8:9]
	buffer_store_dword v11, v13, s[0:3], 0 offen offset:4
	buffer_store_dword v10, v13, s[0:3], 0 offen
	buffer_store_dword v5, v13, s[0:3], 0 offen offset:12
	buffer_store_dword v4, v13, s[0:3], 0 offen offset:8
	buffer_load_dword v11, v72, s[0:3], 0 offen offset:12
	s_nop 0
	buffer_load_dword v10, v72, s[0:3], 0 offen offset:8
	buffer_load_dword v9, v72, s[0:3], 0 offen offset:4
	buffer_load_dword v8, v72, s[0:3], 0 offen
	v_xor_b32_e32 v5, 0x80000000, v5
	v_add_u32_e32 v6, 0xb0, v12
	ds_write_b128 v12, v[2:5]
	s_waitcnt vmcnt(0)
	ds_write_b128 v12, v[8:11] offset:176
	s_waitcnt lgkmcnt(0)
	; wave barrier
	s_waitcnt lgkmcnt(0)
	s_and_saveexec_b64 s[8:9], s[6:7]
	s_cbranch_execz .LBB74_19
; %bb.18:
	buffer_load_dword v14, v13, s[0:3], 0 offen offset:8
	buffer_load_dword v15, v13, s[0:3], 0 offen offset:12
	buffer_load_dword v16, v13, s[0:3], 0 offen
	buffer_load_dword v17, v13, s[0:3], 0 offen offset:4
	ds_read_b128 v[2:5], v6
	v_mov_b32_e32 v7, 0
	ds_read_b128 v[8:11], v7 offset:16
	s_waitcnt vmcnt(2) lgkmcnt(1)
	v_mul_f64 v[18:19], v[4:5], v[14:15]
	v_mul_f64 v[14:15], v[2:3], v[14:15]
	s_waitcnt vmcnt(0)
	v_fmac_f64_e32 v[14:15], v[4:5], v[16:17]
	v_fma_f64 v[2:3], v[2:3], v[16:17], -v[18:19]
	v_add_f64 v[4:5], v[14:15], 0
	v_add_f64 v[2:3], v[2:3], 0
	s_waitcnt lgkmcnt(0)
	v_mul_f64 v[14:15], v[4:5], v[10:11]
	v_mul_f64 v[10:11], v[2:3], v[10:11]
	v_fma_f64 v[2:3], v[2:3], v[8:9], -v[14:15]
	v_fmac_f64_e32 v[10:11], v[4:5], v[8:9]
	buffer_store_dword v2, off, s[0:3], 0 offset:16
	buffer_store_dword v3, off, s[0:3], 0 offset:20
	;; [unrolled: 1-line block ×4, first 2 shown]
.LBB74_19:
	s_or_b64 exec, exec, s[8:9]
	s_waitcnt lgkmcnt(0)
	; wave barrier
	buffer_load_dword v2, v74, s[0:3], 0 offen
	buffer_load_dword v3, v74, s[0:3], 0 offen offset:4
	buffer_load_dword v4, v74, s[0:3], 0 offen offset:8
	;; [unrolled: 1-line block ×3, first 2 shown]
	v_cmp_gt_u32_e32 vcc, 2, v75
	s_waitcnt vmcnt(0)
	ds_write_b128 v6, v[2:5]
	s_waitcnt lgkmcnt(0)
	; wave barrier
	s_waitcnt lgkmcnt(0)
	s_and_saveexec_b64 s[8:9], vcc
	s_cbranch_execz .LBB74_23
; %bb.20:
	buffer_load_dword v8, v13, s[0:3], 0 offen offset:8
	buffer_load_dword v9, v13, s[0:3], 0 offen offset:12
	buffer_load_dword v10, v13, s[0:3], 0 offen
	buffer_load_dword v11, v13, s[0:3], 0 offen offset:4
	ds_read_b128 v[2:5], v6
	s_waitcnt vmcnt(2) lgkmcnt(0)
	v_mul_f64 v[14:15], v[4:5], v[8:9]
	v_mul_f64 v[8:9], v[2:3], v[8:9]
	s_waitcnt vmcnt(0)
	v_fma_f64 v[2:3], v[2:3], v[10:11], -v[14:15]
	v_fmac_f64_e32 v[8:9], v[4:5], v[10:11]
	v_add_f64 v[4:5], v[2:3], 0
	v_add_f64 v[2:3], v[8:9], 0
	s_and_saveexec_b64 s[12:13], s[6:7]
	s_cbranch_execz .LBB74_22
; %bb.21:
	buffer_load_dword v14, off, s[0:3], 0 offset:24
	buffer_load_dword v15, off, s[0:3], 0 offset:28
	;; [unrolled: 1-line block ×4, first 2 shown]
	v_mov_b32_e32 v7, 0
	ds_read_b128 v[8:11], v7 offset:192
	s_waitcnt vmcnt(2) lgkmcnt(0)
	v_mul_f64 v[18:19], v[8:9], v[14:15]
	v_mul_f64 v[14:15], v[10:11], v[14:15]
	s_waitcnt vmcnt(0)
	v_fmac_f64_e32 v[18:19], v[10:11], v[16:17]
	v_fma_f64 v[8:9], v[8:9], v[16:17], -v[14:15]
	v_add_f64 v[2:3], v[2:3], v[18:19]
	v_add_f64 v[4:5], v[4:5], v[8:9]
.LBB74_22:
	s_or_b64 exec, exec, s[12:13]
	v_mov_b32_e32 v7, 0
	ds_read_b128 v[8:11], v7 offset:32
	s_waitcnt lgkmcnt(0)
	v_mul_f64 v[14:15], v[2:3], v[10:11]
	v_mul_f64 v[10:11], v[4:5], v[10:11]
	v_fma_f64 v[4:5], v[4:5], v[8:9], -v[14:15]
	v_fmac_f64_e32 v[10:11], v[2:3], v[8:9]
	buffer_store_dword v5, off, s[0:3], 0 offset:36
	buffer_store_dword v4, off, s[0:3], 0 offset:32
	;; [unrolled: 1-line block ×4, first 2 shown]
.LBB74_23:
	s_or_b64 exec, exec, s[8:9]
	s_waitcnt lgkmcnt(0)
	; wave barrier
	buffer_load_dword v2, v73, s[0:3], 0 offen
	buffer_load_dword v3, v73, s[0:3], 0 offen offset:4
	buffer_load_dword v4, v73, s[0:3], 0 offen offset:8
	;; [unrolled: 1-line block ×3, first 2 shown]
	v_cmp_gt_u32_e32 vcc, 3, v75
	v_add_u32_e32 v7, -1, v75
	s_waitcnt vmcnt(0)
	ds_write_b128 v6, v[2:5]
	s_waitcnt lgkmcnt(0)
	; wave barrier
	s_waitcnt lgkmcnt(0)
	s_and_saveexec_b64 s[6:7], vcc
	s_cbranch_execz .LBB74_27
; %bb.24:
	v_pk_mov_b32 v[2:3], 0, 0
	v_add_u32_e32 v8, -1, v75
	v_add_u32_e32 v9, 0xb0, v12
	v_add_u32_e32 v10, 0, v12
	s_mov_b64 s[8:9], 0
	v_pk_mov_b32 v[4:5], v[2:3], v[2:3] op_sel:[0,1]
.LBB74_25:                              ; =>This Inner Loop Header: Depth=1
	buffer_load_dword v18, v10, s[0:3], 0 offen offset:8
	buffer_load_dword v19, v10, s[0:3], 0 offen offset:12
	buffer_load_dword v20, v10, s[0:3], 0 offen
	buffer_load_dword v21, v10, s[0:3], 0 offen offset:4
	ds_read_b128 v[14:17], v9
	v_add_u32_e32 v8, 1, v8
	v_cmp_lt_u32_e32 vcc, 1, v8
	v_add_u32_e32 v9, 16, v9
	v_add_u32_e32 v10, 16, v10
	s_or_b64 s[8:9], vcc, s[8:9]
	s_waitcnt vmcnt(2) lgkmcnt(0)
	v_mul_f64 v[44:45], v[16:17], v[18:19]
	v_mul_f64 v[18:19], v[14:15], v[18:19]
	s_waitcnt vmcnt(0)
	v_fma_f64 v[14:15], v[14:15], v[20:21], -v[44:45]
	v_fmac_f64_e32 v[18:19], v[16:17], v[20:21]
	v_add_f64 v[4:5], v[4:5], v[14:15]
	v_add_f64 v[2:3], v[2:3], v[18:19]
	s_andn2_b64 exec, exec, s[8:9]
	s_cbranch_execnz .LBB74_25
; %bb.26:
	s_or_b64 exec, exec, s[8:9]
	v_mov_b32_e32 v8, 0
	ds_read_b128 v[8:11], v8 offset:48
	s_waitcnt lgkmcnt(0)
	v_mul_f64 v[14:15], v[2:3], v[10:11]
	v_mul_f64 v[10:11], v[4:5], v[10:11]
	v_fma_f64 v[4:5], v[4:5], v[8:9], -v[14:15]
	v_fmac_f64_e32 v[10:11], v[2:3], v[8:9]
	buffer_store_dword v5, off, s[0:3], 0 offset:52
	buffer_store_dword v4, off, s[0:3], 0 offset:48
	buffer_store_dword v11, off, s[0:3], 0 offset:60
	buffer_store_dword v10, off, s[0:3], 0 offset:56
.LBB74_27:
	s_or_b64 exec, exec, s[6:7]
	s_waitcnt lgkmcnt(0)
	; wave barrier
	buffer_load_dword v2, v66, s[0:3], 0 offen
	buffer_load_dword v3, v66, s[0:3], 0 offen offset:4
	buffer_load_dword v4, v66, s[0:3], 0 offen offset:8
	buffer_load_dword v5, v66, s[0:3], 0 offen offset:12
	v_cmp_gt_u32_e32 vcc, 4, v75
	s_waitcnt vmcnt(0)
	ds_write_b128 v6, v[2:5]
	s_waitcnt lgkmcnt(0)
	; wave barrier
	s_waitcnt lgkmcnt(0)
	s_and_saveexec_b64 s[6:7], vcc
	s_cbranch_execz .LBB74_31
; %bb.28:
	v_pk_mov_b32 v[2:3], 0, 0
	v_add_u32_e32 v8, -1, v75
	v_add_u32_e32 v9, 0xb0, v12
	v_add_u32_e32 v10, 0, v12
	s_mov_b64 s[8:9], 0
	v_pk_mov_b32 v[4:5], v[2:3], v[2:3] op_sel:[0,1]
.LBB74_29:                              ; =>This Inner Loop Header: Depth=1
	buffer_load_dword v18, v10, s[0:3], 0 offen offset:8
	buffer_load_dword v19, v10, s[0:3], 0 offen offset:12
	buffer_load_dword v20, v10, s[0:3], 0 offen
	buffer_load_dword v21, v10, s[0:3], 0 offen offset:4
	ds_read_b128 v[14:17], v9
	v_add_u32_e32 v8, 1, v8
	v_cmp_lt_u32_e32 vcc, 2, v8
	v_add_u32_e32 v9, 16, v9
	v_add_u32_e32 v10, 16, v10
	s_or_b64 s[8:9], vcc, s[8:9]
	s_waitcnt vmcnt(2) lgkmcnt(0)
	v_mul_f64 v[44:45], v[16:17], v[18:19]
	v_mul_f64 v[18:19], v[14:15], v[18:19]
	s_waitcnt vmcnt(0)
	v_fma_f64 v[14:15], v[14:15], v[20:21], -v[44:45]
	v_fmac_f64_e32 v[18:19], v[16:17], v[20:21]
	v_add_f64 v[4:5], v[4:5], v[14:15]
	v_add_f64 v[2:3], v[2:3], v[18:19]
	s_andn2_b64 exec, exec, s[8:9]
	s_cbranch_execnz .LBB74_29
; %bb.30:
	s_or_b64 exec, exec, s[8:9]
	v_mov_b32_e32 v8, 0
	ds_read_b128 v[8:11], v8 offset:64
	s_waitcnt lgkmcnt(0)
	v_mul_f64 v[14:15], v[2:3], v[10:11]
	v_mul_f64 v[10:11], v[4:5], v[10:11]
	v_fma_f64 v[4:5], v[4:5], v[8:9], -v[14:15]
	v_fmac_f64_e32 v[10:11], v[2:3], v[8:9]
	buffer_store_dword v5, off, s[0:3], 0 offset:68
	buffer_store_dword v4, off, s[0:3], 0 offset:64
	buffer_store_dword v11, off, s[0:3], 0 offset:76
	buffer_store_dword v10, off, s[0:3], 0 offset:72
.LBB74_31:
	s_or_b64 exec, exec, s[6:7]
	s_waitcnt lgkmcnt(0)
	; wave barrier
	buffer_load_dword v2, v68, s[0:3], 0 offen
	buffer_load_dword v3, v68, s[0:3], 0 offen offset:4
	buffer_load_dword v4, v68, s[0:3], 0 offen offset:8
	buffer_load_dword v5, v68, s[0:3], 0 offen offset:12
	v_cmp_gt_u32_e32 vcc, 5, v75
	;; [unrolled: 57-line block ×6, first 2 shown]
	s_waitcnt vmcnt(0)
	ds_write_b128 v6, v[2:5]
	s_waitcnt lgkmcnt(0)
	; wave barrier
	s_waitcnt lgkmcnt(0)
	s_and_saveexec_b64 s[6:7], vcc
	s_cbranch_execz .LBB74_51
; %bb.48:
	v_pk_mov_b32 v[2:3], 0, 0
	v_add_u32_e32 v8, -1, v75
	v_add_u32_e32 v9, 0xb0, v12
	v_add_u32_e32 v10, 0, v12
	s_mov_b64 s[8:9], 0
	v_pk_mov_b32 v[4:5], v[2:3], v[2:3] op_sel:[0,1]
.LBB74_49:                              ; =>This Inner Loop Header: Depth=1
	buffer_load_dword v18, v10, s[0:3], 0 offen offset:8
	buffer_load_dword v19, v10, s[0:3], 0 offen offset:12
	buffer_load_dword v20, v10, s[0:3], 0 offen
	buffer_load_dword v21, v10, s[0:3], 0 offen offset:4
	ds_read_b128 v[14:17], v9
	v_add_u32_e32 v8, 1, v8
	v_cmp_lt_u32_e32 vcc, 7, v8
	v_add_u32_e32 v9, 16, v9
	v_add_u32_e32 v10, 16, v10
	s_or_b64 s[8:9], vcc, s[8:9]
	s_waitcnt vmcnt(2) lgkmcnt(0)
	v_mul_f64 v[44:45], v[16:17], v[18:19]
	v_mul_f64 v[18:19], v[14:15], v[18:19]
	s_waitcnt vmcnt(0)
	v_fma_f64 v[14:15], v[14:15], v[20:21], -v[44:45]
	v_fmac_f64_e32 v[18:19], v[16:17], v[20:21]
	v_add_f64 v[4:5], v[4:5], v[14:15]
	v_add_f64 v[2:3], v[2:3], v[18:19]
	s_andn2_b64 exec, exec, s[8:9]
	s_cbranch_execnz .LBB74_49
; %bb.50:
	s_or_b64 exec, exec, s[8:9]
	v_mov_b32_e32 v8, 0
	ds_read_b128 v[8:11], v8 offset:144
	s_waitcnt lgkmcnt(0)
	v_mul_f64 v[14:15], v[2:3], v[10:11]
	v_mul_f64 v[10:11], v[4:5], v[10:11]
	v_fma_f64 v[4:5], v[4:5], v[8:9], -v[14:15]
	v_fmac_f64_e32 v[10:11], v[2:3], v[8:9]
	buffer_store_dword v5, off, s[0:3], 0 offset:148
	buffer_store_dword v4, off, s[0:3], 0 offset:144
	;; [unrolled: 1-line block ×4, first 2 shown]
.LBB74_51:
	s_or_b64 exec, exec, s[6:7]
	s_waitcnt lgkmcnt(0)
	; wave barrier
	buffer_load_dword v2, v69, s[0:3], 0 offen
	buffer_load_dword v3, v69, s[0:3], 0 offen offset:4
	buffer_load_dword v4, v69, s[0:3], 0 offen offset:8
	;; [unrolled: 1-line block ×3, first 2 shown]
	v_cmp_ne_u32_e32 vcc, 10, v75
	s_waitcnt vmcnt(0)
	ds_write_b128 v6, v[2:5]
	s_waitcnt lgkmcnt(0)
	; wave barrier
	s_waitcnt lgkmcnt(0)
	s_and_saveexec_b64 s[6:7], vcc
	s_cbranch_execz .LBB74_55
; %bb.52:
	v_pk_mov_b32 v[2:3], 0, 0
	v_add_u32_e32 v6, 0xb0, v12
	v_add_u32_e32 v8, 0, v12
	s_mov_b64 s[8:9], 0
	v_pk_mov_b32 v[4:5], v[2:3], v[2:3] op_sel:[0,1]
.LBB74_53:                              ; =>This Inner Loop Header: Depth=1
	buffer_load_dword v14, v8, s[0:3], 0 offen offset:8
	buffer_load_dword v15, v8, s[0:3], 0 offen offset:12
	buffer_load_dword v16, v8, s[0:3], 0 offen
	buffer_load_dword v17, v8, s[0:3], 0 offen offset:4
	ds_read_b128 v[10:13], v6
	v_add_u32_e32 v7, 1, v7
	v_cmp_lt_u32_e32 vcc, 8, v7
	v_add_u32_e32 v6, 16, v6
	v_add_u32_e32 v8, 16, v8
	s_or_b64 s[8:9], vcc, s[8:9]
	s_waitcnt vmcnt(2) lgkmcnt(0)
	v_mul_f64 v[18:19], v[12:13], v[14:15]
	v_mul_f64 v[14:15], v[10:11], v[14:15]
	s_waitcnt vmcnt(0)
	v_fma_f64 v[10:11], v[10:11], v[16:17], -v[18:19]
	v_fmac_f64_e32 v[14:15], v[12:13], v[16:17]
	v_add_f64 v[4:5], v[4:5], v[10:11]
	v_add_f64 v[2:3], v[2:3], v[14:15]
	s_andn2_b64 exec, exec, s[8:9]
	s_cbranch_execnz .LBB74_53
; %bb.54:
	s_or_b64 exec, exec, s[8:9]
	v_mov_b32_e32 v6, 0
	ds_read_b128 v[6:9], v6 offset:160
	s_waitcnt lgkmcnt(0)
	v_mul_f64 v[10:11], v[2:3], v[8:9]
	v_mul_f64 v[8:9], v[4:5], v[8:9]
	v_fma_f64 v[4:5], v[4:5], v[6:7], -v[10:11]
	v_fmac_f64_e32 v[8:9], v[2:3], v[6:7]
	buffer_store_dword v5, off, s[0:3], 0 offset:164
	buffer_store_dword v4, off, s[0:3], 0 offset:160
	;; [unrolled: 1-line block ×4, first 2 shown]
.LBB74_55:
	s_or_b64 exec, exec, s[6:7]
	s_mov_b64 s[8:9], -1
	s_waitcnt lgkmcnt(0)
	; wave barrier
.LBB74_56:
	s_and_b64 vcc, exec, s[8:9]
	s_cbranch_vccz .LBB74_58
; %bb.57:
	s_lshl_b64 s[6:7], s[10:11], 2
	s_add_u32 s6, s14, s6
	s_addc_u32 s7, s15, s7
	v_mov_b32_e32 v2, 0
	global_load_dword v2, v2, s[6:7]
	s_waitcnt vmcnt(0)
	v_cmp_ne_u32_e32 vcc, 0, v2
	s_cbranch_vccz .LBB74_59
.LBB74_58:
	s_endpgm
.LBB74_59:
	v_mov_b32_e32 v2, 0xb0
	v_lshl_add_u32 v76, v75, 4, v2
	v_cmp_eq_u32_e32 vcc, 10, v75
	s_and_saveexec_b64 s[6:7], vcc
	s_cbranch_execz .LBB74_61
; %bb.60:
	buffer_load_dword v2, v67, s[0:3], 0 offen
	buffer_load_dword v3, v67, s[0:3], 0 offen offset:4
	buffer_load_dword v4, v67, s[0:3], 0 offen offset:8
	;; [unrolled: 1-line block ×3, first 2 shown]
	v_mov_b32_e32 v6, 0
	buffer_store_dword v6, off, s[0:3], 0 offset:144
	buffer_store_dword v6, off, s[0:3], 0 offset:148
	;; [unrolled: 1-line block ×4, first 2 shown]
	s_waitcnt vmcnt(4)
	ds_write_b128 v76, v[2:5]
.LBB74_61:
	s_or_b64 exec, exec, s[6:7]
	s_waitcnt lgkmcnt(0)
	; wave barrier
	s_waitcnt lgkmcnt(0)
	buffer_load_dword v8, off, s[0:3], 0 offset:168
	buffer_load_dword v9, off, s[0:3], 0 offset:172
	;; [unrolled: 1-line block ×8, first 2 shown]
	v_mov_b32_e32 v2, 0
	ds_read_b128 v[4:7], v2 offset:336
	v_cmp_lt_u32_e32 vcc, 8, v75
	s_waitcnt vmcnt(6) lgkmcnt(0)
	v_mul_f64 v[16:17], v[4:5], v[8:9]
	v_mul_f64 v[8:9], v[6:7], v[8:9]
	s_waitcnt vmcnt(4)
	v_fma_f64 v[4:5], v[4:5], v[10:11], -v[8:9]
	v_fmac_f64_e32 v[16:17], v[6:7], v[10:11]
	v_add_f64 v[4:5], v[4:5], 0
	v_add_f64 v[6:7], v[16:17], 0
	s_waitcnt vmcnt(2)
	v_add_f64 v[4:5], v[12:13], -v[4:5]
	s_waitcnt vmcnt(0)
	v_add_f64 v[6:7], v[14:15], -v[6:7]
	buffer_store_dword v4, off, s[0:3], 0 offset:144
	buffer_store_dword v5, off, s[0:3], 0 offset:148
	;; [unrolled: 1-line block ×4, first 2 shown]
	s_and_saveexec_b64 s[6:7], vcc
	s_cbranch_execz .LBB74_63
; %bb.62:
	buffer_load_dword v4, v1, s[0:3], 0 offen
	buffer_load_dword v5, v1, s[0:3], 0 offen offset:4
	buffer_load_dword v6, v1, s[0:3], 0 offen offset:8
	;; [unrolled: 1-line block ×3, first 2 shown]
	s_nop 0
	buffer_store_dword v2, off, s[0:3], 0 offset:128
	buffer_store_dword v2, off, s[0:3], 0 offset:132
	;; [unrolled: 1-line block ×4, first 2 shown]
	s_waitcnt vmcnt(4)
	ds_write_b128 v76, v[4:7]
.LBB74_63:
	s_or_b64 exec, exec, s[6:7]
	s_waitcnt lgkmcnt(0)
	; wave barrier
	s_waitcnt lgkmcnt(0)
	buffer_load_dword v12, off, s[0:3], 0 offset:152
	buffer_load_dword v13, off, s[0:3], 0 offset:156
	;; [unrolled: 1-line block ×12, first 2 shown]
	ds_read_b128 v[4:7], v2 offset:320
	ds_read_b128 v[8:11], v2 offset:336
	v_cmp_lt_u32_e32 vcc, 7, v75
	s_waitcnt vmcnt(10) lgkmcnt(1)
	v_mul_f64 v[2:3], v[4:5], v[12:13]
	v_mul_f64 v[12:13], v[6:7], v[12:13]
	s_waitcnt vmcnt(8) lgkmcnt(0)
	v_mul_f64 v[46:47], v[8:9], v[14:15]
	v_mul_f64 v[14:15], v[10:11], v[14:15]
	s_waitcnt vmcnt(6)
	v_fma_f64 v[4:5], v[4:5], v[16:17], -v[12:13]
	v_fmac_f64_e32 v[2:3], v[6:7], v[16:17]
	s_waitcnt vmcnt(4)
	v_fma_f64 v[6:7], v[8:9], v[18:19], -v[14:15]
	v_add_f64 v[4:5], v[4:5], 0
	v_fmac_f64_e32 v[46:47], v[10:11], v[18:19]
	v_add_f64 v[2:3], v[2:3], 0
	v_add_f64 v[4:5], v[4:5], v[6:7]
	;; [unrolled: 1-line block ×3, first 2 shown]
	s_waitcnt vmcnt(2)
	v_add_f64 v[4:5], v[20:21], -v[4:5]
	s_waitcnt vmcnt(0)
	v_add_f64 v[2:3], v[44:45], -v[2:3]
	buffer_store_dword v4, off, s[0:3], 0 offset:128
	buffer_store_dword v5, off, s[0:3], 0 offset:132
	;; [unrolled: 1-line block ×4, first 2 shown]
	s_and_saveexec_b64 s[6:7], vcc
	s_cbranch_execz .LBB74_65
; %bb.64:
	buffer_load_dword v2, v71, s[0:3], 0 offen
	buffer_load_dword v3, v71, s[0:3], 0 offen offset:4
	buffer_load_dword v4, v71, s[0:3], 0 offen offset:8
	;; [unrolled: 1-line block ×3, first 2 shown]
	v_mov_b32_e32 v6, 0
	buffer_store_dword v6, off, s[0:3], 0 offset:112
	buffer_store_dword v6, off, s[0:3], 0 offset:116
	;; [unrolled: 1-line block ×4, first 2 shown]
	s_waitcnt vmcnt(4)
	ds_write_b128 v76, v[2:5]
.LBB74_65:
	s_or_b64 exec, exec, s[6:7]
	s_waitcnt lgkmcnt(0)
	; wave barrier
	s_waitcnt lgkmcnt(0)
	buffer_load_dword v16, off, s[0:3], 0 offset:136
	buffer_load_dword v17, off, s[0:3], 0 offset:140
	;; [unrolled: 1-line block ×16, first 2 shown]
	v_mov_b32_e32 v2, 0
	ds_read_b128 v[4:7], v2 offset:304
	ds_read_b128 v[8:11], v2 offset:320
	;; [unrolled: 1-line block ×3, first 2 shown]
	v_cmp_lt_u32_e32 vcc, 6, v75
	s_waitcnt vmcnt(14) lgkmcnt(2)
	v_mul_f64 v[54:55], v[4:5], v[16:17]
	v_mul_f64 v[16:17], v[6:7], v[16:17]
	s_waitcnt vmcnt(12) lgkmcnt(1)
	v_mul_f64 v[56:57], v[8:9], v[18:19]
	v_mul_f64 v[18:19], v[10:11], v[18:19]
	;; [unrolled: 3-line block ×3, first 2 shown]
	s_waitcnt vmcnt(8)
	v_fma_f64 v[4:5], v[4:5], v[44:45], -v[16:17]
	v_fmac_f64_e32 v[54:55], v[6:7], v[44:45]
	s_waitcnt vmcnt(6)
	v_fma_f64 v[6:7], v[8:9], v[46:47], -v[18:19]
	v_add_f64 v[4:5], v[4:5], 0
	v_fmac_f64_e32 v[56:57], v[10:11], v[46:47]
	s_waitcnt vmcnt(4)
	v_fma_f64 v[8:9], v[12:13], v[48:49], -v[20:21]
	v_add_f64 v[10:11], v[54:55], 0
	v_add_f64 v[4:5], v[4:5], v[6:7]
	v_fmac_f64_e32 v[58:59], v[14:15], v[48:49]
	v_add_f64 v[10:11], v[10:11], v[56:57]
	v_add_f64 v[4:5], v[4:5], v[8:9]
	;; [unrolled: 1-line block ×3, first 2 shown]
	s_waitcnt vmcnt(2)
	v_add_f64 v[4:5], v[50:51], -v[4:5]
	s_waitcnt vmcnt(0)
	v_add_f64 v[6:7], v[52:53], -v[6:7]
	buffer_store_dword v4, off, s[0:3], 0 offset:112
	buffer_store_dword v5, off, s[0:3], 0 offset:116
	;; [unrolled: 1-line block ×4, first 2 shown]
	s_and_saveexec_b64 s[6:7], vcc
	s_cbranch_execz .LBB74_67
; %bb.66:
	buffer_load_dword v4, v70, s[0:3], 0 offen
	buffer_load_dword v5, v70, s[0:3], 0 offen offset:4
	buffer_load_dword v6, v70, s[0:3], 0 offen offset:8
	;; [unrolled: 1-line block ×3, first 2 shown]
	s_nop 0
	buffer_store_dword v2, off, s[0:3], 0 offset:96
	buffer_store_dword v2, off, s[0:3], 0 offset:100
	;; [unrolled: 1-line block ×4, first 2 shown]
	s_waitcnt vmcnt(4)
	ds_write_b128 v76, v[4:7]
.LBB74_67:
	s_or_b64 exec, exec, s[6:7]
	s_waitcnt lgkmcnt(0)
	; wave barrier
	s_waitcnt lgkmcnt(0)
	buffer_load_dword v20, off, s[0:3], 0 offset:120
	buffer_load_dword v21, off, s[0:3], 0 offset:124
	;; [unrolled: 1-line block ×20, first 2 shown]
	ds_read_b128 v[4:7], v2 offset:288
	ds_read_b128 v[8:11], v2 offset:304
	;; [unrolled: 1-line block ×4, first 2 shown]
	v_cmp_lt_u32_e32 vcc, 5, v75
	s_waitcnt vmcnt(18) lgkmcnt(3)
	v_mul_f64 v[2:3], v[4:5], v[20:21]
	v_mul_f64 v[20:21], v[6:7], v[20:21]
	s_waitcnt vmcnt(16) lgkmcnt(2)
	v_mul_f64 v[62:63], v[8:9], v[44:45]
	v_mul_f64 v[44:45], v[10:11], v[44:45]
	;; [unrolled: 3-line block ×4, first 2 shown]
	s_waitcnt vmcnt(10)
	v_fma_f64 v[4:5], v[4:5], v[50:51], -v[20:21]
	v_fmac_f64_e32 v[2:3], v[6:7], v[50:51]
	s_waitcnt vmcnt(8)
	v_fma_f64 v[6:7], v[8:9], v[52:53], -v[44:45]
	v_add_f64 v[4:5], v[4:5], 0
	v_fmac_f64_e32 v[62:63], v[10:11], v[52:53]
	s_waitcnt vmcnt(6)
	v_fma_f64 v[8:9], v[12:13], v[54:55], -v[46:47]
	v_add_f64 v[2:3], v[2:3], 0
	v_add_f64 v[4:5], v[4:5], v[6:7]
	v_fmac_f64_e32 v[64:65], v[14:15], v[54:55]
	s_waitcnt vmcnt(4)
	v_fma_f64 v[10:11], v[16:17], v[56:57], -v[48:49]
	v_add_f64 v[2:3], v[2:3], v[62:63]
	v_add_f64 v[4:5], v[4:5], v[8:9]
	v_fmac_f64_e32 v[78:79], v[18:19], v[56:57]
	v_add_f64 v[2:3], v[2:3], v[64:65]
	v_add_f64 v[4:5], v[4:5], v[10:11]
	v_add_f64 v[2:3], v[2:3], v[78:79]
	s_waitcnt vmcnt(2)
	v_add_f64 v[4:5], v[58:59], -v[4:5]
	s_waitcnt vmcnt(0)
	v_add_f64 v[2:3], v[60:61], -v[2:3]
	buffer_store_dword v4, off, s[0:3], 0 offset:96
	buffer_store_dword v5, off, s[0:3], 0 offset:100
	;; [unrolled: 1-line block ×4, first 2 shown]
	s_and_saveexec_b64 s[6:7], vcc
	s_cbranch_execz .LBB74_69
; %bb.68:
	buffer_load_dword v2, v68, s[0:3], 0 offen
	buffer_load_dword v3, v68, s[0:3], 0 offen offset:4
	buffer_load_dword v4, v68, s[0:3], 0 offen offset:8
	;; [unrolled: 1-line block ×3, first 2 shown]
	v_mov_b32_e32 v6, 0
	buffer_store_dword v6, off, s[0:3], 0 offset:80
	buffer_store_dword v6, off, s[0:3], 0 offset:84
	;; [unrolled: 1-line block ×4, first 2 shown]
	s_waitcnt vmcnt(4)
	ds_write_b128 v76, v[2:5]
.LBB74_69:
	s_or_b64 exec, exec, s[6:7]
	s_waitcnt lgkmcnt(0)
	; wave barrier
	s_waitcnt lgkmcnt(0)
	buffer_load_dword v20, off, s[0:3], 0 offset:104
	buffer_load_dword v21, off, s[0:3], 0 offset:108
	;; [unrolled: 1-line block ×24, first 2 shown]
	v_mov_b32_e32 v2, 0
	ds_read_b128 v[4:7], v2 offset:272
	ds_read_b128 v[8:11], v2 offset:288
	ds_read_b128 v[12:15], v2 offset:304
	ds_read_b128 v[16:19], v2 offset:320
	ds_read_b128 v[44:47], v2 offset:336
	v_cmp_lt_u32_e32 vcc, 4, v75
	s_waitcnt vmcnt(22) lgkmcnt(4)
	v_mul_f64 v[82:83], v[4:5], v[20:21]
	v_mul_f64 v[20:21], v[6:7], v[20:21]
	s_waitcnt vmcnt(20) lgkmcnt(3)
	v_mul_f64 v[84:85], v[8:9], v[48:49]
	v_mul_f64 v[48:49], v[10:11], v[48:49]
	;; [unrolled: 3-line block ×4, first 2 shown]
	s_waitcnt vmcnt(13) lgkmcnt(0)
	v_mul_f64 v[90:91], v[44:45], v[52:53]
	s_waitcnt vmcnt(11)
	v_fma_f64 v[4:5], v[4:5], v[58:59], -v[20:21]
	v_fmac_f64_e32 v[82:83], v[6:7], v[58:59]
	s_waitcnt vmcnt(9)
	v_fma_f64 v[6:7], v[8:9], v[60:61], -v[48:49]
	v_add_f64 v[4:5], v[4:5], 0
	v_fmac_f64_e32 v[84:85], v[10:11], v[60:61]
	s_waitcnt vmcnt(7)
	v_fmac_f64_e32 v[86:87], v[14:15], v[62:63]
	v_fma_f64 v[8:9], v[12:13], v[62:63], -v[50:51]
	v_add_f64 v[14:15], v[82:83], 0
	v_add_f64 v[4:5], v[4:5], v[6:7]
	v_mul_f64 v[52:53], v[46:47], v[52:53]
	s_waitcnt vmcnt(5)
	v_fma_f64 v[10:11], v[16:17], v[64:65], -v[56:57]
	v_add_f64 v[14:15], v[14:15], v[84:85]
	v_add_f64 v[4:5], v[4:5], v[8:9]
	v_fmac_f64_e32 v[88:89], v[18:19], v[64:65]
	s_waitcnt vmcnt(4)
	v_fma_f64 v[12:13], v[44:45], v[54:55], -v[52:53]
	v_add_f64 v[6:7], v[14:15], v[86:87]
	v_add_f64 v[4:5], v[4:5], v[10:11]
	v_fmac_f64_e32 v[90:91], v[46:47], v[54:55]
	v_add_f64 v[6:7], v[6:7], v[88:89]
	v_add_f64 v[4:5], v[4:5], v[12:13]
	;; [unrolled: 1-line block ×3, first 2 shown]
	s_waitcnt vmcnt(2)
	v_add_f64 v[4:5], v[78:79], -v[4:5]
	s_waitcnt vmcnt(0)
	v_add_f64 v[6:7], v[80:81], -v[6:7]
	buffer_store_dword v5, off, s[0:3], 0 offset:84
	buffer_store_dword v4, off, s[0:3], 0 offset:80
	;; [unrolled: 1-line block ×4, first 2 shown]
	s_and_saveexec_b64 s[6:7], vcc
	s_cbranch_execz .LBB74_71
; %bb.70:
	buffer_load_dword v4, v66, s[0:3], 0 offen
	buffer_load_dword v5, v66, s[0:3], 0 offen offset:4
	buffer_load_dword v6, v66, s[0:3], 0 offen offset:8
	;; [unrolled: 1-line block ×3, first 2 shown]
	s_nop 0
	buffer_store_dword v2, off, s[0:3], 0 offset:64
	buffer_store_dword v2, off, s[0:3], 0 offset:68
	;; [unrolled: 1-line block ×4, first 2 shown]
	s_waitcnt vmcnt(4)
	ds_write_b128 v76, v[4:7]
.LBB74_71:
	s_or_b64 exec, exec, s[6:7]
	s_waitcnt lgkmcnt(0)
	; wave barrier
	s_waitcnt lgkmcnt(0)
	buffer_load_dword v20, off, s[0:3], 0 offset:88
	buffer_load_dword v21, off, s[0:3], 0 offset:92
	;; [unrolled: 1-line block ×28, first 2 shown]
	ds_read_b128 v[4:7], v2 offset:256
	ds_read_b128 v[8:11], v2 offset:272
	;; [unrolled: 1-line block ×6, first 2 shown]
	v_cmp_lt_u32_e32 vcc, 3, v75
	s_waitcnt vmcnt(26) lgkmcnt(5)
	v_mul_f64 v[2:3], v[4:5], v[20:21]
	v_mul_f64 v[20:21], v[6:7], v[20:21]
	s_waitcnt vmcnt(24) lgkmcnt(4)
	v_mul_f64 v[90:91], v[8:9], v[52:53]
	v_mul_f64 v[52:53], v[10:11], v[52:53]
	;; [unrolled: 3-line block ×4, first 2 shown]
	s_waitcnt vmcnt(18)
	v_mul_f64 v[94:95], v[16:17], v[58:59]
	v_mul_f64 v[58:59], v[18:19], v[58:59]
	s_waitcnt vmcnt(16) lgkmcnt(0)
	v_mul_f64 v[98:99], v[48:49], v[60:61]
	v_mul_f64 v[60:61], v[50:51], v[60:61]
	s_waitcnt vmcnt(14)
	v_fmac_f64_e32 v[96:97], v[46:47], v[62:63]
	s_waitcnt vmcnt(12)
	v_fma_f64 v[4:5], v[4:5], v[64:65], -v[20:21]
	v_fmac_f64_e32 v[2:3], v[6:7], v[64:65]
	s_waitcnt vmcnt(10)
	v_fma_f64 v[6:7], v[8:9], v[78:79], -v[52:53]
	v_add_f64 v[4:5], v[4:5], 0
	v_fmac_f64_e32 v[90:91], v[10:11], v[78:79]
	s_waitcnt vmcnt(8)
	v_fma_f64 v[8:9], v[12:13], v[80:81], -v[54:55]
	v_add_f64 v[2:3], v[2:3], 0
	v_add_f64 v[4:5], v[4:5], v[6:7]
	v_fmac_f64_e32 v[92:93], v[14:15], v[80:81]
	s_waitcnt vmcnt(6)
	v_fma_f64 v[10:11], v[16:17], v[82:83], -v[58:59]
	v_add_f64 v[2:3], v[2:3], v[90:91]
	v_add_f64 v[4:5], v[4:5], v[8:9]
	v_fmac_f64_e32 v[94:95], v[18:19], v[82:83]
	v_fma_f64 v[12:13], v[44:45], v[62:63], -v[56:57]
	v_add_f64 v[2:3], v[2:3], v[92:93]
	v_add_f64 v[4:5], v[4:5], v[10:11]
	s_waitcnt vmcnt(4)
	v_fma_f64 v[14:15], v[48:49], v[84:85], -v[60:61]
	v_add_f64 v[2:3], v[2:3], v[94:95]
	v_add_f64 v[4:5], v[4:5], v[12:13]
	v_fmac_f64_e32 v[98:99], v[50:51], v[84:85]
	v_add_f64 v[2:3], v[2:3], v[96:97]
	v_add_f64 v[4:5], v[4:5], v[14:15]
	;; [unrolled: 1-line block ×3, first 2 shown]
	s_waitcnt vmcnt(2)
	v_add_f64 v[4:5], v[86:87], -v[4:5]
	s_waitcnt vmcnt(0)
	v_add_f64 v[2:3], v[88:89], -v[2:3]
	buffer_store_dword v5, off, s[0:3], 0 offset:68
	buffer_store_dword v4, off, s[0:3], 0 offset:64
	buffer_store_dword v3, off, s[0:3], 0 offset:76
	buffer_store_dword v2, off, s[0:3], 0 offset:72
	s_and_saveexec_b64 s[6:7], vcc
	s_cbranch_execz .LBB74_73
; %bb.72:
	buffer_load_dword v2, v73, s[0:3], 0 offen
	buffer_load_dword v3, v73, s[0:3], 0 offen offset:4
	buffer_load_dword v4, v73, s[0:3], 0 offen offset:8
	;; [unrolled: 1-line block ×3, first 2 shown]
	v_mov_b32_e32 v6, 0
	buffer_store_dword v6, off, s[0:3], 0 offset:48
	buffer_store_dword v6, off, s[0:3], 0 offset:52
	;; [unrolled: 1-line block ×4, first 2 shown]
	s_waitcnt vmcnt(4)
	ds_write_b128 v76, v[2:5]
.LBB74_73:
	s_or_b64 exec, exec, s[6:7]
	s_waitcnt lgkmcnt(0)
	; wave barrier
	s_waitcnt lgkmcnt(0)
	buffer_load_dword v20, off, s[0:3], 0 offset:72
	buffer_load_dword v21, off, s[0:3], 0 offset:76
	;; [unrolled: 1-line block ×32, first 2 shown]
	v_mov_b32_e32 v2, 0
	ds_read_b128 v[4:7], v2 offset:240
	ds_read_b128 v[8:11], v2 offset:256
	;; [unrolled: 1-line block ×7, first 2 shown]
	v_cmp_lt_u32_e32 vcc, 2, v75
	s_waitcnt vmcnt(30) lgkmcnt(6)
	v_mul_f64 v[98:99], v[4:5], v[20:21]
	v_mul_f64 v[20:21], v[6:7], v[20:21]
	s_waitcnt vmcnt(28) lgkmcnt(5)
	v_mul_f64 v[100:101], v[8:9], v[56:57]
	v_mul_f64 v[56:57], v[10:11], v[56:57]
	;; [unrolled: 3-line block ×4, first 2 shown]
	s_waitcnt vmcnt(21)
	v_mul_f64 v[104:105], v[16:17], v[64:65]
	v_mul_f64 v[64:65], v[18:19], v[64:65]
	s_waitcnt vmcnt(17) lgkmcnt(1)
	v_mul_f64 v[108:109], v[48:49], v[82:83]
	v_mul_f64 v[82:83], v[50:51], v[82:83]
	s_waitcnt vmcnt(16) lgkmcnt(0)
	v_mul_f64 v[110:111], v[52:53], v[78:79]
	v_mul_f64 v[78:79], v[54:55], v[78:79]
	s_waitcnt vmcnt(13)
	v_fma_f64 v[4:5], v[4:5], v[84:85], -v[20:21]
	v_fmac_f64_e32 v[98:99], v[6:7], v[84:85]
	s_waitcnt vmcnt(11)
	v_fma_f64 v[6:7], v[8:9], v[86:87], -v[56:57]
	v_add_f64 v[4:5], v[4:5], 0
	v_fmac_f64_e32 v[100:101], v[10:11], v[86:87]
	s_waitcnt vmcnt(9)
	v_fma_f64 v[8:9], v[12:13], v[88:89], -v[58:59]
	s_waitcnt vmcnt(7)
	v_fmac_f64_e32 v[104:105], v[18:19], v[90:91]
	v_add_f64 v[18:19], v[98:99], 0
	v_add_f64 v[4:5], v[4:5], v[6:7]
	v_fmac_f64_e32 v[102:103], v[14:15], v[88:89]
	v_fma_f64 v[10:11], v[16:17], v[90:91], -v[64:65]
	v_add_f64 v[18:19], v[18:19], v[100:101]
	v_add_f64 v[4:5], v[4:5], v[8:9]
	v_fma_f64 v[12:13], v[44:45], v[62:63], -v[60:61]
	v_add_f64 v[6:7], v[18:19], v[102:103]
	v_add_f64 v[4:5], v[4:5], v[10:11]
	v_fmac_f64_e32 v[106:107], v[46:47], v[62:63]
	s_waitcnt vmcnt(5)
	v_fma_f64 v[14:15], v[48:49], v[92:93], -v[82:83]
	v_add_f64 v[6:7], v[6:7], v[104:105]
	v_add_f64 v[4:5], v[4:5], v[12:13]
	v_fmac_f64_e32 v[108:109], v[50:51], v[92:93]
	s_waitcnt vmcnt(4)
	v_fma_f64 v[16:17], v[52:53], v[80:81], -v[78:79]
	v_add_f64 v[6:7], v[6:7], v[106:107]
	v_add_f64 v[4:5], v[4:5], v[14:15]
	v_fmac_f64_e32 v[110:111], v[54:55], v[80:81]
	v_add_f64 v[6:7], v[6:7], v[108:109]
	v_add_f64 v[4:5], v[4:5], v[16:17]
	;; [unrolled: 1-line block ×3, first 2 shown]
	s_waitcnt vmcnt(2)
	v_add_f64 v[4:5], v[94:95], -v[4:5]
	s_waitcnt vmcnt(0)
	v_add_f64 v[6:7], v[96:97], -v[6:7]
	buffer_store_dword v5, off, s[0:3], 0 offset:52
	buffer_store_dword v4, off, s[0:3], 0 offset:48
	;; [unrolled: 1-line block ×4, first 2 shown]
	s_and_saveexec_b64 s[6:7], vcc
	s_cbranch_execz .LBB74_75
; %bb.74:
	buffer_load_dword v4, v74, s[0:3], 0 offen
	buffer_load_dword v5, v74, s[0:3], 0 offen offset:4
	buffer_load_dword v6, v74, s[0:3], 0 offen offset:8
	;; [unrolled: 1-line block ×3, first 2 shown]
	s_nop 0
	buffer_store_dword v2, off, s[0:3], 0 offset:32
	buffer_store_dword v2, off, s[0:3], 0 offset:36
	;; [unrolled: 1-line block ×4, first 2 shown]
	s_waitcnt vmcnt(4)
	ds_write_b128 v76, v[4:7]
.LBB74_75:
	s_or_b64 exec, exec, s[6:7]
	s_waitcnt lgkmcnt(0)
	; wave barrier
	s_waitcnt lgkmcnt(0)
	buffer_load_dword v20, off, s[0:3], 0 offset:56
	buffer_load_dword v21, off, s[0:3], 0 offset:60
	;; [unrolled: 1-line block ×36, first 2 shown]
	ds_read_b128 v[4:7], v2 offset:224
	ds_read_b128 v[8:11], v2 offset:240
	;; [unrolled: 1-line block ×8, first 2 shown]
	v_cmp_lt_u32_e32 vcc, 1, v75
	s_waitcnt vmcnt(34) lgkmcnt(7)
	v_mul_f64 v[2:3], v[4:5], v[20:21]
	v_mul_f64 v[20:21], v[6:7], v[20:21]
	s_waitcnt vmcnt(32) lgkmcnt(6)
	v_mul_f64 v[106:107], v[8:9], v[60:61]
	v_mul_f64 v[60:61], v[10:11], v[60:61]
	;; [unrolled: 3-line block ×4, first 2 shown]
	s_waitcnt vmcnt(25)
	v_mul_f64 v[110:111], v[16:17], v[80:81]
	v_mul_f64 v[80:81], v[18:19], v[80:81]
	s_waitcnt vmcnt(23) lgkmcnt(1)
	v_mul_f64 v[116:117], v[52:53], v[82:83]
	v_mul_f64 v[82:83], v[54:55], v[82:83]
	s_waitcnt vmcnt(20)
	v_mul_f64 v[114:115], v[48:49], v[86:87]
	v_mul_f64 v[86:87], v[50:51], v[86:87]
	s_waitcnt vmcnt(18) lgkmcnt(0)
	v_mul_f64 v[118:119], v[56:57], v[88:89]
	s_waitcnt vmcnt(17)
	v_fmac_f64_e32 v[112:113], v[46:47], v[78:79]
	s_waitcnt vmcnt(16)
	v_fmac_f64_e32 v[116:117], v[54:55], v[84:85]
	s_waitcnt vmcnt(14)
	v_fma_f64 v[4:5], v[4:5], v[90:91], -v[20:21]
	v_fmac_f64_e32 v[2:3], v[6:7], v[90:91]
	s_waitcnt vmcnt(12)
	v_fma_f64 v[6:7], v[8:9], v[92:93], -v[60:61]
	v_add_f64 v[4:5], v[4:5], 0
	v_fmac_f64_e32 v[106:107], v[10:11], v[92:93]
	s_waitcnt vmcnt(10)
	v_fma_f64 v[8:9], v[12:13], v[94:95], -v[62:63]
	v_add_f64 v[2:3], v[2:3], 0
	v_add_f64 v[4:5], v[4:5], v[6:7]
	v_fmac_f64_e32 v[108:109], v[14:15], v[94:95]
	s_waitcnt vmcnt(8)
	v_fma_f64 v[10:11], v[16:17], v[96:97], -v[80:81]
	v_add_f64 v[2:3], v[2:3], v[106:107]
	v_add_f64 v[4:5], v[4:5], v[8:9]
	v_fmac_f64_e32 v[110:111], v[18:19], v[96:97]
	v_fma_f64 v[12:13], v[44:45], v[78:79], -v[64:65]
	v_add_f64 v[2:3], v[2:3], v[108:109]
	v_add_f64 v[4:5], v[4:5], v[10:11]
	s_waitcnt vmcnt(6)
	v_fma_f64 v[14:15], v[48:49], v[98:99], -v[86:87]
	v_add_f64 v[2:3], v[2:3], v[110:111]
	v_add_f64 v[4:5], v[4:5], v[12:13]
	v_fmac_f64_e32 v[114:115], v[50:51], v[98:99]
	v_fma_f64 v[16:17], v[52:53], v[84:85], -v[82:83]
	v_add_f64 v[2:3], v[2:3], v[112:113]
	v_add_f64 v[4:5], v[4:5], v[14:15]
	v_mul_f64 v[6:7], v[58:59], v[88:89]
	v_add_f64 v[2:3], v[2:3], v[114:115]
	v_add_f64 v[4:5], v[4:5], v[16:17]
	s_waitcnt vmcnt(4)
	v_fma_f64 v[6:7], v[56:57], v[100:101], -v[6:7]
	v_fmac_f64_e32 v[118:119], v[58:59], v[100:101]
	v_add_f64 v[2:3], v[2:3], v[116:117]
	v_add_f64 v[4:5], v[4:5], v[6:7]
	;; [unrolled: 1-line block ×3, first 2 shown]
	s_waitcnt vmcnt(2)
	v_add_f64 v[4:5], v[102:103], -v[4:5]
	s_waitcnt vmcnt(0)
	v_add_f64 v[2:3], v[104:105], -v[2:3]
	buffer_store_dword v5, off, s[0:3], 0 offset:36
	buffer_store_dword v4, off, s[0:3], 0 offset:32
	;; [unrolled: 1-line block ×4, first 2 shown]
	s_and_saveexec_b64 s[6:7], vcc
	s_cbranch_execz .LBB74_77
; %bb.76:
	buffer_load_dword v2, v72, s[0:3], 0 offen
	buffer_load_dword v3, v72, s[0:3], 0 offen offset:4
	buffer_load_dword v4, v72, s[0:3], 0 offen offset:8
	;; [unrolled: 1-line block ×3, first 2 shown]
	v_mov_b32_e32 v6, 0
	buffer_store_dword v6, off, s[0:3], 0 offset:16
	buffer_store_dword v6, off, s[0:3], 0 offset:20
	;; [unrolled: 1-line block ×4, first 2 shown]
	s_waitcnt vmcnt(4)
	ds_write_b128 v76, v[2:5]
.LBB74_77:
	s_or_b64 exec, exec, s[6:7]
	v_mov_b32_e32 v77, 0
	s_waitcnt lgkmcnt(0)
	; wave barrier
	s_waitcnt lgkmcnt(0)
	ds_read_b128 v[14:17], v77 offset:208
	ds_read_b128 v[10:13], v77 offset:224
	;; [unrolled: 1-line block ×4, first 2 shown]
	buffer_load_dword v46, off, s[0:3], 0 offset:16
	buffer_load_dword v47, off, s[0:3], 0 offset:20
	;; [unrolled: 1-line block ×20, first 2 shown]
	v_cmp_ne_u32_e32 vcc, 0, v75
	s_waitcnt vmcnt(12) lgkmcnt(3)
	v_mul_f64 v[18:19], v[14:15], v[58:59]
	v_fmac_f64_e32 v[18:19], v[16:17], v[48:49]
	v_add_f64 v[18:19], v[18:19], 0
	v_mul_f64 v[16:17], v[16:17], v[58:59]
	s_waitcnt vmcnt(8) lgkmcnt(2)
	v_mul_f64 v[20:21], v[10:11], v[60:61]
	v_fmac_f64_e32 v[20:21], v[12:13], v[54:55]
	v_add_f64 v[18:19], v[18:19], v[20:21]
	v_fma_f64 v[14:15], v[14:15], v[48:49], -v[16:17]
	s_waitcnt vmcnt(4) lgkmcnt(1)
	v_mul_f64 v[20:21], v[6:7], v[62:63]
	v_fmac_f64_e32 v[20:21], v[8:9], v[56:57]
	v_add_f64 v[18:19], v[18:19], v[20:21]
	s_waitcnt vmcnt(0) lgkmcnt(0)
	v_mul_f64 v[20:21], v[2:3], v[64:65]
	v_fmac_f64_e32 v[20:21], v[4:5], v[52:53]
	v_add_f64 v[78:79], v[18:19], v[20:21]
	ds_read_b128 v[18:21], v77 offset:272
	buffer_load_dword v51, off, s[0:3], 0 offset:100
	buffer_load_dword v50, off, s[0:3], 0 offset:96
	;; [unrolled: 1-line block ×4, first 2 shown]
	v_mul_f64 v[12:13], v[12:13], v[60:61]
	v_add_f64 v[14:15], v[14:15], 0
	v_fma_f64 v[10:11], v[10:11], v[54:55], -v[12:13]
	v_mul_f64 v[8:9], v[8:9], v[62:63]
	v_add_f64 v[10:11], v[14:15], v[10:11]
	v_fma_f64 v[6:7], v[6:7], v[56:57], -v[8:9]
	;; [unrolled: 3-line block ×3, first 2 shown]
	v_add_f64 v[2:3], v[6:7], v[2:3]
	s_waitcnt vmcnt(0) lgkmcnt(0)
	v_mul_f64 v[80:81], v[18:19], v[94:95]
	v_fmac_f64_e32 v[80:81], v[20:21], v[50:51]
	v_add_f64 v[82:83], v[78:79], v[80:81]
	ds_read_b128 v[78:81], v77 offset:288
	buffer_load_dword v97, off, s[0:3], 0 offset:116
	buffer_load_dword v96, off, s[0:3], 0 offset:112
	buffer_load_dword v99, off, s[0:3], 0 offset:124
	buffer_load_dword v98, off, s[0:3], 0 offset:120
	v_mul_f64 v[4:5], v[20:21], v[94:95]
	v_fma_f64 v[4:5], v[18:19], v[50:51], -v[4:5]
	v_add_f64 v[2:3], v[2:3], v[4:5]
	s_waitcnt vmcnt(0) lgkmcnt(0)
	v_mul_f64 v[84:85], v[78:79], v[98:99]
	v_fmac_f64_e32 v[84:85], v[80:81], v[96:97]
	v_add_f64 v[86:87], v[82:83], v[84:85]
	ds_read_b128 v[82:85], v77 offset:304
	buffer_load_dword v101, off, s[0:3], 0 offset:132
	buffer_load_dword v100, off, s[0:3], 0 offset:128
	buffer_load_dword v103, off, s[0:3], 0 offset:140
	buffer_load_dword v102, off, s[0:3], 0 offset:136
	v_mul_f64 v[4:5], v[80:81], v[98:99]
	v_fma_f64 v[4:5], v[78:79], v[96:97], -v[4:5]
	;; [unrolled: 12-line block ×4, first 2 shown]
	v_add_f64 v[2:3], v[2:3], v[4:5]
	s_waitcnt vmcnt(0) lgkmcnt(0)
	v_mul_f64 v[4:5], v[92:93], v[112:113]
	v_mul_f64 v[114:115], v[90:91], v[112:113]
	v_fma_f64 v[4:5], v[90:91], v[110:111], -v[4:5]
	v_fmac_f64_e32 v[114:115], v[92:93], v[110:111]
	v_add_f64 v[2:3], v[2:3], v[4:5]
	v_add_f64 v[108:109], v[108:109], v[114:115]
	v_add_f64 v[2:3], v[46:47], -v[2:3]
	v_add_f64 v[4:5], v[44:45], -v[108:109]
	buffer_store_dword v3, off, s[0:3], 0 offset:20
	buffer_store_dword v2, off, s[0:3], 0 offset:16
	;; [unrolled: 1-line block ×4, first 2 shown]
	s_and_saveexec_b64 s[6:7], vcc
	s_cbranch_execz .LBB74_79
; %bb.78:
	buffer_load_dword v2, off, s[0:3], 0
	buffer_load_dword v3, off, s[0:3], 0 offset:4
	buffer_load_dword v4, off, s[0:3], 0 offset:8
	buffer_load_dword v5, off, s[0:3], 0 offset:12
	s_nop 0
	buffer_store_dword v77, off, s[0:3], 0
	buffer_store_dword v77, off, s[0:3], 0 offset:4
	buffer_store_dword v77, off, s[0:3], 0 offset:8
	;; [unrolled: 1-line block ×3, first 2 shown]
	s_waitcnt vmcnt(4)
	ds_write_b128 v76, v[2:5]
.LBB74_79:
	s_or_b64 exec, exec, s[6:7]
	s_waitcnt lgkmcnt(0)
	; wave barrier
	s_waitcnt lgkmcnt(0)
	ds_read_b128 v[14:17], v77 offset:192
	ds_read_b128 v[10:13], v77 offset:208
	;; [unrolled: 1-line block ×4, first 2 shown]
	buffer_load_dword v46, off, s[0:3], 0
	buffer_load_dword v47, off, s[0:3], 0 offset:4
	buffer_load_dword v44, off, s[0:3], 0 offset:8
	buffer_load_dword v45, off, s[0:3], 0 offset:12
	buffer_load_dword v60, off, s[0:3], 0 offset:16
	buffer_load_dword v61, off, s[0:3], 0 offset:20
	buffer_load_dword v62, off, s[0:3], 0 offset:24
	buffer_load_dword v63, off, s[0:3], 0 offset:28
	buffer_load_dword v52, off, s[0:3], 0 offset:32
	buffer_load_dword v53, off, s[0:3], 0 offset:36
	buffer_load_dword v64, off, s[0:3], 0 offset:40
	buffer_load_dword v65, off, s[0:3], 0 offset:44
	buffer_load_dword v48, off, s[0:3], 0 offset:48
	buffer_load_dword v49, off, s[0:3], 0 offset:52
	buffer_load_dword v50, off, s[0:3], 0 offset:56
	buffer_load_dword v51, off, s[0:3], 0 offset:60
	buffer_load_dword v55, off, s[0:3], 0 offset:68
	buffer_load_dword v54, off, s[0:3], 0 offset:64
	buffer_load_dword v57, off, s[0:3], 0 offset:76
	buffer_load_dword v56, off, s[0:3], 0 offset:72
	s_and_b64 vcc, exec, s[18:19]
	s_waitcnt vmcnt(12) lgkmcnt(3)
	v_mul_f64 v[18:19], v[14:15], v[62:63]
	v_fmac_f64_e32 v[18:19], v[16:17], v[60:61]
	v_add_f64 v[18:19], v[18:19], 0
	v_mul_f64 v[16:17], v[16:17], v[62:63]
	s_waitcnt vmcnt(8) lgkmcnt(2)
	v_mul_f64 v[20:21], v[10:11], v[64:65]
	v_fmac_f64_e32 v[20:21], v[12:13], v[52:53]
	v_add_f64 v[18:19], v[18:19], v[20:21]
	v_fma_f64 v[14:15], v[14:15], v[60:61], -v[16:17]
	s_waitcnt vmcnt(4) lgkmcnt(1)
	v_mul_f64 v[20:21], v[6:7], v[50:51]
	v_fmac_f64_e32 v[20:21], v[8:9], v[48:49]
	v_add_f64 v[18:19], v[18:19], v[20:21]
	s_waitcnt vmcnt(0) lgkmcnt(0)
	v_mul_f64 v[20:21], v[2:3], v[56:57]
	v_fmac_f64_e32 v[20:21], v[4:5], v[54:55]
	v_add_f64 v[78:79], v[18:19], v[20:21]
	ds_read_b128 v[18:21], v77 offset:256
	buffer_load_dword v59, off, s[0:3], 0 offset:84
	buffer_load_dword v58, off, s[0:3], 0 offset:80
	;; [unrolled: 1-line block ×4, first 2 shown]
	v_mul_f64 v[12:13], v[12:13], v[64:65]
	v_add_f64 v[14:15], v[14:15], 0
	v_fma_f64 v[10:11], v[10:11], v[52:53], -v[12:13]
	v_mul_f64 v[8:9], v[8:9], v[50:51]
	v_add_f64 v[10:11], v[14:15], v[10:11]
	v_fma_f64 v[6:7], v[6:7], v[48:49], -v[8:9]
	;; [unrolled: 3-line block ×3, first 2 shown]
	v_add_f64 v[2:3], v[6:7], v[2:3]
	s_waitcnt vmcnt(0) lgkmcnt(0)
	v_mul_f64 v[80:81], v[18:19], v[98:99]
	v_fmac_f64_e32 v[80:81], v[20:21], v[58:59]
	v_add_f64 v[82:83], v[78:79], v[80:81]
	ds_read_b128 v[78:81], v77 offset:272
	buffer_load_dword v101, off, s[0:3], 0 offset:100
	buffer_load_dword v100, off, s[0:3], 0 offset:96
	buffer_load_dword v103, off, s[0:3], 0 offset:108
	buffer_load_dword v102, off, s[0:3], 0 offset:104
	v_mul_f64 v[4:5], v[20:21], v[98:99]
	v_fma_f64 v[4:5], v[18:19], v[58:59], -v[4:5]
	v_add_f64 v[2:3], v[2:3], v[4:5]
	s_waitcnt vmcnt(0) lgkmcnt(0)
	v_mul_f64 v[84:85], v[78:79], v[102:103]
	v_fmac_f64_e32 v[84:85], v[80:81], v[100:101]
	v_add_f64 v[86:87], v[82:83], v[84:85]
	ds_read_b128 v[82:85], v77 offset:288
	buffer_load_dword v105, off, s[0:3], 0 offset:116
	buffer_load_dword v104, off, s[0:3], 0 offset:112
	buffer_load_dword v107, off, s[0:3], 0 offset:124
	buffer_load_dword v106, off, s[0:3], 0 offset:120
	v_mul_f64 v[4:5], v[80:81], v[102:103]
	v_fma_f64 v[4:5], v[78:79], v[100:101], -v[4:5]
	;; [unrolled: 12-line block ×5, first 2 shown]
	v_add_f64 v[2:3], v[2:3], v[4:5]
	s_waitcnt vmcnt(0) lgkmcnt(0)
	v_mul_f64 v[4:5], v[96:97], v[118:119]
	v_mul_f64 v[120:121], v[94:95], v[118:119]
	v_fma_f64 v[4:5], v[94:95], v[76:77], -v[4:5]
	v_fmac_f64_e32 v[120:121], v[96:97], v[76:77]
	v_add_f64 v[2:3], v[2:3], v[4:5]
	v_add_f64 v[116:117], v[116:117], v[120:121]
	v_add_f64 v[2:3], v[46:47], -v[2:3]
	v_add_f64 v[4:5], v[44:45], -v[116:117]
	buffer_store_dword v3, off, s[0:3], 0 offset:4
	buffer_store_dword v2, off, s[0:3], 0
	buffer_store_dword v5, off, s[0:3], 0 offset:12
	buffer_store_dword v4, off, s[0:3], 0 offset:8
	s_cbranch_vccz .LBB74_101
; %bb.80:
	v_pk_mov_b32 v[2:3], s[16:17], s[16:17] op_sel:[0,1]
	flat_load_dword v2, v[2:3] offset:36
	s_load_dwordx2 s[4:5], s[4:5], 0x4
	v_bfe_u32 v4, v0, 10, 10
	v_bfe_u32 v0, v0, 20, 10
	s_waitcnt lgkmcnt(0)
	s_lshr_b32 s4, s4, 16
	s_mul_i32 s4, s4, s5
	v_mul_u32_u24_e32 v3, s4, v75
	v_mul_u32_u24_e32 v4, s5, v4
	v_add3_u32 v0, v3, v4, v0
	v_mov_b32_e32 v3, 0x168
	v_lshl_add_u32 v0, v0, 4, v3
	s_waitcnt vmcnt(0)
	v_add_u32_e32 v2, -1, v2
	v_cmp_ne_u32_e32 vcc, 9, v2
	s_and_saveexec_b64 s[4:5], vcc
	s_cbranch_execz .LBB74_82
; %bb.81:
	v_mov_b32_e32 v3, 0
	v_lshl_add_u32 v6, v2, 4, v3
	buffer_load_dword v2, v67, s[0:3], 0 offen
	buffer_load_dword v3, v67, s[0:3], 0 offen offset:4
	buffer_load_dword v4, v67, s[0:3], 0 offen offset:8
	buffer_load_dword v5, v67, s[0:3], 0 offen offset:12
	buffer_load_dword v7, v6, s[0:3], 0 offen
	buffer_load_dword v8, v6, s[0:3], 0 offen offset:4
	buffer_load_dword v9, v6, s[0:3], 0 offen offset:8
	buffer_load_dword v10, v6, s[0:3], 0 offen offset:12
	s_waitcnt vmcnt(4)
	ds_write2_b64 v0, v[2:3], v[4:5] offset1:1
	s_waitcnt vmcnt(3)
	buffer_store_dword v7, v67, s[0:3], 0 offen
	s_waitcnt vmcnt(3)
	buffer_store_dword v8, v67, s[0:3], 0 offen offset:4
	s_waitcnt vmcnt(3)
	buffer_store_dword v9, v67, s[0:3], 0 offen offset:8
	s_waitcnt vmcnt(3)
	buffer_store_dword v10, v67, s[0:3], 0 offen offset:12
	buffer_store_dword v5, v6, s[0:3], 0 offen offset:12
	buffer_store_dword v4, v6, s[0:3], 0 offen offset:8
	buffer_store_dword v3, v6, s[0:3], 0 offen offset:4
	buffer_store_dword v2, v6, s[0:3], 0 offen
.LBB74_82:
	s_or_b64 exec, exec, s[4:5]
	v_pk_mov_b32 v[2:3], s[16:17], s[16:17] op_sel:[0,1]
	flat_load_dword v2, v[2:3] offset:32
	s_waitcnt vmcnt(0) lgkmcnt(0)
	v_add_u32_e32 v2, -1, v2
	v_cmp_ne_u32_e32 vcc, 8, v2
	s_and_saveexec_b64 s[4:5], vcc
	s_cbranch_execz .LBB74_84
; %bb.83:
	v_mov_b32_e32 v3, 0
	v_lshl_add_u32 v6, v2, 4, v3
	buffer_load_dword v2, v1, s[0:3], 0 offen
	buffer_load_dword v3, v1, s[0:3], 0 offen offset:4
	buffer_load_dword v4, v1, s[0:3], 0 offen offset:8
	buffer_load_dword v5, v1, s[0:3], 0 offen offset:12
	buffer_load_dword v7, v6, s[0:3], 0 offen
	buffer_load_dword v8, v6, s[0:3], 0 offen offset:4
	buffer_load_dword v9, v6, s[0:3], 0 offen offset:8
	buffer_load_dword v10, v6, s[0:3], 0 offen offset:12
	s_waitcnt vmcnt(4)
	ds_write2_b64 v0, v[2:3], v[4:5] offset1:1
	s_waitcnt vmcnt(3)
	buffer_store_dword v7, v1, s[0:3], 0 offen
	s_waitcnt vmcnt(3)
	buffer_store_dword v8, v1, s[0:3], 0 offen offset:4
	s_waitcnt vmcnt(3)
	buffer_store_dword v9, v1, s[0:3], 0 offen offset:8
	s_waitcnt vmcnt(3)
	buffer_store_dword v10, v1, s[0:3], 0 offen offset:12
	buffer_store_dword v5, v6, s[0:3], 0 offen offset:12
	buffer_store_dword v4, v6, s[0:3], 0 offen offset:8
	buffer_store_dword v3, v6, s[0:3], 0 offen offset:4
	buffer_store_dword v2, v6, s[0:3], 0 offen
.LBB74_84:
	s_or_b64 exec, exec, s[4:5]
	v_pk_mov_b32 v[2:3], s[16:17], s[16:17] op_sel:[0,1]
	flat_load_dword v2, v[2:3] offset:28
	s_waitcnt vmcnt(0) lgkmcnt(0)
	;; [unrolled: 34-line block ×8, first 2 shown]
	v_add_u32_e32 v2, -1, v2
	v_cmp_ne_u32_e32 vcc, 1, v2
	s_and_saveexec_b64 s[4:5], vcc
	s_cbranch_execz .LBB74_98
; %bb.97:
	v_mov_b32_e32 v3, 0
	v_lshl_add_u32 v6, v2, 4, v3
	buffer_load_dword v2, v72, s[0:3], 0 offen
	buffer_load_dword v3, v72, s[0:3], 0 offen offset:4
	buffer_load_dword v4, v72, s[0:3], 0 offen offset:8
	;; [unrolled: 1-line block ×3, first 2 shown]
	buffer_load_dword v7, v6, s[0:3], 0 offen
	buffer_load_dword v8, v6, s[0:3], 0 offen offset:4
	buffer_load_dword v9, v6, s[0:3], 0 offen offset:8
	;; [unrolled: 1-line block ×3, first 2 shown]
	s_waitcnt vmcnt(4)
	ds_write2_b64 v0, v[2:3], v[4:5] offset1:1
	s_waitcnt vmcnt(3)
	buffer_store_dword v7, v72, s[0:3], 0 offen
	s_waitcnt vmcnt(3)
	buffer_store_dword v8, v72, s[0:3], 0 offen offset:4
	s_waitcnt vmcnt(3)
	buffer_store_dword v9, v72, s[0:3], 0 offen offset:8
	;; [unrolled: 2-line block ×3, first 2 shown]
	buffer_store_dword v5, v6, s[0:3], 0 offen offset:12
	buffer_store_dword v4, v6, s[0:3], 0 offen offset:8
	;; [unrolled: 1-line block ×3, first 2 shown]
	buffer_store_dword v2, v6, s[0:3], 0 offen
.LBB74_98:
	s_or_b64 exec, exec, s[4:5]
	v_pk_mov_b32 v[2:3], s[16:17], s[16:17] op_sel:[0,1]
	flat_load_dword v2, v[2:3]
	s_waitcnt vmcnt(0) lgkmcnt(0)
	v_add_u32_e32 v2, -1, v2
	v_cmp_ne_u32_e32 vcc, 0, v2
	s_and_saveexec_b64 s[4:5], vcc
	s_cbranch_execz .LBB74_100
; %bb.99:
	v_mov_b32_e32 v3, 0
	v_lshl_add_u32 v6, v2, 4, v3
	buffer_load_dword v2, off, s[0:3], 0
	buffer_load_dword v3, off, s[0:3], 0 offset:4
	buffer_load_dword v4, off, s[0:3], 0 offset:8
	;; [unrolled: 1-line block ×3, first 2 shown]
	buffer_load_dword v7, v6, s[0:3], 0 offen
	buffer_load_dword v8, v6, s[0:3], 0 offen offset:4
	buffer_load_dword v9, v6, s[0:3], 0 offen offset:8
	;; [unrolled: 1-line block ×3, first 2 shown]
	s_waitcnt vmcnt(4)
	ds_write2_b64 v0, v[2:3], v[4:5] offset1:1
	s_waitcnt vmcnt(3)
	buffer_store_dword v7, off, s[0:3], 0
	s_waitcnt vmcnt(3)
	buffer_store_dword v8, off, s[0:3], 0 offset:4
	s_waitcnt vmcnt(3)
	buffer_store_dword v9, off, s[0:3], 0 offset:8
	;; [unrolled: 2-line block ×3, first 2 shown]
	buffer_store_dword v5, v6, s[0:3], 0 offen offset:12
	buffer_store_dword v4, v6, s[0:3], 0 offen offset:8
	;; [unrolled: 1-line block ×3, first 2 shown]
	buffer_store_dword v2, v6, s[0:3], 0 offen
.LBB74_100:
	s_or_b64 exec, exec, s[4:5]
.LBB74_101:
	buffer_load_dword v2, off, s[0:3], 0
	buffer_load_dword v3, off, s[0:3], 0 offset:4
	buffer_load_dword v4, off, s[0:3], 0 offset:8
	;; [unrolled: 1-line block ×3, first 2 shown]
	buffer_load_dword v6, v72, s[0:3], 0 offen
	buffer_load_dword v7, v72, s[0:3], 0 offen offset:4
	buffer_load_dword v8, v72, s[0:3], 0 offen offset:8
	buffer_load_dword v9, v72, s[0:3], 0 offen offset:12
	buffer_load_dword v11, v74, s[0:3], 0 offen offset:4
	buffer_load_dword v12, v74, s[0:3], 0 offen offset:8
	buffer_load_dword v13, v74, s[0:3], 0 offen offset:12
	buffer_load_dword v14, v73, s[0:3], 0 offen
	buffer_load_dword v15, v73, s[0:3], 0 offen offset:4
	buffer_load_dword v16, v73, s[0:3], 0 offen offset:8
	buffer_load_dword v10, v74, s[0:3], 0 offen
	buffer_load_dword v17, v73, s[0:3], 0 offen offset:12
	buffer_load_dword v19, v66, s[0:3], 0 offen offset:4
	;; [unrolled: 1-line block ×4, first 2 shown]
                                        ; kill: killed $vgpr74
                                        ; kill: killed $vgpr72
                                        ; kill: killed $vgpr73
	buffer_load_dword v44, v68, s[0:3], 0 offen
	buffer_load_dword v45, v68, s[0:3], 0 offen offset:4
	buffer_load_dword v46, v68, s[0:3], 0 offen offset:8
	buffer_load_dword v18, v66, s[0:3], 0 offen
	buffer_load_dword v47, v68, s[0:3], 0 offen offset:12
	buffer_load_dword v49, v70, s[0:3], 0 offen offset:4
	;; [unrolled: 1-line block ×4, first 2 shown]
	buffer_load_dword v52, v71, s[0:3], 0 offen
	buffer_load_dword v53, v71, s[0:3], 0 offen offset:4
	buffer_load_dword v54, v71, s[0:3], 0 offen offset:8
	buffer_load_dword v48, v70, s[0:3], 0 offen
	buffer_load_dword v55, v71, s[0:3], 0 offen offset:12
	buffer_load_dword v57, v1, s[0:3], 0 offen offset:4
	;; [unrolled: 1-line block ×3, first 2 shown]
                                        ; kill: killed $vgpr66
                                        ; kill: killed $vgpr70
                                        ; kill: killed $vgpr68
                                        ; kill: killed $vgpr71
	buffer_load_dword v59, v1, s[0:3], 0 offen offset:12
	buffer_load_dword v60, v67, s[0:3], 0 offen
	buffer_load_dword v61, v67, s[0:3], 0 offen offset:4
	buffer_load_dword v62, v67, s[0:3], 0 offen offset:8
	buffer_load_dword v56, v1, s[0:3], 0 offen
	buffer_load_dword v63, v67, s[0:3], 0 offen offset:12
	buffer_load_dword v70, v69, s[0:3], 0 offen
	buffer_load_dword v71, v69, s[0:3], 0 offen offset:4
	buffer_load_dword v72, v69, s[0:3], 0 offen offset:8
	;; [unrolled: 1-line block ×3, first 2 shown]
	s_waitcnt vmcnt(40)
	global_store_dwordx4 v[22:23], v[2:5], off
	s_waitcnt vmcnt(37)
	global_store_dwordx4 v[24:25], v[6:9], off
	;; [unrolled: 2-line block ×11, first 2 shown]
	s_endpgm
	.section	.rodata,"a",@progbits
	.p2align	6, 0x0
	.amdhsa_kernel _ZN9rocsolver6v33100L18getri_kernel_smallILi11E19rocblas_complex_numIdEPKPS3_EEvT1_iilPiilS8_bb
		.amdhsa_group_segment_fixed_size 1384
		.amdhsa_private_segment_fixed_size 192
		.amdhsa_kernarg_size 60
		.amdhsa_user_sgpr_count 10
		.amdhsa_user_sgpr_private_segment_buffer 1
		.amdhsa_user_sgpr_dispatch_ptr 1
		.amdhsa_user_sgpr_queue_ptr 0
		.amdhsa_user_sgpr_kernarg_segment_ptr 1
		.amdhsa_user_sgpr_dispatch_id 0
		.amdhsa_user_sgpr_flat_scratch_init 1
		.amdhsa_user_sgpr_kernarg_preload_length 0
		.amdhsa_user_sgpr_kernarg_preload_offset 0
		.amdhsa_user_sgpr_private_segment_size 0
		.amdhsa_uses_dynamic_stack 0
		.amdhsa_system_sgpr_private_segment_wavefront_offset 1
		.amdhsa_system_sgpr_workgroup_id_x 1
		.amdhsa_system_sgpr_workgroup_id_y 0
		.amdhsa_system_sgpr_workgroup_id_z 0
		.amdhsa_system_sgpr_workgroup_info 0
		.amdhsa_system_vgpr_workitem_id 2
		.amdhsa_next_free_vgpr 122
		.amdhsa_next_free_sgpr 24
		.amdhsa_accum_offset 124
		.amdhsa_reserve_vcc 1
		.amdhsa_reserve_flat_scratch 1
		.amdhsa_float_round_mode_32 0
		.amdhsa_float_round_mode_16_64 0
		.amdhsa_float_denorm_mode_32 3
		.amdhsa_float_denorm_mode_16_64 3
		.amdhsa_dx10_clamp 1
		.amdhsa_ieee_mode 1
		.amdhsa_fp16_overflow 0
		.amdhsa_tg_split 0
		.amdhsa_exception_fp_ieee_invalid_op 0
		.amdhsa_exception_fp_denorm_src 0
		.amdhsa_exception_fp_ieee_div_zero 0
		.amdhsa_exception_fp_ieee_overflow 0
		.amdhsa_exception_fp_ieee_underflow 0
		.amdhsa_exception_fp_ieee_inexact 0
		.amdhsa_exception_int_div_zero 0
	.end_amdhsa_kernel
	.section	.text._ZN9rocsolver6v33100L18getri_kernel_smallILi11E19rocblas_complex_numIdEPKPS3_EEvT1_iilPiilS8_bb,"axG",@progbits,_ZN9rocsolver6v33100L18getri_kernel_smallILi11E19rocblas_complex_numIdEPKPS3_EEvT1_iilPiilS8_bb,comdat
.Lfunc_end74:
	.size	_ZN9rocsolver6v33100L18getri_kernel_smallILi11E19rocblas_complex_numIdEPKPS3_EEvT1_iilPiilS8_bb, .Lfunc_end74-_ZN9rocsolver6v33100L18getri_kernel_smallILi11E19rocblas_complex_numIdEPKPS3_EEvT1_iilPiilS8_bb
                                        ; -- End function
	.section	.AMDGPU.csdata,"",@progbits
; Kernel info:
; codeLenInByte = 14564
; NumSgprs: 30
; NumVgprs: 122
; NumAgprs: 0
; TotalNumVgprs: 122
; ScratchSize: 192
; MemoryBound: 0
; FloatMode: 240
; IeeeMode: 1
; LDSByteSize: 1384 bytes/workgroup (compile time only)
; SGPRBlocks: 3
; VGPRBlocks: 15
; NumSGPRsForWavesPerEU: 30
; NumVGPRsForWavesPerEU: 122
; AccumOffset: 124
; Occupancy: 4
; WaveLimiterHint : 1
; COMPUTE_PGM_RSRC2:SCRATCH_EN: 1
; COMPUTE_PGM_RSRC2:USER_SGPR: 10
; COMPUTE_PGM_RSRC2:TRAP_HANDLER: 0
; COMPUTE_PGM_RSRC2:TGID_X_EN: 1
; COMPUTE_PGM_RSRC2:TGID_Y_EN: 0
; COMPUTE_PGM_RSRC2:TGID_Z_EN: 0
; COMPUTE_PGM_RSRC2:TIDIG_COMP_CNT: 2
; COMPUTE_PGM_RSRC3_GFX90A:ACCUM_OFFSET: 30
; COMPUTE_PGM_RSRC3_GFX90A:TG_SPLIT: 0
	.section	.text._ZN9rocsolver6v33100L18getri_kernel_smallILi12E19rocblas_complex_numIdEPKPS3_EEvT1_iilPiilS8_bb,"axG",@progbits,_ZN9rocsolver6v33100L18getri_kernel_smallILi12E19rocblas_complex_numIdEPKPS3_EEvT1_iilPiilS8_bb,comdat
	.globl	_ZN9rocsolver6v33100L18getri_kernel_smallILi12E19rocblas_complex_numIdEPKPS3_EEvT1_iilPiilS8_bb ; -- Begin function _ZN9rocsolver6v33100L18getri_kernel_smallILi12E19rocblas_complex_numIdEPKPS3_EEvT1_iilPiilS8_bb
	.p2align	8
	.type	_ZN9rocsolver6v33100L18getri_kernel_smallILi12E19rocblas_complex_numIdEPKPS3_EEvT1_iilPiilS8_bb,@function
_ZN9rocsolver6v33100L18getri_kernel_smallILi12E19rocblas_complex_numIdEPKPS3_EEvT1_iilPiilS8_bb: ; @_ZN9rocsolver6v33100L18getri_kernel_smallILi12E19rocblas_complex_numIdEPKPS3_EEvT1_iilPiilS8_bb
; %bb.0:
	s_add_u32 flat_scratch_lo, s8, s11
	s_addc_u32 flat_scratch_hi, s9, 0
	s_add_u32 s0, s0, s11
	v_and_b32_e32 v78, 0x3ff, v0
	s_addc_u32 s1, s1, 0
	v_cmp_gt_u32_e32 vcc, 12, v78
	s_and_saveexec_b64 s[8:9], vcc
	s_cbranch_execz .LBB75_62
; %bb.1:
	s_load_dword s22, s[6:7], 0x38
	s_load_dwordx2 s[8:9], s[6:7], 0x0
	s_load_dwordx4 s[12:15], s[6:7], 0x28
	s_waitcnt lgkmcnt(0)
	s_bitcmp1_b32 s22, 8
	s_cselect_b64 s[18:19], -1, 0
	s_ashr_i32 s11, s10, 31
	s_lshl_b64 s[16:17], s[10:11], 3
	s_add_u32 s8, s8, s16
	s_addc_u32 s9, s9, s17
	s_load_dwordx2 s[20:21], s[8:9], 0x0
	s_bfe_u32 s8, s22, 0x10008
	s_cmp_eq_u32 s8, 0
                                        ; implicit-def: $sgpr16_sgpr17
	s_cbranch_scc1 .LBB75_3
; %bb.2:
	s_load_dword s8, s[6:7], 0x20
	s_load_dwordx2 s[16:17], s[6:7], 0x18
	s_mul_i32 s9, s10, s13
	s_mul_hi_u32 s13, s10, s12
	s_add_i32 s13, s13, s9
	s_mul_i32 s23, s11, s12
	s_add_i32 s13, s13, s23
	s_mul_i32 s12, s10, s12
	s_waitcnt lgkmcnt(0)
	s_ashr_i32 s9, s8, 31
	s_lshl_b64 s[12:13], s[12:13], 2
	s_add_u32 s12, s16, s12
	s_addc_u32 s13, s17, s13
	s_lshl_b64 s[8:9], s[8:9], 2
	s_add_u32 s16, s12, s8
	s_addc_u32 s17, s13, s9
.LBB75_3:
	s_load_dwordx2 s[8:9], s[6:7], 0x8
	v_lshlrev_b32_e32 v12, 4, v78
	s_waitcnt lgkmcnt(0)
	s_ashr_i32 s7, s8, 31
	s_mov_b32 s6, s8
	s_lshl_b64 s[6:7], s[6:7], 4
	s_add_u32 s6, s20, s6
	s_addc_u32 s7, s21, s7
	v_mov_b32_e32 v1, s7
	v_add_co_u32_e32 v22, vcc, s6, v12
	s_ashr_i32 s13, s9, 31
	s_mov_b32 s12, s9
	s_add_i32 s8, s9, s9
	v_addc_co_u32_e32 v23, vcc, 0, v1, vcc
	s_lshl_b64 s[12:13], s[12:13], 4
	v_add_u32_e32 v10, s8, v78
	v_mov_b32_e32 v1, s13
	v_add_co_u32_e32 v24, vcc, s12, v22
	v_ashrrev_i32_e32 v11, 31, v10
	v_addc_co_u32_e32 v25, vcc, v23, v1, vcc
	v_lshlrev_b64 v[6:7], 4, v[10:11]
	v_add_u32_e32 v10, s9, v10
	v_mov_b32_e32 v1, s7
	v_add_co_u32_e32 v26, vcc, s6, v6
	v_ashrrev_i32_e32 v11, 31, v10
	v_addc_co_u32_e32 v27, vcc, v1, v7, vcc
	v_lshlrev_b64 v[18:19], 4, v[10:11]
	v_add_u32_e32 v10, s9, v10
	v_add_co_u32_e32 v28, vcc, s6, v18
	v_ashrrev_i32_e32 v11, 31, v10
	v_addc_co_u32_e32 v29, vcc, v1, v19, vcc
	v_add_u32_e32 v18, s9, v10
	v_lshlrev_b64 v[10:11], 4, v[10:11]
	v_ashrrev_i32_e32 v19, 31, v18
	v_add_co_u32_e32 v30, vcc, s6, v10
	v_add_u32_e32 v34, s9, v18
	v_addc_co_u32_e32 v31, vcc, v1, v11, vcc
	v_lshlrev_b64 v[10:11], 4, v[18:19]
	v_mov_b32_e32 v13, s7
	v_ashrrev_i32_e32 v35, 31, v34
	v_add_co_u32_e32 v32, vcc, s6, v10
	v_addc_co_u32_e32 v33, vcc, v13, v11, vcc
	v_lshlrev_b64 v[10:11], 4, v[34:35]
	v_mov_b32_e32 v37, s7
	v_add_u32_e32 v36, s9, v34
	v_add_co_u32_e32 v34, vcc, s6, v10
	v_addc_co_u32_e32 v35, vcc, v37, v11, vcc
	v_ashrrev_i32_e32 v37, 31, v36
	v_add_u32_e32 v38, s9, v36
	v_lshlrev_b64 v[36:37], 4, v[36:37]
	v_add_u32_e32 v10, s9, v38
	v_add_co_u32_e32 v36, vcc, s6, v36
	v_ashrrev_i32_e32 v39, 31, v38
	v_add_u32_e32 v42, s9, v10
	v_addc_co_u32_e32 v37, vcc, v1, v37, vcc
	v_lshlrev_b64 v[38:39], 4, v[38:39]
	v_add_u32_e32 v40, s9, v42
	v_add_co_u32_e32 v38, vcc, s6, v38
	v_ashrrev_i32_e32 v11, 31, v10
	v_ashrrev_i32_e32 v41, 31, v40
	v_addc_co_u32_e32 v39, vcc, v1, v39, vcc
	v_lshlrev_b64 v[10:11], 4, v[10:11]
	v_lshlrev_b64 v[66:67], 4, v[40:41]
	v_add_co_u32_e32 v40, vcc, s6, v10
	v_ashrrev_i32_e32 v43, 31, v42
	v_addc_co_u32_e32 v41, vcc, v1, v11, vcc
	v_lshlrev_b64 v[10:11], 4, v[42:43]
	v_add_co_u32_e32 v44, vcc, s6, v10
	v_addc_co_u32_e32 v45, vcc, v1, v11, vcc
	global_load_dwordx4 v[2:5], v12, s[6:7]
	global_load_dwordx4 v[6:9], v[24:25], off
	global_load_dwordx4 v[14:17], v[26:27], off
	v_mov_b32_e32 v68, s7
	v_add_co_u32_e32 v42, vcc, s6, v66
	global_load_dwordx4 v[18:21], v[28:29], off
	global_load_dwordx4 v[46:49], v[30:31], off
	v_addc_co_u32_e32 v43, vcc, v68, v67, vcc
	global_load_dwordx4 v[50:53], v[32:33], off
	global_load_dwordx4 v[54:57], v[34:35], off
	;; [unrolled: 1-line block ×7, first 2 shown]
	s_waitcnt vmcnt(11)
	buffer_store_dword v5, off, s[0:3], 0 offset:12
	buffer_store_dword v4, off, s[0:3], 0 offset:8
	;; [unrolled: 1-line block ×3, first 2 shown]
	buffer_store_dword v2, off, s[0:3], 0
	s_waitcnt vmcnt(14)
	buffer_store_dword v9, off, s[0:3], 0 offset:28
	buffer_store_dword v8, off, s[0:3], 0 offset:24
	buffer_store_dword v7, off, s[0:3], 0 offset:20
	buffer_store_dword v6, off, s[0:3], 0 offset:16
	s_waitcnt vmcnt(17)
	buffer_store_dword v17, off, s[0:3], 0 offset:44
	buffer_store_dword v16, off, s[0:3], 0 offset:40
	buffer_store_dword v15, off, s[0:3], 0 offset:36
	buffer_store_dword v14, off, s[0:3], 0 offset:32
	s_waitcnt vmcnt(20)
	buffer_store_dword v21, off, s[0:3], 0 offset:60
	buffer_store_dword v20, off, s[0:3], 0 offset:56
	buffer_store_dword v19, off, s[0:3], 0 offset:52
	buffer_store_dword v18, off, s[0:3], 0 offset:48
	v_mov_b32_e32 v2, 0
	v_add_u32_e32 v75, 16, v2
	v_add_u32_e32 v77, 32, v2
	;; [unrolled: 1-line block ×11, first 2 shown]
	s_bitcmp0_b32 s22, 0
	s_mov_b64 s[8:9], -1
	s_waitcnt vmcnt(23)
	buffer_store_dword v49, off, s[0:3], 0 offset:76
	buffer_store_dword v48, off, s[0:3], 0 offset:72
	buffer_store_dword v47, off, s[0:3], 0 offset:68
	buffer_store_dword v46, off, s[0:3], 0 offset:64
	s_waitcnt vmcnt(26)
	buffer_store_dword v53, off, s[0:3], 0 offset:92
	buffer_store_dword v52, off, s[0:3], 0 offset:88
	buffer_store_dword v51, off, s[0:3], 0 offset:84
	buffer_store_dword v50, off, s[0:3], 0 offset:80
	;; [unrolled: 5-line block ×7, first 2 shown]
	buffer_store_dword v88, off, s[0:3], 0 offset:176
	buffer_store_dword v89, off, s[0:3], 0 offset:180
	buffer_store_dword v90, off, s[0:3], 0 offset:184
	buffer_store_dword v91, off, s[0:3], 0 offset:188
	s_cbranch_scc1 .LBB75_60
; %bb.4:
	v_cmp_eq_u32_e64 s[6:7], 0, v78
	s_and_saveexec_b64 s[8:9], s[6:7]
	s_cbranch_execz .LBB75_6
; %bb.5:
	v_mov_b32_e32 v2, 0
	ds_write_b32 v2, v2 offset:384
.LBB75_6:
	s_or_b64 exec, exec, s[8:9]
	v_mov_b32_e32 v2, 0
	v_lshl_add_u32 v13, v78, 4, v2
	s_waitcnt lgkmcnt(0)
	; wave barrier
	s_waitcnt lgkmcnt(0)
	buffer_load_dword v2, v13, s[0:3], 0 offen
	buffer_load_dword v3, v13, s[0:3], 0 offen offset:4
	buffer_load_dword v4, v13, s[0:3], 0 offen offset:8
	;; [unrolled: 1-line block ×3, first 2 shown]
	s_waitcnt vmcnt(2)
	v_cmp_eq_f64_e32 vcc, 0, v[2:3]
	s_waitcnt vmcnt(0)
	v_cmp_eq_f64_e64 s[8:9], 0, v[4:5]
	s_and_b64 s[8:9], vcc, s[8:9]
	s_and_saveexec_b64 s[12:13], s[8:9]
	s_cbranch_execz .LBB75_10
; %bb.7:
	v_mov_b32_e32 v2, 0
	ds_read_b32 v4, v2 offset:384
	v_add_u32_e32 v3, 1, v78
	s_waitcnt lgkmcnt(0)
	v_readfirstlane_b32 s8, v4
	s_cmp_eq_u32 s8, 0
	s_cselect_b64 s[20:21], -1, 0
	v_cmp_gt_i32_e32 vcc, s8, v3
	s_or_b64 s[20:21], s[20:21], vcc
	s_and_b64 exec, exec, s[20:21]
	s_cbranch_execz .LBB75_10
; %bb.8:
	s_mov_b64 s[20:21], 0
	v_mov_b32_e32 v4, s8
.LBB75_9:                               ; =>This Inner Loop Header: Depth=1
	ds_cmpst_rtn_b32 v4, v2, v4, v3 offset:384
	s_waitcnt lgkmcnt(0)
	v_cmp_ne_u32_e32 vcc, 0, v4
	v_cmp_le_i32_e64 s[8:9], v4, v3
	s_and_b64 s[8:9], vcc, s[8:9]
	s_and_b64 s[8:9], exec, s[8:9]
	s_or_b64 s[20:21], s[8:9], s[20:21]
	s_andn2_b64 exec, exec, s[20:21]
	s_cbranch_execnz .LBB75_9
.LBB75_10:
	s_or_b64 exec, exec, s[12:13]
	v_mov_b32_e32 v3, 0
	s_waitcnt lgkmcnt(0)
	; wave barrier
	ds_read_b32 v2, v3 offset:384
	s_and_saveexec_b64 s[8:9], s[6:7]
	s_cbranch_execz .LBB75_12
; %bb.11:
	s_lshl_b64 s[12:13], s[10:11], 2
	s_add_u32 s12, s14, s12
	s_addc_u32 s13, s15, s13
	s_waitcnt lgkmcnt(0)
	global_store_dword v3, v2, s[12:13]
.LBB75_12:
	s_or_b64 exec, exec, s[8:9]
	s_waitcnt lgkmcnt(0)
	v_cmp_ne_u32_e32 vcc, 0, v2
	s_mov_b64 s[8:9], 0
	s_cbranch_vccnz .LBB75_60
; %bb.13:
	buffer_load_dword v7, v13, s[0:3], 0 offen offset:4
	buffer_load_dword v6, v13, s[0:3], 0 offen
	buffer_load_dword v9, v13, s[0:3], 0 offen offset:12
	buffer_load_dword v8, v13, s[0:3], 0 offen offset:8
                                        ; implicit-def: $vgpr10_vgpr11
	s_waitcnt vmcnt(3)
	v_xor_b32_e32 v3, 0x80000000, v7
	s_waitcnt vmcnt(2)
	v_cmp_gt_f64_e32 vcc, 0, v[6:7]
	s_waitcnt vmcnt(1)
	v_xor_b32_e32 v4, 0x80000000, v9
	v_cndmask_b32_e32 v3, v7, v3, vcc
	s_waitcnt vmcnt(0)
	v_cmp_gt_f64_e32 vcc, 0, v[8:9]
	v_mov_b32_e32 v2, v6
	v_cndmask_b32_e32 v5, v9, v4, vcc
	v_mov_b32_e32 v4, v8
	v_cmp_ngt_f64_e32 vcc, v[2:3], v[4:5]
                                        ; implicit-def: $vgpr4_vgpr5
	s_and_saveexec_b64 s[8:9], vcc
	s_xor_b64 s[8:9], exec, s[8:9]
	s_cbranch_execz .LBB75_15
; %bb.14:
	v_div_scale_f64 v[2:3], s[12:13], v[8:9], v[8:9], v[6:7]
	v_rcp_f64_e32 v[4:5], v[2:3]
	v_div_scale_f64 v[10:11], vcc, v[6:7], v[8:9], v[6:7]
	v_fma_f64 v[14:15], -v[2:3], v[4:5], 1.0
	v_fmac_f64_e32 v[4:5], v[4:5], v[14:15]
	v_fma_f64 v[14:15], -v[2:3], v[4:5], 1.0
	v_fmac_f64_e32 v[4:5], v[4:5], v[14:15]
	v_mul_f64 v[14:15], v[10:11], v[4:5]
	v_fma_f64 v[2:3], -v[2:3], v[14:15], v[10:11]
	v_div_fmas_f64 v[2:3], v[2:3], v[4:5], v[14:15]
	v_div_fixup_f64 v[2:3], v[2:3], v[8:9], v[6:7]
	v_fmac_f64_e32 v[8:9], v[6:7], v[2:3]
	v_div_scale_f64 v[4:5], s[12:13], v[8:9], v[8:9], 1.0
	v_rcp_f64_e32 v[6:7], v[4:5]
	v_fma_f64 v[10:11], -v[4:5], v[6:7], 1.0
	v_fmac_f64_e32 v[6:7], v[6:7], v[10:11]
	v_fma_f64 v[10:11], -v[4:5], v[6:7], 1.0
	v_fmac_f64_e32 v[6:7], v[6:7], v[10:11]
	v_div_scale_f64 v[10:11], vcc, 1.0, v[8:9], 1.0
	v_mul_f64 v[14:15], v[10:11], v[6:7]
	v_fma_f64 v[4:5], -v[4:5], v[14:15], v[10:11]
	s_nop 1
	v_div_fmas_f64 v[4:5], v[4:5], v[6:7], v[14:15]
	v_div_fixup_f64 v[4:5], v[4:5], v[8:9], 1.0
	v_mul_f64 v[10:11], v[2:3], v[4:5]
	v_xor_b32_e32 v5, 0x80000000, v5
	v_xor_b32_e32 v3, 0x80000000, v11
	v_mov_b32_e32 v2, v10
                                        ; implicit-def: $vgpr6_vgpr7
                                        ; implicit-def: $vgpr8_vgpr9
.LBB75_15:
	s_andn2_saveexec_b64 s[8:9], s[8:9]
	s_cbranch_execz .LBB75_17
; %bb.16:
	v_div_scale_f64 v[2:3], s[12:13], v[6:7], v[6:7], v[8:9]
	v_rcp_f64_e32 v[4:5], v[2:3]
	v_div_scale_f64 v[10:11], vcc, v[8:9], v[6:7], v[8:9]
	v_fma_f64 v[14:15], -v[2:3], v[4:5], 1.0
	v_fmac_f64_e32 v[4:5], v[4:5], v[14:15]
	v_fma_f64 v[14:15], -v[2:3], v[4:5], 1.0
	v_fmac_f64_e32 v[4:5], v[4:5], v[14:15]
	v_mul_f64 v[14:15], v[10:11], v[4:5]
	v_fma_f64 v[2:3], -v[2:3], v[14:15], v[10:11]
	v_div_fmas_f64 v[2:3], v[2:3], v[4:5], v[14:15]
	v_div_fixup_f64 v[4:5], v[2:3], v[6:7], v[8:9]
	v_fmac_f64_e32 v[6:7], v[8:9], v[4:5]
	v_div_scale_f64 v[2:3], s[12:13], v[6:7], v[6:7], 1.0
	v_rcp_f64_e32 v[8:9], v[2:3]
	v_fma_f64 v[10:11], -v[2:3], v[8:9], 1.0
	v_fmac_f64_e32 v[8:9], v[8:9], v[10:11]
	v_fma_f64 v[10:11], -v[2:3], v[8:9], 1.0
	v_fmac_f64_e32 v[8:9], v[8:9], v[10:11]
	v_div_scale_f64 v[10:11], vcc, 1.0, v[6:7], 1.0
	v_mul_f64 v[14:15], v[10:11], v[8:9]
	v_fma_f64 v[2:3], -v[2:3], v[14:15], v[10:11]
	s_nop 1
	v_div_fmas_f64 v[2:3], v[2:3], v[8:9], v[14:15]
	v_div_fixup_f64 v[10:11], v[2:3], v[6:7], 1.0
	v_xor_b32_e32 v3, 0x80000000, v11
	v_mov_b32_e32 v2, v10
	v_mul_f64 v[4:5], v[4:5], -v[10:11]
.LBB75_17:
	s_or_b64 exec, exec, s[8:9]
	buffer_store_dword v11, v13, s[0:3], 0 offen offset:4
	buffer_store_dword v10, v13, s[0:3], 0 offen
	buffer_store_dword v5, v13, s[0:3], 0 offen offset:12
	buffer_store_dword v4, v13, s[0:3], 0 offen offset:8
	buffer_load_dword v11, v75, s[0:3], 0 offen offset:12
	s_nop 0
	buffer_load_dword v10, v75, s[0:3], 0 offen offset:8
	buffer_load_dword v9, v75, s[0:3], 0 offen offset:4
	buffer_load_dword v8, v75, s[0:3], 0 offen
	v_xor_b32_e32 v5, 0x80000000, v5
	v_add_u32_e32 v6, 0xc0, v12
	ds_write_b128 v12, v[2:5]
	s_waitcnt vmcnt(0)
	ds_write_b128 v12, v[8:11] offset:192
	s_waitcnt lgkmcnt(0)
	; wave barrier
	s_waitcnt lgkmcnt(0)
	s_and_saveexec_b64 s[8:9], s[6:7]
	s_cbranch_execz .LBB75_19
; %bb.18:
	buffer_load_dword v14, v13, s[0:3], 0 offen offset:8
	buffer_load_dword v15, v13, s[0:3], 0 offen offset:12
	buffer_load_dword v16, v13, s[0:3], 0 offen
	buffer_load_dword v17, v13, s[0:3], 0 offen offset:4
	ds_read_b128 v[2:5], v6
	v_mov_b32_e32 v7, 0
	ds_read_b128 v[8:11], v7 offset:16
	s_waitcnt vmcnt(2) lgkmcnt(1)
	v_mul_f64 v[18:19], v[4:5], v[14:15]
	v_mul_f64 v[14:15], v[2:3], v[14:15]
	s_waitcnt vmcnt(0)
	v_fmac_f64_e32 v[14:15], v[4:5], v[16:17]
	v_fma_f64 v[2:3], v[2:3], v[16:17], -v[18:19]
	v_add_f64 v[4:5], v[14:15], 0
	v_add_f64 v[2:3], v[2:3], 0
	s_waitcnt lgkmcnt(0)
	v_mul_f64 v[14:15], v[4:5], v[10:11]
	v_mul_f64 v[10:11], v[2:3], v[10:11]
	v_fma_f64 v[2:3], v[2:3], v[8:9], -v[14:15]
	v_fmac_f64_e32 v[10:11], v[4:5], v[8:9]
	buffer_store_dword v2, off, s[0:3], 0 offset:16
	buffer_store_dword v3, off, s[0:3], 0 offset:20
	;; [unrolled: 1-line block ×4, first 2 shown]
.LBB75_19:
	s_or_b64 exec, exec, s[8:9]
	s_waitcnt lgkmcnt(0)
	; wave barrier
	buffer_load_dword v2, v77, s[0:3], 0 offen
	buffer_load_dword v3, v77, s[0:3], 0 offen offset:4
	buffer_load_dword v4, v77, s[0:3], 0 offen offset:8
	;; [unrolled: 1-line block ×3, first 2 shown]
	v_cmp_gt_u32_e32 vcc, 2, v78
	s_waitcnt vmcnt(0)
	ds_write_b128 v6, v[2:5]
	s_waitcnt lgkmcnt(0)
	; wave barrier
	s_waitcnt lgkmcnt(0)
	s_and_saveexec_b64 s[8:9], vcc
	s_cbranch_execz .LBB75_23
; %bb.20:
	buffer_load_dword v8, v13, s[0:3], 0 offen offset:8
	buffer_load_dword v9, v13, s[0:3], 0 offen offset:12
	buffer_load_dword v10, v13, s[0:3], 0 offen
	buffer_load_dword v11, v13, s[0:3], 0 offen offset:4
	ds_read_b128 v[2:5], v6
	s_waitcnt vmcnt(2) lgkmcnt(0)
	v_mul_f64 v[14:15], v[4:5], v[8:9]
	v_mul_f64 v[8:9], v[2:3], v[8:9]
	s_waitcnt vmcnt(0)
	v_fma_f64 v[2:3], v[2:3], v[10:11], -v[14:15]
	v_fmac_f64_e32 v[8:9], v[4:5], v[10:11]
	v_add_f64 v[4:5], v[2:3], 0
	v_add_f64 v[2:3], v[8:9], 0
	s_and_saveexec_b64 s[12:13], s[6:7]
	s_cbranch_execz .LBB75_22
; %bb.21:
	buffer_load_dword v14, off, s[0:3], 0 offset:24
	buffer_load_dword v15, off, s[0:3], 0 offset:28
	;; [unrolled: 1-line block ×4, first 2 shown]
	v_mov_b32_e32 v7, 0
	ds_read_b128 v[8:11], v7 offset:208
	s_waitcnt vmcnt(2) lgkmcnt(0)
	v_mul_f64 v[18:19], v[8:9], v[14:15]
	v_mul_f64 v[14:15], v[10:11], v[14:15]
	s_waitcnt vmcnt(0)
	v_fmac_f64_e32 v[18:19], v[10:11], v[16:17]
	v_fma_f64 v[8:9], v[8:9], v[16:17], -v[14:15]
	v_add_f64 v[2:3], v[2:3], v[18:19]
	v_add_f64 v[4:5], v[4:5], v[8:9]
.LBB75_22:
	s_or_b64 exec, exec, s[12:13]
	v_mov_b32_e32 v7, 0
	ds_read_b128 v[8:11], v7 offset:32
	s_waitcnt lgkmcnt(0)
	v_mul_f64 v[14:15], v[2:3], v[10:11]
	v_mul_f64 v[10:11], v[4:5], v[10:11]
	v_fma_f64 v[4:5], v[4:5], v[8:9], -v[14:15]
	v_fmac_f64_e32 v[10:11], v[2:3], v[8:9]
	buffer_store_dword v5, off, s[0:3], 0 offset:36
	buffer_store_dword v4, off, s[0:3], 0 offset:32
	buffer_store_dword v11, off, s[0:3], 0 offset:44
	buffer_store_dword v10, off, s[0:3], 0 offset:40
.LBB75_23:
	s_or_b64 exec, exec, s[8:9]
	s_waitcnt lgkmcnt(0)
	; wave barrier
	buffer_load_dword v2, v76, s[0:3], 0 offen
	buffer_load_dword v3, v76, s[0:3], 0 offen offset:4
	buffer_load_dword v4, v76, s[0:3], 0 offen offset:8
	;; [unrolled: 1-line block ×3, first 2 shown]
	v_cmp_gt_u32_e32 vcc, 3, v78
	v_add_u32_e32 v7, -1, v78
	s_waitcnt vmcnt(0)
	ds_write_b128 v6, v[2:5]
	s_waitcnt lgkmcnt(0)
	; wave barrier
	s_waitcnt lgkmcnt(0)
	s_and_saveexec_b64 s[6:7], vcc
	s_cbranch_execz .LBB75_27
; %bb.24:
	v_pk_mov_b32 v[2:3], 0, 0
	v_add_u32_e32 v8, -1, v78
	v_add_u32_e32 v9, 0xc0, v12
	v_add_u32_e32 v10, 0, v12
	s_mov_b64 s[8:9], 0
	v_pk_mov_b32 v[4:5], v[2:3], v[2:3] op_sel:[0,1]
.LBB75_25:                              ; =>This Inner Loop Header: Depth=1
	buffer_load_dword v18, v10, s[0:3], 0 offen offset:8
	buffer_load_dword v19, v10, s[0:3], 0 offen offset:12
	buffer_load_dword v20, v10, s[0:3], 0 offen
	buffer_load_dword v21, v10, s[0:3], 0 offen offset:4
	ds_read_b128 v[14:17], v9
	v_add_u32_e32 v8, 1, v8
	v_cmp_lt_u32_e32 vcc, 1, v8
	v_add_u32_e32 v9, 16, v9
	v_add_u32_e32 v10, 16, v10
	s_or_b64 s[8:9], vcc, s[8:9]
	s_waitcnt vmcnt(2) lgkmcnt(0)
	v_mul_f64 v[46:47], v[16:17], v[18:19]
	v_mul_f64 v[18:19], v[14:15], v[18:19]
	s_waitcnt vmcnt(0)
	v_fma_f64 v[14:15], v[14:15], v[20:21], -v[46:47]
	v_fmac_f64_e32 v[18:19], v[16:17], v[20:21]
	v_add_f64 v[4:5], v[4:5], v[14:15]
	v_add_f64 v[2:3], v[2:3], v[18:19]
	s_andn2_b64 exec, exec, s[8:9]
	s_cbranch_execnz .LBB75_25
; %bb.26:
	s_or_b64 exec, exec, s[8:9]
	v_mov_b32_e32 v8, 0
	ds_read_b128 v[8:11], v8 offset:48
	s_waitcnt lgkmcnt(0)
	v_mul_f64 v[14:15], v[2:3], v[10:11]
	v_mul_f64 v[10:11], v[4:5], v[10:11]
	v_fma_f64 v[4:5], v[4:5], v[8:9], -v[14:15]
	v_fmac_f64_e32 v[10:11], v[2:3], v[8:9]
	buffer_store_dword v5, off, s[0:3], 0 offset:52
	buffer_store_dword v4, off, s[0:3], 0 offset:48
	buffer_store_dword v11, off, s[0:3], 0 offset:60
	buffer_store_dword v10, off, s[0:3], 0 offset:56
.LBB75_27:
	s_or_b64 exec, exec, s[6:7]
	s_waitcnt lgkmcnt(0)
	; wave barrier
	buffer_load_dword v2, v73, s[0:3], 0 offen
	buffer_load_dword v3, v73, s[0:3], 0 offen offset:4
	buffer_load_dword v4, v73, s[0:3], 0 offen offset:8
	buffer_load_dword v5, v73, s[0:3], 0 offen offset:12
	v_cmp_gt_u32_e32 vcc, 4, v78
	s_waitcnt vmcnt(0)
	ds_write_b128 v6, v[2:5]
	s_waitcnt lgkmcnt(0)
	; wave barrier
	s_waitcnt lgkmcnt(0)
	s_and_saveexec_b64 s[6:7], vcc
	s_cbranch_execz .LBB75_31
; %bb.28:
	v_pk_mov_b32 v[2:3], 0, 0
	v_add_u32_e32 v8, -1, v78
	v_add_u32_e32 v9, 0xc0, v12
	v_add_u32_e32 v10, 0, v12
	s_mov_b64 s[8:9], 0
	v_pk_mov_b32 v[4:5], v[2:3], v[2:3] op_sel:[0,1]
.LBB75_29:                              ; =>This Inner Loop Header: Depth=1
	buffer_load_dword v18, v10, s[0:3], 0 offen offset:8
	buffer_load_dword v19, v10, s[0:3], 0 offen offset:12
	buffer_load_dword v20, v10, s[0:3], 0 offen
	buffer_load_dword v21, v10, s[0:3], 0 offen offset:4
	ds_read_b128 v[14:17], v9
	v_add_u32_e32 v8, 1, v8
	v_cmp_lt_u32_e32 vcc, 2, v8
	v_add_u32_e32 v9, 16, v9
	v_add_u32_e32 v10, 16, v10
	s_or_b64 s[8:9], vcc, s[8:9]
	s_waitcnt vmcnt(2) lgkmcnt(0)
	v_mul_f64 v[46:47], v[16:17], v[18:19]
	v_mul_f64 v[18:19], v[14:15], v[18:19]
	s_waitcnt vmcnt(0)
	v_fma_f64 v[14:15], v[14:15], v[20:21], -v[46:47]
	v_fmac_f64_e32 v[18:19], v[16:17], v[20:21]
	v_add_f64 v[4:5], v[4:5], v[14:15]
	v_add_f64 v[2:3], v[2:3], v[18:19]
	s_andn2_b64 exec, exec, s[8:9]
	s_cbranch_execnz .LBB75_29
; %bb.30:
	s_or_b64 exec, exec, s[8:9]
	v_mov_b32_e32 v8, 0
	ds_read_b128 v[8:11], v8 offset:64
	s_waitcnt lgkmcnt(0)
	v_mul_f64 v[14:15], v[2:3], v[10:11]
	v_mul_f64 v[10:11], v[4:5], v[10:11]
	v_fma_f64 v[4:5], v[4:5], v[8:9], -v[14:15]
	v_fmac_f64_e32 v[10:11], v[2:3], v[8:9]
	buffer_store_dword v5, off, s[0:3], 0 offset:68
	buffer_store_dword v4, off, s[0:3], 0 offset:64
	buffer_store_dword v11, off, s[0:3], 0 offset:76
	buffer_store_dword v10, off, s[0:3], 0 offset:72
.LBB75_31:
	s_or_b64 exec, exec, s[6:7]
	s_waitcnt lgkmcnt(0)
	; wave barrier
	buffer_load_dword v2, v72, s[0:3], 0 offen
	buffer_load_dword v3, v72, s[0:3], 0 offen offset:4
	buffer_load_dword v4, v72, s[0:3], 0 offen offset:8
	buffer_load_dword v5, v72, s[0:3], 0 offen offset:12
	v_cmp_gt_u32_e32 vcc, 5, v78
	;; [unrolled: 57-line block ×7, first 2 shown]
	s_waitcnt vmcnt(0)
	ds_write_b128 v6, v[2:5]
	s_waitcnt lgkmcnt(0)
	; wave barrier
	s_waitcnt lgkmcnt(0)
	s_and_saveexec_b64 s[6:7], vcc
	s_cbranch_execz .LBB75_55
; %bb.52:
	v_pk_mov_b32 v[2:3], 0, 0
	v_add_u32_e32 v8, -1, v78
	v_add_u32_e32 v9, 0xc0, v12
	v_add_u32_e32 v10, 0, v12
	s_mov_b64 s[8:9], 0
	v_pk_mov_b32 v[4:5], v[2:3], v[2:3] op_sel:[0,1]
.LBB75_53:                              ; =>This Inner Loop Header: Depth=1
	buffer_load_dword v18, v10, s[0:3], 0 offen offset:8
	buffer_load_dword v19, v10, s[0:3], 0 offen offset:12
	buffer_load_dword v20, v10, s[0:3], 0 offen
	buffer_load_dword v21, v10, s[0:3], 0 offen offset:4
	ds_read_b128 v[14:17], v9
	v_add_u32_e32 v8, 1, v8
	v_cmp_lt_u32_e32 vcc, 8, v8
	v_add_u32_e32 v9, 16, v9
	v_add_u32_e32 v10, 16, v10
	s_or_b64 s[8:9], vcc, s[8:9]
	s_waitcnt vmcnt(2) lgkmcnt(0)
	v_mul_f64 v[46:47], v[16:17], v[18:19]
	v_mul_f64 v[18:19], v[14:15], v[18:19]
	s_waitcnt vmcnt(0)
	v_fma_f64 v[14:15], v[14:15], v[20:21], -v[46:47]
	v_fmac_f64_e32 v[18:19], v[16:17], v[20:21]
	v_add_f64 v[4:5], v[4:5], v[14:15]
	v_add_f64 v[2:3], v[2:3], v[18:19]
	s_andn2_b64 exec, exec, s[8:9]
	s_cbranch_execnz .LBB75_53
; %bb.54:
	s_or_b64 exec, exec, s[8:9]
	v_mov_b32_e32 v8, 0
	ds_read_b128 v[8:11], v8 offset:160
	s_waitcnt lgkmcnt(0)
	v_mul_f64 v[14:15], v[2:3], v[10:11]
	v_mul_f64 v[10:11], v[4:5], v[10:11]
	v_fma_f64 v[4:5], v[4:5], v[8:9], -v[14:15]
	v_fmac_f64_e32 v[10:11], v[2:3], v[8:9]
	buffer_store_dword v5, off, s[0:3], 0 offset:164
	buffer_store_dword v4, off, s[0:3], 0 offset:160
	;; [unrolled: 1-line block ×4, first 2 shown]
.LBB75_55:
	s_or_b64 exec, exec, s[6:7]
	s_waitcnt lgkmcnt(0)
	; wave barrier
	buffer_load_dword v2, v71, s[0:3], 0 offen
	buffer_load_dword v3, v71, s[0:3], 0 offen offset:4
	buffer_load_dword v4, v71, s[0:3], 0 offen offset:8
	;; [unrolled: 1-line block ×3, first 2 shown]
	v_cmp_ne_u32_e32 vcc, 11, v78
	s_waitcnt vmcnt(0)
	ds_write_b128 v6, v[2:5]
	s_waitcnt lgkmcnt(0)
	; wave barrier
	s_waitcnt lgkmcnt(0)
	s_and_saveexec_b64 s[6:7], vcc
	s_cbranch_execz .LBB75_59
; %bb.56:
	v_pk_mov_b32 v[2:3], 0, 0
	v_add_u32_e32 v6, 0xc0, v12
	v_add_u32_e32 v8, 0, v12
	s_mov_b64 s[8:9], 0
	v_pk_mov_b32 v[4:5], v[2:3], v[2:3] op_sel:[0,1]
.LBB75_57:                              ; =>This Inner Loop Header: Depth=1
	buffer_load_dword v14, v8, s[0:3], 0 offen offset:8
	buffer_load_dword v15, v8, s[0:3], 0 offen offset:12
	buffer_load_dword v16, v8, s[0:3], 0 offen
	buffer_load_dword v17, v8, s[0:3], 0 offen offset:4
	ds_read_b128 v[10:13], v6
	v_add_u32_e32 v7, 1, v7
	v_cmp_lt_u32_e32 vcc, 9, v7
	v_add_u32_e32 v6, 16, v6
	v_add_u32_e32 v8, 16, v8
	s_or_b64 s[8:9], vcc, s[8:9]
	s_waitcnt vmcnt(2) lgkmcnt(0)
	v_mul_f64 v[18:19], v[12:13], v[14:15]
	v_mul_f64 v[14:15], v[10:11], v[14:15]
	s_waitcnt vmcnt(0)
	v_fma_f64 v[10:11], v[10:11], v[16:17], -v[18:19]
	v_fmac_f64_e32 v[14:15], v[12:13], v[16:17]
	v_add_f64 v[4:5], v[4:5], v[10:11]
	v_add_f64 v[2:3], v[2:3], v[14:15]
	s_andn2_b64 exec, exec, s[8:9]
	s_cbranch_execnz .LBB75_57
; %bb.58:
	s_or_b64 exec, exec, s[8:9]
	v_mov_b32_e32 v6, 0
	ds_read_b128 v[6:9], v6 offset:176
	s_waitcnt lgkmcnt(0)
	v_mul_f64 v[10:11], v[2:3], v[8:9]
	v_mul_f64 v[8:9], v[4:5], v[8:9]
	v_fma_f64 v[4:5], v[4:5], v[6:7], -v[10:11]
	v_fmac_f64_e32 v[8:9], v[2:3], v[6:7]
	buffer_store_dword v5, off, s[0:3], 0 offset:180
	buffer_store_dword v4, off, s[0:3], 0 offset:176
	buffer_store_dword v9, off, s[0:3], 0 offset:188
	buffer_store_dword v8, off, s[0:3], 0 offset:184
.LBB75_59:
	s_or_b64 exec, exec, s[6:7]
	s_mov_b64 s[8:9], -1
	s_waitcnt lgkmcnt(0)
	; wave barrier
.LBB75_60:
	s_and_b64 vcc, exec, s[8:9]
	s_cbranch_vccz .LBB75_62
; %bb.61:
	s_lshl_b64 s[6:7], s[10:11], 2
	s_add_u32 s6, s14, s6
	s_addc_u32 s7, s15, s7
	v_mov_b32_e32 v2, 0
	global_load_dword v2, v2, s[6:7]
	s_waitcnt vmcnt(0)
	v_cmp_ne_u32_e32 vcc, 0, v2
	s_cbranch_vccz .LBB75_63
.LBB75_62:
	s_endpgm
.LBB75_63:
	v_mov_b32_e32 v2, 0xc0
	v_lshl_add_u32 v79, v78, 4, v2
	v_cmp_eq_u32_e32 vcc, 11, v78
	s_and_saveexec_b64 s[6:7], vcc
	s_cbranch_execz .LBB75_65
; %bb.64:
	buffer_load_dword v2, v70, s[0:3], 0 offen
	buffer_load_dword v3, v70, s[0:3], 0 offen offset:4
	buffer_load_dword v4, v70, s[0:3], 0 offen offset:8
	;; [unrolled: 1-line block ×3, first 2 shown]
	v_mov_b32_e32 v6, 0
	buffer_store_dword v6, off, s[0:3], 0 offset:160
	buffer_store_dword v6, off, s[0:3], 0 offset:164
	;; [unrolled: 1-line block ×4, first 2 shown]
	s_waitcnt vmcnt(4)
	ds_write_b128 v79, v[2:5]
.LBB75_65:
	s_or_b64 exec, exec, s[6:7]
	s_waitcnt lgkmcnt(0)
	; wave barrier
	s_waitcnt lgkmcnt(0)
	buffer_load_dword v8, off, s[0:3], 0 offset:184
	buffer_load_dword v9, off, s[0:3], 0 offset:188
	;; [unrolled: 1-line block ×8, first 2 shown]
	v_mov_b32_e32 v2, 0
	ds_read_b128 v[4:7], v2 offset:368
	v_cmp_lt_u32_e32 vcc, 9, v78
	s_waitcnt vmcnt(6) lgkmcnt(0)
	v_mul_f64 v[16:17], v[4:5], v[8:9]
	v_mul_f64 v[8:9], v[6:7], v[8:9]
	s_waitcnt vmcnt(4)
	v_fma_f64 v[4:5], v[4:5], v[10:11], -v[8:9]
	v_fmac_f64_e32 v[16:17], v[6:7], v[10:11]
	v_add_f64 v[4:5], v[4:5], 0
	v_add_f64 v[6:7], v[16:17], 0
	s_waitcnt vmcnt(2)
	v_add_f64 v[4:5], v[12:13], -v[4:5]
	s_waitcnt vmcnt(0)
	v_add_f64 v[6:7], v[14:15], -v[6:7]
	buffer_store_dword v4, off, s[0:3], 0 offset:160
	buffer_store_dword v5, off, s[0:3], 0 offset:164
	;; [unrolled: 1-line block ×4, first 2 shown]
	s_and_saveexec_b64 s[6:7], vcc
	s_cbranch_execz .LBB75_67
; %bb.66:
	buffer_load_dword v4, v69, s[0:3], 0 offen
	buffer_load_dword v5, v69, s[0:3], 0 offen offset:4
	buffer_load_dword v6, v69, s[0:3], 0 offen offset:8
	;; [unrolled: 1-line block ×3, first 2 shown]
	s_nop 0
	buffer_store_dword v2, off, s[0:3], 0 offset:144
	buffer_store_dword v2, off, s[0:3], 0 offset:148
	;; [unrolled: 1-line block ×4, first 2 shown]
	s_waitcnt vmcnt(4)
	ds_write_b128 v79, v[4:7]
.LBB75_67:
	s_or_b64 exec, exec, s[6:7]
	s_waitcnt lgkmcnt(0)
	; wave barrier
	s_waitcnt lgkmcnt(0)
	buffer_load_dword v12, off, s[0:3], 0 offset:168
	buffer_load_dword v13, off, s[0:3], 0 offset:172
	;; [unrolled: 1-line block ×12, first 2 shown]
	ds_read_b128 v[4:7], v2 offset:352
	ds_read_b128 v[8:11], v2 offset:368
	v_cmp_lt_u32_e32 vcc, 8, v78
	s_waitcnt vmcnt(10) lgkmcnt(1)
	v_mul_f64 v[2:3], v[4:5], v[12:13]
	v_mul_f64 v[12:13], v[6:7], v[12:13]
	s_waitcnt vmcnt(8) lgkmcnt(0)
	v_mul_f64 v[48:49], v[8:9], v[14:15]
	v_mul_f64 v[14:15], v[10:11], v[14:15]
	s_waitcnt vmcnt(6)
	v_fma_f64 v[4:5], v[4:5], v[16:17], -v[12:13]
	v_fmac_f64_e32 v[2:3], v[6:7], v[16:17]
	s_waitcnt vmcnt(4)
	v_fma_f64 v[6:7], v[8:9], v[18:19], -v[14:15]
	v_add_f64 v[4:5], v[4:5], 0
	v_fmac_f64_e32 v[48:49], v[10:11], v[18:19]
	v_add_f64 v[2:3], v[2:3], 0
	v_add_f64 v[4:5], v[4:5], v[6:7]
	;; [unrolled: 1-line block ×3, first 2 shown]
	s_waitcnt vmcnt(2)
	v_add_f64 v[4:5], v[20:21], -v[4:5]
	s_waitcnt vmcnt(0)
	v_add_f64 v[2:3], v[46:47], -v[2:3]
	buffer_store_dword v4, off, s[0:3], 0 offset:144
	buffer_store_dword v5, off, s[0:3], 0 offset:148
	;; [unrolled: 1-line block ×4, first 2 shown]
	s_and_saveexec_b64 s[6:7], vcc
	s_cbranch_execz .LBB75_69
; %bb.68:
	buffer_load_dword v2, v68, s[0:3], 0 offen
	buffer_load_dword v3, v68, s[0:3], 0 offen offset:4
	buffer_load_dword v4, v68, s[0:3], 0 offen offset:8
	;; [unrolled: 1-line block ×3, first 2 shown]
	v_mov_b32_e32 v6, 0
	buffer_store_dword v6, off, s[0:3], 0 offset:128
	buffer_store_dword v6, off, s[0:3], 0 offset:132
	;; [unrolled: 1-line block ×4, first 2 shown]
	s_waitcnt vmcnt(4)
	ds_write_b128 v79, v[2:5]
.LBB75_69:
	s_or_b64 exec, exec, s[6:7]
	s_waitcnt lgkmcnt(0)
	; wave barrier
	s_waitcnt lgkmcnt(0)
	buffer_load_dword v16, off, s[0:3], 0 offset:152
	buffer_load_dword v17, off, s[0:3], 0 offset:156
	buffer_load_dword v18, off, s[0:3], 0 offset:168
	buffer_load_dword v19, off, s[0:3], 0 offset:172
	buffer_load_dword v20, off, s[0:3], 0 offset:184
	buffer_load_dword v21, off, s[0:3], 0 offset:188
	buffer_load_dword v46, off, s[0:3], 0 offset:144
	buffer_load_dword v47, off, s[0:3], 0 offset:148
	buffer_load_dword v48, off, s[0:3], 0 offset:160
	buffer_load_dword v49, off, s[0:3], 0 offset:164
	buffer_load_dword v50, off, s[0:3], 0 offset:176
	buffer_load_dword v51, off, s[0:3], 0 offset:180
	buffer_load_dword v52, off, s[0:3], 0 offset:128
	buffer_load_dword v53, off, s[0:3], 0 offset:132
	buffer_load_dword v54, off, s[0:3], 0 offset:136
	buffer_load_dword v55, off, s[0:3], 0 offset:140
	v_mov_b32_e32 v2, 0
	ds_read_b128 v[4:7], v2 offset:336
	ds_read_b128 v[8:11], v2 offset:352
	ds_read_b128 v[12:15], v2 offset:368
	v_cmp_lt_u32_e32 vcc, 7, v78
	s_waitcnt vmcnt(14) lgkmcnt(2)
	v_mul_f64 v[56:57], v[4:5], v[16:17]
	v_mul_f64 v[16:17], v[6:7], v[16:17]
	s_waitcnt vmcnt(12) lgkmcnt(1)
	v_mul_f64 v[58:59], v[8:9], v[18:19]
	v_mul_f64 v[18:19], v[10:11], v[18:19]
	;; [unrolled: 3-line block ×3, first 2 shown]
	s_waitcnt vmcnt(8)
	v_fma_f64 v[4:5], v[4:5], v[46:47], -v[16:17]
	v_fmac_f64_e32 v[56:57], v[6:7], v[46:47]
	s_waitcnt vmcnt(6)
	v_fma_f64 v[6:7], v[8:9], v[48:49], -v[18:19]
	v_add_f64 v[4:5], v[4:5], 0
	v_fmac_f64_e32 v[58:59], v[10:11], v[48:49]
	s_waitcnt vmcnt(4)
	v_fma_f64 v[8:9], v[12:13], v[50:51], -v[20:21]
	v_add_f64 v[10:11], v[56:57], 0
	v_add_f64 v[4:5], v[4:5], v[6:7]
	v_fmac_f64_e32 v[60:61], v[14:15], v[50:51]
	v_add_f64 v[10:11], v[10:11], v[58:59]
	v_add_f64 v[4:5], v[4:5], v[8:9]
	;; [unrolled: 1-line block ×3, first 2 shown]
	s_waitcnt vmcnt(2)
	v_add_f64 v[4:5], v[52:53], -v[4:5]
	s_waitcnt vmcnt(0)
	v_add_f64 v[6:7], v[54:55], -v[6:7]
	buffer_store_dword v4, off, s[0:3], 0 offset:128
	buffer_store_dword v5, off, s[0:3], 0 offset:132
	;; [unrolled: 1-line block ×4, first 2 shown]
	s_and_saveexec_b64 s[6:7], vcc
	s_cbranch_execz .LBB75_71
; %bb.70:
	buffer_load_dword v4, v1, s[0:3], 0 offen
	buffer_load_dword v5, v1, s[0:3], 0 offen offset:4
	buffer_load_dword v6, v1, s[0:3], 0 offen offset:8
	;; [unrolled: 1-line block ×3, first 2 shown]
	s_nop 0
	buffer_store_dword v2, off, s[0:3], 0 offset:112
	buffer_store_dword v2, off, s[0:3], 0 offset:116
	;; [unrolled: 1-line block ×4, first 2 shown]
	s_waitcnt vmcnt(4)
	ds_write_b128 v79, v[4:7]
.LBB75_71:
	s_or_b64 exec, exec, s[6:7]
	s_waitcnt lgkmcnt(0)
	; wave barrier
	s_waitcnt lgkmcnt(0)
	buffer_load_dword v20, off, s[0:3], 0 offset:136
	buffer_load_dword v21, off, s[0:3], 0 offset:140
	;; [unrolled: 1-line block ×20, first 2 shown]
	ds_read_b128 v[4:7], v2 offset:320
	ds_read_b128 v[8:11], v2 offset:336
	;; [unrolled: 1-line block ×4, first 2 shown]
	v_cmp_lt_u32_e32 vcc, 6, v78
	s_waitcnt vmcnt(18) lgkmcnt(3)
	v_mul_f64 v[2:3], v[4:5], v[20:21]
	v_mul_f64 v[20:21], v[6:7], v[20:21]
	s_waitcnt vmcnt(16) lgkmcnt(2)
	v_mul_f64 v[64:65], v[8:9], v[46:47]
	v_mul_f64 v[46:47], v[10:11], v[46:47]
	;; [unrolled: 3-line block ×4, first 2 shown]
	s_waitcnt vmcnt(10)
	v_fma_f64 v[4:5], v[4:5], v[52:53], -v[20:21]
	v_fmac_f64_e32 v[2:3], v[6:7], v[52:53]
	s_waitcnt vmcnt(8)
	v_fma_f64 v[6:7], v[8:9], v[54:55], -v[46:47]
	v_add_f64 v[4:5], v[4:5], 0
	v_fmac_f64_e32 v[64:65], v[10:11], v[54:55]
	s_waitcnt vmcnt(6)
	v_fma_f64 v[8:9], v[12:13], v[56:57], -v[48:49]
	v_add_f64 v[2:3], v[2:3], 0
	v_add_f64 v[4:5], v[4:5], v[6:7]
	v_fmac_f64_e32 v[66:67], v[14:15], v[56:57]
	s_waitcnt vmcnt(4)
	v_fma_f64 v[10:11], v[16:17], v[58:59], -v[50:51]
	v_add_f64 v[2:3], v[2:3], v[64:65]
	v_add_f64 v[4:5], v[4:5], v[8:9]
	v_fmac_f64_e32 v[80:81], v[18:19], v[58:59]
	v_add_f64 v[2:3], v[2:3], v[66:67]
	v_add_f64 v[4:5], v[4:5], v[10:11]
	;; [unrolled: 1-line block ×3, first 2 shown]
	s_waitcnt vmcnt(2)
	v_add_f64 v[4:5], v[60:61], -v[4:5]
	s_waitcnt vmcnt(0)
	v_add_f64 v[2:3], v[62:63], -v[2:3]
	buffer_store_dword v4, off, s[0:3], 0 offset:112
	buffer_store_dword v5, off, s[0:3], 0 offset:116
	;; [unrolled: 1-line block ×4, first 2 shown]
	s_and_saveexec_b64 s[6:7], vcc
	s_cbranch_execz .LBB75_73
; %bb.72:
	buffer_load_dword v2, v74, s[0:3], 0 offen
	buffer_load_dword v3, v74, s[0:3], 0 offen offset:4
	buffer_load_dword v4, v74, s[0:3], 0 offen offset:8
	;; [unrolled: 1-line block ×3, first 2 shown]
	v_mov_b32_e32 v6, 0
	buffer_store_dword v6, off, s[0:3], 0 offset:96
	buffer_store_dword v6, off, s[0:3], 0 offset:100
	;; [unrolled: 1-line block ×4, first 2 shown]
	s_waitcnt vmcnt(4)
	ds_write_b128 v79, v[2:5]
.LBB75_73:
	s_or_b64 exec, exec, s[6:7]
	s_waitcnt lgkmcnt(0)
	; wave barrier
	s_waitcnt lgkmcnt(0)
	buffer_load_dword v20, off, s[0:3], 0 offset:120
	buffer_load_dword v21, off, s[0:3], 0 offset:124
	;; [unrolled: 1-line block ×24, first 2 shown]
	v_mov_b32_e32 v2, 0
	ds_read_b128 v[4:7], v2 offset:304
	ds_read_b128 v[8:11], v2 offset:320
	;; [unrolled: 1-line block ×5, first 2 shown]
	v_cmp_lt_u32_e32 vcc, 5, v78
	s_waitcnt vmcnt(22) lgkmcnt(4)
	v_mul_f64 v[84:85], v[4:5], v[20:21]
	v_mul_f64 v[20:21], v[6:7], v[20:21]
	s_waitcnt vmcnt(20) lgkmcnt(3)
	v_mul_f64 v[86:87], v[8:9], v[50:51]
	v_mul_f64 v[50:51], v[10:11], v[50:51]
	;; [unrolled: 3-line block ×4, first 2 shown]
	s_waitcnt vmcnt(13) lgkmcnt(0)
	v_mul_f64 v[92:93], v[46:47], v[54:55]
	s_waitcnt vmcnt(11)
	v_fma_f64 v[4:5], v[4:5], v[60:61], -v[20:21]
	v_fmac_f64_e32 v[84:85], v[6:7], v[60:61]
	s_waitcnt vmcnt(9)
	v_fma_f64 v[6:7], v[8:9], v[62:63], -v[50:51]
	v_add_f64 v[4:5], v[4:5], 0
	v_fmac_f64_e32 v[86:87], v[10:11], v[62:63]
	s_waitcnt vmcnt(7)
	v_fmac_f64_e32 v[88:89], v[14:15], v[64:65]
	v_fma_f64 v[8:9], v[12:13], v[64:65], -v[52:53]
	v_add_f64 v[14:15], v[84:85], 0
	v_add_f64 v[4:5], v[4:5], v[6:7]
	v_mul_f64 v[54:55], v[48:49], v[54:55]
	s_waitcnt vmcnt(5)
	v_fma_f64 v[10:11], v[16:17], v[66:67], -v[58:59]
	v_add_f64 v[14:15], v[14:15], v[86:87]
	v_add_f64 v[4:5], v[4:5], v[8:9]
	v_fmac_f64_e32 v[90:91], v[18:19], v[66:67]
	s_waitcnt vmcnt(4)
	v_fma_f64 v[12:13], v[46:47], v[56:57], -v[54:55]
	v_add_f64 v[6:7], v[14:15], v[88:89]
	v_add_f64 v[4:5], v[4:5], v[10:11]
	v_fmac_f64_e32 v[92:93], v[48:49], v[56:57]
	v_add_f64 v[6:7], v[6:7], v[90:91]
	v_add_f64 v[4:5], v[4:5], v[12:13]
	;; [unrolled: 1-line block ×3, first 2 shown]
	s_waitcnt vmcnt(2)
	v_add_f64 v[4:5], v[80:81], -v[4:5]
	s_waitcnt vmcnt(0)
	v_add_f64 v[6:7], v[82:83], -v[6:7]
	buffer_store_dword v5, off, s[0:3], 0 offset:100
	buffer_store_dword v4, off, s[0:3], 0 offset:96
	;; [unrolled: 1-line block ×4, first 2 shown]
	s_and_saveexec_b64 s[6:7], vcc
	s_cbranch_execz .LBB75_75
; %bb.74:
	buffer_load_dword v4, v72, s[0:3], 0 offen
	buffer_load_dword v5, v72, s[0:3], 0 offen offset:4
	buffer_load_dword v6, v72, s[0:3], 0 offen offset:8
	buffer_load_dword v7, v72, s[0:3], 0 offen offset:12
	s_nop 0
	buffer_store_dword v2, off, s[0:3], 0 offset:80
	buffer_store_dword v2, off, s[0:3], 0 offset:84
	;; [unrolled: 1-line block ×4, first 2 shown]
	s_waitcnt vmcnt(4)
	ds_write_b128 v79, v[4:7]
.LBB75_75:
	s_or_b64 exec, exec, s[6:7]
	s_waitcnt lgkmcnt(0)
	; wave barrier
	s_waitcnt lgkmcnt(0)
	buffer_load_dword v20, off, s[0:3], 0 offset:104
	buffer_load_dword v21, off, s[0:3], 0 offset:108
	;; [unrolled: 1-line block ×28, first 2 shown]
	ds_read_b128 v[4:7], v2 offset:288
	ds_read_b128 v[8:11], v2 offset:304
	;; [unrolled: 1-line block ×6, first 2 shown]
	v_cmp_lt_u32_e32 vcc, 4, v78
	s_waitcnt vmcnt(26) lgkmcnt(5)
	v_mul_f64 v[2:3], v[4:5], v[20:21]
	v_mul_f64 v[20:21], v[6:7], v[20:21]
	s_waitcnt vmcnt(24) lgkmcnt(4)
	v_mul_f64 v[92:93], v[8:9], v[54:55]
	v_mul_f64 v[54:55], v[10:11], v[54:55]
	;; [unrolled: 3-line block ×4, first 2 shown]
	s_waitcnt vmcnt(17)
	v_mul_f64 v[96:97], v[16:17], v[62:63]
	v_mul_f64 v[62:63], v[18:19], v[62:63]
	s_waitcnt vmcnt(15) lgkmcnt(0)
	v_mul_f64 v[100:101], v[50:51], v[64:65]
	v_mul_f64 v[64:65], v[52:53], v[64:65]
	s_waitcnt vmcnt(14)
	v_fmac_f64_e32 v[98:99], v[48:49], v[60:61]
	s_waitcnt vmcnt(12)
	v_fma_f64 v[4:5], v[4:5], v[66:67], -v[20:21]
	v_fmac_f64_e32 v[2:3], v[6:7], v[66:67]
	s_waitcnt vmcnt(10)
	v_fma_f64 v[6:7], v[8:9], v[80:81], -v[54:55]
	v_add_f64 v[4:5], v[4:5], 0
	v_fmac_f64_e32 v[92:93], v[10:11], v[80:81]
	s_waitcnt vmcnt(8)
	v_fma_f64 v[8:9], v[12:13], v[82:83], -v[56:57]
	v_add_f64 v[2:3], v[2:3], 0
	v_add_f64 v[4:5], v[4:5], v[6:7]
	v_fmac_f64_e32 v[94:95], v[14:15], v[82:83]
	s_waitcnt vmcnt(6)
	v_fma_f64 v[10:11], v[16:17], v[84:85], -v[62:63]
	v_add_f64 v[2:3], v[2:3], v[92:93]
	v_add_f64 v[4:5], v[4:5], v[8:9]
	v_fmac_f64_e32 v[96:97], v[18:19], v[84:85]
	v_fma_f64 v[12:13], v[46:47], v[60:61], -v[58:59]
	v_add_f64 v[2:3], v[2:3], v[94:95]
	v_add_f64 v[4:5], v[4:5], v[10:11]
	s_waitcnt vmcnt(4)
	v_fma_f64 v[14:15], v[50:51], v[86:87], -v[64:65]
	v_add_f64 v[2:3], v[2:3], v[96:97]
	v_add_f64 v[4:5], v[4:5], v[12:13]
	v_fmac_f64_e32 v[100:101], v[52:53], v[86:87]
	v_add_f64 v[2:3], v[2:3], v[98:99]
	v_add_f64 v[4:5], v[4:5], v[14:15]
	v_add_f64 v[2:3], v[2:3], v[100:101]
	s_waitcnt vmcnt(2)
	v_add_f64 v[4:5], v[88:89], -v[4:5]
	s_waitcnt vmcnt(0)
	v_add_f64 v[2:3], v[90:91], -v[2:3]
	buffer_store_dword v5, off, s[0:3], 0 offset:84
	buffer_store_dword v4, off, s[0:3], 0 offset:80
	;; [unrolled: 1-line block ×4, first 2 shown]
	s_and_saveexec_b64 s[6:7], vcc
	s_cbranch_execz .LBB75_77
; %bb.76:
	buffer_load_dword v2, v73, s[0:3], 0 offen
	buffer_load_dword v3, v73, s[0:3], 0 offen offset:4
	buffer_load_dword v4, v73, s[0:3], 0 offen offset:8
	;; [unrolled: 1-line block ×3, first 2 shown]
	v_mov_b32_e32 v6, 0
	buffer_store_dword v6, off, s[0:3], 0 offset:64
	buffer_store_dword v6, off, s[0:3], 0 offset:68
	;; [unrolled: 1-line block ×4, first 2 shown]
	s_waitcnt vmcnt(4)
	ds_write_b128 v79, v[2:5]
.LBB75_77:
	s_or_b64 exec, exec, s[6:7]
	s_waitcnt lgkmcnt(0)
	; wave barrier
	s_waitcnt lgkmcnt(0)
	buffer_load_dword v20, off, s[0:3], 0 offset:88
	buffer_load_dword v21, off, s[0:3], 0 offset:92
	buffer_load_dword v58, off, s[0:3], 0 offset:104
	buffer_load_dword v59, off, s[0:3], 0 offset:108
	buffer_load_dword v60, off, s[0:3], 0 offset:120
	buffer_load_dword v61, off, s[0:3], 0 offset:124
	buffer_load_dword v63, off, s[0:3], 0 offset:156
	buffer_load_dword v62, off, s[0:3], 0 offset:152
	buffer_load_dword v64, off, s[0:3], 0 offset:144
	buffer_load_dword v67, off, s[0:3], 0 offset:140
	buffer_load_dword v66, off, s[0:3], 0 offset:136
	buffer_load_dword v80, off, s[0:3], 0 offset:184
	buffer_load_dword v82, off, s[0:3], 0 offset:176
	buffer_load_dword v85, off, s[0:3], 0 offset:172
	buffer_load_dword v84, off, s[0:3], 0 offset:168
	buffer_load_dword v81, off, s[0:3], 0 offset:188
	buffer_load_dword v65, off, s[0:3], 0 offset:148
	buffer_load_dword v86, off, s[0:3], 0 offset:80
	buffer_load_dword v87, off, s[0:3], 0 offset:84
	buffer_load_dword v88, off, s[0:3], 0 offset:96
	buffer_load_dword v89, off, s[0:3], 0 offset:100
	buffer_load_dword v90, off, s[0:3], 0 offset:112
	buffer_load_dword v91, off, s[0:3], 0 offset:116
	buffer_load_dword v93, off, s[0:3], 0 offset:132
	buffer_load_dword v92, off, s[0:3], 0 offset:128
	buffer_load_dword v95, off, s[0:3], 0 offset:164
	buffer_load_dword v94, off, s[0:3], 0 offset:160
	buffer_load_dword v83, off, s[0:3], 0 offset:180
	buffer_load_dword v96, off, s[0:3], 0 offset:64
	buffer_load_dword v97, off, s[0:3], 0 offset:68
	buffer_load_dword v98, off, s[0:3], 0 offset:72
	buffer_load_dword v99, off, s[0:3], 0 offset:76
	v_mov_b32_e32 v2, 0
	ds_read_b128 v[4:7], v2 offset:272
	ds_read_b128 v[8:11], v2 offset:288
	;; [unrolled: 1-line block ×7, first 2 shown]
	v_cmp_lt_u32_e32 vcc, 3, v78
	s_waitcnt vmcnt(30) lgkmcnt(6)
	v_mul_f64 v[100:101], v[4:5], v[20:21]
	v_mul_f64 v[20:21], v[6:7], v[20:21]
	s_waitcnt vmcnt(28) lgkmcnt(5)
	v_mul_f64 v[102:103], v[8:9], v[58:59]
	v_mul_f64 v[58:59], v[10:11], v[58:59]
	;; [unrolled: 3-line block ×4, first 2 shown]
	s_waitcnt vmcnt(21)
	v_mul_f64 v[106:107], v[16:17], v[66:67]
	v_mul_f64 v[66:67], v[18:19], v[66:67]
	s_waitcnt vmcnt(17) lgkmcnt(1)
	v_mul_f64 v[110:111], v[50:51], v[84:85]
	v_mul_f64 v[84:85], v[52:53], v[84:85]
	s_waitcnt vmcnt(16) lgkmcnt(0)
	v_mul_f64 v[112:113], v[54:55], v[80:81]
	v_mul_f64 v[80:81], v[56:57], v[80:81]
	s_waitcnt vmcnt(13)
	v_fma_f64 v[4:5], v[4:5], v[86:87], -v[20:21]
	v_fmac_f64_e32 v[100:101], v[6:7], v[86:87]
	s_waitcnt vmcnt(11)
	v_fma_f64 v[6:7], v[8:9], v[88:89], -v[58:59]
	v_add_f64 v[4:5], v[4:5], 0
	v_fmac_f64_e32 v[102:103], v[10:11], v[88:89]
	s_waitcnt vmcnt(9)
	v_fma_f64 v[8:9], v[12:13], v[90:91], -v[60:61]
	s_waitcnt vmcnt(7)
	v_fmac_f64_e32 v[106:107], v[18:19], v[92:93]
	v_add_f64 v[18:19], v[100:101], 0
	v_add_f64 v[4:5], v[4:5], v[6:7]
	v_fmac_f64_e32 v[104:105], v[14:15], v[90:91]
	v_fma_f64 v[10:11], v[16:17], v[92:93], -v[66:67]
	v_add_f64 v[18:19], v[18:19], v[102:103]
	v_add_f64 v[4:5], v[4:5], v[8:9]
	v_fma_f64 v[12:13], v[46:47], v[64:65], -v[62:63]
	v_add_f64 v[6:7], v[18:19], v[104:105]
	v_add_f64 v[4:5], v[4:5], v[10:11]
	v_fmac_f64_e32 v[108:109], v[48:49], v[64:65]
	s_waitcnt vmcnt(5)
	v_fma_f64 v[14:15], v[50:51], v[94:95], -v[84:85]
	v_add_f64 v[6:7], v[6:7], v[106:107]
	v_add_f64 v[4:5], v[4:5], v[12:13]
	v_fmac_f64_e32 v[110:111], v[52:53], v[94:95]
	s_waitcnt vmcnt(4)
	v_fma_f64 v[16:17], v[54:55], v[82:83], -v[80:81]
	v_add_f64 v[6:7], v[6:7], v[108:109]
	v_add_f64 v[4:5], v[4:5], v[14:15]
	v_fmac_f64_e32 v[112:113], v[56:57], v[82:83]
	v_add_f64 v[6:7], v[6:7], v[110:111]
	v_add_f64 v[4:5], v[4:5], v[16:17]
	;; [unrolled: 1-line block ×3, first 2 shown]
	s_waitcnt vmcnt(2)
	v_add_f64 v[4:5], v[96:97], -v[4:5]
	s_waitcnt vmcnt(0)
	v_add_f64 v[6:7], v[98:99], -v[6:7]
	buffer_store_dword v5, off, s[0:3], 0 offset:68
	buffer_store_dword v4, off, s[0:3], 0 offset:64
	buffer_store_dword v7, off, s[0:3], 0 offset:76
	buffer_store_dword v6, off, s[0:3], 0 offset:72
	s_and_saveexec_b64 s[6:7], vcc
	s_cbranch_execz .LBB75_79
; %bb.78:
	buffer_load_dword v4, v76, s[0:3], 0 offen
	buffer_load_dword v5, v76, s[0:3], 0 offen offset:4
	buffer_load_dword v6, v76, s[0:3], 0 offen offset:8
	;; [unrolled: 1-line block ×3, first 2 shown]
	s_nop 0
	buffer_store_dword v2, off, s[0:3], 0 offset:48
	buffer_store_dword v2, off, s[0:3], 0 offset:52
	;; [unrolled: 1-line block ×4, first 2 shown]
	s_waitcnt vmcnt(4)
	ds_write_b128 v79, v[4:7]
.LBB75_79:
	s_or_b64 exec, exec, s[6:7]
	s_waitcnt lgkmcnt(0)
	; wave barrier
	s_waitcnt lgkmcnt(0)
	buffer_load_dword v20, off, s[0:3], 0 offset:72
	buffer_load_dword v21, off, s[0:3], 0 offset:76
	;; [unrolled: 1-line block ×36, first 2 shown]
	ds_read_b128 v[4:7], v2 offset:256
	ds_read_b128 v[8:11], v2 offset:272
	;; [unrolled: 1-line block ×8, first 2 shown]
	v_cmp_lt_u32_e32 vcc, 2, v78
	s_waitcnt vmcnt(34) lgkmcnt(7)
	v_mul_f64 v[2:3], v[4:5], v[20:21]
	v_mul_f64 v[20:21], v[6:7], v[20:21]
	s_waitcnt vmcnt(32) lgkmcnt(6)
	v_mul_f64 v[108:109], v[8:9], v[62:63]
	v_mul_f64 v[62:63], v[10:11], v[62:63]
	;; [unrolled: 3-line block ×4, first 2 shown]
	s_waitcnt vmcnt(25)
	v_mul_f64 v[112:113], v[16:17], v[82:83]
	v_mul_f64 v[82:83], v[18:19], v[82:83]
	s_waitcnt vmcnt(23) lgkmcnt(1)
	v_mul_f64 v[118:119], v[54:55], v[84:85]
	v_mul_f64 v[84:85], v[56:57], v[84:85]
	s_waitcnt vmcnt(20)
	v_mul_f64 v[116:117], v[50:51], v[88:89]
	v_mul_f64 v[88:89], v[52:53], v[88:89]
	s_waitcnt vmcnt(18) lgkmcnt(0)
	v_mul_f64 v[120:121], v[58:59], v[90:91]
	s_waitcnt vmcnt(17)
	v_fmac_f64_e32 v[114:115], v[48:49], v[80:81]
	s_waitcnt vmcnt(16)
	v_fmac_f64_e32 v[118:119], v[56:57], v[86:87]
	s_waitcnt vmcnt(14)
	v_fma_f64 v[4:5], v[4:5], v[92:93], -v[20:21]
	v_fmac_f64_e32 v[2:3], v[6:7], v[92:93]
	s_waitcnt vmcnt(12)
	v_fma_f64 v[6:7], v[8:9], v[94:95], -v[62:63]
	v_add_f64 v[4:5], v[4:5], 0
	v_fmac_f64_e32 v[108:109], v[10:11], v[94:95]
	s_waitcnt vmcnt(10)
	v_fma_f64 v[8:9], v[12:13], v[96:97], -v[64:65]
	v_add_f64 v[2:3], v[2:3], 0
	v_add_f64 v[4:5], v[4:5], v[6:7]
	v_fmac_f64_e32 v[110:111], v[14:15], v[96:97]
	s_waitcnt vmcnt(8)
	v_fma_f64 v[10:11], v[16:17], v[98:99], -v[82:83]
	v_add_f64 v[2:3], v[2:3], v[108:109]
	v_add_f64 v[4:5], v[4:5], v[8:9]
	v_fmac_f64_e32 v[112:113], v[18:19], v[98:99]
	v_fma_f64 v[12:13], v[46:47], v[80:81], -v[66:67]
	v_add_f64 v[2:3], v[2:3], v[110:111]
	v_add_f64 v[4:5], v[4:5], v[10:11]
	s_waitcnt vmcnt(6)
	v_fma_f64 v[14:15], v[50:51], v[100:101], -v[88:89]
	v_add_f64 v[2:3], v[2:3], v[112:113]
	v_add_f64 v[4:5], v[4:5], v[12:13]
	v_fmac_f64_e32 v[116:117], v[52:53], v[100:101]
	v_fma_f64 v[16:17], v[54:55], v[86:87], -v[84:85]
	v_add_f64 v[2:3], v[2:3], v[114:115]
	v_add_f64 v[4:5], v[4:5], v[14:15]
	v_mul_f64 v[6:7], v[60:61], v[90:91]
	v_add_f64 v[2:3], v[2:3], v[116:117]
	v_add_f64 v[4:5], v[4:5], v[16:17]
	s_waitcnt vmcnt(4)
	v_fma_f64 v[6:7], v[58:59], v[102:103], -v[6:7]
	v_fmac_f64_e32 v[120:121], v[60:61], v[102:103]
	v_add_f64 v[2:3], v[2:3], v[118:119]
	v_add_f64 v[4:5], v[4:5], v[6:7]
	;; [unrolled: 1-line block ×3, first 2 shown]
	s_waitcnt vmcnt(2)
	v_add_f64 v[4:5], v[104:105], -v[4:5]
	s_waitcnt vmcnt(0)
	v_add_f64 v[2:3], v[106:107], -v[2:3]
	buffer_store_dword v5, off, s[0:3], 0 offset:52
	buffer_store_dword v4, off, s[0:3], 0 offset:48
	buffer_store_dword v3, off, s[0:3], 0 offset:60
	buffer_store_dword v2, off, s[0:3], 0 offset:56
	s_and_saveexec_b64 s[6:7], vcc
	s_cbranch_execz .LBB75_81
; %bb.80:
	buffer_load_dword v2, v77, s[0:3], 0 offen
	buffer_load_dword v3, v77, s[0:3], 0 offen offset:4
	buffer_load_dword v4, v77, s[0:3], 0 offen offset:8
	buffer_load_dword v5, v77, s[0:3], 0 offen offset:12
	v_mov_b32_e32 v6, 0
	buffer_store_dword v6, off, s[0:3], 0 offset:32
	buffer_store_dword v6, off, s[0:3], 0 offset:36
	buffer_store_dword v6, off, s[0:3], 0 offset:40
	buffer_store_dword v6, off, s[0:3], 0 offset:44
	s_waitcnt vmcnt(4)
	ds_write_b128 v79, v[2:5]
.LBB75_81:
	s_or_b64 exec, exec, s[6:7]
	v_mov_b32_e32 v80, 0
	s_waitcnt lgkmcnt(0)
	; wave barrier
	s_waitcnt lgkmcnt(0)
	ds_read_b128 v[14:17], v80 offset:240
	ds_read_b128 v[10:13], v80 offset:256
	;; [unrolled: 1-line block ×4, first 2 shown]
	buffer_load_dword v48, off, s[0:3], 0 offset:32
	buffer_load_dword v49, off, s[0:3], 0 offset:36
	;; [unrolled: 1-line block ×20, first 2 shown]
	v_cmp_lt_u32_e32 vcc, 1, v78
	s_waitcnt vmcnt(12) lgkmcnt(3)
	v_mul_f64 v[18:19], v[14:15], v[60:61]
	v_fmac_f64_e32 v[18:19], v[16:17], v[50:51]
	v_add_f64 v[18:19], v[18:19], 0
	v_mul_f64 v[16:17], v[16:17], v[60:61]
	s_waitcnt vmcnt(8) lgkmcnt(2)
	v_mul_f64 v[20:21], v[10:11], v[62:63]
	v_fmac_f64_e32 v[20:21], v[12:13], v[56:57]
	v_add_f64 v[18:19], v[18:19], v[20:21]
	v_fma_f64 v[14:15], v[14:15], v[50:51], -v[16:17]
	s_waitcnt vmcnt(4) lgkmcnt(1)
	v_mul_f64 v[20:21], v[6:7], v[64:65]
	v_fmac_f64_e32 v[20:21], v[8:9], v[58:59]
	v_add_f64 v[18:19], v[18:19], v[20:21]
	s_waitcnt vmcnt(0) lgkmcnt(0)
	v_mul_f64 v[20:21], v[2:3], v[66:67]
	v_fmac_f64_e32 v[20:21], v[4:5], v[54:55]
	v_add_f64 v[82:83], v[18:19], v[20:21]
	ds_read_b128 v[18:21], v80 offset:304
	buffer_load_dword v53, off, s[0:3], 0 offset:116
	buffer_load_dword v52, off, s[0:3], 0 offset:112
	;; [unrolled: 1-line block ×4, first 2 shown]
	v_mul_f64 v[12:13], v[12:13], v[62:63]
	v_add_f64 v[14:15], v[14:15], 0
	v_fma_f64 v[10:11], v[10:11], v[56:57], -v[12:13]
	v_mul_f64 v[8:9], v[8:9], v[64:65]
	v_add_f64 v[10:11], v[14:15], v[10:11]
	v_fma_f64 v[6:7], v[6:7], v[58:59], -v[8:9]
	;; [unrolled: 3-line block ×3, first 2 shown]
	v_add_f64 v[2:3], v[6:7], v[2:3]
	s_waitcnt vmcnt(0) lgkmcnt(0)
	v_mul_f64 v[84:85], v[18:19], v[98:99]
	v_fmac_f64_e32 v[84:85], v[20:21], v[52:53]
	v_add_f64 v[86:87], v[82:83], v[84:85]
	ds_read_b128 v[82:85], v80 offset:320
	buffer_load_dword v101, off, s[0:3], 0 offset:132
	buffer_load_dword v100, off, s[0:3], 0 offset:128
	buffer_load_dword v103, off, s[0:3], 0 offset:140
	buffer_load_dword v102, off, s[0:3], 0 offset:136
	v_mul_f64 v[4:5], v[20:21], v[98:99]
	v_fma_f64 v[4:5], v[18:19], v[52:53], -v[4:5]
	v_add_f64 v[2:3], v[2:3], v[4:5]
	s_waitcnt vmcnt(0) lgkmcnt(0)
	v_mul_f64 v[88:89], v[82:83], v[102:103]
	v_fmac_f64_e32 v[88:89], v[84:85], v[100:101]
	v_add_f64 v[90:91], v[86:87], v[88:89]
	ds_read_b128 v[86:89], v80 offset:336
	buffer_load_dword v105, off, s[0:3], 0 offset:148
	buffer_load_dword v104, off, s[0:3], 0 offset:144
	buffer_load_dword v107, off, s[0:3], 0 offset:156
	buffer_load_dword v106, off, s[0:3], 0 offset:152
	v_mul_f64 v[4:5], v[84:85], v[102:103]
	v_fma_f64 v[4:5], v[82:83], v[100:101], -v[4:5]
	;; [unrolled: 12-line block ×4, first 2 shown]
	v_add_f64 v[2:3], v[2:3], v[4:5]
	s_waitcnt vmcnt(0) lgkmcnt(0)
	v_mul_f64 v[4:5], v[96:97], v[116:117]
	v_mul_f64 v[118:119], v[94:95], v[116:117]
	v_fma_f64 v[4:5], v[94:95], v[114:115], -v[4:5]
	v_fmac_f64_e32 v[118:119], v[96:97], v[114:115]
	v_add_f64 v[2:3], v[2:3], v[4:5]
	v_add_f64 v[112:113], v[112:113], v[118:119]
	v_add_f64 v[2:3], v[48:49], -v[2:3]
	v_add_f64 v[4:5], v[46:47], -v[112:113]
	buffer_store_dword v3, off, s[0:3], 0 offset:36
	buffer_store_dword v2, off, s[0:3], 0 offset:32
	;; [unrolled: 1-line block ×4, first 2 shown]
	s_and_saveexec_b64 s[6:7], vcc
	s_cbranch_execz .LBB75_83
; %bb.82:
	buffer_load_dword v2, v75, s[0:3], 0 offen
	buffer_load_dword v3, v75, s[0:3], 0 offen offset:4
	buffer_load_dword v4, v75, s[0:3], 0 offen offset:8
	;; [unrolled: 1-line block ×3, first 2 shown]
	s_nop 0
	buffer_store_dword v80, off, s[0:3], 0 offset:16
	buffer_store_dword v80, off, s[0:3], 0 offset:20
	;; [unrolled: 1-line block ×4, first 2 shown]
	s_waitcnt vmcnt(4)
	ds_write_b128 v79, v[2:5]
.LBB75_83:
	s_or_b64 exec, exec, s[6:7]
	s_waitcnt lgkmcnt(0)
	; wave barrier
	s_waitcnt lgkmcnt(0)
	ds_read_b128 v[14:17], v80 offset:224
	ds_read_b128 v[10:13], v80 offset:240
	;; [unrolled: 1-line block ×4, first 2 shown]
	buffer_load_dword v48, off, s[0:3], 0 offset:16
	buffer_load_dword v49, off, s[0:3], 0 offset:20
	;; [unrolled: 1-line block ×20, first 2 shown]
	v_cmp_ne_u32_e32 vcc, 0, v78
	s_waitcnt vmcnt(12) lgkmcnt(3)
	v_mul_f64 v[18:19], v[14:15], v[64:65]
	v_fmac_f64_e32 v[18:19], v[16:17], v[62:63]
	v_add_f64 v[18:19], v[18:19], 0
	v_mul_f64 v[16:17], v[16:17], v[64:65]
	s_waitcnt vmcnt(8) lgkmcnt(2)
	v_mul_f64 v[20:21], v[10:11], v[66:67]
	v_fmac_f64_e32 v[20:21], v[12:13], v[54:55]
	v_add_f64 v[18:19], v[18:19], v[20:21]
	v_fma_f64 v[14:15], v[14:15], v[62:63], -v[16:17]
	s_waitcnt vmcnt(4) lgkmcnt(1)
	v_mul_f64 v[20:21], v[6:7], v[52:53]
	v_fmac_f64_e32 v[20:21], v[8:9], v[50:51]
	v_add_f64 v[18:19], v[18:19], v[20:21]
	s_waitcnt vmcnt(0) lgkmcnt(0)
	v_mul_f64 v[20:21], v[2:3], v[58:59]
	v_fmac_f64_e32 v[20:21], v[4:5], v[56:57]
	v_add_f64 v[82:83], v[18:19], v[20:21]
	ds_read_b128 v[18:21], v80 offset:288
	buffer_load_dword v61, off, s[0:3], 0 offset:100
	buffer_load_dword v60, off, s[0:3], 0 offset:96
	;; [unrolled: 1-line block ×4, first 2 shown]
	v_mul_f64 v[12:13], v[12:13], v[66:67]
	v_add_f64 v[14:15], v[14:15], 0
	v_fma_f64 v[10:11], v[10:11], v[54:55], -v[12:13]
	v_mul_f64 v[8:9], v[8:9], v[52:53]
	v_add_f64 v[10:11], v[14:15], v[10:11]
	v_fma_f64 v[6:7], v[6:7], v[50:51], -v[8:9]
	v_mul_f64 v[4:5], v[4:5], v[58:59]
	v_add_f64 v[6:7], v[10:11], v[6:7]
	v_fma_f64 v[2:3], v[2:3], v[56:57], -v[4:5]
	v_add_f64 v[2:3], v[6:7], v[2:3]
	s_waitcnt vmcnt(0) lgkmcnt(0)
	v_mul_f64 v[84:85], v[18:19], v[102:103]
	v_fmac_f64_e32 v[84:85], v[20:21], v[60:61]
	v_add_f64 v[86:87], v[82:83], v[84:85]
	ds_read_b128 v[82:85], v80 offset:304
	buffer_load_dword v105, off, s[0:3], 0 offset:116
	buffer_load_dword v104, off, s[0:3], 0 offset:112
	buffer_load_dword v107, off, s[0:3], 0 offset:124
	buffer_load_dword v106, off, s[0:3], 0 offset:120
	v_mul_f64 v[4:5], v[20:21], v[102:103]
	v_fma_f64 v[4:5], v[18:19], v[60:61], -v[4:5]
	v_add_f64 v[2:3], v[2:3], v[4:5]
	s_waitcnt vmcnt(0) lgkmcnt(0)
	v_mul_f64 v[88:89], v[82:83], v[106:107]
	v_fmac_f64_e32 v[88:89], v[84:85], v[104:105]
	v_add_f64 v[90:91], v[86:87], v[88:89]
	ds_read_b128 v[86:89], v80 offset:320
	buffer_load_dword v109, off, s[0:3], 0 offset:132
	buffer_load_dword v108, off, s[0:3], 0 offset:128
	buffer_load_dword v111, off, s[0:3], 0 offset:140
	buffer_load_dword v110, off, s[0:3], 0 offset:136
	v_mul_f64 v[4:5], v[84:85], v[106:107]
	v_fma_f64 v[4:5], v[82:83], v[104:105], -v[4:5]
	;; [unrolled: 12-line block ×5, first 2 shown]
	v_add_f64 v[2:3], v[2:3], v[4:5]
	s_waitcnt vmcnt(0) lgkmcnt(0)
	v_mul_f64 v[4:5], v[100:101], v[122:123]
	v_mul_f64 v[124:125], v[98:99], v[122:123]
	v_fma_f64 v[4:5], v[98:99], v[80:81], -v[4:5]
	v_fmac_f64_e32 v[124:125], v[100:101], v[80:81]
	v_add_f64 v[2:3], v[2:3], v[4:5]
	v_add_f64 v[120:121], v[120:121], v[124:125]
	v_add_f64 v[2:3], v[48:49], -v[2:3]
	v_add_f64 v[4:5], v[46:47], -v[120:121]
	buffer_store_dword v3, off, s[0:3], 0 offset:20
	buffer_store_dword v2, off, s[0:3], 0 offset:16
	;; [unrolled: 1-line block ×4, first 2 shown]
	s_and_saveexec_b64 s[6:7], vcc
	s_cbranch_execz .LBB75_85
; %bb.84:
	buffer_load_dword v2, off, s[0:3], 0
	buffer_load_dword v3, off, s[0:3], 0 offset:4
	buffer_load_dword v4, off, s[0:3], 0 offset:8
	;; [unrolled: 1-line block ×3, first 2 shown]
	v_mov_b32_e32 v6, 0
	buffer_store_dword v6, off, s[0:3], 0
	buffer_store_dword v6, off, s[0:3], 0 offset:4
	buffer_store_dword v6, off, s[0:3], 0 offset:8
	;; [unrolled: 1-line block ×3, first 2 shown]
	s_waitcnt vmcnt(4)
	ds_write_b128 v79, v[2:5]
.LBB75_85:
	s_or_b64 exec, exec, s[6:7]
	s_waitcnt lgkmcnt(0)
	; wave barrier
	s_waitcnt lgkmcnt(0)
	buffer_load_dword v2, off, s[0:3], 0 offset:16
	buffer_load_dword v3, off, s[0:3], 0 offset:20
	;; [unrolled: 1-line block ×44, first 2 shown]
	buffer_load_dword v126, off, s[0:3], 0
	buffer_load_dword v127, off, s[0:3], 0 offset:4
	buffer_load_dword v128, off, s[0:3], 0 offset:8
	;; [unrolled: 1-line block ×3, first 2 shown]
	v_mov_b32_e32 v79, 0
	ds_read_b128 v[12:15], v79 offset:208
	ds_read_b128 v[16:19], v79 offset:224
	;; [unrolled: 1-line block ×11, first 2 shown]
	s_and_b64 vcc, exec, s[18:19]
	s_waitcnt vmcnt(44) lgkmcnt(10)
	v_mul_f64 v[130:131], v[12:13], v[6:7]
	v_mul_f64 v[6:7], v[14:15], v[6:7]
	v_fmac_f64_e32 v[130:131], v[14:15], v[2:3]
	v_fma_f64 v[2:3], v[12:13], v[2:3], -v[6:7]
	s_waitcnt vmcnt(40) lgkmcnt(9)
	v_mul_f64 v[132:133], v[16:17], v[8:9]
	v_mul_f64 v[6:7], v[18:19], v[8:9]
	v_fmac_f64_e32 v[132:133], v[18:19], v[4:5]
	v_add_f64 v[2:3], v[2:3], 0
	v_fma_f64 v[4:5], v[16:17], v[4:5], -v[6:7]
	v_add_f64 v[2:3], v[2:3], v[4:5]
	s_waitcnt vmcnt(38) lgkmcnt(8)
	v_mul_f64 v[4:5], v[48:49], v[10:11]
	v_mul_f64 v[134:135], v[46:47], v[10:11]
	v_add_f64 v[130:131], v[130:131], 0
	s_waitcnt vmcnt(32) lgkmcnt(7)
	v_mul_f64 v[136:137], v[50:51], v[96:97]
	v_add_f64 v[130:131], v[130:131], v[132:133]
	s_waitcnt lgkmcnt(6)
	v_mul_f64 v[138:139], v[54:55], v[20:21]
	v_fmac_f64_e32 v[138:139], v[56:57], v[66:67]
	s_waitcnt vmcnt(30) lgkmcnt(4)
	v_mul_f64 v[142:143], v[62:63], v[98:99]
	s_waitcnt vmcnt(26)
	v_mul_f64 v[140:141], v[58:59], v[102:103]
	v_fmac_f64_e32 v[142:143], v[64:65], v[100:101]
	s_waitcnt vmcnt(24) lgkmcnt(2)
	v_mul_f64 v[146:147], v[84:85], v[104:105]
	s_waitcnt vmcnt(22)
	v_fmac_f64_e32 v[146:147], v[86:87], v[106:107]
	s_waitcnt vmcnt(20)
	v_mul_f64 v[144:145], v[80:81], v[108:109]
	s_waitcnt vmcnt(18) lgkmcnt(1)
	v_mul_f64 v[148:149], v[88:89], v[110:111]
	s_waitcnt vmcnt(16)
	v_fma_f64 v[4:5], v[46:47], v[112:113], -v[4:5]
	v_add_f64 v[2:3], v[2:3], v[4:5]
	v_mul_f64 v[4:5], v[52:53], v[96:97]
	s_waitcnt vmcnt(14)
	v_fma_f64 v[4:5], v[50:51], v[114:115], -v[4:5]
	v_add_f64 v[2:3], v[2:3], v[4:5]
	v_mul_f64 v[4:5], v[56:57], v[20:21]
	v_fma_f64 v[4:5], v[54:55], v[66:67], -v[4:5]
	v_add_f64 v[2:3], v[2:3], v[4:5]
	v_mul_f64 v[4:5], v[60:61], v[102:103]
	s_waitcnt vmcnt(12)
	v_fma_f64 v[4:5], v[58:59], v[116:117], -v[4:5]
	v_add_f64 v[2:3], v[2:3], v[4:5]
	v_mul_f64 v[4:5], v[64:65], v[98:99]
	v_fma_f64 v[4:5], v[62:63], v[100:101], -v[4:5]
	v_fmac_f64_e32 v[134:135], v[48:49], v[112:113]
	v_add_f64 v[2:3], v[2:3], v[4:5]
	v_mul_f64 v[4:5], v[82:83], v[108:109]
	v_fmac_f64_e32 v[136:137], v[52:53], v[114:115]
	v_add_f64 v[130:131], v[130:131], v[134:135]
	s_waitcnt vmcnt(10)
	v_fma_f64 v[4:5], v[80:81], v[118:119], -v[4:5]
	v_add_f64 v[130:131], v[130:131], v[136:137]
	v_add_f64 v[2:3], v[2:3], v[4:5]
	v_mul_f64 v[4:5], v[86:87], v[104:105]
	v_fmac_f64_e32 v[140:141], v[60:61], v[116:117]
	v_add_f64 v[130:131], v[130:131], v[138:139]
	v_fma_f64 v[4:5], v[84:85], v[106:107], -v[4:5]
	v_add_f64 v[130:131], v[130:131], v[140:141]
	v_add_f64 v[2:3], v[2:3], v[4:5]
	v_mul_f64 v[4:5], v[90:91], v[110:111]
	v_fmac_f64_e32 v[144:145], v[82:83], v[118:119]
	v_add_f64 v[130:131], v[130:131], v[142:143]
	s_waitcnt vmcnt(8)
	v_fma_f64 v[4:5], v[88:89], v[120:121], -v[4:5]
	v_add_f64 v[130:131], v[130:131], v[144:145]
	v_add_f64 v[2:3], v[2:3], v[4:5]
	s_waitcnt vmcnt(5) lgkmcnt(0)
	v_mul_f64 v[4:5], v[94:95], v[122:123]
	v_fmac_f64_e32 v[148:149], v[90:91], v[120:121]
	v_add_f64 v[130:131], v[130:131], v[146:147]
	v_mul_f64 v[132:133], v[92:93], v[122:123]
	s_waitcnt vmcnt(4)
	v_fma_f64 v[4:5], v[92:93], v[124:125], -v[4:5]
	v_add_f64 v[130:131], v[130:131], v[148:149]
	v_fmac_f64_e32 v[132:133], v[94:95], v[124:125]
	v_add_f64 v[2:3], v[2:3], v[4:5]
	v_add_f64 v[130:131], v[130:131], v[132:133]
	s_waitcnt vmcnt(2)
	v_add_f64 v[2:3], v[126:127], -v[2:3]
	s_waitcnt vmcnt(0)
	v_add_f64 v[4:5], v[128:129], -v[130:131]
	buffer_store_dword v3, off, s[0:3], 0 offset:4
	buffer_store_dword v2, off, s[0:3], 0
	buffer_store_dword v5, off, s[0:3], 0 offset:12
	buffer_store_dword v4, off, s[0:3], 0 offset:8
	s_cbranch_vccz .LBB75_109
; %bb.86:
	v_pk_mov_b32 v[2:3], s[16:17], s[16:17] op_sel:[0,1]
	flat_load_dword v2, v[2:3] offset:40
	s_load_dwordx2 s[4:5], s[4:5], 0x4
	v_bfe_u32 v4, v0, 10, 10
	v_bfe_u32 v0, v0, 20, 10
	s_waitcnt lgkmcnt(0)
	s_lshr_b32 s4, s4, 16
	s_mul_i32 s4, s4, s5
	v_mul_u32_u24_e32 v3, s4, v78
	v_mul_u32_u24_e32 v4, s5, v4
	v_add3_u32 v0, v3, v4, v0
	v_mov_b32_e32 v3, 0x188
	v_lshl_add_u32 v0, v0, 4, v3
	s_waitcnt vmcnt(0)
	v_add_u32_e32 v2, -1, v2
	v_cmp_ne_u32_e32 vcc, 10, v2
	s_and_saveexec_b64 s[4:5], vcc
	s_cbranch_execz .LBB75_88
; %bb.87:
	v_mov_b32_e32 v3, 0
	v_lshl_add_u32 v6, v2, 4, v3
	buffer_load_dword v2, v70, s[0:3], 0 offen
	buffer_load_dword v3, v70, s[0:3], 0 offen offset:4
	buffer_load_dword v4, v70, s[0:3], 0 offen offset:8
	buffer_load_dword v5, v70, s[0:3], 0 offen offset:12
	buffer_load_dword v7, v6, s[0:3], 0 offen
	buffer_load_dword v8, v6, s[0:3], 0 offen offset:4
	buffer_load_dword v9, v6, s[0:3], 0 offen offset:8
	buffer_load_dword v10, v6, s[0:3], 0 offen offset:12
	s_waitcnt vmcnt(4)
	ds_write2_b64 v0, v[2:3], v[4:5] offset1:1
	s_waitcnt vmcnt(3)
	buffer_store_dword v7, v70, s[0:3], 0 offen
	s_waitcnt vmcnt(3)
	buffer_store_dword v8, v70, s[0:3], 0 offen offset:4
	s_waitcnt vmcnt(3)
	buffer_store_dword v9, v70, s[0:3], 0 offen offset:8
	s_waitcnt vmcnt(3)
	buffer_store_dword v10, v70, s[0:3], 0 offen offset:12
	buffer_store_dword v5, v6, s[0:3], 0 offen offset:12
	buffer_store_dword v4, v6, s[0:3], 0 offen offset:8
	buffer_store_dword v3, v6, s[0:3], 0 offen offset:4
	buffer_store_dword v2, v6, s[0:3], 0 offen
.LBB75_88:
	s_or_b64 exec, exec, s[4:5]
	v_pk_mov_b32 v[2:3], s[16:17], s[16:17] op_sel:[0,1]
	flat_load_dword v2, v[2:3] offset:36
	s_waitcnt vmcnt(0) lgkmcnt(0)
	v_add_u32_e32 v2, -1, v2
	v_cmp_ne_u32_e32 vcc, 9, v2
	s_and_saveexec_b64 s[4:5], vcc
	s_cbranch_execz .LBB75_90
; %bb.89:
	v_mov_b32_e32 v3, 0
	v_lshl_add_u32 v6, v2, 4, v3
	buffer_load_dword v2, v69, s[0:3], 0 offen
	buffer_load_dword v3, v69, s[0:3], 0 offen offset:4
	buffer_load_dword v4, v69, s[0:3], 0 offen offset:8
	buffer_load_dword v5, v69, s[0:3], 0 offen offset:12
	buffer_load_dword v7, v6, s[0:3], 0 offen
	buffer_load_dword v8, v6, s[0:3], 0 offen offset:4
	buffer_load_dword v9, v6, s[0:3], 0 offen offset:8
	buffer_load_dword v10, v6, s[0:3], 0 offen offset:12
	s_waitcnt vmcnt(4)
	ds_write2_b64 v0, v[2:3], v[4:5] offset1:1
	s_waitcnt vmcnt(3)
	buffer_store_dword v7, v69, s[0:3], 0 offen
	s_waitcnt vmcnt(3)
	buffer_store_dword v8, v69, s[0:3], 0 offen offset:4
	s_waitcnt vmcnt(3)
	buffer_store_dword v9, v69, s[0:3], 0 offen offset:8
	s_waitcnt vmcnt(3)
	buffer_store_dword v10, v69, s[0:3], 0 offen offset:12
	buffer_store_dword v5, v6, s[0:3], 0 offen offset:12
	buffer_store_dword v4, v6, s[0:3], 0 offen offset:8
	buffer_store_dword v3, v6, s[0:3], 0 offen offset:4
	buffer_store_dword v2, v6, s[0:3], 0 offen
.LBB75_90:
	s_or_b64 exec, exec, s[4:5]
	v_pk_mov_b32 v[2:3], s[16:17], s[16:17] op_sel:[0,1]
	flat_load_dword v2, v[2:3] offset:32
	s_waitcnt vmcnt(0) lgkmcnt(0)
	v_add_u32_e32 v2, -1, v2
	v_cmp_ne_u32_e32 vcc, 8, v2
	s_and_saveexec_b64 s[4:5], vcc
	s_cbranch_execz .LBB75_92
; %bb.91:
	v_mov_b32_e32 v3, 0
	v_lshl_add_u32 v6, v2, 4, v3
	buffer_load_dword v2, v68, s[0:3], 0 offen
	buffer_load_dword v3, v68, s[0:3], 0 offen offset:4
	buffer_load_dword v4, v68, s[0:3], 0 offen offset:8
	buffer_load_dword v5, v68, s[0:3], 0 offen offset:12
	buffer_load_dword v7, v6, s[0:3], 0 offen
	buffer_load_dword v8, v6, s[0:3], 0 offen offset:4
	buffer_load_dword v9, v6, s[0:3], 0 offen offset:8
	buffer_load_dword v10, v6, s[0:3], 0 offen offset:12
	s_waitcnt vmcnt(4)
	ds_write2_b64 v0, v[2:3], v[4:5] offset1:1
	s_waitcnt vmcnt(3)
	buffer_store_dword v7, v68, s[0:3], 0 offen
	s_waitcnt vmcnt(3)
	buffer_store_dword v8, v68, s[0:3], 0 offen offset:4
	s_waitcnt vmcnt(3)
	buffer_store_dword v9, v68, s[0:3], 0 offen offset:8
	s_waitcnt vmcnt(3)
	buffer_store_dword v10, v68, s[0:3], 0 offen offset:12
	buffer_store_dword v5, v6, s[0:3], 0 offen offset:12
	buffer_store_dword v4, v6, s[0:3], 0 offen offset:8
	buffer_store_dword v3, v6, s[0:3], 0 offen offset:4
	buffer_store_dword v2, v6, s[0:3], 0 offen
.LBB75_92:
	s_or_b64 exec, exec, s[4:5]
	v_pk_mov_b32 v[2:3], s[16:17], s[16:17] op_sel:[0,1]
	flat_load_dword v2, v[2:3] offset:28
	s_waitcnt vmcnt(0) lgkmcnt(0)
	v_add_u32_e32 v2, -1, v2
	v_cmp_ne_u32_e32 vcc, 7, v2
	s_and_saveexec_b64 s[4:5], vcc
	s_cbranch_execz .LBB75_94
; %bb.93:
	v_mov_b32_e32 v3, 0
	v_lshl_add_u32 v6, v2, 4, v3
	buffer_load_dword v2, v1, s[0:3], 0 offen
	buffer_load_dword v3, v1, s[0:3], 0 offen offset:4
	buffer_load_dword v4, v1, s[0:3], 0 offen offset:8
	buffer_load_dword v5, v1, s[0:3], 0 offen offset:12
	buffer_load_dword v7, v6, s[0:3], 0 offen
	buffer_load_dword v8, v6, s[0:3], 0 offen offset:4
	buffer_load_dword v9, v6, s[0:3], 0 offen offset:8
	buffer_load_dword v10, v6, s[0:3], 0 offen offset:12
	s_waitcnt vmcnt(4)
	ds_write2_b64 v0, v[2:3], v[4:5] offset1:1
	s_waitcnt vmcnt(3)
	buffer_store_dword v7, v1, s[0:3], 0 offen
	s_waitcnt vmcnt(3)
	buffer_store_dword v8, v1, s[0:3], 0 offen offset:4
	s_waitcnt vmcnt(3)
	buffer_store_dword v9, v1, s[0:3], 0 offen offset:8
	s_waitcnt vmcnt(3)
	buffer_store_dword v10, v1, s[0:3], 0 offen offset:12
	buffer_store_dword v5, v6, s[0:3], 0 offen offset:12
	buffer_store_dword v4, v6, s[0:3], 0 offen offset:8
	buffer_store_dword v3, v6, s[0:3], 0 offen offset:4
	buffer_store_dword v2, v6, s[0:3], 0 offen
.LBB75_94:
	s_or_b64 exec, exec, s[4:5]
	v_pk_mov_b32 v[2:3], s[16:17], s[16:17] op_sel:[0,1]
	flat_load_dword v2, v[2:3] offset:24
	s_waitcnt vmcnt(0) lgkmcnt(0)
	v_add_u32_e32 v2, -1, v2
	v_cmp_ne_u32_e32 vcc, 6, v2
	s_and_saveexec_b64 s[4:5], vcc
	s_cbranch_execz .LBB75_96
; %bb.95:
	v_mov_b32_e32 v3, 0
	v_lshl_add_u32 v6, v2, 4, v3
	buffer_load_dword v2, v74, s[0:3], 0 offen
	buffer_load_dword v3, v74, s[0:3], 0 offen offset:4
	buffer_load_dword v4, v74, s[0:3], 0 offen offset:8
	buffer_load_dword v5, v74, s[0:3], 0 offen offset:12
	buffer_load_dword v7, v6, s[0:3], 0 offen
	buffer_load_dword v8, v6, s[0:3], 0 offen offset:4
	buffer_load_dword v9, v6, s[0:3], 0 offen offset:8
	buffer_load_dword v10, v6, s[0:3], 0 offen offset:12
	s_waitcnt vmcnt(4)
	ds_write2_b64 v0, v[2:3], v[4:5] offset1:1
	s_waitcnt vmcnt(3)
	buffer_store_dword v7, v74, s[0:3], 0 offen
	s_waitcnt vmcnt(3)
	buffer_store_dword v8, v74, s[0:3], 0 offen offset:4
	s_waitcnt vmcnt(3)
	buffer_store_dword v9, v74, s[0:3], 0 offen offset:8
	s_waitcnt vmcnt(3)
	buffer_store_dword v10, v74, s[0:3], 0 offen offset:12
	buffer_store_dword v5, v6, s[0:3], 0 offen offset:12
	buffer_store_dword v4, v6, s[0:3], 0 offen offset:8
	buffer_store_dword v3, v6, s[0:3], 0 offen offset:4
	buffer_store_dword v2, v6, s[0:3], 0 offen
.LBB75_96:
	s_or_b64 exec, exec, s[4:5]
	v_pk_mov_b32 v[2:3], s[16:17], s[16:17] op_sel:[0,1]
	flat_load_dword v2, v[2:3] offset:20
	s_waitcnt vmcnt(0) lgkmcnt(0)
	v_add_u32_e32 v2, -1, v2
	v_cmp_ne_u32_e32 vcc, 5, v2
	s_and_saveexec_b64 s[4:5], vcc
	s_cbranch_execz .LBB75_98
; %bb.97:
	v_mov_b32_e32 v3, 0
	v_lshl_add_u32 v6, v2, 4, v3
	buffer_load_dword v2, v72, s[0:3], 0 offen
	buffer_load_dword v3, v72, s[0:3], 0 offen offset:4
	buffer_load_dword v4, v72, s[0:3], 0 offen offset:8
	buffer_load_dword v5, v72, s[0:3], 0 offen offset:12
	buffer_load_dword v7, v6, s[0:3], 0 offen
	buffer_load_dword v8, v6, s[0:3], 0 offen offset:4
	buffer_load_dword v9, v6, s[0:3], 0 offen offset:8
	buffer_load_dword v10, v6, s[0:3], 0 offen offset:12
	s_waitcnt vmcnt(4)
	ds_write2_b64 v0, v[2:3], v[4:5] offset1:1
	s_waitcnt vmcnt(3)
	buffer_store_dword v7, v72, s[0:3], 0 offen
	s_waitcnt vmcnt(3)
	buffer_store_dword v8, v72, s[0:3], 0 offen offset:4
	s_waitcnt vmcnt(3)
	buffer_store_dword v9, v72, s[0:3], 0 offen offset:8
	s_waitcnt vmcnt(3)
	buffer_store_dword v10, v72, s[0:3], 0 offen offset:12
	buffer_store_dword v5, v6, s[0:3], 0 offen offset:12
	buffer_store_dword v4, v6, s[0:3], 0 offen offset:8
	buffer_store_dword v3, v6, s[0:3], 0 offen offset:4
	buffer_store_dword v2, v6, s[0:3], 0 offen
.LBB75_98:
	s_or_b64 exec, exec, s[4:5]
	v_pk_mov_b32 v[2:3], s[16:17], s[16:17] op_sel:[0,1]
	flat_load_dword v2, v[2:3] offset:16
	s_waitcnt vmcnt(0) lgkmcnt(0)
	v_add_u32_e32 v2, -1, v2
	v_cmp_ne_u32_e32 vcc, 4, v2
	s_and_saveexec_b64 s[4:5], vcc
	s_cbranch_execz .LBB75_100
; %bb.99:
	v_mov_b32_e32 v3, 0
	v_lshl_add_u32 v6, v2, 4, v3
	buffer_load_dword v2, v73, s[0:3], 0 offen
	buffer_load_dword v3, v73, s[0:3], 0 offen offset:4
	buffer_load_dword v4, v73, s[0:3], 0 offen offset:8
	buffer_load_dword v5, v73, s[0:3], 0 offen offset:12
	buffer_load_dword v7, v6, s[0:3], 0 offen
	buffer_load_dword v8, v6, s[0:3], 0 offen offset:4
	buffer_load_dword v9, v6, s[0:3], 0 offen offset:8
	buffer_load_dword v10, v6, s[0:3], 0 offen offset:12
	s_waitcnt vmcnt(4)
	ds_write2_b64 v0, v[2:3], v[4:5] offset1:1
	s_waitcnt vmcnt(3)
	buffer_store_dword v7, v73, s[0:3], 0 offen
	s_waitcnt vmcnt(3)
	buffer_store_dword v8, v73, s[0:3], 0 offen offset:4
	s_waitcnt vmcnt(3)
	buffer_store_dword v9, v73, s[0:3], 0 offen offset:8
	s_waitcnt vmcnt(3)
	buffer_store_dword v10, v73, s[0:3], 0 offen offset:12
	buffer_store_dword v5, v6, s[0:3], 0 offen offset:12
	buffer_store_dword v4, v6, s[0:3], 0 offen offset:8
	buffer_store_dword v3, v6, s[0:3], 0 offen offset:4
	buffer_store_dword v2, v6, s[0:3], 0 offen
.LBB75_100:
	s_or_b64 exec, exec, s[4:5]
	v_pk_mov_b32 v[2:3], s[16:17], s[16:17] op_sel:[0,1]
	flat_load_dword v2, v[2:3] offset:12
	s_waitcnt vmcnt(0) lgkmcnt(0)
	v_add_u32_e32 v2, -1, v2
	v_cmp_ne_u32_e32 vcc, 3, v2
	s_and_saveexec_b64 s[4:5], vcc
	s_cbranch_execz .LBB75_102
; %bb.101:
	v_mov_b32_e32 v3, 0
	v_lshl_add_u32 v6, v2, 4, v3
	buffer_load_dword v2, v76, s[0:3], 0 offen
	buffer_load_dword v3, v76, s[0:3], 0 offen offset:4
	buffer_load_dword v4, v76, s[0:3], 0 offen offset:8
	buffer_load_dword v5, v76, s[0:3], 0 offen offset:12
	buffer_load_dword v7, v6, s[0:3], 0 offen
	buffer_load_dword v8, v6, s[0:3], 0 offen offset:4
	buffer_load_dword v9, v6, s[0:3], 0 offen offset:8
	buffer_load_dword v10, v6, s[0:3], 0 offen offset:12
	s_waitcnt vmcnt(4)
	ds_write2_b64 v0, v[2:3], v[4:5] offset1:1
	s_waitcnt vmcnt(3)
	buffer_store_dword v7, v76, s[0:3], 0 offen
	s_waitcnt vmcnt(3)
	buffer_store_dword v8, v76, s[0:3], 0 offen offset:4
	s_waitcnt vmcnt(3)
	buffer_store_dword v9, v76, s[0:3], 0 offen offset:8
	s_waitcnt vmcnt(3)
	buffer_store_dword v10, v76, s[0:3], 0 offen offset:12
	buffer_store_dword v5, v6, s[0:3], 0 offen offset:12
	buffer_store_dword v4, v6, s[0:3], 0 offen offset:8
	buffer_store_dword v3, v6, s[0:3], 0 offen offset:4
	buffer_store_dword v2, v6, s[0:3], 0 offen
.LBB75_102:
	s_or_b64 exec, exec, s[4:5]
	v_pk_mov_b32 v[2:3], s[16:17], s[16:17] op_sel:[0,1]
	flat_load_dword v2, v[2:3] offset:8
	s_waitcnt vmcnt(0) lgkmcnt(0)
	v_add_u32_e32 v2, -1, v2
	v_cmp_ne_u32_e32 vcc, 2, v2
	s_and_saveexec_b64 s[4:5], vcc
	s_cbranch_execz .LBB75_104
; %bb.103:
	v_mov_b32_e32 v3, 0
	v_lshl_add_u32 v6, v2, 4, v3
	buffer_load_dword v2, v77, s[0:3], 0 offen
	buffer_load_dword v3, v77, s[0:3], 0 offen offset:4
	buffer_load_dword v4, v77, s[0:3], 0 offen offset:8
	buffer_load_dword v5, v77, s[0:3], 0 offen offset:12
	buffer_load_dword v7, v6, s[0:3], 0 offen
	buffer_load_dword v8, v6, s[0:3], 0 offen offset:4
	buffer_load_dword v9, v6, s[0:3], 0 offen offset:8
	buffer_load_dword v10, v6, s[0:3], 0 offen offset:12
	s_waitcnt vmcnt(4)
	ds_write2_b64 v0, v[2:3], v[4:5] offset1:1
	s_waitcnt vmcnt(3)
	buffer_store_dword v7, v77, s[0:3], 0 offen
	s_waitcnt vmcnt(3)
	buffer_store_dword v8, v77, s[0:3], 0 offen offset:4
	s_waitcnt vmcnt(3)
	buffer_store_dword v9, v77, s[0:3], 0 offen offset:8
	s_waitcnt vmcnt(3)
	buffer_store_dword v10, v77, s[0:3], 0 offen offset:12
	buffer_store_dword v5, v6, s[0:3], 0 offen offset:12
	buffer_store_dword v4, v6, s[0:3], 0 offen offset:8
	buffer_store_dword v3, v6, s[0:3], 0 offen offset:4
	buffer_store_dword v2, v6, s[0:3], 0 offen
.LBB75_104:
	s_or_b64 exec, exec, s[4:5]
	v_pk_mov_b32 v[2:3], s[16:17], s[16:17] op_sel:[0,1]
	flat_load_dword v2, v[2:3] offset:4
	s_waitcnt vmcnt(0) lgkmcnt(0)
	v_add_u32_e32 v2, -1, v2
	v_cmp_ne_u32_e32 vcc, 1, v2
	s_and_saveexec_b64 s[4:5], vcc
	s_cbranch_execz .LBB75_106
; %bb.105:
	v_mov_b32_e32 v3, 0
	v_lshl_add_u32 v6, v2, 4, v3
	buffer_load_dword v2, v75, s[0:3], 0 offen
	buffer_load_dword v3, v75, s[0:3], 0 offen offset:4
	buffer_load_dword v4, v75, s[0:3], 0 offen offset:8
	;; [unrolled: 1-line block ×3, first 2 shown]
	buffer_load_dword v7, v6, s[0:3], 0 offen
	buffer_load_dword v8, v6, s[0:3], 0 offen offset:4
	buffer_load_dword v9, v6, s[0:3], 0 offen offset:8
	;; [unrolled: 1-line block ×3, first 2 shown]
	s_waitcnt vmcnt(4)
	ds_write2_b64 v0, v[2:3], v[4:5] offset1:1
	s_waitcnt vmcnt(3)
	buffer_store_dword v7, v75, s[0:3], 0 offen
	s_waitcnt vmcnt(3)
	buffer_store_dword v8, v75, s[0:3], 0 offen offset:4
	s_waitcnt vmcnt(3)
	buffer_store_dword v9, v75, s[0:3], 0 offen offset:8
	;; [unrolled: 2-line block ×3, first 2 shown]
	buffer_store_dword v5, v6, s[0:3], 0 offen offset:12
	buffer_store_dword v4, v6, s[0:3], 0 offen offset:8
	;; [unrolled: 1-line block ×3, first 2 shown]
	buffer_store_dword v2, v6, s[0:3], 0 offen
.LBB75_106:
	s_or_b64 exec, exec, s[4:5]
	v_pk_mov_b32 v[2:3], s[16:17], s[16:17] op_sel:[0,1]
	flat_load_dword v2, v[2:3]
	s_waitcnt vmcnt(0) lgkmcnt(0)
	v_add_u32_e32 v2, -1, v2
	v_cmp_ne_u32_e32 vcc, 0, v2
	s_and_saveexec_b64 s[4:5], vcc
	s_cbranch_execz .LBB75_108
; %bb.107:
	v_mov_b32_e32 v3, 0
	v_lshl_add_u32 v6, v2, 4, v3
	buffer_load_dword v2, off, s[0:3], 0
	buffer_load_dword v3, off, s[0:3], 0 offset:4
	buffer_load_dword v4, off, s[0:3], 0 offset:8
	;; [unrolled: 1-line block ×3, first 2 shown]
	buffer_load_dword v7, v6, s[0:3], 0 offen
	buffer_load_dword v8, v6, s[0:3], 0 offen offset:4
	buffer_load_dword v9, v6, s[0:3], 0 offen offset:8
	;; [unrolled: 1-line block ×3, first 2 shown]
	s_waitcnt vmcnt(4)
	ds_write2_b64 v0, v[2:3], v[4:5] offset1:1
	s_waitcnt vmcnt(3)
	buffer_store_dword v7, off, s[0:3], 0
	s_waitcnt vmcnt(3)
	buffer_store_dword v8, off, s[0:3], 0 offset:4
	s_waitcnt vmcnt(3)
	buffer_store_dword v9, off, s[0:3], 0 offset:8
	;; [unrolled: 2-line block ×3, first 2 shown]
	buffer_store_dword v5, v6, s[0:3], 0 offen offset:12
	buffer_store_dword v4, v6, s[0:3], 0 offen offset:8
	;; [unrolled: 1-line block ×3, first 2 shown]
	buffer_store_dword v2, v6, s[0:3], 0 offen
.LBB75_108:
	s_or_b64 exec, exec, s[4:5]
.LBB75_109:
	buffer_load_dword v2, off, s[0:3], 0
	buffer_load_dword v3, off, s[0:3], 0 offset:4
	buffer_load_dword v4, off, s[0:3], 0 offset:8
	;; [unrolled: 1-line block ×3, first 2 shown]
	buffer_load_dword v7, v75, s[0:3], 0 offen offset:4
	buffer_load_dword v8, v75, s[0:3], 0 offen offset:8
	;; [unrolled: 1-line block ×3, first 2 shown]
	buffer_load_dword v10, v77, s[0:3], 0 offen
	buffer_load_dword v11, v77, s[0:3], 0 offen offset:4
	buffer_load_dword v12, v77, s[0:3], 0 offen offset:8
	buffer_load_dword v6, v75, s[0:3], 0 offen
	buffer_load_dword v13, v77, s[0:3], 0 offen offset:12
	buffer_load_dword v15, v76, s[0:3], 0 offen offset:4
	;; [unrolled: 1-line block ×4, first 2 shown]
	buffer_load_dword v18, v73, s[0:3], 0 offen
	buffer_load_dword v19, v73, s[0:3], 0 offen offset:4
	buffer_load_dword v20, v73, s[0:3], 0 offen offset:8
	buffer_load_dword v14, v76, s[0:3], 0 offen
                                        ; kill: killed $vgpr77
                                        ; kill: killed $vgpr75
                                        ; kill: killed $vgpr76
	buffer_load_dword v21, v73, s[0:3], 0 offen offset:12
	buffer_load_dword v47, v72, s[0:3], 0 offen offset:4
	;; [unrolled: 1-line block ×4, first 2 shown]
	buffer_load_dword v50, v74, s[0:3], 0 offen
	buffer_load_dword v51, v74, s[0:3], 0 offen offset:4
	buffer_load_dword v52, v74, s[0:3], 0 offen offset:8
	buffer_load_dword v46, v72, s[0:3], 0 offen
	buffer_load_dword v53, v74, s[0:3], 0 offen offset:12
	buffer_load_dword v55, v1, s[0:3], 0 offen offset:4
	;; [unrolled: 1-line block ×4, first 2 shown]
	buffer_load_dword v58, v68, s[0:3], 0 offen
	buffer_load_dword v59, v68, s[0:3], 0 offen offset:4
	buffer_load_dword v60, v68, s[0:3], 0 offen offset:8
                                        ; kill: killed $vgpr73
                                        ; kill: killed $vgpr74
                                        ; kill: killed $vgpr72
	buffer_load_dword v54, v1, s[0:3], 0 offen
	buffer_load_dword v61, v68, s[0:3], 0 offen offset:12
	buffer_load_dword v63, v69, s[0:3], 0 offen offset:4
	;; [unrolled: 1-line block ×4, first 2 shown]
	buffer_load_dword v72, v70, s[0:3], 0 offen
	buffer_load_dword v73, v70, s[0:3], 0 offen offset:4
	buffer_load_dword v74, v70, s[0:3], 0 offen offset:8
	buffer_load_dword v62, v69, s[0:3], 0 offen
	buffer_load_dword v75, v70, s[0:3], 0 offen offset:12
	buffer_load_dword v76, v71, s[0:3], 0 offen
	buffer_load_dword v77, v71, s[0:3], 0 offen offset:4
	buffer_load_dword v78, v71, s[0:3], 0 offen offset:8
	;; [unrolled: 1-line block ×3, first 2 shown]
	s_waitcnt vmcnt(44)
	global_store_dwordx4 v[22:23], v[2:5], off
	s_waitcnt vmcnt(38)
	global_store_dwordx4 v[24:25], v[6:9], off
	;; [unrolled: 2-line block ×12, first 2 shown]
	s_endpgm
	.section	.rodata,"a",@progbits
	.p2align	6, 0x0
	.amdhsa_kernel _ZN9rocsolver6v33100L18getri_kernel_smallILi12E19rocblas_complex_numIdEPKPS3_EEvT1_iilPiilS8_bb
		.amdhsa_group_segment_fixed_size 1416
		.amdhsa_private_segment_fixed_size 208
		.amdhsa_kernarg_size 60
		.amdhsa_user_sgpr_count 10
		.amdhsa_user_sgpr_private_segment_buffer 1
		.amdhsa_user_sgpr_dispatch_ptr 1
		.amdhsa_user_sgpr_queue_ptr 0
		.amdhsa_user_sgpr_kernarg_segment_ptr 1
		.amdhsa_user_sgpr_dispatch_id 0
		.amdhsa_user_sgpr_flat_scratch_init 1
		.amdhsa_user_sgpr_kernarg_preload_length 0
		.amdhsa_user_sgpr_kernarg_preload_offset 0
		.amdhsa_user_sgpr_private_segment_size 0
		.amdhsa_uses_dynamic_stack 0
		.amdhsa_system_sgpr_private_segment_wavefront_offset 1
		.amdhsa_system_sgpr_workgroup_id_x 1
		.amdhsa_system_sgpr_workgroup_id_y 0
		.amdhsa_system_sgpr_workgroup_id_z 0
		.amdhsa_system_sgpr_workgroup_info 0
		.amdhsa_system_vgpr_workitem_id 2
		.amdhsa_next_free_vgpr 150
		.amdhsa_next_free_sgpr 24
		.amdhsa_accum_offset 152
		.amdhsa_reserve_vcc 1
		.amdhsa_reserve_flat_scratch 1
		.amdhsa_float_round_mode_32 0
		.amdhsa_float_round_mode_16_64 0
		.amdhsa_float_denorm_mode_32 3
		.amdhsa_float_denorm_mode_16_64 3
		.amdhsa_dx10_clamp 1
		.amdhsa_ieee_mode 1
		.amdhsa_fp16_overflow 0
		.amdhsa_tg_split 0
		.amdhsa_exception_fp_ieee_invalid_op 0
		.amdhsa_exception_fp_denorm_src 0
		.amdhsa_exception_fp_ieee_div_zero 0
		.amdhsa_exception_fp_ieee_overflow 0
		.amdhsa_exception_fp_ieee_underflow 0
		.amdhsa_exception_fp_ieee_inexact 0
		.amdhsa_exception_int_div_zero 0
	.end_amdhsa_kernel
	.section	.text._ZN9rocsolver6v33100L18getri_kernel_smallILi12E19rocblas_complex_numIdEPKPS3_EEvT1_iilPiilS8_bb,"axG",@progbits,_ZN9rocsolver6v33100L18getri_kernel_smallILi12E19rocblas_complex_numIdEPKPS3_EEvT1_iilPiilS8_bb,comdat
.Lfunc_end75:
	.size	_ZN9rocsolver6v33100L18getri_kernel_smallILi12E19rocblas_complex_numIdEPKPS3_EEvT1_iilPiilS8_bb, .Lfunc_end75-_ZN9rocsolver6v33100L18getri_kernel_smallILi12E19rocblas_complex_numIdEPKPS3_EEvT1_iilPiilS8_bb
                                        ; -- End function
	.section	.AMDGPU.csdata,"",@progbits
; Kernel info:
; codeLenInByte = 16376
; NumSgprs: 30
; NumVgprs: 150
; NumAgprs: 0
; TotalNumVgprs: 150
; ScratchSize: 208
; MemoryBound: 0
; FloatMode: 240
; IeeeMode: 1
; LDSByteSize: 1416 bytes/workgroup (compile time only)
; SGPRBlocks: 3
; VGPRBlocks: 18
; NumSGPRsForWavesPerEU: 30
; NumVGPRsForWavesPerEU: 150
; AccumOffset: 152
; Occupancy: 3
; WaveLimiterHint : 1
; COMPUTE_PGM_RSRC2:SCRATCH_EN: 1
; COMPUTE_PGM_RSRC2:USER_SGPR: 10
; COMPUTE_PGM_RSRC2:TRAP_HANDLER: 0
; COMPUTE_PGM_RSRC2:TGID_X_EN: 1
; COMPUTE_PGM_RSRC2:TGID_Y_EN: 0
; COMPUTE_PGM_RSRC2:TGID_Z_EN: 0
; COMPUTE_PGM_RSRC2:TIDIG_COMP_CNT: 2
; COMPUTE_PGM_RSRC3_GFX90A:ACCUM_OFFSET: 37
; COMPUTE_PGM_RSRC3_GFX90A:TG_SPLIT: 0
	.section	.text._ZN9rocsolver6v33100L18getri_kernel_smallILi13E19rocblas_complex_numIdEPKPS3_EEvT1_iilPiilS8_bb,"axG",@progbits,_ZN9rocsolver6v33100L18getri_kernel_smallILi13E19rocblas_complex_numIdEPKPS3_EEvT1_iilPiilS8_bb,comdat
	.globl	_ZN9rocsolver6v33100L18getri_kernel_smallILi13E19rocblas_complex_numIdEPKPS3_EEvT1_iilPiilS8_bb ; -- Begin function _ZN9rocsolver6v33100L18getri_kernel_smallILi13E19rocblas_complex_numIdEPKPS3_EEvT1_iilPiilS8_bb
	.p2align	8
	.type	_ZN9rocsolver6v33100L18getri_kernel_smallILi13E19rocblas_complex_numIdEPKPS3_EEvT1_iilPiilS8_bb,@function
_ZN9rocsolver6v33100L18getri_kernel_smallILi13E19rocblas_complex_numIdEPKPS3_EEvT1_iilPiilS8_bb: ; @_ZN9rocsolver6v33100L18getri_kernel_smallILi13E19rocblas_complex_numIdEPKPS3_EEvT1_iilPiilS8_bb
; %bb.0:
	s_add_u32 flat_scratch_lo, s8, s11
	s_addc_u32 flat_scratch_hi, s9, 0
	s_add_u32 s0, s0, s11
	v_and_b32_e32 v81, 0x3ff, v0
	s_addc_u32 s1, s1, 0
	v_cmp_gt_u32_e32 vcc, 13, v81
	s_and_saveexec_b64 s[8:9], vcc
	s_cbranch_execz .LBB76_66
; %bb.1:
	s_load_dword s20, s[6:7], 0x38
	s_load_dwordx2 s[8:9], s[6:7], 0x0
	s_load_dwordx4 s[12:15], s[6:7], 0x28
	s_waitcnt lgkmcnt(0)
	s_bitcmp1_b32 s20, 8
	s_cselect_b64 s[18:19], -1, 0
	s_ashr_i32 s11, s10, 31
	s_lshl_b64 s[16:17], s[10:11], 3
	s_add_u32 s8, s8, s16
	s_addc_u32 s9, s9, s17
	s_load_dwordx2 s[8:9], s[8:9], 0x0
	s_bfe_u32 s16, s20, 0x10008
	s_cmp_eq_u32 s16, 0
                                        ; implicit-def: $sgpr16_sgpr17
	s_cbranch_scc1 .LBB76_3
; %bb.2:
	s_load_dword s16, s[6:7], 0x20
	s_load_dwordx2 s[22:23], s[6:7], 0x18
	s_mul_i32 s13, s10, s13
	s_mul_hi_u32 s17, s10, s12
	s_add_i32 s13, s17, s13
	s_mul_i32 s21, s11, s12
	s_add_i32 s13, s13, s21
	s_mul_i32 s12, s10, s12
	s_waitcnt lgkmcnt(0)
	s_ashr_i32 s17, s16, 31
	s_lshl_b64 s[12:13], s[12:13], 2
	s_add_u32 s21, s22, s12
	s_addc_u32 s22, s23, s13
	s_lshl_b64 s[12:13], s[16:17], 2
	s_add_u32 s16, s21, s12
	s_addc_u32 s17, s22, s13
.LBB76_3:
	s_load_dwordx2 s[6:7], s[6:7], 0x8
	v_lshlrev_b32_e32 v12, 4, v81
	s_waitcnt lgkmcnt(0)
	s_ashr_i32 s13, s6, 31
	s_mov_b32 s12, s6
	s_lshl_b64 s[12:13], s[12:13], 4
	s_add_u32 s8, s8, s12
	s_addc_u32 s9, s9, s13
	v_mov_b32_e32 v1, s9
	v_add_co_u32_e32 v22, vcc, s8, v12
	s_ashr_i32 s13, s7, 31
	s_mov_b32 s12, s7
	s_add_i32 s6, s7, s7
	v_addc_co_u32_e32 v23, vcc, 0, v1, vcc
	s_lshl_b64 s[12:13], s[12:13], 4
	v_add_u32_e32 v10, s6, v81
	v_mov_b32_e32 v1, s13
	v_add_co_u32_e32 v24, vcc, s12, v22
	v_ashrrev_i32_e32 v11, 31, v10
	v_addc_co_u32_e32 v25, vcc, v23, v1, vcc
	v_lshlrev_b64 v[6:7], 4, v[10:11]
	v_add_u32_e32 v10, s7, v10
	v_mov_b32_e32 v1, s9
	v_add_co_u32_e32 v26, vcc, s8, v6
	v_ashrrev_i32_e32 v11, 31, v10
	v_addc_co_u32_e32 v27, vcc, v1, v7, vcc
	v_lshlrev_b64 v[18:19], 4, v[10:11]
	v_add_u32_e32 v10, s7, v10
	v_add_co_u32_e32 v28, vcc, s8, v18
	v_ashrrev_i32_e32 v11, 31, v10
	v_addc_co_u32_e32 v29, vcc, v1, v19, vcc
	v_lshlrev_b64 v[18:19], 4, v[10:11]
	v_add_u32_e32 v10, s7, v10
	v_add_co_u32_e32 v30, vcc, s8, v18
	v_ashrrev_i32_e32 v11, 31, v10
	v_addc_co_u32_e32 v31, vcc, v1, v19, vcc
	v_add_u32_e32 v34, s7, v10
	v_lshlrev_b64 v[10:11], 4, v[10:11]
	v_ashrrev_i32_e32 v35, 31, v34
	v_add_co_u32_e32 v32, vcc, s8, v10
	v_add_u32_e32 v38, s7, v34
	v_addc_co_u32_e32 v33, vcc, v1, v11, vcc
	v_lshlrev_b64 v[10:11], 4, v[34:35]
	v_mov_b32_e32 v13, s9
	v_ashrrev_i32_e32 v39, 31, v38
	v_add_co_u32_e32 v34, vcc, s8, v10
	v_addc_co_u32_e32 v35, vcc, v13, v11, vcc
	v_lshlrev_b64 v[10:11], 4, v[38:39]
	v_mov_b32_e32 v37, s9
	v_add_co_u32_e32 v36, vcc, s8, v10
	v_add_u32_e32 v10, s7, v38
	v_addc_co_u32_e32 v37, vcc, v37, v11, vcc
	v_ashrrev_i32_e32 v11, 31, v10
	v_lshlrev_b64 v[38:39], 4, v[10:11]
	v_add_u32_e32 v10, s7, v10
	v_add_co_u32_e32 v38, vcc, s8, v38
	v_ashrrev_i32_e32 v11, 31, v10
	v_addc_co_u32_e32 v39, vcc, v1, v39, vcc
	v_lshlrev_b64 v[40:41], 4, v[10:11]
	v_add_u32_e32 v10, s7, v10
	v_add_co_u32_e32 v40, vcc, s8, v40
	v_ashrrev_i32_e32 v11, 31, v10
	v_addc_co_u32_e32 v41, vcc, v1, v41, vcc
	;; [unrolled: 5-line block ×4, first 2 shown]
	v_lshlrev_b64 v[10:11], 4, v[10:11]
	global_load_dwordx4 v[2:5], v12, s[8:9]
	global_load_dwordx4 v[6:9], v[24:25], off
	global_load_dwordx4 v[14:17], v[26:27], off
	;; [unrolled: 1-line block ×4, first 2 shown]
	v_add_co_u32_e32 v46, vcc, s8, v10
	global_load_dwordx4 v[52:55], v[32:33], off
	global_load_dwordx4 v[56:59], v[34:35], off
	v_addc_co_u32_e32 v47, vcc, v1, v11, vcc
	global_load_dwordx4 v[60:63], v[36:37], off
	global_load_dwordx4 v[64:67], v[38:39], off
	;; [unrolled: 1-line block ×6, first 2 shown]
	s_waitcnt vmcnt(12)
	buffer_store_dword v5, off, s[0:3], 0 offset:12
	buffer_store_dword v4, off, s[0:3], 0 offset:8
	;; [unrolled: 1-line block ×3, first 2 shown]
	buffer_store_dword v2, off, s[0:3], 0
	s_waitcnt vmcnt(15)
	buffer_store_dword v9, off, s[0:3], 0 offset:28
	buffer_store_dword v8, off, s[0:3], 0 offset:24
	buffer_store_dword v7, off, s[0:3], 0 offset:20
	buffer_store_dword v6, off, s[0:3], 0 offset:16
	s_waitcnt vmcnt(18)
	buffer_store_dword v17, off, s[0:3], 0 offset:44
	buffer_store_dword v16, off, s[0:3], 0 offset:40
	buffer_store_dword v15, off, s[0:3], 0 offset:36
	buffer_store_dword v14, off, s[0:3], 0 offset:32
	;; [unrolled: 5-line block ×5, first 2 shown]
	v_mov_b32_e32 v2, 0
	v_add_u32_e32 v79, 16, v2
	v_add_u32_e32 v78, 32, v2
	;; [unrolled: 1-line block ×12, first 2 shown]
	s_bitcmp0_b32 s20, 0
	s_mov_b64 s[8:9], -1
	s_waitcnt vmcnt(30)
	buffer_store_dword v59, off, s[0:3], 0 offset:108
	buffer_store_dword v58, off, s[0:3], 0 offset:104
	buffer_store_dword v57, off, s[0:3], 0 offset:100
	buffer_store_dword v56, off, s[0:3], 0 offset:96
	s_waitcnt vmcnt(33)
	buffer_store_dword v63, off, s[0:3], 0 offset:124
	buffer_store_dword v62, off, s[0:3], 0 offset:120
	buffer_store_dword v61, off, s[0:3], 0 offset:116
	buffer_store_dword v60, off, s[0:3], 0 offset:112
	;; [unrolled: 5-line block ×7, first 2 shown]
	s_cbranch_scc1 .LBB76_64
; %bb.4:
	v_cmp_eq_u32_e64 s[6:7], 0, v81
	s_and_saveexec_b64 s[8:9], s[6:7]
	s_cbranch_execz .LBB76_6
; %bb.5:
	v_mov_b32_e32 v2, 0
	ds_write_b32 v2, v2 offset:416
.LBB76_6:
	s_or_b64 exec, exec, s[8:9]
	v_mov_b32_e32 v2, 0
	v_lshl_add_u32 v13, v81, 4, v2
	s_waitcnt lgkmcnt(0)
	; wave barrier
	s_waitcnt lgkmcnt(0)
	buffer_load_dword v2, v13, s[0:3], 0 offen
	buffer_load_dword v3, v13, s[0:3], 0 offen offset:4
	buffer_load_dword v4, v13, s[0:3], 0 offen offset:8
	;; [unrolled: 1-line block ×3, first 2 shown]
	s_waitcnt vmcnt(2)
	v_cmp_eq_f64_e32 vcc, 0, v[2:3]
	s_waitcnt vmcnt(0)
	v_cmp_eq_f64_e64 s[8:9], 0, v[4:5]
	s_and_b64 s[8:9], vcc, s[8:9]
	s_and_saveexec_b64 s[12:13], s[8:9]
	s_cbranch_execz .LBB76_10
; %bb.7:
	v_mov_b32_e32 v2, 0
	ds_read_b32 v4, v2 offset:416
	v_add_u32_e32 v3, 1, v81
	s_waitcnt lgkmcnt(0)
	v_readfirstlane_b32 s8, v4
	s_cmp_eq_u32 s8, 0
	s_cselect_b64 s[20:21], -1, 0
	v_cmp_gt_i32_e32 vcc, s8, v3
	s_or_b64 s[20:21], s[20:21], vcc
	s_and_b64 exec, exec, s[20:21]
	s_cbranch_execz .LBB76_10
; %bb.8:
	s_mov_b64 s[20:21], 0
	v_mov_b32_e32 v4, s8
.LBB76_9:                               ; =>This Inner Loop Header: Depth=1
	ds_cmpst_rtn_b32 v4, v2, v4, v3 offset:416
	s_waitcnt lgkmcnt(0)
	v_cmp_ne_u32_e32 vcc, 0, v4
	v_cmp_le_i32_e64 s[8:9], v4, v3
	s_and_b64 s[8:9], vcc, s[8:9]
	s_and_b64 s[8:9], exec, s[8:9]
	s_or_b64 s[20:21], s[8:9], s[20:21]
	s_andn2_b64 exec, exec, s[20:21]
	s_cbranch_execnz .LBB76_9
.LBB76_10:
	s_or_b64 exec, exec, s[12:13]
	v_mov_b32_e32 v3, 0
	s_waitcnt lgkmcnt(0)
	; wave barrier
	ds_read_b32 v2, v3 offset:416
	s_and_saveexec_b64 s[8:9], s[6:7]
	s_cbranch_execz .LBB76_12
; %bb.11:
	s_lshl_b64 s[12:13], s[10:11], 2
	s_add_u32 s12, s14, s12
	s_addc_u32 s13, s15, s13
	s_waitcnt lgkmcnt(0)
	global_store_dword v3, v2, s[12:13]
.LBB76_12:
	s_or_b64 exec, exec, s[8:9]
	s_waitcnt lgkmcnt(0)
	v_cmp_ne_u32_e32 vcc, 0, v2
	s_mov_b64 s[8:9], 0
	s_cbranch_vccnz .LBB76_64
; %bb.13:
	buffer_load_dword v7, v13, s[0:3], 0 offen offset:4
	buffer_load_dword v6, v13, s[0:3], 0 offen
	buffer_load_dword v9, v13, s[0:3], 0 offen offset:12
	buffer_load_dword v8, v13, s[0:3], 0 offen offset:8
                                        ; implicit-def: $vgpr10_vgpr11
	s_waitcnt vmcnt(3)
	v_xor_b32_e32 v3, 0x80000000, v7
	s_waitcnt vmcnt(2)
	v_cmp_gt_f64_e32 vcc, 0, v[6:7]
	s_waitcnt vmcnt(1)
	v_xor_b32_e32 v4, 0x80000000, v9
	v_cndmask_b32_e32 v3, v7, v3, vcc
	s_waitcnt vmcnt(0)
	v_cmp_gt_f64_e32 vcc, 0, v[8:9]
	v_mov_b32_e32 v2, v6
	v_cndmask_b32_e32 v5, v9, v4, vcc
	v_mov_b32_e32 v4, v8
	v_cmp_ngt_f64_e32 vcc, v[2:3], v[4:5]
                                        ; implicit-def: $vgpr4_vgpr5
	s_and_saveexec_b64 s[8:9], vcc
	s_xor_b64 s[8:9], exec, s[8:9]
	s_cbranch_execz .LBB76_15
; %bb.14:
	v_div_scale_f64 v[2:3], s[12:13], v[8:9], v[8:9], v[6:7]
	v_rcp_f64_e32 v[4:5], v[2:3]
	v_div_scale_f64 v[10:11], vcc, v[6:7], v[8:9], v[6:7]
	v_fma_f64 v[14:15], -v[2:3], v[4:5], 1.0
	v_fmac_f64_e32 v[4:5], v[4:5], v[14:15]
	v_fma_f64 v[14:15], -v[2:3], v[4:5], 1.0
	v_fmac_f64_e32 v[4:5], v[4:5], v[14:15]
	v_mul_f64 v[14:15], v[10:11], v[4:5]
	v_fma_f64 v[2:3], -v[2:3], v[14:15], v[10:11]
	v_div_fmas_f64 v[2:3], v[2:3], v[4:5], v[14:15]
	v_div_fixup_f64 v[2:3], v[2:3], v[8:9], v[6:7]
	v_fmac_f64_e32 v[8:9], v[6:7], v[2:3]
	v_div_scale_f64 v[4:5], s[12:13], v[8:9], v[8:9], 1.0
	v_rcp_f64_e32 v[6:7], v[4:5]
	v_fma_f64 v[10:11], -v[4:5], v[6:7], 1.0
	v_fmac_f64_e32 v[6:7], v[6:7], v[10:11]
	v_fma_f64 v[10:11], -v[4:5], v[6:7], 1.0
	v_fmac_f64_e32 v[6:7], v[6:7], v[10:11]
	v_div_scale_f64 v[10:11], vcc, 1.0, v[8:9], 1.0
	v_mul_f64 v[14:15], v[10:11], v[6:7]
	v_fma_f64 v[4:5], -v[4:5], v[14:15], v[10:11]
	s_nop 1
	v_div_fmas_f64 v[4:5], v[4:5], v[6:7], v[14:15]
	v_div_fixup_f64 v[4:5], v[4:5], v[8:9], 1.0
	v_mul_f64 v[10:11], v[2:3], v[4:5]
	v_xor_b32_e32 v5, 0x80000000, v5
	v_xor_b32_e32 v3, 0x80000000, v11
	v_mov_b32_e32 v2, v10
                                        ; implicit-def: $vgpr6_vgpr7
                                        ; implicit-def: $vgpr8_vgpr9
.LBB76_15:
	s_andn2_saveexec_b64 s[8:9], s[8:9]
	s_cbranch_execz .LBB76_17
; %bb.16:
	v_div_scale_f64 v[2:3], s[12:13], v[6:7], v[6:7], v[8:9]
	v_rcp_f64_e32 v[4:5], v[2:3]
	v_div_scale_f64 v[10:11], vcc, v[8:9], v[6:7], v[8:9]
	v_fma_f64 v[14:15], -v[2:3], v[4:5], 1.0
	v_fmac_f64_e32 v[4:5], v[4:5], v[14:15]
	v_fma_f64 v[14:15], -v[2:3], v[4:5], 1.0
	v_fmac_f64_e32 v[4:5], v[4:5], v[14:15]
	v_mul_f64 v[14:15], v[10:11], v[4:5]
	v_fma_f64 v[2:3], -v[2:3], v[14:15], v[10:11]
	v_div_fmas_f64 v[2:3], v[2:3], v[4:5], v[14:15]
	v_div_fixup_f64 v[4:5], v[2:3], v[6:7], v[8:9]
	v_fmac_f64_e32 v[6:7], v[8:9], v[4:5]
	v_div_scale_f64 v[2:3], s[12:13], v[6:7], v[6:7], 1.0
	v_rcp_f64_e32 v[8:9], v[2:3]
	v_fma_f64 v[10:11], -v[2:3], v[8:9], 1.0
	v_fmac_f64_e32 v[8:9], v[8:9], v[10:11]
	v_fma_f64 v[10:11], -v[2:3], v[8:9], 1.0
	v_fmac_f64_e32 v[8:9], v[8:9], v[10:11]
	v_div_scale_f64 v[10:11], vcc, 1.0, v[6:7], 1.0
	v_mul_f64 v[14:15], v[10:11], v[8:9]
	v_fma_f64 v[2:3], -v[2:3], v[14:15], v[10:11]
	s_nop 1
	v_div_fmas_f64 v[2:3], v[2:3], v[8:9], v[14:15]
	v_div_fixup_f64 v[10:11], v[2:3], v[6:7], 1.0
	v_xor_b32_e32 v3, 0x80000000, v11
	v_mov_b32_e32 v2, v10
	v_mul_f64 v[4:5], v[4:5], -v[10:11]
.LBB76_17:
	s_or_b64 exec, exec, s[8:9]
	buffer_store_dword v11, v13, s[0:3], 0 offen offset:4
	buffer_store_dword v10, v13, s[0:3], 0 offen
	buffer_store_dword v5, v13, s[0:3], 0 offen offset:12
	buffer_store_dword v4, v13, s[0:3], 0 offen offset:8
	buffer_load_dword v11, v79, s[0:3], 0 offen offset:12
	s_nop 0
	buffer_load_dword v10, v79, s[0:3], 0 offen offset:8
	buffer_load_dword v9, v79, s[0:3], 0 offen offset:4
	buffer_load_dword v8, v79, s[0:3], 0 offen
	v_xor_b32_e32 v5, 0x80000000, v5
	v_add_u32_e32 v6, 0xd0, v12
	ds_write_b128 v12, v[2:5]
	s_waitcnt vmcnt(0)
	ds_write_b128 v12, v[8:11] offset:208
	s_waitcnt lgkmcnt(0)
	; wave barrier
	s_waitcnt lgkmcnt(0)
	s_and_saveexec_b64 s[8:9], s[6:7]
	s_cbranch_execz .LBB76_19
; %bb.18:
	buffer_load_dword v14, v13, s[0:3], 0 offen offset:8
	buffer_load_dword v15, v13, s[0:3], 0 offen offset:12
	buffer_load_dword v16, v13, s[0:3], 0 offen
	buffer_load_dword v17, v13, s[0:3], 0 offen offset:4
	ds_read_b128 v[2:5], v6
	v_mov_b32_e32 v7, 0
	ds_read_b128 v[8:11], v7 offset:16
	s_waitcnt vmcnt(2) lgkmcnt(1)
	v_mul_f64 v[18:19], v[4:5], v[14:15]
	v_mul_f64 v[14:15], v[2:3], v[14:15]
	s_waitcnt vmcnt(0)
	v_fmac_f64_e32 v[14:15], v[4:5], v[16:17]
	v_fma_f64 v[2:3], v[2:3], v[16:17], -v[18:19]
	v_add_f64 v[4:5], v[14:15], 0
	v_add_f64 v[2:3], v[2:3], 0
	s_waitcnt lgkmcnt(0)
	v_mul_f64 v[14:15], v[4:5], v[10:11]
	v_mul_f64 v[10:11], v[2:3], v[10:11]
	v_fma_f64 v[2:3], v[2:3], v[8:9], -v[14:15]
	v_fmac_f64_e32 v[10:11], v[4:5], v[8:9]
	buffer_store_dword v2, off, s[0:3], 0 offset:16
	buffer_store_dword v3, off, s[0:3], 0 offset:20
	;; [unrolled: 1-line block ×4, first 2 shown]
.LBB76_19:
	s_or_b64 exec, exec, s[8:9]
	s_waitcnt lgkmcnt(0)
	; wave barrier
	buffer_load_dword v2, v78, s[0:3], 0 offen
	buffer_load_dword v3, v78, s[0:3], 0 offen offset:4
	buffer_load_dword v4, v78, s[0:3], 0 offen offset:8
	;; [unrolled: 1-line block ×3, first 2 shown]
	v_cmp_gt_u32_e32 vcc, 2, v81
	s_waitcnt vmcnt(0)
	ds_write_b128 v6, v[2:5]
	s_waitcnt lgkmcnt(0)
	; wave barrier
	s_waitcnt lgkmcnt(0)
	s_and_saveexec_b64 s[8:9], vcc
	s_cbranch_execz .LBB76_23
; %bb.20:
	buffer_load_dword v8, v13, s[0:3], 0 offen offset:8
	buffer_load_dword v9, v13, s[0:3], 0 offen offset:12
	buffer_load_dword v10, v13, s[0:3], 0 offen
	buffer_load_dword v11, v13, s[0:3], 0 offen offset:4
	ds_read_b128 v[2:5], v6
	s_waitcnt vmcnt(2) lgkmcnt(0)
	v_mul_f64 v[14:15], v[4:5], v[8:9]
	v_mul_f64 v[8:9], v[2:3], v[8:9]
	s_waitcnt vmcnt(0)
	v_fma_f64 v[2:3], v[2:3], v[10:11], -v[14:15]
	v_fmac_f64_e32 v[8:9], v[4:5], v[10:11]
	v_add_f64 v[4:5], v[2:3], 0
	v_add_f64 v[2:3], v[8:9], 0
	s_and_saveexec_b64 s[12:13], s[6:7]
	s_cbranch_execz .LBB76_22
; %bb.21:
	buffer_load_dword v14, off, s[0:3], 0 offset:24
	buffer_load_dword v15, off, s[0:3], 0 offset:28
	;; [unrolled: 1-line block ×4, first 2 shown]
	v_mov_b32_e32 v7, 0
	ds_read_b128 v[8:11], v7 offset:224
	s_waitcnt vmcnt(2) lgkmcnt(0)
	v_mul_f64 v[18:19], v[8:9], v[14:15]
	v_mul_f64 v[14:15], v[10:11], v[14:15]
	s_waitcnt vmcnt(0)
	v_fmac_f64_e32 v[18:19], v[10:11], v[16:17]
	v_fma_f64 v[8:9], v[8:9], v[16:17], -v[14:15]
	v_add_f64 v[2:3], v[2:3], v[18:19]
	v_add_f64 v[4:5], v[4:5], v[8:9]
.LBB76_22:
	s_or_b64 exec, exec, s[12:13]
	v_mov_b32_e32 v7, 0
	ds_read_b128 v[8:11], v7 offset:32
	s_waitcnt lgkmcnt(0)
	v_mul_f64 v[14:15], v[2:3], v[10:11]
	v_mul_f64 v[10:11], v[4:5], v[10:11]
	v_fma_f64 v[4:5], v[4:5], v[8:9], -v[14:15]
	v_fmac_f64_e32 v[10:11], v[2:3], v[8:9]
	buffer_store_dword v5, off, s[0:3], 0 offset:36
	buffer_store_dword v4, off, s[0:3], 0 offset:32
	;; [unrolled: 1-line block ×4, first 2 shown]
.LBB76_23:
	s_or_b64 exec, exec, s[8:9]
	s_waitcnt lgkmcnt(0)
	; wave barrier
	buffer_load_dword v2, v80, s[0:3], 0 offen
	buffer_load_dword v3, v80, s[0:3], 0 offen offset:4
	buffer_load_dword v4, v80, s[0:3], 0 offen offset:8
	buffer_load_dword v5, v80, s[0:3], 0 offen offset:12
	v_cmp_gt_u32_e32 vcc, 3, v81
	v_add_u32_e32 v7, -1, v81
	s_waitcnt vmcnt(0)
	ds_write_b128 v6, v[2:5]
	s_waitcnt lgkmcnt(0)
	; wave barrier
	s_waitcnt lgkmcnt(0)
	s_and_saveexec_b64 s[6:7], vcc
	s_cbranch_execz .LBB76_27
; %bb.24:
	v_pk_mov_b32 v[2:3], 0, 0
	v_add_u32_e32 v8, -1, v81
	v_add_u32_e32 v9, 0xd0, v12
	v_add_u32_e32 v10, 0, v12
	s_mov_b64 s[8:9], 0
	v_pk_mov_b32 v[4:5], v[2:3], v[2:3] op_sel:[0,1]
.LBB76_25:                              ; =>This Inner Loop Header: Depth=1
	buffer_load_dword v18, v10, s[0:3], 0 offen offset:8
	buffer_load_dword v19, v10, s[0:3], 0 offen offset:12
	buffer_load_dword v20, v10, s[0:3], 0 offen
	buffer_load_dword v21, v10, s[0:3], 0 offen offset:4
	ds_read_b128 v[14:17], v9
	v_add_u32_e32 v8, 1, v8
	v_cmp_lt_u32_e32 vcc, 1, v8
	v_add_u32_e32 v9, 16, v9
	v_add_u32_e32 v10, 16, v10
	s_or_b64 s[8:9], vcc, s[8:9]
	s_waitcnt vmcnt(2) lgkmcnt(0)
	v_mul_f64 v[48:49], v[16:17], v[18:19]
	v_mul_f64 v[18:19], v[14:15], v[18:19]
	s_waitcnt vmcnt(0)
	v_fma_f64 v[14:15], v[14:15], v[20:21], -v[48:49]
	v_fmac_f64_e32 v[18:19], v[16:17], v[20:21]
	v_add_f64 v[4:5], v[4:5], v[14:15]
	v_add_f64 v[2:3], v[2:3], v[18:19]
	s_andn2_b64 exec, exec, s[8:9]
	s_cbranch_execnz .LBB76_25
; %bb.26:
	s_or_b64 exec, exec, s[8:9]
	v_mov_b32_e32 v8, 0
	ds_read_b128 v[8:11], v8 offset:48
	s_waitcnt lgkmcnt(0)
	v_mul_f64 v[14:15], v[2:3], v[10:11]
	v_mul_f64 v[10:11], v[4:5], v[10:11]
	v_fma_f64 v[4:5], v[4:5], v[8:9], -v[14:15]
	v_fmac_f64_e32 v[10:11], v[2:3], v[8:9]
	buffer_store_dword v5, off, s[0:3], 0 offset:52
	buffer_store_dword v4, off, s[0:3], 0 offset:48
	buffer_store_dword v11, off, s[0:3], 0 offset:60
	buffer_store_dword v10, off, s[0:3], 0 offset:56
.LBB76_27:
	s_or_b64 exec, exec, s[6:7]
	s_waitcnt lgkmcnt(0)
	; wave barrier
	buffer_load_dword v2, v74, s[0:3], 0 offen
	buffer_load_dword v3, v74, s[0:3], 0 offen offset:4
	buffer_load_dword v4, v74, s[0:3], 0 offen offset:8
	buffer_load_dword v5, v74, s[0:3], 0 offen offset:12
	v_cmp_gt_u32_e32 vcc, 4, v81
	s_waitcnt vmcnt(0)
	ds_write_b128 v6, v[2:5]
	s_waitcnt lgkmcnt(0)
	; wave barrier
	s_waitcnt lgkmcnt(0)
	s_and_saveexec_b64 s[6:7], vcc
	s_cbranch_execz .LBB76_31
; %bb.28:
	v_pk_mov_b32 v[2:3], 0, 0
	v_add_u32_e32 v8, -1, v81
	v_add_u32_e32 v9, 0xd0, v12
	v_add_u32_e32 v10, 0, v12
	s_mov_b64 s[8:9], 0
	v_pk_mov_b32 v[4:5], v[2:3], v[2:3] op_sel:[0,1]
.LBB76_29:                              ; =>This Inner Loop Header: Depth=1
	buffer_load_dword v18, v10, s[0:3], 0 offen offset:8
	buffer_load_dword v19, v10, s[0:3], 0 offen offset:12
	buffer_load_dword v20, v10, s[0:3], 0 offen
	buffer_load_dword v21, v10, s[0:3], 0 offen offset:4
	ds_read_b128 v[14:17], v9
	v_add_u32_e32 v8, 1, v8
	v_cmp_lt_u32_e32 vcc, 2, v8
	v_add_u32_e32 v9, 16, v9
	v_add_u32_e32 v10, 16, v10
	s_or_b64 s[8:9], vcc, s[8:9]
	s_waitcnt vmcnt(2) lgkmcnt(0)
	v_mul_f64 v[48:49], v[16:17], v[18:19]
	v_mul_f64 v[18:19], v[14:15], v[18:19]
	s_waitcnt vmcnt(0)
	v_fma_f64 v[14:15], v[14:15], v[20:21], -v[48:49]
	v_fmac_f64_e32 v[18:19], v[16:17], v[20:21]
	v_add_f64 v[4:5], v[4:5], v[14:15]
	v_add_f64 v[2:3], v[2:3], v[18:19]
	s_andn2_b64 exec, exec, s[8:9]
	s_cbranch_execnz .LBB76_29
; %bb.30:
	s_or_b64 exec, exec, s[8:9]
	v_mov_b32_e32 v8, 0
	ds_read_b128 v[8:11], v8 offset:64
	s_waitcnt lgkmcnt(0)
	v_mul_f64 v[14:15], v[2:3], v[10:11]
	v_mul_f64 v[10:11], v[4:5], v[10:11]
	v_fma_f64 v[4:5], v[4:5], v[8:9], -v[14:15]
	v_fmac_f64_e32 v[10:11], v[2:3], v[8:9]
	buffer_store_dword v5, off, s[0:3], 0 offset:68
	buffer_store_dword v4, off, s[0:3], 0 offset:64
	buffer_store_dword v11, off, s[0:3], 0 offset:76
	buffer_store_dword v10, off, s[0:3], 0 offset:72
.LBB76_31:
	s_or_b64 exec, exec, s[6:7]
	s_waitcnt lgkmcnt(0)
	; wave barrier
	buffer_load_dword v2, v76, s[0:3], 0 offen
	buffer_load_dword v3, v76, s[0:3], 0 offen offset:4
	buffer_load_dword v4, v76, s[0:3], 0 offen offset:8
	buffer_load_dword v5, v76, s[0:3], 0 offen offset:12
	v_cmp_gt_u32_e32 vcc, 5, v81
	;; [unrolled: 57-line block ×8, first 2 shown]
	s_waitcnt vmcnt(0)
	ds_write_b128 v6, v[2:5]
	s_waitcnt lgkmcnt(0)
	; wave barrier
	s_waitcnt lgkmcnt(0)
	s_and_saveexec_b64 s[6:7], vcc
	s_cbranch_execz .LBB76_59
; %bb.56:
	v_pk_mov_b32 v[2:3], 0, 0
	v_add_u32_e32 v8, -1, v81
	v_add_u32_e32 v9, 0xd0, v12
	v_add_u32_e32 v10, 0, v12
	s_mov_b64 s[8:9], 0
	v_pk_mov_b32 v[4:5], v[2:3], v[2:3] op_sel:[0,1]
.LBB76_57:                              ; =>This Inner Loop Header: Depth=1
	buffer_load_dword v18, v10, s[0:3], 0 offen offset:8
	buffer_load_dword v19, v10, s[0:3], 0 offen offset:12
	buffer_load_dword v20, v10, s[0:3], 0 offen
	buffer_load_dword v21, v10, s[0:3], 0 offen offset:4
	ds_read_b128 v[14:17], v9
	v_add_u32_e32 v8, 1, v8
	v_cmp_lt_u32_e32 vcc, 9, v8
	v_add_u32_e32 v9, 16, v9
	v_add_u32_e32 v10, 16, v10
	s_or_b64 s[8:9], vcc, s[8:9]
	s_waitcnt vmcnt(2) lgkmcnt(0)
	v_mul_f64 v[48:49], v[16:17], v[18:19]
	v_mul_f64 v[18:19], v[14:15], v[18:19]
	s_waitcnt vmcnt(0)
	v_fma_f64 v[14:15], v[14:15], v[20:21], -v[48:49]
	v_fmac_f64_e32 v[18:19], v[16:17], v[20:21]
	v_add_f64 v[4:5], v[4:5], v[14:15]
	v_add_f64 v[2:3], v[2:3], v[18:19]
	s_andn2_b64 exec, exec, s[8:9]
	s_cbranch_execnz .LBB76_57
; %bb.58:
	s_or_b64 exec, exec, s[8:9]
	v_mov_b32_e32 v8, 0
	ds_read_b128 v[8:11], v8 offset:176
	s_waitcnt lgkmcnt(0)
	v_mul_f64 v[14:15], v[2:3], v[10:11]
	v_mul_f64 v[10:11], v[4:5], v[10:11]
	v_fma_f64 v[4:5], v[4:5], v[8:9], -v[14:15]
	v_fmac_f64_e32 v[10:11], v[2:3], v[8:9]
	buffer_store_dword v5, off, s[0:3], 0 offset:180
	buffer_store_dword v4, off, s[0:3], 0 offset:176
	;; [unrolled: 1-line block ×4, first 2 shown]
.LBB76_59:
	s_or_b64 exec, exec, s[6:7]
	s_waitcnt lgkmcnt(0)
	; wave barrier
	buffer_load_dword v2, v73, s[0:3], 0 offen
	buffer_load_dword v3, v73, s[0:3], 0 offen offset:4
	buffer_load_dword v4, v73, s[0:3], 0 offen offset:8
	;; [unrolled: 1-line block ×3, first 2 shown]
	v_cmp_ne_u32_e32 vcc, 12, v81
	s_waitcnt vmcnt(0)
	ds_write_b128 v6, v[2:5]
	s_waitcnt lgkmcnt(0)
	; wave barrier
	s_waitcnt lgkmcnt(0)
	s_and_saveexec_b64 s[6:7], vcc
	s_cbranch_execz .LBB76_63
; %bb.60:
	v_pk_mov_b32 v[2:3], 0, 0
	v_add_u32_e32 v6, 0xd0, v12
	v_add_u32_e32 v8, 0, v12
	s_mov_b64 s[8:9], 0
	v_pk_mov_b32 v[4:5], v[2:3], v[2:3] op_sel:[0,1]
.LBB76_61:                              ; =>This Inner Loop Header: Depth=1
	buffer_load_dword v14, v8, s[0:3], 0 offen offset:8
	buffer_load_dword v15, v8, s[0:3], 0 offen offset:12
	buffer_load_dword v16, v8, s[0:3], 0 offen
	buffer_load_dword v17, v8, s[0:3], 0 offen offset:4
	ds_read_b128 v[10:13], v6
	v_add_u32_e32 v7, 1, v7
	v_cmp_lt_u32_e32 vcc, 10, v7
	v_add_u32_e32 v6, 16, v6
	v_add_u32_e32 v8, 16, v8
	s_or_b64 s[8:9], vcc, s[8:9]
	s_waitcnt vmcnt(2) lgkmcnt(0)
	v_mul_f64 v[18:19], v[12:13], v[14:15]
	v_mul_f64 v[14:15], v[10:11], v[14:15]
	s_waitcnt vmcnt(0)
	v_fma_f64 v[10:11], v[10:11], v[16:17], -v[18:19]
	v_fmac_f64_e32 v[14:15], v[12:13], v[16:17]
	v_add_f64 v[4:5], v[4:5], v[10:11]
	v_add_f64 v[2:3], v[2:3], v[14:15]
	s_andn2_b64 exec, exec, s[8:9]
	s_cbranch_execnz .LBB76_61
; %bb.62:
	s_or_b64 exec, exec, s[8:9]
	v_mov_b32_e32 v6, 0
	ds_read_b128 v[6:9], v6 offset:192
	s_waitcnt lgkmcnt(0)
	v_mul_f64 v[10:11], v[2:3], v[8:9]
	v_mul_f64 v[8:9], v[4:5], v[8:9]
	v_fma_f64 v[4:5], v[4:5], v[6:7], -v[10:11]
	v_fmac_f64_e32 v[8:9], v[2:3], v[6:7]
	buffer_store_dword v5, off, s[0:3], 0 offset:196
	buffer_store_dword v4, off, s[0:3], 0 offset:192
	;; [unrolled: 1-line block ×4, first 2 shown]
.LBB76_63:
	s_or_b64 exec, exec, s[6:7]
	s_mov_b64 s[8:9], -1
	s_waitcnt lgkmcnt(0)
	; wave barrier
.LBB76_64:
	s_and_b64 vcc, exec, s[8:9]
	s_cbranch_vccz .LBB76_66
; %bb.65:
	s_lshl_b64 s[6:7], s[10:11], 2
	s_add_u32 s6, s14, s6
	s_addc_u32 s7, s15, s7
	v_mov_b32_e32 v2, 0
	global_load_dword v2, v2, s[6:7]
	s_waitcnt vmcnt(0)
	v_cmp_ne_u32_e32 vcc, 0, v2
	s_cbranch_vccz .LBB76_67
.LBB76_66:
	s_endpgm
.LBB76_67:
	v_mov_b32_e32 v2, 0xd0
	v_lshl_add_u32 v82, v81, 4, v2
	v_cmp_eq_u32_e32 vcc, 12, v81
	s_and_saveexec_b64 s[6:7], vcc
	s_cbranch_execz .LBB76_69
; %bb.68:
	buffer_load_dword v2, v72, s[0:3], 0 offen
	buffer_load_dword v3, v72, s[0:3], 0 offen offset:4
	buffer_load_dword v4, v72, s[0:3], 0 offen offset:8
	buffer_load_dword v5, v72, s[0:3], 0 offen offset:12
	v_mov_b32_e32 v6, 0
	buffer_store_dword v6, off, s[0:3], 0 offset:176
	buffer_store_dword v6, off, s[0:3], 0 offset:180
	;; [unrolled: 1-line block ×4, first 2 shown]
	s_waitcnt vmcnt(4)
	ds_write_b128 v82, v[2:5]
.LBB76_69:
	s_or_b64 exec, exec, s[6:7]
	s_waitcnt lgkmcnt(0)
	; wave barrier
	s_waitcnt lgkmcnt(0)
	buffer_load_dword v8, off, s[0:3], 0 offset:200
	buffer_load_dword v9, off, s[0:3], 0 offset:204
	;; [unrolled: 1-line block ×8, first 2 shown]
	v_mov_b32_e32 v2, 0
	ds_read_b128 v[4:7], v2 offset:400
	v_cmp_lt_u32_e32 vcc, 10, v81
	s_waitcnt vmcnt(6) lgkmcnt(0)
	v_mul_f64 v[16:17], v[4:5], v[8:9]
	v_mul_f64 v[8:9], v[6:7], v[8:9]
	s_waitcnt vmcnt(4)
	v_fma_f64 v[4:5], v[4:5], v[10:11], -v[8:9]
	v_fmac_f64_e32 v[16:17], v[6:7], v[10:11]
	v_add_f64 v[4:5], v[4:5], 0
	v_add_f64 v[6:7], v[16:17], 0
	s_waitcnt vmcnt(2)
	v_add_f64 v[4:5], v[12:13], -v[4:5]
	s_waitcnt vmcnt(0)
	v_add_f64 v[6:7], v[14:15], -v[6:7]
	buffer_store_dword v4, off, s[0:3], 0 offset:176
	buffer_store_dword v5, off, s[0:3], 0 offset:180
	;; [unrolled: 1-line block ×4, first 2 shown]
	s_and_saveexec_b64 s[6:7], vcc
	s_cbranch_execz .LBB76_71
; %bb.70:
	buffer_load_dword v4, v71, s[0:3], 0 offen
	buffer_load_dword v5, v71, s[0:3], 0 offen offset:4
	buffer_load_dword v6, v71, s[0:3], 0 offen offset:8
	;; [unrolled: 1-line block ×3, first 2 shown]
	s_nop 0
	buffer_store_dword v2, off, s[0:3], 0 offset:160
	buffer_store_dword v2, off, s[0:3], 0 offset:164
	;; [unrolled: 1-line block ×4, first 2 shown]
	s_waitcnt vmcnt(4)
	ds_write_b128 v82, v[4:7]
.LBB76_71:
	s_or_b64 exec, exec, s[6:7]
	s_waitcnt lgkmcnt(0)
	; wave barrier
	s_waitcnt lgkmcnt(0)
	buffer_load_dword v12, off, s[0:3], 0 offset:184
	buffer_load_dword v13, off, s[0:3], 0 offset:188
	;; [unrolled: 1-line block ×12, first 2 shown]
	ds_read_b128 v[4:7], v2 offset:384
	ds_read_b128 v[8:11], v2 offset:400
	v_cmp_lt_u32_e32 vcc, 9, v81
	s_waitcnt vmcnt(10) lgkmcnt(1)
	v_mul_f64 v[2:3], v[4:5], v[12:13]
	v_mul_f64 v[12:13], v[6:7], v[12:13]
	s_waitcnt vmcnt(8) lgkmcnt(0)
	v_mul_f64 v[50:51], v[8:9], v[14:15]
	v_mul_f64 v[14:15], v[10:11], v[14:15]
	s_waitcnt vmcnt(6)
	v_fma_f64 v[4:5], v[4:5], v[16:17], -v[12:13]
	v_fmac_f64_e32 v[2:3], v[6:7], v[16:17]
	s_waitcnt vmcnt(4)
	v_fma_f64 v[6:7], v[8:9], v[18:19], -v[14:15]
	v_add_f64 v[4:5], v[4:5], 0
	v_fmac_f64_e32 v[50:51], v[10:11], v[18:19]
	v_add_f64 v[2:3], v[2:3], 0
	v_add_f64 v[4:5], v[4:5], v[6:7]
	;; [unrolled: 1-line block ×3, first 2 shown]
	s_waitcnt vmcnt(2)
	v_add_f64 v[4:5], v[20:21], -v[4:5]
	s_waitcnt vmcnt(0)
	v_add_f64 v[2:3], v[48:49], -v[2:3]
	buffer_store_dword v4, off, s[0:3], 0 offset:160
	buffer_store_dword v5, off, s[0:3], 0 offset:164
	;; [unrolled: 1-line block ×4, first 2 shown]
	s_and_saveexec_b64 s[6:7], vcc
	s_cbranch_execz .LBB76_73
; %bb.72:
	buffer_load_dword v2, v70, s[0:3], 0 offen
	buffer_load_dword v3, v70, s[0:3], 0 offen offset:4
	buffer_load_dword v4, v70, s[0:3], 0 offen offset:8
	;; [unrolled: 1-line block ×3, first 2 shown]
	v_mov_b32_e32 v6, 0
	buffer_store_dword v6, off, s[0:3], 0 offset:144
	buffer_store_dword v6, off, s[0:3], 0 offset:148
	;; [unrolled: 1-line block ×4, first 2 shown]
	s_waitcnt vmcnt(4)
	ds_write_b128 v82, v[2:5]
.LBB76_73:
	s_or_b64 exec, exec, s[6:7]
	s_waitcnt lgkmcnt(0)
	; wave barrier
	s_waitcnt lgkmcnt(0)
	buffer_load_dword v16, off, s[0:3], 0 offset:168
	buffer_load_dword v17, off, s[0:3], 0 offset:172
	;; [unrolled: 1-line block ×16, first 2 shown]
	v_mov_b32_e32 v2, 0
	ds_read_b128 v[4:7], v2 offset:368
	ds_read_b128 v[8:11], v2 offset:384
	;; [unrolled: 1-line block ×3, first 2 shown]
	v_cmp_lt_u32_e32 vcc, 8, v81
	s_waitcnt vmcnt(14) lgkmcnt(2)
	v_mul_f64 v[58:59], v[4:5], v[16:17]
	v_mul_f64 v[16:17], v[6:7], v[16:17]
	s_waitcnt vmcnt(12) lgkmcnt(1)
	v_mul_f64 v[60:61], v[8:9], v[18:19]
	v_mul_f64 v[18:19], v[10:11], v[18:19]
	;; [unrolled: 3-line block ×3, first 2 shown]
	s_waitcnt vmcnt(8)
	v_fma_f64 v[4:5], v[4:5], v[48:49], -v[16:17]
	v_fmac_f64_e32 v[58:59], v[6:7], v[48:49]
	s_waitcnt vmcnt(6)
	v_fma_f64 v[6:7], v[8:9], v[50:51], -v[18:19]
	v_add_f64 v[4:5], v[4:5], 0
	v_fmac_f64_e32 v[60:61], v[10:11], v[50:51]
	s_waitcnt vmcnt(4)
	v_fma_f64 v[8:9], v[12:13], v[52:53], -v[20:21]
	v_add_f64 v[10:11], v[58:59], 0
	v_add_f64 v[4:5], v[4:5], v[6:7]
	v_fmac_f64_e32 v[62:63], v[14:15], v[52:53]
	v_add_f64 v[10:11], v[10:11], v[60:61]
	v_add_f64 v[4:5], v[4:5], v[8:9]
	;; [unrolled: 1-line block ×3, first 2 shown]
	s_waitcnt vmcnt(2)
	v_add_f64 v[4:5], v[54:55], -v[4:5]
	s_waitcnt vmcnt(0)
	v_add_f64 v[6:7], v[56:57], -v[6:7]
	buffer_store_dword v4, off, s[0:3], 0 offset:144
	buffer_store_dword v5, off, s[0:3], 0 offset:148
	;; [unrolled: 1-line block ×4, first 2 shown]
	s_and_saveexec_b64 s[6:7], vcc
	s_cbranch_execz .LBB76_75
; %bb.74:
	buffer_load_dword v4, v1, s[0:3], 0 offen
	buffer_load_dword v5, v1, s[0:3], 0 offen offset:4
	buffer_load_dword v6, v1, s[0:3], 0 offen offset:8
	;; [unrolled: 1-line block ×3, first 2 shown]
	s_nop 0
	buffer_store_dword v2, off, s[0:3], 0 offset:128
	buffer_store_dword v2, off, s[0:3], 0 offset:132
	;; [unrolled: 1-line block ×4, first 2 shown]
	s_waitcnt vmcnt(4)
	ds_write_b128 v82, v[4:7]
.LBB76_75:
	s_or_b64 exec, exec, s[6:7]
	s_waitcnt lgkmcnt(0)
	; wave barrier
	s_waitcnt lgkmcnt(0)
	buffer_load_dword v20, off, s[0:3], 0 offset:152
	buffer_load_dword v21, off, s[0:3], 0 offset:156
	;; [unrolled: 1-line block ×20, first 2 shown]
	ds_read_b128 v[4:7], v2 offset:352
	ds_read_b128 v[8:11], v2 offset:368
	;; [unrolled: 1-line block ×4, first 2 shown]
	v_cmp_lt_u32_e32 vcc, 7, v81
	s_waitcnt vmcnt(18) lgkmcnt(3)
	v_mul_f64 v[2:3], v[4:5], v[20:21]
	v_mul_f64 v[20:21], v[6:7], v[20:21]
	s_waitcnt vmcnt(16) lgkmcnt(2)
	v_mul_f64 v[66:67], v[8:9], v[48:49]
	v_mul_f64 v[48:49], v[10:11], v[48:49]
	;; [unrolled: 3-line block ×4, first 2 shown]
	s_waitcnt vmcnt(10)
	v_fma_f64 v[4:5], v[4:5], v[54:55], -v[20:21]
	v_fmac_f64_e32 v[2:3], v[6:7], v[54:55]
	s_waitcnt vmcnt(8)
	v_fma_f64 v[6:7], v[8:9], v[56:57], -v[48:49]
	v_add_f64 v[4:5], v[4:5], 0
	v_fmac_f64_e32 v[66:67], v[10:11], v[56:57]
	s_waitcnt vmcnt(6)
	v_fma_f64 v[8:9], v[12:13], v[58:59], -v[50:51]
	v_add_f64 v[2:3], v[2:3], 0
	v_add_f64 v[4:5], v[4:5], v[6:7]
	v_fmac_f64_e32 v[68:69], v[14:15], v[58:59]
	s_waitcnt vmcnt(4)
	v_fma_f64 v[10:11], v[16:17], v[60:61], -v[52:53]
	v_add_f64 v[2:3], v[2:3], v[66:67]
	v_add_f64 v[4:5], v[4:5], v[8:9]
	v_fmac_f64_e32 v[84:85], v[18:19], v[60:61]
	v_add_f64 v[2:3], v[2:3], v[68:69]
	v_add_f64 v[4:5], v[4:5], v[10:11]
	;; [unrolled: 1-line block ×3, first 2 shown]
	s_waitcnt vmcnt(2)
	v_add_f64 v[4:5], v[62:63], -v[4:5]
	s_waitcnt vmcnt(0)
	v_add_f64 v[2:3], v[64:65], -v[2:3]
	buffer_store_dword v4, off, s[0:3], 0 offset:128
	buffer_store_dword v5, off, s[0:3], 0 offset:132
	;; [unrolled: 1-line block ×4, first 2 shown]
	s_and_saveexec_b64 s[6:7], vcc
	s_cbranch_execz .LBB76_77
; %bb.76:
	buffer_load_dword v2, v77, s[0:3], 0 offen
	buffer_load_dword v3, v77, s[0:3], 0 offen offset:4
	buffer_load_dword v4, v77, s[0:3], 0 offen offset:8
	buffer_load_dword v5, v77, s[0:3], 0 offen offset:12
	v_mov_b32_e32 v6, 0
	buffer_store_dword v6, off, s[0:3], 0 offset:112
	buffer_store_dword v6, off, s[0:3], 0 offset:116
	;; [unrolled: 1-line block ×4, first 2 shown]
	s_waitcnt vmcnt(4)
	ds_write_b128 v82, v[2:5]
.LBB76_77:
	s_or_b64 exec, exec, s[6:7]
	s_waitcnt lgkmcnt(0)
	; wave barrier
	s_waitcnt lgkmcnt(0)
	buffer_load_dword v20, off, s[0:3], 0 offset:136
	buffer_load_dword v21, off, s[0:3], 0 offset:140
	;; [unrolled: 1-line block ×24, first 2 shown]
	v_mov_b32_e32 v2, 0
	ds_read_b128 v[4:7], v2 offset:336
	ds_read_b128 v[8:11], v2 offset:352
	ds_read_b128 v[12:15], v2 offset:368
	ds_read_b128 v[16:19], v2 offset:384
	ds_read_b128 v[48:51], v2 offset:400
	v_cmp_lt_u32_e32 vcc, 6, v81
	s_waitcnt vmcnt(22) lgkmcnt(4)
	v_mul_f64 v[88:89], v[4:5], v[20:21]
	v_mul_f64 v[20:21], v[6:7], v[20:21]
	s_waitcnt vmcnt(20) lgkmcnt(3)
	v_mul_f64 v[90:91], v[8:9], v[52:53]
	v_mul_f64 v[52:53], v[10:11], v[52:53]
	;; [unrolled: 3-line block ×4, first 2 shown]
	s_waitcnt vmcnt(13) lgkmcnt(0)
	v_mul_f64 v[96:97], v[48:49], v[56:57]
	s_waitcnt vmcnt(11)
	v_fma_f64 v[4:5], v[4:5], v[62:63], -v[20:21]
	v_fmac_f64_e32 v[88:89], v[6:7], v[62:63]
	s_waitcnt vmcnt(9)
	v_fma_f64 v[6:7], v[8:9], v[64:65], -v[52:53]
	v_add_f64 v[4:5], v[4:5], 0
	v_fmac_f64_e32 v[90:91], v[10:11], v[64:65]
	s_waitcnt vmcnt(7)
	v_fmac_f64_e32 v[92:93], v[14:15], v[66:67]
	v_fma_f64 v[8:9], v[12:13], v[66:67], -v[54:55]
	v_add_f64 v[14:15], v[88:89], 0
	v_add_f64 v[4:5], v[4:5], v[6:7]
	v_mul_f64 v[56:57], v[50:51], v[56:57]
	s_waitcnt vmcnt(5)
	v_fma_f64 v[10:11], v[16:17], v[68:69], -v[60:61]
	v_add_f64 v[14:15], v[14:15], v[90:91]
	v_add_f64 v[4:5], v[4:5], v[8:9]
	v_fmac_f64_e32 v[94:95], v[18:19], v[68:69]
	s_waitcnt vmcnt(4)
	v_fma_f64 v[12:13], v[48:49], v[58:59], -v[56:57]
	v_add_f64 v[6:7], v[14:15], v[92:93]
	v_add_f64 v[4:5], v[4:5], v[10:11]
	v_fmac_f64_e32 v[96:97], v[50:51], v[58:59]
	v_add_f64 v[6:7], v[6:7], v[94:95]
	v_add_f64 v[4:5], v[4:5], v[12:13]
	;; [unrolled: 1-line block ×3, first 2 shown]
	s_waitcnt vmcnt(2)
	v_add_f64 v[4:5], v[84:85], -v[4:5]
	s_waitcnt vmcnt(0)
	v_add_f64 v[6:7], v[86:87], -v[6:7]
	buffer_store_dword v5, off, s[0:3], 0 offset:116
	buffer_store_dword v4, off, s[0:3], 0 offset:112
	;; [unrolled: 1-line block ×4, first 2 shown]
	s_and_saveexec_b64 s[6:7], vcc
	s_cbranch_execz .LBB76_79
; %bb.78:
	buffer_load_dword v4, v75, s[0:3], 0 offen
	buffer_load_dword v5, v75, s[0:3], 0 offen offset:4
	buffer_load_dword v6, v75, s[0:3], 0 offen offset:8
	;; [unrolled: 1-line block ×3, first 2 shown]
	s_nop 0
	buffer_store_dword v2, off, s[0:3], 0 offset:96
	buffer_store_dword v2, off, s[0:3], 0 offset:100
	;; [unrolled: 1-line block ×4, first 2 shown]
	s_waitcnt vmcnt(4)
	ds_write_b128 v82, v[4:7]
.LBB76_79:
	s_or_b64 exec, exec, s[6:7]
	s_waitcnt lgkmcnt(0)
	; wave barrier
	s_waitcnt lgkmcnt(0)
	buffer_load_dword v20, off, s[0:3], 0 offset:120
	buffer_load_dword v21, off, s[0:3], 0 offset:124
	;; [unrolled: 1-line block ×28, first 2 shown]
	ds_read_b128 v[4:7], v2 offset:320
	ds_read_b128 v[8:11], v2 offset:336
	ds_read_b128 v[12:15], v2 offset:352
	ds_read_b128 v[16:19], v2 offset:368
	ds_read_b128 v[48:51], v2 offset:384
	ds_read_b128 v[52:55], v2 offset:400
	v_cmp_lt_u32_e32 vcc, 5, v81
	s_waitcnt vmcnt(26) lgkmcnt(5)
	v_mul_f64 v[2:3], v[4:5], v[20:21]
	v_mul_f64 v[20:21], v[6:7], v[20:21]
	s_waitcnt vmcnt(24) lgkmcnt(4)
	v_mul_f64 v[96:97], v[8:9], v[56:57]
	v_mul_f64 v[56:57], v[10:11], v[56:57]
	;; [unrolled: 3-line block ×4, first 2 shown]
	s_waitcnt vmcnt(17)
	v_mul_f64 v[100:101], v[16:17], v[64:65]
	v_mul_f64 v[64:65], v[18:19], v[64:65]
	s_waitcnt vmcnt(15) lgkmcnt(0)
	v_mul_f64 v[104:105], v[52:53], v[66:67]
	v_mul_f64 v[66:67], v[54:55], v[66:67]
	s_waitcnt vmcnt(14)
	v_fmac_f64_e32 v[102:103], v[50:51], v[62:63]
	s_waitcnt vmcnt(12)
	v_fma_f64 v[4:5], v[4:5], v[68:69], -v[20:21]
	v_fmac_f64_e32 v[2:3], v[6:7], v[68:69]
	s_waitcnt vmcnt(10)
	v_fma_f64 v[6:7], v[8:9], v[84:85], -v[56:57]
	v_add_f64 v[4:5], v[4:5], 0
	v_fmac_f64_e32 v[96:97], v[10:11], v[84:85]
	s_waitcnt vmcnt(8)
	v_fma_f64 v[8:9], v[12:13], v[86:87], -v[58:59]
	v_add_f64 v[2:3], v[2:3], 0
	v_add_f64 v[4:5], v[4:5], v[6:7]
	v_fmac_f64_e32 v[98:99], v[14:15], v[86:87]
	s_waitcnt vmcnt(6)
	v_fma_f64 v[10:11], v[16:17], v[88:89], -v[64:65]
	v_add_f64 v[2:3], v[2:3], v[96:97]
	v_add_f64 v[4:5], v[4:5], v[8:9]
	v_fmac_f64_e32 v[100:101], v[18:19], v[88:89]
	v_fma_f64 v[12:13], v[48:49], v[62:63], -v[60:61]
	v_add_f64 v[2:3], v[2:3], v[98:99]
	v_add_f64 v[4:5], v[4:5], v[10:11]
	s_waitcnt vmcnt(4)
	v_fma_f64 v[14:15], v[52:53], v[90:91], -v[66:67]
	v_add_f64 v[2:3], v[2:3], v[100:101]
	v_add_f64 v[4:5], v[4:5], v[12:13]
	v_fmac_f64_e32 v[104:105], v[54:55], v[90:91]
	v_add_f64 v[2:3], v[2:3], v[102:103]
	v_add_f64 v[4:5], v[4:5], v[14:15]
	;; [unrolled: 1-line block ×3, first 2 shown]
	s_waitcnt vmcnt(2)
	v_add_f64 v[4:5], v[92:93], -v[4:5]
	s_waitcnt vmcnt(0)
	v_add_f64 v[2:3], v[94:95], -v[2:3]
	buffer_store_dword v5, off, s[0:3], 0 offset:100
	buffer_store_dword v4, off, s[0:3], 0 offset:96
	;; [unrolled: 1-line block ×4, first 2 shown]
	s_and_saveexec_b64 s[6:7], vcc
	s_cbranch_execz .LBB76_81
; %bb.80:
	buffer_load_dword v2, v76, s[0:3], 0 offen
	buffer_load_dword v3, v76, s[0:3], 0 offen offset:4
	buffer_load_dword v4, v76, s[0:3], 0 offen offset:8
	;; [unrolled: 1-line block ×3, first 2 shown]
	v_mov_b32_e32 v6, 0
	buffer_store_dword v6, off, s[0:3], 0 offset:80
	buffer_store_dword v6, off, s[0:3], 0 offset:84
	;; [unrolled: 1-line block ×4, first 2 shown]
	s_waitcnt vmcnt(4)
	ds_write_b128 v82, v[2:5]
.LBB76_81:
	s_or_b64 exec, exec, s[6:7]
	s_waitcnt lgkmcnt(0)
	; wave barrier
	s_waitcnt lgkmcnt(0)
	buffer_load_dword v20, off, s[0:3], 0 offset:104
	buffer_load_dword v21, off, s[0:3], 0 offset:108
	;; [unrolled: 1-line block ×32, first 2 shown]
	v_mov_b32_e32 v2, 0
	ds_read_b128 v[4:7], v2 offset:304
	ds_read_b128 v[8:11], v2 offset:320
	;; [unrolled: 1-line block ×7, first 2 shown]
	v_cmp_lt_u32_e32 vcc, 4, v81
	s_waitcnt vmcnt(30) lgkmcnt(6)
	v_mul_f64 v[104:105], v[4:5], v[20:21]
	v_mul_f64 v[20:21], v[6:7], v[20:21]
	s_waitcnt vmcnt(28) lgkmcnt(5)
	v_mul_f64 v[106:107], v[8:9], v[60:61]
	v_mul_f64 v[60:61], v[10:11], v[60:61]
	;; [unrolled: 3-line block ×4, first 2 shown]
	s_waitcnt vmcnt(21)
	v_mul_f64 v[110:111], v[16:17], v[68:69]
	v_mul_f64 v[68:69], v[18:19], v[68:69]
	s_waitcnt vmcnt(17) lgkmcnt(1)
	v_mul_f64 v[114:115], v[52:53], v[88:89]
	v_mul_f64 v[88:89], v[54:55], v[88:89]
	s_waitcnt vmcnt(16) lgkmcnt(0)
	v_mul_f64 v[116:117], v[56:57], v[84:85]
	v_mul_f64 v[84:85], v[58:59], v[84:85]
	s_waitcnt vmcnt(13)
	v_fma_f64 v[4:5], v[4:5], v[90:91], -v[20:21]
	v_fmac_f64_e32 v[104:105], v[6:7], v[90:91]
	s_waitcnt vmcnt(11)
	v_fma_f64 v[6:7], v[8:9], v[92:93], -v[60:61]
	v_add_f64 v[4:5], v[4:5], 0
	v_fmac_f64_e32 v[106:107], v[10:11], v[92:93]
	s_waitcnt vmcnt(9)
	v_fma_f64 v[8:9], v[12:13], v[94:95], -v[62:63]
	s_waitcnt vmcnt(7)
	v_fmac_f64_e32 v[110:111], v[18:19], v[96:97]
	v_add_f64 v[18:19], v[104:105], 0
	v_add_f64 v[4:5], v[4:5], v[6:7]
	v_fmac_f64_e32 v[108:109], v[14:15], v[94:95]
	v_fma_f64 v[10:11], v[16:17], v[96:97], -v[68:69]
	v_add_f64 v[18:19], v[18:19], v[106:107]
	v_add_f64 v[4:5], v[4:5], v[8:9]
	v_fma_f64 v[12:13], v[48:49], v[66:67], -v[64:65]
	v_add_f64 v[6:7], v[18:19], v[108:109]
	v_add_f64 v[4:5], v[4:5], v[10:11]
	v_fmac_f64_e32 v[112:113], v[50:51], v[66:67]
	s_waitcnt vmcnt(5)
	v_fma_f64 v[14:15], v[52:53], v[98:99], -v[88:89]
	v_add_f64 v[6:7], v[6:7], v[110:111]
	v_add_f64 v[4:5], v[4:5], v[12:13]
	v_fmac_f64_e32 v[114:115], v[54:55], v[98:99]
	s_waitcnt vmcnt(4)
	v_fma_f64 v[16:17], v[56:57], v[86:87], -v[84:85]
	v_add_f64 v[6:7], v[6:7], v[112:113]
	v_add_f64 v[4:5], v[4:5], v[14:15]
	v_fmac_f64_e32 v[116:117], v[58:59], v[86:87]
	v_add_f64 v[6:7], v[6:7], v[114:115]
	v_add_f64 v[4:5], v[4:5], v[16:17]
	;; [unrolled: 1-line block ×3, first 2 shown]
	s_waitcnt vmcnt(2)
	v_add_f64 v[4:5], v[100:101], -v[4:5]
	s_waitcnt vmcnt(0)
	v_add_f64 v[6:7], v[102:103], -v[6:7]
	buffer_store_dword v5, off, s[0:3], 0 offset:84
	buffer_store_dword v4, off, s[0:3], 0 offset:80
	;; [unrolled: 1-line block ×4, first 2 shown]
	s_and_saveexec_b64 s[6:7], vcc
	s_cbranch_execz .LBB76_83
; %bb.82:
	buffer_load_dword v4, v74, s[0:3], 0 offen
	buffer_load_dword v5, v74, s[0:3], 0 offen offset:4
	buffer_load_dword v6, v74, s[0:3], 0 offen offset:8
	buffer_load_dword v7, v74, s[0:3], 0 offen offset:12
	s_nop 0
	buffer_store_dword v2, off, s[0:3], 0 offset:64
	buffer_store_dword v2, off, s[0:3], 0 offset:68
	buffer_store_dword v2, off, s[0:3], 0 offset:72
	buffer_store_dword v2, off, s[0:3], 0 offset:76
	s_waitcnt vmcnt(4)
	ds_write_b128 v82, v[4:7]
.LBB76_83:
	s_or_b64 exec, exec, s[6:7]
	s_waitcnt lgkmcnt(0)
	; wave barrier
	s_waitcnt lgkmcnt(0)
	buffer_load_dword v20, off, s[0:3], 0 offset:88
	buffer_load_dword v21, off, s[0:3], 0 offset:92
	;; [unrolled: 1-line block ×36, first 2 shown]
	ds_read_b128 v[4:7], v2 offset:288
	ds_read_b128 v[8:11], v2 offset:304
	;; [unrolled: 1-line block ×8, first 2 shown]
	v_cmp_lt_u32_e32 vcc, 3, v81
	s_waitcnt vmcnt(34) lgkmcnt(7)
	v_mul_f64 v[2:3], v[4:5], v[20:21]
	v_mul_f64 v[20:21], v[6:7], v[20:21]
	s_waitcnt vmcnt(32) lgkmcnt(6)
	v_mul_f64 v[112:113], v[8:9], v[64:65]
	v_mul_f64 v[64:65], v[10:11], v[64:65]
	;; [unrolled: 3-line block ×4, first 2 shown]
	s_waitcnt vmcnt(25)
	v_mul_f64 v[116:117], v[16:17], v[86:87]
	v_mul_f64 v[86:87], v[18:19], v[86:87]
	s_waitcnt vmcnt(23) lgkmcnt(1)
	v_mul_f64 v[122:123], v[56:57], v[88:89]
	v_mul_f64 v[88:89], v[58:59], v[88:89]
	s_waitcnt vmcnt(20)
	v_mul_f64 v[120:121], v[52:53], v[92:93]
	v_mul_f64 v[92:93], v[54:55], v[92:93]
	s_waitcnt vmcnt(18) lgkmcnt(0)
	v_mul_f64 v[124:125], v[60:61], v[94:95]
	s_waitcnt vmcnt(17)
	v_fmac_f64_e32 v[118:119], v[50:51], v[84:85]
	s_waitcnt vmcnt(16)
	v_fmac_f64_e32 v[122:123], v[58:59], v[90:91]
	s_waitcnt vmcnt(14)
	v_fma_f64 v[4:5], v[4:5], v[96:97], -v[20:21]
	v_fmac_f64_e32 v[2:3], v[6:7], v[96:97]
	s_waitcnt vmcnt(12)
	v_fma_f64 v[6:7], v[8:9], v[98:99], -v[64:65]
	v_add_f64 v[4:5], v[4:5], 0
	v_fmac_f64_e32 v[112:113], v[10:11], v[98:99]
	s_waitcnt vmcnt(10)
	v_fma_f64 v[8:9], v[12:13], v[100:101], -v[66:67]
	v_add_f64 v[2:3], v[2:3], 0
	v_add_f64 v[4:5], v[4:5], v[6:7]
	v_fmac_f64_e32 v[114:115], v[14:15], v[100:101]
	s_waitcnt vmcnt(8)
	v_fma_f64 v[10:11], v[16:17], v[102:103], -v[86:87]
	v_add_f64 v[2:3], v[2:3], v[112:113]
	v_add_f64 v[4:5], v[4:5], v[8:9]
	v_fmac_f64_e32 v[116:117], v[18:19], v[102:103]
	v_fma_f64 v[12:13], v[48:49], v[84:85], -v[68:69]
	v_add_f64 v[2:3], v[2:3], v[114:115]
	v_add_f64 v[4:5], v[4:5], v[10:11]
	s_waitcnt vmcnt(6)
	v_fma_f64 v[14:15], v[52:53], v[104:105], -v[92:93]
	v_add_f64 v[2:3], v[2:3], v[116:117]
	v_add_f64 v[4:5], v[4:5], v[12:13]
	v_fmac_f64_e32 v[120:121], v[54:55], v[104:105]
	v_fma_f64 v[16:17], v[56:57], v[90:91], -v[88:89]
	v_add_f64 v[2:3], v[2:3], v[118:119]
	v_add_f64 v[4:5], v[4:5], v[14:15]
	v_mul_f64 v[6:7], v[62:63], v[94:95]
	v_add_f64 v[2:3], v[2:3], v[120:121]
	v_add_f64 v[4:5], v[4:5], v[16:17]
	s_waitcnt vmcnt(4)
	v_fma_f64 v[6:7], v[60:61], v[106:107], -v[6:7]
	v_fmac_f64_e32 v[124:125], v[62:63], v[106:107]
	v_add_f64 v[2:3], v[2:3], v[122:123]
	v_add_f64 v[4:5], v[4:5], v[6:7]
	;; [unrolled: 1-line block ×3, first 2 shown]
	s_waitcnt vmcnt(2)
	v_add_f64 v[4:5], v[108:109], -v[4:5]
	s_waitcnt vmcnt(0)
	v_add_f64 v[2:3], v[110:111], -v[2:3]
	buffer_store_dword v5, off, s[0:3], 0 offset:68
	buffer_store_dword v4, off, s[0:3], 0 offset:64
	;; [unrolled: 1-line block ×4, first 2 shown]
	s_and_saveexec_b64 s[6:7], vcc
	s_cbranch_execz .LBB76_85
; %bb.84:
	buffer_load_dword v2, v80, s[0:3], 0 offen
	buffer_load_dword v3, v80, s[0:3], 0 offen offset:4
	buffer_load_dword v4, v80, s[0:3], 0 offen offset:8
	;; [unrolled: 1-line block ×3, first 2 shown]
	v_mov_b32_e32 v6, 0
	buffer_store_dword v6, off, s[0:3], 0 offset:48
	buffer_store_dword v6, off, s[0:3], 0 offset:52
	;; [unrolled: 1-line block ×4, first 2 shown]
	s_waitcnt vmcnt(4)
	ds_write_b128 v82, v[2:5]
.LBB76_85:
	s_or_b64 exec, exec, s[6:7]
	v_mov_b32_e32 v83, 0
	s_waitcnt lgkmcnt(0)
	; wave barrier
	s_waitcnt lgkmcnt(0)
	ds_read_b128 v[14:17], v83 offset:272
	ds_read_b128 v[10:13], v83 offset:288
	;; [unrolled: 1-line block ×4, first 2 shown]
	buffer_load_dword v50, off, s[0:3], 0 offset:48
	buffer_load_dword v51, off, s[0:3], 0 offset:52
	;; [unrolled: 1-line block ×20, first 2 shown]
	v_cmp_lt_u32_e32 vcc, 2, v81
	s_waitcnt vmcnt(12) lgkmcnt(3)
	v_mul_f64 v[18:19], v[14:15], v[62:63]
	v_fmac_f64_e32 v[18:19], v[16:17], v[52:53]
	v_add_f64 v[18:19], v[18:19], 0
	v_mul_f64 v[16:17], v[16:17], v[62:63]
	s_waitcnt vmcnt(8) lgkmcnt(2)
	v_mul_f64 v[20:21], v[10:11], v[64:65]
	v_fmac_f64_e32 v[20:21], v[12:13], v[58:59]
	v_add_f64 v[18:19], v[18:19], v[20:21]
	v_fma_f64 v[14:15], v[14:15], v[52:53], -v[16:17]
	s_waitcnt vmcnt(4) lgkmcnt(1)
	v_mul_f64 v[20:21], v[6:7], v[66:67]
	v_fmac_f64_e32 v[20:21], v[8:9], v[60:61]
	v_add_f64 v[18:19], v[18:19], v[20:21]
	s_waitcnt vmcnt(0) lgkmcnt(0)
	v_mul_f64 v[20:21], v[2:3], v[68:69]
	v_fmac_f64_e32 v[20:21], v[4:5], v[56:57]
	v_add_f64 v[84:85], v[18:19], v[20:21]
	ds_read_b128 v[18:21], v83 offset:336
	buffer_load_dword v55, off, s[0:3], 0 offset:132
	buffer_load_dword v54, off, s[0:3], 0 offset:128
	;; [unrolled: 1-line block ×4, first 2 shown]
	v_mul_f64 v[12:13], v[12:13], v[64:65]
	v_add_f64 v[14:15], v[14:15], 0
	v_fma_f64 v[10:11], v[10:11], v[58:59], -v[12:13]
	v_mul_f64 v[8:9], v[8:9], v[66:67]
	v_add_f64 v[10:11], v[14:15], v[10:11]
	v_fma_f64 v[6:7], v[6:7], v[60:61], -v[8:9]
	;; [unrolled: 3-line block ×3, first 2 shown]
	v_add_f64 v[2:3], v[6:7], v[2:3]
	s_waitcnt vmcnt(0) lgkmcnt(0)
	v_mul_f64 v[86:87], v[18:19], v[100:101]
	v_fmac_f64_e32 v[86:87], v[20:21], v[54:55]
	v_add_f64 v[88:89], v[84:85], v[86:87]
	ds_read_b128 v[84:87], v83 offset:352
	buffer_load_dword v103, off, s[0:3], 0 offset:148
	buffer_load_dword v102, off, s[0:3], 0 offset:144
	buffer_load_dword v105, off, s[0:3], 0 offset:156
	buffer_load_dword v104, off, s[0:3], 0 offset:152
	v_mul_f64 v[4:5], v[20:21], v[100:101]
	v_fma_f64 v[4:5], v[18:19], v[54:55], -v[4:5]
	v_add_f64 v[2:3], v[2:3], v[4:5]
	s_waitcnt vmcnt(0) lgkmcnt(0)
	v_mul_f64 v[90:91], v[84:85], v[104:105]
	v_fmac_f64_e32 v[90:91], v[86:87], v[102:103]
	v_add_f64 v[92:93], v[88:89], v[90:91]
	ds_read_b128 v[88:91], v83 offset:368
	buffer_load_dword v107, off, s[0:3], 0 offset:164
	buffer_load_dword v106, off, s[0:3], 0 offset:160
	buffer_load_dword v109, off, s[0:3], 0 offset:172
	buffer_load_dword v108, off, s[0:3], 0 offset:168
	v_mul_f64 v[4:5], v[86:87], v[104:105]
	v_fma_f64 v[4:5], v[84:85], v[102:103], -v[4:5]
	;; [unrolled: 12-line block ×4, first 2 shown]
	v_add_f64 v[2:3], v[2:3], v[4:5]
	s_waitcnt vmcnt(0) lgkmcnt(0)
	v_mul_f64 v[4:5], v[98:99], v[118:119]
	v_mul_f64 v[120:121], v[96:97], v[118:119]
	v_fma_f64 v[4:5], v[96:97], v[116:117], -v[4:5]
	v_fmac_f64_e32 v[120:121], v[98:99], v[116:117]
	v_add_f64 v[2:3], v[2:3], v[4:5]
	v_add_f64 v[114:115], v[114:115], v[120:121]
	v_add_f64 v[2:3], v[50:51], -v[2:3]
	v_add_f64 v[4:5], v[48:49], -v[114:115]
	buffer_store_dword v3, off, s[0:3], 0 offset:52
	buffer_store_dword v2, off, s[0:3], 0 offset:48
	;; [unrolled: 1-line block ×4, first 2 shown]
	s_and_saveexec_b64 s[6:7], vcc
	s_cbranch_execz .LBB76_87
; %bb.86:
	buffer_load_dword v2, v78, s[0:3], 0 offen
	buffer_load_dword v3, v78, s[0:3], 0 offen offset:4
	buffer_load_dword v4, v78, s[0:3], 0 offen offset:8
	;; [unrolled: 1-line block ×3, first 2 shown]
	s_nop 0
	buffer_store_dword v83, off, s[0:3], 0 offset:32
	buffer_store_dword v83, off, s[0:3], 0 offset:36
	;; [unrolled: 1-line block ×4, first 2 shown]
	s_waitcnt vmcnt(4)
	ds_write_b128 v82, v[2:5]
.LBB76_87:
	s_or_b64 exec, exec, s[6:7]
	s_waitcnt lgkmcnt(0)
	; wave barrier
	s_waitcnt lgkmcnt(0)
	buffer_load_dword v4, off, s[0:3], 0 offset:48
	buffer_load_dword v5, off, s[0:3], 0 offset:52
	;; [unrolled: 1-line block ×44, first 2 shown]
	ds_read_b128 v[6:9], v83 offset:256
	ds_read_b128 v[10:13], v83 offset:272
	;; [unrolled: 1-line block ×10, first 2 shown]
	v_cmp_lt_u32_e32 vcc, 1, v81
	s_waitcnt vmcnt(40) lgkmcnt(9)
	v_mul_f64 v[126:127], v[6:7], v[68:69]
	v_mul_f64 v[68:69], v[8:9], v[68:69]
	s_waitcnt vmcnt(38) lgkmcnt(8)
	v_mul_f64 v[128:129], v[10:11], v[88:89]
	v_mul_f64 v[88:89], v[12:13], v[88:89]
	v_fmac_f64_e32 v[126:127], v[8:9], v[4:5]
	v_fma_f64 v[4:5], v[6:7], v[4:5], -v[68:69]
	s_waitcnt vmcnt(36) lgkmcnt(7)
	v_mul_f64 v[130:131], v[14:15], v[2:3]
	v_add_f64 v[4:5], v[4:5], 0
	v_mul_f64 v[2:3], v[16:17], v[2:3]
	v_add_f64 v[8:9], v[126:127], 0
	s_waitcnt vmcnt(30) lgkmcnt(6)
	v_mul_f64 v[132:133], v[18:19], v[94:95]
	s_waitcnt lgkmcnt(5)
	v_mul_f64 v[134:135], v[48:49], v[90:91]
	v_fmac_f64_e32 v[134:135], v[50:51], v[92:93]
	s_waitcnt vmcnt(28) lgkmcnt(3)
	v_mul_f64 v[138:139], v[56:57], v[96:97]
	s_waitcnt vmcnt(26)
	v_fmac_f64_e32 v[138:139], v[58:59], v[98:99]
	s_waitcnt vmcnt(24)
	v_mul_f64 v[136:137], v[52:53], v[100:101]
	s_waitcnt vmcnt(22) lgkmcnt(1)
	v_mul_f64 v[142:143], v[64:65], v[102:103]
	s_waitcnt vmcnt(20)
	v_fmac_f64_e32 v[142:143], v[66:67], v[104:105]
	s_waitcnt vmcnt(18)
	v_mul_f64 v[140:141], v[60:61], v[106:107]
	s_waitcnt vmcnt(16) lgkmcnt(0)
	v_mul_f64 v[144:145], v[84:85], v[108:109]
	s_waitcnt vmcnt(14)
	v_fma_f64 v[6:7], v[10:11], v[110:111], -v[88:89]
	v_add_f64 v[4:5], v[4:5], v[6:7]
	s_waitcnt vmcnt(12)
	v_fma_f64 v[2:3], v[14:15], v[112:113], -v[2:3]
	v_add_f64 v[2:3], v[4:5], v[2:3]
	v_mul_f64 v[4:5], v[20:21], v[94:95]
	s_waitcnt vmcnt(10)
	v_fma_f64 v[4:5], v[18:19], v[114:115], -v[4:5]
	v_add_f64 v[2:3], v[2:3], v[4:5]
	v_mul_f64 v[4:5], v[50:51], v[90:91]
	v_fma_f64 v[4:5], v[48:49], v[92:93], -v[4:5]
	v_add_f64 v[2:3], v[2:3], v[4:5]
	v_mul_f64 v[4:5], v[54:55], v[100:101]
	s_waitcnt vmcnt(8)
	v_fma_f64 v[4:5], v[52:53], v[116:117], -v[4:5]
	v_fmac_f64_e32 v[128:129], v[12:13], v[110:111]
	v_add_f64 v[2:3], v[2:3], v[4:5]
	v_mul_f64 v[4:5], v[58:59], v[96:97]
	v_fmac_f64_e32 v[130:131], v[16:17], v[112:113]
	v_add_f64 v[8:9], v[8:9], v[128:129]
	v_fma_f64 v[4:5], v[56:57], v[98:99], -v[4:5]
	v_fmac_f64_e32 v[132:133], v[20:21], v[114:115]
	v_add_f64 v[6:7], v[8:9], v[130:131]
	v_add_f64 v[2:3], v[2:3], v[4:5]
	v_mul_f64 v[4:5], v[62:63], v[106:107]
	v_add_f64 v[6:7], v[6:7], v[132:133]
	s_waitcnt vmcnt(6)
	v_fma_f64 v[4:5], v[60:61], v[118:119], -v[4:5]
	v_fmac_f64_e32 v[136:137], v[54:55], v[116:117]
	v_add_f64 v[6:7], v[6:7], v[134:135]
	v_add_f64 v[2:3], v[2:3], v[4:5]
	v_mul_f64 v[4:5], v[66:67], v[102:103]
	v_add_f64 v[6:7], v[6:7], v[136:137]
	v_fma_f64 v[4:5], v[64:65], v[104:105], -v[4:5]
	v_fmac_f64_e32 v[140:141], v[62:63], v[118:119]
	v_add_f64 v[6:7], v[6:7], v[138:139]
	v_add_f64 v[2:3], v[2:3], v[4:5]
	v_mul_f64 v[4:5], v[86:87], v[108:109]
	v_add_f64 v[6:7], v[6:7], v[140:141]
	s_waitcnt vmcnt(4)
	v_fma_f64 v[4:5], v[84:85], v[120:121], -v[4:5]
	v_fmac_f64_e32 v[144:145], v[86:87], v[120:121]
	v_add_f64 v[6:7], v[6:7], v[142:143]
	v_add_f64 v[2:3], v[2:3], v[4:5]
	;; [unrolled: 1-line block ×3, first 2 shown]
	s_waitcnt vmcnt(2)
	v_add_f64 v[2:3], v[122:123], -v[2:3]
	s_waitcnt vmcnt(0)
	v_add_f64 v[4:5], v[124:125], -v[6:7]
	buffer_store_dword v3, off, s[0:3], 0 offset:36
	buffer_store_dword v2, off, s[0:3], 0 offset:32
	;; [unrolled: 1-line block ×4, first 2 shown]
	s_and_saveexec_b64 s[6:7], vcc
	s_cbranch_execz .LBB76_89
; %bb.88:
	buffer_load_dword v2, v79, s[0:3], 0 offen
	buffer_load_dword v3, v79, s[0:3], 0 offen offset:4
	buffer_load_dword v4, v79, s[0:3], 0 offen offset:8
	;; [unrolled: 1-line block ×3, first 2 shown]
	v_mov_b32_e32 v6, 0
	buffer_store_dword v6, off, s[0:3], 0 offset:16
	buffer_store_dword v6, off, s[0:3], 0 offset:20
	;; [unrolled: 1-line block ×4, first 2 shown]
	s_waitcnt vmcnt(4)
	ds_write_b128 v82, v[2:5]
.LBB76_89:
	s_or_b64 exec, exec, s[6:7]
	s_waitcnt lgkmcnt(0)
	; wave barrier
	s_waitcnt lgkmcnt(0)
	buffer_load_dword v2, off, s[0:3], 0 offset:32
	buffer_load_dword v3, off, s[0:3], 0 offset:36
	;; [unrolled: 1-line block ×48, first 2 shown]
	v_mov_b32_e32 v12, 0
	ds_read_b128 v[14:17], v12 offset:240
	ds_read_b128 v[18:21], v12 offset:256
	;; [unrolled: 1-line block ×11, first 2 shown]
	v_cmp_ne_u32_e32 vcc, 0, v81
	s_waitcnt vmcnt(44) lgkmcnt(10)
	v_mul_f64 v[136:137], v[14:15], v[6:7]
	v_mul_f64 v[6:7], v[16:17], v[6:7]
	v_fmac_f64_e32 v[136:137], v[16:17], v[2:3]
	v_fma_f64 v[2:3], v[14:15], v[2:3], -v[6:7]
	s_waitcnt vmcnt(40) lgkmcnt(9)
	v_mul_f64 v[138:139], v[18:19], v[8:9]
	v_mul_f64 v[6:7], v[20:21], v[8:9]
	v_fmac_f64_e32 v[138:139], v[20:21], v[4:5]
	v_add_f64 v[2:3], v[2:3], 0
	v_fma_f64 v[4:5], v[18:19], v[4:5], -v[6:7]
	v_add_f64 v[2:3], v[2:3], v[4:5]
	s_waitcnt vmcnt(38) lgkmcnt(8)
	v_mul_f64 v[4:5], v[50:51], v[10:11]
	v_mul_f64 v[140:141], v[48:49], v[10:11]
	v_add_f64 v[136:137], v[136:137], 0
	s_waitcnt vmcnt(32) lgkmcnt(7)
	v_mul_f64 v[142:143], v[52:53], v[102:103]
	v_add_f64 v[136:137], v[136:137], v[138:139]
	s_waitcnt lgkmcnt(6)
	v_mul_f64 v[144:145], v[56:57], v[68:69]
	v_fmac_f64_e32 v[144:145], v[58:59], v[100:101]
	s_waitcnt vmcnt(30) lgkmcnt(4)
	v_mul_f64 v[148:149], v[64:65], v[104:105]
	s_waitcnt vmcnt(26)
	v_mul_f64 v[146:147], v[60:61], v[108:109]
	v_fmac_f64_e32 v[148:149], v[66:67], v[106:107]
	s_waitcnt vmcnt(24) lgkmcnt(2)
	v_mul_f64 v[152:153], v[88:89], v[110:111]
	s_waitcnt vmcnt(22)
	v_fmac_f64_e32 v[152:153], v[90:91], v[112:113]
	s_waitcnt vmcnt(20)
	v_mul_f64 v[150:151], v[84:85], v[114:115]
	s_waitcnt vmcnt(16) lgkmcnt(1)
	v_mul_f64 v[154:155], v[92:93], v[120:121]
	s_waitcnt vmcnt(14)
	v_fma_f64 v[4:5], v[48:49], v[122:123], -v[4:5]
	v_add_f64 v[2:3], v[2:3], v[4:5]
	v_mul_f64 v[4:5], v[54:55], v[102:103]
	s_waitcnt vmcnt(12)
	v_fma_f64 v[4:5], v[52:53], v[124:125], -v[4:5]
	v_add_f64 v[2:3], v[2:3], v[4:5]
	v_mul_f64 v[4:5], v[58:59], v[68:69]
	v_fma_f64 v[4:5], v[56:57], v[100:101], -v[4:5]
	v_add_f64 v[2:3], v[2:3], v[4:5]
	v_mul_f64 v[4:5], v[62:63], v[108:109]
	s_waitcnt vmcnt(10)
	v_fma_f64 v[4:5], v[60:61], v[126:127], -v[4:5]
	v_add_f64 v[2:3], v[2:3], v[4:5]
	v_mul_f64 v[4:5], v[66:67], v[104:105]
	v_fma_f64 v[4:5], v[64:65], v[106:107], -v[4:5]
	v_fmac_f64_e32 v[140:141], v[50:51], v[122:123]
	v_add_f64 v[2:3], v[2:3], v[4:5]
	v_mul_f64 v[4:5], v[86:87], v[114:115]
	v_fmac_f64_e32 v[142:143], v[54:55], v[124:125]
	v_add_f64 v[136:137], v[136:137], v[140:141]
	s_waitcnt vmcnt(8)
	v_fma_f64 v[4:5], v[84:85], v[128:129], -v[4:5]
	v_add_f64 v[136:137], v[136:137], v[142:143]
	v_add_f64 v[2:3], v[2:3], v[4:5]
	v_mul_f64 v[4:5], v[90:91], v[110:111]
	v_fmac_f64_e32 v[146:147], v[62:63], v[126:127]
	v_add_f64 v[136:137], v[136:137], v[144:145]
	v_fma_f64 v[4:5], v[88:89], v[112:113], -v[4:5]
	v_add_f64 v[136:137], v[136:137], v[146:147]
	v_add_f64 v[2:3], v[2:3], v[4:5]
	v_mul_f64 v[4:5], v[94:95], v[120:121]
	v_fmac_f64_e32 v[150:151], v[86:87], v[128:129]
	v_add_f64 v[136:137], v[136:137], v[148:149]
	s_waitcnt vmcnt(6)
	v_fma_f64 v[4:5], v[92:93], v[130:131], -v[4:5]
	v_add_f64 v[136:137], v[136:137], v[150:151]
	v_add_f64 v[2:3], v[2:3], v[4:5]
	s_waitcnt vmcnt(5) lgkmcnt(0)
	v_mul_f64 v[4:5], v[98:99], v[116:117]
	v_fmac_f64_e32 v[154:155], v[94:95], v[130:131]
	v_add_f64 v[136:137], v[136:137], v[152:153]
	v_mul_f64 v[138:139], v[96:97], v[116:117]
	s_waitcnt vmcnt(4)
	v_fma_f64 v[4:5], v[96:97], v[118:119], -v[4:5]
	v_add_f64 v[136:137], v[136:137], v[154:155]
	v_fmac_f64_e32 v[138:139], v[98:99], v[118:119]
	v_add_f64 v[2:3], v[2:3], v[4:5]
	v_add_f64 v[136:137], v[136:137], v[138:139]
	s_waitcnt vmcnt(2)
	v_add_f64 v[2:3], v[132:133], -v[2:3]
	s_waitcnt vmcnt(0)
	v_add_f64 v[4:5], v[134:135], -v[136:137]
	buffer_store_dword v3, off, s[0:3], 0 offset:20
	buffer_store_dword v2, off, s[0:3], 0 offset:16
	;; [unrolled: 1-line block ×4, first 2 shown]
	s_and_saveexec_b64 s[6:7], vcc
	s_cbranch_execz .LBB76_91
; %bb.90:
	buffer_load_dword v2, off, s[0:3], 0
	buffer_load_dword v3, off, s[0:3], 0 offset:4
	buffer_load_dword v4, off, s[0:3], 0 offset:8
	;; [unrolled: 1-line block ×3, first 2 shown]
	s_nop 0
	buffer_store_dword v12, off, s[0:3], 0
	buffer_store_dword v12, off, s[0:3], 0 offset:4
	buffer_store_dword v12, off, s[0:3], 0 offset:8
	;; [unrolled: 1-line block ×3, first 2 shown]
	s_waitcnt vmcnt(4)
	ds_write_b128 v82, v[2:5]
.LBB76_91:
	s_or_b64 exec, exec, s[6:7]
	s_waitcnt lgkmcnt(0)
	; wave barrier
	s_waitcnt lgkmcnt(0)
	buffer_load_dword v2, off, s[0:3], 0 offset:16
	buffer_load_dword v3, off, s[0:3], 0 offset:20
	;; [unrolled: 1-line block ×48, first 2 shown]
	buffer_load_dword v138, off, s[0:3], 0
	buffer_load_dword v139, off, s[0:3], 0 offset:4
	buffer_load_dword v140, off, s[0:3], 0 offset:8
	buffer_load_dword v141, off, s[0:3], 0 offset:12
	ds_read_b128 v[14:17], v12 offset:224
	ds_read_b128 v[18:21], v12 offset:240
	ds_read_b128 v[48:51], v12 offset:256
	ds_read_b128 v[52:55], v12 offset:272
	ds_read_b128 v[56:59], v12 offset:288
	ds_read_b128 v[60:63], v12 offset:304
	ds_read_b128 v[64:67], v12 offset:320
	ds_read_b128 v[82:85], v12 offset:336
	ds_read_b128 v[86:89], v12 offset:352
	ds_read_b128 v[90:93], v12 offset:368
	s_and_b64 vcc, exec, s[18:19]
	s_waitcnt vmcnt(48) lgkmcnt(9)
	v_mul_f64 v[94:95], v[14:15], v[6:7]
	v_mul_f64 v[6:7], v[16:17], v[6:7]
	v_fmac_f64_e32 v[94:95], v[16:17], v[2:3]
	v_fma_f64 v[2:3], v[14:15], v[2:3], -v[6:7]
	s_waitcnt vmcnt(44) lgkmcnt(8)
	v_mul_f64 v[96:97], v[18:19], v[8:9]
	v_mul_f64 v[6:7], v[20:21], v[8:9]
	v_fmac_f64_e32 v[96:97], v[20:21], v[4:5]
	v_add_f64 v[2:3], v[2:3], 0
	v_fma_f64 v[4:5], v[18:19], v[4:5], -v[6:7]
	v_add_f64 v[2:3], v[2:3], v[4:5]
	s_waitcnt vmcnt(42) lgkmcnt(7)
	v_mul_f64 v[4:5], v[50:51], v[10:11]
	v_mul_f64 v[98:99], v[48:49], v[10:11]
	v_add_f64 v[94:95], v[94:95], 0
	s_waitcnt vmcnt(36) lgkmcnt(6)
	v_mul_f64 v[100:101], v[52:53], v[104:105]
	v_add_f64 v[94:95], v[94:95], v[96:97]
	s_waitcnt lgkmcnt(5)
	v_mul_f64 v[142:143], v[56:57], v[68:69]
	v_fmac_f64_e32 v[142:143], v[58:59], v[102:103]
	s_waitcnt vmcnt(34) lgkmcnt(3)
	v_mul_f64 v[146:147], v[64:65], v[106:107]
	s_waitcnt vmcnt(30)
	v_mul_f64 v[144:145], v[60:61], v[110:111]
	v_fmac_f64_e32 v[146:147], v[66:67], v[108:109]
	s_waitcnt vmcnt(26) lgkmcnt(2)
	v_mul_f64 v[148:149], v[82:83], v[116:117]
	s_waitcnt vmcnt(25) lgkmcnt(1)
	v_mul_f64 v[150:151], v[86:87], v[112:113]
	s_waitcnt vmcnt(23)
	v_fma_f64 v[4:5], v[48:49], v[118:119], -v[4:5]
	v_add_f64 v[2:3], v[2:3], v[4:5]
	v_mul_f64 v[4:5], v[54:55], v[104:105]
	s_waitcnt vmcnt(21)
	v_fma_f64 v[4:5], v[52:53], v[120:121], -v[4:5]
	v_fmac_f64_e32 v[98:99], v[50:51], v[118:119]
	v_add_f64 v[2:3], v[2:3], v[4:5]
	v_mul_f64 v[4:5], v[58:59], v[68:69]
	v_fmac_f64_e32 v[100:101], v[54:55], v[120:121]
	v_add_f64 v[94:95], v[94:95], v[98:99]
	v_fma_f64 v[4:5], v[56:57], v[102:103], -v[4:5]
	v_add_f64 v[94:95], v[94:95], v[100:101]
	v_add_f64 v[2:3], v[2:3], v[4:5]
	v_mul_f64 v[4:5], v[62:63], v[110:111]
	s_waitcnt vmcnt(19)
	v_fmac_f64_e32 v[144:145], v[62:63], v[122:123]
	v_add_f64 v[94:95], v[94:95], v[142:143]
	v_fma_f64 v[4:5], v[60:61], v[122:123], -v[4:5]
	v_add_f64 v[94:95], v[94:95], v[144:145]
	v_add_f64 v[2:3], v[2:3], v[4:5]
	v_mul_f64 v[4:5], v[66:67], v[106:107]
	s_waitcnt vmcnt(17)
	v_fmac_f64_e32 v[148:149], v[84:85], v[124:125]
	v_add_f64 v[94:95], v[94:95], v[146:147]
	v_fma_f64 v[4:5], v[64:65], v[108:109], -v[4:5]
	s_waitcnt vmcnt(16)
	v_fmac_f64_e32 v[150:151], v[88:89], v[114:115]
	v_add_f64 v[94:95], v[94:95], v[148:149]
	v_add_f64 v[2:3], v[2:3], v[4:5]
	v_mul_f64 v[4:5], v[84:85], v[116:117]
	v_add_f64 v[142:143], v[94:95], v[150:151]
	ds_read_b128 v[94:97], v12 offset:384
	ds_read_b128 v[98:101], v12 offset:400
	v_fma_f64 v[4:5], v[82:83], v[124:125], -v[4:5]
	v_add_f64 v[2:3], v[2:3], v[4:5]
	v_mul_f64 v[4:5], v[88:89], v[112:113]
	v_fma_f64 v[4:5], v[86:87], v[114:115], -v[4:5]
	v_add_f64 v[2:3], v[2:3], v[4:5]
	s_waitcnt vmcnt(12) lgkmcnt(2)
	v_mul_f64 v[4:5], v[92:93], v[130:131]
	v_mul_f64 v[144:145], v[90:91], v[130:131]
	s_waitcnt vmcnt(10)
	v_fma_f64 v[4:5], v[90:91], v[132:133], -v[4:5]
	v_fmac_f64_e32 v[144:145], v[92:93], v[132:133]
	v_add_f64 v[2:3], v[2:3], v[4:5]
	s_waitcnt vmcnt(8) lgkmcnt(1)
	v_mul_f64 v[4:5], v[96:97], v[126:127]
	v_add_f64 v[12:13], v[142:143], v[144:145]
	v_mul_f64 v[142:143], v[94:95], v[126:127]
	v_fma_f64 v[4:5], v[94:95], v[128:129], -v[4:5]
	v_fmac_f64_e32 v[142:143], v[96:97], v[128:129]
	v_add_f64 v[2:3], v[2:3], v[4:5]
	s_waitcnt vmcnt(6) lgkmcnt(0)
	v_mul_f64 v[4:5], v[100:101], v[134:135]
	v_add_f64 v[12:13], v[12:13], v[142:143]
	v_mul_f64 v[142:143], v[98:99], v[134:135]
	s_waitcnt vmcnt(4)
	v_fma_f64 v[4:5], v[98:99], v[136:137], -v[4:5]
	v_fmac_f64_e32 v[142:143], v[100:101], v[136:137]
	v_add_f64 v[2:3], v[2:3], v[4:5]
	v_add_f64 v[12:13], v[12:13], v[142:143]
	s_waitcnt vmcnt(2)
	v_add_f64 v[2:3], v[138:139], -v[2:3]
	s_waitcnt vmcnt(0)
	v_add_f64 v[4:5], v[140:141], -v[12:13]
	buffer_store_dword v3, off, s[0:3], 0 offset:4
	buffer_store_dword v2, off, s[0:3], 0
	buffer_store_dword v5, off, s[0:3], 0 offset:12
	buffer_store_dword v4, off, s[0:3], 0 offset:8
	s_cbranch_vccz .LBB76_117
; %bb.92:
	v_pk_mov_b32 v[2:3], s[16:17], s[16:17] op_sel:[0,1]
	flat_load_dword v2, v[2:3] offset:44
	s_load_dwordx2 s[4:5], s[4:5], 0x4
	v_bfe_u32 v4, v0, 10, 10
	v_bfe_u32 v0, v0, 20, 10
	s_waitcnt lgkmcnt(0)
	s_lshr_b32 s4, s4, 16
	s_mul_i32 s4, s4, s5
	v_mul_u32_u24_e32 v3, s4, v81
	v_mul_u32_u24_e32 v4, s5, v4
	v_add3_u32 v0, v3, v4, v0
	v_mov_b32_e32 v3, 0x1a8
	v_lshl_add_u32 v0, v0, 4, v3
	s_waitcnt vmcnt(0)
	v_add_u32_e32 v2, -1, v2
	v_cmp_ne_u32_e32 vcc, 11, v2
	s_and_saveexec_b64 s[4:5], vcc
	s_cbranch_execz .LBB76_94
; %bb.93:
	v_mov_b32_e32 v3, 0
	v_lshl_add_u32 v6, v2, 4, v3
	buffer_load_dword v2, v72, s[0:3], 0 offen
	buffer_load_dword v3, v72, s[0:3], 0 offen offset:4
	buffer_load_dword v4, v72, s[0:3], 0 offen offset:8
	buffer_load_dword v5, v72, s[0:3], 0 offen offset:12
	buffer_load_dword v7, v6, s[0:3], 0 offen
	buffer_load_dword v8, v6, s[0:3], 0 offen offset:4
	buffer_load_dword v9, v6, s[0:3], 0 offen offset:8
	buffer_load_dword v10, v6, s[0:3], 0 offen offset:12
	s_waitcnt vmcnt(4)
	ds_write2_b64 v0, v[2:3], v[4:5] offset1:1
	s_waitcnt vmcnt(3)
	buffer_store_dword v7, v72, s[0:3], 0 offen
	s_waitcnt vmcnt(3)
	buffer_store_dword v8, v72, s[0:3], 0 offen offset:4
	s_waitcnt vmcnt(3)
	buffer_store_dword v9, v72, s[0:3], 0 offen offset:8
	s_waitcnt vmcnt(3)
	buffer_store_dword v10, v72, s[0:3], 0 offen offset:12
	buffer_store_dword v5, v6, s[0:3], 0 offen offset:12
	buffer_store_dword v4, v6, s[0:3], 0 offen offset:8
	buffer_store_dword v3, v6, s[0:3], 0 offen offset:4
	buffer_store_dword v2, v6, s[0:3], 0 offen
.LBB76_94:
	s_or_b64 exec, exec, s[4:5]
	v_pk_mov_b32 v[2:3], s[16:17], s[16:17] op_sel:[0,1]
	flat_load_dword v2, v[2:3] offset:40
	s_waitcnt vmcnt(0) lgkmcnt(0)
	v_add_u32_e32 v2, -1, v2
	v_cmp_ne_u32_e32 vcc, 10, v2
	s_and_saveexec_b64 s[4:5], vcc
	s_cbranch_execz .LBB76_96
; %bb.95:
	v_mov_b32_e32 v3, 0
	v_lshl_add_u32 v6, v2, 4, v3
	buffer_load_dword v2, v71, s[0:3], 0 offen
	buffer_load_dword v3, v71, s[0:3], 0 offen offset:4
	buffer_load_dword v4, v71, s[0:3], 0 offen offset:8
	buffer_load_dword v5, v71, s[0:3], 0 offen offset:12
	buffer_load_dword v7, v6, s[0:3], 0 offen
	buffer_load_dword v8, v6, s[0:3], 0 offen offset:4
	buffer_load_dword v9, v6, s[0:3], 0 offen offset:8
	buffer_load_dword v10, v6, s[0:3], 0 offen offset:12
	s_waitcnt vmcnt(4)
	ds_write2_b64 v0, v[2:3], v[4:5] offset1:1
	s_waitcnt vmcnt(3)
	buffer_store_dword v7, v71, s[0:3], 0 offen
	s_waitcnt vmcnt(3)
	buffer_store_dword v8, v71, s[0:3], 0 offen offset:4
	s_waitcnt vmcnt(3)
	buffer_store_dword v9, v71, s[0:3], 0 offen offset:8
	s_waitcnt vmcnt(3)
	buffer_store_dword v10, v71, s[0:3], 0 offen offset:12
	buffer_store_dword v5, v6, s[0:3], 0 offen offset:12
	buffer_store_dword v4, v6, s[0:3], 0 offen offset:8
	buffer_store_dword v3, v6, s[0:3], 0 offen offset:4
	buffer_store_dword v2, v6, s[0:3], 0 offen
.LBB76_96:
	s_or_b64 exec, exec, s[4:5]
	v_pk_mov_b32 v[2:3], s[16:17], s[16:17] op_sel:[0,1]
	flat_load_dword v2, v[2:3] offset:36
	s_waitcnt vmcnt(0) lgkmcnt(0)
	;; [unrolled: 34-line block ×10, first 2 shown]
	v_add_u32_e32 v2, -1, v2
	v_cmp_ne_u32_e32 vcc, 1, v2
	s_and_saveexec_b64 s[4:5], vcc
	s_cbranch_execz .LBB76_114
; %bb.113:
	v_mov_b32_e32 v3, 0
	v_lshl_add_u32 v6, v2, 4, v3
	buffer_load_dword v2, v79, s[0:3], 0 offen
	buffer_load_dword v3, v79, s[0:3], 0 offen offset:4
	buffer_load_dword v4, v79, s[0:3], 0 offen offset:8
	;; [unrolled: 1-line block ×3, first 2 shown]
	buffer_load_dword v7, v6, s[0:3], 0 offen
	buffer_load_dword v8, v6, s[0:3], 0 offen offset:4
	buffer_load_dword v9, v6, s[0:3], 0 offen offset:8
	;; [unrolled: 1-line block ×3, first 2 shown]
	s_waitcnt vmcnt(4)
	ds_write2_b64 v0, v[2:3], v[4:5] offset1:1
	s_waitcnt vmcnt(3)
	buffer_store_dword v7, v79, s[0:3], 0 offen
	s_waitcnt vmcnt(3)
	buffer_store_dword v8, v79, s[0:3], 0 offen offset:4
	s_waitcnt vmcnt(3)
	buffer_store_dword v9, v79, s[0:3], 0 offen offset:8
	;; [unrolled: 2-line block ×3, first 2 shown]
	buffer_store_dword v5, v6, s[0:3], 0 offen offset:12
	buffer_store_dword v4, v6, s[0:3], 0 offen offset:8
	;; [unrolled: 1-line block ×3, first 2 shown]
	buffer_store_dword v2, v6, s[0:3], 0 offen
.LBB76_114:
	s_or_b64 exec, exec, s[4:5]
	v_pk_mov_b32 v[2:3], s[16:17], s[16:17] op_sel:[0,1]
	flat_load_dword v2, v[2:3]
	s_waitcnt vmcnt(0) lgkmcnt(0)
	v_add_u32_e32 v2, -1, v2
	v_cmp_ne_u32_e32 vcc, 0, v2
	s_and_saveexec_b64 s[4:5], vcc
	s_cbranch_execz .LBB76_116
; %bb.115:
	v_mov_b32_e32 v3, 0
	v_lshl_add_u32 v6, v2, 4, v3
	buffer_load_dword v2, off, s[0:3], 0
	buffer_load_dword v3, off, s[0:3], 0 offset:4
	buffer_load_dword v4, off, s[0:3], 0 offset:8
	;; [unrolled: 1-line block ×3, first 2 shown]
	buffer_load_dword v7, v6, s[0:3], 0 offen
	buffer_load_dword v8, v6, s[0:3], 0 offen offset:4
	buffer_load_dword v9, v6, s[0:3], 0 offen offset:8
	;; [unrolled: 1-line block ×3, first 2 shown]
	s_waitcnt vmcnt(4)
	ds_write2_b64 v0, v[2:3], v[4:5] offset1:1
	s_waitcnt vmcnt(3)
	buffer_store_dword v7, off, s[0:3], 0
	s_waitcnt vmcnt(3)
	buffer_store_dword v8, off, s[0:3], 0 offset:4
	s_waitcnt vmcnt(3)
	buffer_store_dword v9, off, s[0:3], 0 offset:8
	;; [unrolled: 2-line block ×3, first 2 shown]
	buffer_store_dword v5, v6, s[0:3], 0 offen offset:12
	buffer_store_dword v4, v6, s[0:3], 0 offen offset:8
	;; [unrolled: 1-line block ×3, first 2 shown]
	buffer_store_dword v2, v6, s[0:3], 0 offen
.LBB76_116:
	s_or_b64 exec, exec, s[4:5]
.LBB76_117:
	buffer_load_dword v2, off, s[0:3], 0
	buffer_load_dword v3, off, s[0:3], 0 offset:4
	buffer_load_dword v4, off, s[0:3], 0 offset:8
	;; [unrolled: 1-line block ×3, first 2 shown]
	buffer_load_dword v6, v79, s[0:3], 0 offen
	buffer_load_dword v7, v79, s[0:3], 0 offen offset:4
	buffer_load_dword v8, v79, s[0:3], 0 offen offset:8
	;; [unrolled: 1-line block ×6, first 2 shown]
	buffer_load_dword v14, v80, s[0:3], 0 offen
	buffer_load_dword v15, v80, s[0:3], 0 offen offset:4
	buffer_load_dword v16, v80, s[0:3], 0 offen offset:8
	buffer_load_dword v10, v78, s[0:3], 0 offen
	buffer_load_dword v17, v80, s[0:3], 0 offen offset:12
	buffer_load_dword v19, v74, s[0:3], 0 offen offset:4
	;; [unrolled: 1-line block ×4, first 2 shown]
                                        ; kill: killed $vgpr79
                                        ; kill: killed $vgpr80
                                        ; kill: killed $vgpr78
	buffer_load_dword v48, v76, s[0:3], 0 offen
	buffer_load_dword v49, v76, s[0:3], 0 offen offset:4
	buffer_load_dword v50, v76, s[0:3], 0 offen offset:8
	buffer_load_dword v18, v74, s[0:3], 0 offen
	buffer_load_dword v51, v76, s[0:3], 0 offen offset:12
	buffer_load_dword v53, v75, s[0:3], 0 offen offset:4
	;; [unrolled: 1-line block ×4, first 2 shown]
	buffer_load_dword v56, v77, s[0:3], 0 offen
	buffer_load_dword v57, v77, s[0:3], 0 offen offset:4
	buffer_load_dword v58, v77, s[0:3], 0 offen offset:8
	buffer_load_dword v52, v75, s[0:3], 0 offen
	buffer_load_dword v59, v77, s[0:3], 0 offen offset:12
	buffer_load_dword v61, v1, s[0:3], 0 offen offset:4
	;; [unrolled: 1-line block ×3, first 2 shown]
                                        ; kill: killed $vgpr76
                                        ; kill: killed $vgpr77
                                        ; kill: killed $vgpr74
                                        ; kill: killed $vgpr75
	buffer_load_dword v63, v1, s[0:3], 0 offen offset:12
	buffer_load_dword v64, v70, s[0:3], 0 offen
	buffer_load_dword v65, v70, s[0:3], 0 offen offset:4
	buffer_load_dword v66, v70, s[0:3], 0 offen offset:8
	buffer_load_dword v60, v1, s[0:3], 0 offen
	buffer_load_dword v67, v70, s[0:3], 0 offen offset:12
	buffer_load_dword v75, v71, s[0:3], 0 offen offset:4
	;; [unrolled: 1-line block ×4, first 2 shown]
	buffer_load_dword v78, v72, s[0:3], 0 offen
	buffer_load_dword v79, v72, s[0:3], 0 offen offset:4
	buffer_load_dword v80, v72, s[0:3], 0 offen offset:8
	buffer_load_dword v74, v71, s[0:3], 0 offen
	buffer_load_dword v81, v72, s[0:3], 0 offen offset:12
	buffer_load_dword v68, v73, s[0:3], 0 offen
                                        ; kill: killed $vgpr1
                                        ; kill: killed $vgpr71
                                        ; kill: killed $vgpr70
                                        ; kill: killed $vgpr72
	buffer_load_dword v69, v73, s[0:3], 0 offen offset:4
	buffer_load_dword v70, v73, s[0:3], 0 offen offset:8
	s_nop 0
	buffer_load_dword v71, v73, s[0:3], 0 offen offset:12
	s_waitcnt vmcnt(48)
	global_store_dwordx4 v[22:23], v[2:5], off
	s_waitcnt vmcnt(45)
	global_store_dwordx4 v[24:25], v[6:9], off
	;; [unrolled: 2-line block ×13, first 2 shown]
	s_endpgm
	.section	.rodata,"a",@progbits
	.p2align	6, 0x0
	.amdhsa_kernel _ZN9rocsolver6v33100L18getri_kernel_smallILi13E19rocblas_complex_numIdEPKPS3_EEvT1_iilPiilS8_bb
		.amdhsa_group_segment_fixed_size 1448
		.amdhsa_private_segment_fixed_size 224
		.amdhsa_kernarg_size 60
		.amdhsa_user_sgpr_count 10
		.amdhsa_user_sgpr_private_segment_buffer 1
		.amdhsa_user_sgpr_dispatch_ptr 1
		.amdhsa_user_sgpr_queue_ptr 0
		.amdhsa_user_sgpr_kernarg_segment_ptr 1
		.amdhsa_user_sgpr_dispatch_id 0
		.amdhsa_user_sgpr_flat_scratch_init 1
		.amdhsa_user_sgpr_kernarg_preload_length 0
		.amdhsa_user_sgpr_kernarg_preload_offset 0
		.amdhsa_user_sgpr_private_segment_size 0
		.amdhsa_uses_dynamic_stack 0
		.amdhsa_system_sgpr_private_segment_wavefront_offset 1
		.amdhsa_system_sgpr_workgroup_id_x 1
		.amdhsa_system_sgpr_workgroup_id_y 0
		.amdhsa_system_sgpr_workgroup_id_z 0
		.amdhsa_system_sgpr_workgroup_info 0
		.amdhsa_system_vgpr_workitem_id 2
		.amdhsa_next_free_vgpr 156
		.amdhsa_next_free_sgpr 24
		.amdhsa_accum_offset 156
		.amdhsa_reserve_vcc 1
		.amdhsa_reserve_flat_scratch 1
		.amdhsa_float_round_mode_32 0
		.amdhsa_float_round_mode_16_64 0
		.amdhsa_float_denorm_mode_32 3
		.amdhsa_float_denorm_mode_16_64 3
		.amdhsa_dx10_clamp 1
		.amdhsa_ieee_mode 1
		.amdhsa_fp16_overflow 0
		.amdhsa_tg_split 0
		.amdhsa_exception_fp_ieee_invalid_op 0
		.amdhsa_exception_fp_denorm_src 0
		.amdhsa_exception_fp_ieee_div_zero 0
		.amdhsa_exception_fp_ieee_overflow 0
		.amdhsa_exception_fp_ieee_underflow 0
		.amdhsa_exception_fp_ieee_inexact 0
		.amdhsa_exception_int_div_zero 0
	.end_amdhsa_kernel
	.section	.text._ZN9rocsolver6v33100L18getri_kernel_smallILi13E19rocblas_complex_numIdEPKPS3_EEvT1_iilPiilS8_bb,"axG",@progbits,_ZN9rocsolver6v33100L18getri_kernel_smallILi13E19rocblas_complex_numIdEPKPS3_EEvT1_iilPiilS8_bb,comdat
.Lfunc_end76:
	.size	_ZN9rocsolver6v33100L18getri_kernel_smallILi13E19rocblas_complex_numIdEPKPS3_EEvT1_iilPiilS8_bb, .Lfunc_end76-_ZN9rocsolver6v33100L18getri_kernel_smallILi13E19rocblas_complex_numIdEPKPS3_EEvT1_iilPiilS8_bb
                                        ; -- End function
	.section	.AMDGPU.csdata,"",@progbits
; Kernel info:
; codeLenInByte = 18332
; NumSgprs: 30
; NumVgprs: 156
; NumAgprs: 0
; TotalNumVgprs: 156
; ScratchSize: 224
; MemoryBound: 0
; FloatMode: 240
; IeeeMode: 1
; LDSByteSize: 1448 bytes/workgroup (compile time only)
; SGPRBlocks: 3
; VGPRBlocks: 19
; NumSGPRsForWavesPerEU: 30
; NumVGPRsForWavesPerEU: 156
; AccumOffset: 156
; Occupancy: 3
; WaveLimiterHint : 1
; COMPUTE_PGM_RSRC2:SCRATCH_EN: 1
; COMPUTE_PGM_RSRC2:USER_SGPR: 10
; COMPUTE_PGM_RSRC2:TRAP_HANDLER: 0
; COMPUTE_PGM_RSRC2:TGID_X_EN: 1
; COMPUTE_PGM_RSRC2:TGID_Y_EN: 0
; COMPUTE_PGM_RSRC2:TGID_Z_EN: 0
; COMPUTE_PGM_RSRC2:TIDIG_COMP_CNT: 2
; COMPUTE_PGM_RSRC3_GFX90A:ACCUM_OFFSET: 38
; COMPUTE_PGM_RSRC3_GFX90A:TG_SPLIT: 0
	.section	.text._ZN9rocsolver6v33100L18getri_kernel_smallILi14E19rocblas_complex_numIdEPKPS3_EEvT1_iilPiilS8_bb,"axG",@progbits,_ZN9rocsolver6v33100L18getri_kernel_smallILi14E19rocblas_complex_numIdEPKPS3_EEvT1_iilPiilS8_bb,comdat
	.globl	_ZN9rocsolver6v33100L18getri_kernel_smallILi14E19rocblas_complex_numIdEPKPS3_EEvT1_iilPiilS8_bb ; -- Begin function _ZN9rocsolver6v33100L18getri_kernel_smallILi14E19rocblas_complex_numIdEPKPS3_EEvT1_iilPiilS8_bb
	.p2align	8
	.type	_ZN9rocsolver6v33100L18getri_kernel_smallILi14E19rocblas_complex_numIdEPKPS3_EEvT1_iilPiilS8_bb,@function
_ZN9rocsolver6v33100L18getri_kernel_smallILi14E19rocblas_complex_numIdEPKPS3_EEvT1_iilPiilS8_bb: ; @_ZN9rocsolver6v33100L18getri_kernel_smallILi14E19rocblas_complex_numIdEPKPS3_EEvT1_iilPiilS8_bb
; %bb.0:
	s_add_u32 flat_scratch_lo, s8, s11
	s_addc_u32 flat_scratch_hi, s9, 0
	s_add_u32 s0, s0, s11
	v_and_b32_e32 v84, 0x3ff, v0
	s_addc_u32 s1, s1, 0
	v_cmp_gt_u32_e32 vcc, 14, v84
	s_and_saveexec_b64 s[8:9], vcc
	s_cbranch_execz .LBB77_70
; %bb.1:
	s_load_dword s22, s[6:7], 0x38
	s_load_dwordx2 s[8:9], s[6:7], 0x0
	s_load_dwordx4 s[12:15], s[6:7], 0x28
	s_waitcnt lgkmcnt(0)
	s_bitcmp1_b32 s22, 8
	s_cselect_b64 s[18:19], -1, 0
	s_ashr_i32 s11, s10, 31
	s_lshl_b64 s[16:17], s[10:11], 3
	s_add_u32 s8, s8, s16
	s_addc_u32 s9, s9, s17
	s_load_dwordx2 s[20:21], s[8:9], 0x0
	s_bfe_u32 s8, s22, 0x10008
	s_cmp_eq_u32 s8, 0
                                        ; implicit-def: $sgpr16_sgpr17
	s_cbranch_scc1 .LBB77_3
; %bb.2:
	s_load_dword s8, s[6:7], 0x20
	s_load_dwordx2 s[16:17], s[6:7], 0x18
	s_mul_i32 s9, s10, s13
	s_mul_hi_u32 s13, s10, s12
	s_add_i32 s13, s13, s9
	s_mul_i32 s23, s11, s12
	s_add_i32 s13, s13, s23
	s_mul_i32 s12, s10, s12
	s_waitcnt lgkmcnt(0)
	s_ashr_i32 s9, s8, 31
	s_lshl_b64 s[12:13], s[12:13], 2
	s_add_u32 s12, s16, s12
	s_addc_u32 s13, s17, s13
	s_lshl_b64 s[8:9], s[8:9], 2
	s_add_u32 s16, s12, s8
	s_addc_u32 s17, s13, s9
.LBB77_3:
	s_load_dwordx2 s[8:9], s[6:7], 0x8
	v_lshlrev_b32_e32 v12, 4, v84
	s_waitcnt lgkmcnt(0)
	s_ashr_i32 s7, s8, 31
	s_mov_b32 s6, s8
	s_lshl_b64 s[6:7], s[6:7], 4
	s_add_u32 s6, s20, s6
	s_addc_u32 s7, s21, s7
	s_mov_b32 s12, s9
	s_ashr_i32 s13, s9, 31
	s_add_i32 s8, s9, s9
	v_mov_b32_e32 v1, s7
	v_add_co_u32_e32 v22, vcc, s6, v12
	s_lshl_b64 s[12:13], s[12:13], 4
	v_add_u32_e32 v6, s8, v84
	v_addc_co_u32_e32 v23, vcc, 0, v1, vcc
	v_mov_b32_e32 v1, s13
	v_ashrrev_i32_e32 v7, 31, v6
	v_add_co_u32_e32 v24, vcc, s12, v22
	v_add_u32_e32 v8, s9, v6
	v_addc_co_u32_e32 v25, vcc, v23, v1, vcc
	v_lshlrev_b64 v[6:7], 4, v[6:7]
	v_mov_b32_e32 v11, s7
	v_ashrrev_i32_e32 v9, 31, v8
	v_add_co_u32_e32 v26, vcc, s6, v6
	v_add_u32_e32 v10, s9, v8
	v_addc_co_u32_e32 v27, vcc, v11, v7, vcc
	v_lshlrev_b64 v[18:19], 4, v[8:9]
	;; [unrolled: 6-line block ×5, first 2 shown]
	v_mov_b32_e32 v37, s7
	v_add_u32_e32 v38, s9, v36
	v_add_co_u32_e32 v34, vcc, s6, v10
	v_addc_co_u32_e32 v35, vcc, v37, v11, vcc
	v_add_u32_e32 v10, s9, v38
	v_ashrrev_i32_e32 v37, 31, v36
	v_add_u32_e32 v42, s9, v10
	v_lshlrev_b64 v[36:37], 4, v[36:37]
	v_add_u32_e32 v44, s9, v42
	v_mov_b32_e32 v1, s7
	v_add_co_u32_e32 v36, vcc, s6, v36
	v_ashrrev_i32_e32 v39, 31, v38
	v_add_u32_e32 v46, s9, v44
	v_addc_co_u32_e32 v37, vcc, v1, v37, vcc
	v_lshlrev_b64 v[38:39], 4, v[38:39]
	v_add_u32_e32 v40, s9, v46
	v_add_co_u32_e32 v38, vcc, s6, v38
	v_ashrrev_i32_e32 v11, 31, v10
	v_ashrrev_i32_e32 v41, 31, v40
	v_addc_co_u32_e32 v39, vcc, v1, v39, vcc
	v_lshlrev_b64 v[10:11], 4, v[10:11]
	v_lshlrev_b64 v[70:71], 4, v[40:41]
	v_add_co_u32_e32 v40, vcc, s6, v10
	v_ashrrev_i32_e32 v43, 31, v42
	v_addc_co_u32_e32 v41, vcc, v1, v11, vcc
	v_lshlrev_b64 v[10:11], 4, v[42:43]
	v_add_co_u32_e32 v42, vcc, s6, v10
	v_ashrrev_i32_e32 v45, 31, v44
	v_addc_co_u32_e32 v43, vcc, v1, v11, vcc
	;; [unrolled: 4-line block ×3, first 2 shown]
	v_lshlrev_b64 v[10:11], 4, v[46:47]
	v_add_co_u32_e32 v48, vcc, s6, v10
	v_addc_co_u32_e32 v49, vcc, v1, v11, vcc
	global_load_dwordx4 v[2:5], v12, s[6:7]
	v_mov_b32_e32 v72, s7
	global_load_dwordx4 v[6:9], v[24:25], off
	global_load_dwordx4 v[14:17], v[26:27], off
	;; [unrolled: 1-line block ×6, first 2 shown]
	v_add_co_u32_e32 v46, vcc, s6, v70
	v_addc_co_u32_e32 v47, vcc, v72, v71, vcc
	global_load_dwordx4 v[62:65], v[36:37], off
	global_load_dwordx4 v[66:69], v[38:39], off
	;; [unrolled: 1-line block ×7, first 2 shown]
	s_waitcnt vmcnt(13)
	buffer_store_dword v5, off, s[0:3], 0 offset:12
	buffer_store_dword v4, off, s[0:3], 0 offset:8
	;; [unrolled: 1-line block ×3, first 2 shown]
	buffer_store_dword v2, off, s[0:3], 0
	s_waitcnt vmcnt(16)
	buffer_store_dword v9, off, s[0:3], 0 offset:28
	buffer_store_dword v8, off, s[0:3], 0 offset:24
	buffer_store_dword v7, off, s[0:3], 0 offset:20
	buffer_store_dword v6, off, s[0:3], 0 offset:16
	s_waitcnt vmcnt(19)
	buffer_store_dword v17, off, s[0:3], 0 offset:44
	buffer_store_dword v16, off, s[0:3], 0 offset:40
	buffer_store_dword v15, off, s[0:3], 0 offset:36
	buffer_store_dword v14, off, s[0:3], 0 offset:32
	;; [unrolled: 5-line block ×6, first 2 shown]
	v_mov_b32_e32 v2, 0
	v_add_u32_e32 v81, 16, v2
	v_add_u32_e32 v83, 32, v2
	;; [unrolled: 1-line block ×13, first 2 shown]
	s_bitcmp0_b32 s22, 0
	s_mov_b64 s[8:9], -1
	s_waitcnt vmcnt(34)
	buffer_store_dword v65, off, s[0:3], 0 offset:124
	buffer_store_dword v64, off, s[0:3], 0 offset:120
	buffer_store_dword v63, off, s[0:3], 0 offset:116
	buffer_store_dword v62, off, s[0:3], 0 offset:112
	s_waitcnt vmcnt(37)
	buffer_store_dword v69, off, s[0:3], 0 offset:140
	buffer_store_dword v68, off, s[0:3], 0 offset:136
	buffer_store_dword v67, off, s[0:3], 0 offset:132
	buffer_store_dword v66, off, s[0:3], 0 offset:128
	;; [unrolled: 5-line block ×6, first 2 shown]
	buffer_store_dword v105, off, s[0:3], 0 offset:220
	buffer_store_dword v104, off, s[0:3], 0 offset:216
	;; [unrolled: 1-line block ×4, first 2 shown]
	s_cbranch_scc1 .LBB77_68
; %bb.4:
	v_cmp_eq_u32_e64 s[6:7], 0, v84
	s_and_saveexec_b64 s[8:9], s[6:7]
	s_cbranch_execz .LBB77_6
; %bb.5:
	v_mov_b32_e32 v2, 0
	ds_write_b32 v2, v2 offset:448
.LBB77_6:
	s_or_b64 exec, exec, s[8:9]
	v_mov_b32_e32 v2, 0
	v_lshl_add_u32 v13, v84, 4, v2
	s_waitcnt lgkmcnt(0)
	; wave barrier
	s_waitcnt lgkmcnt(0)
	buffer_load_dword v2, v13, s[0:3], 0 offen
	buffer_load_dword v3, v13, s[0:3], 0 offen offset:4
	buffer_load_dword v4, v13, s[0:3], 0 offen offset:8
	;; [unrolled: 1-line block ×3, first 2 shown]
	s_waitcnt vmcnt(2)
	v_cmp_eq_f64_e32 vcc, 0, v[2:3]
	s_waitcnt vmcnt(0)
	v_cmp_eq_f64_e64 s[8:9], 0, v[4:5]
	s_and_b64 s[8:9], vcc, s[8:9]
	s_and_saveexec_b64 s[12:13], s[8:9]
	s_cbranch_execz .LBB77_10
; %bb.7:
	v_mov_b32_e32 v2, 0
	ds_read_b32 v4, v2 offset:448
	v_add_u32_e32 v3, 1, v84
	s_waitcnt lgkmcnt(0)
	v_readfirstlane_b32 s8, v4
	s_cmp_eq_u32 s8, 0
	s_cselect_b64 s[20:21], -1, 0
	v_cmp_gt_i32_e32 vcc, s8, v3
	s_or_b64 s[20:21], s[20:21], vcc
	s_and_b64 exec, exec, s[20:21]
	s_cbranch_execz .LBB77_10
; %bb.8:
	s_mov_b64 s[20:21], 0
	v_mov_b32_e32 v4, s8
.LBB77_9:                               ; =>This Inner Loop Header: Depth=1
	ds_cmpst_rtn_b32 v4, v2, v4, v3 offset:448
	s_waitcnt lgkmcnt(0)
	v_cmp_ne_u32_e32 vcc, 0, v4
	v_cmp_le_i32_e64 s[8:9], v4, v3
	s_and_b64 s[8:9], vcc, s[8:9]
	s_and_b64 s[8:9], exec, s[8:9]
	s_or_b64 s[20:21], s[8:9], s[20:21]
	s_andn2_b64 exec, exec, s[20:21]
	s_cbranch_execnz .LBB77_9
.LBB77_10:
	s_or_b64 exec, exec, s[12:13]
	v_mov_b32_e32 v3, 0
	s_waitcnt lgkmcnt(0)
	; wave barrier
	ds_read_b32 v2, v3 offset:448
	s_and_saveexec_b64 s[8:9], s[6:7]
	s_cbranch_execz .LBB77_12
; %bb.11:
	s_lshl_b64 s[12:13], s[10:11], 2
	s_add_u32 s12, s14, s12
	s_addc_u32 s13, s15, s13
	s_waitcnt lgkmcnt(0)
	global_store_dword v3, v2, s[12:13]
.LBB77_12:
	s_or_b64 exec, exec, s[8:9]
	s_waitcnt lgkmcnt(0)
	v_cmp_ne_u32_e32 vcc, 0, v2
	s_mov_b64 s[8:9], 0
	s_cbranch_vccnz .LBB77_68
; %bb.13:
	buffer_load_dword v7, v13, s[0:3], 0 offen offset:4
	buffer_load_dword v6, v13, s[0:3], 0 offen
	buffer_load_dword v9, v13, s[0:3], 0 offen offset:12
	buffer_load_dword v8, v13, s[0:3], 0 offen offset:8
                                        ; implicit-def: $vgpr10_vgpr11
	s_waitcnt vmcnt(3)
	v_xor_b32_e32 v3, 0x80000000, v7
	s_waitcnt vmcnt(2)
	v_cmp_gt_f64_e32 vcc, 0, v[6:7]
	s_waitcnt vmcnt(1)
	v_xor_b32_e32 v4, 0x80000000, v9
	v_cndmask_b32_e32 v3, v7, v3, vcc
	s_waitcnt vmcnt(0)
	v_cmp_gt_f64_e32 vcc, 0, v[8:9]
	v_mov_b32_e32 v2, v6
	v_cndmask_b32_e32 v5, v9, v4, vcc
	v_mov_b32_e32 v4, v8
	v_cmp_ngt_f64_e32 vcc, v[2:3], v[4:5]
                                        ; implicit-def: $vgpr4_vgpr5
	s_and_saveexec_b64 s[8:9], vcc
	s_xor_b64 s[8:9], exec, s[8:9]
	s_cbranch_execz .LBB77_15
; %bb.14:
	v_div_scale_f64 v[2:3], s[12:13], v[8:9], v[8:9], v[6:7]
	v_rcp_f64_e32 v[4:5], v[2:3]
	v_div_scale_f64 v[10:11], vcc, v[6:7], v[8:9], v[6:7]
	v_fma_f64 v[14:15], -v[2:3], v[4:5], 1.0
	v_fmac_f64_e32 v[4:5], v[4:5], v[14:15]
	v_fma_f64 v[14:15], -v[2:3], v[4:5], 1.0
	v_fmac_f64_e32 v[4:5], v[4:5], v[14:15]
	v_mul_f64 v[14:15], v[10:11], v[4:5]
	v_fma_f64 v[2:3], -v[2:3], v[14:15], v[10:11]
	v_div_fmas_f64 v[2:3], v[2:3], v[4:5], v[14:15]
	v_div_fixup_f64 v[2:3], v[2:3], v[8:9], v[6:7]
	v_fmac_f64_e32 v[8:9], v[6:7], v[2:3]
	v_div_scale_f64 v[4:5], s[12:13], v[8:9], v[8:9], 1.0
	v_rcp_f64_e32 v[6:7], v[4:5]
	v_fma_f64 v[10:11], -v[4:5], v[6:7], 1.0
	v_fmac_f64_e32 v[6:7], v[6:7], v[10:11]
	v_fma_f64 v[10:11], -v[4:5], v[6:7], 1.0
	v_fmac_f64_e32 v[6:7], v[6:7], v[10:11]
	v_div_scale_f64 v[10:11], vcc, 1.0, v[8:9], 1.0
	v_mul_f64 v[14:15], v[10:11], v[6:7]
	v_fma_f64 v[4:5], -v[4:5], v[14:15], v[10:11]
	s_nop 1
	v_div_fmas_f64 v[4:5], v[4:5], v[6:7], v[14:15]
	v_div_fixup_f64 v[4:5], v[4:5], v[8:9], 1.0
	v_mul_f64 v[10:11], v[2:3], v[4:5]
	v_xor_b32_e32 v5, 0x80000000, v5
	v_xor_b32_e32 v3, 0x80000000, v11
	v_mov_b32_e32 v2, v10
                                        ; implicit-def: $vgpr6_vgpr7
                                        ; implicit-def: $vgpr8_vgpr9
.LBB77_15:
	s_andn2_saveexec_b64 s[8:9], s[8:9]
	s_cbranch_execz .LBB77_17
; %bb.16:
	v_div_scale_f64 v[2:3], s[12:13], v[6:7], v[6:7], v[8:9]
	v_rcp_f64_e32 v[4:5], v[2:3]
	v_div_scale_f64 v[10:11], vcc, v[8:9], v[6:7], v[8:9]
	v_fma_f64 v[14:15], -v[2:3], v[4:5], 1.0
	v_fmac_f64_e32 v[4:5], v[4:5], v[14:15]
	v_fma_f64 v[14:15], -v[2:3], v[4:5], 1.0
	v_fmac_f64_e32 v[4:5], v[4:5], v[14:15]
	v_mul_f64 v[14:15], v[10:11], v[4:5]
	v_fma_f64 v[2:3], -v[2:3], v[14:15], v[10:11]
	v_div_fmas_f64 v[2:3], v[2:3], v[4:5], v[14:15]
	v_div_fixup_f64 v[4:5], v[2:3], v[6:7], v[8:9]
	v_fmac_f64_e32 v[6:7], v[8:9], v[4:5]
	v_div_scale_f64 v[2:3], s[12:13], v[6:7], v[6:7], 1.0
	v_rcp_f64_e32 v[8:9], v[2:3]
	v_fma_f64 v[10:11], -v[2:3], v[8:9], 1.0
	v_fmac_f64_e32 v[8:9], v[8:9], v[10:11]
	v_fma_f64 v[10:11], -v[2:3], v[8:9], 1.0
	v_fmac_f64_e32 v[8:9], v[8:9], v[10:11]
	v_div_scale_f64 v[10:11], vcc, 1.0, v[6:7], 1.0
	v_mul_f64 v[14:15], v[10:11], v[8:9]
	v_fma_f64 v[2:3], -v[2:3], v[14:15], v[10:11]
	s_nop 1
	v_div_fmas_f64 v[2:3], v[2:3], v[8:9], v[14:15]
	v_div_fixup_f64 v[10:11], v[2:3], v[6:7], 1.0
	v_xor_b32_e32 v3, 0x80000000, v11
	v_mov_b32_e32 v2, v10
	v_mul_f64 v[4:5], v[4:5], -v[10:11]
.LBB77_17:
	s_or_b64 exec, exec, s[8:9]
	buffer_store_dword v11, v13, s[0:3], 0 offen offset:4
	buffer_store_dword v10, v13, s[0:3], 0 offen
	buffer_store_dword v5, v13, s[0:3], 0 offen offset:12
	buffer_store_dword v4, v13, s[0:3], 0 offen offset:8
	buffer_load_dword v11, v81, s[0:3], 0 offen offset:12
	s_nop 0
	buffer_load_dword v10, v81, s[0:3], 0 offen offset:8
	buffer_load_dword v9, v81, s[0:3], 0 offen offset:4
	buffer_load_dword v8, v81, s[0:3], 0 offen
	v_xor_b32_e32 v5, 0x80000000, v5
	v_add_u32_e32 v6, 0xe0, v12
	ds_write_b128 v12, v[2:5]
	s_waitcnt vmcnt(0)
	ds_write_b128 v12, v[8:11] offset:224
	s_waitcnt lgkmcnt(0)
	; wave barrier
	s_waitcnt lgkmcnt(0)
	s_and_saveexec_b64 s[8:9], s[6:7]
	s_cbranch_execz .LBB77_19
; %bb.18:
	buffer_load_dword v14, v13, s[0:3], 0 offen offset:8
	buffer_load_dword v15, v13, s[0:3], 0 offen offset:12
	buffer_load_dword v16, v13, s[0:3], 0 offen
	buffer_load_dword v17, v13, s[0:3], 0 offen offset:4
	ds_read_b128 v[2:5], v6
	v_mov_b32_e32 v7, 0
	ds_read_b128 v[8:11], v7 offset:16
	s_waitcnt vmcnt(2) lgkmcnt(1)
	v_mul_f64 v[18:19], v[4:5], v[14:15]
	v_mul_f64 v[14:15], v[2:3], v[14:15]
	s_waitcnt vmcnt(0)
	v_fmac_f64_e32 v[14:15], v[4:5], v[16:17]
	v_fma_f64 v[2:3], v[2:3], v[16:17], -v[18:19]
	v_add_f64 v[4:5], v[14:15], 0
	v_add_f64 v[2:3], v[2:3], 0
	s_waitcnt lgkmcnt(0)
	v_mul_f64 v[14:15], v[4:5], v[10:11]
	v_mul_f64 v[10:11], v[2:3], v[10:11]
	v_fma_f64 v[2:3], v[2:3], v[8:9], -v[14:15]
	v_fmac_f64_e32 v[10:11], v[4:5], v[8:9]
	buffer_store_dword v2, off, s[0:3], 0 offset:16
	buffer_store_dword v3, off, s[0:3], 0 offset:20
	;; [unrolled: 1-line block ×4, first 2 shown]
.LBB77_19:
	s_or_b64 exec, exec, s[8:9]
	s_waitcnt lgkmcnt(0)
	; wave barrier
	buffer_load_dword v2, v83, s[0:3], 0 offen
	buffer_load_dword v3, v83, s[0:3], 0 offen offset:4
	buffer_load_dword v4, v83, s[0:3], 0 offen offset:8
	;; [unrolled: 1-line block ×3, first 2 shown]
	v_cmp_gt_u32_e32 vcc, 2, v84
	s_waitcnt vmcnt(0)
	ds_write_b128 v6, v[2:5]
	s_waitcnt lgkmcnt(0)
	; wave barrier
	s_waitcnt lgkmcnt(0)
	s_and_saveexec_b64 s[8:9], vcc
	s_cbranch_execz .LBB77_23
; %bb.20:
	buffer_load_dword v8, v13, s[0:3], 0 offen offset:8
	buffer_load_dword v9, v13, s[0:3], 0 offen offset:12
	buffer_load_dword v10, v13, s[0:3], 0 offen
	buffer_load_dword v11, v13, s[0:3], 0 offen offset:4
	ds_read_b128 v[2:5], v6
	s_waitcnt vmcnt(2) lgkmcnt(0)
	v_mul_f64 v[14:15], v[4:5], v[8:9]
	v_mul_f64 v[8:9], v[2:3], v[8:9]
	s_waitcnt vmcnt(0)
	v_fma_f64 v[2:3], v[2:3], v[10:11], -v[14:15]
	v_fmac_f64_e32 v[8:9], v[4:5], v[10:11]
	v_add_f64 v[4:5], v[2:3], 0
	v_add_f64 v[2:3], v[8:9], 0
	s_and_saveexec_b64 s[12:13], s[6:7]
	s_cbranch_execz .LBB77_22
; %bb.21:
	buffer_load_dword v14, off, s[0:3], 0 offset:24
	buffer_load_dword v15, off, s[0:3], 0 offset:28
	;; [unrolled: 1-line block ×4, first 2 shown]
	v_mov_b32_e32 v7, 0
	ds_read_b128 v[8:11], v7 offset:240
	s_waitcnt vmcnt(2) lgkmcnt(0)
	v_mul_f64 v[18:19], v[8:9], v[14:15]
	v_mul_f64 v[14:15], v[10:11], v[14:15]
	s_waitcnt vmcnt(0)
	v_fmac_f64_e32 v[18:19], v[10:11], v[16:17]
	v_fma_f64 v[8:9], v[8:9], v[16:17], -v[14:15]
	v_add_f64 v[2:3], v[2:3], v[18:19]
	v_add_f64 v[4:5], v[4:5], v[8:9]
.LBB77_22:
	s_or_b64 exec, exec, s[12:13]
	v_mov_b32_e32 v7, 0
	ds_read_b128 v[8:11], v7 offset:32
	s_waitcnt lgkmcnt(0)
	v_mul_f64 v[14:15], v[2:3], v[10:11]
	v_mul_f64 v[10:11], v[4:5], v[10:11]
	v_fma_f64 v[4:5], v[4:5], v[8:9], -v[14:15]
	v_fmac_f64_e32 v[10:11], v[2:3], v[8:9]
	buffer_store_dword v5, off, s[0:3], 0 offset:36
	buffer_store_dword v4, off, s[0:3], 0 offset:32
	;; [unrolled: 1-line block ×4, first 2 shown]
.LBB77_23:
	s_or_b64 exec, exec, s[8:9]
	s_waitcnt lgkmcnt(0)
	; wave barrier
	buffer_load_dword v2, v82, s[0:3], 0 offen
	buffer_load_dword v3, v82, s[0:3], 0 offen offset:4
	buffer_load_dword v4, v82, s[0:3], 0 offen offset:8
	;; [unrolled: 1-line block ×3, first 2 shown]
	v_cmp_gt_u32_e32 vcc, 3, v84
	v_add_u32_e32 v7, -1, v84
	s_waitcnt vmcnt(0)
	ds_write_b128 v6, v[2:5]
	s_waitcnt lgkmcnt(0)
	; wave barrier
	s_waitcnt lgkmcnt(0)
	s_and_saveexec_b64 s[6:7], vcc
	s_cbranch_execz .LBB77_27
; %bb.24:
	v_pk_mov_b32 v[2:3], 0, 0
	v_add_u32_e32 v8, -1, v84
	v_add_u32_e32 v9, 0xe0, v12
	v_add_u32_e32 v10, 0, v12
	s_mov_b64 s[8:9], 0
	v_pk_mov_b32 v[4:5], v[2:3], v[2:3] op_sel:[0,1]
.LBB77_25:                              ; =>This Inner Loop Header: Depth=1
	buffer_load_dword v18, v10, s[0:3], 0 offen offset:8
	buffer_load_dword v19, v10, s[0:3], 0 offen offset:12
	buffer_load_dword v20, v10, s[0:3], 0 offen
	buffer_load_dword v21, v10, s[0:3], 0 offen offset:4
	ds_read_b128 v[14:17], v9
	v_add_u32_e32 v8, 1, v8
	v_cmp_lt_u32_e32 vcc, 1, v8
	v_add_u32_e32 v9, 16, v9
	v_add_u32_e32 v10, 16, v10
	s_or_b64 s[8:9], vcc, s[8:9]
	s_waitcnt vmcnt(2) lgkmcnt(0)
	v_mul_f64 v[50:51], v[16:17], v[18:19]
	v_mul_f64 v[18:19], v[14:15], v[18:19]
	s_waitcnt vmcnt(0)
	v_fma_f64 v[14:15], v[14:15], v[20:21], -v[50:51]
	v_fmac_f64_e32 v[18:19], v[16:17], v[20:21]
	v_add_f64 v[4:5], v[4:5], v[14:15]
	v_add_f64 v[2:3], v[2:3], v[18:19]
	s_andn2_b64 exec, exec, s[8:9]
	s_cbranch_execnz .LBB77_25
; %bb.26:
	s_or_b64 exec, exec, s[8:9]
	v_mov_b32_e32 v8, 0
	ds_read_b128 v[8:11], v8 offset:48
	s_waitcnt lgkmcnt(0)
	v_mul_f64 v[14:15], v[2:3], v[10:11]
	v_mul_f64 v[10:11], v[4:5], v[10:11]
	v_fma_f64 v[4:5], v[4:5], v[8:9], -v[14:15]
	v_fmac_f64_e32 v[10:11], v[2:3], v[8:9]
	buffer_store_dword v5, off, s[0:3], 0 offset:52
	buffer_store_dword v4, off, s[0:3], 0 offset:48
	buffer_store_dword v11, off, s[0:3], 0 offset:60
	buffer_store_dword v10, off, s[0:3], 0 offset:56
.LBB77_27:
	s_or_b64 exec, exec, s[6:7]
	s_waitcnt lgkmcnt(0)
	; wave barrier
	buffer_load_dword v2, v79, s[0:3], 0 offen
	buffer_load_dword v3, v79, s[0:3], 0 offen offset:4
	buffer_load_dword v4, v79, s[0:3], 0 offen offset:8
	buffer_load_dword v5, v79, s[0:3], 0 offen offset:12
	v_cmp_gt_u32_e32 vcc, 4, v84
	s_waitcnt vmcnt(0)
	ds_write_b128 v6, v[2:5]
	s_waitcnt lgkmcnt(0)
	; wave barrier
	s_waitcnt lgkmcnt(0)
	s_and_saveexec_b64 s[6:7], vcc
	s_cbranch_execz .LBB77_31
; %bb.28:
	v_pk_mov_b32 v[2:3], 0, 0
	v_add_u32_e32 v8, -1, v84
	v_add_u32_e32 v9, 0xe0, v12
	v_add_u32_e32 v10, 0, v12
	s_mov_b64 s[8:9], 0
	v_pk_mov_b32 v[4:5], v[2:3], v[2:3] op_sel:[0,1]
.LBB77_29:                              ; =>This Inner Loop Header: Depth=1
	buffer_load_dword v18, v10, s[0:3], 0 offen offset:8
	buffer_load_dword v19, v10, s[0:3], 0 offen offset:12
	buffer_load_dword v20, v10, s[0:3], 0 offen
	buffer_load_dword v21, v10, s[0:3], 0 offen offset:4
	ds_read_b128 v[14:17], v9
	v_add_u32_e32 v8, 1, v8
	v_cmp_lt_u32_e32 vcc, 2, v8
	v_add_u32_e32 v9, 16, v9
	v_add_u32_e32 v10, 16, v10
	s_or_b64 s[8:9], vcc, s[8:9]
	s_waitcnt vmcnt(2) lgkmcnt(0)
	v_mul_f64 v[50:51], v[16:17], v[18:19]
	v_mul_f64 v[18:19], v[14:15], v[18:19]
	s_waitcnt vmcnt(0)
	v_fma_f64 v[14:15], v[14:15], v[20:21], -v[50:51]
	v_fmac_f64_e32 v[18:19], v[16:17], v[20:21]
	v_add_f64 v[4:5], v[4:5], v[14:15]
	v_add_f64 v[2:3], v[2:3], v[18:19]
	s_andn2_b64 exec, exec, s[8:9]
	s_cbranch_execnz .LBB77_29
; %bb.30:
	s_or_b64 exec, exec, s[8:9]
	v_mov_b32_e32 v8, 0
	ds_read_b128 v[8:11], v8 offset:64
	s_waitcnt lgkmcnt(0)
	v_mul_f64 v[14:15], v[2:3], v[10:11]
	v_mul_f64 v[10:11], v[4:5], v[10:11]
	v_fma_f64 v[4:5], v[4:5], v[8:9], -v[14:15]
	v_fmac_f64_e32 v[10:11], v[2:3], v[8:9]
	buffer_store_dword v5, off, s[0:3], 0 offset:68
	buffer_store_dword v4, off, s[0:3], 0 offset:64
	buffer_store_dword v11, off, s[0:3], 0 offset:76
	buffer_store_dword v10, off, s[0:3], 0 offset:72
.LBB77_31:
	s_or_b64 exec, exec, s[6:7]
	s_waitcnt lgkmcnt(0)
	; wave barrier
	buffer_load_dword v2, v78, s[0:3], 0 offen
	buffer_load_dword v3, v78, s[0:3], 0 offen offset:4
	buffer_load_dword v4, v78, s[0:3], 0 offen offset:8
	buffer_load_dword v5, v78, s[0:3], 0 offen offset:12
	v_cmp_gt_u32_e32 vcc, 5, v84
	s_waitcnt vmcnt(0)
	ds_write_b128 v6, v[2:5]
	s_waitcnt lgkmcnt(0)
	; wave barrier
	s_waitcnt lgkmcnt(0)
	s_and_saveexec_b64 s[6:7], vcc
	s_cbranch_execz .LBB77_35
; %bb.32:
	v_pk_mov_b32 v[2:3], 0, 0
	v_add_u32_e32 v8, -1, v84
	v_add_u32_e32 v9, 0xe0, v12
	v_add_u32_e32 v10, 0, v12
	s_mov_b64 s[8:9], 0
	v_pk_mov_b32 v[4:5], v[2:3], v[2:3] op_sel:[0,1]
.LBB77_33:                              ; =>This Inner Loop Header: Depth=1
	buffer_load_dword v18, v10, s[0:3], 0 offen offset:8
	buffer_load_dword v19, v10, s[0:3], 0 offen offset:12
	buffer_load_dword v20, v10, s[0:3], 0 offen
	buffer_load_dword v21, v10, s[0:3], 0 offen offset:4
	ds_read_b128 v[14:17], v9
	v_add_u32_e32 v8, 1, v8
	v_cmp_lt_u32_e32 vcc, 3, v8
	v_add_u32_e32 v9, 16, v9
	v_add_u32_e32 v10, 16, v10
	s_or_b64 s[8:9], vcc, s[8:9]
	s_waitcnt vmcnt(2) lgkmcnt(0)
	v_mul_f64 v[50:51], v[16:17], v[18:19]
	v_mul_f64 v[18:19], v[14:15], v[18:19]
	s_waitcnt vmcnt(0)
	v_fma_f64 v[14:15], v[14:15], v[20:21], -v[50:51]
	v_fmac_f64_e32 v[18:19], v[16:17], v[20:21]
	v_add_f64 v[4:5], v[4:5], v[14:15]
	v_add_f64 v[2:3], v[2:3], v[18:19]
	s_andn2_b64 exec, exec, s[8:9]
	s_cbranch_execnz .LBB77_33
; %bb.34:
	s_or_b64 exec, exec, s[8:9]
	v_mov_b32_e32 v8, 0
	ds_read_b128 v[8:11], v8 offset:80
	s_waitcnt lgkmcnt(0)
	v_mul_f64 v[14:15], v[2:3], v[10:11]
	v_mul_f64 v[10:11], v[4:5], v[10:11]
	v_fma_f64 v[4:5], v[4:5], v[8:9], -v[14:15]
	v_fmac_f64_e32 v[10:11], v[2:3], v[8:9]
	buffer_store_dword v5, off, s[0:3], 0 offset:84
	buffer_store_dword v4, off, s[0:3], 0 offset:80
	buffer_store_dword v11, off, s[0:3], 0 offset:92
	buffer_store_dword v10, off, s[0:3], 0 offset:88
.LBB77_35:
	s_or_b64 exec, exec, s[6:7]
	s_waitcnt lgkmcnt(0)
	; wave barrier
	buffer_load_dword v2, v80, s[0:3], 0 offen
	buffer_load_dword v3, v80, s[0:3], 0 offen offset:4
	buffer_load_dword v4, v80, s[0:3], 0 offen offset:8
	buffer_load_dword v5, v80, s[0:3], 0 offen offset:12
	v_cmp_gt_u32_e32 vcc, 6, v84
	s_waitcnt vmcnt(0)
	ds_write_b128 v6, v[2:5]
	s_waitcnt lgkmcnt(0)
	; wave barrier
	s_waitcnt lgkmcnt(0)
	s_and_saveexec_b64 s[6:7], vcc
	s_cbranch_execz .LBB77_39
; %bb.36:
	v_pk_mov_b32 v[2:3], 0, 0
	v_add_u32_e32 v8, -1, v84
	v_add_u32_e32 v9, 0xe0, v12
	v_add_u32_e32 v10, 0, v12
	s_mov_b64 s[8:9], 0
	v_pk_mov_b32 v[4:5], v[2:3], v[2:3] op_sel:[0,1]
.LBB77_37:                              ; =>This Inner Loop Header: Depth=1
	buffer_load_dword v18, v10, s[0:3], 0 offen offset:8
	buffer_load_dword v19, v10, s[0:3], 0 offen offset:12
	buffer_load_dword v20, v10, s[0:3], 0 offen
	buffer_load_dword v21, v10, s[0:3], 0 offen offset:4
	ds_read_b128 v[14:17], v9
	v_add_u32_e32 v8, 1, v8
	v_cmp_lt_u32_e32 vcc, 4, v8
	v_add_u32_e32 v9, 16, v9
	v_add_u32_e32 v10, 16, v10
	s_or_b64 s[8:9], vcc, s[8:9]
	s_waitcnt vmcnt(2) lgkmcnt(0)
	v_mul_f64 v[50:51], v[16:17], v[18:19]
	v_mul_f64 v[18:19], v[14:15], v[18:19]
	s_waitcnt vmcnt(0)
	v_fma_f64 v[14:15], v[14:15], v[20:21], -v[50:51]
	v_fmac_f64_e32 v[18:19], v[16:17], v[20:21]
	v_add_f64 v[4:5], v[4:5], v[14:15]
	v_add_f64 v[2:3], v[2:3], v[18:19]
	s_andn2_b64 exec, exec, s[8:9]
	s_cbranch_execnz .LBB77_37
; %bb.38:
	s_or_b64 exec, exec, s[8:9]
	v_mov_b32_e32 v8, 0
	ds_read_b128 v[8:11], v8 offset:96
	s_waitcnt lgkmcnt(0)
	v_mul_f64 v[14:15], v[2:3], v[10:11]
	v_mul_f64 v[10:11], v[4:5], v[10:11]
	v_fma_f64 v[4:5], v[4:5], v[8:9], -v[14:15]
	v_fmac_f64_e32 v[10:11], v[2:3], v[8:9]
	buffer_store_dword v5, off, s[0:3], 0 offset:100
	buffer_store_dword v4, off, s[0:3], 0 offset:96
	buffer_store_dword v11, off, s[0:3], 0 offset:108
	buffer_store_dword v10, off, s[0:3], 0 offset:104
.LBB77_39:
	s_or_b64 exec, exec, s[6:7]
	s_waitcnt lgkmcnt(0)
	; wave barrier
	buffer_load_dword v2, v74, s[0:3], 0 offen
	buffer_load_dword v3, v74, s[0:3], 0 offen offset:4
	buffer_load_dword v4, v74, s[0:3], 0 offen offset:8
	buffer_load_dword v5, v74, s[0:3], 0 offen offset:12
	v_cmp_gt_u32_e32 vcc, 7, v84
	s_waitcnt vmcnt(0)
	ds_write_b128 v6, v[2:5]
	s_waitcnt lgkmcnt(0)
	; wave barrier
	s_waitcnt lgkmcnt(0)
	s_and_saveexec_b64 s[6:7], vcc
	s_cbranch_execz .LBB77_43
; %bb.40:
	v_pk_mov_b32 v[2:3], 0, 0
	v_add_u32_e32 v8, -1, v84
	v_add_u32_e32 v9, 0xe0, v12
	v_add_u32_e32 v10, 0, v12
	s_mov_b64 s[8:9], 0
	v_pk_mov_b32 v[4:5], v[2:3], v[2:3] op_sel:[0,1]
.LBB77_41:                              ; =>This Inner Loop Header: Depth=1
	buffer_load_dword v18, v10, s[0:3], 0 offen offset:8
	buffer_load_dword v19, v10, s[0:3], 0 offen offset:12
	buffer_load_dword v20, v10, s[0:3], 0 offen
	buffer_load_dword v21, v10, s[0:3], 0 offen offset:4
	ds_read_b128 v[14:17], v9
	v_add_u32_e32 v8, 1, v8
	v_cmp_lt_u32_e32 vcc, 5, v8
	v_add_u32_e32 v9, 16, v9
	v_add_u32_e32 v10, 16, v10
	s_or_b64 s[8:9], vcc, s[8:9]
	s_waitcnt vmcnt(2) lgkmcnt(0)
	v_mul_f64 v[50:51], v[16:17], v[18:19]
	v_mul_f64 v[18:19], v[14:15], v[18:19]
	s_waitcnt vmcnt(0)
	v_fma_f64 v[14:15], v[14:15], v[20:21], -v[50:51]
	v_fmac_f64_e32 v[18:19], v[16:17], v[20:21]
	v_add_f64 v[4:5], v[4:5], v[14:15]
	v_add_f64 v[2:3], v[2:3], v[18:19]
	s_andn2_b64 exec, exec, s[8:9]
	s_cbranch_execnz .LBB77_41
; %bb.42:
	s_or_b64 exec, exec, s[8:9]
	v_mov_b32_e32 v8, 0
	ds_read_b128 v[8:11], v8 offset:112
	s_waitcnt lgkmcnt(0)
	v_mul_f64 v[14:15], v[2:3], v[10:11]
	v_mul_f64 v[10:11], v[4:5], v[10:11]
	v_fma_f64 v[4:5], v[4:5], v[8:9], -v[14:15]
	v_fmac_f64_e32 v[10:11], v[2:3], v[8:9]
	buffer_store_dword v5, off, s[0:3], 0 offset:116
	buffer_store_dword v4, off, s[0:3], 0 offset:112
	buffer_store_dword v11, off, s[0:3], 0 offset:124
	buffer_store_dword v10, off, s[0:3], 0 offset:120
.LBB77_43:
	s_or_b64 exec, exec, s[6:7]
	s_waitcnt lgkmcnt(0)
	; wave barrier
	buffer_load_dword v2, v73, s[0:3], 0 offen
	buffer_load_dword v3, v73, s[0:3], 0 offen offset:4
	buffer_load_dword v4, v73, s[0:3], 0 offen offset:8
	buffer_load_dword v5, v73, s[0:3], 0 offen offset:12
	v_cmp_gt_u32_e32 vcc, 8, v84
	s_waitcnt vmcnt(0)
	ds_write_b128 v6, v[2:5]
	s_waitcnt lgkmcnt(0)
	; wave barrier
	s_waitcnt lgkmcnt(0)
	s_and_saveexec_b64 s[6:7], vcc
	s_cbranch_execz .LBB77_47
; %bb.44:
	v_pk_mov_b32 v[2:3], 0, 0
	v_add_u32_e32 v8, -1, v84
	v_add_u32_e32 v9, 0xe0, v12
	v_add_u32_e32 v10, 0, v12
	s_mov_b64 s[8:9], 0
	v_pk_mov_b32 v[4:5], v[2:3], v[2:3] op_sel:[0,1]
.LBB77_45:                              ; =>This Inner Loop Header: Depth=1
	buffer_load_dword v18, v10, s[0:3], 0 offen offset:8
	buffer_load_dword v19, v10, s[0:3], 0 offen offset:12
	buffer_load_dword v20, v10, s[0:3], 0 offen
	buffer_load_dword v21, v10, s[0:3], 0 offen offset:4
	ds_read_b128 v[14:17], v9
	v_add_u32_e32 v8, 1, v8
	v_cmp_lt_u32_e32 vcc, 6, v8
	v_add_u32_e32 v9, 16, v9
	v_add_u32_e32 v10, 16, v10
	s_or_b64 s[8:9], vcc, s[8:9]
	s_waitcnt vmcnt(2) lgkmcnt(0)
	v_mul_f64 v[50:51], v[16:17], v[18:19]
	v_mul_f64 v[18:19], v[14:15], v[18:19]
	s_waitcnt vmcnt(0)
	v_fma_f64 v[14:15], v[14:15], v[20:21], -v[50:51]
	v_fmac_f64_e32 v[18:19], v[16:17], v[20:21]
	v_add_f64 v[4:5], v[4:5], v[14:15]
	v_add_f64 v[2:3], v[2:3], v[18:19]
	s_andn2_b64 exec, exec, s[8:9]
	s_cbranch_execnz .LBB77_45
; %bb.46:
	s_or_b64 exec, exec, s[8:9]
	v_mov_b32_e32 v8, 0
	ds_read_b128 v[8:11], v8 offset:128
	s_waitcnt lgkmcnt(0)
	v_mul_f64 v[14:15], v[2:3], v[10:11]
	v_mul_f64 v[10:11], v[4:5], v[10:11]
	v_fma_f64 v[4:5], v[4:5], v[8:9], -v[14:15]
	v_fmac_f64_e32 v[10:11], v[2:3], v[8:9]
	buffer_store_dword v5, off, s[0:3], 0 offset:132
	buffer_store_dword v4, off, s[0:3], 0 offset:128
	buffer_store_dword v11, off, s[0:3], 0 offset:140
	buffer_store_dword v10, off, s[0:3], 0 offset:136
.LBB77_47:
	s_or_b64 exec, exec, s[6:7]
	s_waitcnt lgkmcnt(0)
	; wave barrier
	buffer_load_dword v2, v75, s[0:3], 0 offen
	buffer_load_dword v3, v75, s[0:3], 0 offen offset:4
	buffer_load_dword v4, v75, s[0:3], 0 offen offset:8
	buffer_load_dword v5, v75, s[0:3], 0 offen offset:12
	v_cmp_gt_u32_e32 vcc, 9, v84
	s_waitcnt vmcnt(0)
	ds_write_b128 v6, v[2:5]
	s_waitcnt lgkmcnt(0)
	; wave barrier
	s_waitcnt lgkmcnt(0)
	s_and_saveexec_b64 s[6:7], vcc
	s_cbranch_execz .LBB77_51
; %bb.48:
	v_pk_mov_b32 v[2:3], 0, 0
	v_add_u32_e32 v8, -1, v84
	v_add_u32_e32 v9, 0xe0, v12
	v_add_u32_e32 v10, 0, v12
	s_mov_b64 s[8:9], 0
	v_pk_mov_b32 v[4:5], v[2:3], v[2:3] op_sel:[0,1]
.LBB77_49:                              ; =>This Inner Loop Header: Depth=1
	buffer_load_dword v18, v10, s[0:3], 0 offen offset:8
	buffer_load_dword v19, v10, s[0:3], 0 offen offset:12
	buffer_load_dword v20, v10, s[0:3], 0 offen
	buffer_load_dword v21, v10, s[0:3], 0 offen offset:4
	ds_read_b128 v[14:17], v9
	v_add_u32_e32 v8, 1, v8
	v_cmp_lt_u32_e32 vcc, 7, v8
	v_add_u32_e32 v9, 16, v9
	v_add_u32_e32 v10, 16, v10
	s_or_b64 s[8:9], vcc, s[8:9]
	s_waitcnt vmcnt(2) lgkmcnt(0)
	v_mul_f64 v[50:51], v[16:17], v[18:19]
	v_mul_f64 v[18:19], v[14:15], v[18:19]
	s_waitcnt vmcnt(0)
	v_fma_f64 v[14:15], v[14:15], v[20:21], -v[50:51]
	v_fmac_f64_e32 v[18:19], v[16:17], v[20:21]
	v_add_f64 v[4:5], v[4:5], v[14:15]
	v_add_f64 v[2:3], v[2:3], v[18:19]
	s_andn2_b64 exec, exec, s[8:9]
	s_cbranch_execnz .LBB77_49
; %bb.50:
	s_or_b64 exec, exec, s[8:9]
	v_mov_b32_e32 v8, 0
	ds_read_b128 v[8:11], v8 offset:144
	s_waitcnt lgkmcnt(0)
	v_mul_f64 v[14:15], v[2:3], v[10:11]
	v_mul_f64 v[10:11], v[4:5], v[10:11]
	v_fma_f64 v[4:5], v[4:5], v[8:9], -v[14:15]
	v_fmac_f64_e32 v[10:11], v[2:3], v[8:9]
	buffer_store_dword v5, off, s[0:3], 0 offset:148
	buffer_store_dword v4, off, s[0:3], 0 offset:144
	buffer_store_dword v11, off, s[0:3], 0 offset:156
	buffer_store_dword v10, off, s[0:3], 0 offset:152
.LBB77_51:
	s_or_b64 exec, exec, s[6:7]
	s_waitcnt lgkmcnt(0)
	; wave barrier
	buffer_load_dword v2, v76, s[0:3], 0 offen
	buffer_load_dword v3, v76, s[0:3], 0 offen offset:4
	buffer_load_dword v4, v76, s[0:3], 0 offen offset:8
	buffer_load_dword v5, v76, s[0:3], 0 offen offset:12
	v_cmp_gt_u32_e32 vcc, 10, v84
	s_waitcnt vmcnt(0)
	ds_write_b128 v6, v[2:5]
	s_waitcnt lgkmcnt(0)
	; wave barrier
	s_waitcnt lgkmcnt(0)
	s_and_saveexec_b64 s[6:7], vcc
	s_cbranch_execz .LBB77_55
; %bb.52:
	v_pk_mov_b32 v[2:3], 0, 0
	v_add_u32_e32 v8, -1, v84
	v_add_u32_e32 v9, 0xe0, v12
	v_add_u32_e32 v10, 0, v12
	s_mov_b64 s[8:9], 0
	v_pk_mov_b32 v[4:5], v[2:3], v[2:3] op_sel:[0,1]
.LBB77_53:                              ; =>This Inner Loop Header: Depth=1
	buffer_load_dword v18, v10, s[0:3], 0 offen offset:8
	buffer_load_dword v19, v10, s[0:3], 0 offen offset:12
	buffer_load_dword v20, v10, s[0:3], 0 offen
	buffer_load_dword v21, v10, s[0:3], 0 offen offset:4
	ds_read_b128 v[14:17], v9
	v_add_u32_e32 v8, 1, v8
	v_cmp_lt_u32_e32 vcc, 8, v8
	v_add_u32_e32 v9, 16, v9
	v_add_u32_e32 v10, 16, v10
	s_or_b64 s[8:9], vcc, s[8:9]
	s_waitcnt vmcnt(2) lgkmcnt(0)
	v_mul_f64 v[50:51], v[16:17], v[18:19]
	v_mul_f64 v[18:19], v[14:15], v[18:19]
	s_waitcnt vmcnt(0)
	v_fma_f64 v[14:15], v[14:15], v[20:21], -v[50:51]
	v_fmac_f64_e32 v[18:19], v[16:17], v[20:21]
	v_add_f64 v[4:5], v[4:5], v[14:15]
	v_add_f64 v[2:3], v[2:3], v[18:19]
	s_andn2_b64 exec, exec, s[8:9]
	s_cbranch_execnz .LBB77_53
; %bb.54:
	s_or_b64 exec, exec, s[8:9]
	v_mov_b32_e32 v8, 0
	ds_read_b128 v[8:11], v8 offset:160
	s_waitcnt lgkmcnt(0)
	v_mul_f64 v[14:15], v[2:3], v[10:11]
	v_mul_f64 v[10:11], v[4:5], v[10:11]
	v_fma_f64 v[4:5], v[4:5], v[8:9], -v[14:15]
	v_fmac_f64_e32 v[10:11], v[2:3], v[8:9]
	buffer_store_dword v5, off, s[0:3], 0 offset:164
	buffer_store_dword v4, off, s[0:3], 0 offset:160
	buffer_store_dword v11, off, s[0:3], 0 offset:172
	buffer_store_dword v10, off, s[0:3], 0 offset:168
.LBB77_55:
	s_or_b64 exec, exec, s[6:7]
	s_waitcnt lgkmcnt(0)
	; wave barrier
	buffer_load_dword v2, v1, s[0:3], 0 offen
	buffer_load_dword v3, v1, s[0:3], 0 offen offset:4
	buffer_load_dword v4, v1, s[0:3], 0 offen offset:8
	buffer_load_dword v5, v1, s[0:3], 0 offen offset:12
	v_cmp_gt_u32_e32 vcc, 11, v84
	s_waitcnt vmcnt(0)
	ds_write_b128 v6, v[2:5]
	s_waitcnt lgkmcnt(0)
	; wave barrier
	s_waitcnt lgkmcnt(0)
	s_and_saveexec_b64 s[6:7], vcc
	s_cbranch_execz .LBB77_59
; %bb.56:
	v_pk_mov_b32 v[2:3], 0, 0
	v_add_u32_e32 v8, -1, v84
	v_add_u32_e32 v9, 0xe0, v12
	v_add_u32_e32 v10, 0, v12
	s_mov_b64 s[8:9], 0
	v_pk_mov_b32 v[4:5], v[2:3], v[2:3] op_sel:[0,1]
.LBB77_57:                              ; =>This Inner Loop Header: Depth=1
	buffer_load_dword v18, v10, s[0:3], 0 offen offset:8
	buffer_load_dword v19, v10, s[0:3], 0 offen offset:12
	buffer_load_dword v20, v10, s[0:3], 0 offen
	buffer_load_dword v21, v10, s[0:3], 0 offen offset:4
	ds_read_b128 v[14:17], v9
	v_add_u32_e32 v8, 1, v8
	v_cmp_lt_u32_e32 vcc, 9, v8
	v_add_u32_e32 v9, 16, v9
	v_add_u32_e32 v10, 16, v10
	s_or_b64 s[8:9], vcc, s[8:9]
	s_waitcnt vmcnt(2) lgkmcnt(0)
	v_mul_f64 v[50:51], v[16:17], v[18:19]
	v_mul_f64 v[18:19], v[14:15], v[18:19]
	s_waitcnt vmcnt(0)
	v_fma_f64 v[14:15], v[14:15], v[20:21], -v[50:51]
	v_fmac_f64_e32 v[18:19], v[16:17], v[20:21]
	v_add_f64 v[4:5], v[4:5], v[14:15]
	v_add_f64 v[2:3], v[2:3], v[18:19]
	s_andn2_b64 exec, exec, s[8:9]
	s_cbranch_execnz .LBB77_57
; %bb.58:
	s_or_b64 exec, exec, s[8:9]
	v_mov_b32_e32 v8, 0
	ds_read_b128 v[8:11], v8 offset:176
	s_waitcnt lgkmcnt(0)
	v_mul_f64 v[14:15], v[2:3], v[10:11]
	v_mul_f64 v[10:11], v[4:5], v[10:11]
	v_fma_f64 v[4:5], v[4:5], v[8:9], -v[14:15]
	v_fmac_f64_e32 v[10:11], v[2:3], v[8:9]
	buffer_store_dword v5, off, s[0:3], 0 offset:180
	buffer_store_dword v4, off, s[0:3], 0 offset:176
	buffer_store_dword v11, off, s[0:3], 0 offset:188
	buffer_store_dword v10, off, s[0:3], 0 offset:184
.LBB77_59:
	s_or_b64 exec, exec, s[6:7]
	s_waitcnt lgkmcnt(0)
	; wave barrier
	buffer_load_dword v2, v72, s[0:3], 0 offen
	buffer_load_dword v3, v72, s[0:3], 0 offen offset:4
	buffer_load_dword v4, v72, s[0:3], 0 offen offset:8
	buffer_load_dword v5, v72, s[0:3], 0 offen offset:12
	v_cmp_gt_u32_e32 vcc, 12, v84
	s_waitcnt vmcnt(0)
	ds_write_b128 v6, v[2:5]
	s_waitcnt lgkmcnt(0)
	; wave barrier
	s_waitcnt lgkmcnt(0)
	s_and_saveexec_b64 s[6:7], vcc
	s_cbranch_execz .LBB77_63
; %bb.60:
	v_pk_mov_b32 v[2:3], 0, 0
	v_add_u32_e32 v8, -1, v84
	v_add_u32_e32 v9, 0xe0, v12
	v_add_u32_e32 v10, 0, v12
	s_mov_b64 s[8:9], 0
	v_pk_mov_b32 v[4:5], v[2:3], v[2:3] op_sel:[0,1]
.LBB77_61:                              ; =>This Inner Loop Header: Depth=1
	buffer_load_dword v18, v10, s[0:3], 0 offen offset:8
	buffer_load_dword v19, v10, s[0:3], 0 offen offset:12
	buffer_load_dword v20, v10, s[0:3], 0 offen
	buffer_load_dword v21, v10, s[0:3], 0 offen offset:4
	ds_read_b128 v[14:17], v9
	v_add_u32_e32 v8, 1, v8
	v_cmp_lt_u32_e32 vcc, 10, v8
	v_add_u32_e32 v9, 16, v9
	v_add_u32_e32 v10, 16, v10
	s_or_b64 s[8:9], vcc, s[8:9]
	s_waitcnt vmcnt(2) lgkmcnt(0)
	v_mul_f64 v[50:51], v[16:17], v[18:19]
	v_mul_f64 v[18:19], v[14:15], v[18:19]
	s_waitcnt vmcnt(0)
	v_fma_f64 v[14:15], v[14:15], v[20:21], -v[50:51]
	v_fmac_f64_e32 v[18:19], v[16:17], v[20:21]
	v_add_f64 v[4:5], v[4:5], v[14:15]
	v_add_f64 v[2:3], v[2:3], v[18:19]
	s_andn2_b64 exec, exec, s[8:9]
	s_cbranch_execnz .LBB77_61
; %bb.62:
	s_or_b64 exec, exec, s[8:9]
	v_mov_b32_e32 v8, 0
	ds_read_b128 v[8:11], v8 offset:192
	s_waitcnt lgkmcnt(0)
	v_mul_f64 v[14:15], v[2:3], v[10:11]
	v_mul_f64 v[10:11], v[4:5], v[10:11]
	v_fma_f64 v[4:5], v[4:5], v[8:9], -v[14:15]
	v_fmac_f64_e32 v[10:11], v[2:3], v[8:9]
	buffer_store_dword v5, off, s[0:3], 0 offset:196
	buffer_store_dword v4, off, s[0:3], 0 offset:192
	buffer_store_dword v11, off, s[0:3], 0 offset:204
	buffer_store_dword v10, off, s[0:3], 0 offset:200
.LBB77_63:
	s_or_b64 exec, exec, s[6:7]
	s_waitcnt lgkmcnt(0)
	; wave barrier
	buffer_load_dword v2, v77, s[0:3], 0 offen
	buffer_load_dword v3, v77, s[0:3], 0 offen offset:4
	buffer_load_dword v4, v77, s[0:3], 0 offen offset:8
	;; [unrolled: 1-line block ×3, first 2 shown]
	v_cmp_ne_u32_e32 vcc, 13, v84
	s_waitcnt vmcnt(0)
	ds_write_b128 v6, v[2:5]
	s_waitcnt lgkmcnt(0)
	; wave barrier
	s_waitcnt lgkmcnt(0)
	s_and_saveexec_b64 s[6:7], vcc
	s_cbranch_execz .LBB77_67
; %bb.64:
	v_pk_mov_b32 v[2:3], 0, 0
	v_add_u32_e32 v6, 0xe0, v12
	v_add_u32_e32 v8, 0, v12
	s_mov_b64 s[8:9], 0
	v_pk_mov_b32 v[4:5], v[2:3], v[2:3] op_sel:[0,1]
.LBB77_65:                              ; =>This Inner Loop Header: Depth=1
	buffer_load_dword v14, v8, s[0:3], 0 offen offset:8
	buffer_load_dword v15, v8, s[0:3], 0 offen offset:12
	buffer_load_dword v16, v8, s[0:3], 0 offen
	buffer_load_dword v17, v8, s[0:3], 0 offen offset:4
	ds_read_b128 v[10:13], v6
	v_add_u32_e32 v7, 1, v7
	v_cmp_lt_u32_e32 vcc, 11, v7
	v_add_u32_e32 v6, 16, v6
	v_add_u32_e32 v8, 16, v8
	s_or_b64 s[8:9], vcc, s[8:9]
	s_waitcnt vmcnt(2) lgkmcnt(0)
	v_mul_f64 v[18:19], v[12:13], v[14:15]
	v_mul_f64 v[14:15], v[10:11], v[14:15]
	s_waitcnt vmcnt(0)
	v_fma_f64 v[10:11], v[10:11], v[16:17], -v[18:19]
	v_fmac_f64_e32 v[14:15], v[12:13], v[16:17]
	v_add_f64 v[4:5], v[4:5], v[10:11]
	v_add_f64 v[2:3], v[2:3], v[14:15]
	s_andn2_b64 exec, exec, s[8:9]
	s_cbranch_execnz .LBB77_65
; %bb.66:
	s_or_b64 exec, exec, s[8:9]
	v_mov_b32_e32 v6, 0
	ds_read_b128 v[6:9], v6 offset:208
	s_waitcnt lgkmcnt(0)
	v_mul_f64 v[10:11], v[2:3], v[8:9]
	v_mul_f64 v[8:9], v[4:5], v[8:9]
	v_fma_f64 v[4:5], v[4:5], v[6:7], -v[10:11]
	v_fmac_f64_e32 v[8:9], v[2:3], v[6:7]
	buffer_store_dword v5, off, s[0:3], 0 offset:212
	buffer_store_dword v4, off, s[0:3], 0 offset:208
	;; [unrolled: 1-line block ×4, first 2 shown]
.LBB77_67:
	s_or_b64 exec, exec, s[6:7]
	s_mov_b64 s[8:9], -1
	s_waitcnt lgkmcnt(0)
	; wave barrier
.LBB77_68:
	s_and_b64 vcc, exec, s[8:9]
	s_cbranch_vccz .LBB77_70
; %bb.69:
	s_lshl_b64 s[6:7], s[10:11], 2
	s_add_u32 s6, s14, s6
	s_addc_u32 s7, s15, s7
	v_mov_b32_e32 v2, 0
	global_load_dword v2, v2, s[6:7]
	s_waitcnt vmcnt(0)
	v_cmp_ne_u32_e32 vcc, 0, v2
	s_cbranch_vccz .LBB77_71
.LBB77_70:
	s_endpgm
.LBB77_71:
	v_mov_b32_e32 v2, 0xe0
	v_lshl_add_u32 v85, v84, 4, v2
	v_cmp_eq_u32_e32 vcc, 13, v84
	s_and_saveexec_b64 s[6:7], vcc
	s_cbranch_execz .LBB77_73
; %bb.72:
	buffer_load_dword v2, v72, s[0:3], 0 offen
	buffer_load_dword v3, v72, s[0:3], 0 offen offset:4
	buffer_load_dword v4, v72, s[0:3], 0 offen offset:8
	;; [unrolled: 1-line block ×3, first 2 shown]
	v_mov_b32_e32 v6, 0
	buffer_store_dword v6, off, s[0:3], 0 offset:192
	buffer_store_dword v6, off, s[0:3], 0 offset:196
	;; [unrolled: 1-line block ×4, first 2 shown]
	s_waitcnt vmcnt(4)
	ds_write_b128 v85, v[2:5]
.LBB77_73:
	s_or_b64 exec, exec, s[6:7]
	s_waitcnt lgkmcnt(0)
	; wave barrier
	s_waitcnt lgkmcnt(0)
	buffer_load_dword v8, off, s[0:3], 0 offset:216
	buffer_load_dword v9, off, s[0:3], 0 offset:220
	;; [unrolled: 1-line block ×8, first 2 shown]
	v_mov_b32_e32 v2, 0
	ds_read_b128 v[4:7], v2 offset:432
	v_cmp_lt_u32_e32 vcc, 11, v84
	s_waitcnt vmcnt(6) lgkmcnt(0)
	v_mul_f64 v[16:17], v[4:5], v[8:9]
	v_mul_f64 v[8:9], v[6:7], v[8:9]
	s_waitcnt vmcnt(4)
	v_fma_f64 v[4:5], v[4:5], v[10:11], -v[8:9]
	v_fmac_f64_e32 v[16:17], v[6:7], v[10:11]
	v_add_f64 v[4:5], v[4:5], 0
	v_add_f64 v[6:7], v[16:17], 0
	s_waitcnt vmcnt(2)
	v_add_f64 v[4:5], v[12:13], -v[4:5]
	s_waitcnt vmcnt(0)
	v_add_f64 v[6:7], v[14:15], -v[6:7]
	buffer_store_dword v4, off, s[0:3], 0 offset:192
	buffer_store_dword v5, off, s[0:3], 0 offset:196
	;; [unrolled: 1-line block ×4, first 2 shown]
	s_and_saveexec_b64 s[6:7], vcc
	s_cbranch_execz .LBB77_75
; %bb.74:
	buffer_load_dword v4, v1, s[0:3], 0 offen
	buffer_load_dword v5, v1, s[0:3], 0 offen offset:4
	buffer_load_dword v6, v1, s[0:3], 0 offen offset:8
	;; [unrolled: 1-line block ×3, first 2 shown]
	s_nop 0
	buffer_store_dword v2, off, s[0:3], 0 offset:176
	buffer_store_dword v2, off, s[0:3], 0 offset:180
	;; [unrolled: 1-line block ×4, first 2 shown]
	s_waitcnt vmcnt(4)
	ds_write_b128 v85, v[4:7]
.LBB77_75:
	s_or_b64 exec, exec, s[6:7]
	s_waitcnt lgkmcnt(0)
	; wave barrier
	s_waitcnt lgkmcnt(0)
	buffer_load_dword v12, off, s[0:3], 0 offset:200
	buffer_load_dword v13, off, s[0:3], 0 offset:204
	;; [unrolled: 1-line block ×12, first 2 shown]
	ds_read_b128 v[4:7], v2 offset:416
	ds_read_b128 v[8:11], v2 offset:432
	v_cmp_lt_u32_e32 vcc, 10, v84
	s_waitcnt vmcnt(10) lgkmcnt(1)
	v_mul_f64 v[2:3], v[4:5], v[12:13]
	v_mul_f64 v[12:13], v[6:7], v[12:13]
	s_waitcnt vmcnt(8) lgkmcnt(0)
	v_mul_f64 v[52:53], v[8:9], v[14:15]
	v_mul_f64 v[14:15], v[10:11], v[14:15]
	s_waitcnt vmcnt(6)
	v_fma_f64 v[4:5], v[4:5], v[16:17], -v[12:13]
	v_fmac_f64_e32 v[2:3], v[6:7], v[16:17]
	s_waitcnt vmcnt(4)
	v_fma_f64 v[6:7], v[8:9], v[18:19], -v[14:15]
	v_add_f64 v[4:5], v[4:5], 0
	v_fmac_f64_e32 v[52:53], v[10:11], v[18:19]
	v_add_f64 v[2:3], v[2:3], 0
	v_add_f64 v[4:5], v[4:5], v[6:7]
	;; [unrolled: 1-line block ×3, first 2 shown]
	s_waitcnt vmcnt(2)
	v_add_f64 v[4:5], v[20:21], -v[4:5]
	s_waitcnt vmcnt(0)
	v_add_f64 v[2:3], v[50:51], -v[2:3]
	buffer_store_dword v4, off, s[0:3], 0 offset:176
	buffer_store_dword v5, off, s[0:3], 0 offset:180
	;; [unrolled: 1-line block ×4, first 2 shown]
	s_and_saveexec_b64 s[6:7], vcc
	s_cbranch_execz .LBB77_77
; %bb.76:
	buffer_load_dword v2, v76, s[0:3], 0 offen
	buffer_load_dword v3, v76, s[0:3], 0 offen offset:4
	buffer_load_dword v4, v76, s[0:3], 0 offen offset:8
	buffer_load_dword v5, v76, s[0:3], 0 offen offset:12
	v_mov_b32_e32 v6, 0
	buffer_store_dword v6, off, s[0:3], 0 offset:160
	buffer_store_dword v6, off, s[0:3], 0 offset:164
	;; [unrolled: 1-line block ×4, first 2 shown]
	s_waitcnt vmcnt(4)
	ds_write_b128 v85, v[2:5]
.LBB77_77:
	s_or_b64 exec, exec, s[6:7]
	s_waitcnt lgkmcnt(0)
	; wave barrier
	s_waitcnt lgkmcnt(0)
	buffer_load_dword v16, off, s[0:3], 0 offset:184
	buffer_load_dword v17, off, s[0:3], 0 offset:188
	;; [unrolled: 1-line block ×16, first 2 shown]
	v_mov_b32_e32 v2, 0
	ds_read_b128 v[4:7], v2 offset:400
	ds_read_b128 v[8:11], v2 offset:416
	ds_read_b128 v[12:15], v2 offset:432
	v_cmp_lt_u32_e32 vcc, 9, v84
	s_waitcnt vmcnt(14) lgkmcnt(2)
	v_mul_f64 v[60:61], v[4:5], v[16:17]
	v_mul_f64 v[16:17], v[6:7], v[16:17]
	s_waitcnt vmcnt(12) lgkmcnt(1)
	v_mul_f64 v[62:63], v[8:9], v[18:19]
	v_mul_f64 v[18:19], v[10:11], v[18:19]
	;; [unrolled: 3-line block ×3, first 2 shown]
	s_waitcnt vmcnt(8)
	v_fma_f64 v[4:5], v[4:5], v[50:51], -v[16:17]
	v_fmac_f64_e32 v[60:61], v[6:7], v[50:51]
	s_waitcnt vmcnt(6)
	v_fma_f64 v[6:7], v[8:9], v[52:53], -v[18:19]
	v_add_f64 v[4:5], v[4:5], 0
	v_fmac_f64_e32 v[62:63], v[10:11], v[52:53]
	s_waitcnt vmcnt(4)
	v_fma_f64 v[8:9], v[12:13], v[54:55], -v[20:21]
	v_add_f64 v[10:11], v[60:61], 0
	v_add_f64 v[4:5], v[4:5], v[6:7]
	v_fmac_f64_e32 v[64:65], v[14:15], v[54:55]
	v_add_f64 v[10:11], v[10:11], v[62:63]
	v_add_f64 v[4:5], v[4:5], v[8:9]
	;; [unrolled: 1-line block ×3, first 2 shown]
	s_waitcnt vmcnt(2)
	v_add_f64 v[4:5], v[56:57], -v[4:5]
	s_waitcnt vmcnt(0)
	v_add_f64 v[6:7], v[58:59], -v[6:7]
	buffer_store_dword v4, off, s[0:3], 0 offset:160
	buffer_store_dword v5, off, s[0:3], 0 offset:164
	;; [unrolled: 1-line block ×4, first 2 shown]
	s_and_saveexec_b64 s[6:7], vcc
	s_cbranch_execz .LBB77_79
; %bb.78:
	buffer_load_dword v4, v75, s[0:3], 0 offen
	buffer_load_dword v5, v75, s[0:3], 0 offen offset:4
	buffer_load_dword v6, v75, s[0:3], 0 offen offset:8
	;; [unrolled: 1-line block ×3, first 2 shown]
	s_nop 0
	buffer_store_dword v2, off, s[0:3], 0 offset:144
	buffer_store_dword v2, off, s[0:3], 0 offset:148
	;; [unrolled: 1-line block ×4, first 2 shown]
	s_waitcnt vmcnt(4)
	ds_write_b128 v85, v[4:7]
.LBB77_79:
	s_or_b64 exec, exec, s[6:7]
	s_waitcnt lgkmcnt(0)
	; wave barrier
	s_waitcnt lgkmcnt(0)
	buffer_load_dword v20, off, s[0:3], 0 offset:168
	buffer_load_dword v21, off, s[0:3], 0 offset:172
	;; [unrolled: 1-line block ×20, first 2 shown]
	ds_read_b128 v[4:7], v2 offset:384
	ds_read_b128 v[8:11], v2 offset:400
	;; [unrolled: 1-line block ×4, first 2 shown]
	v_cmp_lt_u32_e32 vcc, 8, v84
	s_waitcnt vmcnt(18) lgkmcnt(3)
	v_mul_f64 v[2:3], v[4:5], v[20:21]
	v_mul_f64 v[20:21], v[6:7], v[20:21]
	s_waitcnt vmcnt(16) lgkmcnt(2)
	v_mul_f64 v[68:69], v[8:9], v[50:51]
	v_mul_f64 v[50:51], v[10:11], v[50:51]
	;; [unrolled: 3-line block ×4, first 2 shown]
	s_waitcnt vmcnt(10)
	v_fma_f64 v[4:5], v[4:5], v[56:57], -v[20:21]
	v_fmac_f64_e32 v[2:3], v[6:7], v[56:57]
	s_waitcnt vmcnt(8)
	v_fma_f64 v[6:7], v[8:9], v[58:59], -v[50:51]
	v_add_f64 v[4:5], v[4:5], 0
	v_fmac_f64_e32 v[68:69], v[10:11], v[58:59]
	s_waitcnt vmcnt(6)
	v_fma_f64 v[8:9], v[12:13], v[60:61], -v[52:53]
	v_add_f64 v[2:3], v[2:3], 0
	v_add_f64 v[4:5], v[4:5], v[6:7]
	v_fmac_f64_e32 v[70:71], v[14:15], v[60:61]
	s_waitcnt vmcnt(4)
	v_fma_f64 v[10:11], v[16:17], v[62:63], -v[54:55]
	v_add_f64 v[2:3], v[2:3], v[68:69]
	v_add_f64 v[4:5], v[4:5], v[8:9]
	v_fmac_f64_e32 v[86:87], v[18:19], v[62:63]
	v_add_f64 v[2:3], v[2:3], v[70:71]
	v_add_f64 v[4:5], v[4:5], v[10:11]
	;; [unrolled: 1-line block ×3, first 2 shown]
	s_waitcnt vmcnt(2)
	v_add_f64 v[4:5], v[64:65], -v[4:5]
	s_waitcnt vmcnt(0)
	v_add_f64 v[2:3], v[66:67], -v[2:3]
	buffer_store_dword v4, off, s[0:3], 0 offset:144
	buffer_store_dword v5, off, s[0:3], 0 offset:148
	;; [unrolled: 1-line block ×4, first 2 shown]
	s_and_saveexec_b64 s[6:7], vcc
	s_cbranch_execz .LBB77_81
; %bb.80:
	buffer_load_dword v2, v73, s[0:3], 0 offen
	buffer_load_dword v3, v73, s[0:3], 0 offen offset:4
	buffer_load_dword v4, v73, s[0:3], 0 offen offset:8
	;; [unrolled: 1-line block ×3, first 2 shown]
	v_mov_b32_e32 v6, 0
	buffer_store_dword v6, off, s[0:3], 0 offset:128
	buffer_store_dword v6, off, s[0:3], 0 offset:132
	;; [unrolled: 1-line block ×4, first 2 shown]
	s_waitcnt vmcnt(4)
	ds_write_b128 v85, v[2:5]
.LBB77_81:
	s_or_b64 exec, exec, s[6:7]
	s_waitcnt lgkmcnt(0)
	; wave barrier
	s_waitcnt lgkmcnt(0)
	buffer_load_dword v20, off, s[0:3], 0 offset:152
	buffer_load_dword v21, off, s[0:3], 0 offset:156
	;; [unrolled: 1-line block ×24, first 2 shown]
	v_mov_b32_e32 v2, 0
	ds_read_b128 v[4:7], v2 offset:368
	ds_read_b128 v[8:11], v2 offset:384
	;; [unrolled: 1-line block ×5, first 2 shown]
	v_cmp_lt_u32_e32 vcc, 7, v84
	s_waitcnt vmcnt(22) lgkmcnt(4)
	v_mul_f64 v[90:91], v[4:5], v[20:21]
	v_mul_f64 v[20:21], v[6:7], v[20:21]
	s_waitcnt vmcnt(20) lgkmcnt(3)
	v_mul_f64 v[92:93], v[8:9], v[54:55]
	v_mul_f64 v[54:55], v[10:11], v[54:55]
	s_waitcnt vmcnt(18) lgkmcnt(2)
	v_mul_f64 v[94:95], v[12:13], v[56:57]
	v_mul_f64 v[56:57], v[14:15], v[56:57]
	s_waitcnt vmcnt(14) lgkmcnt(1)
	v_mul_f64 v[96:97], v[16:17], v[62:63]
	v_mul_f64 v[62:63], v[18:19], v[62:63]
	s_waitcnt vmcnt(13) lgkmcnt(0)
	v_mul_f64 v[98:99], v[50:51], v[58:59]
	s_waitcnt vmcnt(11)
	v_fma_f64 v[4:5], v[4:5], v[64:65], -v[20:21]
	v_fmac_f64_e32 v[90:91], v[6:7], v[64:65]
	s_waitcnt vmcnt(9)
	v_fma_f64 v[6:7], v[8:9], v[66:67], -v[54:55]
	v_add_f64 v[4:5], v[4:5], 0
	v_fmac_f64_e32 v[92:93], v[10:11], v[66:67]
	s_waitcnt vmcnt(7)
	v_fmac_f64_e32 v[94:95], v[14:15], v[68:69]
	v_fma_f64 v[8:9], v[12:13], v[68:69], -v[56:57]
	v_add_f64 v[14:15], v[90:91], 0
	v_add_f64 v[4:5], v[4:5], v[6:7]
	v_mul_f64 v[58:59], v[52:53], v[58:59]
	s_waitcnt vmcnt(5)
	v_fma_f64 v[10:11], v[16:17], v[70:71], -v[62:63]
	v_add_f64 v[14:15], v[14:15], v[92:93]
	v_add_f64 v[4:5], v[4:5], v[8:9]
	v_fmac_f64_e32 v[96:97], v[18:19], v[70:71]
	s_waitcnt vmcnt(4)
	v_fma_f64 v[12:13], v[50:51], v[60:61], -v[58:59]
	v_add_f64 v[6:7], v[14:15], v[94:95]
	v_add_f64 v[4:5], v[4:5], v[10:11]
	v_fmac_f64_e32 v[98:99], v[52:53], v[60:61]
	v_add_f64 v[6:7], v[6:7], v[96:97]
	v_add_f64 v[4:5], v[4:5], v[12:13]
	;; [unrolled: 1-line block ×3, first 2 shown]
	s_waitcnt vmcnt(2)
	v_add_f64 v[4:5], v[86:87], -v[4:5]
	s_waitcnt vmcnt(0)
	v_add_f64 v[6:7], v[88:89], -v[6:7]
	buffer_store_dword v5, off, s[0:3], 0 offset:132
	buffer_store_dword v4, off, s[0:3], 0 offset:128
	;; [unrolled: 1-line block ×4, first 2 shown]
	s_and_saveexec_b64 s[6:7], vcc
	s_cbranch_execz .LBB77_83
; %bb.82:
	buffer_load_dword v4, v74, s[0:3], 0 offen
	buffer_load_dword v5, v74, s[0:3], 0 offen offset:4
	buffer_load_dword v6, v74, s[0:3], 0 offen offset:8
	;; [unrolled: 1-line block ×3, first 2 shown]
	s_nop 0
	buffer_store_dword v2, off, s[0:3], 0 offset:112
	buffer_store_dword v2, off, s[0:3], 0 offset:116
	;; [unrolled: 1-line block ×4, first 2 shown]
	s_waitcnt vmcnt(4)
	ds_write_b128 v85, v[4:7]
.LBB77_83:
	s_or_b64 exec, exec, s[6:7]
	s_waitcnt lgkmcnt(0)
	; wave barrier
	s_waitcnt lgkmcnt(0)
	buffer_load_dword v20, off, s[0:3], 0 offset:136
	buffer_load_dword v21, off, s[0:3], 0 offset:140
	;; [unrolled: 1-line block ×28, first 2 shown]
	ds_read_b128 v[4:7], v2 offset:352
	ds_read_b128 v[8:11], v2 offset:368
	;; [unrolled: 1-line block ×6, first 2 shown]
	v_cmp_lt_u32_e32 vcc, 6, v84
	s_waitcnt vmcnt(26) lgkmcnt(5)
	v_mul_f64 v[2:3], v[4:5], v[20:21]
	v_mul_f64 v[20:21], v[6:7], v[20:21]
	s_waitcnt vmcnt(24) lgkmcnt(4)
	v_mul_f64 v[98:99], v[8:9], v[58:59]
	v_mul_f64 v[58:59], v[10:11], v[58:59]
	;; [unrolled: 3-line block ×4, first 2 shown]
	s_waitcnt vmcnt(17)
	v_mul_f64 v[102:103], v[16:17], v[66:67]
	v_mul_f64 v[66:67], v[18:19], v[66:67]
	s_waitcnt vmcnt(15) lgkmcnt(0)
	v_mul_f64 v[106:107], v[54:55], v[68:69]
	v_mul_f64 v[68:69], v[56:57], v[68:69]
	s_waitcnt vmcnt(14)
	v_fmac_f64_e32 v[104:105], v[52:53], v[64:65]
	s_waitcnt vmcnt(12)
	v_fma_f64 v[4:5], v[4:5], v[70:71], -v[20:21]
	v_fmac_f64_e32 v[2:3], v[6:7], v[70:71]
	s_waitcnt vmcnt(10)
	v_fma_f64 v[6:7], v[8:9], v[86:87], -v[58:59]
	v_add_f64 v[4:5], v[4:5], 0
	v_fmac_f64_e32 v[98:99], v[10:11], v[86:87]
	s_waitcnt vmcnt(8)
	v_fma_f64 v[8:9], v[12:13], v[88:89], -v[60:61]
	v_add_f64 v[2:3], v[2:3], 0
	v_add_f64 v[4:5], v[4:5], v[6:7]
	v_fmac_f64_e32 v[100:101], v[14:15], v[88:89]
	s_waitcnt vmcnt(6)
	v_fma_f64 v[10:11], v[16:17], v[90:91], -v[66:67]
	v_add_f64 v[2:3], v[2:3], v[98:99]
	v_add_f64 v[4:5], v[4:5], v[8:9]
	v_fmac_f64_e32 v[102:103], v[18:19], v[90:91]
	v_fma_f64 v[12:13], v[50:51], v[64:65], -v[62:63]
	v_add_f64 v[2:3], v[2:3], v[100:101]
	v_add_f64 v[4:5], v[4:5], v[10:11]
	s_waitcnt vmcnt(4)
	v_fma_f64 v[14:15], v[54:55], v[92:93], -v[68:69]
	v_add_f64 v[2:3], v[2:3], v[102:103]
	v_add_f64 v[4:5], v[4:5], v[12:13]
	v_fmac_f64_e32 v[106:107], v[56:57], v[92:93]
	v_add_f64 v[2:3], v[2:3], v[104:105]
	v_add_f64 v[4:5], v[4:5], v[14:15]
	;; [unrolled: 1-line block ×3, first 2 shown]
	s_waitcnt vmcnt(2)
	v_add_f64 v[4:5], v[94:95], -v[4:5]
	s_waitcnt vmcnt(0)
	v_add_f64 v[2:3], v[96:97], -v[2:3]
	buffer_store_dword v5, off, s[0:3], 0 offset:116
	buffer_store_dword v4, off, s[0:3], 0 offset:112
	;; [unrolled: 1-line block ×4, first 2 shown]
	s_and_saveexec_b64 s[6:7], vcc
	s_cbranch_execz .LBB77_85
; %bb.84:
	buffer_load_dword v2, v80, s[0:3], 0 offen
	buffer_load_dword v3, v80, s[0:3], 0 offen offset:4
	buffer_load_dword v4, v80, s[0:3], 0 offen offset:8
	;; [unrolled: 1-line block ×3, first 2 shown]
	v_mov_b32_e32 v6, 0
	buffer_store_dword v6, off, s[0:3], 0 offset:96
	buffer_store_dword v6, off, s[0:3], 0 offset:100
	;; [unrolled: 1-line block ×4, first 2 shown]
	s_waitcnt vmcnt(4)
	ds_write_b128 v85, v[2:5]
.LBB77_85:
	s_or_b64 exec, exec, s[6:7]
	s_waitcnt lgkmcnt(0)
	; wave barrier
	s_waitcnt lgkmcnt(0)
	buffer_load_dword v50, off, s[0:3], 0 offset:120
	buffer_load_dword v51, off, s[0:3], 0 offset:124
	;; [unrolled: 1-line block ×32, first 2 shown]
	v_mov_b32_e32 v52, 0
	ds_read_b128 v[2:5], v52 offset:336
	ds_read_b128 v[6:9], v52 offset:352
	;; [unrolled: 1-line block ×7, first 2 shown]
	v_cmp_lt_u32_e32 vcc, 5, v84
	s_waitcnt vmcnt(30) lgkmcnt(6)
	v_mul_f64 v[106:107], v[2:3], v[50:51]
	v_mul_f64 v[50:51], v[4:5], v[50:51]
	s_waitcnt vmcnt(28) lgkmcnt(5)
	v_mul_f64 v[108:109], v[6:7], v[62:63]
	v_mul_f64 v[62:63], v[8:9], v[62:63]
	;; [unrolled: 3-line block ×4, first 2 shown]
	s_waitcnt vmcnt(21)
	v_mul_f64 v[112:113], v[14:15], v[70:71]
	v_mul_f64 v[70:71], v[16:17], v[70:71]
	s_waitcnt vmcnt(17) lgkmcnt(1)
	v_mul_f64 v[116:117], v[54:55], v[90:91]
	v_mul_f64 v[90:91], v[56:57], v[90:91]
	s_waitcnt vmcnt(16) lgkmcnt(0)
	v_mul_f64 v[118:119], v[58:59], v[86:87]
	v_mul_f64 v[86:87], v[60:61], v[86:87]
	s_waitcnt vmcnt(13)
	v_fma_f64 v[2:3], v[2:3], v[92:93], -v[50:51]
	v_fmac_f64_e32 v[106:107], v[4:5], v[92:93]
	s_waitcnt vmcnt(11)
	v_fma_f64 v[4:5], v[6:7], v[94:95], -v[62:63]
	v_add_f64 v[2:3], v[2:3], 0
	v_fmac_f64_e32 v[108:109], v[8:9], v[94:95]
	s_waitcnt vmcnt(9)
	v_fma_f64 v[6:7], v[10:11], v[96:97], -v[64:65]
	s_waitcnt vmcnt(7)
	v_fmac_f64_e32 v[112:113], v[16:17], v[98:99]
	v_add_f64 v[16:17], v[106:107], 0
	v_add_f64 v[2:3], v[2:3], v[4:5]
	v_fmac_f64_e32 v[110:111], v[12:13], v[96:97]
	v_fma_f64 v[8:9], v[14:15], v[98:99], -v[70:71]
	v_add_f64 v[16:17], v[16:17], v[108:109]
	v_add_f64 v[2:3], v[2:3], v[6:7]
	v_fma_f64 v[10:11], v[18:19], v[68:69], -v[66:67]
	v_add_f64 v[4:5], v[16:17], v[110:111]
	v_add_f64 v[2:3], v[2:3], v[8:9]
	v_fmac_f64_e32 v[114:115], v[20:21], v[68:69]
	s_waitcnt vmcnt(5)
	v_fma_f64 v[12:13], v[54:55], v[100:101], -v[90:91]
	v_add_f64 v[4:5], v[4:5], v[112:113]
	v_add_f64 v[2:3], v[2:3], v[10:11]
	v_fmac_f64_e32 v[116:117], v[56:57], v[100:101]
	s_waitcnt vmcnt(4)
	v_fma_f64 v[14:15], v[58:59], v[88:89], -v[86:87]
	v_add_f64 v[4:5], v[4:5], v[114:115]
	v_add_f64 v[2:3], v[2:3], v[12:13]
	v_fmac_f64_e32 v[118:119], v[60:61], v[88:89]
	v_add_f64 v[4:5], v[4:5], v[116:117]
	v_add_f64 v[2:3], v[2:3], v[14:15]
	;; [unrolled: 1-line block ×3, first 2 shown]
	s_waitcnt vmcnt(2)
	v_add_f64 v[2:3], v[102:103], -v[2:3]
	s_waitcnt vmcnt(0)
	v_add_f64 v[4:5], v[104:105], -v[4:5]
	buffer_store_dword v3, off, s[0:3], 0 offset:100
	buffer_store_dword v2, off, s[0:3], 0 offset:96
	;; [unrolled: 1-line block ×4, first 2 shown]
	s_and_saveexec_b64 s[6:7], vcc
	s_cbranch_execz .LBB77_87
; %bb.86:
	buffer_load_dword v2, v78, s[0:3], 0 offen
	buffer_load_dword v3, v78, s[0:3], 0 offen offset:4
	buffer_load_dword v4, v78, s[0:3], 0 offen offset:8
	;; [unrolled: 1-line block ×3, first 2 shown]
	s_nop 0
	buffer_store_dword v52, off, s[0:3], 0 offset:80
	buffer_store_dword v52, off, s[0:3], 0 offset:84
	;; [unrolled: 1-line block ×4, first 2 shown]
	s_waitcnt vmcnt(4)
	ds_write_b128 v85, v[2:5]
.LBB77_87:
	s_or_b64 exec, exec, s[6:7]
	s_waitcnt lgkmcnt(0)
	; wave barrier
	s_waitcnt lgkmcnt(0)
	ds_read_b128 v[14:17], v52 offset:320
	ds_read_b128 v[10:13], v52 offset:336
	;; [unrolled: 1-line block ×4, first 2 shown]
	buffer_load_dword v20, off, s[0:3], 0 offset:80
	buffer_load_dword v21, off, s[0:3], 0 offset:84
	;; [unrolled: 1-line block ×20, first 2 shown]
	v_cmp_lt_u32_e32 vcc, 4, v84
	s_waitcnt vmcnt(12) lgkmcnt(3)
	v_mul_f64 v[54:55], v[14:15], v[70:71]
	v_fmac_f64_e32 v[54:55], v[16:17], v[50:51]
	v_add_f64 v[54:55], v[54:55], 0
	v_mul_f64 v[16:17], v[16:17], v[70:71]
	s_waitcnt vmcnt(8) lgkmcnt(2)
	v_mul_f64 v[56:57], v[10:11], v[88:89]
	v_fmac_f64_e32 v[56:57], v[12:13], v[86:87]
	v_add_f64 v[54:55], v[54:55], v[56:57]
	v_fma_f64 v[14:15], v[14:15], v[50:51], -v[16:17]
	s_waitcnt vmcnt(4) lgkmcnt(1)
	v_mul_f64 v[56:57], v[6:7], v[92:93]
	v_fmac_f64_e32 v[56:57], v[8:9], v[90:91]
	v_add_f64 v[54:55], v[54:55], v[56:57]
	s_waitcnt vmcnt(0) lgkmcnt(0)
	v_mul_f64 v[56:57], v[2:3], v[96:97]
	v_fmac_f64_e32 v[56:57], v[4:5], v[94:95]
	v_add_f64 v[58:59], v[54:55], v[56:57]
	ds_read_b128 v[54:57], v52 offset:384
	buffer_load_dword v99, off, s[0:3], 0 offset:164
	buffer_load_dword v98, off, s[0:3], 0 offset:160
	;; [unrolled: 1-line block ×4, first 2 shown]
	v_mul_f64 v[12:13], v[12:13], v[88:89]
	v_add_f64 v[14:15], v[14:15], 0
	v_fma_f64 v[10:11], v[10:11], v[86:87], -v[12:13]
	v_mul_f64 v[8:9], v[8:9], v[92:93]
	v_add_f64 v[10:11], v[14:15], v[10:11]
	v_fma_f64 v[6:7], v[6:7], v[90:91], -v[8:9]
	;; [unrolled: 3-line block ×3, first 2 shown]
	v_add_f64 v[2:3], v[6:7], v[2:3]
	s_waitcnt vmcnt(0) lgkmcnt(0)
	v_mul_f64 v[60:61], v[54:55], v[100:101]
	v_fmac_f64_e32 v[60:61], v[56:57], v[98:99]
	v_add_f64 v[62:63], v[58:59], v[60:61]
	ds_read_b128 v[58:61], v52 offset:400
	buffer_load_dword v103, off, s[0:3], 0 offset:180
	buffer_load_dword v102, off, s[0:3], 0 offset:176
	buffer_load_dword v105, off, s[0:3], 0 offset:188
	buffer_load_dword v104, off, s[0:3], 0 offset:184
	v_mul_f64 v[4:5], v[56:57], v[100:101]
	v_fma_f64 v[4:5], v[54:55], v[98:99], -v[4:5]
	v_add_f64 v[2:3], v[2:3], v[4:5]
	s_waitcnt vmcnt(0) lgkmcnt(0)
	v_mul_f64 v[64:65], v[58:59], v[104:105]
	v_fmac_f64_e32 v[64:65], v[60:61], v[102:103]
	v_add_f64 v[66:67], v[62:63], v[64:65]
	ds_read_b128 v[62:65], v52 offset:416
	buffer_load_dword v107, off, s[0:3], 0 offset:196
	buffer_load_dword v106, off, s[0:3], 0 offset:192
	buffer_load_dword v109, off, s[0:3], 0 offset:204
	buffer_load_dword v108, off, s[0:3], 0 offset:200
	v_mul_f64 v[4:5], v[60:61], v[104:105]
	v_fma_f64 v[4:5], v[58:59], v[102:103], -v[4:5]
	;; [unrolled: 12-line block ×3, first 2 shown]
	v_add_f64 v[2:3], v[2:3], v[4:5]
	s_waitcnt vmcnt(0) lgkmcnt(0)
	v_mul_f64 v[4:5], v[68:69], v[112:113]
	v_mul_f64 v[114:115], v[66:67], v[112:113]
	v_fma_f64 v[4:5], v[66:67], v[52:53], -v[4:5]
	v_fmac_f64_e32 v[114:115], v[68:69], v[52:53]
	v_add_f64 v[2:3], v[2:3], v[4:5]
	v_add_f64 v[110:111], v[110:111], v[114:115]
	v_add_f64 v[2:3], v[20:21], -v[2:3]
	v_add_f64 v[4:5], v[18:19], -v[110:111]
	buffer_store_dword v3, off, s[0:3], 0 offset:84
	buffer_store_dword v2, off, s[0:3], 0 offset:80
	;; [unrolled: 1-line block ×4, first 2 shown]
	s_and_saveexec_b64 s[6:7], vcc
	s_cbranch_execz .LBB77_89
; %bb.88:
	buffer_load_dword v2, v79, s[0:3], 0 offen
	buffer_load_dword v3, v79, s[0:3], 0 offen offset:4
	buffer_load_dword v4, v79, s[0:3], 0 offen offset:8
	;; [unrolled: 1-line block ×3, first 2 shown]
	v_mov_b32_e32 v6, 0
	buffer_store_dword v6, off, s[0:3], 0 offset:64
	buffer_store_dword v6, off, s[0:3], 0 offset:68
	;; [unrolled: 1-line block ×4, first 2 shown]
	s_waitcnt vmcnt(4)
	ds_write_b128 v85, v[2:5]
.LBB77_89:
	s_or_b64 exec, exec, s[6:7]
	v_mov_b32_e32 v86, 0
	s_waitcnt lgkmcnt(0)
	; wave barrier
	s_waitcnt lgkmcnt(0)
	ds_read_b128 v[14:17], v86 offset:304
	ds_read_b128 v[10:13], v86 offset:320
	;; [unrolled: 1-line block ×4, first 2 shown]
	buffer_load_dword v52, off, s[0:3], 0 offset:64
	buffer_load_dword v53, off, s[0:3], 0 offset:68
	;; [unrolled: 1-line block ×20, first 2 shown]
	v_cmp_lt_u32_e32 vcc, 3, v84
	s_waitcnt vmcnt(12) lgkmcnt(3)
	v_mul_f64 v[18:19], v[14:15], v[64:65]
	v_fmac_f64_e32 v[18:19], v[16:17], v[54:55]
	v_add_f64 v[18:19], v[18:19], 0
	v_mul_f64 v[16:17], v[16:17], v[64:65]
	s_waitcnt vmcnt(8) lgkmcnt(2)
	v_mul_f64 v[20:21], v[10:11], v[66:67]
	v_fmac_f64_e32 v[20:21], v[12:13], v[60:61]
	v_add_f64 v[18:19], v[18:19], v[20:21]
	v_fma_f64 v[14:15], v[14:15], v[54:55], -v[16:17]
	s_waitcnt vmcnt(4) lgkmcnt(1)
	v_mul_f64 v[20:21], v[6:7], v[68:69]
	v_fmac_f64_e32 v[20:21], v[8:9], v[62:63]
	v_add_f64 v[18:19], v[18:19], v[20:21]
	s_waitcnt vmcnt(0) lgkmcnt(0)
	v_mul_f64 v[20:21], v[2:3], v[70:71]
	v_fmac_f64_e32 v[20:21], v[4:5], v[58:59]
	v_add_f64 v[88:89], v[18:19], v[20:21]
	ds_read_b128 v[18:21], v86 offset:368
	buffer_load_dword v57, off, s[0:3], 0 offset:148
	buffer_load_dword v56, off, s[0:3], 0 offset:144
	;; [unrolled: 1-line block ×4, first 2 shown]
	v_mul_f64 v[12:13], v[12:13], v[66:67]
	v_add_f64 v[14:15], v[14:15], 0
	v_fma_f64 v[10:11], v[10:11], v[60:61], -v[12:13]
	v_mul_f64 v[8:9], v[8:9], v[68:69]
	v_add_f64 v[10:11], v[14:15], v[10:11]
	v_fma_f64 v[6:7], v[6:7], v[62:63], -v[8:9]
	;; [unrolled: 3-line block ×3, first 2 shown]
	v_add_f64 v[2:3], v[6:7], v[2:3]
	s_waitcnt vmcnt(0) lgkmcnt(0)
	v_mul_f64 v[90:91], v[18:19], v[104:105]
	v_fmac_f64_e32 v[90:91], v[20:21], v[56:57]
	v_add_f64 v[92:93], v[88:89], v[90:91]
	ds_read_b128 v[88:91], v86 offset:384
	buffer_load_dword v107, off, s[0:3], 0 offset:164
	buffer_load_dword v106, off, s[0:3], 0 offset:160
	buffer_load_dword v109, off, s[0:3], 0 offset:172
	buffer_load_dword v108, off, s[0:3], 0 offset:168
	v_mul_f64 v[4:5], v[20:21], v[104:105]
	v_fma_f64 v[4:5], v[18:19], v[56:57], -v[4:5]
	v_add_f64 v[2:3], v[2:3], v[4:5]
	s_waitcnt vmcnt(0) lgkmcnt(0)
	v_mul_f64 v[94:95], v[88:89], v[108:109]
	v_fmac_f64_e32 v[94:95], v[90:91], v[106:107]
	v_add_f64 v[96:97], v[92:93], v[94:95]
	ds_read_b128 v[92:95], v86 offset:400
	buffer_load_dword v111, off, s[0:3], 0 offset:180
	buffer_load_dword v110, off, s[0:3], 0 offset:176
	buffer_load_dword v113, off, s[0:3], 0 offset:188
	buffer_load_dword v112, off, s[0:3], 0 offset:184
	v_mul_f64 v[4:5], v[90:91], v[108:109]
	v_fma_f64 v[4:5], v[88:89], v[106:107], -v[4:5]
	;; [unrolled: 12-line block ×4, first 2 shown]
	v_add_f64 v[2:3], v[2:3], v[4:5]
	s_waitcnt vmcnt(0) lgkmcnt(0)
	v_mul_f64 v[4:5], v[102:103], v[122:123]
	v_mul_f64 v[124:125], v[100:101], v[122:123]
	v_fma_f64 v[4:5], v[100:101], v[120:121], -v[4:5]
	v_fmac_f64_e32 v[124:125], v[102:103], v[120:121]
	v_add_f64 v[2:3], v[2:3], v[4:5]
	v_add_f64 v[118:119], v[118:119], v[124:125]
	v_add_f64 v[2:3], v[52:53], -v[2:3]
	v_add_f64 v[4:5], v[50:51], -v[118:119]
	buffer_store_dword v3, off, s[0:3], 0 offset:68
	buffer_store_dword v2, off, s[0:3], 0 offset:64
	;; [unrolled: 1-line block ×4, first 2 shown]
	s_and_saveexec_b64 s[6:7], vcc
	s_cbranch_execz .LBB77_91
; %bb.90:
	buffer_load_dword v2, v82, s[0:3], 0 offen
	buffer_load_dword v3, v82, s[0:3], 0 offen offset:4
	buffer_load_dword v4, v82, s[0:3], 0 offen offset:8
	;; [unrolled: 1-line block ×3, first 2 shown]
	s_nop 0
	buffer_store_dword v86, off, s[0:3], 0 offset:48
	buffer_store_dword v86, off, s[0:3], 0 offset:52
	buffer_store_dword v86, off, s[0:3], 0 offset:56
	buffer_store_dword v86, off, s[0:3], 0 offset:60
	s_waitcnt vmcnt(4)
	ds_write_b128 v85, v[2:5]
.LBB77_91:
	s_or_b64 exec, exec, s[6:7]
	s_waitcnt lgkmcnt(0)
	; wave barrier
	s_waitcnt lgkmcnt(0)
	buffer_load_dword v4, off, s[0:3], 0 offset:64
	buffer_load_dword v5, off, s[0:3], 0 offset:68
	;; [unrolled: 1-line block ×44, first 2 shown]
	ds_read_b128 v[6:9], v86 offset:288
	ds_read_b128 v[10:13], v86 offset:304
	;; [unrolled: 1-line block ×10, first 2 shown]
	v_cmp_lt_u32_e32 vcc, 2, v84
	s_waitcnt vmcnt(40) lgkmcnt(9)
	v_mul_f64 v[128:129], v[6:7], v[70:71]
	v_mul_f64 v[70:71], v[8:9], v[70:71]
	s_waitcnt vmcnt(38) lgkmcnt(8)
	v_mul_f64 v[130:131], v[10:11], v[90:91]
	v_mul_f64 v[90:91], v[12:13], v[90:91]
	v_fmac_f64_e32 v[128:129], v[8:9], v[4:5]
	v_fma_f64 v[4:5], v[6:7], v[4:5], -v[70:71]
	s_waitcnt vmcnt(36) lgkmcnt(7)
	v_mul_f64 v[132:133], v[14:15], v[2:3]
	v_add_f64 v[4:5], v[4:5], 0
	v_mul_f64 v[2:3], v[16:17], v[2:3]
	v_add_f64 v[8:9], v[128:129], 0
	s_waitcnt vmcnt(30) lgkmcnt(6)
	v_mul_f64 v[134:135], v[18:19], v[96:97]
	s_waitcnt lgkmcnt(5)
	v_mul_f64 v[136:137], v[50:51], v[92:93]
	v_fmac_f64_e32 v[136:137], v[52:53], v[94:95]
	s_waitcnt vmcnt(28) lgkmcnt(3)
	v_mul_f64 v[140:141], v[58:59], v[98:99]
	s_waitcnt vmcnt(26)
	v_fmac_f64_e32 v[140:141], v[60:61], v[100:101]
	s_waitcnt vmcnt(24)
	v_mul_f64 v[138:139], v[54:55], v[102:103]
	s_waitcnt vmcnt(22) lgkmcnt(1)
	v_mul_f64 v[144:145], v[66:67], v[104:105]
	s_waitcnt vmcnt(20)
	v_fmac_f64_e32 v[144:145], v[68:69], v[106:107]
	s_waitcnt vmcnt(18)
	v_mul_f64 v[142:143], v[62:63], v[108:109]
	s_waitcnt vmcnt(16) lgkmcnt(0)
	v_mul_f64 v[146:147], v[86:87], v[110:111]
	s_waitcnt vmcnt(14)
	v_fma_f64 v[6:7], v[10:11], v[112:113], -v[90:91]
	v_add_f64 v[4:5], v[4:5], v[6:7]
	s_waitcnt vmcnt(12)
	v_fma_f64 v[2:3], v[14:15], v[114:115], -v[2:3]
	v_add_f64 v[2:3], v[4:5], v[2:3]
	v_mul_f64 v[4:5], v[20:21], v[96:97]
	s_waitcnt vmcnt(10)
	v_fma_f64 v[4:5], v[18:19], v[116:117], -v[4:5]
	v_add_f64 v[2:3], v[2:3], v[4:5]
	v_mul_f64 v[4:5], v[52:53], v[92:93]
	v_fma_f64 v[4:5], v[50:51], v[94:95], -v[4:5]
	v_add_f64 v[2:3], v[2:3], v[4:5]
	v_mul_f64 v[4:5], v[56:57], v[102:103]
	s_waitcnt vmcnt(8)
	v_fma_f64 v[4:5], v[54:55], v[118:119], -v[4:5]
	v_fmac_f64_e32 v[130:131], v[12:13], v[112:113]
	v_add_f64 v[2:3], v[2:3], v[4:5]
	v_mul_f64 v[4:5], v[60:61], v[98:99]
	v_fmac_f64_e32 v[132:133], v[16:17], v[114:115]
	v_add_f64 v[8:9], v[8:9], v[130:131]
	v_fma_f64 v[4:5], v[58:59], v[100:101], -v[4:5]
	v_fmac_f64_e32 v[134:135], v[20:21], v[116:117]
	v_add_f64 v[6:7], v[8:9], v[132:133]
	v_add_f64 v[2:3], v[2:3], v[4:5]
	v_mul_f64 v[4:5], v[64:65], v[108:109]
	v_add_f64 v[6:7], v[6:7], v[134:135]
	s_waitcnt vmcnt(6)
	v_fma_f64 v[4:5], v[62:63], v[120:121], -v[4:5]
	v_fmac_f64_e32 v[138:139], v[56:57], v[118:119]
	v_add_f64 v[6:7], v[6:7], v[136:137]
	v_add_f64 v[2:3], v[2:3], v[4:5]
	v_mul_f64 v[4:5], v[68:69], v[104:105]
	v_add_f64 v[6:7], v[6:7], v[138:139]
	v_fma_f64 v[4:5], v[66:67], v[106:107], -v[4:5]
	v_fmac_f64_e32 v[142:143], v[64:65], v[120:121]
	v_add_f64 v[6:7], v[6:7], v[140:141]
	v_add_f64 v[2:3], v[2:3], v[4:5]
	v_mul_f64 v[4:5], v[88:89], v[110:111]
	v_add_f64 v[6:7], v[6:7], v[142:143]
	s_waitcnt vmcnt(4)
	v_fma_f64 v[4:5], v[86:87], v[122:123], -v[4:5]
	v_fmac_f64_e32 v[146:147], v[88:89], v[122:123]
	v_add_f64 v[6:7], v[6:7], v[144:145]
	v_add_f64 v[2:3], v[2:3], v[4:5]
	;; [unrolled: 1-line block ×3, first 2 shown]
	s_waitcnt vmcnt(2)
	v_add_f64 v[2:3], v[124:125], -v[2:3]
	s_waitcnt vmcnt(0)
	v_add_f64 v[4:5], v[126:127], -v[6:7]
	buffer_store_dword v3, off, s[0:3], 0 offset:52
	buffer_store_dword v2, off, s[0:3], 0 offset:48
	;; [unrolled: 1-line block ×4, first 2 shown]
	s_and_saveexec_b64 s[6:7], vcc
	s_cbranch_execz .LBB77_93
; %bb.92:
	buffer_load_dword v2, v83, s[0:3], 0 offen
	buffer_load_dword v3, v83, s[0:3], 0 offen offset:4
	buffer_load_dword v4, v83, s[0:3], 0 offen offset:8
	;; [unrolled: 1-line block ×3, first 2 shown]
	v_mov_b32_e32 v6, 0
	buffer_store_dword v6, off, s[0:3], 0 offset:32
	buffer_store_dword v6, off, s[0:3], 0 offset:36
	;; [unrolled: 1-line block ×4, first 2 shown]
	s_waitcnt vmcnt(4)
	ds_write_b128 v85, v[2:5]
.LBB77_93:
	s_or_b64 exec, exec, s[6:7]
	s_waitcnt lgkmcnt(0)
	; wave barrier
	s_waitcnt lgkmcnt(0)
	buffer_load_dword v2, off, s[0:3], 0 offset:48
	buffer_load_dword v3, off, s[0:3], 0 offset:52
	;; [unrolled: 1-line block ×48, first 2 shown]
	v_mov_b32_e32 v12, 0
	ds_read_b128 v[14:17], v12 offset:272
	ds_read_b128 v[18:21], v12 offset:288
	;; [unrolled: 1-line block ×11, first 2 shown]
	v_cmp_lt_u32_e32 vcc, 1, v84
	s_waitcnt vmcnt(44) lgkmcnt(10)
	v_mul_f64 v[138:139], v[14:15], v[6:7]
	v_mul_f64 v[6:7], v[16:17], v[6:7]
	v_fmac_f64_e32 v[138:139], v[16:17], v[2:3]
	v_fma_f64 v[2:3], v[14:15], v[2:3], -v[6:7]
	s_waitcnt vmcnt(40) lgkmcnt(9)
	v_mul_f64 v[140:141], v[18:19], v[8:9]
	v_mul_f64 v[6:7], v[20:21], v[8:9]
	v_fmac_f64_e32 v[140:141], v[20:21], v[4:5]
	v_add_f64 v[2:3], v[2:3], 0
	v_fma_f64 v[4:5], v[18:19], v[4:5], -v[6:7]
	v_add_f64 v[2:3], v[2:3], v[4:5]
	s_waitcnt vmcnt(38) lgkmcnt(8)
	v_mul_f64 v[4:5], v[52:53], v[10:11]
	v_mul_f64 v[142:143], v[50:51], v[10:11]
	v_add_f64 v[138:139], v[138:139], 0
	s_waitcnt vmcnt(32) lgkmcnt(7)
	v_mul_f64 v[144:145], v[54:55], v[104:105]
	v_add_f64 v[138:139], v[138:139], v[140:141]
	s_waitcnt lgkmcnt(6)
	v_mul_f64 v[146:147], v[58:59], v[70:71]
	v_fmac_f64_e32 v[146:147], v[60:61], v[102:103]
	s_waitcnt vmcnt(30) lgkmcnt(4)
	v_mul_f64 v[150:151], v[66:67], v[106:107]
	s_waitcnt vmcnt(26)
	v_mul_f64 v[148:149], v[62:63], v[110:111]
	v_fmac_f64_e32 v[150:151], v[68:69], v[108:109]
	s_waitcnt vmcnt(24) lgkmcnt(2)
	v_mul_f64 v[154:155], v[90:91], v[112:113]
	s_waitcnt vmcnt(22)
	v_fmac_f64_e32 v[154:155], v[92:93], v[114:115]
	s_waitcnt vmcnt(20)
	v_mul_f64 v[152:153], v[86:87], v[116:117]
	s_waitcnt vmcnt(16) lgkmcnt(1)
	v_mul_f64 v[156:157], v[94:95], v[122:123]
	s_waitcnt vmcnt(14)
	v_fma_f64 v[4:5], v[50:51], v[124:125], -v[4:5]
	v_add_f64 v[2:3], v[2:3], v[4:5]
	v_mul_f64 v[4:5], v[56:57], v[104:105]
	s_waitcnt vmcnt(12)
	v_fma_f64 v[4:5], v[54:55], v[126:127], -v[4:5]
	v_add_f64 v[2:3], v[2:3], v[4:5]
	v_mul_f64 v[4:5], v[60:61], v[70:71]
	v_fma_f64 v[4:5], v[58:59], v[102:103], -v[4:5]
	v_add_f64 v[2:3], v[2:3], v[4:5]
	v_mul_f64 v[4:5], v[64:65], v[110:111]
	s_waitcnt vmcnt(10)
	v_fma_f64 v[4:5], v[62:63], v[128:129], -v[4:5]
	v_add_f64 v[2:3], v[2:3], v[4:5]
	v_mul_f64 v[4:5], v[68:69], v[106:107]
	v_fma_f64 v[4:5], v[66:67], v[108:109], -v[4:5]
	v_fmac_f64_e32 v[142:143], v[52:53], v[124:125]
	v_add_f64 v[2:3], v[2:3], v[4:5]
	v_mul_f64 v[4:5], v[88:89], v[116:117]
	v_fmac_f64_e32 v[144:145], v[56:57], v[126:127]
	v_add_f64 v[138:139], v[138:139], v[142:143]
	s_waitcnt vmcnt(8)
	v_fma_f64 v[4:5], v[86:87], v[130:131], -v[4:5]
	v_add_f64 v[138:139], v[138:139], v[144:145]
	v_add_f64 v[2:3], v[2:3], v[4:5]
	v_mul_f64 v[4:5], v[92:93], v[112:113]
	v_fmac_f64_e32 v[148:149], v[64:65], v[128:129]
	v_add_f64 v[138:139], v[138:139], v[146:147]
	v_fma_f64 v[4:5], v[90:91], v[114:115], -v[4:5]
	v_add_f64 v[138:139], v[138:139], v[148:149]
	v_add_f64 v[2:3], v[2:3], v[4:5]
	v_mul_f64 v[4:5], v[96:97], v[122:123]
	v_fmac_f64_e32 v[152:153], v[88:89], v[130:131]
	v_add_f64 v[138:139], v[138:139], v[150:151]
	s_waitcnt vmcnt(6)
	v_fma_f64 v[4:5], v[94:95], v[132:133], -v[4:5]
	v_add_f64 v[138:139], v[138:139], v[152:153]
	v_add_f64 v[2:3], v[2:3], v[4:5]
	s_waitcnt vmcnt(5) lgkmcnt(0)
	v_mul_f64 v[4:5], v[100:101], v[118:119]
	v_fmac_f64_e32 v[156:157], v[96:97], v[132:133]
	v_add_f64 v[138:139], v[138:139], v[154:155]
	v_mul_f64 v[140:141], v[98:99], v[118:119]
	s_waitcnt vmcnt(4)
	v_fma_f64 v[4:5], v[98:99], v[120:121], -v[4:5]
	v_add_f64 v[138:139], v[138:139], v[156:157]
	v_fmac_f64_e32 v[140:141], v[100:101], v[120:121]
	v_add_f64 v[2:3], v[2:3], v[4:5]
	v_add_f64 v[138:139], v[138:139], v[140:141]
	s_waitcnt vmcnt(2)
	v_add_f64 v[2:3], v[134:135], -v[2:3]
	s_waitcnt vmcnt(0)
	v_add_f64 v[4:5], v[136:137], -v[138:139]
	buffer_store_dword v3, off, s[0:3], 0 offset:36
	buffer_store_dword v2, off, s[0:3], 0 offset:32
	;; [unrolled: 1-line block ×4, first 2 shown]
	s_and_saveexec_b64 s[6:7], vcc
	s_cbranch_execz .LBB77_95
; %bb.94:
	buffer_load_dword v2, v81, s[0:3], 0 offen
	buffer_load_dword v3, v81, s[0:3], 0 offen offset:4
	buffer_load_dword v4, v81, s[0:3], 0 offen offset:8
	;; [unrolled: 1-line block ×3, first 2 shown]
	s_nop 0
	buffer_store_dword v12, off, s[0:3], 0 offset:16
	buffer_store_dword v12, off, s[0:3], 0 offset:20
	;; [unrolled: 1-line block ×4, first 2 shown]
	s_waitcnt vmcnt(4)
	ds_write_b128 v85, v[2:5]
.LBB77_95:
	s_or_b64 exec, exec, s[6:7]
	s_waitcnt lgkmcnt(0)
	; wave barrier
	s_waitcnt lgkmcnt(0)
	buffer_load_dword v2, off, s[0:3], 0 offset:32
	buffer_load_dword v3, off, s[0:3], 0 offset:36
	;; [unrolled: 1-line block ×52, first 2 shown]
	ds_read_b128 v[14:17], v12 offset:256
	ds_read_b128 v[18:21], v12 offset:272
	;; [unrolled: 1-line block ×10, first 2 shown]
	v_cmp_ne_u32_e32 vcc, 0, v84
	s_waitcnt vmcnt(48) lgkmcnt(9)
	v_mul_f64 v[98:99], v[14:15], v[6:7]
	v_mul_f64 v[6:7], v[16:17], v[6:7]
	v_fmac_f64_e32 v[98:99], v[16:17], v[2:3]
	v_fma_f64 v[2:3], v[14:15], v[2:3], -v[6:7]
	s_waitcnt vmcnt(44) lgkmcnt(8)
	v_mul_f64 v[100:101], v[18:19], v[8:9]
	v_mul_f64 v[6:7], v[20:21], v[8:9]
	v_fmac_f64_e32 v[100:101], v[20:21], v[4:5]
	v_add_f64 v[2:3], v[2:3], 0
	v_fma_f64 v[4:5], v[18:19], v[4:5], -v[6:7]
	v_add_f64 v[2:3], v[2:3], v[4:5]
	s_waitcnt vmcnt(42) lgkmcnt(7)
	v_mul_f64 v[4:5], v[52:53], v[10:11]
	v_mul_f64 v[102:103], v[50:51], v[10:11]
	v_add_f64 v[98:99], v[98:99], 0
	s_waitcnt vmcnt(36) lgkmcnt(6)
	v_mul_f64 v[104:105], v[54:55], v[108:109]
	v_add_f64 v[98:99], v[98:99], v[100:101]
	s_waitcnt lgkmcnt(5)
	v_mul_f64 v[146:147], v[58:59], v[70:71]
	v_fmac_f64_e32 v[146:147], v[60:61], v[106:107]
	s_waitcnt vmcnt(34) lgkmcnt(3)
	v_mul_f64 v[150:151], v[66:67], v[110:111]
	s_waitcnt vmcnt(30)
	v_mul_f64 v[148:149], v[62:63], v[114:115]
	v_fmac_f64_e32 v[150:151], v[68:69], v[112:113]
	s_waitcnt vmcnt(26) lgkmcnt(2)
	v_mul_f64 v[152:153], v[86:87], v[120:121]
	s_waitcnt vmcnt(25) lgkmcnt(1)
	v_mul_f64 v[154:155], v[90:91], v[116:117]
	s_waitcnt vmcnt(23)
	v_fma_f64 v[4:5], v[50:51], v[122:123], -v[4:5]
	v_add_f64 v[2:3], v[2:3], v[4:5]
	v_mul_f64 v[4:5], v[56:57], v[108:109]
	s_waitcnt vmcnt(21)
	v_fma_f64 v[4:5], v[54:55], v[124:125], -v[4:5]
	v_fmac_f64_e32 v[102:103], v[52:53], v[122:123]
	v_add_f64 v[2:3], v[2:3], v[4:5]
	v_mul_f64 v[4:5], v[60:61], v[70:71]
	v_fmac_f64_e32 v[104:105], v[56:57], v[124:125]
	v_add_f64 v[98:99], v[98:99], v[102:103]
	v_fma_f64 v[4:5], v[58:59], v[106:107], -v[4:5]
	v_add_f64 v[98:99], v[98:99], v[104:105]
	v_add_f64 v[2:3], v[2:3], v[4:5]
	v_mul_f64 v[4:5], v[64:65], v[114:115]
	s_waitcnt vmcnt(19)
	v_fmac_f64_e32 v[148:149], v[64:65], v[126:127]
	v_add_f64 v[98:99], v[98:99], v[146:147]
	v_fma_f64 v[4:5], v[62:63], v[126:127], -v[4:5]
	v_add_f64 v[98:99], v[98:99], v[148:149]
	v_add_f64 v[2:3], v[2:3], v[4:5]
	v_mul_f64 v[4:5], v[68:69], v[110:111]
	s_waitcnt vmcnt(17)
	v_fmac_f64_e32 v[152:153], v[88:89], v[128:129]
	v_add_f64 v[98:99], v[98:99], v[150:151]
	v_fma_f64 v[4:5], v[66:67], v[112:113], -v[4:5]
	s_waitcnt vmcnt(16)
	v_fmac_f64_e32 v[154:155], v[92:93], v[118:119]
	v_add_f64 v[98:99], v[98:99], v[152:153]
	v_add_f64 v[2:3], v[2:3], v[4:5]
	v_mul_f64 v[4:5], v[88:89], v[120:121]
	v_add_f64 v[146:147], v[98:99], v[154:155]
	ds_read_b128 v[98:101], v12 offset:416
	ds_read_b128 v[102:105], v12 offset:432
	v_fma_f64 v[4:5], v[86:87], v[128:129], -v[4:5]
	v_add_f64 v[2:3], v[2:3], v[4:5]
	v_mul_f64 v[4:5], v[92:93], v[116:117]
	v_fma_f64 v[4:5], v[90:91], v[118:119], -v[4:5]
	v_add_f64 v[2:3], v[2:3], v[4:5]
	s_waitcnt vmcnt(12) lgkmcnt(2)
	v_mul_f64 v[4:5], v[96:97], v[134:135]
	v_mul_f64 v[148:149], v[94:95], v[134:135]
	s_waitcnt vmcnt(10)
	v_fma_f64 v[4:5], v[94:95], v[136:137], -v[4:5]
	v_fmac_f64_e32 v[148:149], v[96:97], v[136:137]
	v_add_f64 v[2:3], v[2:3], v[4:5]
	s_waitcnt vmcnt(8) lgkmcnt(1)
	v_mul_f64 v[4:5], v[100:101], v[130:131]
	v_add_f64 v[12:13], v[146:147], v[148:149]
	v_mul_f64 v[146:147], v[98:99], v[130:131]
	v_fma_f64 v[4:5], v[98:99], v[132:133], -v[4:5]
	v_fmac_f64_e32 v[146:147], v[100:101], v[132:133]
	v_add_f64 v[2:3], v[2:3], v[4:5]
	s_waitcnt vmcnt(6) lgkmcnt(0)
	v_mul_f64 v[4:5], v[104:105], v[138:139]
	v_add_f64 v[12:13], v[12:13], v[146:147]
	v_mul_f64 v[146:147], v[102:103], v[138:139]
	s_waitcnt vmcnt(4)
	v_fma_f64 v[4:5], v[102:103], v[140:141], -v[4:5]
	v_fmac_f64_e32 v[146:147], v[104:105], v[140:141]
	v_add_f64 v[2:3], v[2:3], v[4:5]
	v_add_f64 v[12:13], v[12:13], v[146:147]
	s_waitcnt vmcnt(2)
	v_add_f64 v[2:3], v[142:143], -v[2:3]
	s_waitcnt vmcnt(0)
	v_add_f64 v[4:5], v[144:145], -v[12:13]
	buffer_store_dword v3, off, s[0:3], 0 offset:20
	buffer_store_dword v2, off, s[0:3], 0 offset:16
	;; [unrolled: 1-line block ×4, first 2 shown]
	s_and_saveexec_b64 s[6:7], vcc
	s_cbranch_execz .LBB77_97
; %bb.96:
	buffer_load_dword v2, off, s[0:3], 0
	buffer_load_dword v3, off, s[0:3], 0 offset:4
	buffer_load_dword v4, off, s[0:3], 0 offset:8
	;; [unrolled: 1-line block ×3, first 2 shown]
	v_mov_b32_e32 v6, 0
	buffer_store_dword v6, off, s[0:3], 0
	buffer_store_dword v6, off, s[0:3], 0 offset:4
	buffer_store_dword v6, off, s[0:3], 0 offset:8
	buffer_store_dword v6, off, s[0:3], 0 offset:12
	s_waitcnt vmcnt(4)
	ds_write_b128 v85, v[2:5]
.LBB77_97:
	s_or_b64 exec, exec, s[6:7]
	s_waitcnt lgkmcnt(0)
	; wave barrier
	s_waitcnt lgkmcnt(0)
	buffer_load_dword v2, off, s[0:3], 0 offset:16
	buffer_load_dword v3, off, s[0:3], 0 offset:20
	;; [unrolled: 1-line block ×52, first 2 shown]
	buffer_load_dword v148, off, s[0:3], 0
	buffer_load_dword v149, off, s[0:3], 0 offset:4
	buffer_load_dword v150, off, s[0:3], 0 offset:8
	;; [unrolled: 1-line block ×3, first 2 shown]
	v_mov_b32_e32 v85, 0
	ds_read_b128 v[18:21], v85 offset:240
	ds_read_b128 v[50:53], v85 offset:256
	;; [unrolled: 1-line block ×9, first 2 shown]
	s_and_b64 vcc, exec, s[18:19]
	s_waitcnt vmcnt(52) lgkmcnt(8)
	v_mul_f64 v[94:95], v[18:19], v[6:7]
	v_fmac_f64_e32 v[94:95], v[20:21], v[2:3]
	v_mul_f64 v[6:7], v[20:21], v[6:7]
	v_add_f64 v[94:95], v[94:95], 0
	s_waitcnt vmcnt(48) lgkmcnt(7)
	v_mul_f64 v[96:97], v[50:51], v[8:9]
	v_fmac_f64_e32 v[96:97], v[52:53], v[4:5]
	s_waitcnt vmcnt(46) lgkmcnt(6)
	v_mul_f64 v[98:99], v[54:55], v[10:11]
	v_fma_f64 v[2:3], v[18:19], v[2:3], -v[6:7]
	v_mul_f64 v[6:7], v[52:53], v[8:9]
	v_add_f64 v[94:95], v[94:95], v[96:97]
	v_add_f64 v[2:3], v[2:3], 0
	v_fma_f64 v[4:5], v[50:51], v[4:5], -v[6:7]
	s_waitcnt vmcnt(40) lgkmcnt(5)
	v_mul_f64 v[100:101], v[58:59], v[16:17]
	s_waitcnt lgkmcnt(4)
	v_mul_f64 v[102:103], v[62:63], v[12:13]
	v_add_f64 v[2:3], v[2:3], v[4:5]
	v_mul_f64 v[4:5], v[56:57], v[10:11]
	s_waitcnt vmcnt(36) lgkmcnt(3)
	v_mul_f64 v[104:105], v[66:67], v[116:117]
	v_fmac_f64_e32 v[102:103], v[64:65], v[14:15]
	s_waitcnt vmcnt(35) lgkmcnt(2)
	v_mul_f64 v[106:107], v[86:87], v[70:71]
	s_waitcnt vmcnt(33)
	v_fmac_f64_e32 v[98:99], v[56:57], v[118:119]
	v_add_f64 v[94:95], v[94:95], v[98:99]
	s_waitcnt vmcnt(31)
	v_fmac_f64_e32 v[100:101], v[60:61], v[120:121]
	v_add_f64 v[94:95], v[94:95], v[100:101]
	v_fma_f64 v[4:5], v[54:55], v[118:119], -v[4:5]
	s_waitcnt vmcnt(29)
	v_fmac_f64_e32 v[104:105], v[68:69], v[122:123]
	v_add_f64 v[94:95], v[94:95], v[102:103]
	v_add_f64 v[2:3], v[2:3], v[4:5]
	v_mul_f64 v[4:5], v[60:61], v[16:17]
	s_waitcnt vmcnt(28)
	v_fmac_f64_e32 v[106:107], v[88:89], v[114:115]
	v_add_f64 v[94:95], v[94:95], v[104:105]
	v_fma_f64 v[4:5], v[58:59], v[120:121], -v[4:5]
	v_add_f64 v[98:99], v[94:95], v[106:107]
	ds_read_b128 v[94:97], v85 offset:368
	s_waitcnt vmcnt(24) lgkmcnt(2)
	v_mul_f64 v[100:101], v[90:91], v[128:129]
	v_add_f64 v[2:3], v[2:3], v[4:5]
	v_mul_f64 v[4:5], v[64:65], v[12:13]
	s_waitcnt vmcnt(22)
	v_fmac_f64_e32 v[100:101], v[92:93], v[130:131]
	v_fma_f64 v[4:5], v[62:63], v[14:15], -v[4:5]
	v_add_f64 v[102:103], v[98:99], v[100:101]
	ds_read_b128 v[98:101], v85 offset:384
	v_add_f64 v[2:3], v[2:3], v[4:5]
	v_mul_f64 v[4:5], v[68:69], v[116:117]
	v_fma_f64 v[4:5], v[66:67], v[122:123], -v[4:5]
	v_add_f64 v[2:3], v[2:3], v[4:5]
	v_mul_f64 v[4:5], v[88:89], v[70:71]
	s_waitcnt vmcnt(20) lgkmcnt(1)
	v_mul_f64 v[104:105], v[94:95], v[124:125]
	v_fma_f64 v[4:5], v[86:87], v[114:115], -v[4:5]
	v_fmac_f64_e32 v[104:105], v[96:97], v[126:127]
	v_add_f64 v[2:3], v[2:3], v[4:5]
	v_mul_f64 v[4:5], v[92:93], v[128:129]
	v_add_f64 v[106:107], v[102:103], v[104:105]
	ds_read_b128 v[102:105], v85 offset:400
	s_waitcnt vmcnt(16) lgkmcnt(1)
	v_mul_f64 v[108:109], v[98:99], v[136:137]
	v_fma_f64 v[4:5], v[90:91], v[130:131], -v[4:5]
	s_waitcnt vmcnt(14)
	v_fmac_f64_e32 v[108:109], v[100:101], v[138:139]
	v_add_f64 v[2:3], v[2:3], v[4:5]
	v_mul_f64 v[4:5], v[96:97], v[124:125]
	v_add_f64 v[152:153], v[106:107], v[108:109]
	ds_read_b128 v[106:109], v85 offset:416
	v_fma_f64 v[4:5], v[94:95], v[126:127], -v[4:5]
	v_add_f64 v[2:3], v[2:3], v[4:5]
	v_mul_f64 v[4:5], v[100:101], v[136:137]
	v_fma_f64 v[4:5], v[98:99], v[138:139], -v[4:5]
	v_add_f64 v[2:3], v[2:3], v[4:5]
	s_waitcnt vmcnt(12) lgkmcnt(1)
	v_mul_f64 v[4:5], v[104:105], v[132:133]
	v_mul_f64 v[154:155], v[102:103], v[132:133]
	v_fma_f64 v[4:5], v[102:103], v[134:135], -v[4:5]
	v_fmac_f64_e32 v[154:155], v[104:105], v[134:135]
	v_add_f64 v[2:3], v[2:3], v[4:5]
	s_waitcnt vmcnt(8) lgkmcnt(0)
	v_mul_f64 v[4:5], v[108:109], v[144:145]
	v_add_f64 v[152:153], v[152:153], v[154:155]
	v_mul_f64 v[154:155], v[106:107], v[144:145]
	s_waitcnt vmcnt(6)
	v_fma_f64 v[4:5], v[106:107], v[146:147], -v[4:5]
	v_fmac_f64_e32 v[154:155], v[108:109], v[146:147]
	v_add_f64 v[2:3], v[2:3], v[4:5]
	s_waitcnt vmcnt(5)
	v_mul_f64 v[4:5], v[112:113], v[140:141]
	v_add_f64 v[152:153], v[152:153], v[154:155]
	v_mul_f64 v[154:155], v[110:111], v[140:141]
	s_waitcnt vmcnt(4)
	v_fma_f64 v[4:5], v[110:111], v[142:143], -v[4:5]
	v_fmac_f64_e32 v[154:155], v[112:113], v[142:143]
	v_add_f64 v[2:3], v[2:3], v[4:5]
	v_add_f64 v[152:153], v[152:153], v[154:155]
	s_waitcnt vmcnt(2)
	v_add_f64 v[2:3], v[148:149], -v[2:3]
	s_waitcnt vmcnt(0)
	v_add_f64 v[4:5], v[150:151], -v[152:153]
	buffer_store_dword v3, off, s[0:3], 0 offset:4
	buffer_store_dword v2, off, s[0:3], 0
	buffer_store_dword v5, off, s[0:3], 0 offset:12
	buffer_store_dword v4, off, s[0:3], 0 offset:8
	s_cbranch_vccz .LBB77_125
; %bb.98:
	v_pk_mov_b32 v[2:3], s[16:17], s[16:17] op_sel:[0,1]
	flat_load_dword v2, v[2:3] offset:48
	s_load_dwordx2 s[4:5], s[4:5], 0x4
	v_bfe_u32 v4, v0, 10, 10
	v_bfe_u32 v0, v0, 20, 10
	s_waitcnt lgkmcnt(0)
	s_lshr_b32 s4, s4, 16
	s_mul_i32 s4, s4, s5
	v_mul_u32_u24_e32 v3, s4, v84
	v_mul_u32_u24_e32 v4, s5, v4
	v_add3_u32 v0, v3, v4, v0
	v_mov_b32_e32 v3, 0x1c8
	v_lshl_add_u32 v0, v0, 4, v3
	s_waitcnt vmcnt(0)
	v_add_u32_e32 v2, -1, v2
	v_cmp_ne_u32_e32 vcc, 12, v2
	s_and_saveexec_b64 s[4:5], vcc
	s_cbranch_execz .LBB77_100
; %bb.99:
	v_mov_b32_e32 v3, 0
	v_lshl_add_u32 v6, v2, 4, v3
	buffer_load_dword v2, v72, s[0:3], 0 offen
	buffer_load_dword v3, v72, s[0:3], 0 offen offset:4
	buffer_load_dword v4, v72, s[0:3], 0 offen offset:8
	buffer_load_dword v5, v72, s[0:3], 0 offen offset:12
	buffer_load_dword v7, v6, s[0:3], 0 offen
	buffer_load_dword v8, v6, s[0:3], 0 offen offset:4
	buffer_load_dword v9, v6, s[0:3], 0 offen offset:8
	buffer_load_dword v10, v6, s[0:3], 0 offen offset:12
	s_waitcnt vmcnt(4)
	ds_write2_b64 v0, v[2:3], v[4:5] offset1:1
	s_waitcnt vmcnt(3)
	buffer_store_dword v7, v72, s[0:3], 0 offen
	s_waitcnt vmcnt(3)
	buffer_store_dword v8, v72, s[0:3], 0 offen offset:4
	s_waitcnt vmcnt(3)
	buffer_store_dword v9, v72, s[0:3], 0 offen offset:8
	s_waitcnt vmcnt(3)
	buffer_store_dword v10, v72, s[0:3], 0 offen offset:12
	buffer_store_dword v5, v6, s[0:3], 0 offen offset:12
	buffer_store_dword v4, v6, s[0:3], 0 offen offset:8
	buffer_store_dword v3, v6, s[0:3], 0 offen offset:4
	buffer_store_dword v2, v6, s[0:3], 0 offen
.LBB77_100:
	s_or_b64 exec, exec, s[4:5]
	v_pk_mov_b32 v[2:3], s[16:17], s[16:17] op_sel:[0,1]
	flat_load_dword v2, v[2:3] offset:44
	s_waitcnt vmcnt(0) lgkmcnt(0)
	v_add_u32_e32 v2, -1, v2
	v_cmp_ne_u32_e32 vcc, 11, v2
	s_and_saveexec_b64 s[4:5], vcc
	s_cbranch_execz .LBB77_102
; %bb.101:
	v_mov_b32_e32 v3, 0
	v_lshl_add_u32 v6, v2, 4, v3
	buffer_load_dword v2, v1, s[0:3], 0 offen
	buffer_load_dword v3, v1, s[0:3], 0 offen offset:4
	buffer_load_dword v4, v1, s[0:3], 0 offen offset:8
	buffer_load_dword v5, v1, s[0:3], 0 offen offset:12
	buffer_load_dword v7, v6, s[0:3], 0 offen
	buffer_load_dword v8, v6, s[0:3], 0 offen offset:4
	buffer_load_dword v9, v6, s[0:3], 0 offen offset:8
	buffer_load_dword v10, v6, s[0:3], 0 offen offset:12
	s_waitcnt vmcnt(4)
	ds_write2_b64 v0, v[2:3], v[4:5] offset1:1
	s_waitcnt vmcnt(3)
	buffer_store_dword v7, v1, s[0:3], 0 offen
	s_waitcnt vmcnt(3)
	buffer_store_dword v8, v1, s[0:3], 0 offen offset:4
	s_waitcnt vmcnt(3)
	buffer_store_dword v9, v1, s[0:3], 0 offen offset:8
	s_waitcnt vmcnt(3)
	buffer_store_dword v10, v1, s[0:3], 0 offen offset:12
	buffer_store_dword v5, v6, s[0:3], 0 offen offset:12
	buffer_store_dword v4, v6, s[0:3], 0 offen offset:8
	buffer_store_dword v3, v6, s[0:3], 0 offen offset:4
	buffer_store_dword v2, v6, s[0:3], 0 offen
.LBB77_102:
	s_or_b64 exec, exec, s[4:5]
	v_pk_mov_b32 v[2:3], s[16:17], s[16:17] op_sel:[0,1]
	flat_load_dword v2, v[2:3] offset:40
	s_waitcnt vmcnt(0) lgkmcnt(0)
	;; [unrolled: 34-line block ×11, first 2 shown]
	v_add_u32_e32 v2, -1, v2
	v_cmp_ne_u32_e32 vcc, 1, v2
	s_and_saveexec_b64 s[4:5], vcc
	s_cbranch_execz .LBB77_122
; %bb.121:
	v_mov_b32_e32 v3, 0
	v_lshl_add_u32 v6, v2, 4, v3
	buffer_load_dword v2, v81, s[0:3], 0 offen
	buffer_load_dword v3, v81, s[0:3], 0 offen offset:4
	buffer_load_dword v4, v81, s[0:3], 0 offen offset:8
	;; [unrolled: 1-line block ×3, first 2 shown]
	buffer_load_dword v7, v6, s[0:3], 0 offen
	buffer_load_dword v8, v6, s[0:3], 0 offen offset:4
	buffer_load_dword v9, v6, s[0:3], 0 offen offset:8
	;; [unrolled: 1-line block ×3, first 2 shown]
	s_waitcnt vmcnt(4)
	ds_write2_b64 v0, v[2:3], v[4:5] offset1:1
	s_waitcnt vmcnt(3)
	buffer_store_dword v7, v81, s[0:3], 0 offen
	s_waitcnt vmcnt(3)
	buffer_store_dword v8, v81, s[0:3], 0 offen offset:4
	s_waitcnt vmcnt(3)
	buffer_store_dword v9, v81, s[0:3], 0 offen offset:8
	;; [unrolled: 2-line block ×3, first 2 shown]
	buffer_store_dword v5, v6, s[0:3], 0 offen offset:12
	buffer_store_dword v4, v6, s[0:3], 0 offen offset:8
	;; [unrolled: 1-line block ×3, first 2 shown]
	buffer_store_dword v2, v6, s[0:3], 0 offen
.LBB77_122:
	s_or_b64 exec, exec, s[4:5]
	v_pk_mov_b32 v[2:3], s[16:17], s[16:17] op_sel:[0,1]
	flat_load_dword v2, v[2:3]
	s_waitcnt vmcnt(0) lgkmcnt(0)
	v_add_u32_e32 v2, -1, v2
	v_cmp_ne_u32_e32 vcc, 0, v2
	s_and_saveexec_b64 s[4:5], vcc
	s_cbranch_execz .LBB77_124
; %bb.123:
	v_mov_b32_e32 v3, 0
	v_lshl_add_u32 v6, v2, 4, v3
	buffer_load_dword v2, off, s[0:3], 0
	buffer_load_dword v3, off, s[0:3], 0 offset:4
	buffer_load_dword v4, off, s[0:3], 0 offset:8
	;; [unrolled: 1-line block ×3, first 2 shown]
	buffer_load_dword v7, v6, s[0:3], 0 offen
	buffer_load_dword v8, v6, s[0:3], 0 offen offset:4
	buffer_load_dword v9, v6, s[0:3], 0 offen offset:8
	;; [unrolled: 1-line block ×3, first 2 shown]
	s_waitcnt vmcnt(4)
	ds_write2_b64 v0, v[2:3], v[4:5] offset1:1
	s_waitcnt vmcnt(3)
	buffer_store_dword v7, off, s[0:3], 0
	s_waitcnt vmcnt(3)
	buffer_store_dword v8, off, s[0:3], 0 offset:4
	s_waitcnt vmcnt(3)
	buffer_store_dword v9, off, s[0:3], 0 offset:8
	;; [unrolled: 2-line block ×3, first 2 shown]
	buffer_store_dword v5, v6, s[0:3], 0 offen offset:12
	buffer_store_dword v4, v6, s[0:3], 0 offen offset:8
	;; [unrolled: 1-line block ×3, first 2 shown]
	buffer_store_dword v2, v6, s[0:3], 0 offen
.LBB77_124:
	s_or_b64 exec, exec, s[4:5]
.LBB77_125:
	buffer_load_dword v2, off, s[0:3], 0
	buffer_load_dword v3, off, s[0:3], 0 offset:4
	buffer_load_dword v4, off, s[0:3], 0 offset:8
	;; [unrolled: 1-line block ×3, first 2 shown]
	buffer_load_dword v7, v81, s[0:3], 0 offen offset:4
	buffer_load_dword v8, v81, s[0:3], 0 offen offset:8
	;; [unrolled: 1-line block ×3, first 2 shown]
	buffer_load_dword v10, v83, s[0:3], 0 offen
	buffer_load_dword v11, v83, s[0:3], 0 offen offset:4
	buffer_load_dword v12, v83, s[0:3], 0 offen offset:8
	buffer_load_dword v6, v81, s[0:3], 0 offen
	buffer_load_dword v13, v83, s[0:3], 0 offen offset:12
	buffer_load_dword v15, v82, s[0:3], 0 offen offset:4
	;; [unrolled: 1-line block ×4, first 2 shown]
	buffer_load_dword v18, v79, s[0:3], 0 offen
	buffer_load_dword v19, v79, s[0:3], 0 offen offset:4
	buffer_load_dword v20, v79, s[0:3], 0 offen offset:8
	buffer_load_dword v14, v82, s[0:3], 0 offen
                                        ; kill: killed $vgpr83
                                        ; kill: killed $vgpr81
                                        ; kill: killed $vgpr82
	buffer_load_dword v21, v79, s[0:3], 0 offen offset:12
	buffer_load_dword v51, v78, s[0:3], 0 offen offset:4
	;; [unrolled: 1-line block ×4, first 2 shown]
	buffer_load_dword v54, v80, s[0:3], 0 offen
	buffer_load_dword v55, v80, s[0:3], 0 offen offset:4
	buffer_load_dword v56, v80, s[0:3], 0 offen offset:8
	buffer_load_dword v50, v78, s[0:3], 0 offen
	buffer_load_dword v57, v80, s[0:3], 0 offen offset:12
	buffer_load_dword v59, v74, s[0:3], 0 offen offset:4
	;; [unrolled: 1-line block ×4, first 2 shown]
	buffer_load_dword v62, v73, s[0:3], 0 offen
	buffer_load_dword v63, v73, s[0:3], 0 offen offset:4
	buffer_load_dword v64, v73, s[0:3], 0 offen offset:8
                                        ; kill: killed $vgpr79
                                        ; kill: killed $vgpr80
                                        ; kill: killed $vgpr78
	buffer_load_dword v58, v74, s[0:3], 0 offen
	buffer_load_dword v65, v73, s[0:3], 0 offen offset:12
	buffer_load_dword v67, v75, s[0:3], 0 offen offset:4
	;; [unrolled: 1-line block ×4, first 2 shown]
	buffer_load_dword v78, v76, s[0:3], 0 offen
	buffer_load_dword v79, v76, s[0:3], 0 offen offset:4
	buffer_load_dword v80, v76, s[0:3], 0 offen offset:8
	buffer_load_dword v66, v75, s[0:3], 0 offen
	buffer_load_dword v81, v76, s[0:3], 0 offen offset:12
	buffer_load_dword v83, v1, s[0:3], 0 offen offset:4
	;; [unrolled: 1-line block ×4, first 2 shown]
	buffer_load_dword v86, v72, s[0:3], 0 offen
	buffer_load_dword v87, v72, s[0:3], 0 offen offset:4
                                        ; kill: killed $vgpr74
                                        ; kill: killed $vgpr75
                                        ; kill: killed $vgpr73
                                        ; kill: killed $vgpr76
	buffer_load_dword v88, v72, s[0:3], 0 offen offset:8
	buffer_load_dword v82, v1, s[0:3], 0 offen
	buffer_load_dword v89, v72, s[0:3], 0 offen offset:12
	buffer_load_dword v90, v77, s[0:3], 0 offen
	buffer_load_dword v91, v77, s[0:3], 0 offen offset:4
	buffer_load_dword v92, v77, s[0:3], 0 offen offset:8
	;; [unrolled: 1-line block ×3, first 2 shown]
	s_waitcnt vmcnt(52)
	global_store_dwordx4 v[22:23], v[2:5], off
	s_waitcnt vmcnt(46)
	global_store_dwordx4 v[24:25], v[6:9], off
	;; [unrolled: 2-line block ×14, first 2 shown]
	s_endpgm
	.section	.rodata,"a",@progbits
	.p2align	6, 0x0
	.amdhsa_kernel _ZN9rocsolver6v33100L18getri_kernel_smallILi14E19rocblas_complex_numIdEPKPS3_EEvT1_iilPiilS8_bb
		.amdhsa_group_segment_fixed_size 1480
		.amdhsa_private_segment_fixed_size 240
		.amdhsa_kernarg_size 60
		.amdhsa_user_sgpr_count 10
		.amdhsa_user_sgpr_private_segment_buffer 1
		.amdhsa_user_sgpr_dispatch_ptr 1
		.amdhsa_user_sgpr_queue_ptr 0
		.amdhsa_user_sgpr_kernarg_segment_ptr 1
		.amdhsa_user_sgpr_dispatch_id 0
		.amdhsa_user_sgpr_flat_scratch_init 1
		.amdhsa_user_sgpr_kernarg_preload_length 0
		.amdhsa_user_sgpr_kernarg_preload_offset 0
		.amdhsa_user_sgpr_private_segment_size 0
		.amdhsa_uses_dynamic_stack 0
		.amdhsa_system_sgpr_private_segment_wavefront_offset 1
		.amdhsa_system_sgpr_workgroup_id_x 1
		.amdhsa_system_sgpr_workgroup_id_y 0
		.amdhsa_system_sgpr_workgroup_id_z 0
		.amdhsa_system_sgpr_workgroup_info 0
		.amdhsa_system_vgpr_workitem_id 2
		.amdhsa_next_free_vgpr 158
		.amdhsa_next_free_sgpr 24
		.amdhsa_accum_offset 160
		.amdhsa_reserve_vcc 1
		.amdhsa_reserve_flat_scratch 1
		.amdhsa_float_round_mode_32 0
		.amdhsa_float_round_mode_16_64 0
		.amdhsa_float_denorm_mode_32 3
		.amdhsa_float_denorm_mode_16_64 3
		.amdhsa_dx10_clamp 1
		.amdhsa_ieee_mode 1
		.amdhsa_fp16_overflow 0
		.amdhsa_tg_split 0
		.amdhsa_exception_fp_ieee_invalid_op 0
		.amdhsa_exception_fp_denorm_src 0
		.amdhsa_exception_fp_ieee_div_zero 0
		.amdhsa_exception_fp_ieee_overflow 0
		.amdhsa_exception_fp_ieee_underflow 0
		.amdhsa_exception_fp_ieee_inexact 0
		.amdhsa_exception_int_div_zero 0
	.end_amdhsa_kernel
	.section	.text._ZN9rocsolver6v33100L18getri_kernel_smallILi14E19rocblas_complex_numIdEPKPS3_EEvT1_iilPiilS8_bb,"axG",@progbits,_ZN9rocsolver6v33100L18getri_kernel_smallILi14E19rocblas_complex_numIdEPKPS3_EEvT1_iilPiilS8_bb,comdat
.Lfunc_end77:
	.size	_ZN9rocsolver6v33100L18getri_kernel_smallILi14E19rocblas_complex_numIdEPKPS3_EEvT1_iilPiilS8_bb, .Lfunc_end77-_ZN9rocsolver6v33100L18getri_kernel_smallILi14E19rocblas_complex_numIdEPKPS3_EEvT1_iilPiilS8_bb
                                        ; -- End function
	.section	.AMDGPU.csdata,"",@progbits
; Kernel info:
; codeLenInByte = 20308
; NumSgprs: 30
; NumVgprs: 158
; NumAgprs: 0
; TotalNumVgprs: 158
; ScratchSize: 240
; MemoryBound: 0
; FloatMode: 240
; IeeeMode: 1
; LDSByteSize: 1480 bytes/workgroup (compile time only)
; SGPRBlocks: 3
; VGPRBlocks: 19
; NumSGPRsForWavesPerEU: 30
; NumVGPRsForWavesPerEU: 158
; AccumOffset: 160
; Occupancy: 3
; WaveLimiterHint : 1
; COMPUTE_PGM_RSRC2:SCRATCH_EN: 1
; COMPUTE_PGM_RSRC2:USER_SGPR: 10
; COMPUTE_PGM_RSRC2:TRAP_HANDLER: 0
; COMPUTE_PGM_RSRC2:TGID_X_EN: 1
; COMPUTE_PGM_RSRC2:TGID_Y_EN: 0
; COMPUTE_PGM_RSRC2:TGID_Z_EN: 0
; COMPUTE_PGM_RSRC2:TIDIG_COMP_CNT: 2
; COMPUTE_PGM_RSRC3_GFX90A:ACCUM_OFFSET: 39
; COMPUTE_PGM_RSRC3_GFX90A:TG_SPLIT: 0
	.section	.text._ZN9rocsolver6v33100L18getri_kernel_smallILi15E19rocblas_complex_numIdEPKPS3_EEvT1_iilPiilS8_bb,"axG",@progbits,_ZN9rocsolver6v33100L18getri_kernel_smallILi15E19rocblas_complex_numIdEPKPS3_EEvT1_iilPiilS8_bb,comdat
	.globl	_ZN9rocsolver6v33100L18getri_kernel_smallILi15E19rocblas_complex_numIdEPKPS3_EEvT1_iilPiilS8_bb ; -- Begin function _ZN9rocsolver6v33100L18getri_kernel_smallILi15E19rocblas_complex_numIdEPKPS3_EEvT1_iilPiilS8_bb
	.p2align	8
	.type	_ZN9rocsolver6v33100L18getri_kernel_smallILi15E19rocblas_complex_numIdEPKPS3_EEvT1_iilPiilS8_bb,@function
_ZN9rocsolver6v33100L18getri_kernel_smallILi15E19rocblas_complex_numIdEPKPS3_EEvT1_iilPiilS8_bb: ; @_ZN9rocsolver6v33100L18getri_kernel_smallILi15E19rocblas_complex_numIdEPKPS3_EEvT1_iilPiilS8_bb
; %bb.0:
	s_add_u32 flat_scratch_lo, s8, s11
	s_addc_u32 flat_scratch_hi, s9, 0
	s_add_u32 s0, s0, s11
	v_and_b32_e32 v67, 0x3ff, v0
	s_addc_u32 s1, s1, 0
	v_cmp_gt_u32_e32 vcc, 15, v67
	s_and_saveexec_b64 s[8:9], vcc
	s_cbranch_execz .LBB78_74
; %bb.1:
	s_load_dword s20, s[6:7], 0x38
	s_load_dwordx2 s[8:9], s[6:7], 0x0
	s_load_dwordx4 s[12:15], s[6:7], 0x28
	s_waitcnt lgkmcnt(0)
	s_bitcmp1_b32 s20, 8
	s_cselect_b64 s[18:19], -1, 0
	s_ashr_i32 s11, s10, 31
	s_lshl_b64 s[16:17], s[10:11], 3
	s_add_u32 s8, s8, s16
	s_addc_u32 s9, s9, s17
	s_load_dwordx2 s[8:9], s[8:9], 0x0
	s_bfe_u32 s16, s20, 0x10008
	s_cmp_eq_u32 s16, 0
                                        ; implicit-def: $sgpr16_sgpr17
	s_cbranch_scc1 .LBB78_3
; %bb.2:
	s_load_dword s16, s[6:7], 0x20
	s_load_dwordx2 s[22:23], s[6:7], 0x18
	s_mul_i32 s13, s10, s13
	s_mul_hi_u32 s17, s10, s12
	s_add_i32 s13, s17, s13
	s_mul_i32 s21, s11, s12
	s_add_i32 s13, s13, s21
	s_mul_i32 s12, s10, s12
	s_waitcnt lgkmcnt(0)
	s_ashr_i32 s17, s16, 31
	s_lshl_b64 s[12:13], s[12:13], 2
	s_add_u32 s21, s22, s12
	s_addc_u32 s22, s23, s13
	s_lshl_b64 s[12:13], s[16:17], 2
	s_add_u32 s16, s21, s12
	s_addc_u32 s17, s22, s13
.LBB78_3:
	s_load_dwordx2 s[6:7], s[6:7], 0x8
	v_lshlrev_b32_e32 v12, 4, v67
	s_waitcnt lgkmcnt(0)
	s_ashr_i32 s13, s6, 31
	s_mov_b32 s12, s6
	s_lshl_b64 s[12:13], s[12:13], 4
	s_add_u32 s8, s8, s12
	s_addc_u32 s9, s9, s13
	v_mov_b32_e32 v1, s9
	v_add_co_u32_e32 v18, vcc, s8, v12
	s_ashr_i32 s13, s7, 31
	s_mov_b32 s12, s7
	s_add_i32 s6, s7, s7
	v_addc_co_u32_e32 v19, vcc, 0, v1, vcc
	s_lshl_b64 s[12:13], s[12:13], 4
	v_add_u32_e32 v10, s6, v67
	v_mov_b32_e32 v1, s13
	v_add_co_u32_e32 v20, vcc, s12, v18
	v_ashrrev_i32_e32 v11, 31, v10
	v_addc_co_u32_e32 v21, vcc, v19, v1, vcc
	v_lshlrev_b64 v[6:7], 4, v[10:11]
	v_add_u32_e32 v10, s7, v10
	v_mov_b32_e32 v1, s9
	v_add_co_u32_e32 v22, vcc, s8, v6
	v_ashrrev_i32_e32 v11, 31, v10
	v_addc_co_u32_e32 v23, vcc, v1, v7, vcc
	v_lshlrev_b64 v[24:25], 4, v[10:11]
	v_add_u32_e32 v10, s7, v10
	v_add_co_u32_e32 v24, vcc, s8, v24
	v_ashrrev_i32_e32 v11, 31, v10
	v_addc_co_u32_e32 v25, vcc, v1, v25, vcc
	v_lshlrev_b64 v[26:27], 4, v[10:11]
	v_add_u32_e32 v10, s7, v10
	;; [unrolled: 5-line block ×11, first 2 shown]
	v_add_co_u32_e32 v44, vcc, s8, v44
	v_ashrrev_i32_e32 v11, 31, v10
	v_addc_co_u32_e32 v45, vcc, v1, v45, vcc
	v_lshlrev_b64 v[10:11], 4, v[10:11]
	global_load_dwordx4 v[2:5], v12, s[8:9]
	global_load_dwordx4 v[6:9], v[20:21], off
	global_load_dwordx4 v[14:17], v[22:23], off
	;; [unrolled: 1-line block ×8, first 2 shown]
	v_add_co_u32_e32 v46, vcc, s8, v10
	v_addc_co_u32_e32 v47, vcc, v1, v11, vcc
	global_load_dwordx4 v[76:79], v[36:37], off
	global_load_dwordx4 v[80:83], v[38:39], off
	;; [unrolled: 1-line block ×6, first 2 shown]
	s_waitcnt vmcnt(14)
	buffer_store_dword v5, off, s[0:3], 0 offset:12
	buffer_store_dword v4, off, s[0:3], 0 offset:8
	buffer_store_dword v3, off, s[0:3], 0 offset:4
	buffer_store_dword v2, off, s[0:3], 0
	s_waitcnt vmcnt(17)
	buffer_store_dword v9, off, s[0:3], 0 offset:28
	buffer_store_dword v8, off, s[0:3], 0 offset:24
	buffer_store_dword v7, off, s[0:3], 0 offset:20
	buffer_store_dword v6, off, s[0:3], 0 offset:16
	s_waitcnt vmcnt(20)
	buffer_store_dword v17, off, s[0:3], 0 offset:44
	buffer_store_dword v16, off, s[0:3], 0 offset:40
	buffer_store_dword v15, off, s[0:3], 0 offset:36
	buffer_store_dword v14, off, s[0:3], 0 offset:32
	;; [unrolled: 5-line block ×8, first 2 shown]
	v_mov_b32_e32 v2, 0
	v_add_u32_e32 v64, 16, v2
	v_add_u32_e32 v66, 32, v2
	;; [unrolled: 1-line block ×14, first 2 shown]
	s_bitcmp0_b32 s20, 0
	s_mov_b64 s[8:9], -1
	s_waitcnt vmcnt(41)
	buffer_store_dword v76, off, s[0:3], 0 offset:144
	buffer_store_dword v77, off, s[0:3], 0 offset:148
	buffer_store_dword v78, off, s[0:3], 0 offset:152
	buffer_store_dword v79, off, s[0:3], 0 offset:156
	s_waitcnt vmcnt(44)
	buffer_store_dword v80, off, s[0:3], 0 offset:160
	buffer_store_dword v81, off, s[0:3], 0 offset:164
	buffer_store_dword v82, off, s[0:3], 0 offset:168
	buffer_store_dword v83, off, s[0:3], 0 offset:172
	;; [unrolled: 5-line block ×6, first 2 shown]
	s_cbranch_scc1 .LBB78_72
; %bb.4:
	v_cmp_eq_u32_e64 s[6:7], 0, v67
	s_and_saveexec_b64 s[8:9], s[6:7]
	s_cbranch_execz .LBB78_6
; %bb.5:
	v_mov_b32_e32 v2, 0
	ds_write_b32 v2, v2 offset:480
.LBB78_6:
	s_or_b64 exec, exec, s[8:9]
	v_mov_b32_e32 v2, 0
	v_lshl_add_u32 v13, v67, 4, v2
	s_waitcnt lgkmcnt(0)
	; wave barrier
	s_waitcnt lgkmcnt(0)
	buffer_load_dword v2, v13, s[0:3], 0 offen
	buffer_load_dword v3, v13, s[0:3], 0 offen offset:4
	buffer_load_dword v4, v13, s[0:3], 0 offen offset:8
	;; [unrolled: 1-line block ×3, first 2 shown]
	s_waitcnt vmcnt(2)
	v_cmp_eq_f64_e32 vcc, 0, v[2:3]
	s_waitcnt vmcnt(0)
	v_cmp_eq_f64_e64 s[8:9], 0, v[4:5]
	s_and_b64 s[8:9], vcc, s[8:9]
	s_and_saveexec_b64 s[12:13], s[8:9]
	s_cbranch_execz .LBB78_10
; %bb.7:
	v_mov_b32_e32 v2, 0
	ds_read_b32 v4, v2 offset:480
	v_add_u32_e32 v3, 1, v67
	s_waitcnt lgkmcnt(0)
	v_readfirstlane_b32 s8, v4
	s_cmp_eq_u32 s8, 0
	s_cselect_b64 s[20:21], -1, 0
	v_cmp_gt_i32_e32 vcc, s8, v3
	s_or_b64 s[20:21], s[20:21], vcc
	s_and_b64 exec, exec, s[20:21]
	s_cbranch_execz .LBB78_10
; %bb.8:
	s_mov_b64 s[20:21], 0
	v_mov_b32_e32 v4, s8
.LBB78_9:                               ; =>This Inner Loop Header: Depth=1
	ds_cmpst_rtn_b32 v4, v2, v4, v3 offset:480
	s_waitcnt lgkmcnt(0)
	v_cmp_ne_u32_e32 vcc, 0, v4
	v_cmp_le_i32_e64 s[8:9], v4, v3
	s_and_b64 s[8:9], vcc, s[8:9]
	s_and_b64 s[8:9], exec, s[8:9]
	s_or_b64 s[20:21], s[8:9], s[20:21]
	s_andn2_b64 exec, exec, s[20:21]
	s_cbranch_execnz .LBB78_9
.LBB78_10:
	s_or_b64 exec, exec, s[12:13]
	v_mov_b32_e32 v3, 0
	s_waitcnt lgkmcnt(0)
	; wave barrier
	ds_read_b32 v2, v3 offset:480
	s_and_saveexec_b64 s[8:9], s[6:7]
	s_cbranch_execz .LBB78_12
; %bb.11:
	s_lshl_b64 s[12:13], s[10:11], 2
	s_add_u32 s12, s14, s12
	s_addc_u32 s13, s15, s13
	s_waitcnt lgkmcnt(0)
	global_store_dword v3, v2, s[12:13]
.LBB78_12:
	s_or_b64 exec, exec, s[8:9]
	s_waitcnt lgkmcnt(0)
	v_cmp_ne_u32_e32 vcc, 0, v2
	s_mov_b64 s[8:9], 0
	s_cbranch_vccnz .LBB78_72
; %bb.13:
	buffer_load_dword v7, v13, s[0:3], 0 offen offset:4
	buffer_load_dword v6, v13, s[0:3], 0 offen
	buffer_load_dword v9, v13, s[0:3], 0 offen offset:12
	buffer_load_dword v8, v13, s[0:3], 0 offen offset:8
                                        ; implicit-def: $vgpr10_vgpr11
	s_waitcnt vmcnt(3)
	v_xor_b32_e32 v3, 0x80000000, v7
	s_waitcnt vmcnt(2)
	v_cmp_gt_f64_e32 vcc, 0, v[6:7]
	s_waitcnt vmcnt(1)
	v_xor_b32_e32 v4, 0x80000000, v9
	v_cndmask_b32_e32 v3, v7, v3, vcc
	s_waitcnt vmcnt(0)
	v_cmp_gt_f64_e32 vcc, 0, v[8:9]
	v_mov_b32_e32 v2, v6
	v_cndmask_b32_e32 v5, v9, v4, vcc
	v_mov_b32_e32 v4, v8
	v_cmp_ngt_f64_e32 vcc, v[2:3], v[4:5]
                                        ; implicit-def: $vgpr4_vgpr5
	s_and_saveexec_b64 s[8:9], vcc
	s_xor_b64 s[8:9], exec, s[8:9]
	s_cbranch_execz .LBB78_15
; %bb.14:
	v_div_scale_f64 v[2:3], s[12:13], v[8:9], v[8:9], v[6:7]
	v_rcp_f64_e32 v[4:5], v[2:3]
	v_div_scale_f64 v[10:11], vcc, v[6:7], v[8:9], v[6:7]
	v_fma_f64 v[14:15], -v[2:3], v[4:5], 1.0
	v_fmac_f64_e32 v[4:5], v[4:5], v[14:15]
	v_fma_f64 v[14:15], -v[2:3], v[4:5], 1.0
	v_fmac_f64_e32 v[4:5], v[4:5], v[14:15]
	v_mul_f64 v[14:15], v[10:11], v[4:5]
	v_fma_f64 v[2:3], -v[2:3], v[14:15], v[10:11]
	v_div_fmas_f64 v[2:3], v[2:3], v[4:5], v[14:15]
	v_div_fixup_f64 v[2:3], v[2:3], v[8:9], v[6:7]
	v_fmac_f64_e32 v[8:9], v[6:7], v[2:3]
	v_div_scale_f64 v[4:5], s[12:13], v[8:9], v[8:9], 1.0
	v_rcp_f64_e32 v[6:7], v[4:5]
	v_fma_f64 v[10:11], -v[4:5], v[6:7], 1.0
	v_fmac_f64_e32 v[6:7], v[6:7], v[10:11]
	v_fma_f64 v[10:11], -v[4:5], v[6:7], 1.0
	v_fmac_f64_e32 v[6:7], v[6:7], v[10:11]
	v_div_scale_f64 v[10:11], vcc, 1.0, v[8:9], 1.0
	v_mul_f64 v[14:15], v[10:11], v[6:7]
	v_fma_f64 v[4:5], -v[4:5], v[14:15], v[10:11]
	s_nop 1
	v_div_fmas_f64 v[4:5], v[4:5], v[6:7], v[14:15]
	v_div_fixup_f64 v[4:5], v[4:5], v[8:9], 1.0
	v_mul_f64 v[10:11], v[2:3], v[4:5]
	v_xor_b32_e32 v5, 0x80000000, v5
	v_xor_b32_e32 v3, 0x80000000, v11
	v_mov_b32_e32 v2, v10
                                        ; implicit-def: $vgpr6_vgpr7
                                        ; implicit-def: $vgpr8_vgpr9
.LBB78_15:
	s_andn2_saveexec_b64 s[8:9], s[8:9]
	s_cbranch_execz .LBB78_17
; %bb.16:
	v_div_scale_f64 v[2:3], s[12:13], v[6:7], v[6:7], v[8:9]
	v_rcp_f64_e32 v[4:5], v[2:3]
	v_div_scale_f64 v[10:11], vcc, v[8:9], v[6:7], v[8:9]
	v_fma_f64 v[14:15], -v[2:3], v[4:5], 1.0
	v_fmac_f64_e32 v[4:5], v[4:5], v[14:15]
	v_fma_f64 v[14:15], -v[2:3], v[4:5], 1.0
	v_fmac_f64_e32 v[4:5], v[4:5], v[14:15]
	v_mul_f64 v[14:15], v[10:11], v[4:5]
	v_fma_f64 v[2:3], -v[2:3], v[14:15], v[10:11]
	v_div_fmas_f64 v[2:3], v[2:3], v[4:5], v[14:15]
	v_div_fixup_f64 v[4:5], v[2:3], v[6:7], v[8:9]
	v_fmac_f64_e32 v[6:7], v[8:9], v[4:5]
	v_div_scale_f64 v[2:3], s[12:13], v[6:7], v[6:7], 1.0
	v_rcp_f64_e32 v[8:9], v[2:3]
	v_fma_f64 v[10:11], -v[2:3], v[8:9], 1.0
	v_fmac_f64_e32 v[8:9], v[8:9], v[10:11]
	v_fma_f64 v[10:11], -v[2:3], v[8:9], 1.0
	v_fmac_f64_e32 v[8:9], v[8:9], v[10:11]
	v_div_scale_f64 v[10:11], vcc, 1.0, v[6:7], 1.0
	v_mul_f64 v[14:15], v[10:11], v[8:9]
	v_fma_f64 v[2:3], -v[2:3], v[14:15], v[10:11]
	s_nop 1
	v_div_fmas_f64 v[2:3], v[2:3], v[8:9], v[14:15]
	v_div_fixup_f64 v[10:11], v[2:3], v[6:7], 1.0
	v_xor_b32_e32 v3, 0x80000000, v11
	v_mov_b32_e32 v2, v10
	v_mul_f64 v[4:5], v[4:5], -v[10:11]
.LBB78_17:
	s_or_b64 exec, exec, s[8:9]
	buffer_store_dword v11, v13, s[0:3], 0 offen offset:4
	buffer_store_dword v10, v13, s[0:3], 0 offen
	buffer_store_dword v5, v13, s[0:3], 0 offen offset:12
	buffer_store_dword v4, v13, s[0:3], 0 offen offset:8
	buffer_load_dword v11, v64, s[0:3], 0 offen offset:12
	s_nop 0
	buffer_load_dword v10, v64, s[0:3], 0 offen offset:8
	buffer_load_dword v9, v64, s[0:3], 0 offen offset:4
	buffer_load_dword v8, v64, s[0:3], 0 offen
	v_xor_b32_e32 v5, 0x80000000, v5
	v_add_u32_e32 v6, 0xf0, v12
	ds_write_b128 v12, v[2:5]
	s_waitcnt vmcnt(0)
	ds_write_b128 v12, v[8:11] offset:240
	s_waitcnt lgkmcnt(0)
	; wave barrier
	s_waitcnt lgkmcnt(0)
	s_and_saveexec_b64 s[8:9], s[6:7]
	s_cbranch_execz .LBB78_19
; %bb.18:
	buffer_load_dword v14, v13, s[0:3], 0 offen offset:8
	buffer_load_dword v15, v13, s[0:3], 0 offen offset:12
	buffer_load_dword v16, v13, s[0:3], 0 offen
	buffer_load_dword v17, v13, s[0:3], 0 offen offset:4
	ds_read_b128 v[2:5], v6
	v_mov_b32_e32 v7, 0
	ds_read_b128 v[8:11], v7 offset:16
	s_waitcnt vmcnt(2) lgkmcnt(1)
	v_mul_f64 v[48:49], v[4:5], v[14:15]
	v_mul_f64 v[14:15], v[2:3], v[14:15]
	s_waitcnt vmcnt(0)
	v_fmac_f64_e32 v[14:15], v[4:5], v[16:17]
	v_fma_f64 v[2:3], v[2:3], v[16:17], -v[48:49]
	v_add_f64 v[4:5], v[14:15], 0
	v_add_f64 v[2:3], v[2:3], 0
	s_waitcnt lgkmcnt(0)
	v_mul_f64 v[14:15], v[4:5], v[10:11]
	v_mul_f64 v[10:11], v[2:3], v[10:11]
	v_fma_f64 v[2:3], v[2:3], v[8:9], -v[14:15]
	v_fmac_f64_e32 v[10:11], v[4:5], v[8:9]
	buffer_store_dword v2, off, s[0:3], 0 offset:16
	buffer_store_dword v3, off, s[0:3], 0 offset:20
	;; [unrolled: 1-line block ×4, first 2 shown]
.LBB78_19:
	s_or_b64 exec, exec, s[8:9]
	s_waitcnt lgkmcnt(0)
	; wave barrier
	buffer_load_dword v2, v66, s[0:3], 0 offen
	buffer_load_dword v3, v66, s[0:3], 0 offen offset:4
	buffer_load_dword v4, v66, s[0:3], 0 offen offset:8
	buffer_load_dword v5, v66, s[0:3], 0 offen offset:12
	v_cmp_gt_u32_e32 vcc, 2, v67
	s_waitcnt vmcnt(0)
	ds_write_b128 v6, v[2:5]
	s_waitcnt lgkmcnt(0)
	; wave barrier
	s_waitcnt lgkmcnt(0)
	s_and_saveexec_b64 s[8:9], vcc
	s_cbranch_execz .LBB78_23
; %bb.20:
	buffer_load_dword v8, v13, s[0:3], 0 offen offset:8
	buffer_load_dword v9, v13, s[0:3], 0 offen offset:12
	buffer_load_dword v10, v13, s[0:3], 0 offen
	buffer_load_dword v11, v13, s[0:3], 0 offen offset:4
	ds_read_b128 v[2:5], v6
	s_waitcnt vmcnt(2) lgkmcnt(0)
	v_mul_f64 v[14:15], v[4:5], v[8:9]
	v_mul_f64 v[8:9], v[2:3], v[8:9]
	s_waitcnt vmcnt(0)
	v_fma_f64 v[2:3], v[2:3], v[10:11], -v[14:15]
	v_fmac_f64_e32 v[8:9], v[4:5], v[10:11]
	v_add_f64 v[4:5], v[2:3], 0
	v_add_f64 v[2:3], v[8:9], 0
	s_and_saveexec_b64 s[12:13], s[6:7]
	s_cbranch_execz .LBB78_22
; %bb.21:
	buffer_load_dword v14, off, s[0:3], 0 offset:24
	buffer_load_dword v15, off, s[0:3], 0 offset:28
	;; [unrolled: 1-line block ×4, first 2 shown]
	v_mov_b32_e32 v7, 0
	ds_read_b128 v[8:11], v7 offset:256
	s_waitcnt vmcnt(2) lgkmcnt(0)
	v_mul_f64 v[48:49], v[8:9], v[14:15]
	v_mul_f64 v[14:15], v[10:11], v[14:15]
	s_waitcnt vmcnt(0)
	v_fmac_f64_e32 v[48:49], v[10:11], v[16:17]
	v_fma_f64 v[8:9], v[8:9], v[16:17], -v[14:15]
	v_add_f64 v[2:3], v[2:3], v[48:49]
	v_add_f64 v[4:5], v[4:5], v[8:9]
.LBB78_22:
	s_or_b64 exec, exec, s[12:13]
	v_mov_b32_e32 v7, 0
	ds_read_b128 v[8:11], v7 offset:32
	s_waitcnt lgkmcnt(0)
	v_mul_f64 v[14:15], v[2:3], v[10:11]
	v_mul_f64 v[10:11], v[4:5], v[10:11]
	v_fma_f64 v[4:5], v[4:5], v[8:9], -v[14:15]
	v_fmac_f64_e32 v[10:11], v[2:3], v[8:9]
	buffer_store_dword v5, off, s[0:3], 0 offset:36
	buffer_store_dword v4, off, s[0:3], 0 offset:32
	;; [unrolled: 1-line block ×4, first 2 shown]
.LBB78_23:
	s_or_b64 exec, exec, s[8:9]
	s_waitcnt lgkmcnt(0)
	; wave barrier
	buffer_load_dword v2, v65, s[0:3], 0 offen
	buffer_load_dword v3, v65, s[0:3], 0 offen offset:4
	buffer_load_dword v4, v65, s[0:3], 0 offen offset:8
	;; [unrolled: 1-line block ×3, first 2 shown]
	v_cmp_gt_u32_e32 vcc, 3, v67
	v_add_u32_e32 v7, -1, v67
	s_waitcnt vmcnt(0)
	ds_write_b128 v6, v[2:5]
	s_waitcnt lgkmcnt(0)
	; wave barrier
	s_waitcnt lgkmcnt(0)
	s_and_saveexec_b64 s[6:7], vcc
	s_cbranch_execz .LBB78_27
; %bb.24:
	v_pk_mov_b32 v[2:3], 0, 0
	v_add_u32_e32 v8, -1, v67
	v_add_u32_e32 v9, 0xf0, v12
	v_add_u32_e32 v10, 0, v12
	s_mov_b64 s[8:9], 0
	v_pk_mov_b32 v[4:5], v[2:3], v[2:3] op_sel:[0,1]
.LBB78_25:                              ; =>This Inner Loop Header: Depth=1
	buffer_load_dword v48, v10, s[0:3], 0 offen offset:8
	buffer_load_dword v49, v10, s[0:3], 0 offen offset:12
	buffer_load_dword v50, v10, s[0:3], 0 offen
	buffer_load_dword v51, v10, s[0:3], 0 offen offset:4
	ds_read_b128 v[14:17], v9
	v_add_u32_e32 v8, 1, v8
	v_cmp_lt_u32_e32 vcc, 1, v8
	v_add_u32_e32 v9, 16, v9
	v_add_u32_e32 v10, 16, v10
	s_or_b64 s[8:9], vcc, s[8:9]
	s_waitcnt vmcnt(2) lgkmcnt(0)
	v_mul_f64 v[52:53], v[16:17], v[48:49]
	v_mul_f64 v[48:49], v[14:15], v[48:49]
	s_waitcnt vmcnt(0)
	v_fma_f64 v[14:15], v[14:15], v[50:51], -v[52:53]
	v_fmac_f64_e32 v[48:49], v[16:17], v[50:51]
	v_add_f64 v[4:5], v[4:5], v[14:15]
	v_add_f64 v[2:3], v[2:3], v[48:49]
	s_andn2_b64 exec, exec, s[8:9]
	s_cbranch_execnz .LBB78_25
; %bb.26:
	s_or_b64 exec, exec, s[8:9]
	v_mov_b32_e32 v8, 0
	ds_read_b128 v[8:11], v8 offset:48
	s_waitcnt lgkmcnt(0)
	v_mul_f64 v[14:15], v[2:3], v[10:11]
	v_mul_f64 v[10:11], v[4:5], v[10:11]
	v_fma_f64 v[4:5], v[4:5], v[8:9], -v[14:15]
	v_fmac_f64_e32 v[10:11], v[2:3], v[8:9]
	buffer_store_dword v5, off, s[0:3], 0 offset:52
	buffer_store_dword v4, off, s[0:3], 0 offset:48
	buffer_store_dword v11, off, s[0:3], 0 offset:60
	buffer_store_dword v10, off, s[0:3], 0 offset:56
.LBB78_27:
	s_or_b64 exec, exec, s[6:7]
	s_waitcnt lgkmcnt(0)
	; wave barrier
	buffer_load_dword v2, v60, s[0:3], 0 offen
	buffer_load_dword v3, v60, s[0:3], 0 offen offset:4
	buffer_load_dword v4, v60, s[0:3], 0 offen offset:8
	buffer_load_dword v5, v60, s[0:3], 0 offen offset:12
	v_cmp_gt_u32_e32 vcc, 4, v67
	s_waitcnt vmcnt(0)
	ds_write_b128 v6, v[2:5]
	s_waitcnt lgkmcnt(0)
	; wave barrier
	s_waitcnt lgkmcnt(0)
	s_and_saveexec_b64 s[6:7], vcc
	s_cbranch_execz .LBB78_31
; %bb.28:
	v_pk_mov_b32 v[2:3], 0, 0
	v_add_u32_e32 v8, -1, v67
	v_add_u32_e32 v9, 0xf0, v12
	v_add_u32_e32 v10, 0, v12
	s_mov_b64 s[8:9], 0
	v_pk_mov_b32 v[4:5], v[2:3], v[2:3] op_sel:[0,1]
.LBB78_29:                              ; =>This Inner Loop Header: Depth=1
	buffer_load_dword v48, v10, s[0:3], 0 offen offset:8
	buffer_load_dword v49, v10, s[0:3], 0 offen offset:12
	buffer_load_dword v50, v10, s[0:3], 0 offen
	buffer_load_dword v51, v10, s[0:3], 0 offen offset:4
	ds_read_b128 v[14:17], v9
	v_add_u32_e32 v8, 1, v8
	v_cmp_lt_u32_e32 vcc, 2, v8
	v_add_u32_e32 v9, 16, v9
	v_add_u32_e32 v10, 16, v10
	s_or_b64 s[8:9], vcc, s[8:9]
	s_waitcnt vmcnt(2) lgkmcnt(0)
	v_mul_f64 v[52:53], v[16:17], v[48:49]
	v_mul_f64 v[48:49], v[14:15], v[48:49]
	s_waitcnt vmcnt(0)
	v_fma_f64 v[14:15], v[14:15], v[50:51], -v[52:53]
	v_fmac_f64_e32 v[48:49], v[16:17], v[50:51]
	v_add_f64 v[4:5], v[4:5], v[14:15]
	v_add_f64 v[2:3], v[2:3], v[48:49]
	s_andn2_b64 exec, exec, s[8:9]
	s_cbranch_execnz .LBB78_29
; %bb.30:
	s_or_b64 exec, exec, s[8:9]
	v_mov_b32_e32 v8, 0
	ds_read_b128 v[8:11], v8 offset:64
	s_waitcnt lgkmcnt(0)
	v_mul_f64 v[14:15], v[2:3], v[10:11]
	v_mul_f64 v[10:11], v[4:5], v[10:11]
	v_fma_f64 v[4:5], v[4:5], v[8:9], -v[14:15]
	v_fmac_f64_e32 v[10:11], v[2:3], v[8:9]
	buffer_store_dword v5, off, s[0:3], 0 offset:68
	buffer_store_dword v4, off, s[0:3], 0 offset:64
	buffer_store_dword v11, off, s[0:3], 0 offset:76
	buffer_store_dword v10, off, s[0:3], 0 offset:72
.LBB78_31:
	s_or_b64 exec, exec, s[6:7]
	s_waitcnt lgkmcnt(0)
	; wave barrier
	buffer_load_dword v2, v62, s[0:3], 0 offen
	buffer_load_dword v3, v62, s[0:3], 0 offen offset:4
	buffer_load_dword v4, v62, s[0:3], 0 offen offset:8
	buffer_load_dword v5, v62, s[0:3], 0 offen offset:12
	v_cmp_gt_u32_e32 vcc, 5, v67
	;; [unrolled: 57-line block ×10, first 2 shown]
	s_waitcnt vmcnt(0)
	ds_write_b128 v6, v[2:5]
	s_waitcnt lgkmcnt(0)
	; wave barrier
	s_waitcnt lgkmcnt(0)
	s_and_saveexec_b64 s[6:7], vcc
	s_cbranch_execz .LBB78_67
; %bb.64:
	v_pk_mov_b32 v[2:3], 0, 0
	v_add_u32_e32 v8, -1, v67
	v_add_u32_e32 v9, 0xf0, v12
	v_add_u32_e32 v10, 0, v12
	s_mov_b64 s[8:9], 0
	v_pk_mov_b32 v[4:5], v[2:3], v[2:3] op_sel:[0,1]
.LBB78_65:                              ; =>This Inner Loop Header: Depth=1
	buffer_load_dword v48, v10, s[0:3], 0 offen offset:8
	buffer_load_dword v49, v10, s[0:3], 0 offen offset:12
	buffer_load_dword v50, v10, s[0:3], 0 offen
	buffer_load_dword v51, v10, s[0:3], 0 offen offset:4
	ds_read_b128 v[14:17], v9
	v_add_u32_e32 v8, 1, v8
	v_cmp_lt_u32_e32 vcc, 11, v8
	v_add_u32_e32 v9, 16, v9
	v_add_u32_e32 v10, 16, v10
	s_or_b64 s[8:9], vcc, s[8:9]
	s_waitcnt vmcnt(2) lgkmcnt(0)
	v_mul_f64 v[52:53], v[16:17], v[48:49]
	v_mul_f64 v[48:49], v[14:15], v[48:49]
	s_waitcnt vmcnt(0)
	v_fma_f64 v[14:15], v[14:15], v[50:51], -v[52:53]
	v_fmac_f64_e32 v[48:49], v[16:17], v[50:51]
	v_add_f64 v[4:5], v[4:5], v[14:15]
	v_add_f64 v[2:3], v[2:3], v[48:49]
	s_andn2_b64 exec, exec, s[8:9]
	s_cbranch_execnz .LBB78_65
; %bb.66:
	s_or_b64 exec, exec, s[8:9]
	v_mov_b32_e32 v8, 0
	ds_read_b128 v[8:11], v8 offset:208
	s_waitcnt lgkmcnt(0)
	v_mul_f64 v[14:15], v[2:3], v[10:11]
	v_mul_f64 v[10:11], v[4:5], v[10:11]
	v_fma_f64 v[4:5], v[4:5], v[8:9], -v[14:15]
	v_fmac_f64_e32 v[10:11], v[2:3], v[8:9]
	buffer_store_dword v5, off, s[0:3], 0 offset:212
	buffer_store_dword v4, off, s[0:3], 0 offset:208
	;; [unrolled: 1-line block ×4, first 2 shown]
.LBB78_67:
	s_or_b64 exec, exec, s[6:7]
	s_waitcnt lgkmcnt(0)
	; wave barrier
	buffer_load_dword v2, v55, s[0:3], 0 offen
	buffer_load_dword v3, v55, s[0:3], 0 offen offset:4
	buffer_load_dword v4, v55, s[0:3], 0 offen offset:8
	;; [unrolled: 1-line block ×3, first 2 shown]
	v_cmp_ne_u32_e32 vcc, 14, v67
	s_waitcnt vmcnt(0)
	ds_write_b128 v6, v[2:5]
	s_waitcnt lgkmcnt(0)
	; wave barrier
	s_waitcnt lgkmcnt(0)
	s_and_saveexec_b64 s[6:7], vcc
	s_cbranch_execz .LBB78_71
; %bb.68:
	v_pk_mov_b32 v[2:3], 0, 0
	v_add_u32_e32 v6, 0xf0, v12
	v_add_u32_e32 v8, 0, v12
	s_mov_b64 s[8:9], 0
	v_pk_mov_b32 v[4:5], v[2:3], v[2:3] op_sel:[0,1]
.LBB78_69:                              ; =>This Inner Loop Header: Depth=1
	buffer_load_dword v14, v8, s[0:3], 0 offen offset:8
	buffer_load_dword v15, v8, s[0:3], 0 offen offset:12
	buffer_load_dword v16, v8, s[0:3], 0 offen
	buffer_load_dword v17, v8, s[0:3], 0 offen offset:4
	ds_read_b128 v[10:13], v6
	v_add_u32_e32 v7, 1, v7
	v_cmp_lt_u32_e32 vcc, 12, v7
	v_add_u32_e32 v6, 16, v6
	v_add_u32_e32 v8, 16, v8
	s_or_b64 s[8:9], vcc, s[8:9]
	s_waitcnt vmcnt(2) lgkmcnt(0)
	v_mul_f64 v[48:49], v[12:13], v[14:15]
	v_mul_f64 v[14:15], v[10:11], v[14:15]
	s_waitcnt vmcnt(0)
	v_fma_f64 v[10:11], v[10:11], v[16:17], -v[48:49]
	v_fmac_f64_e32 v[14:15], v[12:13], v[16:17]
	v_add_f64 v[4:5], v[4:5], v[10:11]
	v_add_f64 v[2:3], v[2:3], v[14:15]
	s_andn2_b64 exec, exec, s[8:9]
	s_cbranch_execnz .LBB78_69
; %bb.70:
	s_or_b64 exec, exec, s[8:9]
	v_mov_b32_e32 v6, 0
	ds_read_b128 v[6:9], v6 offset:224
	s_waitcnt lgkmcnt(0)
	v_mul_f64 v[10:11], v[2:3], v[8:9]
	v_mul_f64 v[8:9], v[4:5], v[8:9]
	v_fma_f64 v[4:5], v[4:5], v[6:7], -v[10:11]
	v_fmac_f64_e32 v[8:9], v[2:3], v[6:7]
	buffer_store_dword v5, off, s[0:3], 0 offset:228
	buffer_store_dword v4, off, s[0:3], 0 offset:224
	;; [unrolled: 1-line block ×4, first 2 shown]
.LBB78_71:
	s_or_b64 exec, exec, s[6:7]
	s_mov_b64 s[8:9], -1
	s_waitcnt lgkmcnt(0)
	; wave barrier
.LBB78_72:
	s_and_b64 vcc, exec, s[8:9]
	s_cbranch_vccz .LBB78_74
; %bb.73:
	s_lshl_b64 s[6:7], s[10:11], 2
	s_add_u32 s6, s14, s6
	s_addc_u32 s7, s15, s7
	v_mov_b32_e32 v2, 0
	global_load_dword v2, v2, s[6:7]
	s_waitcnt vmcnt(0)
	v_cmp_ne_u32_e32 vcc, 0, v2
	s_cbranch_vccz .LBB78_75
.LBB78_74:
	s_endpgm
.LBB78_75:
	v_mov_b32_e32 v2, 0xf0
	v_lshl_add_u32 v68, v67, 4, v2
	v_cmp_eq_u32_e32 vcc, 14, v67
	s_and_saveexec_b64 s[6:7], vcc
	s_cbranch_execz .LBB78_77
; %bb.76:
	buffer_load_dword v2, v54, s[0:3], 0 offen
	buffer_load_dword v3, v54, s[0:3], 0 offen offset:4
	buffer_load_dword v4, v54, s[0:3], 0 offen offset:8
	;; [unrolled: 1-line block ×3, first 2 shown]
	v_mov_b32_e32 v6, 0
	buffer_store_dword v6, off, s[0:3], 0 offset:208
	buffer_store_dword v6, off, s[0:3], 0 offset:212
	;; [unrolled: 1-line block ×4, first 2 shown]
	s_waitcnt vmcnt(4)
	ds_write_b128 v68, v[2:5]
.LBB78_77:
	s_or_b64 exec, exec, s[6:7]
	s_waitcnt lgkmcnt(0)
	; wave barrier
	s_waitcnt lgkmcnt(0)
	buffer_load_dword v8, off, s[0:3], 0 offset:232
	buffer_load_dword v9, off, s[0:3], 0 offset:236
	;; [unrolled: 1-line block ×8, first 2 shown]
	v_mov_b32_e32 v2, 0
	ds_read_b128 v[4:7], v2 offset:464
	v_cmp_lt_u32_e32 vcc, 12, v67
	s_waitcnt vmcnt(6) lgkmcnt(0)
	v_mul_f64 v[16:17], v[4:5], v[8:9]
	v_mul_f64 v[8:9], v[6:7], v[8:9]
	s_waitcnt vmcnt(4)
	v_fma_f64 v[4:5], v[4:5], v[10:11], -v[8:9]
	v_fmac_f64_e32 v[16:17], v[6:7], v[10:11]
	v_add_f64 v[4:5], v[4:5], 0
	v_add_f64 v[6:7], v[16:17], 0
	s_waitcnt vmcnt(2)
	v_add_f64 v[4:5], v[12:13], -v[4:5]
	s_waitcnt vmcnt(0)
	v_add_f64 v[6:7], v[14:15], -v[6:7]
	buffer_store_dword v4, off, s[0:3], 0 offset:208
	buffer_store_dword v5, off, s[0:3], 0 offset:212
	;; [unrolled: 1-line block ×4, first 2 shown]
	s_and_saveexec_b64 s[6:7], vcc
	s_cbranch_execz .LBB78_79
; %bb.78:
	buffer_load_dword v4, v1, s[0:3], 0 offen
	buffer_load_dword v5, v1, s[0:3], 0 offen offset:4
	buffer_load_dword v6, v1, s[0:3], 0 offen offset:8
	;; [unrolled: 1-line block ×3, first 2 shown]
	s_nop 0
	buffer_store_dword v2, off, s[0:3], 0 offset:192
	buffer_store_dword v2, off, s[0:3], 0 offset:196
	;; [unrolled: 1-line block ×4, first 2 shown]
	s_waitcnt vmcnt(4)
	ds_write_b128 v68, v[4:7]
.LBB78_79:
	s_or_b64 exec, exec, s[6:7]
	s_waitcnt lgkmcnt(0)
	; wave barrier
	s_waitcnt lgkmcnt(0)
	buffer_load_dword v12, off, s[0:3], 0 offset:216
	buffer_load_dword v13, off, s[0:3], 0 offset:220
	;; [unrolled: 1-line block ×12, first 2 shown]
	ds_read_b128 v[4:7], v2 offset:448
	ds_read_b128 v[8:11], v2 offset:464
	v_cmp_lt_u32_e32 vcc, 11, v67
	s_waitcnt vmcnt(10) lgkmcnt(1)
	v_mul_f64 v[2:3], v[4:5], v[12:13]
	v_mul_f64 v[12:13], v[6:7], v[12:13]
	s_waitcnt vmcnt(8) lgkmcnt(0)
	v_mul_f64 v[70:71], v[8:9], v[14:15]
	v_mul_f64 v[14:15], v[10:11], v[14:15]
	s_waitcnt vmcnt(6)
	v_fma_f64 v[4:5], v[4:5], v[16:17], -v[12:13]
	v_fmac_f64_e32 v[2:3], v[6:7], v[16:17]
	s_waitcnt vmcnt(4)
	v_fma_f64 v[6:7], v[8:9], v[48:49], -v[14:15]
	v_add_f64 v[4:5], v[4:5], 0
	v_fmac_f64_e32 v[70:71], v[10:11], v[48:49]
	v_add_f64 v[2:3], v[2:3], 0
	v_add_f64 v[4:5], v[4:5], v[6:7]
	;; [unrolled: 1-line block ×3, first 2 shown]
	s_waitcnt vmcnt(2)
	v_add_f64 v[4:5], v[50:51], -v[4:5]
	s_waitcnt vmcnt(0)
	v_add_f64 v[2:3], v[52:53], -v[2:3]
	buffer_store_dword v4, off, s[0:3], 0 offset:192
	buffer_store_dword v5, off, s[0:3], 0 offset:196
	;; [unrolled: 1-line block ×4, first 2 shown]
	s_and_saveexec_b64 s[6:7], vcc
	s_cbranch_execz .LBB78_81
; %bb.80:
	buffer_load_dword v2, v59, s[0:3], 0 offen
	buffer_load_dword v3, v59, s[0:3], 0 offen offset:4
	buffer_load_dword v4, v59, s[0:3], 0 offen offset:8
	;; [unrolled: 1-line block ×3, first 2 shown]
	v_mov_b32_e32 v6, 0
	buffer_store_dword v6, off, s[0:3], 0 offset:176
	buffer_store_dword v6, off, s[0:3], 0 offset:180
	;; [unrolled: 1-line block ×4, first 2 shown]
	s_waitcnt vmcnt(4)
	ds_write_b128 v68, v[2:5]
.LBB78_81:
	s_or_b64 exec, exec, s[6:7]
	s_waitcnt lgkmcnt(0)
	; wave barrier
	s_waitcnt lgkmcnt(0)
	buffer_load_dword v16, off, s[0:3], 0 offset:200
	buffer_load_dword v17, off, s[0:3], 0 offset:204
	;; [unrolled: 1-line block ×16, first 2 shown]
	v_mov_b32_e32 v2, 0
	ds_read_b128 v[4:7], v2 offset:432
	ds_read_b128 v[8:11], v2 offset:448
	;; [unrolled: 1-line block ×3, first 2 shown]
	v_cmp_lt_u32_e32 vcc, 10, v67
	s_waitcnt vmcnt(14) lgkmcnt(2)
	v_mul_f64 v[78:79], v[4:5], v[16:17]
	v_mul_f64 v[16:17], v[6:7], v[16:17]
	s_waitcnt vmcnt(12) lgkmcnt(1)
	v_mul_f64 v[80:81], v[8:9], v[48:49]
	v_mul_f64 v[48:49], v[10:11], v[48:49]
	;; [unrolled: 3-line block ×3, first 2 shown]
	s_waitcnt vmcnt(8)
	v_fma_f64 v[4:5], v[4:5], v[52:53], -v[16:17]
	v_fmac_f64_e32 v[78:79], v[6:7], v[52:53]
	s_waitcnt vmcnt(6)
	v_fma_f64 v[6:7], v[8:9], v[70:71], -v[48:49]
	v_add_f64 v[4:5], v[4:5], 0
	v_fmac_f64_e32 v[80:81], v[10:11], v[70:71]
	s_waitcnt vmcnt(4)
	v_fma_f64 v[8:9], v[12:13], v[72:73], -v[50:51]
	v_add_f64 v[10:11], v[78:79], 0
	v_add_f64 v[4:5], v[4:5], v[6:7]
	v_fmac_f64_e32 v[82:83], v[14:15], v[72:73]
	v_add_f64 v[10:11], v[10:11], v[80:81]
	v_add_f64 v[4:5], v[4:5], v[8:9]
	;; [unrolled: 1-line block ×3, first 2 shown]
	s_waitcnt vmcnt(2)
	v_add_f64 v[4:5], v[74:75], -v[4:5]
	s_waitcnt vmcnt(0)
	v_add_f64 v[6:7], v[76:77], -v[6:7]
	buffer_store_dword v4, off, s[0:3], 0 offset:176
	buffer_store_dword v5, off, s[0:3], 0 offset:180
	;; [unrolled: 1-line block ×4, first 2 shown]
	s_and_saveexec_b64 s[6:7], vcc
	s_cbranch_execz .LBB78_83
; %bb.82:
	buffer_load_dword v4, v57, s[0:3], 0 offen
	buffer_load_dword v5, v57, s[0:3], 0 offen offset:4
	buffer_load_dword v6, v57, s[0:3], 0 offen offset:8
	;; [unrolled: 1-line block ×3, first 2 shown]
	s_nop 0
	buffer_store_dword v2, off, s[0:3], 0 offset:160
	buffer_store_dword v2, off, s[0:3], 0 offset:164
	;; [unrolled: 1-line block ×4, first 2 shown]
	s_waitcnt vmcnt(4)
	ds_write_b128 v68, v[4:7]
.LBB78_83:
	s_or_b64 exec, exec, s[6:7]
	s_waitcnt lgkmcnt(0)
	; wave barrier
	s_waitcnt lgkmcnt(0)
	buffer_load_dword v16, off, s[0:3], 0 offset:184
	buffer_load_dword v17, off, s[0:3], 0 offset:188
	;; [unrolled: 1-line block ×20, first 2 shown]
	ds_read_b128 v[4:7], v2 offset:416
	ds_read_b128 v[8:11], v2 offset:432
	;; [unrolled: 1-line block ×4, first 2 shown]
	v_cmp_lt_u32_e32 vcc, 9, v67
	s_waitcnt vmcnt(18) lgkmcnt(3)
	v_mul_f64 v[2:3], v[4:5], v[16:17]
	v_mul_f64 v[16:17], v[6:7], v[16:17]
	s_waitcnt vmcnt(16) lgkmcnt(2)
	v_mul_f64 v[86:87], v[8:9], v[52:53]
	v_mul_f64 v[52:53], v[10:11], v[52:53]
	;; [unrolled: 3-line block ×4, first 2 shown]
	s_waitcnt vmcnt(10)
	v_fma_f64 v[4:5], v[4:5], v[74:75], -v[16:17]
	v_fmac_f64_e32 v[2:3], v[6:7], v[74:75]
	s_waitcnt vmcnt(8)
	v_fma_f64 v[6:7], v[8:9], v[76:77], -v[52:53]
	v_add_f64 v[4:5], v[4:5], 0
	v_fmac_f64_e32 v[86:87], v[10:11], v[76:77]
	s_waitcnt vmcnt(6)
	v_fma_f64 v[8:9], v[12:13], v[78:79], -v[70:71]
	v_add_f64 v[2:3], v[2:3], 0
	v_add_f64 v[4:5], v[4:5], v[6:7]
	v_fmac_f64_e32 v[88:89], v[14:15], v[78:79]
	s_waitcnt vmcnt(4)
	v_fma_f64 v[10:11], v[48:49], v[80:81], -v[72:73]
	v_add_f64 v[2:3], v[2:3], v[86:87]
	v_add_f64 v[4:5], v[4:5], v[8:9]
	v_fmac_f64_e32 v[90:91], v[50:51], v[80:81]
	v_add_f64 v[2:3], v[2:3], v[88:89]
	v_add_f64 v[4:5], v[4:5], v[10:11]
	;; [unrolled: 1-line block ×3, first 2 shown]
	s_waitcnt vmcnt(2)
	v_add_f64 v[4:5], v[82:83], -v[4:5]
	s_waitcnt vmcnt(0)
	v_add_f64 v[2:3], v[84:85], -v[2:3]
	buffer_store_dword v4, off, s[0:3], 0 offset:160
	buffer_store_dword v5, off, s[0:3], 0 offset:164
	;; [unrolled: 1-line block ×4, first 2 shown]
	s_and_saveexec_b64 s[6:7], vcc
	s_cbranch_execz .LBB78_85
; %bb.84:
	buffer_load_dword v2, v58, s[0:3], 0 offen
	buffer_load_dword v3, v58, s[0:3], 0 offen offset:4
	buffer_load_dword v4, v58, s[0:3], 0 offen offset:8
	;; [unrolled: 1-line block ×3, first 2 shown]
	v_mov_b32_e32 v6, 0
	buffer_store_dword v6, off, s[0:3], 0 offset:144
	buffer_store_dword v6, off, s[0:3], 0 offset:148
	;; [unrolled: 1-line block ×4, first 2 shown]
	s_waitcnt vmcnt(4)
	ds_write_b128 v68, v[2:5]
.LBB78_85:
	s_or_b64 exec, exec, s[6:7]
	s_waitcnt lgkmcnt(0)
	; wave barrier
	s_waitcnt lgkmcnt(0)
	buffer_load_dword v16, off, s[0:3], 0 offset:168
	buffer_load_dword v17, off, s[0:3], 0 offset:172
	;; [unrolled: 1-line block ×24, first 2 shown]
	v_mov_b32_e32 v2, 0
	ds_read_b128 v[4:7], v2 offset:400
	ds_read_b128 v[8:11], v2 offset:416
	ds_read_b128 v[12:15], v2 offset:432
	ds_read_b128 v[48:51], v2 offset:448
	ds_read_b128 v[70:73], v2 offset:464
	v_cmp_lt_u32_e32 vcc, 8, v67
	s_waitcnt vmcnt(22) lgkmcnt(4)
	v_mul_f64 v[94:95], v[4:5], v[16:17]
	v_mul_f64 v[16:17], v[6:7], v[16:17]
	s_waitcnt vmcnt(20) lgkmcnt(3)
	v_mul_f64 v[96:97], v[8:9], v[52:53]
	v_mul_f64 v[52:53], v[10:11], v[52:53]
	;; [unrolled: 3-line block ×4, first 2 shown]
	s_waitcnt vmcnt(13) lgkmcnt(0)
	v_mul_f64 v[102:103], v[70:71], v[76:77]
	s_waitcnt vmcnt(11)
	v_fma_f64 v[4:5], v[4:5], v[82:83], -v[16:17]
	v_fmac_f64_e32 v[94:95], v[6:7], v[82:83]
	s_waitcnt vmcnt(9)
	v_fma_f64 v[6:7], v[8:9], v[84:85], -v[52:53]
	v_add_f64 v[4:5], v[4:5], 0
	v_fmac_f64_e32 v[96:97], v[10:11], v[84:85]
	s_waitcnt vmcnt(7)
	v_fmac_f64_e32 v[98:99], v[14:15], v[86:87]
	v_fma_f64 v[8:9], v[12:13], v[86:87], -v[74:75]
	v_add_f64 v[14:15], v[94:95], 0
	v_add_f64 v[4:5], v[4:5], v[6:7]
	v_mul_f64 v[76:77], v[72:73], v[76:77]
	s_waitcnt vmcnt(5)
	v_fma_f64 v[10:11], v[48:49], v[88:89], -v[80:81]
	v_add_f64 v[14:15], v[14:15], v[96:97]
	v_add_f64 v[4:5], v[4:5], v[8:9]
	v_fmac_f64_e32 v[100:101], v[50:51], v[88:89]
	s_waitcnt vmcnt(4)
	v_fma_f64 v[12:13], v[70:71], v[78:79], -v[76:77]
	v_add_f64 v[6:7], v[14:15], v[98:99]
	v_add_f64 v[4:5], v[4:5], v[10:11]
	v_fmac_f64_e32 v[102:103], v[72:73], v[78:79]
	v_add_f64 v[6:7], v[6:7], v[100:101]
	v_add_f64 v[4:5], v[4:5], v[12:13]
	;; [unrolled: 1-line block ×3, first 2 shown]
	s_waitcnt vmcnt(2)
	v_add_f64 v[4:5], v[90:91], -v[4:5]
	s_waitcnt vmcnt(0)
	v_add_f64 v[6:7], v[92:93], -v[6:7]
	buffer_store_dword v5, off, s[0:3], 0 offset:148
	buffer_store_dword v4, off, s[0:3], 0 offset:144
	;; [unrolled: 1-line block ×4, first 2 shown]
	s_and_saveexec_b64 s[6:7], vcc
	s_cbranch_execz .LBB78_87
; %bb.86:
	buffer_load_dword v4, v56, s[0:3], 0 offen
	buffer_load_dword v5, v56, s[0:3], 0 offen offset:4
	buffer_load_dword v6, v56, s[0:3], 0 offen offset:8
	;; [unrolled: 1-line block ×3, first 2 shown]
	s_nop 0
	buffer_store_dword v2, off, s[0:3], 0 offset:128
	buffer_store_dword v2, off, s[0:3], 0 offset:132
	;; [unrolled: 1-line block ×4, first 2 shown]
	s_waitcnt vmcnt(4)
	ds_write_b128 v68, v[4:7]
.LBB78_87:
	s_or_b64 exec, exec, s[6:7]
	s_waitcnt lgkmcnt(0)
	; wave barrier
	s_waitcnt lgkmcnt(0)
	buffer_load_dword v16, off, s[0:3], 0 offset:152
	buffer_load_dword v17, off, s[0:3], 0 offset:156
	;; [unrolled: 1-line block ×28, first 2 shown]
	ds_read_b128 v[4:7], v2 offset:384
	ds_read_b128 v[8:11], v2 offset:400
	ds_read_b128 v[12:15], v2 offset:416
	ds_read_b128 v[48:51], v2 offset:432
	ds_read_b128 v[70:73], v2 offset:448
	ds_read_b128 v[74:77], v2 offset:464
	v_cmp_lt_u32_e32 vcc, 7, v67
	s_waitcnt vmcnt(26) lgkmcnt(5)
	v_mul_f64 v[2:3], v[4:5], v[16:17]
	v_mul_f64 v[16:17], v[6:7], v[16:17]
	s_waitcnt vmcnt(24) lgkmcnt(4)
	v_mul_f64 v[102:103], v[8:9], v[52:53]
	v_mul_f64 v[52:53], v[10:11], v[52:53]
	;; [unrolled: 3-line block ×4, first 2 shown]
	s_waitcnt vmcnt(17)
	v_mul_f64 v[106:107], v[48:49], v[84:85]
	v_mul_f64 v[84:85], v[50:51], v[84:85]
	s_waitcnt vmcnt(15) lgkmcnt(0)
	v_mul_f64 v[110:111], v[74:75], v[86:87]
	v_mul_f64 v[86:87], v[76:77], v[86:87]
	s_waitcnt vmcnt(14)
	v_fmac_f64_e32 v[108:109], v[72:73], v[82:83]
	s_waitcnt vmcnt(12)
	v_fma_f64 v[4:5], v[4:5], v[88:89], -v[16:17]
	v_fmac_f64_e32 v[2:3], v[6:7], v[88:89]
	s_waitcnt vmcnt(10)
	v_fma_f64 v[6:7], v[8:9], v[90:91], -v[52:53]
	v_add_f64 v[4:5], v[4:5], 0
	v_fmac_f64_e32 v[102:103], v[10:11], v[90:91]
	s_waitcnt vmcnt(8)
	v_fma_f64 v[8:9], v[12:13], v[92:93], -v[78:79]
	v_add_f64 v[2:3], v[2:3], 0
	v_add_f64 v[4:5], v[4:5], v[6:7]
	v_fmac_f64_e32 v[104:105], v[14:15], v[92:93]
	s_waitcnt vmcnt(6)
	v_fma_f64 v[10:11], v[48:49], v[94:95], -v[84:85]
	v_add_f64 v[2:3], v[2:3], v[102:103]
	v_add_f64 v[4:5], v[4:5], v[8:9]
	v_fmac_f64_e32 v[106:107], v[50:51], v[94:95]
	v_fma_f64 v[12:13], v[70:71], v[82:83], -v[80:81]
	v_add_f64 v[2:3], v[2:3], v[104:105]
	v_add_f64 v[4:5], v[4:5], v[10:11]
	s_waitcnt vmcnt(4)
	v_fma_f64 v[14:15], v[74:75], v[96:97], -v[86:87]
	v_add_f64 v[2:3], v[2:3], v[106:107]
	v_add_f64 v[4:5], v[4:5], v[12:13]
	v_fmac_f64_e32 v[110:111], v[76:77], v[96:97]
	v_add_f64 v[2:3], v[2:3], v[108:109]
	v_add_f64 v[4:5], v[4:5], v[14:15]
	;; [unrolled: 1-line block ×3, first 2 shown]
	s_waitcnt vmcnt(2)
	v_add_f64 v[4:5], v[98:99], -v[4:5]
	s_waitcnt vmcnt(0)
	v_add_f64 v[2:3], v[100:101], -v[2:3]
	buffer_store_dword v5, off, s[0:3], 0 offset:132
	buffer_store_dword v4, off, s[0:3], 0 offset:128
	;; [unrolled: 1-line block ×4, first 2 shown]
	s_and_saveexec_b64 s[6:7], vcc
	s_cbranch_execz .LBB78_89
; %bb.88:
	buffer_load_dword v2, v63, s[0:3], 0 offen
	buffer_load_dword v3, v63, s[0:3], 0 offen offset:4
	buffer_load_dword v4, v63, s[0:3], 0 offen offset:8
	;; [unrolled: 1-line block ×3, first 2 shown]
	v_mov_b32_e32 v6, 0
	buffer_store_dword v6, off, s[0:3], 0 offset:112
	buffer_store_dword v6, off, s[0:3], 0 offset:116
	;; [unrolled: 1-line block ×4, first 2 shown]
	s_waitcnt vmcnt(4)
	ds_write_b128 v68, v[2:5]
.LBB78_89:
	s_or_b64 exec, exec, s[6:7]
	s_waitcnt lgkmcnt(0)
	; wave barrier
	s_waitcnt lgkmcnt(0)
	buffer_load_dword v52, off, s[0:3], 0 offset:136
	buffer_load_dword v53, off, s[0:3], 0 offset:140
	buffer_load_dword v78, off, s[0:3], 0 offset:152
	buffer_load_dword v79, off, s[0:3], 0 offset:156
	buffer_load_dword v80, off, s[0:3], 0 offset:168
	buffer_load_dword v81, off, s[0:3], 0 offset:172
	buffer_load_dword v83, off, s[0:3], 0 offset:204
	buffer_load_dword v82, off, s[0:3], 0 offset:200
	buffer_load_dword v84, off, s[0:3], 0 offset:192
	buffer_load_dword v87, off, s[0:3], 0 offset:188
	buffer_load_dword v86, off, s[0:3], 0 offset:184
	buffer_load_dword v88, off, s[0:3], 0 offset:232
	buffer_load_dword v90, off, s[0:3], 0 offset:224
	buffer_load_dword v93, off, s[0:3], 0 offset:220
	buffer_load_dword v92, off, s[0:3], 0 offset:216
	buffer_load_dword v89, off, s[0:3], 0 offset:236
	buffer_load_dword v85, off, s[0:3], 0 offset:196
	buffer_load_dword v94, off, s[0:3], 0 offset:128
	buffer_load_dword v95, off, s[0:3], 0 offset:132
	buffer_load_dword v96, off, s[0:3], 0 offset:144
	buffer_load_dword v97, off, s[0:3], 0 offset:148
	buffer_load_dword v98, off, s[0:3], 0 offset:160
	buffer_load_dword v99, off, s[0:3], 0 offset:164
	buffer_load_dword v101, off, s[0:3], 0 offset:180
	buffer_load_dword v100, off, s[0:3], 0 offset:176
	buffer_load_dword v103, off, s[0:3], 0 offset:212
	buffer_load_dword v102, off, s[0:3], 0 offset:208
	buffer_load_dword v91, off, s[0:3], 0 offset:228
	buffer_load_dword v104, off, s[0:3], 0 offset:112
	buffer_load_dword v105, off, s[0:3], 0 offset:116
	buffer_load_dword v106, off, s[0:3], 0 offset:120
	buffer_load_dword v107, off, s[0:3], 0 offset:124
	v_mov_b32_e32 v69, 0
	ds_read_b128 v[2:5], v69 offset:368
	ds_read_b128 v[6:9], v69 offset:384
	;; [unrolled: 1-line block ×7, first 2 shown]
	v_cmp_lt_u32_e32 vcc, 6, v67
	s_waitcnt vmcnt(30) lgkmcnt(6)
	v_mul_f64 v[108:109], v[2:3], v[52:53]
	v_mul_f64 v[52:53], v[4:5], v[52:53]
	s_waitcnt vmcnt(28) lgkmcnt(5)
	v_mul_f64 v[110:111], v[6:7], v[78:79]
	v_mul_f64 v[78:79], v[8:9], v[78:79]
	;; [unrolled: 3-line block ×4, first 2 shown]
	s_waitcnt vmcnt(21)
	v_mul_f64 v[114:115], v[14:15], v[86:87]
	v_mul_f64 v[86:87], v[16:17], v[86:87]
	s_waitcnt vmcnt(17) lgkmcnt(1)
	v_mul_f64 v[118:119], v[70:71], v[92:93]
	v_mul_f64 v[92:93], v[72:73], v[92:93]
	s_waitcnt vmcnt(16) lgkmcnt(0)
	v_mul_f64 v[120:121], v[74:75], v[88:89]
	v_mul_f64 v[88:89], v[76:77], v[88:89]
	s_waitcnt vmcnt(13)
	v_fma_f64 v[2:3], v[2:3], v[94:95], -v[52:53]
	v_fmac_f64_e32 v[108:109], v[4:5], v[94:95]
	s_waitcnt vmcnt(11)
	v_fma_f64 v[4:5], v[6:7], v[96:97], -v[78:79]
	v_add_f64 v[2:3], v[2:3], 0
	v_fmac_f64_e32 v[110:111], v[8:9], v[96:97]
	s_waitcnt vmcnt(9)
	v_fma_f64 v[6:7], v[10:11], v[98:99], -v[80:81]
	s_waitcnt vmcnt(7)
	v_fmac_f64_e32 v[114:115], v[16:17], v[100:101]
	v_add_f64 v[16:17], v[108:109], 0
	v_add_f64 v[2:3], v[2:3], v[4:5]
	v_fmac_f64_e32 v[112:113], v[12:13], v[98:99]
	v_fma_f64 v[8:9], v[14:15], v[100:101], -v[86:87]
	v_add_f64 v[16:17], v[16:17], v[110:111]
	v_add_f64 v[2:3], v[2:3], v[6:7]
	v_fma_f64 v[10:11], v[48:49], v[84:85], -v[82:83]
	v_add_f64 v[4:5], v[16:17], v[112:113]
	v_add_f64 v[2:3], v[2:3], v[8:9]
	v_fmac_f64_e32 v[116:117], v[50:51], v[84:85]
	s_waitcnt vmcnt(5)
	v_fma_f64 v[12:13], v[70:71], v[102:103], -v[92:93]
	v_add_f64 v[4:5], v[4:5], v[114:115]
	v_add_f64 v[2:3], v[2:3], v[10:11]
	v_fmac_f64_e32 v[118:119], v[72:73], v[102:103]
	s_waitcnt vmcnt(4)
	v_fma_f64 v[14:15], v[74:75], v[90:91], -v[88:89]
	v_add_f64 v[4:5], v[4:5], v[116:117]
	v_add_f64 v[2:3], v[2:3], v[12:13]
	v_fmac_f64_e32 v[120:121], v[76:77], v[90:91]
	v_add_f64 v[4:5], v[4:5], v[118:119]
	v_add_f64 v[2:3], v[2:3], v[14:15]
	;; [unrolled: 1-line block ×3, first 2 shown]
	s_waitcnt vmcnt(2)
	v_add_f64 v[2:3], v[104:105], -v[2:3]
	s_waitcnt vmcnt(0)
	v_add_f64 v[4:5], v[106:107], -v[4:5]
	buffer_store_dword v3, off, s[0:3], 0 offset:116
	buffer_store_dword v2, off, s[0:3], 0 offset:112
	;; [unrolled: 1-line block ×4, first 2 shown]
	s_and_saveexec_b64 s[6:7], vcc
	s_cbranch_execz .LBB78_91
; %bb.90:
	buffer_load_dword v2, v61, s[0:3], 0 offen
	buffer_load_dword v3, v61, s[0:3], 0 offen offset:4
	buffer_load_dword v4, v61, s[0:3], 0 offen offset:8
	;; [unrolled: 1-line block ×3, first 2 shown]
	s_nop 0
	buffer_store_dword v69, off, s[0:3], 0 offset:96
	buffer_store_dword v69, off, s[0:3], 0 offset:100
	;; [unrolled: 1-line block ×4, first 2 shown]
	s_waitcnt vmcnt(4)
	ds_write_b128 v68, v[2:5]
.LBB78_91:
	s_or_b64 exec, exec, s[6:7]
	s_waitcnt lgkmcnt(0)
	; wave barrier
	s_waitcnt lgkmcnt(0)
	ds_read_b128 v[14:17], v69 offset:352
	ds_read_b128 v[10:13], v69 offset:368
	;; [unrolled: 1-line block ×4, first 2 shown]
	buffer_load_dword v50, off, s[0:3], 0 offset:96
	buffer_load_dword v51, off, s[0:3], 0 offset:100
	;; [unrolled: 1-line block ×20, first 2 shown]
	v_cmp_lt_u32_e32 vcc, 5, v67
	s_waitcnt vmcnt(12) lgkmcnt(3)
	v_mul_f64 v[70:71], v[14:15], v[86:87]
	v_fmac_f64_e32 v[70:71], v[16:17], v[52:53]
	v_add_f64 v[70:71], v[70:71], 0
	v_mul_f64 v[16:17], v[16:17], v[86:87]
	s_waitcnt vmcnt(8) lgkmcnt(2)
	v_mul_f64 v[72:73], v[10:11], v[90:91]
	v_fmac_f64_e32 v[72:73], v[12:13], v[88:89]
	v_add_f64 v[70:71], v[70:71], v[72:73]
	v_fma_f64 v[14:15], v[14:15], v[52:53], -v[16:17]
	s_waitcnt vmcnt(4) lgkmcnt(1)
	v_mul_f64 v[72:73], v[6:7], v[94:95]
	v_fmac_f64_e32 v[72:73], v[8:9], v[92:93]
	v_add_f64 v[70:71], v[70:71], v[72:73]
	s_waitcnt vmcnt(0) lgkmcnt(0)
	v_mul_f64 v[72:73], v[2:3], v[98:99]
	v_fmac_f64_e32 v[72:73], v[4:5], v[96:97]
	v_add_f64 v[74:75], v[70:71], v[72:73]
	ds_read_b128 v[70:73], v69 offset:416
	buffer_load_dword v101, off, s[0:3], 0 offset:180
	buffer_load_dword v100, off, s[0:3], 0 offset:176
	;; [unrolled: 1-line block ×4, first 2 shown]
	v_mul_f64 v[12:13], v[12:13], v[90:91]
	v_add_f64 v[14:15], v[14:15], 0
	v_fma_f64 v[10:11], v[10:11], v[88:89], -v[12:13]
	v_mul_f64 v[8:9], v[8:9], v[94:95]
	v_add_f64 v[10:11], v[14:15], v[10:11]
	v_fma_f64 v[6:7], v[6:7], v[92:93], -v[8:9]
	;; [unrolled: 3-line block ×3, first 2 shown]
	v_add_f64 v[2:3], v[6:7], v[2:3]
	s_waitcnt vmcnt(0) lgkmcnt(0)
	v_mul_f64 v[76:77], v[70:71], v[102:103]
	v_fmac_f64_e32 v[76:77], v[72:73], v[100:101]
	v_add_f64 v[78:79], v[74:75], v[76:77]
	ds_read_b128 v[74:77], v69 offset:432
	buffer_load_dword v105, off, s[0:3], 0 offset:196
	buffer_load_dword v104, off, s[0:3], 0 offset:192
	buffer_load_dword v107, off, s[0:3], 0 offset:204
	buffer_load_dword v106, off, s[0:3], 0 offset:200
	v_mul_f64 v[4:5], v[72:73], v[102:103]
	v_fma_f64 v[4:5], v[70:71], v[100:101], -v[4:5]
	v_add_f64 v[2:3], v[2:3], v[4:5]
	s_waitcnt vmcnt(0) lgkmcnt(0)
	v_mul_f64 v[80:81], v[74:75], v[106:107]
	v_fmac_f64_e32 v[80:81], v[76:77], v[104:105]
	v_add_f64 v[82:83], v[78:79], v[80:81]
	ds_read_b128 v[78:81], v69 offset:448
	buffer_load_dword v109, off, s[0:3], 0 offset:212
	buffer_load_dword v108, off, s[0:3], 0 offset:208
	buffer_load_dword v111, off, s[0:3], 0 offset:220
	buffer_load_dword v110, off, s[0:3], 0 offset:216
	v_mul_f64 v[4:5], v[76:77], v[106:107]
	v_fma_f64 v[4:5], v[74:75], v[104:105], -v[4:5]
	;; [unrolled: 12-line block ×3, first 2 shown]
	v_add_f64 v[2:3], v[2:3], v[4:5]
	s_waitcnt vmcnt(0) lgkmcnt(0)
	v_mul_f64 v[4:5], v[84:85], v[116:117]
	v_mul_f64 v[118:119], v[82:83], v[116:117]
	v_fma_f64 v[4:5], v[82:83], v[114:115], -v[4:5]
	v_fmac_f64_e32 v[118:119], v[84:85], v[114:115]
	v_add_f64 v[2:3], v[2:3], v[4:5]
	v_add_f64 v[112:113], v[112:113], v[118:119]
	v_add_f64 v[2:3], v[50:51], -v[2:3]
	v_add_f64 v[4:5], v[48:49], -v[112:113]
	buffer_store_dword v3, off, s[0:3], 0 offset:100
	buffer_store_dword v2, off, s[0:3], 0 offset:96
	;; [unrolled: 1-line block ×4, first 2 shown]
	s_and_saveexec_b64 s[6:7], vcc
	s_cbranch_execz .LBB78_93
; %bb.92:
	buffer_load_dword v2, v62, s[0:3], 0 offen
	buffer_load_dword v3, v62, s[0:3], 0 offen offset:4
	buffer_load_dword v4, v62, s[0:3], 0 offen offset:8
	;; [unrolled: 1-line block ×3, first 2 shown]
	v_mov_b32_e32 v6, 0
	buffer_store_dword v6, off, s[0:3], 0 offset:80
	buffer_store_dword v6, off, s[0:3], 0 offset:84
	;; [unrolled: 1-line block ×4, first 2 shown]
	s_waitcnt vmcnt(4)
	ds_write_b128 v68, v[2:5]
.LBB78_93:
	s_or_b64 exec, exec, s[6:7]
	s_waitcnt lgkmcnt(0)
	; wave barrier
	s_waitcnt lgkmcnt(0)
	buffer_load_dword v16, off, s[0:3], 0 offset:104
	buffer_load_dword v17, off, s[0:3], 0 offset:108
	;; [unrolled: 1-line block ×40, first 2 shown]
	v_mov_b32_e32 v6, 0
	ds_read_b128 v[2:5], v6 offset:336
	ds_read_b128 v[8:11], v6 offset:352
	;; [unrolled: 1-line block ×9, first 2 shown]
	v_cmp_lt_u32_e32 vcc, 4, v67
	s_waitcnt vmcnt(38) lgkmcnt(8)
	v_mul_f64 v[126:127], v[2:3], v[16:17]
	v_mul_f64 v[16:17], v[4:5], v[16:17]
	s_waitcnt vmcnt(36) lgkmcnt(7)
	v_mul_f64 v[128:129], v[8:9], v[52:53]
	v_mul_f64 v[52:53], v[10:11], v[52:53]
	;; [unrolled: 3-line block ×3, first 2 shown]
	s_waitcnt vmcnt(32) lgkmcnt(4)
	v_mul_f64 v[134:135], v[70:71], v[92:93]
	s_waitcnt vmcnt(30)
	v_fmac_f64_e32 v[134:135], v[72:73], v[94:95]
	s_waitcnt vmcnt(28)
	v_mul_f64 v[132:133], v[48:49], v[96:97]
	v_mul_f64 v[96:97], v[50:51], v[96:97]
	s_waitcnt vmcnt(26) lgkmcnt(2)
	v_mul_f64 v[138:139], v[78:79], v[98:99]
	s_waitcnt vmcnt(24)
	v_fmac_f64_e32 v[138:139], v[80:81], v[100:101]
	s_waitcnt vmcnt(22)
	v_mul_f64 v[136:137], v[74:75], v[102:103]
	s_waitcnt vmcnt(18) lgkmcnt(1)
	v_mul_f64 v[140:141], v[82:83], v[108:109]
	s_waitcnt vmcnt(17) lgkmcnt(0)
	v_mul_f64 v[142:143], v[86:87], v[104:105]
	s_waitcnt vmcnt(15)
	v_fma_f64 v[2:3], v[2:3], v[110:111], -v[16:17]
	v_fmac_f64_e32 v[126:127], v[4:5], v[110:111]
	s_waitcnt vmcnt(13)
	v_fma_f64 v[4:5], v[8:9], v[112:113], -v[52:53]
	v_add_f64 v[2:3], v[2:3], 0
	s_waitcnt vmcnt(11)
	v_fma_f64 v[8:9], v[12:13], v[114:115], -v[90:91]
	v_add_f64 v[2:3], v[2:3], v[4:5]
	v_fmac_f64_e32 v[128:129], v[10:11], v[112:113]
	s_waitcnt vmcnt(9)
	v_fma_f64 v[10:11], v[48:49], v[116:117], -v[96:97]
	v_add_f64 v[2:3], v[2:3], v[8:9]
	v_mul_f64 v[8:9], v[72:73], v[92:93]
	v_add_f64 v[2:3], v[2:3], v[10:11]
	v_fma_f64 v[8:9], v[70:71], v[94:95], -v[8:9]
	v_add_f64 v[2:3], v[2:3], v[8:9]
	v_mul_f64 v[8:9], v[76:77], v[102:103]
	v_add_f64 v[12:13], v[126:127], 0
	s_waitcnt vmcnt(7)
	v_fma_f64 v[8:9], v[74:75], v[118:119], -v[8:9]
	v_fmac_f64_e32 v[130:131], v[14:15], v[114:115]
	v_add_f64 v[12:13], v[12:13], v[128:129]
	v_add_f64 v[2:3], v[2:3], v[8:9]
	v_mul_f64 v[8:9], v[80:81], v[98:99]
	v_fmac_f64_e32 v[132:133], v[50:51], v[116:117]
	v_add_f64 v[4:5], v[12:13], v[130:131]
	v_fma_f64 v[8:9], v[78:79], v[100:101], -v[8:9]
	v_add_f64 v[4:5], v[4:5], v[132:133]
	v_add_f64 v[2:3], v[2:3], v[8:9]
	v_mul_f64 v[8:9], v[84:85], v[108:109]
	v_fmac_f64_e32 v[136:137], v[76:77], v[118:119]
	v_add_f64 v[4:5], v[4:5], v[134:135]
	s_waitcnt vmcnt(5)
	v_fma_f64 v[8:9], v[82:83], v[120:121], -v[8:9]
	v_add_f64 v[4:5], v[4:5], v[136:137]
	v_add_f64 v[2:3], v[2:3], v[8:9]
	v_mul_f64 v[8:9], v[88:89], v[104:105]
	v_fmac_f64_e32 v[140:141], v[84:85], v[120:121]
	v_add_f64 v[4:5], v[4:5], v[138:139]
	s_waitcnt vmcnt(4)
	v_fma_f64 v[8:9], v[86:87], v[106:107], -v[8:9]
	v_fmac_f64_e32 v[142:143], v[88:89], v[106:107]
	v_add_f64 v[4:5], v[4:5], v[140:141]
	v_add_f64 v[2:3], v[2:3], v[8:9]
	;; [unrolled: 1-line block ×3, first 2 shown]
	s_waitcnt vmcnt(2)
	v_add_f64 v[2:3], v[122:123], -v[2:3]
	s_waitcnt vmcnt(0)
	v_add_f64 v[4:5], v[124:125], -v[4:5]
	buffer_store_dword v3, off, s[0:3], 0 offset:84
	buffer_store_dword v2, off, s[0:3], 0 offset:80
	;; [unrolled: 1-line block ×4, first 2 shown]
	s_and_saveexec_b64 s[6:7], vcc
	s_cbranch_execz .LBB78_95
; %bb.94:
	buffer_load_dword v2, v60, s[0:3], 0 offen
	buffer_load_dword v3, v60, s[0:3], 0 offen offset:4
	buffer_load_dword v4, v60, s[0:3], 0 offen offset:8
	;; [unrolled: 1-line block ×3, first 2 shown]
	s_nop 0
	buffer_store_dword v6, off, s[0:3], 0 offset:64
	buffer_store_dword v6, off, s[0:3], 0 offset:68
	;; [unrolled: 1-line block ×4, first 2 shown]
	s_waitcnt vmcnt(4)
	ds_write_b128 v68, v[2:5]
.LBB78_95:
	s_or_b64 exec, exec, s[6:7]
	s_waitcnt lgkmcnt(0)
	; wave barrier
	s_waitcnt lgkmcnt(0)
	buffer_load_dword v4, off, s[0:3], 0 offset:80
	buffer_load_dword v5, off, s[0:3], 0 offset:84
	;; [unrolled: 1-line block ×44, first 2 shown]
	ds_read_b128 v[8:11], v6 offset:320
	ds_read_b128 v[12:15], v6 offset:336
	;; [unrolled: 1-line block ×10, first 2 shown]
	v_cmp_lt_u32_e32 vcc, 3, v67
	s_waitcnt vmcnt(40) lgkmcnt(9)
	v_mul_f64 v[6:7], v[8:9], v[16:17]
	v_mul_f64 v[16:17], v[10:11], v[16:17]
	s_waitcnt vmcnt(38) lgkmcnt(8)
	v_mul_f64 v[134:135], v[12:13], v[52:53]
	v_mul_f64 v[52:53], v[14:15], v[52:53]
	v_fmac_f64_e32 v[6:7], v[10:11], v[4:5]
	v_fma_f64 v[4:5], v[8:9], v[4:5], -v[16:17]
	s_waitcnt vmcnt(36) lgkmcnt(7)
	v_mul_f64 v[136:137], v[48:49], v[2:3]
	v_add_f64 v[4:5], v[4:5], 0
	v_mul_f64 v[2:3], v[50:51], v[2:3]
	v_add_f64 v[6:7], v[6:7], 0
	s_waitcnt vmcnt(30) lgkmcnt(6)
	v_mul_f64 v[138:139], v[70:71], v[102:103]
	s_waitcnt lgkmcnt(5)
	v_mul_f64 v[140:141], v[74:75], v[98:99]
	v_fmac_f64_e32 v[140:141], v[76:77], v[100:101]
	s_waitcnt vmcnt(28) lgkmcnt(3)
	v_mul_f64 v[144:145], v[82:83], v[104:105]
	s_waitcnt vmcnt(26)
	v_fmac_f64_e32 v[144:145], v[84:85], v[106:107]
	s_waitcnt vmcnt(24)
	v_mul_f64 v[142:143], v[78:79], v[108:109]
	s_waitcnt vmcnt(22) lgkmcnt(1)
	v_mul_f64 v[148:149], v[90:91], v[110:111]
	s_waitcnt vmcnt(20)
	v_fmac_f64_e32 v[148:149], v[92:93], v[112:113]
	s_waitcnt vmcnt(18)
	v_mul_f64 v[146:147], v[86:87], v[114:115]
	s_waitcnt vmcnt(16) lgkmcnt(0)
	v_mul_f64 v[150:151], v[94:95], v[116:117]
	s_waitcnt vmcnt(14)
	v_fma_f64 v[8:9], v[12:13], v[118:119], -v[52:53]
	v_add_f64 v[4:5], v[4:5], v[8:9]
	s_waitcnt vmcnt(12)
	v_fma_f64 v[2:3], v[48:49], v[120:121], -v[2:3]
	v_add_f64 v[2:3], v[4:5], v[2:3]
	v_mul_f64 v[4:5], v[72:73], v[102:103]
	s_waitcnt vmcnt(10)
	v_fma_f64 v[4:5], v[70:71], v[122:123], -v[4:5]
	v_add_f64 v[2:3], v[2:3], v[4:5]
	v_mul_f64 v[4:5], v[76:77], v[98:99]
	v_fma_f64 v[4:5], v[74:75], v[100:101], -v[4:5]
	v_add_f64 v[2:3], v[2:3], v[4:5]
	v_mul_f64 v[4:5], v[80:81], v[108:109]
	s_waitcnt vmcnt(8)
	v_fma_f64 v[4:5], v[78:79], v[124:125], -v[4:5]
	v_fmac_f64_e32 v[134:135], v[14:15], v[118:119]
	v_add_f64 v[2:3], v[2:3], v[4:5]
	v_mul_f64 v[4:5], v[84:85], v[104:105]
	v_fmac_f64_e32 v[136:137], v[50:51], v[120:121]
	v_add_f64 v[6:7], v[6:7], v[134:135]
	v_fma_f64 v[4:5], v[82:83], v[106:107], -v[4:5]
	v_fmac_f64_e32 v[138:139], v[72:73], v[122:123]
	v_add_f64 v[6:7], v[6:7], v[136:137]
	v_add_f64 v[2:3], v[2:3], v[4:5]
	v_mul_f64 v[4:5], v[88:89], v[114:115]
	v_add_f64 v[6:7], v[6:7], v[138:139]
	s_waitcnt vmcnt(6)
	v_fma_f64 v[4:5], v[86:87], v[126:127], -v[4:5]
	v_fmac_f64_e32 v[142:143], v[80:81], v[124:125]
	v_add_f64 v[6:7], v[6:7], v[140:141]
	v_add_f64 v[2:3], v[2:3], v[4:5]
	v_mul_f64 v[4:5], v[92:93], v[110:111]
	v_add_f64 v[6:7], v[6:7], v[142:143]
	v_fma_f64 v[4:5], v[90:91], v[112:113], -v[4:5]
	v_fmac_f64_e32 v[146:147], v[88:89], v[126:127]
	v_add_f64 v[6:7], v[6:7], v[144:145]
	v_add_f64 v[2:3], v[2:3], v[4:5]
	v_mul_f64 v[4:5], v[96:97], v[116:117]
	v_add_f64 v[6:7], v[6:7], v[146:147]
	s_waitcnt vmcnt(4)
	v_fma_f64 v[4:5], v[94:95], v[128:129], -v[4:5]
	v_fmac_f64_e32 v[150:151], v[96:97], v[128:129]
	v_add_f64 v[6:7], v[6:7], v[148:149]
	v_add_f64 v[2:3], v[2:3], v[4:5]
	v_add_f64 v[6:7], v[6:7], v[150:151]
	s_waitcnt vmcnt(2)
	v_add_f64 v[2:3], v[130:131], -v[2:3]
	s_waitcnt vmcnt(0)
	v_add_f64 v[4:5], v[132:133], -v[6:7]
	buffer_store_dword v3, off, s[0:3], 0 offset:68
	buffer_store_dword v2, off, s[0:3], 0 offset:64
	;; [unrolled: 1-line block ×4, first 2 shown]
	s_and_saveexec_b64 s[6:7], vcc
	s_cbranch_execz .LBB78_97
; %bb.96:
	buffer_load_dword v2, v65, s[0:3], 0 offen
	buffer_load_dword v3, v65, s[0:3], 0 offen offset:4
	buffer_load_dword v4, v65, s[0:3], 0 offen offset:8
	;; [unrolled: 1-line block ×3, first 2 shown]
	v_mov_b32_e32 v6, 0
	buffer_store_dword v6, off, s[0:3], 0 offset:48
	buffer_store_dword v6, off, s[0:3], 0 offset:52
	;; [unrolled: 1-line block ×4, first 2 shown]
	s_waitcnt vmcnt(4)
	ds_write_b128 v68, v[2:5]
.LBB78_97:
	s_or_b64 exec, exec, s[6:7]
	s_waitcnt lgkmcnt(0)
	; wave barrier
	s_waitcnt lgkmcnt(0)
	buffer_load_dword v2, off, s[0:3], 0 offset:64
	buffer_load_dword v3, off, s[0:3], 0 offset:68
	;; [unrolled: 1-line block ×48, first 2 shown]
	v_mov_b32_e32 v12, 0
	ds_read_b128 v[14:17], v12 offset:304
	ds_read_b128 v[48:51], v12 offset:320
	;; [unrolled: 1-line block ×11, first 2 shown]
	v_cmp_lt_u32_e32 vcc, 2, v67
	s_waitcnt vmcnt(44) lgkmcnt(10)
	v_mul_f64 v[142:143], v[14:15], v[6:7]
	v_mul_f64 v[6:7], v[16:17], v[6:7]
	v_fmac_f64_e32 v[142:143], v[16:17], v[2:3]
	v_fma_f64 v[2:3], v[14:15], v[2:3], -v[6:7]
	s_waitcnt vmcnt(40) lgkmcnt(9)
	v_mul_f64 v[144:145], v[48:49], v[8:9]
	v_mul_f64 v[6:7], v[50:51], v[8:9]
	v_fmac_f64_e32 v[144:145], v[50:51], v[4:5]
	v_add_f64 v[2:3], v[2:3], 0
	v_fma_f64 v[4:5], v[48:49], v[4:5], -v[6:7]
	v_add_f64 v[2:3], v[2:3], v[4:5]
	s_waitcnt vmcnt(38) lgkmcnt(8)
	v_mul_f64 v[4:5], v[72:73], v[10:11]
	v_mul_f64 v[146:147], v[70:71], v[10:11]
	v_add_f64 v[142:143], v[142:143], 0
	s_waitcnt vmcnt(32) lgkmcnt(7)
	v_mul_f64 v[148:149], v[74:75], v[108:109]
	v_add_f64 v[142:143], v[142:143], v[144:145]
	s_waitcnt lgkmcnt(6)
	v_mul_f64 v[150:151], v[78:79], v[52:53]
	v_fmac_f64_e32 v[150:151], v[80:81], v[106:107]
	s_waitcnt vmcnt(30) lgkmcnt(4)
	v_mul_f64 v[154:155], v[86:87], v[110:111]
	s_waitcnt vmcnt(26)
	v_mul_f64 v[152:153], v[82:83], v[114:115]
	v_fmac_f64_e32 v[154:155], v[88:89], v[112:113]
	s_waitcnt vmcnt(24) lgkmcnt(2)
	v_mul_f64 v[158:159], v[94:95], v[116:117]
	s_waitcnt vmcnt(22)
	v_fmac_f64_e32 v[158:159], v[96:97], v[118:119]
	s_waitcnt vmcnt(20)
	v_mul_f64 v[156:157], v[90:91], v[120:121]
	s_waitcnt vmcnt(16) lgkmcnt(1)
	v_mul_f64 v[160:161], v[98:99], v[126:127]
	s_waitcnt vmcnt(14)
	v_fma_f64 v[4:5], v[70:71], v[128:129], -v[4:5]
	v_add_f64 v[2:3], v[2:3], v[4:5]
	v_mul_f64 v[4:5], v[76:77], v[108:109]
	s_waitcnt vmcnt(12)
	v_fma_f64 v[4:5], v[74:75], v[130:131], -v[4:5]
	v_add_f64 v[2:3], v[2:3], v[4:5]
	v_mul_f64 v[4:5], v[80:81], v[52:53]
	v_fma_f64 v[4:5], v[78:79], v[106:107], -v[4:5]
	v_add_f64 v[2:3], v[2:3], v[4:5]
	v_mul_f64 v[4:5], v[84:85], v[114:115]
	s_waitcnt vmcnt(10)
	v_fma_f64 v[4:5], v[82:83], v[132:133], -v[4:5]
	v_add_f64 v[2:3], v[2:3], v[4:5]
	v_mul_f64 v[4:5], v[88:89], v[110:111]
	v_fma_f64 v[4:5], v[86:87], v[112:113], -v[4:5]
	v_fmac_f64_e32 v[146:147], v[72:73], v[128:129]
	v_add_f64 v[2:3], v[2:3], v[4:5]
	v_mul_f64 v[4:5], v[92:93], v[120:121]
	v_fmac_f64_e32 v[148:149], v[76:77], v[130:131]
	v_add_f64 v[142:143], v[142:143], v[146:147]
	s_waitcnt vmcnt(8)
	v_fma_f64 v[4:5], v[90:91], v[134:135], -v[4:5]
	v_add_f64 v[142:143], v[142:143], v[148:149]
	v_add_f64 v[2:3], v[2:3], v[4:5]
	v_mul_f64 v[4:5], v[96:97], v[116:117]
	v_fmac_f64_e32 v[152:153], v[84:85], v[132:133]
	v_add_f64 v[142:143], v[142:143], v[150:151]
	v_fma_f64 v[4:5], v[94:95], v[118:119], -v[4:5]
	v_add_f64 v[142:143], v[142:143], v[152:153]
	v_add_f64 v[2:3], v[2:3], v[4:5]
	v_mul_f64 v[4:5], v[100:101], v[126:127]
	v_fmac_f64_e32 v[156:157], v[92:93], v[134:135]
	v_add_f64 v[142:143], v[142:143], v[154:155]
	s_waitcnt vmcnt(6)
	v_fma_f64 v[4:5], v[98:99], v[136:137], -v[4:5]
	v_add_f64 v[142:143], v[142:143], v[156:157]
	v_add_f64 v[2:3], v[2:3], v[4:5]
	s_waitcnt vmcnt(5) lgkmcnt(0)
	v_mul_f64 v[4:5], v[104:105], v[122:123]
	v_fmac_f64_e32 v[160:161], v[100:101], v[136:137]
	v_add_f64 v[142:143], v[142:143], v[158:159]
	v_mul_f64 v[144:145], v[102:103], v[122:123]
	s_waitcnt vmcnt(4)
	v_fma_f64 v[4:5], v[102:103], v[124:125], -v[4:5]
	v_add_f64 v[142:143], v[142:143], v[160:161]
	v_fmac_f64_e32 v[144:145], v[104:105], v[124:125]
	v_add_f64 v[2:3], v[2:3], v[4:5]
	v_add_f64 v[142:143], v[142:143], v[144:145]
	s_waitcnt vmcnt(2)
	v_add_f64 v[2:3], v[138:139], -v[2:3]
	s_waitcnt vmcnt(0)
	v_add_f64 v[4:5], v[140:141], -v[142:143]
	buffer_store_dword v3, off, s[0:3], 0 offset:52
	buffer_store_dword v2, off, s[0:3], 0 offset:48
	;; [unrolled: 1-line block ×4, first 2 shown]
	s_and_saveexec_b64 s[6:7], vcc
	s_cbranch_execz .LBB78_99
; %bb.98:
	buffer_load_dword v2, v66, s[0:3], 0 offen
	buffer_load_dword v3, v66, s[0:3], 0 offen offset:4
	buffer_load_dword v4, v66, s[0:3], 0 offen offset:8
	;; [unrolled: 1-line block ×3, first 2 shown]
	s_nop 0
	buffer_store_dword v12, off, s[0:3], 0 offset:32
	buffer_store_dword v12, off, s[0:3], 0 offset:36
	;; [unrolled: 1-line block ×4, first 2 shown]
	s_waitcnt vmcnt(4)
	ds_write_b128 v68, v[2:5]
.LBB78_99:
	s_or_b64 exec, exec, s[6:7]
	s_waitcnt lgkmcnt(0)
	; wave barrier
	s_waitcnt lgkmcnt(0)
	buffer_load_dword v2, off, s[0:3], 0 offset:48
	buffer_load_dword v3, off, s[0:3], 0 offset:52
	;; [unrolled: 1-line block ×52, first 2 shown]
	ds_read_b128 v[14:17], v12 offset:288
	ds_read_b128 v[48:51], v12 offset:304
	;; [unrolled: 1-line block ×10, first 2 shown]
	v_cmp_lt_u32_e32 vcc, 1, v67
	s_waitcnt vmcnt(48) lgkmcnt(9)
	v_mul_f64 v[102:103], v[14:15], v[6:7]
	v_mul_f64 v[6:7], v[16:17], v[6:7]
	v_fmac_f64_e32 v[102:103], v[16:17], v[2:3]
	v_fma_f64 v[2:3], v[14:15], v[2:3], -v[6:7]
	s_waitcnt vmcnt(44) lgkmcnt(8)
	v_mul_f64 v[104:105], v[48:49], v[8:9]
	v_mul_f64 v[6:7], v[50:51], v[8:9]
	v_fmac_f64_e32 v[104:105], v[50:51], v[4:5]
	v_add_f64 v[2:3], v[2:3], 0
	v_fma_f64 v[4:5], v[48:49], v[4:5], -v[6:7]
	v_add_f64 v[2:3], v[2:3], v[4:5]
	s_waitcnt vmcnt(42) lgkmcnt(7)
	v_mul_f64 v[4:5], v[72:73], v[10:11]
	v_mul_f64 v[106:107], v[70:71], v[10:11]
	v_add_f64 v[102:103], v[102:103], 0
	s_waitcnt vmcnt(36) lgkmcnt(6)
	v_mul_f64 v[108:109], v[74:75], v[112:113]
	v_add_f64 v[102:103], v[102:103], v[104:105]
	s_waitcnt lgkmcnt(5)
	v_mul_f64 v[150:151], v[78:79], v[52:53]
	v_fmac_f64_e32 v[150:151], v[80:81], v[110:111]
	s_waitcnt vmcnt(34) lgkmcnt(3)
	v_mul_f64 v[154:155], v[86:87], v[114:115]
	s_waitcnt vmcnt(30)
	v_mul_f64 v[152:153], v[82:83], v[118:119]
	v_fmac_f64_e32 v[154:155], v[88:89], v[116:117]
	s_waitcnt vmcnt(26) lgkmcnt(2)
	v_mul_f64 v[156:157], v[90:91], v[124:125]
	s_waitcnt vmcnt(25) lgkmcnt(1)
	v_mul_f64 v[158:159], v[94:95], v[120:121]
	s_waitcnt vmcnt(23)
	v_fma_f64 v[4:5], v[70:71], v[126:127], -v[4:5]
	v_add_f64 v[2:3], v[2:3], v[4:5]
	v_mul_f64 v[4:5], v[76:77], v[112:113]
	s_waitcnt vmcnt(21)
	v_fma_f64 v[4:5], v[74:75], v[128:129], -v[4:5]
	v_fmac_f64_e32 v[106:107], v[72:73], v[126:127]
	v_add_f64 v[2:3], v[2:3], v[4:5]
	v_mul_f64 v[4:5], v[80:81], v[52:53]
	v_fmac_f64_e32 v[108:109], v[76:77], v[128:129]
	v_add_f64 v[102:103], v[102:103], v[106:107]
	v_fma_f64 v[4:5], v[78:79], v[110:111], -v[4:5]
	v_add_f64 v[102:103], v[102:103], v[108:109]
	v_add_f64 v[2:3], v[2:3], v[4:5]
	v_mul_f64 v[4:5], v[84:85], v[118:119]
	s_waitcnt vmcnt(19)
	v_fmac_f64_e32 v[152:153], v[84:85], v[130:131]
	v_add_f64 v[102:103], v[102:103], v[150:151]
	v_fma_f64 v[4:5], v[82:83], v[130:131], -v[4:5]
	v_add_f64 v[102:103], v[102:103], v[152:153]
	v_add_f64 v[2:3], v[2:3], v[4:5]
	v_mul_f64 v[4:5], v[88:89], v[114:115]
	s_waitcnt vmcnt(17)
	v_fmac_f64_e32 v[156:157], v[92:93], v[132:133]
	v_add_f64 v[102:103], v[102:103], v[154:155]
	v_fma_f64 v[4:5], v[86:87], v[116:117], -v[4:5]
	s_waitcnt vmcnt(16)
	v_fmac_f64_e32 v[158:159], v[96:97], v[122:123]
	v_add_f64 v[102:103], v[102:103], v[156:157]
	v_add_f64 v[2:3], v[2:3], v[4:5]
	v_mul_f64 v[4:5], v[92:93], v[124:125]
	v_add_f64 v[150:151], v[102:103], v[158:159]
	ds_read_b128 v[102:105], v12 offset:448
	ds_read_b128 v[106:109], v12 offset:464
	v_fma_f64 v[4:5], v[90:91], v[132:133], -v[4:5]
	v_add_f64 v[2:3], v[2:3], v[4:5]
	v_mul_f64 v[4:5], v[96:97], v[120:121]
	v_fma_f64 v[4:5], v[94:95], v[122:123], -v[4:5]
	v_add_f64 v[2:3], v[2:3], v[4:5]
	s_waitcnt vmcnt(12) lgkmcnt(2)
	v_mul_f64 v[4:5], v[100:101], v[138:139]
	v_mul_f64 v[152:153], v[98:99], v[138:139]
	s_waitcnt vmcnt(10)
	v_fma_f64 v[4:5], v[98:99], v[140:141], -v[4:5]
	v_fmac_f64_e32 v[152:153], v[100:101], v[140:141]
	v_add_f64 v[2:3], v[2:3], v[4:5]
	s_waitcnt vmcnt(8) lgkmcnt(1)
	v_mul_f64 v[4:5], v[104:105], v[134:135]
	v_add_f64 v[12:13], v[150:151], v[152:153]
	v_mul_f64 v[150:151], v[102:103], v[134:135]
	v_fma_f64 v[4:5], v[102:103], v[136:137], -v[4:5]
	v_fmac_f64_e32 v[150:151], v[104:105], v[136:137]
	v_add_f64 v[2:3], v[2:3], v[4:5]
	s_waitcnt vmcnt(6) lgkmcnt(0)
	v_mul_f64 v[4:5], v[108:109], v[142:143]
	v_add_f64 v[12:13], v[12:13], v[150:151]
	v_mul_f64 v[150:151], v[106:107], v[142:143]
	s_waitcnt vmcnt(4)
	v_fma_f64 v[4:5], v[106:107], v[144:145], -v[4:5]
	v_fmac_f64_e32 v[150:151], v[108:109], v[144:145]
	v_add_f64 v[2:3], v[2:3], v[4:5]
	v_add_f64 v[12:13], v[12:13], v[150:151]
	s_waitcnt vmcnt(2)
	v_add_f64 v[2:3], v[146:147], -v[2:3]
	s_waitcnt vmcnt(0)
	v_add_f64 v[4:5], v[148:149], -v[12:13]
	buffer_store_dword v3, off, s[0:3], 0 offset:36
	buffer_store_dword v2, off, s[0:3], 0 offset:32
	;; [unrolled: 1-line block ×4, first 2 shown]
	s_and_saveexec_b64 s[6:7], vcc
	s_cbranch_execz .LBB78_101
; %bb.100:
	buffer_load_dword v2, v64, s[0:3], 0 offen
	buffer_load_dword v3, v64, s[0:3], 0 offen offset:4
	buffer_load_dword v4, v64, s[0:3], 0 offen offset:8
	;; [unrolled: 1-line block ×3, first 2 shown]
	v_mov_b32_e32 v6, 0
	buffer_store_dword v6, off, s[0:3], 0 offset:16
	buffer_store_dword v6, off, s[0:3], 0 offset:20
	;; [unrolled: 1-line block ×4, first 2 shown]
	s_waitcnt vmcnt(4)
	ds_write_b128 v68, v[2:5]
.LBB78_101:
	s_or_b64 exec, exec, s[6:7]
	s_waitcnt lgkmcnt(0)
	; wave barrier
	s_waitcnt lgkmcnt(0)
	buffer_load_dword v2, off, s[0:3], 0 offset:32
	buffer_load_dword v3, off, s[0:3], 0 offset:36
	;; [unrolled: 1-line block ×56, first 2 shown]
	v_mov_b32_e32 v69, 0
	ds_read_b128 v[48:51], v69 offset:272
	ds_read_b128 v[70:73], v69 offset:288
	;; [unrolled: 1-line block ×9, first 2 shown]
	v_cmp_ne_u32_e32 vcc, 0, v67
	s_waitcnt vmcnt(52) lgkmcnt(8)
	v_mul_f64 v[98:99], v[48:49], v[6:7]
	v_fmac_f64_e32 v[98:99], v[50:51], v[2:3]
	v_mul_f64 v[6:7], v[50:51], v[6:7]
	v_add_f64 v[98:99], v[98:99], 0
	s_waitcnt vmcnt(48) lgkmcnt(7)
	v_mul_f64 v[100:101], v[70:71], v[8:9]
	v_fmac_f64_e32 v[100:101], v[72:73], v[4:5]
	s_waitcnt vmcnt(46) lgkmcnt(6)
	v_mul_f64 v[102:103], v[74:75], v[10:11]
	v_fma_f64 v[2:3], v[48:49], v[2:3], -v[6:7]
	v_mul_f64 v[6:7], v[72:73], v[8:9]
	v_add_f64 v[98:99], v[98:99], v[100:101]
	v_add_f64 v[2:3], v[2:3], 0
	v_fma_f64 v[4:5], v[70:71], v[4:5], -v[6:7]
	s_waitcnt vmcnt(40) lgkmcnt(5)
	v_mul_f64 v[104:105], v[78:79], v[16:17]
	s_waitcnt lgkmcnt(4)
	v_mul_f64 v[106:107], v[82:83], v[12:13]
	v_add_f64 v[2:3], v[2:3], v[4:5]
	v_mul_f64 v[4:5], v[76:77], v[10:11]
	s_waitcnt vmcnt(36) lgkmcnt(3)
	v_mul_f64 v[108:109], v[86:87], v[120:121]
	v_fmac_f64_e32 v[106:107], v[84:85], v[14:15]
	s_waitcnt vmcnt(35) lgkmcnt(2)
	v_mul_f64 v[110:111], v[90:91], v[52:53]
	s_waitcnt vmcnt(33)
	v_fmac_f64_e32 v[102:103], v[76:77], v[122:123]
	v_add_f64 v[98:99], v[98:99], v[102:103]
	s_waitcnt vmcnt(31)
	v_fmac_f64_e32 v[104:105], v[80:81], v[124:125]
	v_add_f64 v[98:99], v[98:99], v[104:105]
	v_fma_f64 v[4:5], v[74:75], v[122:123], -v[4:5]
	s_waitcnt vmcnt(29)
	v_fmac_f64_e32 v[108:109], v[88:89], v[126:127]
	v_add_f64 v[98:99], v[98:99], v[106:107]
	v_add_f64 v[2:3], v[2:3], v[4:5]
	v_mul_f64 v[4:5], v[80:81], v[16:17]
	s_waitcnt vmcnt(28)
	v_fmac_f64_e32 v[110:111], v[92:93], v[118:119]
	v_add_f64 v[98:99], v[98:99], v[108:109]
	v_fma_f64 v[4:5], v[78:79], v[124:125], -v[4:5]
	v_add_f64 v[102:103], v[98:99], v[110:111]
	ds_read_b128 v[98:101], v69 offset:400
	s_waitcnt vmcnt(24) lgkmcnt(2)
	v_mul_f64 v[104:105], v[94:95], v[132:133]
	v_add_f64 v[2:3], v[2:3], v[4:5]
	v_mul_f64 v[4:5], v[84:85], v[12:13]
	s_waitcnt vmcnt(22)
	v_fmac_f64_e32 v[104:105], v[96:97], v[134:135]
	v_fma_f64 v[4:5], v[82:83], v[14:15], -v[4:5]
	v_add_f64 v[106:107], v[102:103], v[104:105]
	ds_read_b128 v[102:105], v69 offset:416
	v_add_f64 v[2:3], v[2:3], v[4:5]
	v_mul_f64 v[4:5], v[88:89], v[120:121]
	v_fma_f64 v[4:5], v[86:87], v[126:127], -v[4:5]
	v_add_f64 v[2:3], v[2:3], v[4:5]
	v_mul_f64 v[4:5], v[92:93], v[52:53]
	s_waitcnt vmcnt(20) lgkmcnt(1)
	v_mul_f64 v[108:109], v[98:99], v[128:129]
	v_fma_f64 v[4:5], v[90:91], v[118:119], -v[4:5]
	v_fmac_f64_e32 v[108:109], v[100:101], v[130:131]
	v_add_f64 v[2:3], v[2:3], v[4:5]
	v_mul_f64 v[4:5], v[96:97], v[132:133]
	v_add_f64 v[110:111], v[106:107], v[108:109]
	ds_read_b128 v[106:109], v69 offset:432
	s_waitcnt vmcnt(16) lgkmcnt(1)
	v_mul_f64 v[112:113], v[102:103], v[140:141]
	v_fma_f64 v[4:5], v[94:95], v[134:135], -v[4:5]
	s_waitcnt vmcnt(14)
	v_fmac_f64_e32 v[112:113], v[104:105], v[142:143]
	v_add_f64 v[2:3], v[2:3], v[4:5]
	v_mul_f64 v[4:5], v[100:101], v[128:129]
	v_add_f64 v[156:157], v[110:111], v[112:113]
	ds_read_b128 v[110:113], v69 offset:448
	v_fma_f64 v[4:5], v[98:99], v[130:131], -v[4:5]
	v_add_f64 v[2:3], v[2:3], v[4:5]
	v_mul_f64 v[4:5], v[104:105], v[140:141]
	v_fma_f64 v[4:5], v[102:103], v[142:143], -v[4:5]
	v_add_f64 v[2:3], v[2:3], v[4:5]
	s_waitcnt vmcnt(12) lgkmcnt(1)
	v_mul_f64 v[4:5], v[108:109], v[136:137]
	v_mul_f64 v[158:159], v[106:107], v[136:137]
	v_fma_f64 v[4:5], v[106:107], v[138:139], -v[4:5]
	v_fmac_f64_e32 v[158:159], v[108:109], v[138:139]
	v_add_f64 v[2:3], v[2:3], v[4:5]
	s_waitcnt vmcnt(8) lgkmcnt(0)
	v_mul_f64 v[4:5], v[112:113], v[148:149]
	v_add_f64 v[156:157], v[156:157], v[158:159]
	v_mul_f64 v[158:159], v[110:111], v[148:149]
	s_waitcnt vmcnt(6)
	v_fma_f64 v[4:5], v[110:111], v[150:151], -v[4:5]
	v_fmac_f64_e32 v[158:159], v[112:113], v[150:151]
	v_add_f64 v[2:3], v[2:3], v[4:5]
	s_waitcnt vmcnt(5)
	v_mul_f64 v[4:5], v[116:117], v[144:145]
	v_add_f64 v[156:157], v[156:157], v[158:159]
	v_mul_f64 v[158:159], v[114:115], v[144:145]
	s_waitcnt vmcnt(4)
	v_fma_f64 v[4:5], v[114:115], v[146:147], -v[4:5]
	v_fmac_f64_e32 v[158:159], v[116:117], v[146:147]
	v_add_f64 v[2:3], v[2:3], v[4:5]
	v_add_f64 v[156:157], v[156:157], v[158:159]
	s_waitcnt vmcnt(2)
	v_add_f64 v[2:3], v[152:153], -v[2:3]
	s_waitcnt vmcnt(0)
	v_add_f64 v[4:5], v[154:155], -v[156:157]
	buffer_store_dword v3, off, s[0:3], 0 offset:20
	buffer_store_dword v2, off, s[0:3], 0 offset:16
	;; [unrolled: 1-line block ×4, first 2 shown]
	s_and_saveexec_b64 s[6:7], vcc
	s_cbranch_execz .LBB78_103
; %bb.102:
	buffer_load_dword v2, off, s[0:3], 0
	buffer_load_dword v3, off, s[0:3], 0 offset:4
	buffer_load_dword v4, off, s[0:3], 0 offset:8
	;; [unrolled: 1-line block ×3, first 2 shown]
	s_nop 0
	buffer_store_dword v69, off, s[0:3], 0
	buffer_store_dword v69, off, s[0:3], 0 offset:4
	buffer_store_dword v69, off, s[0:3], 0 offset:8
	;; [unrolled: 1-line block ×3, first 2 shown]
	s_waitcnt vmcnt(4)
	ds_write_b128 v68, v[2:5]
.LBB78_103:
	s_or_b64 exec, exec, s[6:7]
	s_waitcnt lgkmcnt(0)
	; wave barrier
	s_waitcnt lgkmcnt(0)
	buffer_load_dword v2, off, s[0:3], 0 offset:16
	buffer_load_dword v3, off, s[0:3], 0 offset:20
	;; [unrolled: 1-line block ×56, first 2 shown]
	buffer_load_dword v160, off, s[0:3], 0
	buffer_load_dword v161, off, s[0:3], 0 offset:4
	buffer_load_dword v162, off, s[0:3], 0 offset:8
	;; [unrolled: 1-line block ×3, first 2 shown]
	ds_read_b128 v[70:73], v69 offset:256
	ds_read_b128 v[74:77], v69 offset:272
	;; [unrolled: 1-line block ×8, first 2 shown]
	s_and_b64 vcc, exec, s[18:19]
	ds_read_b128 v[122:125], v69 offset:464
	s_waitcnt vmcnt(56) lgkmcnt(8)
	v_mul_f64 v[102:103], v[70:71], v[6:7]
	v_fmac_f64_e32 v[102:103], v[72:73], v[2:3]
	v_add_f64 v[102:103], v[102:103], 0
	v_mul_f64 v[6:7], v[72:73], v[6:7]
	s_waitcnt vmcnt(52) lgkmcnt(7)
	v_mul_f64 v[104:105], v[74:75], v[8:9]
	v_fmac_f64_e32 v[104:105], v[76:77], v[4:5]
	s_waitcnt vmcnt(50) lgkmcnt(6)
	v_mul_f64 v[106:107], v[78:79], v[10:11]
	v_add_f64 v[102:103], v[102:103], v[104:105]
	s_waitcnt vmcnt(48) lgkmcnt(4)
	v_mul_f64 v[110:111], v[86:87], v[12:13]
	v_fma_f64 v[2:3], v[70:71], v[2:3], -v[6:7]
	s_waitcnt vmcnt(46)
	v_fmac_f64_e32 v[110:111], v[88:89], v[14:15]
	v_mul_f64 v[6:7], v[76:77], v[8:9]
	s_waitcnt vmcnt(44)
	v_mul_f64 v[108:109], v[82:83], v[16:17]
	v_add_f64 v[2:3], v[2:3], 0
	v_fma_f64 v[4:5], v[74:75], v[4:5], -v[6:7]
	v_add_f64 v[2:3], v[2:3], v[4:5]
	s_waitcnt vmcnt(40) lgkmcnt(3)
	v_mul_f64 v[112:113], v[90:91], v[52:53]
	v_mul_f64 v[4:5], v[80:81], v[10:11]
	s_waitcnt vmcnt(38)
	v_fmac_f64_e32 v[106:107], v[80:81], v[126:127]
	v_add_f64 v[102:103], v[102:103], v[106:107]
	s_waitcnt vmcnt(36)
	v_fmac_f64_e32 v[108:109], v[84:85], v[128:129]
	v_add_f64 v[102:103], v[102:103], v[108:109]
	;; [unrolled: 3-line block ×3, first 2 shown]
	s_waitcnt vmcnt(32) lgkmcnt(2)
	v_mul_f64 v[104:105], v[94:95], v[48:49]
	v_add_f64 v[102:103], v[102:103], v[112:113]
	v_fmac_f64_e32 v[104:105], v[96:97], v[50:51]
	v_add_f64 v[106:107], v[102:103], v[104:105]
	ds_read_b128 v[102:105], v69 offset:384
	v_fma_f64 v[4:5], v[78:79], v[126:127], -v[4:5]
	v_add_f64 v[2:3], v[2:3], v[4:5]
	v_mul_f64 v[4:5], v[84:85], v[16:17]
	v_fma_f64 v[4:5], v[82:83], v[128:129], -v[4:5]
	s_waitcnt vmcnt(28) lgkmcnt(2)
	v_mul_f64 v[108:109], v[98:99], v[136:137]
	v_add_f64 v[2:3], v[2:3], v[4:5]
	v_mul_f64 v[4:5], v[88:89], v[12:13]
	s_waitcnt vmcnt(26)
	v_fmac_f64_e32 v[108:109], v[100:101], v[138:139]
	v_fma_f64 v[4:5], v[86:87], v[14:15], -v[4:5]
	v_add_f64 v[110:111], v[106:107], v[108:109]
	ds_read_b128 v[106:109], v69 offset:400
	s_waitcnt vmcnt(24) lgkmcnt(1)
	v_mul_f64 v[112:113], v[102:103], v[132:133]
	v_add_f64 v[2:3], v[2:3], v[4:5]
	v_mul_f64 v[4:5], v[92:93], v[52:53]
	v_fmac_f64_e32 v[112:113], v[104:105], v[134:135]
	v_fma_f64 v[4:5], v[90:91], v[130:131], -v[4:5]
	v_add_f64 v[114:115], v[110:111], v[112:113]
	ds_read_b128 v[110:113], v69 offset:416
	v_add_f64 v[2:3], v[2:3], v[4:5]
	v_mul_f64 v[4:5], v[96:97], v[48:49]
	v_fma_f64 v[4:5], v[94:95], v[50:51], -v[4:5]
	v_add_f64 v[2:3], v[2:3], v[4:5]
	v_mul_f64 v[4:5], v[100:101], v[136:137]
	s_waitcnt vmcnt(20) lgkmcnt(1)
	v_mul_f64 v[116:117], v[106:107], v[144:145]
	v_fma_f64 v[4:5], v[98:99], v[138:139], -v[4:5]
	s_waitcnt vmcnt(18)
	v_fmac_f64_e32 v[116:117], v[108:109], v[146:147]
	v_add_f64 v[2:3], v[2:3], v[4:5]
	v_mul_f64 v[4:5], v[104:105], v[132:133]
	v_add_f64 v[118:119], v[114:115], v[116:117]
	ds_read_b128 v[114:117], v69 offset:432
	s_waitcnt vmcnt(16) lgkmcnt(1)
	v_mul_f64 v[120:121], v[110:111], v[140:141]
	v_fma_f64 v[4:5], v[102:103], v[134:135], -v[4:5]
	v_fmac_f64_e32 v[120:121], v[112:113], v[142:143]
	v_add_f64 v[2:3], v[2:3], v[4:5]
	v_mul_f64 v[4:5], v[108:109], v[144:145]
	v_add_f64 v[164:165], v[118:119], v[120:121]
	ds_read_b128 v[118:121], v69 offset:448
	v_fma_f64 v[4:5], v[106:107], v[146:147], -v[4:5]
	v_add_f64 v[2:3], v[2:3], v[4:5]
	v_mul_f64 v[4:5], v[112:113], v[140:141]
	v_fma_f64 v[4:5], v[110:111], v[142:143], -v[4:5]
	v_add_f64 v[2:3], v[2:3], v[4:5]
	s_waitcnt vmcnt(12) lgkmcnt(1)
	v_mul_f64 v[4:5], v[116:117], v[152:153]
	v_mul_f64 v[166:167], v[114:115], v[152:153]
	s_waitcnt vmcnt(10)
	v_fma_f64 v[4:5], v[114:115], v[154:155], -v[4:5]
	v_fmac_f64_e32 v[166:167], v[116:117], v[154:155]
	v_add_f64 v[2:3], v[2:3], v[4:5]
	s_waitcnt vmcnt(8) lgkmcnt(0)
	v_mul_f64 v[4:5], v[120:121], v[148:149]
	v_add_f64 v[68:69], v[164:165], v[166:167]
	v_mul_f64 v[164:165], v[118:119], v[148:149]
	v_fma_f64 v[4:5], v[118:119], v[150:151], -v[4:5]
	v_fmac_f64_e32 v[164:165], v[120:121], v[150:151]
	v_add_f64 v[2:3], v[2:3], v[4:5]
	s_waitcnt vmcnt(6)
	v_mul_f64 v[4:5], v[124:125], v[156:157]
	v_add_f64 v[68:69], v[68:69], v[164:165]
	v_mul_f64 v[164:165], v[122:123], v[156:157]
	s_waitcnt vmcnt(4)
	v_fma_f64 v[4:5], v[122:123], v[158:159], -v[4:5]
	v_fmac_f64_e32 v[164:165], v[124:125], v[158:159]
	v_add_f64 v[2:3], v[2:3], v[4:5]
	v_add_f64 v[68:69], v[68:69], v[164:165]
	s_waitcnt vmcnt(2)
	v_add_f64 v[2:3], v[160:161], -v[2:3]
	s_waitcnt vmcnt(0)
	v_add_f64 v[4:5], v[162:163], -v[68:69]
	buffer_store_dword v3, off, s[0:3], 0 offset:4
	buffer_store_dword v2, off, s[0:3], 0
	buffer_store_dword v5, off, s[0:3], 0 offset:12
	buffer_store_dword v4, off, s[0:3], 0 offset:8
	s_cbranch_vccz .LBB78_133
; %bb.104:
	v_pk_mov_b32 v[2:3], s[16:17], s[16:17] op_sel:[0,1]
	flat_load_dword v2, v[2:3] offset:52
	s_load_dwordx2 s[4:5], s[4:5], 0x4
	v_bfe_u32 v4, v0, 10, 10
	v_bfe_u32 v0, v0, 20, 10
	s_waitcnt lgkmcnt(0)
	s_lshr_b32 s4, s4, 16
	s_mul_i32 s4, s4, s5
	v_mul_u32_u24_e32 v3, s4, v67
	v_mul_u32_u24_e32 v4, s5, v4
	v_add3_u32 v0, v3, v4, v0
	v_mov_b32_e32 v3, 0x1e8
	v_lshl_add_u32 v0, v0, 4, v3
	s_waitcnt vmcnt(0)
	v_add_u32_e32 v2, -1, v2
	v_cmp_ne_u32_e32 vcc, 13, v2
	s_and_saveexec_b64 s[4:5], vcc
	s_cbranch_execz .LBB78_106
; %bb.105:
	v_mov_b32_e32 v3, 0
	v_lshl_add_u32 v6, v2, 4, v3
	buffer_load_dword v2, v54, s[0:3], 0 offen
	buffer_load_dword v3, v54, s[0:3], 0 offen offset:4
	buffer_load_dword v4, v54, s[0:3], 0 offen offset:8
	buffer_load_dword v5, v54, s[0:3], 0 offen offset:12
	buffer_load_dword v7, v6, s[0:3], 0 offen
	buffer_load_dword v8, v6, s[0:3], 0 offen offset:4
	buffer_load_dword v9, v6, s[0:3], 0 offen offset:8
	buffer_load_dword v10, v6, s[0:3], 0 offen offset:12
	s_waitcnt vmcnt(4)
	ds_write2_b64 v0, v[2:3], v[4:5] offset1:1
	s_waitcnt vmcnt(3)
	buffer_store_dword v7, v54, s[0:3], 0 offen
	s_waitcnt vmcnt(3)
	buffer_store_dword v8, v54, s[0:3], 0 offen offset:4
	s_waitcnt vmcnt(3)
	buffer_store_dword v9, v54, s[0:3], 0 offen offset:8
	s_waitcnt vmcnt(3)
	buffer_store_dword v10, v54, s[0:3], 0 offen offset:12
	buffer_store_dword v5, v6, s[0:3], 0 offen offset:12
	buffer_store_dword v4, v6, s[0:3], 0 offen offset:8
	buffer_store_dword v3, v6, s[0:3], 0 offen offset:4
	buffer_store_dword v2, v6, s[0:3], 0 offen
.LBB78_106:
	s_or_b64 exec, exec, s[4:5]
	v_pk_mov_b32 v[2:3], s[16:17], s[16:17] op_sel:[0,1]
	flat_load_dword v2, v[2:3] offset:48
	s_waitcnt vmcnt(0) lgkmcnt(0)
	v_add_u32_e32 v2, -1, v2
	v_cmp_ne_u32_e32 vcc, 12, v2
	s_and_saveexec_b64 s[4:5], vcc
	s_cbranch_execz .LBB78_108
; %bb.107:
	v_mov_b32_e32 v3, 0
	v_lshl_add_u32 v6, v2, 4, v3
	buffer_load_dword v2, v1, s[0:3], 0 offen
	buffer_load_dword v3, v1, s[0:3], 0 offen offset:4
	buffer_load_dword v4, v1, s[0:3], 0 offen offset:8
	buffer_load_dword v5, v1, s[0:3], 0 offen offset:12
	buffer_load_dword v7, v6, s[0:3], 0 offen
	buffer_load_dword v8, v6, s[0:3], 0 offen offset:4
	buffer_load_dword v9, v6, s[0:3], 0 offen offset:8
	buffer_load_dword v10, v6, s[0:3], 0 offen offset:12
	s_waitcnt vmcnt(4)
	ds_write2_b64 v0, v[2:3], v[4:5] offset1:1
	s_waitcnt vmcnt(3)
	buffer_store_dword v7, v1, s[0:3], 0 offen
	s_waitcnt vmcnt(3)
	buffer_store_dword v8, v1, s[0:3], 0 offen offset:4
	s_waitcnt vmcnt(3)
	buffer_store_dword v9, v1, s[0:3], 0 offen offset:8
	s_waitcnt vmcnt(3)
	buffer_store_dword v10, v1, s[0:3], 0 offen offset:12
	buffer_store_dword v5, v6, s[0:3], 0 offen offset:12
	buffer_store_dword v4, v6, s[0:3], 0 offen offset:8
	buffer_store_dword v3, v6, s[0:3], 0 offen offset:4
	buffer_store_dword v2, v6, s[0:3], 0 offen
.LBB78_108:
	s_or_b64 exec, exec, s[4:5]
	v_pk_mov_b32 v[2:3], s[16:17], s[16:17] op_sel:[0,1]
	flat_load_dword v2, v[2:3] offset:44
	s_waitcnt vmcnt(0) lgkmcnt(0)
	;; [unrolled: 34-line block ×12, first 2 shown]
	v_add_u32_e32 v2, -1, v2
	v_cmp_ne_u32_e32 vcc, 1, v2
	s_and_saveexec_b64 s[4:5], vcc
	s_cbranch_execz .LBB78_130
; %bb.129:
	v_mov_b32_e32 v3, 0
	v_lshl_add_u32 v6, v2, 4, v3
	buffer_load_dword v2, v64, s[0:3], 0 offen
	buffer_load_dword v3, v64, s[0:3], 0 offen offset:4
	buffer_load_dword v4, v64, s[0:3], 0 offen offset:8
	;; [unrolled: 1-line block ×3, first 2 shown]
	buffer_load_dword v7, v6, s[0:3], 0 offen
	buffer_load_dword v8, v6, s[0:3], 0 offen offset:4
	buffer_load_dword v9, v6, s[0:3], 0 offen offset:8
	;; [unrolled: 1-line block ×3, first 2 shown]
	s_waitcnt vmcnt(4)
	ds_write2_b64 v0, v[2:3], v[4:5] offset1:1
	s_waitcnt vmcnt(3)
	buffer_store_dword v7, v64, s[0:3], 0 offen
	s_waitcnt vmcnt(3)
	buffer_store_dword v8, v64, s[0:3], 0 offen offset:4
	s_waitcnt vmcnt(3)
	buffer_store_dword v9, v64, s[0:3], 0 offen offset:8
	;; [unrolled: 2-line block ×3, first 2 shown]
	buffer_store_dword v5, v6, s[0:3], 0 offen offset:12
	buffer_store_dword v4, v6, s[0:3], 0 offen offset:8
	;; [unrolled: 1-line block ×3, first 2 shown]
	buffer_store_dword v2, v6, s[0:3], 0 offen
.LBB78_130:
	s_or_b64 exec, exec, s[4:5]
	v_pk_mov_b32 v[2:3], s[16:17], s[16:17] op_sel:[0,1]
	flat_load_dword v2, v[2:3]
	s_waitcnt vmcnt(0) lgkmcnt(0)
	v_add_u32_e32 v2, -1, v2
	v_cmp_ne_u32_e32 vcc, 0, v2
	s_and_saveexec_b64 s[4:5], vcc
	s_cbranch_execz .LBB78_132
; %bb.131:
	v_mov_b32_e32 v3, 0
	v_lshl_add_u32 v6, v2, 4, v3
	buffer_load_dword v2, off, s[0:3], 0
	buffer_load_dword v3, off, s[0:3], 0 offset:4
	buffer_load_dword v4, off, s[0:3], 0 offset:8
	;; [unrolled: 1-line block ×3, first 2 shown]
	buffer_load_dword v7, v6, s[0:3], 0 offen
	buffer_load_dword v8, v6, s[0:3], 0 offen offset:4
	buffer_load_dword v9, v6, s[0:3], 0 offen offset:8
	buffer_load_dword v10, v6, s[0:3], 0 offen offset:12
	s_waitcnt vmcnt(4)
	ds_write2_b64 v0, v[2:3], v[4:5] offset1:1
	s_waitcnt vmcnt(3)
	buffer_store_dword v7, off, s[0:3], 0
	s_waitcnt vmcnt(3)
	buffer_store_dword v8, off, s[0:3], 0 offset:4
	s_waitcnt vmcnt(3)
	buffer_store_dword v9, off, s[0:3], 0 offset:8
	;; [unrolled: 2-line block ×3, first 2 shown]
	buffer_store_dword v5, v6, s[0:3], 0 offen offset:12
	buffer_store_dword v4, v6, s[0:3], 0 offen offset:8
	;; [unrolled: 1-line block ×3, first 2 shown]
	buffer_store_dword v2, v6, s[0:3], 0 offen
.LBB78_132:
	s_or_b64 exec, exec, s[4:5]
.LBB78_133:
	buffer_load_dword v2, off, s[0:3], 0
	buffer_load_dword v3, off, s[0:3], 0 offset:4
	buffer_load_dword v4, off, s[0:3], 0 offset:8
	;; [unrolled: 1-line block ×3, first 2 shown]
	buffer_load_dword v6, v64, s[0:3], 0 offen
	buffer_load_dword v7, v64, s[0:3], 0 offen offset:4
	buffer_load_dword v8, v64, s[0:3], 0 offen offset:8
	;; [unrolled: 1-line block ×6, first 2 shown]
	buffer_load_dword v14, v65, s[0:3], 0 offen
	buffer_load_dword v15, v65, s[0:3], 0 offen offset:4
	buffer_load_dword v16, v65, s[0:3], 0 offen offset:8
	buffer_load_dword v10, v66, s[0:3], 0 offen
	buffer_load_dword v17, v65, s[0:3], 0 offen offset:12
	buffer_load_dword v49, v60, s[0:3], 0 offen offset:4
	;; [unrolled: 1-line block ×4, first 2 shown]
                                        ; kill: killed $vgpr66
                                        ; kill: killed $vgpr64
                                        ; kill: killed $vgpr65
	buffer_load_dword v64, v62, s[0:3], 0 offen
	s_nop 0
	buffer_load_dword v65, v62, s[0:3], 0 offen offset:4
	buffer_load_dword v66, v62, s[0:3], 0 offen offset:8
	buffer_load_dword v48, v60, s[0:3], 0 offen
	buffer_load_dword v67, v62, s[0:3], 0 offen offset:12
	buffer_load_dword v69, v61, s[0:3], 0 offen offset:4
	;; [unrolled: 1-line block ×4, first 2 shown]
	buffer_load_dword v72, v63, s[0:3], 0 offen
	buffer_load_dword v73, v63, s[0:3], 0 offen offset:4
	buffer_load_dword v74, v63, s[0:3], 0 offen offset:8
	buffer_load_dword v68, v61, s[0:3], 0 offen
	buffer_load_dword v75, v63, s[0:3], 0 offen offset:12
	buffer_load_dword v77, v56, s[0:3], 0 offen offset:4
	;; [unrolled: 1-line block ×3, first 2 shown]
                                        ; kill: killed $vgpr62
                                        ; kill: killed $vgpr63
                                        ; kill: killed $vgpr60
                                        ; kill: killed $vgpr61
	buffer_load_dword v79, v56, s[0:3], 0 offen offset:12
	buffer_load_dword v60, v58, s[0:3], 0 offen
	buffer_load_dword v61, v58, s[0:3], 0 offen offset:4
	buffer_load_dword v62, v58, s[0:3], 0 offen offset:8
	buffer_load_dword v76, v56, s[0:3], 0 offen
	buffer_load_dword v63, v58, s[0:3], 0 offen offset:12
	buffer_load_dword v81, v57, s[0:3], 0 offen offset:4
	;; [unrolled: 1-line block ×4, first 2 shown]
	buffer_load_dword v84, v59, s[0:3], 0 offen
	buffer_load_dword v85, v59, s[0:3], 0 offen offset:4
	buffer_load_dword v86, v59, s[0:3], 0 offen offset:8
	buffer_load_dword v80, v57, s[0:3], 0 offen
	buffer_load_dword v87, v59, s[0:3], 0 offen offset:12
	buffer_load_dword v89, v1, s[0:3], 0 offen offset:4
                                        ; kill: killed $vgpr58
                                        ; kill: killed $vgpr59
                                        ; kill: killed $vgpr56
                                        ; kill: killed $vgpr57
	buffer_load_dword v90, v1, s[0:3], 0 offen offset:8
	buffer_load_dword v91, v1, s[0:3], 0 offen offset:12
	buffer_load_dword v56, v54, s[0:3], 0 offen
	buffer_load_dword v57, v54, s[0:3], 0 offen offset:4
	buffer_load_dword v58, v54, s[0:3], 0 offen offset:8
	buffer_load_dword v88, v1, s[0:3], 0 offen
	buffer_load_dword v59, v54, s[0:3], 0 offen offset:12
	buffer_load_dword v92, v55, s[0:3], 0 offen
	buffer_load_dword v93, v55, s[0:3], 0 offen offset:4
	buffer_load_dword v94, v55, s[0:3], 0 offen offset:8
	;; [unrolled: 1-line block ×3, first 2 shown]
	s_waitcnt vmcnt(56)
	global_store_dwordx4 v[18:19], v[2:5], off
	s_waitcnt vmcnt(53)
	global_store_dwordx4 v[20:21], v[6:9], off
	;; [unrolled: 2-line block ×15, first 2 shown]
	s_endpgm
	.section	.rodata,"a",@progbits
	.p2align	6, 0x0
	.amdhsa_kernel _ZN9rocsolver6v33100L18getri_kernel_smallILi15E19rocblas_complex_numIdEPKPS3_EEvT1_iilPiilS8_bb
		.amdhsa_group_segment_fixed_size 1512
		.amdhsa_private_segment_fixed_size 256
		.amdhsa_kernarg_size 60
		.amdhsa_user_sgpr_count 10
		.amdhsa_user_sgpr_private_segment_buffer 1
		.amdhsa_user_sgpr_dispatch_ptr 1
		.amdhsa_user_sgpr_queue_ptr 0
		.amdhsa_user_sgpr_kernarg_segment_ptr 1
		.amdhsa_user_sgpr_dispatch_id 0
		.amdhsa_user_sgpr_flat_scratch_init 1
		.amdhsa_user_sgpr_kernarg_preload_length 0
		.amdhsa_user_sgpr_kernarg_preload_offset 0
		.amdhsa_user_sgpr_private_segment_size 0
		.amdhsa_uses_dynamic_stack 0
		.amdhsa_system_sgpr_private_segment_wavefront_offset 1
		.amdhsa_system_sgpr_workgroup_id_x 1
		.amdhsa_system_sgpr_workgroup_id_y 0
		.amdhsa_system_sgpr_workgroup_id_z 0
		.amdhsa_system_sgpr_workgroup_info 0
		.amdhsa_system_vgpr_workitem_id 2
		.amdhsa_next_free_vgpr 168
		.amdhsa_next_free_sgpr 24
		.amdhsa_accum_offset 168
		.amdhsa_reserve_vcc 1
		.amdhsa_reserve_flat_scratch 1
		.amdhsa_float_round_mode_32 0
		.amdhsa_float_round_mode_16_64 0
		.amdhsa_float_denorm_mode_32 3
		.amdhsa_float_denorm_mode_16_64 3
		.amdhsa_dx10_clamp 1
		.amdhsa_ieee_mode 1
		.amdhsa_fp16_overflow 0
		.amdhsa_tg_split 0
		.amdhsa_exception_fp_ieee_invalid_op 0
		.amdhsa_exception_fp_denorm_src 0
		.amdhsa_exception_fp_ieee_div_zero 0
		.amdhsa_exception_fp_ieee_overflow 0
		.amdhsa_exception_fp_ieee_underflow 0
		.amdhsa_exception_fp_ieee_inexact 0
		.amdhsa_exception_int_div_zero 0
	.end_amdhsa_kernel
	.section	.text._ZN9rocsolver6v33100L18getri_kernel_smallILi15E19rocblas_complex_numIdEPKPS3_EEvT1_iilPiilS8_bb,"axG",@progbits,_ZN9rocsolver6v33100L18getri_kernel_smallILi15E19rocblas_complex_numIdEPKPS3_EEvT1_iilPiilS8_bb,comdat
.Lfunc_end78:
	.size	_ZN9rocsolver6v33100L18getri_kernel_smallILi15E19rocblas_complex_numIdEPKPS3_EEvT1_iilPiilS8_bb, .Lfunc_end78-_ZN9rocsolver6v33100L18getri_kernel_smallILi15E19rocblas_complex_numIdEPKPS3_EEvT1_iilPiilS8_bb
                                        ; -- End function
	.section	.AMDGPU.csdata,"",@progbits
; Kernel info:
; codeLenInByte = 22428
; NumSgprs: 30
; NumVgprs: 168
; NumAgprs: 0
; TotalNumVgprs: 168
; ScratchSize: 256
; MemoryBound: 0
; FloatMode: 240
; IeeeMode: 1
; LDSByteSize: 1512 bytes/workgroup (compile time only)
; SGPRBlocks: 3
; VGPRBlocks: 20
; NumSGPRsForWavesPerEU: 30
; NumVGPRsForWavesPerEU: 168
; AccumOffset: 168
; Occupancy: 3
; WaveLimiterHint : 1
; COMPUTE_PGM_RSRC2:SCRATCH_EN: 1
; COMPUTE_PGM_RSRC2:USER_SGPR: 10
; COMPUTE_PGM_RSRC2:TRAP_HANDLER: 0
; COMPUTE_PGM_RSRC2:TGID_X_EN: 1
; COMPUTE_PGM_RSRC2:TGID_Y_EN: 0
; COMPUTE_PGM_RSRC2:TGID_Z_EN: 0
; COMPUTE_PGM_RSRC2:TIDIG_COMP_CNT: 2
; COMPUTE_PGM_RSRC3_GFX90A:ACCUM_OFFSET: 41
; COMPUTE_PGM_RSRC3_GFX90A:TG_SPLIT: 0
	.section	.text._ZN9rocsolver6v33100L18getri_kernel_smallILi16E19rocblas_complex_numIdEPKPS3_EEvT1_iilPiilS8_bb,"axG",@progbits,_ZN9rocsolver6v33100L18getri_kernel_smallILi16E19rocblas_complex_numIdEPKPS3_EEvT1_iilPiilS8_bb,comdat
	.globl	_ZN9rocsolver6v33100L18getri_kernel_smallILi16E19rocblas_complex_numIdEPKPS3_EEvT1_iilPiilS8_bb ; -- Begin function _ZN9rocsolver6v33100L18getri_kernel_smallILi16E19rocblas_complex_numIdEPKPS3_EEvT1_iilPiilS8_bb
	.p2align	8
	.type	_ZN9rocsolver6v33100L18getri_kernel_smallILi16E19rocblas_complex_numIdEPKPS3_EEvT1_iilPiilS8_bb,@function
_ZN9rocsolver6v33100L18getri_kernel_smallILi16E19rocblas_complex_numIdEPKPS3_EEvT1_iilPiilS8_bb: ; @_ZN9rocsolver6v33100L18getri_kernel_smallILi16E19rocblas_complex_numIdEPKPS3_EEvT1_iilPiilS8_bb
; %bb.0:
	s_add_u32 flat_scratch_lo, s8, s11
	s_addc_u32 flat_scratch_hi, s9, 0
	s_add_u32 s0, s0, s11
	v_and_b32_e32 v76, 0x3ff, v0
	s_addc_u32 s1, s1, 0
	v_cmp_gt_u32_e32 vcc, 16, v76
	s_and_saveexec_b64 s[8:9], vcc
	s_cbranch_execz .LBB79_78
; %bb.1:
	s_load_dword s22, s[6:7], 0x38
	s_load_dwordx2 s[8:9], s[6:7], 0x0
	s_load_dwordx4 s[12:15], s[6:7], 0x28
	s_waitcnt lgkmcnt(0)
	s_bitcmp1_b32 s22, 8
	s_cselect_b64 s[18:19], -1, 0
	s_ashr_i32 s11, s10, 31
	s_lshl_b64 s[16:17], s[10:11], 3
	s_add_u32 s8, s8, s16
	s_addc_u32 s9, s9, s17
	s_load_dwordx2 s[20:21], s[8:9], 0x0
	s_bfe_u32 s8, s22, 0x10008
	s_cmp_eq_u32 s8, 0
                                        ; implicit-def: $sgpr16_sgpr17
	s_cbranch_scc1 .LBB79_3
; %bb.2:
	s_load_dword s8, s[6:7], 0x20
	s_load_dwordx2 s[16:17], s[6:7], 0x18
	s_mul_i32 s9, s10, s13
	s_mul_hi_u32 s13, s10, s12
	s_add_i32 s13, s13, s9
	s_mul_i32 s23, s11, s12
	s_add_i32 s13, s13, s23
	s_mul_i32 s12, s10, s12
	s_waitcnt lgkmcnt(0)
	s_ashr_i32 s9, s8, 31
	s_lshl_b64 s[12:13], s[12:13], 2
	s_add_u32 s12, s16, s12
	s_addc_u32 s13, s17, s13
	s_lshl_b64 s[8:9], s[8:9], 2
	s_add_u32 s16, s12, s8
	s_addc_u32 s17, s13, s9
.LBB79_3:
	s_load_dwordx2 s[8:9], s[6:7], 0x8
	v_lshlrev_b32_e32 v54, 4, v76
	s_waitcnt lgkmcnt(0)
	s_ashr_i32 s7, s8, 31
	s_mov_b32 s6, s8
	s_lshl_b64 s[6:7], s[6:7], 4
	s_add_u32 s6, s20, s6
	s_addc_u32 s7, s21, s7
	v_mov_b32_e32 v1, s7
	v_add_co_u32_e32 v22, vcc, s6, v54
	s_ashr_i32 s13, s9, 31
	s_mov_b32 s12, s9
	s_add_i32 s8, s9, s9
	v_addc_co_u32_e32 v23, vcc, 0, v1, vcc
	s_lshl_b64 s[12:13], s[12:13], 4
	v_add_u32_e32 v14, s8, v76
	v_mov_b32_e32 v1, s13
	v_add_co_u32_e32 v24, vcc, s12, v22
	v_ashrrev_i32_e32 v15, 31, v14
	v_addc_co_u32_e32 v25, vcc, v23, v1, vcc
	v_lshlrev_b64 v[6:7], 4, v[14:15]
	v_add_u32_e32 v14, s9, v14
	v_mov_b32_e32 v1, s7
	v_add_co_u32_e32 v26, vcc, s6, v6
	v_ashrrev_i32_e32 v15, 31, v14
	v_addc_co_u32_e32 v27, vcc, v1, v7, vcc
	v_lshlrev_b64 v[16:17], 4, v[14:15]
	v_add_u32_e32 v32, s9, v14
	v_add_co_u32_e32 v28, vcc, s6, v16
	v_ashrrev_i32_e32 v33, 31, v32
	v_addc_co_u32_e32 v29, vcc, v1, v17, vcc
	v_lshlrev_b64 v[14:15], 4, v[32:33]
	v_add_u32_e32 v32, s9, v32
	v_add_co_u32_e32 v30, vcc, s6, v14
	v_ashrrev_i32_e32 v33, 31, v32
	v_addc_co_u32_e32 v31, vcc, v1, v15, vcc
	v_add_u32_e32 v34, s9, v32
	v_lshlrev_b64 v[32:33], 4, v[32:33]
	v_ashrrev_i32_e32 v35, 31, v34
	v_add_co_u32_e32 v32, vcc, s6, v32
	v_add_u32_e32 v36, s9, v34
	v_addc_co_u32_e32 v33, vcc, v1, v33, vcc
	v_lshlrev_b64 v[34:35], 4, v[34:35]
	v_mov_b32_e32 v37, s7
	v_add_co_u32_e32 v34, vcc, s6, v34
	v_addc_co_u32_e32 v35, vcc, v37, v35, vcc
	v_ashrrev_i32_e32 v37, 31, v36
	v_add_u32_e32 v38, s9, v36
	v_lshlrev_b64 v[36:37], 4, v[36:37]
	v_add_co_u32_e32 v36, vcc, s6, v36
	v_ashrrev_i32_e32 v39, 31, v38
	v_add_u32_e32 v40, s9, v38
	v_addc_co_u32_e32 v37, vcc, v1, v37, vcc
	v_lshlrev_b64 v[38:39], 4, v[38:39]
	v_add_co_u32_e32 v38, vcc, s6, v38
	v_ashrrev_i32_e32 v41, 31, v40
	v_add_u32_e32 v42, s9, v40
	v_addc_co_u32_e32 v39, vcc, v1, v39, vcc
	;; [unrolled: 5-line block ×6, first 2 shown]
	v_lshlrev_b64 v[48:49], 4, v[48:49]
	v_add_u32_e32 v52, s9, v50
	v_add_co_u32_e32 v48, vcc, s6, v48
	v_ashrrev_i32_e32 v51, 31, v50
	v_ashrrev_i32_e32 v53, 31, v52
	v_addc_co_u32_e32 v49, vcc, v1, v49, vcc
	v_lshlrev_b64 v[50:51], 4, v[50:51]
	v_lshlrev_b64 v[98:99], 4, v[52:53]
	v_add_co_u32_e32 v52, vcc, s6, v50
	v_addc_co_u32_e32 v53, vcc, v1, v51, vcc
	global_load_dwordx4 v[2:5], v54, s[6:7]
	global_load_dwordx4 v[6:9], v[24:25], off
	global_load_dwordx4 v[10:13], v[26:27], off
	;; [unrolled: 1-line block ×4, first 2 shown]
	v_mov_b32_e32 v55, s7
	global_load_dwordx4 v[56:59], v[32:33], off
	global_load_dwordx4 v[60:63], v[34:35], off
	;; [unrolled: 1-line block ×4, first 2 shown]
	v_add_co_u32_e32 v50, vcc, s6, v98
	v_addc_co_u32_e32 v51, vcc, v55, v99, vcc
	global_load_dwordx4 v[72:75], v[40:41], off
	global_load_dwordx4 v[78:81], v[42:43], off
	;; [unrolled: 1-line block ×7, first 2 shown]
	s_waitcnt vmcnt(15)
	buffer_store_dword v5, off, s[0:3], 0 offset:12
	buffer_store_dword v4, off, s[0:3], 0 offset:8
	;; [unrolled: 1-line block ×3, first 2 shown]
	buffer_store_dword v2, off, s[0:3], 0
	s_waitcnt vmcnt(18)
	buffer_store_dword v9, off, s[0:3], 0 offset:28
	buffer_store_dword v8, off, s[0:3], 0 offset:24
	buffer_store_dword v7, off, s[0:3], 0 offset:20
	buffer_store_dword v6, off, s[0:3], 0 offset:16
	s_waitcnt vmcnt(21)
	buffer_store_dword v13, off, s[0:3], 0 offset:44
	buffer_store_dword v12, off, s[0:3], 0 offset:40
	buffer_store_dword v11, off, s[0:3], 0 offset:36
	buffer_store_dword v10, off, s[0:3], 0 offset:32
	s_waitcnt vmcnt(24)
	buffer_store_dword v17, off, s[0:3], 0 offset:60
	buffer_store_dword v16, off, s[0:3], 0 offset:56
	buffer_store_dword v15, off, s[0:3], 0 offset:52
	buffer_store_dword v14, off, s[0:3], 0 offset:48
	s_waitcnt vmcnt(27)
	buffer_store_dword v21, off, s[0:3], 0 offset:76
	buffer_store_dword v20, off, s[0:3], 0 offset:72
	buffer_store_dword v19, off, s[0:3], 0 offset:68
	buffer_store_dword v18, off, s[0:3], 0 offset:64
	s_waitcnt vmcnt(30)
	buffer_store_dword v59, off, s[0:3], 0 offset:92
	buffer_store_dword v58, off, s[0:3], 0 offset:88
	buffer_store_dword v57, off, s[0:3], 0 offset:84
	buffer_store_dword v56, off, s[0:3], 0 offset:80
	s_waitcnt vmcnt(33)
	buffer_store_dword v63, off, s[0:3], 0 offset:108
	buffer_store_dword v62, off, s[0:3], 0 offset:104
	buffer_store_dword v61, off, s[0:3], 0 offset:100
	buffer_store_dword v60, off, s[0:3], 0 offset:96
	s_waitcnt vmcnt(36)
	buffer_store_dword v67, off, s[0:3], 0 offset:124
	buffer_store_dword v66, off, s[0:3], 0 offset:120
	buffer_store_dword v65, off, s[0:3], 0 offset:116
	buffer_store_dword v64, off, s[0:3], 0 offset:112
	s_waitcnt vmcnt(39)
	buffer_store_dword v71, off, s[0:3], 0 offset:140
	buffer_store_dword v70, off, s[0:3], 0 offset:136
	buffer_store_dword v69, off, s[0:3], 0 offset:132
	buffer_store_dword v68, off, s[0:3], 0 offset:128
	s_waitcnt vmcnt(42)
	buffer_store_dword v72, off, s[0:3], 0 offset:144
	buffer_store_dword v73, off, s[0:3], 0 offset:148
	buffer_store_dword v74, off, s[0:3], 0 offset:152
	buffer_store_dword v75, off, s[0:3], 0 offset:156
	v_mov_b32_e32 v2, 0
	v_add_u32_e32 v73, 16, v2
	v_add_u32_e32 v75, 32, v2
	v_add_u32_e32 v74, 48, v2
	v_add_u32_e32 v70, 64, v2
	v_add_u32_e32 v71, 0x50, v2
	v_add_u32_e32 v72, 0x60, v2
	v_add_u32_e32 v67, 0x70, v2
	v_add_u32_e32 v66, 0x80, v2
	v_add_u32_e32 v68, 0x90, v2
	v_add_u32_e32 v69, 0xa0, v2
	v_add_u32_e32 v1, 0xb0, v2
	v_add_u32_e32 v63, 0xc0, v2
	v_add_u32_e32 v62, 0xd0, v2
	v_add_u32_e32 v64, 0xe0, v2
	v_add_u32_e32 v65, 0xf0, v2
	s_bitcmp0_b32 s22, 0
	s_mov_b64 s[8:9], -1
	s_waitcnt vmcnt(45)
	buffer_store_dword v78, off, s[0:3], 0 offset:160
	buffer_store_dword v79, off, s[0:3], 0 offset:164
	buffer_store_dword v80, off, s[0:3], 0 offset:168
	buffer_store_dword v81, off, s[0:3], 0 offset:172
	s_waitcnt vmcnt(48)
	buffer_store_dword v82, off, s[0:3], 0 offset:176
	buffer_store_dword v83, off, s[0:3], 0 offset:180
	buffer_store_dword v84, off, s[0:3], 0 offset:184
	buffer_store_dword v85, off, s[0:3], 0 offset:188
	;; [unrolled: 5-line block ×5, first 2 shown]
	buffer_store_dword v101, off, s[0:3], 0 offset:252
	buffer_store_dword v100, off, s[0:3], 0 offset:248
	;; [unrolled: 1-line block ×4, first 2 shown]
	s_cbranch_scc1 .LBB79_76
; %bb.4:
	v_cmp_eq_u32_e64 s[6:7], 0, v76
	s_and_saveexec_b64 s[8:9], s[6:7]
	s_cbranch_execz .LBB79_6
; %bb.5:
	v_mov_b32_e32 v2, 0
	ds_write_b32 v2, v2 offset:512
.LBB79_6:
	s_or_b64 exec, exec, s[8:9]
	v_mov_b32_e32 v2, 0
	v_lshl_add_u32 v12, v76, 4, v2
	s_waitcnt lgkmcnt(0)
	; wave barrier
	s_waitcnt lgkmcnt(0)
	buffer_load_dword v2, v12, s[0:3], 0 offen
	buffer_load_dword v3, v12, s[0:3], 0 offen offset:4
	buffer_load_dword v4, v12, s[0:3], 0 offen offset:8
	buffer_load_dword v5, v12, s[0:3], 0 offen offset:12
	s_waitcnt vmcnt(2)
	v_cmp_eq_f64_e32 vcc, 0, v[2:3]
	s_waitcnt vmcnt(0)
	v_cmp_eq_f64_e64 s[8:9], 0, v[4:5]
	s_and_b64 s[8:9], vcc, s[8:9]
	s_and_saveexec_b64 s[12:13], s[8:9]
	s_cbranch_execz .LBB79_10
; %bb.7:
	v_mov_b32_e32 v2, 0
	ds_read_b32 v4, v2 offset:512
	v_add_u32_e32 v3, 1, v76
	s_waitcnt lgkmcnt(0)
	v_readfirstlane_b32 s8, v4
	s_cmp_eq_u32 s8, 0
	s_cselect_b64 s[20:21], -1, 0
	v_cmp_gt_i32_e32 vcc, s8, v3
	s_or_b64 s[20:21], s[20:21], vcc
	s_and_b64 exec, exec, s[20:21]
	s_cbranch_execz .LBB79_10
; %bb.8:
	s_mov_b64 s[20:21], 0
	v_mov_b32_e32 v4, s8
.LBB79_9:                               ; =>This Inner Loop Header: Depth=1
	ds_cmpst_rtn_b32 v4, v2, v4, v3 offset:512
	s_waitcnt lgkmcnt(0)
	v_cmp_ne_u32_e32 vcc, 0, v4
	v_cmp_le_i32_e64 s[8:9], v4, v3
	s_and_b64 s[8:9], vcc, s[8:9]
	s_and_b64 s[8:9], exec, s[8:9]
	s_or_b64 s[20:21], s[8:9], s[20:21]
	s_andn2_b64 exec, exec, s[20:21]
	s_cbranch_execnz .LBB79_9
.LBB79_10:
	s_or_b64 exec, exec, s[12:13]
	v_mov_b32_e32 v3, 0
	s_waitcnt lgkmcnt(0)
	; wave barrier
	ds_read_b32 v2, v3 offset:512
	s_and_saveexec_b64 s[8:9], s[6:7]
	s_cbranch_execz .LBB79_12
; %bb.11:
	s_lshl_b64 s[12:13], s[10:11], 2
	s_add_u32 s12, s14, s12
	s_addc_u32 s13, s15, s13
	s_waitcnt lgkmcnt(0)
	global_store_dword v3, v2, s[12:13]
.LBB79_12:
	s_or_b64 exec, exec, s[8:9]
	s_waitcnt lgkmcnt(0)
	v_cmp_ne_u32_e32 vcc, 0, v2
	s_mov_b64 s[8:9], 0
	s_cbranch_vccnz .LBB79_76
; %bb.13:
	buffer_load_dword v7, v12, s[0:3], 0 offen offset:4
	buffer_load_dword v6, v12, s[0:3], 0 offen
	buffer_load_dword v9, v12, s[0:3], 0 offen offset:12
	buffer_load_dword v8, v12, s[0:3], 0 offen offset:8
                                        ; implicit-def: $vgpr10_vgpr11
	s_waitcnt vmcnt(3)
	v_xor_b32_e32 v3, 0x80000000, v7
	s_waitcnt vmcnt(2)
	v_cmp_gt_f64_e32 vcc, 0, v[6:7]
	s_waitcnt vmcnt(1)
	v_xor_b32_e32 v4, 0x80000000, v9
	v_cndmask_b32_e32 v3, v7, v3, vcc
	s_waitcnt vmcnt(0)
	v_cmp_gt_f64_e32 vcc, 0, v[8:9]
	v_mov_b32_e32 v2, v6
	v_cndmask_b32_e32 v5, v9, v4, vcc
	v_mov_b32_e32 v4, v8
	v_cmp_ngt_f64_e32 vcc, v[2:3], v[4:5]
                                        ; implicit-def: $vgpr4_vgpr5
	s_and_saveexec_b64 s[8:9], vcc
	s_xor_b64 s[8:9], exec, s[8:9]
	s_cbranch_execz .LBB79_15
; %bb.14:
	v_div_scale_f64 v[2:3], s[12:13], v[8:9], v[8:9], v[6:7]
	v_rcp_f64_e32 v[4:5], v[2:3]
	v_div_scale_f64 v[10:11], vcc, v[6:7], v[8:9], v[6:7]
	v_fma_f64 v[14:15], -v[2:3], v[4:5], 1.0
	v_fmac_f64_e32 v[4:5], v[4:5], v[14:15]
	v_fma_f64 v[14:15], -v[2:3], v[4:5], 1.0
	v_fmac_f64_e32 v[4:5], v[4:5], v[14:15]
	v_mul_f64 v[14:15], v[10:11], v[4:5]
	v_fma_f64 v[2:3], -v[2:3], v[14:15], v[10:11]
	v_div_fmas_f64 v[2:3], v[2:3], v[4:5], v[14:15]
	v_div_fixup_f64 v[2:3], v[2:3], v[8:9], v[6:7]
	v_fmac_f64_e32 v[8:9], v[6:7], v[2:3]
	v_div_scale_f64 v[4:5], s[12:13], v[8:9], v[8:9], 1.0
	v_rcp_f64_e32 v[6:7], v[4:5]
	v_fma_f64 v[10:11], -v[4:5], v[6:7], 1.0
	v_fmac_f64_e32 v[6:7], v[6:7], v[10:11]
	v_fma_f64 v[10:11], -v[4:5], v[6:7], 1.0
	v_fmac_f64_e32 v[6:7], v[6:7], v[10:11]
	v_div_scale_f64 v[10:11], vcc, 1.0, v[8:9], 1.0
	v_mul_f64 v[14:15], v[10:11], v[6:7]
	v_fma_f64 v[4:5], -v[4:5], v[14:15], v[10:11]
	s_nop 1
	v_div_fmas_f64 v[4:5], v[4:5], v[6:7], v[14:15]
	v_div_fixup_f64 v[4:5], v[4:5], v[8:9], 1.0
	v_mul_f64 v[10:11], v[2:3], v[4:5]
	v_xor_b32_e32 v5, 0x80000000, v5
	v_xor_b32_e32 v3, 0x80000000, v11
	v_mov_b32_e32 v2, v10
                                        ; implicit-def: $vgpr6_vgpr7
                                        ; implicit-def: $vgpr8_vgpr9
.LBB79_15:
	s_andn2_saveexec_b64 s[8:9], s[8:9]
	s_cbranch_execz .LBB79_17
; %bb.16:
	v_div_scale_f64 v[2:3], s[12:13], v[6:7], v[6:7], v[8:9]
	v_rcp_f64_e32 v[4:5], v[2:3]
	v_div_scale_f64 v[10:11], vcc, v[8:9], v[6:7], v[8:9]
	v_fma_f64 v[14:15], -v[2:3], v[4:5], 1.0
	v_fmac_f64_e32 v[4:5], v[4:5], v[14:15]
	v_fma_f64 v[14:15], -v[2:3], v[4:5], 1.0
	v_fmac_f64_e32 v[4:5], v[4:5], v[14:15]
	v_mul_f64 v[14:15], v[10:11], v[4:5]
	v_fma_f64 v[2:3], -v[2:3], v[14:15], v[10:11]
	v_div_fmas_f64 v[2:3], v[2:3], v[4:5], v[14:15]
	v_div_fixup_f64 v[4:5], v[2:3], v[6:7], v[8:9]
	v_fmac_f64_e32 v[6:7], v[8:9], v[4:5]
	v_div_scale_f64 v[2:3], s[12:13], v[6:7], v[6:7], 1.0
	v_rcp_f64_e32 v[8:9], v[2:3]
	v_fma_f64 v[10:11], -v[2:3], v[8:9], 1.0
	v_fmac_f64_e32 v[8:9], v[8:9], v[10:11]
	v_fma_f64 v[10:11], -v[2:3], v[8:9], 1.0
	v_fmac_f64_e32 v[8:9], v[8:9], v[10:11]
	v_div_scale_f64 v[10:11], vcc, 1.0, v[6:7], 1.0
	v_mul_f64 v[14:15], v[10:11], v[8:9]
	v_fma_f64 v[2:3], -v[2:3], v[14:15], v[10:11]
	s_nop 1
	v_div_fmas_f64 v[2:3], v[2:3], v[8:9], v[14:15]
	v_div_fixup_f64 v[10:11], v[2:3], v[6:7], 1.0
	v_xor_b32_e32 v3, 0x80000000, v11
	v_mov_b32_e32 v2, v10
	v_mul_f64 v[4:5], v[4:5], -v[10:11]
.LBB79_17:
	s_or_b64 exec, exec, s[8:9]
	buffer_store_dword v11, v12, s[0:3], 0 offen offset:4
	buffer_store_dword v10, v12, s[0:3], 0 offen
	buffer_store_dword v5, v12, s[0:3], 0 offen offset:12
	buffer_store_dword v4, v12, s[0:3], 0 offen offset:8
	buffer_load_dword v11, v73, s[0:3], 0 offen offset:12
	s_nop 0
	buffer_load_dword v10, v73, s[0:3], 0 offen offset:8
	buffer_load_dword v9, v73, s[0:3], 0 offen offset:4
	buffer_load_dword v8, v73, s[0:3], 0 offen
	v_xor_b32_e32 v5, 0x80000000, v5
	v_add_u32_e32 v6, 0x100, v54
	ds_write_b128 v54, v[2:5]
	s_waitcnt vmcnt(0)
	ds_write_b128 v54, v[8:11] offset:256
	s_waitcnt lgkmcnt(0)
	; wave barrier
	s_waitcnt lgkmcnt(0)
	s_and_saveexec_b64 s[8:9], s[6:7]
	s_cbranch_execz .LBB79_19
; %bb.18:
	buffer_load_dword v14, v12, s[0:3], 0 offen offset:8
	buffer_load_dword v15, v12, s[0:3], 0 offen offset:12
	buffer_load_dword v16, v12, s[0:3], 0 offen
	buffer_load_dword v17, v12, s[0:3], 0 offen offset:4
	ds_read_b128 v[2:5], v6
	v_mov_b32_e32 v7, 0
	ds_read_b128 v[8:11], v7 offset:16
	s_waitcnt vmcnt(2) lgkmcnt(1)
	v_mul_f64 v[18:19], v[4:5], v[14:15]
	v_mul_f64 v[14:15], v[2:3], v[14:15]
	s_waitcnt vmcnt(0)
	v_fmac_f64_e32 v[14:15], v[4:5], v[16:17]
	v_fma_f64 v[2:3], v[2:3], v[16:17], -v[18:19]
	v_add_f64 v[4:5], v[14:15], 0
	v_add_f64 v[2:3], v[2:3], 0
	s_waitcnt lgkmcnt(0)
	v_mul_f64 v[14:15], v[4:5], v[10:11]
	v_mul_f64 v[10:11], v[2:3], v[10:11]
	v_fma_f64 v[2:3], v[2:3], v[8:9], -v[14:15]
	v_fmac_f64_e32 v[10:11], v[4:5], v[8:9]
	buffer_store_dword v2, off, s[0:3], 0 offset:16
	buffer_store_dword v3, off, s[0:3], 0 offset:20
	;; [unrolled: 1-line block ×4, first 2 shown]
.LBB79_19:
	s_or_b64 exec, exec, s[8:9]
	s_waitcnt lgkmcnt(0)
	; wave barrier
	buffer_load_dword v2, v75, s[0:3], 0 offen
	buffer_load_dword v3, v75, s[0:3], 0 offen offset:4
	buffer_load_dword v4, v75, s[0:3], 0 offen offset:8
	;; [unrolled: 1-line block ×3, first 2 shown]
	v_cmp_gt_u32_e32 vcc, 2, v76
	s_waitcnt vmcnt(0)
	ds_write_b128 v6, v[2:5]
	s_waitcnt lgkmcnt(0)
	; wave barrier
	s_waitcnt lgkmcnt(0)
	s_and_saveexec_b64 s[8:9], vcc
	s_cbranch_execz .LBB79_23
; %bb.20:
	buffer_load_dword v8, v12, s[0:3], 0 offen offset:8
	buffer_load_dword v9, v12, s[0:3], 0 offen offset:12
	buffer_load_dword v10, v12, s[0:3], 0 offen
	buffer_load_dword v11, v12, s[0:3], 0 offen offset:4
	ds_read_b128 v[2:5], v6
	s_waitcnt vmcnt(2) lgkmcnt(0)
	v_mul_f64 v[12:13], v[4:5], v[8:9]
	v_mul_f64 v[8:9], v[2:3], v[8:9]
	s_waitcnt vmcnt(0)
	v_fma_f64 v[2:3], v[2:3], v[10:11], -v[12:13]
	v_fmac_f64_e32 v[8:9], v[4:5], v[10:11]
	v_add_f64 v[4:5], v[2:3], 0
	v_add_f64 v[2:3], v[8:9], 0
	s_and_saveexec_b64 s[12:13], s[6:7]
	s_cbranch_execz .LBB79_22
; %bb.21:
	buffer_load_dword v12, off, s[0:3], 0 offset:24
	buffer_load_dword v13, off, s[0:3], 0 offset:28
	;; [unrolled: 1-line block ×4, first 2 shown]
	v_mov_b32_e32 v7, 0
	ds_read_b128 v[8:11], v7 offset:272
	s_waitcnt vmcnt(2) lgkmcnt(0)
	v_mul_f64 v[16:17], v[8:9], v[12:13]
	v_mul_f64 v[12:13], v[10:11], v[12:13]
	s_waitcnt vmcnt(0)
	v_fmac_f64_e32 v[16:17], v[10:11], v[14:15]
	v_fma_f64 v[8:9], v[8:9], v[14:15], -v[12:13]
	v_add_f64 v[2:3], v[2:3], v[16:17]
	v_add_f64 v[4:5], v[4:5], v[8:9]
.LBB79_22:
	s_or_b64 exec, exec, s[12:13]
	v_mov_b32_e32 v7, 0
	ds_read_b128 v[8:11], v7 offset:32
	s_waitcnt lgkmcnt(0)
	v_mul_f64 v[12:13], v[2:3], v[10:11]
	v_mul_f64 v[10:11], v[4:5], v[10:11]
	v_fma_f64 v[4:5], v[4:5], v[8:9], -v[12:13]
	v_fmac_f64_e32 v[10:11], v[2:3], v[8:9]
	buffer_store_dword v5, off, s[0:3], 0 offset:36
	buffer_store_dword v4, off, s[0:3], 0 offset:32
	;; [unrolled: 1-line block ×4, first 2 shown]
.LBB79_23:
	s_or_b64 exec, exec, s[8:9]
	s_waitcnt lgkmcnt(0)
	; wave barrier
	buffer_load_dword v2, v74, s[0:3], 0 offen
	buffer_load_dword v3, v74, s[0:3], 0 offen offset:4
	buffer_load_dword v4, v74, s[0:3], 0 offen offset:8
	;; [unrolled: 1-line block ×3, first 2 shown]
	v_cmp_gt_u32_e32 vcc, 3, v76
	v_add_u32_e32 v7, -1, v76
	s_waitcnt vmcnt(0)
	ds_write_b128 v6, v[2:5]
	s_waitcnt lgkmcnt(0)
	; wave barrier
	s_waitcnt lgkmcnt(0)
	s_and_saveexec_b64 s[6:7], vcc
	s_cbranch_execz .LBB79_27
; %bb.24:
	v_pk_mov_b32 v[2:3], 0, 0
	v_add_u32_e32 v8, -1, v76
	v_add_u32_e32 v9, 0x100, v54
	v_add_u32_e32 v10, 0, v54
	s_mov_b64 s[8:9], 0
	v_pk_mov_b32 v[4:5], v[2:3], v[2:3] op_sel:[0,1]
.LBB79_25:                              ; =>This Inner Loop Header: Depth=1
	buffer_load_dword v16, v10, s[0:3], 0 offen offset:8
	buffer_load_dword v17, v10, s[0:3], 0 offen offset:12
	buffer_load_dword v18, v10, s[0:3], 0 offen
	buffer_load_dword v19, v10, s[0:3], 0 offen offset:4
	ds_read_b128 v[12:15], v9
	v_add_u32_e32 v8, 1, v8
	v_cmp_lt_u32_e32 vcc, 1, v8
	v_add_u32_e32 v9, 16, v9
	v_add_u32_e32 v10, 16, v10
	s_or_b64 s[8:9], vcc, s[8:9]
	s_waitcnt vmcnt(2) lgkmcnt(0)
	v_mul_f64 v[20:21], v[14:15], v[16:17]
	v_mul_f64 v[16:17], v[12:13], v[16:17]
	s_waitcnt vmcnt(0)
	v_fma_f64 v[12:13], v[12:13], v[18:19], -v[20:21]
	v_fmac_f64_e32 v[16:17], v[14:15], v[18:19]
	v_add_f64 v[4:5], v[4:5], v[12:13]
	v_add_f64 v[2:3], v[2:3], v[16:17]
	s_andn2_b64 exec, exec, s[8:9]
	s_cbranch_execnz .LBB79_25
; %bb.26:
	s_or_b64 exec, exec, s[8:9]
	v_mov_b32_e32 v8, 0
	ds_read_b128 v[8:11], v8 offset:48
	s_waitcnt lgkmcnt(0)
	v_mul_f64 v[12:13], v[2:3], v[10:11]
	v_mul_f64 v[10:11], v[4:5], v[10:11]
	v_fma_f64 v[4:5], v[4:5], v[8:9], -v[12:13]
	v_fmac_f64_e32 v[10:11], v[2:3], v[8:9]
	buffer_store_dword v5, off, s[0:3], 0 offset:52
	buffer_store_dword v4, off, s[0:3], 0 offset:48
	buffer_store_dword v11, off, s[0:3], 0 offset:60
	buffer_store_dword v10, off, s[0:3], 0 offset:56
.LBB79_27:
	s_or_b64 exec, exec, s[6:7]
	s_waitcnt lgkmcnt(0)
	; wave barrier
	buffer_load_dword v2, v70, s[0:3], 0 offen
	buffer_load_dword v3, v70, s[0:3], 0 offen offset:4
	buffer_load_dword v4, v70, s[0:3], 0 offen offset:8
	buffer_load_dword v5, v70, s[0:3], 0 offen offset:12
	v_cmp_gt_u32_e32 vcc, 4, v76
	s_waitcnt vmcnt(0)
	ds_write_b128 v6, v[2:5]
	s_waitcnt lgkmcnt(0)
	; wave barrier
	s_waitcnt lgkmcnt(0)
	s_and_saveexec_b64 s[6:7], vcc
	s_cbranch_execz .LBB79_31
; %bb.28:
	v_pk_mov_b32 v[2:3], 0, 0
	v_add_u32_e32 v8, -1, v76
	v_add_u32_e32 v9, 0x100, v54
	v_add_u32_e32 v10, 0, v54
	s_mov_b64 s[8:9], 0
	v_pk_mov_b32 v[4:5], v[2:3], v[2:3] op_sel:[0,1]
.LBB79_29:                              ; =>This Inner Loop Header: Depth=1
	buffer_load_dword v16, v10, s[0:3], 0 offen offset:8
	buffer_load_dword v17, v10, s[0:3], 0 offen offset:12
	buffer_load_dword v18, v10, s[0:3], 0 offen
	buffer_load_dword v19, v10, s[0:3], 0 offen offset:4
	ds_read_b128 v[12:15], v9
	v_add_u32_e32 v8, 1, v8
	v_cmp_lt_u32_e32 vcc, 2, v8
	v_add_u32_e32 v9, 16, v9
	v_add_u32_e32 v10, 16, v10
	s_or_b64 s[8:9], vcc, s[8:9]
	s_waitcnt vmcnt(2) lgkmcnt(0)
	v_mul_f64 v[20:21], v[14:15], v[16:17]
	v_mul_f64 v[16:17], v[12:13], v[16:17]
	s_waitcnt vmcnt(0)
	v_fma_f64 v[12:13], v[12:13], v[18:19], -v[20:21]
	v_fmac_f64_e32 v[16:17], v[14:15], v[18:19]
	v_add_f64 v[4:5], v[4:5], v[12:13]
	v_add_f64 v[2:3], v[2:3], v[16:17]
	s_andn2_b64 exec, exec, s[8:9]
	s_cbranch_execnz .LBB79_29
; %bb.30:
	s_or_b64 exec, exec, s[8:9]
	v_mov_b32_e32 v8, 0
	ds_read_b128 v[8:11], v8 offset:64
	s_waitcnt lgkmcnt(0)
	v_mul_f64 v[12:13], v[2:3], v[10:11]
	v_mul_f64 v[10:11], v[4:5], v[10:11]
	v_fma_f64 v[4:5], v[4:5], v[8:9], -v[12:13]
	v_fmac_f64_e32 v[10:11], v[2:3], v[8:9]
	buffer_store_dword v5, off, s[0:3], 0 offset:68
	buffer_store_dword v4, off, s[0:3], 0 offset:64
	buffer_store_dword v11, off, s[0:3], 0 offset:76
	buffer_store_dword v10, off, s[0:3], 0 offset:72
.LBB79_31:
	s_or_b64 exec, exec, s[6:7]
	s_waitcnt lgkmcnt(0)
	; wave barrier
	buffer_load_dword v2, v71, s[0:3], 0 offen
	buffer_load_dword v3, v71, s[0:3], 0 offen offset:4
	buffer_load_dword v4, v71, s[0:3], 0 offen offset:8
	buffer_load_dword v5, v71, s[0:3], 0 offen offset:12
	v_cmp_gt_u32_e32 vcc, 5, v76
	;; [unrolled: 57-line block ×11, first 2 shown]
	s_waitcnt vmcnt(0)
	ds_write_b128 v6, v[2:5]
	s_waitcnt lgkmcnt(0)
	; wave barrier
	s_waitcnt lgkmcnt(0)
	s_and_saveexec_b64 s[6:7], vcc
	s_cbranch_execz .LBB79_71
; %bb.68:
	v_pk_mov_b32 v[2:3], 0, 0
	v_add_u32_e32 v8, -1, v76
	v_add_u32_e32 v9, 0x100, v54
	v_add_u32_e32 v10, 0, v54
	s_mov_b64 s[8:9], 0
	v_pk_mov_b32 v[4:5], v[2:3], v[2:3] op_sel:[0,1]
.LBB79_69:                              ; =>This Inner Loop Header: Depth=1
	buffer_load_dword v16, v10, s[0:3], 0 offen offset:8
	buffer_load_dword v17, v10, s[0:3], 0 offen offset:12
	buffer_load_dword v18, v10, s[0:3], 0 offen
	buffer_load_dword v19, v10, s[0:3], 0 offen offset:4
	ds_read_b128 v[12:15], v9
	v_add_u32_e32 v8, 1, v8
	v_cmp_lt_u32_e32 vcc, 12, v8
	v_add_u32_e32 v9, 16, v9
	v_add_u32_e32 v10, 16, v10
	s_or_b64 s[8:9], vcc, s[8:9]
	s_waitcnt vmcnt(2) lgkmcnt(0)
	v_mul_f64 v[20:21], v[14:15], v[16:17]
	v_mul_f64 v[16:17], v[12:13], v[16:17]
	s_waitcnt vmcnt(0)
	v_fma_f64 v[12:13], v[12:13], v[18:19], -v[20:21]
	v_fmac_f64_e32 v[16:17], v[14:15], v[18:19]
	v_add_f64 v[4:5], v[4:5], v[12:13]
	v_add_f64 v[2:3], v[2:3], v[16:17]
	s_andn2_b64 exec, exec, s[8:9]
	s_cbranch_execnz .LBB79_69
; %bb.70:
	s_or_b64 exec, exec, s[8:9]
	v_mov_b32_e32 v8, 0
	ds_read_b128 v[8:11], v8 offset:224
	s_waitcnt lgkmcnt(0)
	v_mul_f64 v[12:13], v[2:3], v[10:11]
	v_mul_f64 v[10:11], v[4:5], v[10:11]
	v_fma_f64 v[4:5], v[4:5], v[8:9], -v[12:13]
	v_fmac_f64_e32 v[10:11], v[2:3], v[8:9]
	buffer_store_dword v5, off, s[0:3], 0 offset:228
	buffer_store_dword v4, off, s[0:3], 0 offset:224
	;; [unrolled: 1-line block ×4, first 2 shown]
.LBB79_71:
	s_or_b64 exec, exec, s[6:7]
	s_waitcnt lgkmcnt(0)
	; wave barrier
	buffer_load_dword v2, v65, s[0:3], 0 offen
	buffer_load_dword v3, v65, s[0:3], 0 offen offset:4
	buffer_load_dword v4, v65, s[0:3], 0 offen offset:8
	;; [unrolled: 1-line block ×3, first 2 shown]
	v_cmp_ne_u32_e32 vcc, 15, v76
	s_waitcnt vmcnt(0)
	ds_write_b128 v6, v[2:5]
	s_waitcnt lgkmcnt(0)
	; wave barrier
	s_waitcnt lgkmcnt(0)
	s_and_saveexec_b64 s[6:7], vcc
	s_cbranch_execz .LBB79_75
; %bb.72:
	v_pk_mov_b32 v[2:3], 0, 0
	v_add_u32_e32 v6, 0x100, v54
	v_add_u32_e32 v8, 0, v54
	s_mov_b64 s[8:9], 0
	v_pk_mov_b32 v[4:5], v[2:3], v[2:3] op_sel:[0,1]
.LBB79_73:                              ; =>This Inner Loop Header: Depth=1
	buffer_load_dword v14, v8, s[0:3], 0 offen offset:8
	buffer_load_dword v15, v8, s[0:3], 0 offen offset:12
	buffer_load_dword v16, v8, s[0:3], 0 offen
	buffer_load_dword v17, v8, s[0:3], 0 offen offset:4
	ds_read_b128 v[10:13], v6
	v_add_u32_e32 v7, 1, v7
	v_cmp_lt_u32_e32 vcc, 13, v7
	v_add_u32_e32 v6, 16, v6
	v_add_u32_e32 v8, 16, v8
	s_or_b64 s[8:9], vcc, s[8:9]
	s_waitcnt vmcnt(2) lgkmcnt(0)
	v_mul_f64 v[18:19], v[12:13], v[14:15]
	v_mul_f64 v[14:15], v[10:11], v[14:15]
	s_waitcnt vmcnt(0)
	v_fma_f64 v[10:11], v[10:11], v[16:17], -v[18:19]
	v_fmac_f64_e32 v[14:15], v[12:13], v[16:17]
	v_add_f64 v[4:5], v[4:5], v[10:11]
	v_add_f64 v[2:3], v[2:3], v[14:15]
	s_andn2_b64 exec, exec, s[8:9]
	s_cbranch_execnz .LBB79_73
; %bb.74:
	s_or_b64 exec, exec, s[8:9]
	v_mov_b32_e32 v6, 0
	ds_read_b128 v[6:9], v6 offset:240
	s_waitcnt lgkmcnt(0)
	v_mul_f64 v[10:11], v[2:3], v[8:9]
	v_mul_f64 v[8:9], v[4:5], v[8:9]
	v_fma_f64 v[4:5], v[4:5], v[6:7], -v[10:11]
	v_fmac_f64_e32 v[8:9], v[2:3], v[6:7]
	buffer_store_dword v5, off, s[0:3], 0 offset:244
	buffer_store_dword v4, off, s[0:3], 0 offset:240
	;; [unrolled: 1-line block ×4, first 2 shown]
.LBB79_75:
	s_or_b64 exec, exec, s[6:7]
	s_mov_b64 s[8:9], -1
	s_waitcnt lgkmcnt(0)
	; wave barrier
.LBB79_76:
	s_and_b64 vcc, exec, s[8:9]
	s_cbranch_vccz .LBB79_78
; %bb.77:
	s_lshl_b64 s[6:7], s[10:11], 2
	s_add_u32 s6, s14, s6
	s_addc_u32 s7, s15, s7
	v_mov_b32_e32 v2, 0
	global_load_dword v2, v2, s[6:7]
	s_waitcnt vmcnt(0)
	v_cmp_ne_u32_e32 vcc, 0, v2
	s_cbranch_vccz .LBB79_79
.LBB79_78:
	s_endpgm
.LBB79_79:
	v_mov_b32_e32 v2, 0x100
	v_lshl_add_u32 v58, v76, 4, v2
	v_cmp_eq_u32_e32 vcc, 15, v76
	s_and_saveexec_b64 s[6:7], vcc
	s_cbranch_execz .LBB79_81
; %bb.80:
	buffer_load_dword v2, v64, s[0:3], 0 offen
	buffer_load_dword v3, v64, s[0:3], 0 offen offset:4
	buffer_load_dword v4, v64, s[0:3], 0 offen offset:8
	;; [unrolled: 1-line block ×3, first 2 shown]
	v_mov_b32_e32 v6, 0
	buffer_store_dword v6, off, s[0:3], 0 offset:224
	buffer_store_dword v6, off, s[0:3], 0 offset:228
	;; [unrolled: 1-line block ×4, first 2 shown]
	s_waitcnt vmcnt(4)
	ds_write_b128 v58, v[2:5]
.LBB79_81:
	s_or_b64 exec, exec, s[6:7]
	s_waitcnt lgkmcnt(0)
	; wave barrier
	s_waitcnt lgkmcnt(0)
	buffer_load_dword v8, off, s[0:3], 0 offset:248
	buffer_load_dword v9, off, s[0:3], 0 offset:252
	;; [unrolled: 1-line block ×8, first 2 shown]
	v_mov_b32_e32 v2, 0
	ds_read_b128 v[4:7], v2 offset:496
	v_cmp_lt_u32_e32 vcc, 13, v76
	s_waitcnt vmcnt(6) lgkmcnt(0)
	v_mul_f64 v[16:17], v[4:5], v[8:9]
	v_mul_f64 v[8:9], v[6:7], v[8:9]
	s_waitcnt vmcnt(4)
	v_fma_f64 v[4:5], v[4:5], v[10:11], -v[8:9]
	v_fmac_f64_e32 v[16:17], v[6:7], v[10:11]
	v_add_f64 v[4:5], v[4:5], 0
	v_add_f64 v[6:7], v[16:17], 0
	s_waitcnt vmcnt(2)
	v_add_f64 v[4:5], v[12:13], -v[4:5]
	s_waitcnt vmcnt(0)
	v_add_f64 v[6:7], v[14:15], -v[6:7]
	buffer_store_dword v4, off, s[0:3], 0 offset:224
	buffer_store_dword v5, off, s[0:3], 0 offset:228
	;; [unrolled: 1-line block ×4, first 2 shown]
	s_and_saveexec_b64 s[6:7], vcc
	s_cbranch_execz .LBB79_83
; %bb.82:
	buffer_load_dword v4, v62, s[0:3], 0 offen
	buffer_load_dword v5, v62, s[0:3], 0 offen offset:4
	buffer_load_dword v6, v62, s[0:3], 0 offen offset:8
	buffer_load_dword v7, v62, s[0:3], 0 offen offset:12
	s_nop 0
	buffer_store_dword v2, off, s[0:3], 0 offset:208
	buffer_store_dword v2, off, s[0:3], 0 offset:212
	buffer_store_dword v2, off, s[0:3], 0 offset:216
	buffer_store_dword v2, off, s[0:3], 0 offset:220
	s_waitcnt vmcnt(4)
	ds_write_b128 v58, v[4:7]
.LBB79_83:
	s_or_b64 exec, exec, s[6:7]
	s_waitcnt lgkmcnt(0)
	; wave barrier
	s_waitcnt lgkmcnt(0)
	buffer_load_dword v12, off, s[0:3], 0 offset:232
	buffer_load_dword v13, off, s[0:3], 0 offset:236
	;; [unrolled: 1-line block ×12, first 2 shown]
	ds_read_b128 v[4:7], v2 offset:480
	ds_read_b128 v[8:11], v2 offset:496
	v_cmp_lt_u32_e32 vcc, 12, v76
	s_waitcnt vmcnt(10) lgkmcnt(1)
	v_mul_f64 v[2:3], v[4:5], v[12:13]
	v_mul_f64 v[12:13], v[6:7], v[12:13]
	s_waitcnt vmcnt(8) lgkmcnt(0)
	v_mul_f64 v[56:57], v[8:9], v[14:15]
	v_mul_f64 v[14:15], v[10:11], v[14:15]
	s_waitcnt vmcnt(6)
	v_fma_f64 v[4:5], v[4:5], v[16:17], -v[12:13]
	v_fmac_f64_e32 v[2:3], v[6:7], v[16:17]
	s_waitcnt vmcnt(4)
	v_fma_f64 v[6:7], v[8:9], v[18:19], -v[14:15]
	v_add_f64 v[4:5], v[4:5], 0
	v_fmac_f64_e32 v[56:57], v[10:11], v[18:19]
	v_add_f64 v[2:3], v[2:3], 0
	v_add_f64 v[4:5], v[4:5], v[6:7]
	;; [unrolled: 1-line block ×3, first 2 shown]
	s_waitcnt vmcnt(2)
	v_add_f64 v[4:5], v[20:21], -v[4:5]
	s_waitcnt vmcnt(0)
	v_add_f64 v[2:3], v[54:55], -v[2:3]
	buffer_store_dword v4, off, s[0:3], 0 offset:208
	buffer_store_dword v5, off, s[0:3], 0 offset:212
	;; [unrolled: 1-line block ×4, first 2 shown]
	s_and_saveexec_b64 s[6:7], vcc
	s_cbranch_execz .LBB79_85
; %bb.84:
	buffer_load_dword v2, v63, s[0:3], 0 offen
	buffer_load_dword v3, v63, s[0:3], 0 offen offset:4
	buffer_load_dword v4, v63, s[0:3], 0 offen offset:8
	;; [unrolled: 1-line block ×3, first 2 shown]
	v_mov_b32_e32 v6, 0
	buffer_store_dword v6, off, s[0:3], 0 offset:192
	buffer_store_dword v6, off, s[0:3], 0 offset:196
	;; [unrolled: 1-line block ×4, first 2 shown]
	s_waitcnt vmcnt(4)
	ds_write_b128 v58, v[2:5]
.LBB79_85:
	s_or_b64 exec, exec, s[6:7]
	s_waitcnt lgkmcnt(0)
	; wave barrier
	s_waitcnt lgkmcnt(0)
	buffer_load_dword v16, off, s[0:3], 0 offset:216
	buffer_load_dword v17, off, s[0:3], 0 offset:220
	buffer_load_dword v18, off, s[0:3], 0 offset:232
	buffer_load_dword v19, off, s[0:3], 0 offset:236
	buffer_load_dword v20, off, s[0:3], 0 offset:248
	buffer_load_dword v21, off, s[0:3], 0 offset:252
	buffer_load_dword v54, off, s[0:3], 0 offset:208
	buffer_load_dword v55, off, s[0:3], 0 offset:212
	buffer_load_dword v56, off, s[0:3], 0 offset:224
	buffer_load_dword v57, off, s[0:3], 0 offset:228
	buffer_load_dword v60, off, s[0:3], 0 offset:240
	buffer_load_dword v61, off, s[0:3], 0 offset:244
	buffer_load_dword v78, off, s[0:3], 0 offset:192
	buffer_load_dword v79, off, s[0:3], 0 offset:196
	buffer_load_dword v80, off, s[0:3], 0 offset:200
	buffer_load_dword v81, off, s[0:3], 0 offset:204
	v_mov_b32_e32 v2, 0
	ds_read_b128 v[4:7], v2 offset:464
	ds_read_b128 v[8:11], v2 offset:480
	;; [unrolled: 1-line block ×3, first 2 shown]
	v_cmp_lt_u32_e32 vcc, 11, v76
	s_waitcnt vmcnt(14) lgkmcnt(2)
	v_mul_f64 v[82:83], v[4:5], v[16:17]
	v_mul_f64 v[16:17], v[6:7], v[16:17]
	s_waitcnt vmcnt(12) lgkmcnt(1)
	v_mul_f64 v[84:85], v[8:9], v[18:19]
	v_mul_f64 v[18:19], v[10:11], v[18:19]
	;; [unrolled: 3-line block ×3, first 2 shown]
	s_waitcnt vmcnt(8)
	v_fma_f64 v[4:5], v[4:5], v[54:55], -v[16:17]
	v_fmac_f64_e32 v[82:83], v[6:7], v[54:55]
	s_waitcnt vmcnt(6)
	v_fma_f64 v[6:7], v[8:9], v[56:57], -v[18:19]
	v_add_f64 v[4:5], v[4:5], 0
	v_fmac_f64_e32 v[84:85], v[10:11], v[56:57]
	s_waitcnt vmcnt(4)
	v_fma_f64 v[8:9], v[12:13], v[60:61], -v[20:21]
	v_add_f64 v[10:11], v[82:83], 0
	v_add_f64 v[4:5], v[4:5], v[6:7]
	v_fmac_f64_e32 v[86:87], v[14:15], v[60:61]
	v_add_f64 v[10:11], v[10:11], v[84:85]
	v_add_f64 v[4:5], v[4:5], v[8:9]
	;; [unrolled: 1-line block ×3, first 2 shown]
	s_waitcnt vmcnt(2)
	v_add_f64 v[4:5], v[78:79], -v[4:5]
	s_waitcnt vmcnt(0)
	v_add_f64 v[6:7], v[80:81], -v[6:7]
	buffer_store_dword v4, off, s[0:3], 0 offset:192
	buffer_store_dword v5, off, s[0:3], 0 offset:196
	;; [unrolled: 1-line block ×4, first 2 shown]
	s_and_saveexec_b64 s[6:7], vcc
	s_cbranch_execz .LBB79_87
; %bb.86:
	buffer_load_dword v4, v1, s[0:3], 0 offen
	buffer_load_dword v5, v1, s[0:3], 0 offen offset:4
	buffer_load_dword v6, v1, s[0:3], 0 offen offset:8
	;; [unrolled: 1-line block ×3, first 2 shown]
	s_nop 0
	buffer_store_dword v2, off, s[0:3], 0 offset:176
	buffer_store_dword v2, off, s[0:3], 0 offset:180
	;; [unrolled: 1-line block ×4, first 2 shown]
	s_waitcnt vmcnt(4)
	ds_write_b128 v58, v[4:7]
.LBB79_87:
	s_or_b64 exec, exec, s[6:7]
	s_waitcnt lgkmcnt(0)
	; wave barrier
	s_waitcnt lgkmcnt(0)
	buffer_load_dword v20, off, s[0:3], 0 offset:200
	buffer_load_dword v21, off, s[0:3], 0 offset:204
	;; [unrolled: 1-line block ×20, first 2 shown]
	ds_read_b128 v[4:7], v2 offset:448
	ds_read_b128 v[8:11], v2 offset:464
	;; [unrolled: 1-line block ×4, first 2 shown]
	v_cmp_lt_u32_e32 vcc, 10, v76
	s_waitcnt vmcnt(18) lgkmcnt(3)
	v_mul_f64 v[2:3], v[4:5], v[20:21]
	v_mul_f64 v[20:21], v[6:7], v[20:21]
	s_waitcnt vmcnt(16) lgkmcnt(2)
	v_mul_f64 v[90:91], v[8:9], v[54:55]
	v_mul_f64 v[54:55], v[10:11], v[54:55]
	s_waitcnt vmcnt(14) lgkmcnt(1)
	v_mul_f64 v[92:93], v[12:13], v[56:57]
	v_mul_f64 v[56:57], v[14:15], v[56:57]
	s_waitcnt vmcnt(12) lgkmcnt(0)
	v_mul_f64 v[94:95], v[16:17], v[60:61]
	v_mul_f64 v[60:61], v[18:19], v[60:61]
	s_waitcnt vmcnt(10)
	v_fma_f64 v[4:5], v[4:5], v[78:79], -v[20:21]
	v_fmac_f64_e32 v[2:3], v[6:7], v[78:79]
	s_waitcnt vmcnt(8)
	v_fma_f64 v[6:7], v[8:9], v[80:81], -v[54:55]
	v_add_f64 v[4:5], v[4:5], 0
	v_fmac_f64_e32 v[90:91], v[10:11], v[80:81]
	s_waitcnt vmcnt(6)
	v_fma_f64 v[8:9], v[12:13], v[82:83], -v[56:57]
	v_add_f64 v[2:3], v[2:3], 0
	v_add_f64 v[4:5], v[4:5], v[6:7]
	v_fmac_f64_e32 v[92:93], v[14:15], v[82:83]
	s_waitcnt vmcnt(4)
	v_fma_f64 v[10:11], v[16:17], v[84:85], -v[60:61]
	v_add_f64 v[2:3], v[2:3], v[90:91]
	v_add_f64 v[4:5], v[4:5], v[8:9]
	v_fmac_f64_e32 v[94:95], v[18:19], v[84:85]
	v_add_f64 v[2:3], v[2:3], v[92:93]
	v_add_f64 v[4:5], v[4:5], v[10:11]
	;; [unrolled: 1-line block ×3, first 2 shown]
	s_waitcnt vmcnt(2)
	v_add_f64 v[4:5], v[86:87], -v[4:5]
	s_waitcnt vmcnt(0)
	v_add_f64 v[2:3], v[88:89], -v[2:3]
	buffer_store_dword v4, off, s[0:3], 0 offset:176
	buffer_store_dword v5, off, s[0:3], 0 offset:180
	;; [unrolled: 1-line block ×4, first 2 shown]
	s_and_saveexec_b64 s[6:7], vcc
	s_cbranch_execz .LBB79_89
; %bb.88:
	buffer_load_dword v2, v69, s[0:3], 0 offen
	buffer_load_dword v3, v69, s[0:3], 0 offen offset:4
	buffer_load_dword v4, v69, s[0:3], 0 offen offset:8
	buffer_load_dword v5, v69, s[0:3], 0 offen offset:12
	v_mov_b32_e32 v6, 0
	buffer_store_dword v6, off, s[0:3], 0 offset:160
	buffer_store_dword v6, off, s[0:3], 0 offset:164
	;; [unrolled: 1-line block ×4, first 2 shown]
	s_waitcnt vmcnt(4)
	ds_write_b128 v58, v[2:5]
.LBB79_89:
	s_or_b64 exec, exec, s[6:7]
	s_waitcnt lgkmcnt(0)
	; wave barrier
	s_waitcnt lgkmcnt(0)
	buffer_load_dword v20, off, s[0:3], 0 offset:184
	buffer_load_dword v21, off, s[0:3], 0 offset:188
	;; [unrolled: 1-line block ×24, first 2 shown]
	v_mov_b32_e32 v2, 0
	ds_read_b128 v[4:7], v2 offset:432
	ds_read_b128 v[8:11], v2 offset:448
	;; [unrolled: 1-line block ×5, first 2 shown]
	v_cmp_lt_u32_e32 vcc, 9, v76
	s_waitcnt vmcnt(22) lgkmcnt(4)
	v_mul_f64 v[98:99], v[4:5], v[20:21]
	v_mul_f64 v[20:21], v[6:7], v[20:21]
	s_waitcnt vmcnt(20) lgkmcnt(3)
	v_mul_f64 v[100:101], v[8:9], v[60:61]
	v_mul_f64 v[60:61], v[10:11], v[60:61]
	;; [unrolled: 3-line block ×4, first 2 shown]
	s_waitcnt vmcnt(13) lgkmcnt(0)
	v_mul_f64 v[106:107], v[54:55], v[80:81]
	s_waitcnt vmcnt(11)
	v_fma_f64 v[4:5], v[4:5], v[86:87], -v[20:21]
	v_fmac_f64_e32 v[98:99], v[6:7], v[86:87]
	s_waitcnt vmcnt(9)
	v_fma_f64 v[6:7], v[8:9], v[88:89], -v[60:61]
	v_add_f64 v[4:5], v[4:5], 0
	v_fmac_f64_e32 v[100:101], v[10:11], v[88:89]
	s_waitcnt vmcnt(7)
	v_fmac_f64_e32 v[102:103], v[14:15], v[90:91]
	v_fma_f64 v[8:9], v[12:13], v[90:91], -v[78:79]
	v_add_f64 v[14:15], v[98:99], 0
	v_add_f64 v[4:5], v[4:5], v[6:7]
	v_mul_f64 v[80:81], v[56:57], v[80:81]
	s_waitcnt vmcnt(5)
	v_fma_f64 v[10:11], v[16:17], v[92:93], -v[84:85]
	v_add_f64 v[14:15], v[14:15], v[100:101]
	v_add_f64 v[4:5], v[4:5], v[8:9]
	v_fmac_f64_e32 v[104:105], v[18:19], v[92:93]
	s_waitcnt vmcnt(4)
	v_fma_f64 v[12:13], v[54:55], v[82:83], -v[80:81]
	v_add_f64 v[6:7], v[14:15], v[102:103]
	v_add_f64 v[4:5], v[4:5], v[10:11]
	v_fmac_f64_e32 v[106:107], v[56:57], v[82:83]
	v_add_f64 v[6:7], v[6:7], v[104:105]
	v_add_f64 v[4:5], v[4:5], v[12:13]
	;; [unrolled: 1-line block ×3, first 2 shown]
	s_waitcnt vmcnt(2)
	v_add_f64 v[4:5], v[94:95], -v[4:5]
	s_waitcnt vmcnt(0)
	v_add_f64 v[6:7], v[96:97], -v[6:7]
	buffer_store_dword v5, off, s[0:3], 0 offset:164
	buffer_store_dword v4, off, s[0:3], 0 offset:160
	;; [unrolled: 1-line block ×4, first 2 shown]
	s_and_saveexec_b64 s[6:7], vcc
	s_cbranch_execz .LBB79_91
; %bb.90:
	buffer_load_dword v4, v68, s[0:3], 0 offen
	buffer_load_dword v5, v68, s[0:3], 0 offen offset:4
	buffer_load_dword v6, v68, s[0:3], 0 offen offset:8
	;; [unrolled: 1-line block ×3, first 2 shown]
	s_nop 0
	buffer_store_dword v2, off, s[0:3], 0 offset:144
	buffer_store_dword v2, off, s[0:3], 0 offset:148
	;; [unrolled: 1-line block ×4, first 2 shown]
	s_waitcnt vmcnt(4)
	ds_write_b128 v58, v[4:7]
.LBB79_91:
	s_or_b64 exec, exec, s[6:7]
	s_waitcnt lgkmcnt(0)
	; wave barrier
	s_waitcnt lgkmcnt(0)
	buffer_load_dword v20, off, s[0:3], 0 offset:168
	buffer_load_dword v21, off, s[0:3], 0 offset:172
	;; [unrolled: 1-line block ×28, first 2 shown]
	ds_read_b128 v[4:7], v2 offset:416
	ds_read_b128 v[8:11], v2 offset:432
	;; [unrolled: 1-line block ×6, first 2 shown]
	v_cmp_lt_u32_e32 vcc, 8, v76
	s_waitcnt vmcnt(26) lgkmcnt(5)
	v_mul_f64 v[2:3], v[4:5], v[20:21]
	v_mul_f64 v[20:21], v[6:7], v[20:21]
	s_waitcnt vmcnt(24) lgkmcnt(4)
	v_mul_f64 v[106:107], v[8:9], v[60:61]
	v_mul_f64 v[60:61], v[10:11], v[60:61]
	;; [unrolled: 3-line block ×4, first 2 shown]
	s_waitcnt vmcnt(17)
	v_mul_f64 v[110:111], v[16:17], v[88:89]
	v_mul_f64 v[88:89], v[18:19], v[88:89]
	s_waitcnt vmcnt(15) lgkmcnt(0)
	v_mul_f64 v[114:115], v[78:79], v[90:91]
	v_mul_f64 v[90:91], v[80:81], v[90:91]
	s_waitcnt vmcnt(14)
	v_fmac_f64_e32 v[112:113], v[56:57], v[86:87]
	s_waitcnt vmcnt(12)
	v_fma_f64 v[4:5], v[4:5], v[92:93], -v[20:21]
	v_fmac_f64_e32 v[2:3], v[6:7], v[92:93]
	s_waitcnt vmcnt(10)
	v_fma_f64 v[6:7], v[8:9], v[94:95], -v[60:61]
	v_add_f64 v[4:5], v[4:5], 0
	v_fmac_f64_e32 v[106:107], v[10:11], v[94:95]
	s_waitcnt vmcnt(8)
	v_fma_f64 v[8:9], v[12:13], v[96:97], -v[82:83]
	v_add_f64 v[2:3], v[2:3], 0
	v_add_f64 v[4:5], v[4:5], v[6:7]
	v_fmac_f64_e32 v[108:109], v[14:15], v[96:97]
	s_waitcnt vmcnt(6)
	v_fma_f64 v[10:11], v[16:17], v[98:99], -v[88:89]
	v_add_f64 v[2:3], v[2:3], v[106:107]
	v_add_f64 v[4:5], v[4:5], v[8:9]
	v_fmac_f64_e32 v[110:111], v[18:19], v[98:99]
	v_fma_f64 v[12:13], v[54:55], v[86:87], -v[84:85]
	v_add_f64 v[2:3], v[2:3], v[108:109]
	v_add_f64 v[4:5], v[4:5], v[10:11]
	s_waitcnt vmcnt(4)
	v_fma_f64 v[14:15], v[78:79], v[100:101], -v[90:91]
	v_add_f64 v[2:3], v[2:3], v[110:111]
	v_add_f64 v[4:5], v[4:5], v[12:13]
	v_fmac_f64_e32 v[114:115], v[80:81], v[100:101]
	v_add_f64 v[2:3], v[2:3], v[112:113]
	v_add_f64 v[4:5], v[4:5], v[14:15]
	;; [unrolled: 1-line block ×3, first 2 shown]
	s_waitcnt vmcnt(2)
	v_add_f64 v[4:5], v[102:103], -v[4:5]
	s_waitcnt vmcnt(0)
	v_add_f64 v[2:3], v[104:105], -v[2:3]
	buffer_store_dword v5, off, s[0:3], 0 offset:148
	buffer_store_dword v4, off, s[0:3], 0 offset:144
	;; [unrolled: 1-line block ×4, first 2 shown]
	s_and_saveexec_b64 s[6:7], vcc
	s_cbranch_execz .LBB79_93
; %bb.92:
	buffer_load_dword v2, v66, s[0:3], 0 offen
	buffer_load_dword v3, v66, s[0:3], 0 offen offset:4
	buffer_load_dword v4, v66, s[0:3], 0 offen offset:8
	;; [unrolled: 1-line block ×3, first 2 shown]
	v_mov_b32_e32 v6, 0
	buffer_store_dword v6, off, s[0:3], 0 offset:128
	buffer_store_dword v6, off, s[0:3], 0 offset:132
	;; [unrolled: 1-line block ×4, first 2 shown]
	s_waitcnt vmcnt(4)
	ds_write_b128 v58, v[2:5]
.LBB79_93:
	s_or_b64 exec, exec, s[6:7]
	s_waitcnt lgkmcnt(0)
	; wave barrier
	s_waitcnt lgkmcnt(0)
	buffer_load_dword v54, off, s[0:3], 0 offset:152
	buffer_load_dword v55, off, s[0:3], 0 offset:156
	buffer_load_dword v60, off, s[0:3], 0 offset:168
	buffer_load_dword v61, off, s[0:3], 0 offset:172
	buffer_load_dword v86, off, s[0:3], 0 offset:184
	buffer_load_dword v87, off, s[0:3], 0 offset:188
	buffer_load_dword v89, off, s[0:3], 0 offset:220
	buffer_load_dword v88, off, s[0:3], 0 offset:216
	buffer_load_dword v90, off, s[0:3], 0 offset:208
	buffer_load_dword v93, off, s[0:3], 0 offset:204
	buffer_load_dword v92, off, s[0:3], 0 offset:200
	buffer_load_dword v94, off, s[0:3], 0 offset:248
	buffer_load_dword v96, off, s[0:3], 0 offset:240
	buffer_load_dword v99, off, s[0:3], 0 offset:236
	buffer_load_dword v98, off, s[0:3], 0 offset:232
	buffer_load_dword v95, off, s[0:3], 0 offset:252
	buffer_load_dword v91, off, s[0:3], 0 offset:212
	buffer_load_dword v100, off, s[0:3], 0 offset:144
	buffer_load_dword v101, off, s[0:3], 0 offset:148
	buffer_load_dword v102, off, s[0:3], 0 offset:160
	buffer_load_dword v103, off, s[0:3], 0 offset:164
	buffer_load_dword v104, off, s[0:3], 0 offset:176
	buffer_load_dword v105, off, s[0:3], 0 offset:180
	buffer_load_dword v107, off, s[0:3], 0 offset:196
	buffer_load_dword v106, off, s[0:3], 0 offset:192
	buffer_load_dword v109, off, s[0:3], 0 offset:228
	buffer_load_dword v108, off, s[0:3], 0 offset:224
	buffer_load_dword v97, off, s[0:3], 0 offset:244
	buffer_load_dword v110, off, s[0:3], 0 offset:128
	buffer_load_dword v111, off, s[0:3], 0 offset:132
	buffer_load_dword v112, off, s[0:3], 0 offset:136
	buffer_load_dword v113, off, s[0:3], 0 offset:140
	v_mov_b32_e32 v56, 0
	ds_read_b128 v[2:5], v56 offset:400
	ds_read_b128 v[6:9], v56 offset:416
	;; [unrolled: 1-line block ×7, first 2 shown]
	v_cmp_lt_u32_e32 vcc, 7, v76
	s_waitcnt vmcnt(30) lgkmcnt(6)
	v_mul_f64 v[114:115], v[2:3], v[54:55]
	v_mul_f64 v[54:55], v[4:5], v[54:55]
	s_waitcnt vmcnt(28) lgkmcnt(5)
	v_mul_f64 v[116:117], v[6:7], v[60:61]
	v_mul_f64 v[60:61], v[8:9], v[60:61]
	s_waitcnt vmcnt(26) lgkmcnt(4)
	v_mul_f64 v[118:119], v[10:11], v[86:87]
	v_mul_f64 v[86:87], v[12:13], v[86:87]
	s_waitcnt vmcnt(24) lgkmcnt(2)
	v_mul_f64 v[122:123], v[18:19], v[88:89]
	v_mul_f64 v[88:89], v[20:21], v[88:89]
	s_waitcnt vmcnt(21)
	v_mul_f64 v[120:121], v[14:15], v[92:93]
	v_mul_f64 v[92:93], v[16:17], v[92:93]
	s_waitcnt vmcnt(17) lgkmcnt(1)
	v_mul_f64 v[124:125], v[78:79], v[98:99]
	v_mul_f64 v[98:99], v[80:81], v[98:99]
	s_waitcnt vmcnt(16) lgkmcnt(0)
	v_mul_f64 v[126:127], v[82:83], v[94:95]
	v_mul_f64 v[94:95], v[84:85], v[94:95]
	s_waitcnt vmcnt(13)
	v_fma_f64 v[2:3], v[2:3], v[100:101], -v[54:55]
	v_fmac_f64_e32 v[114:115], v[4:5], v[100:101]
	s_waitcnt vmcnt(11)
	v_fma_f64 v[4:5], v[6:7], v[102:103], -v[60:61]
	v_add_f64 v[2:3], v[2:3], 0
	v_fmac_f64_e32 v[116:117], v[8:9], v[102:103]
	s_waitcnt vmcnt(9)
	v_fma_f64 v[6:7], v[10:11], v[104:105], -v[86:87]
	s_waitcnt vmcnt(7)
	v_fmac_f64_e32 v[120:121], v[16:17], v[106:107]
	v_add_f64 v[16:17], v[114:115], 0
	v_add_f64 v[2:3], v[2:3], v[4:5]
	v_fmac_f64_e32 v[118:119], v[12:13], v[104:105]
	v_fma_f64 v[8:9], v[14:15], v[106:107], -v[92:93]
	v_add_f64 v[16:17], v[16:17], v[116:117]
	v_add_f64 v[2:3], v[2:3], v[6:7]
	v_fma_f64 v[10:11], v[18:19], v[90:91], -v[88:89]
	v_add_f64 v[4:5], v[16:17], v[118:119]
	v_add_f64 v[2:3], v[2:3], v[8:9]
	v_fmac_f64_e32 v[122:123], v[20:21], v[90:91]
	s_waitcnt vmcnt(5)
	v_fma_f64 v[12:13], v[78:79], v[108:109], -v[98:99]
	v_add_f64 v[4:5], v[4:5], v[120:121]
	v_add_f64 v[2:3], v[2:3], v[10:11]
	v_fmac_f64_e32 v[124:125], v[80:81], v[108:109]
	s_waitcnt vmcnt(4)
	v_fma_f64 v[14:15], v[82:83], v[96:97], -v[94:95]
	v_add_f64 v[4:5], v[4:5], v[122:123]
	v_add_f64 v[2:3], v[2:3], v[12:13]
	v_fmac_f64_e32 v[126:127], v[84:85], v[96:97]
	v_add_f64 v[4:5], v[4:5], v[124:125]
	v_add_f64 v[2:3], v[2:3], v[14:15]
	;; [unrolled: 1-line block ×3, first 2 shown]
	s_waitcnt vmcnt(2)
	v_add_f64 v[2:3], v[110:111], -v[2:3]
	s_waitcnt vmcnt(0)
	v_add_f64 v[4:5], v[112:113], -v[4:5]
	buffer_store_dword v3, off, s[0:3], 0 offset:132
	buffer_store_dword v2, off, s[0:3], 0 offset:128
	buffer_store_dword v5, off, s[0:3], 0 offset:140
	buffer_store_dword v4, off, s[0:3], 0 offset:136
	s_and_saveexec_b64 s[6:7], vcc
	s_cbranch_execz .LBB79_95
; %bb.94:
	buffer_load_dword v2, v67, s[0:3], 0 offen
	buffer_load_dword v3, v67, s[0:3], 0 offen offset:4
	buffer_load_dword v4, v67, s[0:3], 0 offen offset:8
	;; [unrolled: 1-line block ×3, first 2 shown]
	s_nop 0
	buffer_store_dword v56, off, s[0:3], 0 offset:112
	buffer_store_dword v56, off, s[0:3], 0 offset:116
	;; [unrolled: 1-line block ×4, first 2 shown]
	s_waitcnt vmcnt(4)
	ds_write_b128 v58, v[2:5]
.LBB79_95:
	s_or_b64 exec, exec, s[6:7]
	s_waitcnt lgkmcnt(0)
	; wave barrier
	s_waitcnt lgkmcnt(0)
	ds_read_b128 v[14:17], v56 offset:384
	ds_read_b128 v[10:13], v56 offset:400
	ds_read_b128 v[6:9], v56 offset:416
	ds_read_b128 v[2:5], v56 offset:432
	buffer_load_dword v20, off, s[0:3], 0 offset:112
	buffer_load_dword v21, off, s[0:3], 0 offset:116
	;; [unrolled: 1-line block ×20, first 2 shown]
	v_cmp_lt_u32_e32 vcc, 6, v76
	s_waitcnt vmcnt(12) lgkmcnt(3)
	v_mul_f64 v[78:79], v[14:15], v[60:61]
	v_fmac_f64_e32 v[78:79], v[16:17], v[54:55]
	v_add_f64 v[78:79], v[78:79], 0
	v_mul_f64 v[16:17], v[16:17], v[60:61]
	s_waitcnt vmcnt(8) lgkmcnt(2)
	v_mul_f64 v[80:81], v[10:11], v[96:97]
	v_fmac_f64_e32 v[80:81], v[12:13], v[94:95]
	v_add_f64 v[78:79], v[78:79], v[80:81]
	v_fma_f64 v[14:15], v[14:15], v[54:55], -v[16:17]
	s_waitcnt vmcnt(4) lgkmcnt(1)
	v_mul_f64 v[80:81], v[6:7], v[100:101]
	v_fmac_f64_e32 v[80:81], v[8:9], v[98:99]
	v_add_f64 v[78:79], v[78:79], v[80:81]
	s_waitcnt vmcnt(0) lgkmcnt(0)
	v_mul_f64 v[80:81], v[2:3], v[104:105]
	v_fmac_f64_e32 v[80:81], v[4:5], v[102:103]
	v_add_f64 v[82:83], v[78:79], v[80:81]
	ds_read_b128 v[78:81], v56 offset:448
	buffer_load_dword v107, off, s[0:3], 0 offset:196
	buffer_load_dword v106, off, s[0:3], 0 offset:192
	buffer_load_dword v109, off, s[0:3], 0 offset:204
	buffer_load_dword v108, off, s[0:3], 0 offset:200
	v_mul_f64 v[12:13], v[12:13], v[96:97]
	v_add_f64 v[14:15], v[14:15], 0
	v_fma_f64 v[10:11], v[10:11], v[94:95], -v[12:13]
	v_mul_f64 v[8:9], v[8:9], v[100:101]
	v_add_f64 v[10:11], v[14:15], v[10:11]
	v_fma_f64 v[6:7], v[6:7], v[98:99], -v[8:9]
	;; [unrolled: 3-line block ×3, first 2 shown]
	v_add_f64 v[2:3], v[6:7], v[2:3]
	s_waitcnt vmcnt(0) lgkmcnt(0)
	v_mul_f64 v[84:85], v[78:79], v[108:109]
	v_fmac_f64_e32 v[84:85], v[80:81], v[106:107]
	v_add_f64 v[86:87], v[82:83], v[84:85]
	ds_read_b128 v[82:85], v56 offset:464
	buffer_load_dword v111, off, s[0:3], 0 offset:212
	buffer_load_dword v110, off, s[0:3], 0 offset:208
	buffer_load_dword v113, off, s[0:3], 0 offset:220
	buffer_load_dword v112, off, s[0:3], 0 offset:216
	v_mul_f64 v[4:5], v[80:81], v[108:109]
	v_fma_f64 v[4:5], v[78:79], v[106:107], -v[4:5]
	v_add_f64 v[2:3], v[2:3], v[4:5]
	s_waitcnt vmcnt(0) lgkmcnt(0)
	v_mul_f64 v[88:89], v[82:83], v[112:113]
	v_fmac_f64_e32 v[88:89], v[84:85], v[110:111]
	v_add_f64 v[90:91], v[86:87], v[88:89]
	ds_read_b128 v[86:89], v56 offset:480
	buffer_load_dword v115, off, s[0:3], 0 offset:228
	buffer_load_dword v114, off, s[0:3], 0 offset:224
	buffer_load_dword v117, off, s[0:3], 0 offset:236
	buffer_load_dword v116, off, s[0:3], 0 offset:232
	v_mul_f64 v[4:5], v[84:85], v[112:113]
	v_fma_f64 v[4:5], v[82:83], v[110:111], -v[4:5]
	v_add_f64 v[2:3], v[2:3], v[4:5]
	s_waitcnt vmcnt(0) lgkmcnt(0)
	v_mul_f64 v[92:93], v[86:87], v[116:117]
	v_fmac_f64_e32 v[92:93], v[88:89], v[114:115]
	v_add_f64 v[118:119], v[90:91], v[92:93]
	ds_read_b128 v[90:93], v56 offset:496
	buffer_load_dword v57, off, s[0:3], 0 offset:244
	buffer_load_dword v56, off, s[0:3], 0 offset:240
	buffer_load_dword v121, off, s[0:3], 0 offset:252
	buffer_load_dword v120, off, s[0:3], 0 offset:248
	v_mul_f64 v[4:5], v[88:89], v[116:117]
	v_fma_f64 v[4:5], v[86:87], v[114:115], -v[4:5]
	v_add_f64 v[2:3], v[2:3], v[4:5]
	s_waitcnt vmcnt(0) lgkmcnt(0)
	v_mul_f64 v[4:5], v[92:93], v[120:121]
	v_mul_f64 v[122:123], v[90:91], v[120:121]
	v_fma_f64 v[4:5], v[90:91], v[56:57], -v[4:5]
	v_fmac_f64_e32 v[122:123], v[92:93], v[56:57]
	v_add_f64 v[2:3], v[2:3], v[4:5]
	v_add_f64 v[118:119], v[118:119], v[122:123]
	v_add_f64 v[2:3], v[20:21], -v[2:3]
	v_add_f64 v[4:5], v[18:19], -v[118:119]
	buffer_store_dword v3, off, s[0:3], 0 offset:116
	buffer_store_dword v2, off, s[0:3], 0 offset:112
	;; [unrolled: 1-line block ×4, first 2 shown]
	s_and_saveexec_b64 s[6:7], vcc
	s_cbranch_execz .LBB79_97
; %bb.96:
	buffer_load_dword v2, v72, s[0:3], 0 offen
	buffer_load_dword v3, v72, s[0:3], 0 offen offset:4
	buffer_load_dword v4, v72, s[0:3], 0 offen offset:8
	;; [unrolled: 1-line block ×3, first 2 shown]
	v_mov_b32_e32 v6, 0
	buffer_store_dword v6, off, s[0:3], 0 offset:96
	buffer_store_dword v6, off, s[0:3], 0 offset:100
	;; [unrolled: 1-line block ×4, first 2 shown]
	s_waitcnt vmcnt(4)
	ds_write_b128 v58, v[2:5]
.LBB79_97:
	s_or_b64 exec, exec, s[6:7]
	s_waitcnt lgkmcnt(0)
	; wave barrier
	s_waitcnt lgkmcnt(0)
	buffer_load_dword v20, off, s[0:3], 0 offset:120
	buffer_load_dword v21, off, s[0:3], 0 offset:124
	;; [unrolled: 1-line block ×40, first 2 shown]
	v_mov_b32_e32 v6, 0
	ds_read_b128 v[2:5], v6 offset:368
	ds_read_b128 v[8:11], v6 offset:384
	;; [unrolled: 1-line block ×9, first 2 shown]
	v_cmp_lt_u32_e32 vcc, 5, v76
	s_waitcnt vmcnt(38) lgkmcnt(8)
	v_mul_f64 v[130:131], v[2:3], v[20:21]
	v_mul_f64 v[20:21], v[4:5], v[20:21]
	s_waitcnt vmcnt(36) lgkmcnt(7)
	v_mul_f64 v[132:133], v[8:9], v[60:61]
	v_mul_f64 v[60:61], v[10:11], v[60:61]
	;; [unrolled: 3-line block ×3, first 2 shown]
	s_waitcnt vmcnt(32) lgkmcnt(4)
	v_mul_f64 v[138:139], v[54:55], v[96:97]
	s_waitcnt vmcnt(30)
	v_fmac_f64_e32 v[138:139], v[56:57], v[98:99]
	s_waitcnt vmcnt(28)
	v_mul_f64 v[136:137], v[16:17], v[100:101]
	v_mul_f64 v[100:101], v[18:19], v[100:101]
	s_waitcnt vmcnt(26) lgkmcnt(2)
	v_mul_f64 v[142:143], v[82:83], v[102:103]
	s_waitcnt vmcnt(24)
	v_fmac_f64_e32 v[142:143], v[84:85], v[104:105]
	s_waitcnt vmcnt(22)
	v_mul_f64 v[140:141], v[78:79], v[106:107]
	s_waitcnt vmcnt(18) lgkmcnt(1)
	v_mul_f64 v[144:145], v[86:87], v[112:113]
	s_waitcnt vmcnt(17) lgkmcnt(0)
	v_mul_f64 v[146:147], v[90:91], v[108:109]
	s_waitcnt vmcnt(15)
	v_fma_f64 v[2:3], v[2:3], v[114:115], -v[20:21]
	v_fmac_f64_e32 v[130:131], v[4:5], v[114:115]
	s_waitcnt vmcnt(13)
	v_fma_f64 v[4:5], v[8:9], v[116:117], -v[60:61]
	v_add_f64 v[2:3], v[2:3], 0
	s_waitcnt vmcnt(11)
	v_fma_f64 v[8:9], v[12:13], v[118:119], -v[94:95]
	v_add_f64 v[2:3], v[2:3], v[4:5]
	v_fmac_f64_e32 v[132:133], v[10:11], v[116:117]
	s_waitcnt vmcnt(9)
	v_fma_f64 v[10:11], v[16:17], v[120:121], -v[100:101]
	v_add_f64 v[2:3], v[2:3], v[8:9]
	v_mul_f64 v[8:9], v[56:57], v[96:97]
	v_add_f64 v[2:3], v[2:3], v[10:11]
	v_fma_f64 v[8:9], v[54:55], v[98:99], -v[8:9]
	v_add_f64 v[2:3], v[2:3], v[8:9]
	v_mul_f64 v[8:9], v[80:81], v[106:107]
	v_add_f64 v[12:13], v[130:131], 0
	s_waitcnt vmcnt(7)
	v_fma_f64 v[8:9], v[78:79], v[122:123], -v[8:9]
	v_fmac_f64_e32 v[134:135], v[14:15], v[118:119]
	v_add_f64 v[12:13], v[12:13], v[132:133]
	v_add_f64 v[2:3], v[2:3], v[8:9]
	v_mul_f64 v[8:9], v[84:85], v[102:103]
	v_fmac_f64_e32 v[136:137], v[18:19], v[120:121]
	v_add_f64 v[4:5], v[12:13], v[134:135]
	v_fma_f64 v[8:9], v[82:83], v[104:105], -v[8:9]
	v_add_f64 v[4:5], v[4:5], v[136:137]
	v_add_f64 v[2:3], v[2:3], v[8:9]
	v_mul_f64 v[8:9], v[88:89], v[112:113]
	v_fmac_f64_e32 v[140:141], v[80:81], v[122:123]
	v_add_f64 v[4:5], v[4:5], v[138:139]
	s_waitcnt vmcnt(5)
	v_fma_f64 v[8:9], v[86:87], v[124:125], -v[8:9]
	v_add_f64 v[4:5], v[4:5], v[140:141]
	v_add_f64 v[2:3], v[2:3], v[8:9]
	v_mul_f64 v[8:9], v[92:93], v[108:109]
	v_fmac_f64_e32 v[144:145], v[88:89], v[124:125]
	v_add_f64 v[4:5], v[4:5], v[142:143]
	s_waitcnt vmcnt(4)
	v_fma_f64 v[8:9], v[90:91], v[110:111], -v[8:9]
	v_fmac_f64_e32 v[146:147], v[92:93], v[110:111]
	v_add_f64 v[4:5], v[4:5], v[144:145]
	v_add_f64 v[2:3], v[2:3], v[8:9]
	;; [unrolled: 1-line block ×3, first 2 shown]
	s_waitcnt vmcnt(2)
	v_add_f64 v[2:3], v[126:127], -v[2:3]
	s_waitcnt vmcnt(0)
	v_add_f64 v[4:5], v[128:129], -v[4:5]
	buffer_store_dword v3, off, s[0:3], 0 offset:100
	buffer_store_dword v2, off, s[0:3], 0 offset:96
	;; [unrolled: 1-line block ×4, first 2 shown]
	s_and_saveexec_b64 s[6:7], vcc
	s_cbranch_execz .LBB79_99
; %bb.98:
	buffer_load_dword v2, v71, s[0:3], 0 offen
	buffer_load_dword v3, v71, s[0:3], 0 offen offset:4
	buffer_load_dword v4, v71, s[0:3], 0 offen offset:8
	;; [unrolled: 1-line block ×3, first 2 shown]
	s_nop 0
	buffer_store_dword v6, off, s[0:3], 0 offset:80
	buffer_store_dword v6, off, s[0:3], 0 offset:84
	;; [unrolled: 1-line block ×4, first 2 shown]
	s_waitcnt vmcnt(4)
	ds_write_b128 v58, v[2:5]
.LBB79_99:
	s_or_b64 exec, exec, s[6:7]
	s_waitcnt lgkmcnt(0)
	; wave barrier
	s_waitcnt lgkmcnt(0)
	buffer_load_dword v4, off, s[0:3], 0 offset:96
	buffer_load_dword v5, off, s[0:3], 0 offset:100
	;; [unrolled: 1-line block ×44, first 2 shown]
	ds_read_b128 v[8:11], v6 offset:352
	ds_read_b128 v[12:15], v6 offset:368
	;; [unrolled: 1-line block ×10, first 2 shown]
	v_cmp_lt_u32_e32 vcc, 4, v76
	s_waitcnt vmcnt(40) lgkmcnt(9)
	v_mul_f64 v[6:7], v[8:9], v[20:21]
	v_mul_f64 v[20:21], v[10:11], v[20:21]
	s_waitcnt vmcnt(38) lgkmcnt(8)
	v_mul_f64 v[138:139], v[12:13], v[60:61]
	v_mul_f64 v[60:61], v[14:15], v[60:61]
	v_fmac_f64_e32 v[6:7], v[10:11], v[4:5]
	v_fma_f64 v[4:5], v[8:9], v[4:5], -v[20:21]
	s_waitcnt vmcnt(36) lgkmcnt(7)
	v_mul_f64 v[140:141], v[16:17], v[2:3]
	v_add_f64 v[4:5], v[4:5], 0
	v_mul_f64 v[2:3], v[18:19], v[2:3]
	v_add_f64 v[6:7], v[6:7], 0
	s_waitcnt vmcnt(30) lgkmcnt(6)
	v_mul_f64 v[142:143], v[54:55], v[106:107]
	s_waitcnt lgkmcnt(5)
	v_mul_f64 v[144:145], v[78:79], v[102:103]
	v_fmac_f64_e32 v[144:145], v[80:81], v[104:105]
	s_waitcnt vmcnt(28) lgkmcnt(3)
	v_mul_f64 v[148:149], v[86:87], v[108:109]
	s_waitcnt vmcnt(26)
	v_fmac_f64_e32 v[148:149], v[88:89], v[110:111]
	s_waitcnt vmcnt(24)
	v_mul_f64 v[146:147], v[82:83], v[112:113]
	s_waitcnt vmcnt(22) lgkmcnt(1)
	v_mul_f64 v[152:153], v[94:95], v[114:115]
	s_waitcnt vmcnt(20)
	v_fmac_f64_e32 v[152:153], v[96:97], v[116:117]
	s_waitcnt vmcnt(18)
	v_mul_f64 v[150:151], v[90:91], v[118:119]
	s_waitcnt vmcnt(16) lgkmcnt(0)
	v_mul_f64 v[154:155], v[98:99], v[120:121]
	s_waitcnt vmcnt(14)
	v_fma_f64 v[8:9], v[12:13], v[122:123], -v[60:61]
	v_add_f64 v[4:5], v[4:5], v[8:9]
	s_waitcnt vmcnt(12)
	v_fma_f64 v[2:3], v[16:17], v[124:125], -v[2:3]
	v_add_f64 v[2:3], v[4:5], v[2:3]
	v_mul_f64 v[4:5], v[56:57], v[106:107]
	s_waitcnt vmcnt(10)
	v_fma_f64 v[4:5], v[54:55], v[126:127], -v[4:5]
	v_add_f64 v[2:3], v[2:3], v[4:5]
	v_mul_f64 v[4:5], v[80:81], v[102:103]
	v_fma_f64 v[4:5], v[78:79], v[104:105], -v[4:5]
	v_add_f64 v[2:3], v[2:3], v[4:5]
	v_mul_f64 v[4:5], v[84:85], v[112:113]
	s_waitcnt vmcnt(8)
	v_fma_f64 v[4:5], v[82:83], v[128:129], -v[4:5]
	v_fmac_f64_e32 v[138:139], v[14:15], v[122:123]
	v_add_f64 v[2:3], v[2:3], v[4:5]
	v_mul_f64 v[4:5], v[88:89], v[108:109]
	v_fmac_f64_e32 v[140:141], v[18:19], v[124:125]
	v_add_f64 v[6:7], v[6:7], v[138:139]
	v_fma_f64 v[4:5], v[86:87], v[110:111], -v[4:5]
	v_fmac_f64_e32 v[142:143], v[56:57], v[126:127]
	v_add_f64 v[6:7], v[6:7], v[140:141]
	v_add_f64 v[2:3], v[2:3], v[4:5]
	v_mul_f64 v[4:5], v[92:93], v[118:119]
	v_add_f64 v[6:7], v[6:7], v[142:143]
	s_waitcnt vmcnt(6)
	v_fma_f64 v[4:5], v[90:91], v[130:131], -v[4:5]
	v_fmac_f64_e32 v[146:147], v[84:85], v[128:129]
	v_add_f64 v[6:7], v[6:7], v[144:145]
	v_add_f64 v[2:3], v[2:3], v[4:5]
	v_mul_f64 v[4:5], v[96:97], v[114:115]
	v_add_f64 v[6:7], v[6:7], v[146:147]
	v_fma_f64 v[4:5], v[94:95], v[116:117], -v[4:5]
	v_fmac_f64_e32 v[150:151], v[92:93], v[130:131]
	v_add_f64 v[6:7], v[6:7], v[148:149]
	v_add_f64 v[2:3], v[2:3], v[4:5]
	v_mul_f64 v[4:5], v[100:101], v[120:121]
	v_add_f64 v[6:7], v[6:7], v[150:151]
	s_waitcnt vmcnt(4)
	v_fma_f64 v[4:5], v[98:99], v[132:133], -v[4:5]
	v_fmac_f64_e32 v[154:155], v[100:101], v[132:133]
	v_add_f64 v[6:7], v[6:7], v[152:153]
	v_add_f64 v[2:3], v[2:3], v[4:5]
	;; [unrolled: 1-line block ×3, first 2 shown]
	s_waitcnt vmcnt(2)
	v_add_f64 v[2:3], v[134:135], -v[2:3]
	s_waitcnt vmcnt(0)
	v_add_f64 v[4:5], v[136:137], -v[6:7]
	buffer_store_dword v3, off, s[0:3], 0 offset:84
	buffer_store_dword v2, off, s[0:3], 0 offset:80
	;; [unrolled: 1-line block ×4, first 2 shown]
	s_and_saveexec_b64 s[6:7], vcc
	s_cbranch_execz .LBB79_101
; %bb.100:
	buffer_load_dword v2, v70, s[0:3], 0 offen
	buffer_load_dword v3, v70, s[0:3], 0 offen offset:4
	buffer_load_dword v4, v70, s[0:3], 0 offen offset:8
	;; [unrolled: 1-line block ×3, first 2 shown]
	v_mov_b32_e32 v6, 0
	buffer_store_dword v6, off, s[0:3], 0 offset:64
	buffer_store_dword v6, off, s[0:3], 0 offset:68
	;; [unrolled: 1-line block ×4, first 2 shown]
	s_waitcnt vmcnt(4)
	ds_write_b128 v58, v[2:5]
.LBB79_101:
	s_or_b64 exec, exec, s[6:7]
	s_waitcnt lgkmcnt(0)
	; wave barrier
	s_waitcnt lgkmcnt(0)
	buffer_load_dword v2, off, s[0:3], 0 offset:80
	buffer_load_dword v3, off, s[0:3], 0 offset:84
	;; [unrolled: 1-line block ×48, first 2 shown]
	v_mov_b32_e32 v12, 0
	ds_read_b128 v[14:17], v12 offset:336
	ds_read_b128 v[18:21], v12 offset:352
	;; [unrolled: 1-line block ×11, first 2 shown]
	v_cmp_lt_u32_e32 vcc, 3, v76
	s_waitcnt vmcnt(44) lgkmcnt(10)
	v_mul_f64 v[146:147], v[14:15], v[6:7]
	v_mul_f64 v[6:7], v[16:17], v[6:7]
	v_fmac_f64_e32 v[146:147], v[16:17], v[2:3]
	v_fma_f64 v[2:3], v[14:15], v[2:3], -v[6:7]
	s_waitcnt vmcnt(40) lgkmcnt(9)
	v_mul_f64 v[148:149], v[18:19], v[8:9]
	v_mul_f64 v[6:7], v[20:21], v[8:9]
	v_fmac_f64_e32 v[148:149], v[20:21], v[4:5]
	v_add_f64 v[2:3], v[2:3], 0
	v_fma_f64 v[4:5], v[18:19], v[4:5], -v[6:7]
	v_add_f64 v[2:3], v[2:3], v[4:5]
	s_waitcnt vmcnt(38) lgkmcnt(8)
	v_mul_f64 v[4:5], v[56:57], v[10:11]
	v_mul_f64 v[150:151], v[54:55], v[10:11]
	v_add_f64 v[146:147], v[146:147], 0
	s_waitcnt vmcnt(32) lgkmcnt(7)
	v_mul_f64 v[152:153], v[78:79], v[112:113]
	v_add_f64 v[146:147], v[146:147], v[148:149]
	s_waitcnt lgkmcnt(6)
	v_mul_f64 v[154:155], v[82:83], v[60:61]
	v_fmac_f64_e32 v[154:155], v[84:85], v[110:111]
	s_waitcnt vmcnt(30) lgkmcnt(4)
	v_mul_f64 v[158:159], v[90:91], v[114:115]
	s_waitcnt vmcnt(26)
	v_mul_f64 v[156:157], v[86:87], v[118:119]
	v_fmac_f64_e32 v[158:159], v[92:93], v[116:117]
	s_waitcnt vmcnt(24) lgkmcnt(2)
	v_mul_f64 v[162:163], v[98:99], v[120:121]
	s_waitcnt vmcnt(22)
	v_fmac_f64_e32 v[162:163], v[100:101], v[122:123]
	s_waitcnt vmcnt(20)
	v_mul_f64 v[160:161], v[94:95], v[124:125]
	s_waitcnt vmcnt(16) lgkmcnt(1)
	v_mul_f64 v[164:165], v[102:103], v[130:131]
	s_waitcnt vmcnt(14)
	v_fma_f64 v[4:5], v[54:55], v[132:133], -v[4:5]
	v_add_f64 v[2:3], v[2:3], v[4:5]
	v_mul_f64 v[4:5], v[80:81], v[112:113]
	s_waitcnt vmcnt(12)
	v_fma_f64 v[4:5], v[78:79], v[134:135], -v[4:5]
	v_add_f64 v[2:3], v[2:3], v[4:5]
	v_mul_f64 v[4:5], v[84:85], v[60:61]
	v_fma_f64 v[4:5], v[82:83], v[110:111], -v[4:5]
	v_add_f64 v[2:3], v[2:3], v[4:5]
	v_mul_f64 v[4:5], v[88:89], v[118:119]
	s_waitcnt vmcnt(10)
	v_fma_f64 v[4:5], v[86:87], v[136:137], -v[4:5]
	v_add_f64 v[2:3], v[2:3], v[4:5]
	v_mul_f64 v[4:5], v[92:93], v[114:115]
	v_fma_f64 v[4:5], v[90:91], v[116:117], -v[4:5]
	v_fmac_f64_e32 v[150:151], v[56:57], v[132:133]
	v_add_f64 v[2:3], v[2:3], v[4:5]
	v_mul_f64 v[4:5], v[96:97], v[124:125]
	v_fmac_f64_e32 v[152:153], v[80:81], v[134:135]
	v_add_f64 v[146:147], v[146:147], v[150:151]
	s_waitcnt vmcnt(8)
	v_fma_f64 v[4:5], v[94:95], v[138:139], -v[4:5]
	v_add_f64 v[146:147], v[146:147], v[152:153]
	v_add_f64 v[2:3], v[2:3], v[4:5]
	v_mul_f64 v[4:5], v[100:101], v[120:121]
	v_fmac_f64_e32 v[156:157], v[88:89], v[136:137]
	v_add_f64 v[146:147], v[146:147], v[154:155]
	v_fma_f64 v[4:5], v[98:99], v[122:123], -v[4:5]
	v_add_f64 v[146:147], v[146:147], v[156:157]
	v_add_f64 v[2:3], v[2:3], v[4:5]
	v_mul_f64 v[4:5], v[104:105], v[130:131]
	v_fmac_f64_e32 v[160:161], v[96:97], v[138:139]
	v_add_f64 v[146:147], v[146:147], v[158:159]
	s_waitcnt vmcnt(6)
	v_fma_f64 v[4:5], v[102:103], v[140:141], -v[4:5]
	v_add_f64 v[146:147], v[146:147], v[160:161]
	v_add_f64 v[2:3], v[2:3], v[4:5]
	s_waitcnt vmcnt(5) lgkmcnt(0)
	v_mul_f64 v[4:5], v[108:109], v[126:127]
	v_fmac_f64_e32 v[164:165], v[104:105], v[140:141]
	v_add_f64 v[146:147], v[146:147], v[162:163]
	v_mul_f64 v[148:149], v[106:107], v[126:127]
	s_waitcnt vmcnt(4)
	v_fma_f64 v[4:5], v[106:107], v[128:129], -v[4:5]
	v_add_f64 v[146:147], v[146:147], v[164:165]
	v_fmac_f64_e32 v[148:149], v[108:109], v[128:129]
	v_add_f64 v[2:3], v[2:3], v[4:5]
	v_add_f64 v[146:147], v[146:147], v[148:149]
	s_waitcnt vmcnt(2)
	v_add_f64 v[2:3], v[142:143], -v[2:3]
	s_waitcnt vmcnt(0)
	v_add_f64 v[4:5], v[144:145], -v[146:147]
	buffer_store_dword v3, off, s[0:3], 0 offset:68
	buffer_store_dword v2, off, s[0:3], 0 offset:64
	;; [unrolled: 1-line block ×4, first 2 shown]
	s_and_saveexec_b64 s[6:7], vcc
	s_cbranch_execz .LBB79_103
; %bb.102:
	buffer_load_dword v2, v74, s[0:3], 0 offen
	buffer_load_dword v3, v74, s[0:3], 0 offen offset:4
	buffer_load_dword v4, v74, s[0:3], 0 offen offset:8
	;; [unrolled: 1-line block ×3, first 2 shown]
	s_nop 0
	buffer_store_dword v12, off, s[0:3], 0 offset:48
	buffer_store_dword v12, off, s[0:3], 0 offset:52
	;; [unrolled: 1-line block ×4, first 2 shown]
	s_waitcnt vmcnt(4)
	ds_write_b128 v58, v[2:5]
.LBB79_103:
	s_or_b64 exec, exec, s[6:7]
	s_waitcnt lgkmcnt(0)
	; wave barrier
	s_waitcnt lgkmcnt(0)
	buffer_load_dword v2, off, s[0:3], 0 offset:64
	buffer_load_dword v3, off, s[0:3], 0 offset:68
	;; [unrolled: 1-line block ×52, first 2 shown]
	ds_read_b128 v[14:17], v12 offset:320
	ds_read_b128 v[18:21], v12 offset:336
	ds_read_b128 v[54:57], v12 offset:352
	ds_read_b128 v[78:81], v12 offset:368
	ds_read_b128 v[82:85], v12 offset:384
	ds_read_b128 v[86:89], v12 offset:400
	ds_read_b128 v[90:93], v12 offset:416
	ds_read_b128 v[94:97], v12 offset:432
	ds_read_b128 v[98:101], v12 offset:448
	ds_read_b128 v[102:105], v12 offset:464
	v_cmp_lt_u32_e32 vcc, 2, v76
	s_waitcnt vmcnt(48) lgkmcnt(9)
	v_mul_f64 v[106:107], v[14:15], v[6:7]
	v_mul_f64 v[6:7], v[16:17], v[6:7]
	v_fmac_f64_e32 v[106:107], v[16:17], v[2:3]
	v_fma_f64 v[2:3], v[14:15], v[2:3], -v[6:7]
	s_waitcnt vmcnt(44) lgkmcnt(8)
	v_mul_f64 v[108:109], v[18:19], v[8:9]
	v_mul_f64 v[6:7], v[20:21], v[8:9]
	v_fmac_f64_e32 v[108:109], v[20:21], v[4:5]
	v_add_f64 v[2:3], v[2:3], 0
	v_fma_f64 v[4:5], v[18:19], v[4:5], -v[6:7]
	v_add_f64 v[2:3], v[2:3], v[4:5]
	s_waitcnt vmcnt(42) lgkmcnt(7)
	v_mul_f64 v[4:5], v[56:57], v[10:11]
	v_mul_f64 v[110:111], v[54:55], v[10:11]
	v_add_f64 v[106:107], v[106:107], 0
	s_waitcnt vmcnt(36) lgkmcnt(6)
	v_mul_f64 v[112:113], v[78:79], v[116:117]
	v_add_f64 v[106:107], v[106:107], v[108:109]
	s_waitcnt lgkmcnt(5)
	v_mul_f64 v[154:155], v[82:83], v[60:61]
	v_fmac_f64_e32 v[154:155], v[84:85], v[114:115]
	s_waitcnt vmcnt(34) lgkmcnt(3)
	v_mul_f64 v[158:159], v[90:91], v[118:119]
	s_waitcnt vmcnt(30)
	v_mul_f64 v[156:157], v[86:87], v[122:123]
	v_fmac_f64_e32 v[158:159], v[92:93], v[120:121]
	s_waitcnt vmcnt(26) lgkmcnt(2)
	v_mul_f64 v[160:161], v[94:95], v[128:129]
	s_waitcnt vmcnt(25) lgkmcnt(1)
	v_mul_f64 v[162:163], v[98:99], v[124:125]
	s_waitcnt vmcnt(23)
	v_fma_f64 v[4:5], v[54:55], v[130:131], -v[4:5]
	v_add_f64 v[2:3], v[2:3], v[4:5]
	v_mul_f64 v[4:5], v[80:81], v[116:117]
	s_waitcnt vmcnt(21)
	v_fma_f64 v[4:5], v[78:79], v[132:133], -v[4:5]
	v_fmac_f64_e32 v[110:111], v[56:57], v[130:131]
	v_add_f64 v[2:3], v[2:3], v[4:5]
	v_mul_f64 v[4:5], v[84:85], v[60:61]
	v_fmac_f64_e32 v[112:113], v[80:81], v[132:133]
	v_add_f64 v[106:107], v[106:107], v[110:111]
	v_fma_f64 v[4:5], v[82:83], v[114:115], -v[4:5]
	v_add_f64 v[106:107], v[106:107], v[112:113]
	v_add_f64 v[2:3], v[2:3], v[4:5]
	v_mul_f64 v[4:5], v[88:89], v[122:123]
	s_waitcnt vmcnt(19)
	v_fmac_f64_e32 v[156:157], v[88:89], v[134:135]
	v_add_f64 v[106:107], v[106:107], v[154:155]
	v_fma_f64 v[4:5], v[86:87], v[134:135], -v[4:5]
	v_add_f64 v[106:107], v[106:107], v[156:157]
	v_add_f64 v[2:3], v[2:3], v[4:5]
	v_mul_f64 v[4:5], v[92:93], v[118:119]
	s_waitcnt vmcnt(17)
	v_fmac_f64_e32 v[160:161], v[96:97], v[136:137]
	v_add_f64 v[106:107], v[106:107], v[158:159]
	v_fma_f64 v[4:5], v[90:91], v[120:121], -v[4:5]
	s_waitcnt vmcnt(16)
	v_fmac_f64_e32 v[162:163], v[100:101], v[126:127]
	v_add_f64 v[106:107], v[106:107], v[160:161]
	v_add_f64 v[2:3], v[2:3], v[4:5]
	v_mul_f64 v[4:5], v[96:97], v[128:129]
	v_add_f64 v[154:155], v[106:107], v[162:163]
	ds_read_b128 v[106:109], v12 offset:480
	ds_read_b128 v[110:113], v12 offset:496
	v_fma_f64 v[4:5], v[94:95], v[136:137], -v[4:5]
	v_add_f64 v[2:3], v[2:3], v[4:5]
	v_mul_f64 v[4:5], v[100:101], v[124:125]
	v_fma_f64 v[4:5], v[98:99], v[126:127], -v[4:5]
	v_add_f64 v[2:3], v[2:3], v[4:5]
	s_waitcnt vmcnt(12) lgkmcnt(2)
	v_mul_f64 v[4:5], v[104:105], v[142:143]
	v_mul_f64 v[156:157], v[102:103], v[142:143]
	s_waitcnt vmcnt(10)
	v_fma_f64 v[4:5], v[102:103], v[144:145], -v[4:5]
	v_fmac_f64_e32 v[156:157], v[104:105], v[144:145]
	v_add_f64 v[2:3], v[2:3], v[4:5]
	s_waitcnt vmcnt(8) lgkmcnt(1)
	v_mul_f64 v[4:5], v[108:109], v[138:139]
	v_add_f64 v[12:13], v[154:155], v[156:157]
	v_mul_f64 v[154:155], v[106:107], v[138:139]
	v_fma_f64 v[4:5], v[106:107], v[140:141], -v[4:5]
	v_fmac_f64_e32 v[154:155], v[108:109], v[140:141]
	v_add_f64 v[2:3], v[2:3], v[4:5]
	s_waitcnt vmcnt(6) lgkmcnt(0)
	v_mul_f64 v[4:5], v[112:113], v[146:147]
	v_add_f64 v[12:13], v[12:13], v[154:155]
	v_mul_f64 v[154:155], v[110:111], v[146:147]
	s_waitcnt vmcnt(4)
	v_fma_f64 v[4:5], v[110:111], v[148:149], -v[4:5]
	v_fmac_f64_e32 v[154:155], v[112:113], v[148:149]
	v_add_f64 v[2:3], v[2:3], v[4:5]
	v_add_f64 v[12:13], v[12:13], v[154:155]
	s_waitcnt vmcnt(2)
	v_add_f64 v[2:3], v[150:151], -v[2:3]
	s_waitcnt vmcnt(0)
	v_add_f64 v[4:5], v[152:153], -v[12:13]
	buffer_store_dword v3, off, s[0:3], 0 offset:52
	buffer_store_dword v2, off, s[0:3], 0 offset:48
	;; [unrolled: 1-line block ×4, first 2 shown]
	s_and_saveexec_b64 s[6:7], vcc
	s_cbranch_execz .LBB79_105
; %bb.104:
	buffer_load_dword v2, v75, s[0:3], 0 offen
	buffer_load_dword v3, v75, s[0:3], 0 offen offset:4
	buffer_load_dword v4, v75, s[0:3], 0 offen offset:8
	;; [unrolled: 1-line block ×3, first 2 shown]
	v_mov_b32_e32 v6, 0
	buffer_store_dword v6, off, s[0:3], 0 offset:32
	buffer_store_dword v6, off, s[0:3], 0 offset:36
	;; [unrolled: 1-line block ×4, first 2 shown]
	s_waitcnt vmcnt(4)
	ds_write_b128 v58, v[2:5]
.LBB79_105:
	s_or_b64 exec, exec, s[6:7]
	s_waitcnt lgkmcnt(0)
	; wave barrier
	s_waitcnt lgkmcnt(0)
	buffer_load_dword v2, off, s[0:3], 0 offset:48
	buffer_load_dword v3, off, s[0:3], 0 offset:52
	;; [unrolled: 1-line block ×56, first 2 shown]
	v_mov_b32_e32 v59, 0
	ds_read_b128 v[18:21], v59 offset:304
	ds_read_b128 v[54:57], v59 offset:320
	;; [unrolled: 1-line block ×9, first 2 shown]
	v_cmp_lt_u32_e32 vcc, 1, v76
	s_waitcnt vmcnt(52) lgkmcnt(8)
	v_mul_f64 v[102:103], v[18:19], v[6:7]
	v_fmac_f64_e32 v[102:103], v[20:21], v[2:3]
	v_mul_f64 v[6:7], v[20:21], v[6:7]
	v_add_f64 v[102:103], v[102:103], 0
	s_waitcnt vmcnt(48) lgkmcnt(7)
	v_mul_f64 v[104:105], v[54:55], v[8:9]
	v_fmac_f64_e32 v[104:105], v[56:57], v[4:5]
	s_waitcnt vmcnt(46) lgkmcnt(6)
	v_mul_f64 v[106:107], v[78:79], v[10:11]
	v_fma_f64 v[2:3], v[18:19], v[2:3], -v[6:7]
	v_mul_f64 v[6:7], v[56:57], v[8:9]
	v_add_f64 v[102:103], v[102:103], v[104:105]
	v_add_f64 v[2:3], v[2:3], 0
	v_fma_f64 v[4:5], v[54:55], v[4:5], -v[6:7]
	s_waitcnt vmcnt(40) lgkmcnt(5)
	v_mul_f64 v[108:109], v[82:83], v[16:17]
	s_waitcnt lgkmcnt(4)
	v_mul_f64 v[110:111], v[86:87], v[12:13]
	v_add_f64 v[2:3], v[2:3], v[4:5]
	v_mul_f64 v[4:5], v[80:81], v[10:11]
	s_waitcnt vmcnt(36) lgkmcnt(3)
	v_mul_f64 v[112:113], v[90:91], v[124:125]
	v_fmac_f64_e32 v[110:111], v[88:89], v[14:15]
	s_waitcnt vmcnt(35) lgkmcnt(2)
	v_mul_f64 v[114:115], v[94:95], v[60:61]
	s_waitcnt vmcnt(33)
	v_fmac_f64_e32 v[106:107], v[80:81], v[126:127]
	v_add_f64 v[102:103], v[102:103], v[106:107]
	s_waitcnt vmcnt(31)
	v_fmac_f64_e32 v[108:109], v[84:85], v[128:129]
	v_add_f64 v[102:103], v[102:103], v[108:109]
	v_fma_f64 v[4:5], v[78:79], v[126:127], -v[4:5]
	s_waitcnt vmcnt(29)
	v_fmac_f64_e32 v[112:113], v[92:93], v[130:131]
	v_add_f64 v[102:103], v[102:103], v[110:111]
	v_add_f64 v[2:3], v[2:3], v[4:5]
	v_mul_f64 v[4:5], v[84:85], v[16:17]
	s_waitcnt vmcnt(28)
	v_fmac_f64_e32 v[114:115], v[96:97], v[122:123]
	v_add_f64 v[102:103], v[102:103], v[112:113]
	v_fma_f64 v[4:5], v[82:83], v[128:129], -v[4:5]
	v_add_f64 v[106:107], v[102:103], v[114:115]
	ds_read_b128 v[102:105], v59 offset:432
	s_waitcnt vmcnt(24) lgkmcnt(2)
	v_mul_f64 v[108:109], v[98:99], v[136:137]
	v_add_f64 v[2:3], v[2:3], v[4:5]
	v_mul_f64 v[4:5], v[88:89], v[12:13]
	s_waitcnt vmcnt(22)
	v_fmac_f64_e32 v[108:109], v[100:101], v[138:139]
	v_fma_f64 v[4:5], v[86:87], v[14:15], -v[4:5]
	v_add_f64 v[110:111], v[106:107], v[108:109]
	ds_read_b128 v[106:109], v59 offset:448
	v_add_f64 v[2:3], v[2:3], v[4:5]
	v_mul_f64 v[4:5], v[92:93], v[124:125]
	v_fma_f64 v[4:5], v[90:91], v[130:131], -v[4:5]
	v_add_f64 v[2:3], v[2:3], v[4:5]
	v_mul_f64 v[4:5], v[96:97], v[60:61]
	s_waitcnt vmcnt(20) lgkmcnt(1)
	v_mul_f64 v[112:113], v[102:103], v[132:133]
	v_fma_f64 v[4:5], v[94:95], v[122:123], -v[4:5]
	v_fmac_f64_e32 v[112:113], v[104:105], v[134:135]
	v_add_f64 v[2:3], v[2:3], v[4:5]
	v_mul_f64 v[4:5], v[100:101], v[136:137]
	v_add_f64 v[114:115], v[110:111], v[112:113]
	ds_read_b128 v[110:113], v59 offset:464
	s_waitcnt vmcnt(16) lgkmcnt(1)
	v_mul_f64 v[116:117], v[106:107], v[144:145]
	v_fma_f64 v[4:5], v[98:99], v[138:139], -v[4:5]
	s_waitcnt vmcnt(14)
	v_fmac_f64_e32 v[116:117], v[108:109], v[146:147]
	v_add_f64 v[2:3], v[2:3], v[4:5]
	v_mul_f64 v[4:5], v[104:105], v[132:133]
	v_add_f64 v[160:161], v[114:115], v[116:117]
	ds_read_b128 v[114:117], v59 offset:480
	v_fma_f64 v[4:5], v[102:103], v[134:135], -v[4:5]
	v_add_f64 v[2:3], v[2:3], v[4:5]
	v_mul_f64 v[4:5], v[108:109], v[144:145]
	v_fma_f64 v[4:5], v[106:107], v[146:147], -v[4:5]
	v_add_f64 v[2:3], v[2:3], v[4:5]
	s_waitcnt vmcnt(12) lgkmcnt(1)
	v_mul_f64 v[4:5], v[112:113], v[140:141]
	v_mul_f64 v[162:163], v[110:111], v[140:141]
	v_fma_f64 v[4:5], v[110:111], v[142:143], -v[4:5]
	v_fmac_f64_e32 v[162:163], v[112:113], v[142:143]
	v_add_f64 v[2:3], v[2:3], v[4:5]
	s_waitcnt vmcnt(8) lgkmcnt(0)
	v_mul_f64 v[4:5], v[116:117], v[152:153]
	v_add_f64 v[160:161], v[160:161], v[162:163]
	v_mul_f64 v[162:163], v[114:115], v[152:153]
	s_waitcnt vmcnt(6)
	v_fma_f64 v[4:5], v[114:115], v[154:155], -v[4:5]
	v_fmac_f64_e32 v[162:163], v[116:117], v[154:155]
	v_add_f64 v[2:3], v[2:3], v[4:5]
	s_waitcnt vmcnt(5)
	v_mul_f64 v[4:5], v[120:121], v[148:149]
	v_add_f64 v[160:161], v[160:161], v[162:163]
	v_mul_f64 v[162:163], v[118:119], v[148:149]
	s_waitcnt vmcnt(4)
	v_fma_f64 v[4:5], v[118:119], v[150:151], -v[4:5]
	v_fmac_f64_e32 v[162:163], v[120:121], v[150:151]
	v_add_f64 v[2:3], v[2:3], v[4:5]
	v_add_f64 v[160:161], v[160:161], v[162:163]
	s_waitcnt vmcnt(2)
	v_add_f64 v[2:3], v[156:157], -v[2:3]
	s_waitcnt vmcnt(0)
	v_add_f64 v[4:5], v[158:159], -v[160:161]
	buffer_store_dword v3, off, s[0:3], 0 offset:36
	buffer_store_dword v2, off, s[0:3], 0 offset:32
	;; [unrolled: 1-line block ×4, first 2 shown]
	s_and_saveexec_b64 s[6:7], vcc
	s_cbranch_execz .LBB79_107
; %bb.106:
	buffer_load_dword v2, v73, s[0:3], 0 offen
	buffer_load_dword v3, v73, s[0:3], 0 offen offset:4
	buffer_load_dword v4, v73, s[0:3], 0 offen offset:8
	;; [unrolled: 1-line block ×3, first 2 shown]
	s_nop 0
	buffer_store_dword v59, off, s[0:3], 0 offset:16
	buffer_store_dword v59, off, s[0:3], 0 offset:20
	buffer_store_dword v59, off, s[0:3], 0 offset:24
	buffer_store_dword v59, off, s[0:3], 0 offset:28
	s_waitcnt vmcnt(4)
	ds_write_b128 v58, v[2:5]
.LBB79_107:
	s_or_b64 exec, exec, s[6:7]
	s_waitcnt lgkmcnt(0)
	; wave barrier
	s_waitcnt lgkmcnt(0)
	buffer_load_dword v2, off, s[0:3], 0 offset:32
	buffer_load_dword v3, off, s[0:3], 0 offset:36
	;; [unrolled: 1-line block ×60, first 2 shown]
	ds_read_b128 v[78:81], v59 offset:288
	ds_read_b128 v[82:85], v59 offset:304
	;; [unrolled: 1-line block ×8, first 2 shown]
	v_cmp_ne_u32_e32 vcc, 0, v76
	ds_read_b128 v[130:133], v59 offset:496
	s_waitcnt vmcnt(56) lgkmcnt(8)
	v_mul_f64 v[110:111], v[78:79], v[6:7]
	v_fmac_f64_e32 v[110:111], v[80:81], v[2:3]
	v_add_f64 v[110:111], v[110:111], 0
	v_mul_f64 v[6:7], v[80:81], v[6:7]
	s_waitcnt vmcnt(52) lgkmcnt(7)
	v_mul_f64 v[112:113], v[82:83], v[8:9]
	v_fmac_f64_e32 v[112:113], v[84:85], v[4:5]
	s_waitcnt vmcnt(50) lgkmcnt(6)
	v_mul_f64 v[114:115], v[86:87], v[10:11]
	v_add_f64 v[110:111], v[110:111], v[112:113]
	s_waitcnt vmcnt(48) lgkmcnt(4)
	v_mul_f64 v[118:119], v[94:95], v[12:13]
	v_fma_f64 v[2:3], v[78:79], v[2:3], -v[6:7]
	s_waitcnt vmcnt(46)
	v_fmac_f64_e32 v[118:119], v[96:97], v[14:15]
	v_mul_f64 v[6:7], v[84:85], v[8:9]
	s_waitcnt vmcnt(44)
	v_mul_f64 v[116:117], v[90:91], v[16:17]
	v_add_f64 v[2:3], v[2:3], 0
	s_waitcnt vmcnt(42) lgkmcnt(3)
	v_mul_f64 v[120:121], v[98:99], v[18:19]
	v_fma_f64 v[4:5], v[82:83], v[4:5], -v[6:7]
	s_waitcnt vmcnt(40)
	v_fmac_f64_e32 v[114:115], v[88:89], v[60:61]
	v_add_f64 v[110:111], v[110:111], v[114:115]
	s_waitcnt vmcnt(38)
	v_fmac_f64_e32 v[116:117], v[92:93], v[134:135]
	v_add_f64 v[110:111], v[110:111], v[116:117]
	s_waitcnt vmcnt(36)
	v_fmac_f64_e32 v[120:121], v[100:101], v[56:57]
	v_add_f64 v[110:111], v[110:111], v[118:119]
	v_add_f64 v[110:111], v[110:111], v[120:121]
	v_add_f64 v[2:3], v[2:3], v[4:5]
	s_waitcnt vmcnt(32) lgkmcnt(2)
	v_mul_f64 v[112:113], v[102:103], v[20:21]
	v_fmac_f64_e32 v[112:113], v[104:105], v[54:55]
	v_mul_f64 v[4:5], v[88:89], v[10:11]
	v_add_f64 v[114:115], v[110:111], v[112:113]
	ds_read_b128 v[110:113], v59 offset:416
	v_fma_f64 v[4:5], v[86:87], v[60:61], -v[4:5]
	v_add_f64 v[2:3], v[2:3], v[4:5]
	v_mul_f64 v[4:5], v[92:93], v[16:17]
	v_fma_f64 v[4:5], v[90:91], v[134:135], -v[4:5]
	s_waitcnt vmcnt(29) lgkmcnt(2)
	v_mul_f64 v[116:117], v[106:107], v[138:139]
	v_add_f64 v[2:3], v[2:3], v[4:5]
	v_mul_f64 v[4:5], v[96:97], v[12:13]
	s_waitcnt vmcnt(27)
	v_fmac_f64_e32 v[116:117], v[108:109], v[140:141]
	v_fma_f64 v[4:5], v[94:95], v[14:15], -v[4:5]
	v_add_f64 v[118:119], v[114:115], v[116:117]
	ds_read_b128 v[114:117], v59 offset:432
	s_waitcnt vmcnt(24) lgkmcnt(1)
	v_mul_f64 v[120:121], v[110:111], v[136:137]
	v_add_f64 v[2:3], v[2:3], v[4:5]
	v_mul_f64 v[4:5], v[100:101], v[18:19]
	v_fmac_f64_e32 v[120:121], v[112:113], v[142:143]
	v_fma_f64 v[4:5], v[98:99], v[56:57], -v[4:5]
	v_add_f64 v[122:123], v[118:119], v[120:121]
	ds_read_b128 v[118:121], v59 offset:448
	v_add_f64 v[2:3], v[2:3], v[4:5]
	v_mul_f64 v[4:5], v[104:105], v[20:21]
	v_fma_f64 v[4:5], v[102:103], v[54:55], -v[4:5]
	v_add_f64 v[2:3], v[2:3], v[4:5]
	v_mul_f64 v[4:5], v[108:109], v[138:139]
	s_waitcnt vmcnt(21) lgkmcnt(1)
	v_mul_f64 v[124:125], v[114:115], v[146:147]
	v_fma_f64 v[4:5], v[106:107], v[140:141], -v[4:5]
	s_waitcnt vmcnt(19)
	v_fmac_f64_e32 v[124:125], v[116:117], v[148:149]
	v_add_f64 v[2:3], v[2:3], v[4:5]
	v_mul_f64 v[4:5], v[112:113], v[136:137]
	v_add_f64 v[126:127], v[122:123], v[124:125]
	ds_read_b128 v[122:125], v59 offset:464
	s_waitcnt vmcnt(16) lgkmcnt(1)
	v_mul_f64 v[128:129], v[118:119], v[144:145]
	v_fma_f64 v[4:5], v[110:111], v[142:143], -v[4:5]
	v_fmac_f64_e32 v[128:129], v[120:121], v[150:151]
	v_add_f64 v[2:3], v[2:3], v[4:5]
	v_mul_f64 v[4:5], v[116:117], v[146:147]
	v_add_f64 v[168:169], v[126:127], v[128:129]
	ds_read_b128 v[126:129], v59 offset:480
	v_fma_f64 v[4:5], v[114:115], v[148:149], -v[4:5]
	v_add_f64 v[2:3], v[2:3], v[4:5]
	v_mul_f64 v[4:5], v[120:121], v[144:145]
	v_fma_f64 v[4:5], v[118:119], v[150:151], -v[4:5]
	v_add_f64 v[2:3], v[2:3], v[4:5]
	s_waitcnt vmcnt(13) lgkmcnt(1)
	v_mul_f64 v[4:5], v[124:125], v[154:155]
	v_mul_f64 v[170:171], v[122:123], v[154:155]
	s_waitcnt vmcnt(11)
	v_fma_f64 v[4:5], v[122:123], v[156:157], -v[4:5]
	v_fmac_f64_e32 v[170:171], v[124:125], v[156:157]
	v_add_f64 v[2:3], v[2:3], v[4:5]
	s_waitcnt vmcnt(8) lgkmcnt(0)
	v_mul_f64 v[4:5], v[128:129], v[152:153]
	v_add_f64 v[168:169], v[168:169], v[170:171]
	v_mul_f64 v[170:171], v[126:127], v[152:153]
	v_fma_f64 v[4:5], v[126:127], v[158:159], -v[4:5]
	v_fmac_f64_e32 v[170:171], v[128:129], v[158:159]
	v_add_f64 v[2:3], v[2:3], v[4:5]
	s_waitcnt vmcnt(6)
	v_mul_f64 v[4:5], v[132:133], v[160:161]
	v_add_f64 v[168:169], v[168:169], v[170:171]
	v_mul_f64 v[170:171], v[130:131], v[160:161]
	s_waitcnt vmcnt(4)
	v_fma_f64 v[4:5], v[130:131], v[162:163], -v[4:5]
	v_fmac_f64_e32 v[170:171], v[132:133], v[162:163]
	v_add_f64 v[2:3], v[2:3], v[4:5]
	v_add_f64 v[168:169], v[168:169], v[170:171]
	s_waitcnt vmcnt(2)
	v_add_f64 v[2:3], v[164:165], -v[2:3]
	s_waitcnt vmcnt(0)
	v_add_f64 v[4:5], v[166:167], -v[168:169]
	buffer_store_dword v3, off, s[0:3], 0 offset:20
	buffer_store_dword v2, off, s[0:3], 0 offset:16
	;; [unrolled: 1-line block ×4, first 2 shown]
	s_and_saveexec_b64 s[6:7], vcc
	s_cbranch_execz .LBB79_109
; %bb.108:
	buffer_load_dword v2, off, s[0:3], 0
	buffer_load_dword v3, off, s[0:3], 0 offset:4
	buffer_load_dword v4, off, s[0:3], 0 offset:8
	;; [unrolled: 1-line block ×3, first 2 shown]
	v_mov_b32_e32 v6, 0
	buffer_store_dword v6, off, s[0:3], 0
	buffer_store_dword v6, off, s[0:3], 0 offset:4
	buffer_store_dword v6, off, s[0:3], 0 offset:8
	;; [unrolled: 1-line block ×3, first 2 shown]
	s_waitcnt vmcnt(4)
	ds_write_b128 v58, v[2:5]
.LBB79_109:
	s_or_b64 exec, exec, s[6:7]
	s_waitcnt lgkmcnt(0)
	; wave barrier
	s_waitcnt lgkmcnt(0)
	buffer_load_dword v2, off, s[0:3], 0 offset:16
	buffer_load_dword v3, off, s[0:3], 0 offset:20
	;; [unrolled: 1-line block ×60, first 2 shown]
	buffer_load_dword v170, off, s[0:3], 0
	buffer_load_dword v171, off, s[0:3], 0 offset:4
	buffer_load_dword v172, off, s[0:3], 0 offset:8
	;; [unrolled: 1-line block ×3, first 2 shown]
	v_mov_b32_e32 v77, 0
	ds_read_b128 v[78:81], v77 offset:272
	ds_read_b128 v[82:85], v77 offset:288
	;; [unrolled: 1-line block ×7, first 2 shown]
	s_and_b64 vcc, exec, s[18:19]
	s_waitcnt vmcnt(60) lgkmcnt(6)
	v_mul_f64 v[102:103], v[78:79], v[6:7]
	v_fmac_f64_e32 v[102:103], v[80:81], v[2:3]
	v_add_f64 v[102:103], v[102:103], 0
	v_mul_f64 v[6:7], v[80:81], v[6:7]
	s_waitcnt vmcnt(56) lgkmcnt(5)
	v_mul_f64 v[104:105], v[82:83], v[8:9]
	v_fmac_f64_e32 v[104:105], v[84:85], v[4:5]
	s_waitcnt vmcnt(54) lgkmcnt(4)
	v_mul_f64 v[106:107], v[86:87], v[10:11]
	v_add_f64 v[102:103], v[102:103], v[104:105]
	v_fma_f64 v[2:3], v[78:79], v[2:3], -v[6:7]
	v_mul_f64 v[6:7], v[84:85], v[8:9]
	s_waitcnt vmcnt(50) lgkmcnt(3)
	v_mul_f64 v[108:109], v[90:91], v[16:17]
	s_waitcnt vmcnt(49) lgkmcnt(2)
	v_mul_f64 v[110:111], v[94:95], v[12:13]
	v_add_f64 v[2:3], v[2:3], 0
	s_waitcnt vmcnt(47)
	v_fmac_f64_e32 v[106:107], v[88:89], v[20:21]
	v_add_f64 v[102:103], v[102:103], v[106:107]
	s_waitcnt vmcnt(45)
	v_fmac_f64_e32 v[108:109], v[92:93], v[18:19]
	v_add_f64 v[102:103], v[102:103], v[108:109]
	s_waitcnt vmcnt(44)
	v_fmac_f64_e32 v[110:111], v[96:97], v[14:15]
	v_add_f64 v[106:107], v[102:103], v[110:111]
	ds_read_b128 v[102:105], v77 offset:368
	s_waitcnt vmcnt(40) lgkmcnt(2)
	v_mul_f64 v[108:109], v[98:99], v[58:59]
	v_fma_f64 v[4:5], v[82:83], v[4:5], -v[6:7]
	s_waitcnt vmcnt(38)
	v_fmac_f64_e32 v[108:109], v[100:101], v[60:61]
	v_add_f64 v[110:111], v[106:107], v[108:109]
	ds_read_b128 v[106:109], v77 offset:384
	s_waitcnt vmcnt(36) lgkmcnt(1)
	v_mul_f64 v[112:113], v[102:103], v[54:55]
	v_fmac_f64_e32 v[112:113], v[104:105], v[56:57]
	v_add_f64 v[2:3], v[2:3], v[4:5]
	v_mul_f64 v[4:5], v[88:89], v[10:11]
	v_add_f64 v[114:115], v[110:111], v[112:113]
	ds_read_b128 v[110:113], v77 offset:400
	s_waitcnt vmcnt(32) lgkmcnt(1)
	v_mul_f64 v[116:117], v[106:107], v[142:143]
	v_fma_f64 v[4:5], v[86:87], v[20:21], -v[4:5]
	s_waitcnt vmcnt(30)
	v_fmac_f64_e32 v[116:117], v[108:109], v[144:145]
	v_add_f64 v[2:3], v[2:3], v[4:5]
	v_mul_f64 v[4:5], v[92:93], v[16:17]
	v_add_f64 v[118:119], v[114:115], v[116:117]
	ds_read_b128 v[114:117], v77 offset:416
	v_fma_f64 v[4:5], v[90:91], v[18:19], -v[4:5]
	v_add_f64 v[2:3], v[2:3], v[4:5]
	v_mul_f64 v[4:5], v[96:97], v[12:13]
	v_fma_f64 v[4:5], v[94:95], v[14:15], -v[4:5]
	s_waitcnt vmcnt(28) lgkmcnt(1)
	v_mul_f64 v[120:121], v[110:111], v[138:139]
	v_add_f64 v[2:3], v[2:3], v[4:5]
	v_mul_f64 v[4:5], v[100:101], v[58:59]
	v_fmac_f64_e32 v[120:121], v[112:113], v[140:141]
	v_fma_f64 v[4:5], v[98:99], v[60:61], -v[4:5]
	v_add_f64 v[122:123], v[118:119], v[120:121]
	ds_read_b128 v[118:121], v77 offset:432
	s_waitcnt vmcnt(24) lgkmcnt(1)
	v_mul_f64 v[124:125], v[114:115], v[150:151]
	v_add_f64 v[2:3], v[2:3], v[4:5]
	v_mul_f64 v[4:5], v[104:105], v[54:55]
	s_waitcnt vmcnt(22)
	v_fmac_f64_e32 v[124:125], v[116:117], v[152:153]
	v_fma_f64 v[4:5], v[102:103], v[56:57], -v[4:5]
	v_add_f64 v[126:127], v[122:123], v[124:125]
	ds_read_b128 v[122:125], v77 offset:448
	v_add_f64 v[2:3], v[2:3], v[4:5]
	v_mul_f64 v[4:5], v[108:109], v[142:143]
	v_fma_f64 v[4:5], v[106:107], v[144:145], -v[4:5]
	v_add_f64 v[2:3], v[2:3], v[4:5]
	v_mul_f64 v[4:5], v[112:113], v[138:139]
	s_waitcnt vmcnt(20) lgkmcnt(1)
	v_mul_f64 v[128:129], v[118:119], v[146:147]
	v_fma_f64 v[4:5], v[110:111], v[140:141], -v[4:5]
	v_fmac_f64_e32 v[128:129], v[120:121], v[148:149]
	v_add_f64 v[2:3], v[2:3], v[4:5]
	v_mul_f64 v[4:5], v[116:117], v[150:151]
	v_add_f64 v[130:131], v[126:127], v[128:129]
	ds_read_b128 v[126:129], v77 offset:464
	s_waitcnt vmcnt(16) lgkmcnt(1)
	v_mul_f64 v[132:133], v[122:123], v[158:159]
	v_fma_f64 v[4:5], v[114:115], v[152:153], -v[4:5]
	s_waitcnt vmcnt(14)
	v_fmac_f64_e32 v[132:133], v[124:125], v[160:161]
	v_add_f64 v[2:3], v[2:3], v[4:5]
	v_mul_f64 v[4:5], v[120:121], v[146:147]
	v_add_f64 v[174:175], v[130:131], v[132:133]
	ds_read_b128 v[130:133], v77 offset:480
	v_fma_f64 v[4:5], v[118:119], v[148:149], -v[4:5]
	v_add_f64 v[2:3], v[2:3], v[4:5]
	v_mul_f64 v[4:5], v[124:125], v[158:159]
	v_fma_f64 v[4:5], v[122:123], v[160:161], -v[4:5]
	v_add_f64 v[2:3], v[2:3], v[4:5]
	s_waitcnt vmcnt(12) lgkmcnt(1)
	v_mul_f64 v[4:5], v[128:129], v[154:155]
	v_mul_f64 v[176:177], v[126:127], v[154:155]
	v_fma_f64 v[4:5], v[126:127], v[156:157], -v[4:5]
	v_fmac_f64_e32 v[176:177], v[128:129], v[156:157]
	v_add_f64 v[2:3], v[2:3], v[4:5]
	s_waitcnt vmcnt(8) lgkmcnt(0)
	v_mul_f64 v[4:5], v[132:133], v[166:167]
	v_add_f64 v[174:175], v[174:175], v[176:177]
	v_mul_f64 v[176:177], v[130:131], v[166:167]
	s_waitcnt vmcnt(6)
	v_fma_f64 v[4:5], v[130:131], v[168:169], -v[4:5]
	v_fmac_f64_e32 v[176:177], v[132:133], v[168:169]
	v_add_f64 v[2:3], v[2:3], v[4:5]
	s_waitcnt vmcnt(5)
	v_mul_f64 v[4:5], v[136:137], v[162:163]
	v_add_f64 v[174:175], v[174:175], v[176:177]
	v_mul_f64 v[176:177], v[134:135], v[162:163]
	s_waitcnt vmcnt(4)
	v_fma_f64 v[4:5], v[134:135], v[164:165], -v[4:5]
	v_fmac_f64_e32 v[176:177], v[136:137], v[164:165]
	v_add_f64 v[2:3], v[2:3], v[4:5]
	v_add_f64 v[174:175], v[174:175], v[176:177]
	s_waitcnt vmcnt(2)
	v_add_f64 v[2:3], v[170:171], -v[2:3]
	s_waitcnt vmcnt(0)
	v_add_f64 v[4:5], v[172:173], -v[174:175]
	buffer_store_dword v3, off, s[0:3], 0 offset:4
	buffer_store_dword v2, off, s[0:3], 0
	buffer_store_dword v5, off, s[0:3], 0 offset:12
	buffer_store_dword v4, off, s[0:3], 0 offset:8
	s_cbranch_vccz .LBB79_141
; %bb.110:
	v_pk_mov_b32 v[2:3], s[16:17], s[16:17] op_sel:[0,1]
	flat_load_dword v2, v[2:3] offset:56
	s_load_dwordx2 s[4:5], s[4:5], 0x4
	v_bfe_u32 v4, v0, 10, 10
	v_bfe_u32 v0, v0, 20, 10
	s_waitcnt lgkmcnt(0)
	s_lshr_b32 s4, s4, 16
	s_mul_i32 s4, s4, s5
	v_mul_u32_u24_e32 v3, s4, v76
	v_mul_u32_u24_e32 v4, s5, v4
	v_add3_u32 v0, v3, v4, v0
	v_mov_b32_e32 v3, 0x208
	v_lshl_add_u32 v0, v0, 4, v3
	s_waitcnt vmcnt(0)
	v_add_u32_e32 v2, -1, v2
	v_cmp_ne_u32_e32 vcc, 14, v2
	s_and_saveexec_b64 s[4:5], vcc
	s_cbranch_execz .LBB79_112
; %bb.111:
	v_mov_b32_e32 v3, 0
	v_lshl_add_u32 v6, v2, 4, v3
	buffer_load_dword v2, v64, s[0:3], 0 offen
	buffer_load_dword v3, v64, s[0:3], 0 offen offset:4
	buffer_load_dword v4, v64, s[0:3], 0 offen offset:8
	buffer_load_dword v5, v64, s[0:3], 0 offen offset:12
	buffer_load_dword v7, v6, s[0:3], 0 offen
	buffer_load_dword v8, v6, s[0:3], 0 offen offset:4
	buffer_load_dword v9, v6, s[0:3], 0 offen offset:8
	buffer_load_dword v10, v6, s[0:3], 0 offen offset:12
	s_waitcnt vmcnt(4)
	ds_write2_b64 v0, v[2:3], v[4:5] offset1:1
	s_waitcnt vmcnt(3)
	buffer_store_dword v7, v64, s[0:3], 0 offen
	s_waitcnt vmcnt(3)
	buffer_store_dword v8, v64, s[0:3], 0 offen offset:4
	s_waitcnt vmcnt(3)
	buffer_store_dword v9, v64, s[0:3], 0 offen offset:8
	s_waitcnt vmcnt(3)
	buffer_store_dword v10, v64, s[0:3], 0 offen offset:12
	buffer_store_dword v5, v6, s[0:3], 0 offen offset:12
	buffer_store_dword v4, v6, s[0:3], 0 offen offset:8
	buffer_store_dword v3, v6, s[0:3], 0 offen offset:4
	buffer_store_dword v2, v6, s[0:3], 0 offen
.LBB79_112:
	s_or_b64 exec, exec, s[4:5]
	v_pk_mov_b32 v[2:3], s[16:17], s[16:17] op_sel:[0,1]
	flat_load_dword v2, v[2:3] offset:52
	s_waitcnt vmcnt(0) lgkmcnt(0)
	v_add_u32_e32 v2, -1, v2
	v_cmp_ne_u32_e32 vcc, 13, v2
	s_and_saveexec_b64 s[4:5], vcc
	s_cbranch_execz .LBB79_114
; %bb.113:
	v_mov_b32_e32 v3, 0
	v_lshl_add_u32 v6, v2, 4, v3
	buffer_load_dword v2, v62, s[0:3], 0 offen
	buffer_load_dword v3, v62, s[0:3], 0 offen offset:4
	buffer_load_dword v4, v62, s[0:3], 0 offen offset:8
	buffer_load_dword v5, v62, s[0:3], 0 offen offset:12
	buffer_load_dword v7, v6, s[0:3], 0 offen
	buffer_load_dword v8, v6, s[0:3], 0 offen offset:4
	buffer_load_dword v9, v6, s[0:3], 0 offen offset:8
	buffer_load_dword v10, v6, s[0:3], 0 offen offset:12
	s_waitcnt vmcnt(4)
	ds_write2_b64 v0, v[2:3], v[4:5] offset1:1
	s_waitcnt vmcnt(3)
	buffer_store_dword v7, v62, s[0:3], 0 offen
	s_waitcnt vmcnt(3)
	buffer_store_dword v8, v62, s[0:3], 0 offen offset:4
	s_waitcnt vmcnt(3)
	buffer_store_dword v9, v62, s[0:3], 0 offen offset:8
	s_waitcnt vmcnt(3)
	buffer_store_dword v10, v62, s[0:3], 0 offen offset:12
	buffer_store_dword v5, v6, s[0:3], 0 offen offset:12
	buffer_store_dword v4, v6, s[0:3], 0 offen offset:8
	buffer_store_dword v3, v6, s[0:3], 0 offen offset:4
	buffer_store_dword v2, v6, s[0:3], 0 offen
.LBB79_114:
	s_or_b64 exec, exec, s[4:5]
	v_pk_mov_b32 v[2:3], s[16:17], s[16:17] op_sel:[0,1]
	flat_load_dword v2, v[2:3] offset:48
	s_waitcnt vmcnt(0) lgkmcnt(0)
	;; [unrolled: 34-line block ×13, first 2 shown]
	v_add_u32_e32 v2, -1, v2
	v_cmp_ne_u32_e32 vcc, 1, v2
	s_and_saveexec_b64 s[4:5], vcc
	s_cbranch_execz .LBB79_138
; %bb.137:
	v_mov_b32_e32 v3, 0
	v_lshl_add_u32 v6, v2, 4, v3
	buffer_load_dword v2, v73, s[0:3], 0 offen
	buffer_load_dword v3, v73, s[0:3], 0 offen offset:4
	buffer_load_dword v4, v73, s[0:3], 0 offen offset:8
	;; [unrolled: 1-line block ×3, first 2 shown]
	buffer_load_dword v7, v6, s[0:3], 0 offen
	buffer_load_dword v8, v6, s[0:3], 0 offen offset:4
	buffer_load_dword v9, v6, s[0:3], 0 offen offset:8
	buffer_load_dword v10, v6, s[0:3], 0 offen offset:12
	s_waitcnt vmcnt(4)
	ds_write2_b64 v0, v[2:3], v[4:5] offset1:1
	s_waitcnt vmcnt(3)
	buffer_store_dword v7, v73, s[0:3], 0 offen
	s_waitcnt vmcnt(3)
	buffer_store_dword v8, v73, s[0:3], 0 offen offset:4
	s_waitcnt vmcnt(3)
	buffer_store_dword v9, v73, s[0:3], 0 offen offset:8
	;; [unrolled: 2-line block ×3, first 2 shown]
	buffer_store_dword v5, v6, s[0:3], 0 offen offset:12
	buffer_store_dword v4, v6, s[0:3], 0 offen offset:8
	;; [unrolled: 1-line block ×3, first 2 shown]
	buffer_store_dword v2, v6, s[0:3], 0 offen
.LBB79_138:
	s_or_b64 exec, exec, s[4:5]
	v_pk_mov_b32 v[2:3], s[16:17], s[16:17] op_sel:[0,1]
	flat_load_dword v2, v[2:3]
	s_waitcnt vmcnt(0) lgkmcnt(0)
	v_add_u32_e32 v2, -1, v2
	v_cmp_ne_u32_e32 vcc, 0, v2
	s_and_saveexec_b64 s[4:5], vcc
	s_cbranch_execz .LBB79_140
; %bb.139:
	v_mov_b32_e32 v3, 0
	v_lshl_add_u32 v6, v2, 4, v3
	buffer_load_dword v2, off, s[0:3], 0
	buffer_load_dword v3, off, s[0:3], 0 offset:4
	buffer_load_dword v4, off, s[0:3], 0 offset:8
	;; [unrolled: 1-line block ×3, first 2 shown]
	buffer_load_dword v7, v6, s[0:3], 0 offen
	buffer_load_dword v8, v6, s[0:3], 0 offen offset:4
	buffer_load_dword v9, v6, s[0:3], 0 offen offset:8
	;; [unrolled: 1-line block ×3, first 2 shown]
	s_waitcnt vmcnt(4)
	ds_write2_b64 v0, v[2:3], v[4:5] offset1:1
	s_waitcnt vmcnt(3)
	buffer_store_dword v7, off, s[0:3], 0
	s_waitcnt vmcnt(3)
	buffer_store_dword v8, off, s[0:3], 0 offset:4
	s_waitcnt vmcnt(3)
	buffer_store_dword v9, off, s[0:3], 0 offset:8
	;; [unrolled: 2-line block ×3, first 2 shown]
	buffer_store_dword v5, v6, s[0:3], 0 offen offset:12
	buffer_store_dword v4, v6, s[0:3], 0 offen offset:8
	;; [unrolled: 1-line block ×3, first 2 shown]
	buffer_store_dword v2, v6, s[0:3], 0 offen
.LBB79_140:
	s_or_b64 exec, exec, s[4:5]
.LBB79_141:
	buffer_load_dword v2, off, s[0:3], 0
	buffer_load_dword v3, off, s[0:3], 0 offset:4
	buffer_load_dword v4, off, s[0:3], 0 offset:8
	;; [unrolled: 1-line block ×3, first 2 shown]
	buffer_load_dword v7, v73, s[0:3], 0 offen offset:4
	buffer_load_dword v8, v73, s[0:3], 0 offen offset:8
	;; [unrolled: 1-line block ×3, first 2 shown]
	buffer_load_dword v10, v75, s[0:3], 0 offen
	buffer_load_dword v11, v75, s[0:3], 0 offen offset:4
	buffer_load_dword v12, v75, s[0:3], 0 offen offset:8
	buffer_load_dword v6, v73, s[0:3], 0 offen
	buffer_load_dword v13, v75, s[0:3], 0 offen offset:12
	buffer_load_dword v15, v74, s[0:3], 0 offen offset:4
	;; [unrolled: 1-line block ×4, first 2 shown]
	buffer_load_dword v18, v70, s[0:3], 0 offen
	buffer_load_dword v19, v70, s[0:3], 0 offen offset:4
	buffer_load_dword v20, v70, s[0:3], 0 offen offset:8
	buffer_load_dword v14, v74, s[0:3], 0 offen
                                        ; kill: killed $vgpr75
                                        ; kill: killed $vgpr73
                                        ; kill: killed $vgpr74
	buffer_load_dword v21, v70, s[0:3], 0 offen offset:12
	buffer_load_dword v55, v71, s[0:3], 0 offen offset:4
	;; [unrolled: 1-line block ×4, first 2 shown]
	buffer_load_dword v58, v72, s[0:3], 0 offen
	buffer_load_dword v59, v72, s[0:3], 0 offen offset:4
	buffer_load_dword v60, v72, s[0:3], 0 offen offset:8
	buffer_load_dword v54, v71, s[0:3], 0 offen
	buffer_load_dword v61, v72, s[0:3], 0 offen offset:12
	buffer_load_dword v73, v67, s[0:3], 0 offen offset:4
	;; [unrolled: 1-line block ×4, first 2 shown]
	buffer_load_dword v76, v66, s[0:3], 0 offen
	buffer_load_dword v77, v66, s[0:3], 0 offen offset:4
	buffer_load_dword v78, v66, s[0:3], 0 offen offset:8
                                        ; kill: killed $vgpr71
                                        ; kill: killed $vgpr70
                                        ; kill: killed $vgpr72
	buffer_load_dword v72, v67, s[0:3], 0 offen
	buffer_load_dword v79, v66, s[0:3], 0 offen offset:12
	buffer_load_dword v81, v68, s[0:3], 0 offen offset:4
	;; [unrolled: 1-line block ×4, first 2 shown]
	buffer_load_dword v84, v69, s[0:3], 0 offen
	buffer_load_dword v85, v69, s[0:3], 0 offen offset:4
	buffer_load_dword v86, v69, s[0:3], 0 offen offset:8
	buffer_load_dword v80, v68, s[0:3], 0 offen
	buffer_load_dword v87, v69, s[0:3], 0 offen offset:12
	buffer_load_dword v89, v1, s[0:3], 0 offen offset:4
	;; [unrolled: 1-line block ×4, first 2 shown]
	buffer_load_dword v92, v63, s[0:3], 0 offen
	buffer_load_dword v93, v63, s[0:3], 0 offen offset:4
                                        ; kill: killed $vgpr67
                                        ; kill: killed $vgpr68
                                        ; kill: killed $vgpr66
                                        ; kill: killed $vgpr69
	buffer_load_dword v94, v63, s[0:3], 0 offen offset:8
	buffer_load_dword v88, v1, s[0:3], 0 offen
	buffer_load_dword v95, v63, s[0:3], 0 offen offset:12
	buffer_load_dword v67, v62, s[0:3], 0 offen offset:4
	;; [unrolled: 1-line block ×4, first 2 shown]
	buffer_load_dword v96, v64, s[0:3], 0 offen
	buffer_load_dword v97, v64, s[0:3], 0 offen offset:4
	buffer_load_dword v98, v64, s[0:3], 0 offen offset:8
	buffer_load_dword v66, v62, s[0:3], 0 offen
	buffer_load_dword v99, v64, s[0:3], 0 offen offset:12
	buffer_load_dword v100, v65, s[0:3], 0 offen
	buffer_load_dword v101, v65, s[0:3], 0 offen offset:4
	buffer_load_dword v102, v65, s[0:3], 0 offen offset:8
	;; [unrolled: 1-line block ×3, first 2 shown]
	s_waitcnt vmcnt(60)
	global_store_dwordx4 v[22:23], v[2:5], off
	s_waitcnt vmcnt(54)
	global_store_dwordx4 v[24:25], v[6:9], off
	;; [unrolled: 2-line block ×16, first 2 shown]
	s_endpgm
	.section	.rodata,"a",@progbits
	.p2align	6, 0x0
	.amdhsa_kernel _ZN9rocsolver6v33100L18getri_kernel_smallILi16E19rocblas_complex_numIdEPKPS3_EEvT1_iilPiilS8_bb
		.amdhsa_group_segment_fixed_size 1544
		.amdhsa_private_segment_fixed_size 272
		.amdhsa_kernarg_size 60
		.amdhsa_user_sgpr_count 10
		.amdhsa_user_sgpr_private_segment_buffer 1
		.amdhsa_user_sgpr_dispatch_ptr 1
		.amdhsa_user_sgpr_queue_ptr 0
		.amdhsa_user_sgpr_kernarg_segment_ptr 1
		.amdhsa_user_sgpr_dispatch_id 0
		.amdhsa_user_sgpr_flat_scratch_init 1
		.amdhsa_user_sgpr_kernarg_preload_length 0
		.amdhsa_user_sgpr_kernarg_preload_offset 0
		.amdhsa_user_sgpr_private_segment_size 0
		.amdhsa_uses_dynamic_stack 0
		.amdhsa_system_sgpr_private_segment_wavefront_offset 1
		.amdhsa_system_sgpr_workgroup_id_x 1
		.amdhsa_system_sgpr_workgroup_id_y 0
		.amdhsa_system_sgpr_workgroup_id_z 0
		.amdhsa_system_sgpr_workgroup_info 0
		.amdhsa_system_vgpr_workitem_id 2
		.amdhsa_next_free_vgpr 178
		.amdhsa_next_free_sgpr 24
		.amdhsa_accum_offset 180
		.amdhsa_reserve_vcc 1
		.amdhsa_reserve_flat_scratch 1
		.amdhsa_float_round_mode_32 0
		.amdhsa_float_round_mode_16_64 0
		.amdhsa_float_denorm_mode_32 3
		.amdhsa_float_denorm_mode_16_64 3
		.amdhsa_dx10_clamp 1
		.amdhsa_ieee_mode 1
		.amdhsa_fp16_overflow 0
		.amdhsa_tg_split 0
		.amdhsa_exception_fp_ieee_invalid_op 0
		.amdhsa_exception_fp_denorm_src 0
		.amdhsa_exception_fp_ieee_div_zero 0
		.amdhsa_exception_fp_ieee_overflow 0
		.amdhsa_exception_fp_ieee_underflow 0
		.amdhsa_exception_fp_ieee_inexact 0
		.amdhsa_exception_int_div_zero 0
	.end_amdhsa_kernel
	.section	.text._ZN9rocsolver6v33100L18getri_kernel_smallILi16E19rocblas_complex_numIdEPKPS3_EEvT1_iilPiilS8_bb,"axG",@progbits,_ZN9rocsolver6v33100L18getri_kernel_smallILi16E19rocblas_complex_numIdEPKPS3_EEvT1_iilPiilS8_bb,comdat
.Lfunc_end79:
	.size	_ZN9rocsolver6v33100L18getri_kernel_smallILi16E19rocblas_complex_numIdEPKPS3_EEvT1_iilPiilS8_bb, .Lfunc_end79-_ZN9rocsolver6v33100L18getri_kernel_smallILi16E19rocblas_complex_numIdEPKPS3_EEvT1_iilPiilS8_bb
                                        ; -- End function
	.section	.AMDGPU.csdata,"",@progbits
; Kernel info:
; codeLenInByte = 24616
; NumSgprs: 30
; NumVgprs: 178
; NumAgprs: 0
; TotalNumVgprs: 178
; ScratchSize: 272
; MemoryBound: 0
; FloatMode: 240
; IeeeMode: 1
; LDSByteSize: 1544 bytes/workgroup (compile time only)
; SGPRBlocks: 3
; VGPRBlocks: 22
; NumSGPRsForWavesPerEU: 30
; NumVGPRsForWavesPerEU: 178
; AccumOffset: 180
; Occupancy: 2
; WaveLimiterHint : 1
; COMPUTE_PGM_RSRC2:SCRATCH_EN: 1
; COMPUTE_PGM_RSRC2:USER_SGPR: 10
; COMPUTE_PGM_RSRC2:TRAP_HANDLER: 0
; COMPUTE_PGM_RSRC2:TGID_X_EN: 1
; COMPUTE_PGM_RSRC2:TGID_Y_EN: 0
; COMPUTE_PGM_RSRC2:TGID_Z_EN: 0
; COMPUTE_PGM_RSRC2:TIDIG_COMP_CNT: 2
; COMPUTE_PGM_RSRC3_GFX90A:ACCUM_OFFSET: 44
; COMPUTE_PGM_RSRC3_GFX90A:TG_SPLIT: 0
	.section	.text._ZN9rocsolver6v33100L18getri_kernel_smallILi17E19rocblas_complex_numIdEPKPS3_EEvT1_iilPiilS8_bb,"axG",@progbits,_ZN9rocsolver6v33100L18getri_kernel_smallILi17E19rocblas_complex_numIdEPKPS3_EEvT1_iilPiilS8_bb,comdat
	.globl	_ZN9rocsolver6v33100L18getri_kernel_smallILi17E19rocblas_complex_numIdEPKPS3_EEvT1_iilPiilS8_bb ; -- Begin function _ZN9rocsolver6v33100L18getri_kernel_smallILi17E19rocblas_complex_numIdEPKPS3_EEvT1_iilPiilS8_bb
	.p2align	8
	.type	_ZN9rocsolver6v33100L18getri_kernel_smallILi17E19rocblas_complex_numIdEPKPS3_EEvT1_iilPiilS8_bb,@function
_ZN9rocsolver6v33100L18getri_kernel_smallILi17E19rocblas_complex_numIdEPKPS3_EEvT1_iilPiilS8_bb: ; @_ZN9rocsolver6v33100L18getri_kernel_smallILi17E19rocblas_complex_numIdEPKPS3_EEvT1_iilPiilS8_bb
; %bb.0:
	s_add_u32 flat_scratch_lo, s8, s11
	s_addc_u32 flat_scratch_hi, s9, 0
	s_add_u32 s0, s0, s11
	v_and_b32_e32 v87, 0x3ff, v0
	s_addc_u32 s1, s1, 0
	v_cmp_gt_u32_e32 vcc, 17, v87
	s_and_saveexec_b64 s[8:9], vcc
	s_cbranch_execz .LBB80_82
; %bb.1:
	s_load_dword s20, s[6:7], 0x38
	s_load_dwordx2 s[8:9], s[6:7], 0x0
	s_load_dwordx4 s[12:15], s[6:7], 0x28
	s_waitcnt lgkmcnt(0)
	s_bitcmp1_b32 s20, 8
	s_cselect_b64 s[18:19], -1, 0
	s_ashr_i32 s11, s10, 31
	s_lshl_b64 s[16:17], s[10:11], 3
	s_add_u32 s8, s8, s16
	s_addc_u32 s9, s9, s17
	s_load_dwordx2 s[8:9], s[8:9], 0x0
	s_bfe_u32 s16, s20, 0x10008
	s_cmp_eq_u32 s16, 0
                                        ; implicit-def: $sgpr16_sgpr17
	s_cbranch_scc1 .LBB80_3
; %bb.2:
	s_load_dword s16, s[6:7], 0x20
	s_load_dwordx2 s[22:23], s[6:7], 0x18
	s_mul_i32 s13, s10, s13
	s_mul_hi_u32 s17, s10, s12
	s_add_i32 s13, s17, s13
	s_mul_i32 s21, s11, s12
	s_add_i32 s13, s13, s21
	s_mul_i32 s12, s10, s12
	s_waitcnt lgkmcnt(0)
	s_ashr_i32 s17, s16, 31
	s_lshl_b64 s[12:13], s[12:13], 2
	s_add_u32 s21, s22, s12
	s_addc_u32 s22, s23, s13
	s_lshl_b64 s[12:13], s[16:17], 2
	s_add_u32 s16, s21, s12
	s_addc_u32 s17, s22, s13
.LBB80_3:
	s_load_dwordx2 s[6:7], s[6:7], 0x8
	v_lshlrev_b32_e32 v12, 4, v87
	s_waitcnt lgkmcnt(0)
	s_ashr_i32 s13, s6, 31
	s_mov_b32 s12, s6
	s_lshl_b64 s[12:13], s[12:13], 4
	s_add_u32 s8, s8, s12
	s_addc_u32 s9, s9, s13
	global_load_dwordx4 v[2:5], v12, s[8:9]
	s_mov_b32 s22, s7
	s_ashr_i32 s23, s7, 31
	s_add_i32 s6, s7, s7
	v_mov_b32_e32 v1, s9
	v_add_co_u32_e32 v18, vcc, s8, v12
	s_lshl_b64 s[12:13], s[22:23], 4
	v_add_u32_e32 v6, s6, v87
	v_addc_co_u32_e32 v19, vcc, 0, v1, vcc
	v_mov_b32_e32 v1, s13
	v_ashrrev_i32_e32 v7, 31, v6
	v_add_co_u32_e32 v20, vcc, s12, v18
	v_add_u32_e32 v8, s7, v6
	v_addc_co_u32_e32 v21, vcc, v19, v1, vcc
	v_lshlrev_b64 v[6:7], 4, v[6:7]
	v_mov_b32_e32 v11, s9
	v_ashrrev_i32_e32 v9, 31, v8
	v_add_co_u32_e32 v22, vcc, s8, v6
	v_add_u32_e32 v10, s7, v8
	v_addc_co_u32_e32 v23, vcc, v11, v7, vcc
	v_lshlrev_b64 v[24:25], 4, v[8:9]
	;; [unrolled: 6-line block ×7, first 2 shown]
	v_mov_b32_e32 v37, s9
	v_ashrrev_i32_e32 v39, 31, v38
	v_add_co_u32_e32 v34, vcc, s8, v10
	global_load_dwordx4 v[6:9], v[20:21], off
	global_load_dwordx4 v[14:17], v[22:23], off
	;; [unrolled: 1-line block ×6, first 2 shown]
	v_addc_co_u32_e32 v35, vcc, v37, v11, vcc
	global_load_dwordx4 v[68:71], v[32:33], off
	global_load_dwordx4 v[72:75], v[34:35], off
	v_mov_b32_e32 v1, s9
	s_bitcmp0_b32 s20, 0
	s_waitcnt vmcnt(8)
	buffer_store_dword v5, off, s[0:3], 0 offset:12
	buffer_store_dword v4, off, s[0:3], 0 offset:8
	v_lshlrev_b64 v[4:5], 4, v[38:39]
	v_add_co_u32_e32 v36, vcc, s8, v4
	v_add_u32_e32 v4, s7, v38
	v_addc_co_u32_e32 v37, vcc, v1, v5, vcc
	v_ashrrev_i32_e32 v5, 31, v4
	v_lshlrev_b64 v[10:11], 4, v[4:5]
	v_add_u32_e32 v4, s7, v4
	v_add_co_u32_e32 v38, vcc, s8, v10
	v_ashrrev_i32_e32 v5, 31, v4
	v_addc_co_u32_e32 v39, vcc, v1, v11, vcc
	v_lshlrev_b64 v[10:11], 4, v[4:5]
	v_add_u32_e32 v4, s7, v4
	v_add_co_u32_e32 v40, vcc, s8, v10
	v_ashrrev_i32_e32 v5, 31, v4
	v_addc_co_u32_e32 v41, vcc, v1, v11, vcc
	;; [unrolled: 5-line block ×6, first 2 shown]
	v_lshlrev_b64 v[4:5], 4, v[4:5]
	v_add_co_u32_e32 v50, vcc, s8, v4
	global_load_dwordx4 v[76:79], v[36:37], off
	global_load_dwordx4 v[80:83], v[38:39], off
	v_addc_co_u32_e32 v51, vcc, v1, v5, vcc
	global_load_dwordx4 v[88:91], v[40:41], off
	global_load_dwordx4 v[92:95], v[42:43], off
	;; [unrolled: 1-line block ×6, first 2 shown]
	v_mov_b32_e32 v1, 0
	v_add_u32_e32 v84, 16, v1
	v_add_u32_e32 v86, 32, v1
	;; [unrolled: 1-line block ×3, first 2 shown]
	s_mov_b64 s[8:9], -1
	buffer_store_dword v3, off, s[0:3], 0 offset:4
	buffer_store_dword v2, off, s[0:3], 0
	s_waitcnt vmcnt(19)
	buffer_store_dword v9, off, s[0:3], 0 offset:28
	buffer_store_dword v8, off, s[0:3], 0 offset:24
	buffer_store_dword v7, off, s[0:3], 0 offset:20
	buffer_store_dword v6, off, s[0:3], 0 offset:16
	s_waitcnt vmcnt(22)
	buffer_store_dword v17, off, s[0:3], 0 offset:44
	buffer_store_dword v16, off, s[0:3], 0 offset:40
	buffer_store_dword v15, off, s[0:3], 0 offset:36
	buffer_store_dword v14, off, s[0:3], 0 offset:32
	;; [unrolled: 5-line block ×11, first 2 shown]
	v_add_u32_e32 v82, 64, v1
	v_add_u32_e32 v80, 0x50, v1
	;; [unrolled: 1-line block ×13, first 2 shown]
	s_waitcnt vmcnt(50)
	buffer_store_dword v95, off, s[0:3], 0 offset:204
	buffer_store_dword v94, off, s[0:3], 0 offset:200
	buffer_store_dword v93, off, s[0:3], 0 offset:196
	buffer_store_dword v92, off, s[0:3], 0 offset:192
	s_waitcnt vmcnt(53)
	buffer_store_dword v99, off, s[0:3], 0 offset:220
	buffer_store_dword v98, off, s[0:3], 0 offset:216
	buffer_store_dword v97, off, s[0:3], 0 offset:212
	buffer_store_dword v96, off, s[0:3], 0 offset:208
	;; [unrolled: 5-line block ×5, first 2 shown]
	s_cbranch_scc1 .LBB80_80
; %bb.4:
	v_cmp_eq_u32_e64 s[6:7], 0, v87
	s_and_saveexec_b64 s[8:9], s[6:7]
	s_cbranch_execz .LBB80_6
; %bb.5:
	v_mov_b32_e32 v2, 0
	ds_write_b32 v2, v2 offset:544
.LBB80_6:
	s_or_b64 exec, exec, s[8:9]
	v_mov_b32_e32 v2, 0
	v_lshl_add_u32 v13, v87, 4, v2
	s_waitcnt lgkmcnt(0)
	; wave barrier
	s_waitcnt lgkmcnt(0)
	buffer_load_dword v2, v13, s[0:3], 0 offen
	buffer_load_dword v3, v13, s[0:3], 0 offen offset:4
	buffer_load_dword v4, v13, s[0:3], 0 offen offset:8
	;; [unrolled: 1-line block ×3, first 2 shown]
	s_waitcnt vmcnt(2)
	v_cmp_eq_f64_e32 vcc, 0, v[2:3]
	s_waitcnt vmcnt(0)
	v_cmp_eq_f64_e64 s[8:9], 0, v[4:5]
	s_and_b64 s[8:9], vcc, s[8:9]
	s_and_saveexec_b64 s[12:13], s[8:9]
	s_cbranch_execz .LBB80_10
; %bb.7:
	v_mov_b32_e32 v2, 0
	ds_read_b32 v4, v2 offset:544
	v_add_u32_e32 v3, 1, v87
	s_waitcnt lgkmcnt(0)
	v_readfirstlane_b32 s8, v4
	s_cmp_eq_u32 s8, 0
	s_cselect_b64 s[20:21], -1, 0
	v_cmp_gt_i32_e32 vcc, s8, v3
	s_or_b64 s[20:21], s[20:21], vcc
	s_and_b64 exec, exec, s[20:21]
	s_cbranch_execz .LBB80_10
; %bb.8:
	s_mov_b64 s[20:21], 0
	v_mov_b32_e32 v4, s8
.LBB80_9:                               ; =>This Inner Loop Header: Depth=1
	ds_cmpst_rtn_b32 v4, v2, v4, v3 offset:544
	s_waitcnt lgkmcnt(0)
	v_cmp_ne_u32_e32 vcc, 0, v4
	v_cmp_le_i32_e64 s[8:9], v4, v3
	s_and_b64 s[8:9], vcc, s[8:9]
	s_and_b64 s[8:9], exec, s[8:9]
	s_or_b64 s[20:21], s[8:9], s[20:21]
	s_andn2_b64 exec, exec, s[20:21]
	s_cbranch_execnz .LBB80_9
.LBB80_10:
	s_or_b64 exec, exec, s[12:13]
	v_mov_b32_e32 v3, 0
	s_waitcnt lgkmcnt(0)
	; wave barrier
	ds_read_b32 v2, v3 offset:544
	s_and_saveexec_b64 s[8:9], s[6:7]
	s_cbranch_execz .LBB80_12
; %bb.11:
	s_lshl_b64 s[12:13], s[10:11], 2
	s_add_u32 s12, s14, s12
	s_addc_u32 s13, s15, s13
	s_waitcnt lgkmcnt(0)
	global_store_dword v3, v2, s[12:13]
.LBB80_12:
	s_or_b64 exec, exec, s[8:9]
	s_waitcnt lgkmcnt(0)
	v_cmp_ne_u32_e32 vcc, 0, v2
	s_mov_b64 s[8:9], 0
	s_cbranch_vccnz .LBB80_80
; %bb.13:
	buffer_load_dword v7, v13, s[0:3], 0 offen offset:4
	buffer_load_dword v6, v13, s[0:3], 0 offen
	buffer_load_dword v9, v13, s[0:3], 0 offen offset:12
	buffer_load_dword v8, v13, s[0:3], 0 offen offset:8
                                        ; implicit-def: $vgpr10_vgpr11
	s_waitcnt vmcnt(3)
	v_xor_b32_e32 v3, 0x80000000, v7
	s_waitcnt vmcnt(2)
	v_cmp_gt_f64_e32 vcc, 0, v[6:7]
	s_waitcnt vmcnt(1)
	v_xor_b32_e32 v4, 0x80000000, v9
	v_cndmask_b32_e32 v3, v7, v3, vcc
	s_waitcnt vmcnt(0)
	v_cmp_gt_f64_e32 vcc, 0, v[8:9]
	v_mov_b32_e32 v2, v6
	v_cndmask_b32_e32 v5, v9, v4, vcc
	v_mov_b32_e32 v4, v8
	v_cmp_ngt_f64_e32 vcc, v[2:3], v[4:5]
                                        ; implicit-def: $vgpr4_vgpr5
	s_and_saveexec_b64 s[8:9], vcc
	s_xor_b64 s[8:9], exec, s[8:9]
	s_cbranch_execz .LBB80_15
; %bb.14:
	v_div_scale_f64 v[2:3], s[12:13], v[8:9], v[8:9], v[6:7]
	v_rcp_f64_e32 v[4:5], v[2:3]
	v_div_scale_f64 v[10:11], vcc, v[6:7], v[8:9], v[6:7]
	v_fma_f64 v[14:15], -v[2:3], v[4:5], 1.0
	v_fmac_f64_e32 v[4:5], v[4:5], v[14:15]
	v_fma_f64 v[14:15], -v[2:3], v[4:5], 1.0
	v_fmac_f64_e32 v[4:5], v[4:5], v[14:15]
	v_mul_f64 v[14:15], v[10:11], v[4:5]
	v_fma_f64 v[2:3], -v[2:3], v[14:15], v[10:11]
	v_div_fmas_f64 v[2:3], v[2:3], v[4:5], v[14:15]
	v_div_fixup_f64 v[2:3], v[2:3], v[8:9], v[6:7]
	v_fmac_f64_e32 v[8:9], v[6:7], v[2:3]
	v_div_scale_f64 v[4:5], s[12:13], v[8:9], v[8:9], 1.0
	v_rcp_f64_e32 v[6:7], v[4:5]
	v_fma_f64 v[10:11], -v[4:5], v[6:7], 1.0
	v_fmac_f64_e32 v[6:7], v[6:7], v[10:11]
	v_fma_f64 v[10:11], -v[4:5], v[6:7], 1.0
	v_fmac_f64_e32 v[6:7], v[6:7], v[10:11]
	v_div_scale_f64 v[10:11], vcc, 1.0, v[8:9], 1.0
	v_mul_f64 v[14:15], v[10:11], v[6:7]
	v_fma_f64 v[4:5], -v[4:5], v[14:15], v[10:11]
	s_nop 1
	v_div_fmas_f64 v[4:5], v[4:5], v[6:7], v[14:15]
	v_div_fixup_f64 v[4:5], v[4:5], v[8:9], 1.0
	v_mul_f64 v[10:11], v[2:3], v[4:5]
	v_xor_b32_e32 v5, 0x80000000, v5
	v_xor_b32_e32 v3, 0x80000000, v11
	v_mov_b32_e32 v2, v10
                                        ; implicit-def: $vgpr6_vgpr7
                                        ; implicit-def: $vgpr8_vgpr9
.LBB80_15:
	s_andn2_saveexec_b64 s[8:9], s[8:9]
	s_cbranch_execz .LBB80_17
; %bb.16:
	v_div_scale_f64 v[2:3], s[12:13], v[6:7], v[6:7], v[8:9]
	v_rcp_f64_e32 v[4:5], v[2:3]
	v_div_scale_f64 v[10:11], vcc, v[8:9], v[6:7], v[8:9]
	v_fma_f64 v[14:15], -v[2:3], v[4:5], 1.0
	v_fmac_f64_e32 v[4:5], v[4:5], v[14:15]
	v_fma_f64 v[14:15], -v[2:3], v[4:5], 1.0
	v_fmac_f64_e32 v[4:5], v[4:5], v[14:15]
	v_mul_f64 v[14:15], v[10:11], v[4:5]
	v_fma_f64 v[2:3], -v[2:3], v[14:15], v[10:11]
	v_div_fmas_f64 v[2:3], v[2:3], v[4:5], v[14:15]
	v_div_fixup_f64 v[4:5], v[2:3], v[6:7], v[8:9]
	v_fmac_f64_e32 v[6:7], v[8:9], v[4:5]
	v_div_scale_f64 v[2:3], s[12:13], v[6:7], v[6:7], 1.0
	v_rcp_f64_e32 v[8:9], v[2:3]
	v_fma_f64 v[10:11], -v[2:3], v[8:9], 1.0
	v_fmac_f64_e32 v[8:9], v[8:9], v[10:11]
	v_fma_f64 v[10:11], -v[2:3], v[8:9], 1.0
	v_fmac_f64_e32 v[8:9], v[8:9], v[10:11]
	v_div_scale_f64 v[10:11], vcc, 1.0, v[6:7], 1.0
	v_mul_f64 v[14:15], v[10:11], v[8:9]
	v_fma_f64 v[2:3], -v[2:3], v[14:15], v[10:11]
	s_nop 1
	v_div_fmas_f64 v[2:3], v[2:3], v[8:9], v[14:15]
	v_div_fixup_f64 v[10:11], v[2:3], v[6:7], 1.0
	v_xor_b32_e32 v3, 0x80000000, v11
	v_mov_b32_e32 v2, v10
	v_mul_f64 v[4:5], v[4:5], -v[10:11]
.LBB80_17:
	s_or_b64 exec, exec, s[8:9]
	buffer_store_dword v11, v13, s[0:3], 0 offen offset:4
	buffer_store_dword v10, v13, s[0:3], 0 offen
	buffer_store_dword v5, v13, s[0:3], 0 offen offset:12
	buffer_store_dword v4, v13, s[0:3], 0 offen offset:8
	buffer_load_dword v11, v84, s[0:3], 0 offen offset:12
	s_nop 0
	buffer_load_dword v10, v84, s[0:3], 0 offen offset:8
	buffer_load_dword v9, v84, s[0:3], 0 offen offset:4
	buffer_load_dword v8, v84, s[0:3], 0 offen
	v_xor_b32_e32 v5, 0x80000000, v5
	v_add_u32_e32 v6, 0x110, v12
	ds_write_b128 v12, v[2:5]
	s_waitcnt vmcnt(0)
	ds_write_b128 v12, v[8:11] offset:272
	s_waitcnt lgkmcnt(0)
	; wave barrier
	s_waitcnt lgkmcnt(0)
	s_and_saveexec_b64 s[8:9], s[6:7]
	s_cbranch_execz .LBB80_19
; %bb.18:
	buffer_load_dword v14, v13, s[0:3], 0 offen offset:8
	buffer_load_dword v15, v13, s[0:3], 0 offen offset:12
	buffer_load_dword v16, v13, s[0:3], 0 offen
	buffer_load_dword v17, v13, s[0:3], 0 offen offset:4
	ds_read_b128 v[2:5], v6
	v_mov_b32_e32 v7, 0
	ds_read_b128 v[8:11], v7 offset:16
	s_waitcnt vmcnt(2) lgkmcnt(1)
	v_mul_f64 v[52:53], v[4:5], v[14:15]
	v_mul_f64 v[14:15], v[2:3], v[14:15]
	s_waitcnt vmcnt(0)
	v_fmac_f64_e32 v[14:15], v[4:5], v[16:17]
	v_fma_f64 v[2:3], v[2:3], v[16:17], -v[52:53]
	v_add_f64 v[4:5], v[14:15], 0
	v_add_f64 v[2:3], v[2:3], 0
	s_waitcnt lgkmcnt(0)
	v_mul_f64 v[14:15], v[4:5], v[10:11]
	v_mul_f64 v[10:11], v[2:3], v[10:11]
	v_fma_f64 v[2:3], v[2:3], v[8:9], -v[14:15]
	v_fmac_f64_e32 v[10:11], v[4:5], v[8:9]
	buffer_store_dword v2, off, s[0:3], 0 offset:16
	buffer_store_dword v3, off, s[0:3], 0 offset:20
	;; [unrolled: 1-line block ×4, first 2 shown]
.LBB80_19:
	s_or_b64 exec, exec, s[8:9]
	s_waitcnt lgkmcnt(0)
	; wave barrier
	buffer_load_dword v2, v86, s[0:3], 0 offen
	buffer_load_dword v3, v86, s[0:3], 0 offen offset:4
	buffer_load_dword v4, v86, s[0:3], 0 offen offset:8
	;; [unrolled: 1-line block ×3, first 2 shown]
	v_cmp_gt_u32_e32 vcc, 2, v87
	s_waitcnt vmcnt(0)
	ds_write_b128 v6, v[2:5]
	s_waitcnt lgkmcnt(0)
	; wave barrier
	s_waitcnt lgkmcnt(0)
	s_and_saveexec_b64 s[8:9], vcc
	s_cbranch_execz .LBB80_23
; %bb.20:
	buffer_load_dword v8, v13, s[0:3], 0 offen offset:8
	buffer_load_dword v9, v13, s[0:3], 0 offen offset:12
	buffer_load_dword v10, v13, s[0:3], 0 offen
	buffer_load_dword v11, v13, s[0:3], 0 offen offset:4
	ds_read_b128 v[2:5], v6
	s_waitcnt vmcnt(2) lgkmcnt(0)
	v_mul_f64 v[14:15], v[4:5], v[8:9]
	v_mul_f64 v[8:9], v[2:3], v[8:9]
	s_waitcnt vmcnt(0)
	v_fma_f64 v[2:3], v[2:3], v[10:11], -v[14:15]
	v_fmac_f64_e32 v[8:9], v[4:5], v[10:11]
	v_add_f64 v[4:5], v[2:3], 0
	v_add_f64 v[2:3], v[8:9], 0
	s_and_saveexec_b64 s[12:13], s[6:7]
	s_cbranch_execz .LBB80_22
; %bb.21:
	buffer_load_dword v14, off, s[0:3], 0 offset:24
	buffer_load_dword v15, off, s[0:3], 0 offset:28
	;; [unrolled: 1-line block ×4, first 2 shown]
	v_mov_b32_e32 v7, 0
	ds_read_b128 v[8:11], v7 offset:288
	s_waitcnt vmcnt(2) lgkmcnt(0)
	v_mul_f64 v[52:53], v[8:9], v[14:15]
	v_mul_f64 v[14:15], v[10:11], v[14:15]
	s_waitcnt vmcnt(0)
	v_fmac_f64_e32 v[52:53], v[10:11], v[16:17]
	v_fma_f64 v[8:9], v[8:9], v[16:17], -v[14:15]
	v_add_f64 v[2:3], v[2:3], v[52:53]
	v_add_f64 v[4:5], v[4:5], v[8:9]
.LBB80_22:
	s_or_b64 exec, exec, s[12:13]
	v_mov_b32_e32 v7, 0
	ds_read_b128 v[8:11], v7 offset:32
	s_waitcnt lgkmcnt(0)
	v_mul_f64 v[14:15], v[2:3], v[10:11]
	v_mul_f64 v[10:11], v[4:5], v[10:11]
	v_fma_f64 v[4:5], v[4:5], v[8:9], -v[14:15]
	v_fmac_f64_e32 v[10:11], v[2:3], v[8:9]
	buffer_store_dword v5, off, s[0:3], 0 offset:36
	buffer_store_dword v4, off, s[0:3], 0 offset:32
	;; [unrolled: 1-line block ×4, first 2 shown]
.LBB80_23:
	s_or_b64 exec, exec, s[8:9]
	s_waitcnt lgkmcnt(0)
	; wave barrier
	buffer_load_dword v2, v85, s[0:3], 0 offen
	buffer_load_dword v3, v85, s[0:3], 0 offen offset:4
	buffer_load_dword v4, v85, s[0:3], 0 offen offset:8
	;; [unrolled: 1-line block ×3, first 2 shown]
	v_cmp_gt_u32_e32 vcc, 3, v87
	v_add_u32_e32 v7, -1, v87
	s_waitcnt vmcnt(0)
	ds_write_b128 v6, v[2:5]
	s_waitcnt lgkmcnt(0)
	; wave barrier
	s_waitcnt lgkmcnt(0)
	s_and_saveexec_b64 s[6:7], vcc
	s_cbranch_execz .LBB80_27
; %bb.24:
	v_pk_mov_b32 v[2:3], 0, 0
	v_add_u32_e32 v8, -1, v87
	v_add_u32_e32 v9, 0x110, v12
	v_add_u32_e32 v10, 0, v12
	s_mov_b64 s[8:9], 0
	v_pk_mov_b32 v[4:5], v[2:3], v[2:3] op_sel:[0,1]
.LBB80_25:                              ; =>This Inner Loop Header: Depth=1
	buffer_load_dword v52, v10, s[0:3], 0 offen offset:8
	buffer_load_dword v53, v10, s[0:3], 0 offen offset:12
	buffer_load_dword v54, v10, s[0:3], 0 offen
	buffer_load_dword v55, v10, s[0:3], 0 offen offset:4
	ds_read_b128 v[14:17], v9
	v_add_u32_e32 v8, 1, v8
	v_cmp_lt_u32_e32 vcc, 1, v8
	v_add_u32_e32 v9, 16, v9
	v_add_u32_e32 v10, 16, v10
	s_or_b64 s[8:9], vcc, s[8:9]
	s_waitcnt vmcnt(2) lgkmcnt(0)
	v_mul_f64 v[56:57], v[16:17], v[52:53]
	v_mul_f64 v[52:53], v[14:15], v[52:53]
	s_waitcnt vmcnt(0)
	v_fma_f64 v[14:15], v[14:15], v[54:55], -v[56:57]
	v_fmac_f64_e32 v[52:53], v[16:17], v[54:55]
	v_add_f64 v[4:5], v[4:5], v[14:15]
	v_add_f64 v[2:3], v[2:3], v[52:53]
	s_andn2_b64 exec, exec, s[8:9]
	s_cbranch_execnz .LBB80_25
; %bb.26:
	s_or_b64 exec, exec, s[8:9]
	v_mov_b32_e32 v8, 0
	ds_read_b128 v[8:11], v8 offset:48
	s_waitcnt lgkmcnt(0)
	v_mul_f64 v[14:15], v[2:3], v[10:11]
	v_mul_f64 v[10:11], v[4:5], v[10:11]
	v_fma_f64 v[4:5], v[4:5], v[8:9], -v[14:15]
	v_fmac_f64_e32 v[10:11], v[2:3], v[8:9]
	buffer_store_dword v5, off, s[0:3], 0 offset:52
	buffer_store_dword v4, off, s[0:3], 0 offset:48
	buffer_store_dword v11, off, s[0:3], 0 offset:60
	buffer_store_dword v10, off, s[0:3], 0 offset:56
.LBB80_27:
	s_or_b64 exec, exec, s[6:7]
	s_waitcnt lgkmcnt(0)
	; wave barrier
	buffer_load_dword v2, v82, s[0:3], 0 offen
	buffer_load_dword v3, v82, s[0:3], 0 offen offset:4
	buffer_load_dword v4, v82, s[0:3], 0 offen offset:8
	buffer_load_dword v5, v82, s[0:3], 0 offen offset:12
	v_cmp_gt_u32_e32 vcc, 4, v87
	s_waitcnt vmcnt(0)
	ds_write_b128 v6, v[2:5]
	s_waitcnt lgkmcnt(0)
	; wave barrier
	s_waitcnt lgkmcnt(0)
	s_and_saveexec_b64 s[6:7], vcc
	s_cbranch_execz .LBB80_31
; %bb.28:
	v_pk_mov_b32 v[2:3], 0, 0
	v_add_u32_e32 v8, -1, v87
	v_add_u32_e32 v9, 0x110, v12
	v_add_u32_e32 v10, 0, v12
	s_mov_b64 s[8:9], 0
	v_pk_mov_b32 v[4:5], v[2:3], v[2:3] op_sel:[0,1]
.LBB80_29:                              ; =>This Inner Loop Header: Depth=1
	buffer_load_dword v52, v10, s[0:3], 0 offen offset:8
	buffer_load_dword v53, v10, s[0:3], 0 offen offset:12
	buffer_load_dword v54, v10, s[0:3], 0 offen
	buffer_load_dword v55, v10, s[0:3], 0 offen offset:4
	ds_read_b128 v[14:17], v9
	v_add_u32_e32 v8, 1, v8
	v_cmp_lt_u32_e32 vcc, 2, v8
	v_add_u32_e32 v9, 16, v9
	v_add_u32_e32 v10, 16, v10
	s_or_b64 s[8:9], vcc, s[8:9]
	s_waitcnt vmcnt(2) lgkmcnt(0)
	v_mul_f64 v[56:57], v[16:17], v[52:53]
	v_mul_f64 v[52:53], v[14:15], v[52:53]
	s_waitcnt vmcnt(0)
	v_fma_f64 v[14:15], v[14:15], v[54:55], -v[56:57]
	v_fmac_f64_e32 v[52:53], v[16:17], v[54:55]
	v_add_f64 v[4:5], v[4:5], v[14:15]
	v_add_f64 v[2:3], v[2:3], v[52:53]
	s_andn2_b64 exec, exec, s[8:9]
	s_cbranch_execnz .LBB80_29
; %bb.30:
	s_or_b64 exec, exec, s[8:9]
	v_mov_b32_e32 v8, 0
	ds_read_b128 v[8:11], v8 offset:64
	s_waitcnt lgkmcnt(0)
	v_mul_f64 v[14:15], v[2:3], v[10:11]
	v_mul_f64 v[10:11], v[4:5], v[10:11]
	v_fma_f64 v[4:5], v[4:5], v[8:9], -v[14:15]
	v_fmac_f64_e32 v[10:11], v[2:3], v[8:9]
	buffer_store_dword v5, off, s[0:3], 0 offset:68
	buffer_store_dword v4, off, s[0:3], 0 offset:64
	buffer_store_dword v11, off, s[0:3], 0 offset:76
	buffer_store_dword v10, off, s[0:3], 0 offset:72
.LBB80_31:
	s_or_b64 exec, exec, s[6:7]
	s_waitcnt lgkmcnt(0)
	; wave barrier
	buffer_load_dword v2, v80, s[0:3], 0 offen
	buffer_load_dword v3, v80, s[0:3], 0 offen offset:4
	buffer_load_dword v4, v80, s[0:3], 0 offen offset:8
	buffer_load_dword v5, v80, s[0:3], 0 offen offset:12
	v_cmp_gt_u32_e32 vcc, 5, v87
	;; [unrolled: 57-line block ×12, first 2 shown]
	s_waitcnt vmcnt(0)
	ds_write_b128 v6, v[2:5]
	s_waitcnt lgkmcnt(0)
	; wave barrier
	s_waitcnt lgkmcnt(0)
	s_and_saveexec_b64 s[6:7], vcc
	s_cbranch_execz .LBB80_75
; %bb.72:
	v_pk_mov_b32 v[2:3], 0, 0
	v_add_u32_e32 v8, -1, v87
	v_add_u32_e32 v9, 0x110, v12
	v_add_u32_e32 v10, 0, v12
	s_mov_b64 s[8:9], 0
	v_pk_mov_b32 v[4:5], v[2:3], v[2:3] op_sel:[0,1]
.LBB80_73:                              ; =>This Inner Loop Header: Depth=1
	buffer_load_dword v52, v10, s[0:3], 0 offen offset:8
	buffer_load_dword v53, v10, s[0:3], 0 offen offset:12
	buffer_load_dword v54, v10, s[0:3], 0 offen
	buffer_load_dword v55, v10, s[0:3], 0 offen offset:4
	ds_read_b128 v[14:17], v9
	v_add_u32_e32 v8, 1, v8
	v_cmp_lt_u32_e32 vcc, 13, v8
	v_add_u32_e32 v9, 16, v9
	v_add_u32_e32 v10, 16, v10
	s_or_b64 s[8:9], vcc, s[8:9]
	s_waitcnt vmcnt(2) lgkmcnt(0)
	v_mul_f64 v[56:57], v[16:17], v[52:53]
	v_mul_f64 v[52:53], v[14:15], v[52:53]
	s_waitcnt vmcnt(0)
	v_fma_f64 v[14:15], v[14:15], v[54:55], -v[56:57]
	v_fmac_f64_e32 v[52:53], v[16:17], v[54:55]
	v_add_f64 v[4:5], v[4:5], v[14:15]
	v_add_f64 v[2:3], v[2:3], v[52:53]
	s_andn2_b64 exec, exec, s[8:9]
	s_cbranch_execnz .LBB80_73
; %bb.74:
	s_or_b64 exec, exec, s[8:9]
	v_mov_b32_e32 v8, 0
	ds_read_b128 v[8:11], v8 offset:240
	s_waitcnt lgkmcnt(0)
	v_mul_f64 v[14:15], v[2:3], v[10:11]
	v_mul_f64 v[10:11], v[4:5], v[10:11]
	v_fma_f64 v[4:5], v[4:5], v[8:9], -v[14:15]
	v_fmac_f64_e32 v[10:11], v[2:3], v[8:9]
	buffer_store_dword v5, off, s[0:3], 0 offset:244
	buffer_store_dword v4, off, s[0:3], 0 offset:240
	;; [unrolled: 1-line block ×4, first 2 shown]
.LBB80_75:
	s_or_b64 exec, exec, s[6:7]
	s_waitcnt lgkmcnt(0)
	; wave barrier
	buffer_load_dword v2, v1, s[0:3], 0 offen
	buffer_load_dword v3, v1, s[0:3], 0 offen offset:4
	buffer_load_dword v4, v1, s[0:3], 0 offen offset:8
	;; [unrolled: 1-line block ×3, first 2 shown]
	v_cmp_ne_u32_e32 vcc, 16, v87
	s_waitcnt vmcnt(0)
	ds_write_b128 v6, v[2:5]
	s_waitcnt lgkmcnt(0)
	; wave barrier
	s_waitcnt lgkmcnt(0)
	s_and_saveexec_b64 s[6:7], vcc
	s_cbranch_execz .LBB80_79
; %bb.76:
	v_pk_mov_b32 v[2:3], 0, 0
	v_add_u32_e32 v6, 0x110, v12
	v_add_u32_e32 v8, 0, v12
	s_mov_b64 s[8:9], 0
	v_pk_mov_b32 v[4:5], v[2:3], v[2:3] op_sel:[0,1]
.LBB80_77:                              ; =>This Inner Loop Header: Depth=1
	buffer_load_dword v14, v8, s[0:3], 0 offen offset:8
	buffer_load_dword v15, v8, s[0:3], 0 offen offset:12
	buffer_load_dword v16, v8, s[0:3], 0 offen
	buffer_load_dword v17, v8, s[0:3], 0 offen offset:4
	ds_read_b128 v[10:13], v6
	v_add_u32_e32 v7, 1, v7
	v_cmp_lt_u32_e32 vcc, 14, v7
	v_add_u32_e32 v6, 16, v6
	v_add_u32_e32 v8, 16, v8
	s_or_b64 s[8:9], vcc, s[8:9]
	s_waitcnt vmcnt(2) lgkmcnt(0)
	v_mul_f64 v[52:53], v[12:13], v[14:15]
	v_mul_f64 v[14:15], v[10:11], v[14:15]
	s_waitcnt vmcnt(0)
	v_fma_f64 v[10:11], v[10:11], v[16:17], -v[52:53]
	v_fmac_f64_e32 v[14:15], v[12:13], v[16:17]
	v_add_f64 v[4:5], v[4:5], v[10:11]
	v_add_f64 v[2:3], v[2:3], v[14:15]
	s_andn2_b64 exec, exec, s[8:9]
	s_cbranch_execnz .LBB80_77
; %bb.78:
	s_or_b64 exec, exec, s[8:9]
	v_mov_b32_e32 v6, 0
	ds_read_b128 v[6:9], v6 offset:256
	s_waitcnt lgkmcnt(0)
	v_mul_f64 v[10:11], v[2:3], v[8:9]
	v_mul_f64 v[8:9], v[4:5], v[8:9]
	v_fma_f64 v[4:5], v[4:5], v[6:7], -v[10:11]
	v_fmac_f64_e32 v[8:9], v[2:3], v[6:7]
	buffer_store_dword v5, off, s[0:3], 0 offset:260
	buffer_store_dword v4, off, s[0:3], 0 offset:256
	;; [unrolled: 1-line block ×4, first 2 shown]
.LBB80_79:
	s_or_b64 exec, exec, s[6:7]
	s_mov_b64 s[8:9], -1
	s_waitcnt lgkmcnt(0)
	; wave barrier
.LBB80_80:
	s_and_b64 vcc, exec, s[8:9]
	s_cbranch_vccz .LBB80_82
; %bb.81:
	s_lshl_b64 s[6:7], s[10:11], 2
	s_add_u32 s6, s14, s6
	s_addc_u32 s7, s15, s7
	v_mov_b32_e32 v2, 0
	global_load_dword v2, v2, s[6:7]
	s_waitcnt vmcnt(0)
	v_cmp_ne_u32_e32 vcc, 0, v2
	s_cbranch_vccz .LBB80_83
.LBB80_82:
	s_endpgm
.LBB80_83:
	v_mov_b32_e32 v2, 0x110
	v_lshl_add_u32 v64, v87, 4, v2
	v_cmp_eq_u32_e32 vcc, 16, v87
	s_and_saveexec_b64 s[6:7], vcc
	s_cbranch_execz .LBB80_85
; %bb.84:
	buffer_load_dword v2, v75, s[0:3], 0 offen
	buffer_load_dword v3, v75, s[0:3], 0 offen offset:4
	buffer_load_dword v4, v75, s[0:3], 0 offen offset:8
	;; [unrolled: 1-line block ×3, first 2 shown]
	v_mov_b32_e32 v6, 0
	buffer_store_dword v6, off, s[0:3], 0 offset:240
	buffer_store_dword v6, off, s[0:3], 0 offset:244
	;; [unrolled: 1-line block ×4, first 2 shown]
	s_waitcnt vmcnt(4)
	ds_write_b128 v64, v[2:5]
.LBB80_85:
	s_or_b64 exec, exec, s[6:7]
	s_waitcnt lgkmcnt(0)
	; wave barrier
	s_waitcnt lgkmcnt(0)
	buffer_load_dword v8, off, s[0:3], 0 offset:264
	buffer_load_dword v9, off, s[0:3], 0 offset:268
	;; [unrolled: 1-line block ×8, first 2 shown]
	v_mov_b32_e32 v2, 0
	ds_read_b128 v[4:7], v2 offset:528
	v_cmp_lt_u32_e32 vcc, 14, v87
	s_waitcnt vmcnt(6) lgkmcnt(0)
	v_mul_f64 v[16:17], v[4:5], v[8:9]
	v_mul_f64 v[8:9], v[6:7], v[8:9]
	s_waitcnt vmcnt(4)
	v_fma_f64 v[4:5], v[4:5], v[10:11], -v[8:9]
	v_fmac_f64_e32 v[16:17], v[6:7], v[10:11]
	v_add_f64 v[4:5], v[4:5], 0
	v_add_f64 v[6:7], v[16:17], 0
	s_waitcnt vmcnt(2)
	v_add_f64 v[4:5], v[12:13], -v[4:5]
	s_waitcnt vmcnt(0)
	v_add_f64 v[6:7], v[14:15], -v[6:7]
	buffer_store_dword v4, off, s[0:3], 0 offset:240
	buffer_store_dword v5, off, s[0:3], 0 offset:244
	;; [unrolled: 1-line block ×4, first 2 shown]
	s_and_saveexec_b64 s[6:7], vcc
	s_cbranch_execz .LBB80_87
; %bb.86:
	buffer_load_dword v4, v73, s[0:3], 0 offen
	buffer_load_dword v5, v73, s[0:3], 0 offen offset:4
	buffer_load_dword v6, v73, s[0:3], 0 offen offset:8
	;; [unrolled: 1-line block ×3, first 2 shown]
	s_nop 0
	buffer_store_dword v2, off, s[0:3], 0 offset:224
	buffer_store_dword v2, off, s[0:3], 0 offset:228
	;; [unrolled: 1-line block ×4, first 2 shown]
	s_waitcnt vmcnt(4)
	ds_write_b128 v64, v[4:7]
.LBB80_87:
	s_or_b64 exec, exec, s[6:7]
	s_waitcnt lgkmcnt(0)
	; wave barrier
	s_waitcnt lgkmcnt(0)
	buffer_load_dword v12, off, s[0:3], 0 offset:248
	buffer_load_dword v13, off, s[0:3], 0 offset:252
	;; [unrolled: 1-line block ×12, first 2 shown]
	ds_read_b128 v[4:7], v2 offset:512
	ds_read_b128 v[8:11], v2 offset:528
	v_cmp_lt_u32_e32 vcc, 13, v87
	s_waitcnt vmcnt(10) lgkmcnt(1)
	v_mul_f64 v[2:3], v[4:5], v[12:13]
	v_mul_f64 v[12:13], v[6:7], v[12:13]
	s_waitcnt vmcnt(8) lgkmcnt(0)
	v_mul_f64 v[58:59], v[8:9], v[14:15]
	v_mul_f64 v[14:15], v[10:11], v[14:15]
	s_waitcnt vmcnt(6)
	v_fma_f64 v[4:5], v[4:5], v[16:17], -v[12:13]
	v_fmac_f64_e32 v[2:3], v[6:7], v[16:17]
	s_waitcnt vmcnt(4)
	v_fma_f64 v[6:7], v[8:9], v[52:53], -v[14:15]
	v_add_f64 v[4:5], v[4:5], 0
	v_fmac_f64_e32 v[58:59], v[10:11], v[52:53]
	v_add_f64 v[2:3], v[2:3], 0
	v_add_f64 v[4:5], v[4:5], v[6:7]
	;; [unrolled: 1-line block ×3, first 2 shown]
	s_waitcnt vmcnt(2)
	v_add_f64 v[4:5], v[54:55], -v[4:5]
	s_waitcnt vmcnt(0)
	v_add_f64 v[2:3], v[56:57], -v[2:3]
	buffer_store_dword v4, off, s[0:3], 0 offset:224
	buffer_store_dword v5, off, s[0:3], 0 offset:228
	;; [unrolled: 1-line block ×4, first 2 shown]
	s_and_saveexec_b64 s[6:7], vcc
	s_cbranch_execz .LBB80_89
; %bb.88:
	buffer_load_dword v2, v74, s[0:3], 0 offen
	buffer_load_dword v3, v74, s[0:3], 0 offen offset:4
	buffer_load_dword v4, v74, s[0:3], 0 offen offset:8
	;; [unrolled: 1-line block ×3, first 2 shown]
	v_mov_b32_e32 v6, 0
	buffer_store_dword v6, off, s[0:3], 0 offset:208
	buffer_store_dword v6, off, s[0:3], 0 offset:212
	;; [unrolled: 1-line block ×4, first 2 shown]
	s_waitcnt vmcnt(4)
	ds_write_b128 v64, v[2:5]
.LBB80_89:
	s_or_b64 exec, exec, s[6:7]
	s_waitcnt lgkmcnt(0)
	; wave barrier
	s_waitcnt lgkmcnt(0)
	buffer_load_dword v16, off, s[0:3], 0 offset:232
	buffer_load_dword v17, off, s[0:3], 0 offset:236
	;; [unrolled: 1-line block ×16, first 2 shown]
	v_mov_b32_e32 v2, 0
	ds_read_b128 v[4:7], v2 offset:496
	ds_read_b128 v[8:11], v2 offset:512
	;; [unrolled: 1-line block ×3, first 2 shown]
	v_cmp_lt_u32_e32 vcc, 12, v87
	s_waitcnt vmcnt(14) lgkmcnt(2)
	v_mul_f64 v[68:69], v[4:5], v[16:17]
	v_mul_f64 v[16:17], v[6:7], v[16:17]
	s_waitcnt vmcnt(12) lgkmcnt(1)
	v_mul_f64 v[70:71], v[8:9], v[52:53]
	v_mul_f64 v[52:53], v[10:11], v[52:53]
	;; [unrolled: 3-line block ×3, first 2 shown]
	s_waitcnt vmcnt(8)
	v_fma_f64 v[4:5], v[4:5], v[56:57], -v[16:17]
	v_fmac_f64_e32 v[68:69], v[6:7], v[56:57]
	s_waitcnt vmcnt(6)
	v_fma_f64 v[6:7], v[8:9], v[58:59], -v[52:53]
	v_add_f64 v[4:5], v[4:5], 0
	v_fmac_f64_e32 v[70:71], v[10:11], v[58:59]
	s_waitcnt vmcnt(4)
	v_fma_f64 v[8:9], v[12:13], v[60:61], -v[54:55]
	v_add_f64 v[10:11], v[68:69], 0
	v_add_f64 v[4:5], v[4:5], v[6:7]
	v_fmac_f64_e32 v[88:89], v[14:15], v[60:61]
	v_add_f64 v[10:11], v[10:11], v[70:71]
	v_add_f64 v[4:5], v[4:5], v[8:9]
	;; [unrolled: 1-line block ×3, first 2 shown]
	s_waitcnt vmcnt(2)
	v_add_f64 v[4:5], v[62:63], -v[4:5]
	s_waitcnt vmcnt(0)
	v_add_f64 v[6:7], v[66:67], -v[6:7]
	buffer_store_dword v4, off, s[0:3], 0 offset:208
	buffer_store_dword v5, off, s[0:3], 0 offset:212
	;; [unrolled: 1-line block ×4, first 2 shown]
	s_and_saveexec_b64 s[6:7], vcc
	s_cbranch_execz .LBB80_91
; %bb.90:
	buffer_load_dword v4, v72, s[0:3], 0 offen
	buffer_load_dword v5, v72, s[0:3], 0 offen offset:4
	buffer_load_dword v6, v72, s[0:3], 0 offen offset:8
	;; [unrolled: 1-line block ×3, first 2 shown]
	s_nop 0
	buffer_store_dword v2, off, s[0:3], 0 offset:192
	buffer_store_dword v2, off, s[0:3], 0 offset:196
	;; [unrolled: 1-line block ×4, first 2 shown]
	s_waitcnt vmcnt(4)
	ds_write_b128 v64, v[4:7]
.LBB80_91:
	s_or_b64 exec, exec, s[6:7]
	s_waitcnt lgkmcnt(0)
	; wave barrier
	s_waitcnt lgkmcnt(0)
	buffer_load_dword v16, off, s[0:3], 0 offset:216
	buffer_load_dword v17, off, s[0:3], 0 offset:220
	;; [unrolled: 1-line block ×20, first 2 shown]
	ds_read_b128 v[4:7], v2 offset:480
	ds_read_b128 v[8:11], v2 offset:496
	;; [unrolled: 1-line block ×4, first 2 shown]
	v_cmp_lt_u32_e32 vcc, 11, v87
	s_waitcnt vmcnt(18) lgkmcnt(3)
	v_mul_f64 v[2:3], v[4:5], v[16:17]
	v_mul_f64 v[16:17], v[6:7], v[16:17]
	s_waitcnt vmcnt(16) lgkmcnt(2)
	v_mul_f64 v[92:93], v[8:9], v[56:57]
	v_mul_f64 v[56:57], v[10:11], v[56:57]
	;; [unrolled: 3-line block ×4, first 2 shown]
	s_waitcnt vmcnt(10)
	v_fma_f64 v[4:5], v[4:5], v[62:63], -v[16:17]
	v_fmac_f64_e32 v[2:3], v[6:7], v[62:63]
	s_waitcnt vmcnt(8)
	v_fma_f64 v[6:7], v[8:9], v[66:67], -v[56:57]
	v_add_f64 v[4:5], v[4:5], 0
	v_fmac_f64_e32 v[92:93], v[10:11], v[66:67]
	s_waitcnt vmcnt(6)
	v_fma_f64 v[8:9], v[12:13], v[68:69], -v[58:59]
	v_add_f64 v[2:3], v[2:3], 0
	v_add_f64 v[4:5], v[4:5], v[6:7]
	v_fmac_f64_e32 v[94:95], v[14:15], v[68:69]
	s_waitcnt vmcnt(4)
	v_fma_f64 v[10:11], v[52:53], v[70:71], -v[60:61]
	v_add_f64 v[2:3], v[2:3], v[92:93]
	v_add_f64 v[4:5], v[4:5], v[8:9]
	v_fmac_f64_e32 v[96:97], v[54:55], v[70:71]
	v_add_f64 v[2:3], v[2:3], v[94:95]
	v_add_f64 v[4:5], v[4:5], v[10:11]
	;; [unrolled: 1-line block ×3, first 2 shown]
	s_waitcnt vmcnt(2)
	v_add_f64 v[4:5], v[88:89], -v[4:5]
	s_waitcnt vmcnt(0)
	v_add_f64 v[2:3], v[90:91], -v[2:3]
	buffer_store_dword v4, off, s[0:3], 0 offset:192
	buffer_store_dword v5, off, s[0:3], 0 offset:196
	;; [unrolled: 1-line block ×4, first 2 shown]
	s_and_saveexec_b64 s[6:7], vcc
	s_cbranch_execz .LBB80_93
; %bb.92:
	buffer_load_dword v2, v79, s[0:3], 0 offen
	buffer_load_dword v3, v79, s[0:3], 0 offen offset:4
	buffer_load_dword v4, v79, s[0:3], 0 offen offset:8
	;; [unrolled: 1-line block ×3, first 2 shown]
	v_mov_b32_e32 v6, 0
	buffer_store_dword v6, off, s[0:3], 0 offset:176
	buffer_store_dword v6, off, s[0:3], 0 offset:180
	;; [unrolled: 1-line block ×4, first 2 shown]
	s_waitcnt vmcnt(4)
	ds_write_b128 v64, v[2:5]
.LBB80_93:
	s_or_b64 exec, exec, s[6:7]
	s_waitcnt lgkmcnt(0)
	; wave barrier
	s_waitcnt lgkmcnt(0)
	buffer_load_dword v16, off, s[0:3], 0 offset:200
	buffer_load_dword v17, off, s[0:3], 0 offset:204
	buffer_load_dword v60, off, s[0:3], 0 offset:216
	buffer_load_dword v61, off, s[0:3], 0 offset:220
	buffer_load_dword v62, off, s[0:3], 0 offset:232
	buffer_load_dword v63, off, s[0:3], 0 offset:236
	buffer_load_dword v66, off, s[0:3], 0 offset:264
	buffer_load_dword v68, off, s[0:3], 0 offset:256
	buffer_load_dword v71, off, s[0:3], 0 offset:252
	buffer_load_dword v70, off, s[0:3], 0 offset:248
	buffer_load_dword v67, off, s[0:3], 0 offset:268
	buffer_load_dword v88, off, s[0:3], 0 offset:192
	buffer_load_dword v89, off, s[0:3], 0 offset:196
	buffer_load_dword v90, off, s[0:3], 0 offset:208
	buffer_load_dword v91, off, s[0:3], 0 offset:212
	buffer_load_dword v92, off, s[0:3], 0 offset:224
	buffer_load_dword v93, off, s[0:3], 0 offset:228
	buffer_load_dword v95, off, s[0:3], 0 offset:244
	buffer_load_dword v94, off, s[0:3], 0 offset:240
	buffer_load_dword v69, off, s[0:3], 0 offset:260
	buffer_load_dword v96, off, s[0:3], 0 offset:176
	buffer_load_dword v97, off, s[0:3], 0 offset:180
	buffer_load_dword v98, off, s[0:3], 0 offset:184
	buffer_load_dword v99, off, s[0:3], 0 offset:188
	v_mov_b32_e32 v2, 0
	ds_read_b128 v[4:7], v2 offset:464
	ds_read_b128 v[8:11], v2 offset:480
	;; [unrolled: 1-line block ×5, first 2 shown]
	v_cmp_lt_u32_e32 vcc, 10, v87
	s_waitcnt vmcnt(22) lgkmcnt(4)
	v_mul_f64 v[100:101], v[4:5], v[16:17]
	v_mul_f64 v[16:17], v[6:7], v[16:17]
	s_waitcnt vmcnt(20) lgkmcnt(3)
	v_mul_f64 v[102:103], v[8:9], v[60:61]
	v_mul_f64 v[60:61], v[10:11], v[60:61]
	;; [unrolled: 3-line block ×4, first 2 shown]
	s_waitcnt vmcnt(13) lgkmcnt(0)
	v_mul_f64 v[108:109], v[56:57], v[66:67]
	s_waitcnt vmcnt(11)
	v_fma_f64 v[4:5], v[4:5], v[88:89], -v[16:17]
	v_fmac_f64_e32 v[100:101], v[6:7], v[88:89]
	s_waitcnt vmcnt(9)
	v_fma_f64 v[6:7], v[8:9], v[90:91], -v[60:61]
	v_add_f64 v[4:5], v[4:5], 0
	v_fmac_f64_e32 v[102:103], v[10:11], v[90:91]
	s_waitcnt vmcnt(7)
	v_fmac_f64_e32 v[104:105], v[14:15], v[92:93]
	v_fma_f64 v[8:9], v[12:13], v[92:93], -v[62:63]
	v_add_f64 v[14:15], v[100:101], 0
	v_add_f64 v[4:5], v[4:5], v[6:7]
	v_mul_f64 v[66:67], v[58:59], v[66:67]
	s_waitcnt vmcnt(5)
	v_fma_f64 v[10:11], v[52:53], v[94:95], -v[70:71]
	v_add_f64 v[14:15], v[14:15], v[102:103]
	v_add_f64 v[4:5], v[4:5], v[8:9]
	v_fmac_f64_e32 v[106:107], v[54:55], v[94:95]
	s_waitcnt vmcnt(4)
	v_fma_f64 v[12:13], v[56:57], v[68:69], -v[66:67]
	v_add_f64 v[6:7], v[14:15], v[104:105]
	v_add_f64 v[4:5], v[4:5], v[10:11]
	v_fmac_f64_e32 v[108:109], v[58:59], v[68:69]
	v_add_f64 v[6:7], v[6:7], v[106:107]
	v_add_f64 v[4:5], v[4:5], v[12:13]
	;; [unrolled: 1-line block ×3, first 2 shown]
	s_waitcnt vmcnt(2)
	v_add_f64 v[4:5], v[96:97], -v[4:5]
	s_waitcnt vmcnt(0)
	v_add_f64 v[6:7], v[98:99], -v[6:7]
	buffer_store_dword v5, off, s[0:3], 0 offset:180
	buffer_store_dword v4, off, s[0:3], 0 offset:176
	;; [unrolled: 1-line block ×4, first 2 shown]
	s_and_saveexec_b64 s[6:7], vcc
	s_cbranch_execz .LBB80_95
; %bb.94:
	buffer_load_dword v4, v77, s[0:3], 0 offen
	buffer_load_dword v5, v77, s[0:3], 0 offen offset:4
	buffer_load_dword v6, v77, s[0:3], 0 offen offset:8
	;; [unrolled: 1-line block ×3, first 2 shown]
	s_nop 0
	buffer_store_dword v2, off, s[0:3], 0 offset:160
	buffer_store_dword v2, off, s[0:3], 0 offset:164
	;; [unrolled: 1-line block ×4, first 2 shown]
	s_waitcnt vmcnt(4)
	ds_write_b128 v64, v[4:7]
.LBB80_95:
	s_or_b64 exec, exec, s[6:7]
	s_waitcnt lgkmcnt(0)
	; wave barrier
	s_waitcnt lgkmcnt(0)
	buffer_load_dword v16, off, s[0:3], 0 offset:184
	buffer_load_dword v17, off, s[0:3], 0 offset:188
	buffer_load_dword v66, off, s[0:3], 0 offset:200
	buffer_load_dword v67, off, s[0:3], 0 offset:204
	buffer_load_dword v68, off, s[0:3], 0 offset:216
	buffer_load_dword v69, off, s[0:3], 0 offset:220
	buffer_load_dword v71, off, s[0:3], 0 offset:252
	buffer_load_dword v70, off, s[0:3], 0 offset:248
	buffer_load_dword v88, off, s[0:3], 0 offset:240
	buffer_load_dword v91, off, s[0:3], 0 offset:236
	buffer_load_dword v90, off, s[0:3], 0 offset:232
	buffer_load_dword v93, off, s[0:3], 0 offset:268
	buffer_load_dword v92, off, s[0:3], 0 offset:264
	buffer_load_dword v89, off, s[0:3], 0 offset:244
	buffer_load_dword v94, off, s[0:3], 0 offset:176
	buffer_load_dword v95, off, s[0:3], 0 offset:180
	buffer_load_dword v96, off, s[0:3], 0 offset:192
	buffer_load_dword v97, off, s[0:3], 0 offset:196
	buffer_load_dword v98, off, s[0:3], 0 offset:208
	buffer_load_dword v99, off, s[0:3], 0 offset:212
	buffer_load_dword v101, off, s[0:3], 0 offset:228
	buffer_load_dword v100, off, s[0:3], 0 offset:224
	buffer_load_dword v103, off, s[0:3], 0 offset:260
	buffer_load_dword v102, off, s[0:3], 0 offset:256
	buffer_load_dword v104, off, s[0:3], 0 offset:160
	buffer_load_dword v105, off, s[0:3], 0 offset:164
	buffer_load_dword v106, off, s[0:3], 0 offset:168
	buffer_load_dword v107, off, s[0:3], 0 offset:172
	ds_read_b128 v[4:7], v2 offset:448
	ds_read_b128 v[8:11], v2 offset:464
	;; [unrolled: 1-line block ×6, first 2 shown]
	v_cmp_lt_u32_e32 vcc, 9, v87
	s_waitcnt vmcnt(26) lgkmcnt(5)
	v_mul_f64 v[2:3], v[4:5], v[16:17]
	v_mul_f64 v[16:17], v[6:7], v[16:17]
	s_waitcnt vmcnt(24) lgkmcnt(4)
	v_mul_f64 v[108:109], v[8:9], v[66:67]
	v_mul_f64 v[66:67], v[10:11], v[66:67]
	;; [unrolled: 3-line block ×4, first 2 shown]
	s_waitcnt vmcnt(17)
	v_mul_f64 v[112:113], v[52:53], v[90:91]
	v_mul_f64 v[90:91], v[54:55], v[90:91]
	s_waitcnt vmcnt(15) lgkmcnt(0)
	v_mul_f64 v[116:117], v[60:61], v[92:93]
	v_mul_f64 v[92:93], v[62:63], v[92:93]
	s_waitcnt vmcnt(14)
	v_fmac_f64_e32 v[114:115], v[58:59], v[88:89]
	s_waitcnt vmcnt(12)
	v_fma_f64 v[4:5], v[4:5], v[94:95], -v[16:17]
	v_fmac_f64_e32 v[2:3], v[6:7], v[94:95]
	s_waitcnt vmcnt(10)
	v_fma_f64 v[6:7], v[8:9], v[96:97], -v[66:67]
	v_add_f64 v[4:5], v[4:5], 0
	v_fmac_f64_e32 v[108:109], v[10:11], v[96:97]
	s_waitcnt vmcnt(8)
	v_fma_f64 v[8:9], v[12:13], v[98:99], -v[68:69]
	v_add_f64 v[2:3], v[2:3], 0
	v_add_f64 v[4:5], v[4:5], v[6:7]
	v_fmac_f64_e32 v[110:111], v[14:15], v[98:99]
	s_waitcnt vmcnt(6)
	v_fma_f64 v[10:11], v[52:53], v[100:101], -v[90:91]
	v_add_f64 v[2:3], v[2:3], v[108:109]
	v_add_f64 v[4:5], v[4:5], v[8:9]
	v_fmac_f64_e32 v[112:113], v[54:55], v[100:101]
	v_fma_f64 v[12:13], v[56:57], v[88:89], -v[70:71]
	v_add_f64 v[2:3], v[2:3], v[110:111]
	v_add_f64 v[4:5], v[4:5], v[10:11]
	s_waitcnt vmcnt(4)
	v_fma_f64 v[14:15], v[60:61], v[102:103], -v[92:93]
	v_add_f64 v[2:3], v[2:3], v[112:113]
	v_add_f64 v[4:5], v[4:5], v[12:13]
	v_fmac_f64_e32 v[116:117], v[62:63], v[102:103]
	v_add_f64 v[2:3], v[2:3], v[114:115]
	v_add_f64 v[4:5], v[4:5], v[14:15]
	;; [unrolled: 1-line block ×3, first 2 shown]
	s_waitcnt vmcnt(2)
	v_add_f64 v[4:5], v[104:105], -v[4:5]
	s_waitcnt vmcnt(0)
	v_add_f64 v[2:3], v[106:107], -v[2:3]
	buffer_store_dword v5, off, s[0:3], 0 offset:164
	buffer_store_dword v4, off, s[0:3], 0 offset:160
	;; [unrolled: 1-line block ×4, first 2 shown]
	s_and_saveexec_b64 s[6:7], vcc
	s_cbranch_execz .LBB80_97
; %bb.96:
	buffer_load_dword v2, v78, s[0:3], 0 offen
	buffer_load_dword v3, v78, s[0:3], 0 offen offset:4
	buffer_load_dword v4, v78, s[0:3], 0 offen offset:8
	;; [unrolled: 1-line block ×3, first 2 shown]
	v_mov_b32_e32 v6, 0
	buffer_store_dword v6, off, s[0:3], 0 offset:144
	buffer_store_dword v6, off, s[0:3], 0 offset:148
	;; [unrolled: 1-line block ×4, first 2 shown]
	s_waitcnt vmcnt(4)
	ds_write_b128 v64, v[2:5]
.LBB80_97:
	s_or_b64 exec, exec, s[6:7]
	v_mov_b32_e32 v58, 0
	s_waitcnt lgkmcnt(0)
	; wave barrier
	s_waitcnt lgkmcnt(0)
	ds_read_b128 v[6:9], v58 offset:432
	ds_read_b128 v[10:13], v58 offset:448
	;; [unrolled: 1-line block ×4, first 2 shown]
	buffer_load_dword v4, off, s[0:3], 0 offset:144
	buffer_load_dword v5, off, s[0:3], 0 offset:148
	;; [unrolled: 1-line block ×20, first 2 shown]
	v_cmp_lt_u32_e32 vcc, 8, v87
	s_waitcnt vmcnt(12) lgkmcnt(3)
	v_mul_f64 v[60:61], v[6:7], v[70:71]
	v_fmac_f64_e32 v[60:61], v[8:9], v[56:57]
	v_add_f64 v[60:61], v[60:61], 0
	v_mul_f64 v[8:9], v[8:9], v[70:71]
	s_waitcnt vmcnt(8) lgkmcnt(2)
	v_mul_f64 v[62:63], v[10:11], v[94:95]
	v_fmac_f64_e32 v[62:63], v[12:13], v[92:93]
	v_add_f64 v[60:61], v[60:61], v[62:63]
	v_fma_f64 v[6:7], v[6:7], v[56:57], -v[8:9]
	s_waitcnt vmcnt(4) lgkmcnt(1)
	v_mul_f64 v[62:63], v[14:15], v[98:99]
	v_fmac_f64_e32 v[62:63], v[16:17], v[96:97]
	v_add_f64 v[60:61], v[60:61], v[62:63]
	s_waitcnt vmcnt(0) lgkmcnt(0)
	v_mul_f64 v[62:63], v[52:53], v[102:103]
	v_fmac_f64_e32 v[62:63], v[54:55], v[100:101]
	v_add_f64 v[66:67], v[60:61], v[62:63]
	ds_read_b128 v[60:63], v58 offset:496
	buffer_load_dword v105, off, s[0:3], 0 offset:228
	buffer_load_dword v104, off, s[0:3], 0 offset:224
	;; [unrolled: 1-line block ×4, first 2 shown]
	v_mul_f64 v[8:9], v[12:13], v[94:95]
	v_add_f64 v[6:7], v[6:7], 0
	v_fma_f64 v[8:9], v[10:11], v[92:93], -v[8:9]
	v_add_f64 v[6:7], v[6:7], v[8:9]
	v_mul_f64 v[8:9], v[16:17], v[98:99]
	v_fma_f64 v[8:9], v[14:15], v[96:97], -v[8:9]
	v_add_f64 v[6:7], v[6:7], v[8:9]
	v_mul_f64 v[8:9], v[54:55], v[102:103]
	v_fma_f64 v[8:9], v[52:53], v[100:101], -v[8:9]
	v_add_f64 v[6:7], v[6:7], v[8:9]
	s_waitcnt vmcnt(0) lgkmcnt(0)
	v_mul_f64 v[68:69], v[60:61], v[106:107]
	v_fmac_f64_e32 v[68:69], v[62:63], v[104:105]
	v_add_f64 v[88:89], v[66:67], v[68:69]
	ds_read_b128 v[66:69], v58 offset:512
	buffer_load_dword v109, off, s[0:3], 0 offset:244
	buffer_load_dword v108, off, s[0:3], 0 offset:240
	;; [unrolled: 1-line block ×4, first 2 shown]
	v_mul_f64 v[8:9], v[62:63], v[106:107]
	v_fma_f64 v[8:9], v[60:61], v[104:105], -v[8:9]
	v_add_f64 v[6:7], v[6:7], v[8:9]
	s_waitcnt vmcnt(0) lgkmcnt(0)
	v_mul_f64 v[90:91], v[66:67], v[110:111]
	v_fmac_f64_e32 v[90:91], v[68:69], v[108:109]
	v_add_f64 v[112:113], v[88:89], v[90:91]
	ds_read_b128 v[88:91], v58 offset:528
	buffer_load_dword v115, off, s[0:3], 0 offset:260
	buffer_load_dword v114, off, s[0:3], 0 offset:256
	;; [unrolled: 1-line block ×4, first 2 shown]
	v_mul_f64 v[8:9], v[68:69], v[110:111]
	v_fma_f64 v[8:9], v[66:67], v[108:109], -v[8:9]
	v_add_f64 v[6:7], v[6:7], v[8:9]
	s_waitcnt vmcnt(0) lgkmcnt(0)
	v_mul_f64 v[8:9], v[90:91], v[116:117]
	v_mul_f64 v[118:119], v[88:89], v[116:117]
	v_fma_f64 v[8:9], v[88:89], v[114:115], -v[8:9]
	v_fmac_f64_e32 v[118:119], v[90:91], v[114:115]
	v_add_f64 v[6:7], v[6:7], v[8:9]
	v_add_f64 v[112:113], v[112:113], v[118:119]
	v_add_f64 v[4:5], v[4:5], -v[6:7]
	v_add_f64 v[2:3], v[2:3], -v[112:113]
	buffer_store_dword v5, off, s[0:3], 0 offset:148
	buffer_store_dword v4, off, s[0:3], 0 offset:144
	;; [unrolled: 1-line block ×4, first 2 shown]
	s_and_saveexec_b64 s[6:7], vcc
	s_cbranch_execz .LBB80_99
; %bb.98:
	buffer_load_dword v2, v76, s[0:3], 0 offen
	buffer_load_dword v3, v76, s[0:3], 0 offen offset:4
	buffer_load_dword v4, v76, s[0:3], 0 offen offset:8
	;; [unrolled: 1-line block ×3, first 2 shown]
	s_nop 0
	buffer_store_dword v58, off, s[0:3], 0 offset:128
	buffer_store_dword v58, off, s[0:3], 0 offset:132
	;; [unrolled: 1-line block ×4, first 2 shown]
	s_waitcnt vmcnt(4)
	ds_write_b128 v64, v[2:5]
.LBB80_99:
	s_or_b64 exec, exec, s[6:7]
	s_waitcnt lgkmcnt(0)
	; wave barrier
	s_waitcnt lgkmcnt(0)
	ds_read_b128 v[14:17], v58 offset:416
	ds_read_b128 v[10:13], v58 offset:432
	ds_read_b128 v[6:9], v58 offset:448
	ds_read_b128 v[2:5], v58 offset:464
	buffer_load_dword v54, off, s[0:3], 0 offset:128
	buffer_load_dword v55, off, s[0:3], 0 offset:132
	;; [unrolled: 1-line block ×20, first 2 shown]
	v_cmp_lt_u32_e32 vcc, 7, v87
	s_waitcnt vmcnt(12) lgkmcnt(3)
	v_mul_f64 v[60:61], v[14:15], v[70:71]
	v_fmac_f64_e32 v[60:61], v[16:17], v[56:57]
	v_add_f64 v[60:61], v[60:61], 0
	v_mul_f64 v[16:17], v[16:17], v[70:71]
	s_waitcnt vmcnt(8) lgkmcnt(2)
	v_mul_f64 v[62:63], v[10:11], v[98:99]
	v_fmac_f64_e32 v[62:63], v[12:13], v[96:97]
	v_add_f64 v[60:61], v[60:61], v[62:63]
	v_fma_f64 v[14:15], v[14:15], v[56:57], -v[16:17]
	s_waitcnt vmcnt(4) lgkmcnt(1)
	v_mul_f64 v[62:63], v[6:7], v[102:103]
	v_fmac_f64_e32 v[62:63], v[8:9], v[100:101]
	v_add_f64 v[60:61], v[60:61], v[62:63]
	s_waitcnt vmcnt(0) lgkmcnt(0)
	v_mul_f64 v[62:63], v[2:3], v[106:107]
	v_fmac_f64_e32 v[62:63], v[4:5], v[104:105]
	v_add_f64 v[66:67], v[60:61], v[62:63]
	ds_read_b128 v[60:63], v58 offset:480
	buffer_load_dword v109, off, s[0:3], 0 offset:212
	buffer_load_dword v108, off, s[0:3], 0 offset:208
	;; [unrolled: 1-line block ×4, first 2 shown]
	v_mul_f64 v[12:13], v[12:13], v[98:99]
	v_add_f64 v[14:15], v[14:15], 0
	v_fma_f64 v[10:11], v[10:11], v[96:97], -v[12:13]
	v_mul_f64 v[8:9], v[8:9], v[102:103]
	v_add_f64 v[10:11], v[14:15], v[10:11]
	v_fma_f64 v[6:7], v[6:7], v[100:101], -v[8:9]
	;; [unrolled: 3-line block ×3, first 2 shown]
	v_add_f64 v[2:3], v[6:7], v[2:3]
	s_waitcnt vmcnt(0) lgkmcnt(0)
	v_mul_f64 v[68:69], v[60:61], v[110:111]
	v_fmac_f64_e32 v[68:69], v[62:63], v[108:109]
	v_add_f64 v[88:89], v[66:67], v[68:69]
	ds_read_b128 v[66:69], v58 offset:496
	buffer_load_dword v113, off, s[0:3], 0 offset:228
	buffer_load_dword v112, off, s[0:3], 0 offset:224
	buffer_load_dword v115, off, s[0:3], 0 offset:236
	buffer_load_dword v114, off, s[0:3], 0 offset:232
	v_mul_f64 v[4:5], v[62:63], v[110:111]
	v_fma_f64 v[4:5], v[60:61], v[108:109], -v[4:5]
	v_add_f64 v[2:3], v[2:3], v[4:5]
	s_waitcnt vmcnt(0) lgkmcnt(0)
	v_mul_f64 v[90:91], v[66:67], v[114:115]
	v_fmac_f64_e32 v[90:91], v[68:69], v[112:113]
	v_add_f64 v[92:93], v[88:89], v[90:91]
	ds_read_b128 v[88:91], v58 offset:512
	buffer_load_dword v117, off, s[0:3], 0 offset:244
	buffer_load_dword v116, off, s[0:3], 0 offset:240
	buffer_load_dword v119, off, s[0:3], 0 offset:252
	buffer_load_dword v118, off, s[0:3], 0 offset:248
	v_mul_f64 v[4:5], v[68:69], v[114:115]
	v_fma_f64 v[4:5], v[66:67], v[112:113], -v[4:5]
	;; [unrolled: 12-line block ×3, first 2 shown]
	v_add_f64 v[2:3], v[2:3], v[4:5]
	s_waitcnt vmcnt(0) lgkmcnt(0)
	v_mul_f64 v[4:5], v[94:95], v[122:123]
	v_mul_f64 v[124:125], v[92:93], v[122:123]
	v_fma_f64 v[4:5], v[92:93], v[58:59], -v[4:5]
	v_fmac_f64_e32 v[124:125], v[94:95], v[58:59]
	v_add_f64 v[2:3], v[2:3], v[4:5]
	v_add_f64 v[120:121], v[120:121], v[124:125]
	v_add_f64 v[2:3], v[54:55], -v[2:3]
	v_add_f64 v[4:5], v[52:53], -v[120:121]
	buffer_store_dword v3, off, s[0:3], 0 offset:132
	buffer_store_dword v2, off, s[0:3], 0 offset:128
	;; [unrolled: 1-line block ×4, first 2 shown]
	s_and_saveexec_b64 s[6:7], vcc
	s_cbranch_execz .LBB80_101
; %bb.100:
	buffer_load_dword v2, v81, s[0:3], 0 offen
	buffer_load_dword v3, v81, s[0:3], 0 offen offset:4
	buffer_load_dword v4, v81, s[0:3], 0 offen offset:8
	;; [unrolled: 1-line block ×3, first 2 shown]
	v_mov_b32_e32 v6, 0
	buffer_store_dword v6, off, s[0:3], 0 offset:112
	buffer_store_dword v6, off, s[0:3], 0 offset:116
	buffer_store_dword v6, off, s[0:3], 0 offset:120
	buffer_store_dword v6, off, s[0:3], 0 offset:124
	s_waitcnt vmcnt(4)
	ds_write_b128 v64, v[2:5]
.LBB80_101:
	s_or_b64 exec, exec, s[6:7]
	s_waitcnt lgkmcnt(0)
	; wave barrier
	s_waitcnt lgkmcnt(0)
	buffer_load_dword v16, off, s[0:3], 0 offset:136
	buffer_load_dword v17, off, s[0:3], 0 offset:140
	;; [unrolled: 1-line block ×40, first 2 shown]
	v_mov_b32_e32 v6, 0
	ds_read_b128 v[2:5], v6 offset:400
	ds_read_b128 v[8:11], v6 offset:416
	;; [unrolled: 1-line block ×9, first 2 shown]
	v_cmp_lt_u32_e32 vcc, 6, v87
	s_waitcnt vmcnt(38) lgkmcnt(8)
	v_mul_f64 v[132:133], v[2:3], v[16:17]
	v_mul_f64 v[16:17], v[4:5], v[16:17]
	s_waitcnt vmcnt(36) lgkmcnt(7)
	v_mul_f64 v[134:135], v[8:9], v[70:71]
	v_mul_f64 v[70:71], v[10:11], v[70:71]
	s_waitcnt vmcnt(34) lgkmcnt(6)
	v_mul_f64 v[136:137], v[12:13], v[96:97]
	v_mul_f64 v[96:97], v[14:15], v[96:97]
	s_waitcnt vmcnt(32) lgkmcnt(4)
	v_mul_f64 v[140:141], v[56:57], v[98:99]
	s_waitcnt vmcnt(30)
	v_fmac_f64_e32 v[140:141], v[58:59], v[100:101]
	s_waitcnt vmcnt(28)
	v_mul_f64 v[138:139], v[52:53], v[102:103]
	v_mul_f64 v[102:103], v[54:55], v[102:103]
	s_waitcnt vmcnt(26) lgkmcnt(2)
	v_mul_f64 v[144:145], v[66:67], v[104:105]
	s_waitcnt vmcnt(24)
	v_fmac_f64_e32 v[144:145], v[68:69], v[106:107]
	s_waitcnt vmcnt(22)
	v_mul_f64 v[142:143], v[60:61], v[108:109]
	s_waitcnt vmcnt(18) lgkmcnt(1)
	v_mul_f64 v[146:147], v[88:89], v[114:115]
	s_waitcnt vmcnt(17) lgkmcnt(0)
	v_mul_f64 v[148:149], v[92:93], v[110:111]
	s_waitcnt vmcnt(15)
	v_fma_f64 v[2:3], v[2:3], v[116:117], -v[16:17]
	v_fmac_f64_e32 v[132:133], v[4:5], v[116:117]
	s_waitcnt vmcnt(13)
	v_fma_f64 v[4:5], v[8:9], v[118:119], -v[70:71]
	v_add_f64 v[2:3], v[2:3], 0
	s_waitcnt vmcnt(11)
	v_fma_f64 v[8:9], v[12:13], v[120:121], -v[96:97]
	v_add_f64 v[2:3], v[2:3], v[4:5]
	v_fmac_f64_e32 v[134:135], v[10:11], v[118:119]
	s_waitcnt vmcnt(9)
	v_fma_f64 v[10:11], v[52:53], v[122:123], -v[102:103]
	v_add_f64 v[2:3], v[2:3], v[8:9]
	v_mul_f64 v[8:9], v[58:59], v[98:99]
	v_add_f64 v[2:3], v[2:3], v[10:11]
	v_fma_f64 v[8:9], v[56:57], v[100:101], -v[8:9]
	v_add_f64 v[2:3], v[2:3], v[8:9]
	v_mul_f64 v[8:9], v[62:63], v[108:109]
	v_add_f64 v[12:13], v[132:133], 0
	s_waitcnt vmcnt(7)
	v_fma_f64 v[8:9], v[60:61], v[124:125], -v[8:9]
	v_fmac_f64_e32 v[136:137], v[14:15], v[120:121]
	v_add_f64 v[12:13], v[12:13], v[134:135]
	v_add_f64 v[2:3], v[2:3], v[8:9]
	v_mul_f64 v[8:9], v[68:69], v[104:105]
	v_fmac_f64_e32 v[138:139], v[54:55], v[122:123]
	v_add_f64 v[4:5], v[12:13], v[136:137]
	v_fma_f64 v[8:9], v[66:67], v[106:107], -v[8:9]
	v_add_f64 v[4:5], v[4:5], v[138:139]
	v_add_f64 v[2:3], v[2:3], v[8:9]
	v_mul_f64 v[8:9], v[90:91], v[114:115]
	v_fmac_f64_e32 v[142:143], v[62:63], v[124:125]
	v_add_f64 v[4:5], v[4:5], v[140:141]
	s_waitcnt vmcnt(5)
	v_fma_f64 v[8:9], v[88:89], v[126:127], -v[8:9]
	v_add_f64 v[4:5], v[4:5], v[142:143]
	v_add_f64 v[2:3], v[2:3], v[8:9]
	v_mul_f64 v[8:9], v[94:95], v[110:111]
	v_fmac_f64_e32 v[146:147], v[90:91], v[126:127]
	v_add_f64 v[4:5], v[4:5], v[144:145]
	s_waitcnt vmcnt(4)
	v_fma_f64 v[8:9], v[92:93], v[112:113], -v[8:9]
	v_fmac_f64_e32 v[148:149], v[94:95], v[112:113]
	v_add_f64 v[4:5], v[4:5], v[146:147]
	v_add_f64 v[2:3], v[2:3], v[8:9]
	;; [unrolled: 1-line block ×3, first 2 shown]
	s_waitcnt vmcnt(2)
	v_add_f64 v[2:3], v[128:129], -v[2:3]
	s_waitcnt vmcnt(0)
	v_add_f64 v[4:5], v[130:131], -v[4:5]
	buffer_store_dword v3, off, s[0:3], 0 offset:116
	buffer_store_dword v2, off, s[0:3], 0 offset:112
	;; [unrolled: 1-line block ×4, first 2 shown]
	s_and_saveexec_b64 s[6:7], vcc
	s_cbranch_execz .LBB80_103
; %bb.102:
	buffer_load_dword v2, v83, s[0:3], 0 offen
	buffer_load_dword v3, v83, s[0:3], 0 offen offset:4
	buffer_load_dword v4, v83, s[0:3], 0 offen offset:8
	;; [unrolled: 1-line block ×3, first 2 shown]
	s_nop 0
	buffer_store_dword v6, off, s[0:3], 0 offset:96
	buffer_store_dword v6, off, s[0:3], 0 offset:100
	;; [unrolled: 1-line block ×4, first 2 shown]
	s_waitcnt vmcnt(4)
	ds_write_b128 v64, v[2:5]
.LBB80_103:
	s_or_b64 exec, exec, s[6:7]
	s_waitcnt lgkmcnt(0)
	; wave barrier
	s_waitcnt lgkmcnt(0)
	buffer_load_dword v4, off, s[0:3], 0 offset:112
	buffer_load_dword v5, off, s[0:3], 0 offset:116
	;; [unrolled: 1-line block ×44, first 2 shown]
	ds_read_b128 v[8:11], v6 offset:384
	ds_read_b128 v[12:15], v6 offset:400
	ds_read_b128 v[52:55], v6 offset:416
	ds_read_b128 v[56:59], v6 offset:432
	ds_read_b128 v[60:63], v6 offset:448
	ds_read_b128 v[66:69], v6 offset:464
	ds_read_b128 v[88:91], v6 offset:480
	ds_read_b128 v[92:95], v6 offset:496
	ds_read_b128 v[96:99], v6 offset:512
	ds_read_b128 v[100:103], v6 offset:528
	v_cmp_lt_u32_e32 vcc, 5, v87
	s_waitcnt vmcnt(40) lgkmcnt(9)
	v_mul_f64 v[6:7], v[8:9], v[16:17]
	v_mul_f64 v[16:17], v[10:11], v[16:17]
	s_waitcnt vmcnt(38) lgkmcnt(8)
	v_mul_f64 v[140:141], v[12:13], v[70:71]
	v_mul_f64 v[70:71], v[14:15], v[70:71]
	v_fmac_f64_e32 v[6:7], v[10:11], v[4:5]
	v_fma_f64 v[4:5], v[8:9], v[4:5], -v[16:17]
	s_waitcnt vmcnt(36) lgkmcnt(7)
	v_mul_f64 v[142:143], v[52:53], v[2:3]
	v_add_f64 v[4:5], v[4:5], 0
	v_mul_f64 v[2:3], v[54:55], v[2:3]
	v_add_f64 v[6:7], v[6:7], 0
	s_waitcnt vmcnt(30) lgkmcnt(6)
	v_mul_f64 v[144:145], v[56:57], v[108:109]
	s_waitcnt lgkmcnt(5)
	v_mul_f64 v[146:147], v[60:61], v[104:105]
	v_fmac_f64_e32 v[146:147], v[62:63], v[106:107]
	s_waitcnt vmcnt(28) lgkmcnt(3)
	v_mul_f64 v[150:151], v[88:89], v[110:111]
	s_waitcnt vmcnt(26)
	v_fmac_f64_e32 v[150:151], v[90:91], v[112:113]
	s_waitcnt vmcnt(24)
	v_mul_f64 v[148:149], v[66:67], v[114:115]
	s_waitcnt vmcnt(22) lgkmcnt(1)
	v_mul_f64 v[154:155], v[96:97], v[116:117]
	s_waitcnt vmcnt(20)
	v_fmac_f64_e32 v[154:155], v[98:99], v[118:119]
	s_waitcnt vmcnt(18)
	v_mul_f64 v[152:153], v[92:93], v[120:121]
	s_waitcnt vmcnt(16) lgkmcnt(0)
	v_mul_f64 v[156:157], v[100:101], v[122:123]
	s_waitcnt vmcnt(14)
	v_fma_f64 v[8:9], v[12:13], v[124:125], -v[70:71]
	v_add_f64 v[4:5], v[4:5], v[8:9]
	s_waitcnt vmcnt(12)
	v_fma_f64 v[2:3], v[52:53], v[126:127], -v[2:3]
	v_add_f64 v[2:3], v[4:5], v[2:3]
	v_mul_f64 v[4:5], v[58:59], v[108:109]
	s_waitcnt vmcnt(10)
	v_fma_f64 v[4:5], v[56:57], v[128:129], -v[4:5]
	v_add_f64 v[2:3], v[2:3], v[4:5]
	v_mul_f64 v[4:5], v[62:63], v[104:105]
	v_fma_f64 v[4:5], v[60:61], v[106:107], -v[4:5]
	v_add_f64 v[2:3], v[2:3], v[4:5]
	v_mul_f64 v[4:5], v[68:69], v[114:115]
	s_waitcnt vmcnt(8)
	v_fma_f64 v[4:5], v[66:67], v[130:131], -v[4:5]
	v_fmac_f64_e32 v[140:141], v[14:15], v[124:125]
	v_add_f64 v[2:3], v[2:3], v[4:5]
	v_mul_f64 v[4:5], v[90:91], v[110:111]
	v_fmac_f64_e32 v[142:143], v[54:55], v[126:127]
	v_add_f64 v[6:7], v[6:7], v[140:141]
	v_fma_f64 v[4:5], v[88:89], v[112:113], -v[4:5]
	v_fmac_f64_e32 v[144:145], v[58:59], v[128:129]
	v_add_f64 v[6:7], v[6:7], v[142:143]
	v_add_f64 v[2:3], v[2:3], v[4:5]
	v_mul_f64 v[4:5], v[94:95], v[120:121]
	v_add_f64 v[6:7], v[6:7], v[144:145]
	s_waitcnt vmcnt(6)
	v_fma_f64 v[4:5], v[92:93], v[132:133], -v[4:5]
	v_fmac_f64_e32 v[148:149], v[68:69], v[130:131]
	v_add_f64 v[6:7], v[6:7], v[146:147]
	v_add_f64 v[2:3], v[2:3], v[4:5]
	v_mul_f64 v[4:5], v[98:99], v[116:117]
	v_add_f64 v[6:7], v[6:7], v[148:149]
	v_fma_f64 v[4:5], v[96:97], v[118:119], -v[4:5]
	v_fmac_f64_e32 v[152:153], v[94:95], v[132:133]
	v_add_f64 v[6:7], v[6:7], v[150:151]
	v_add_f64 v[2:3], v[2:3], v[4:5]
	v_mul_f64 v[4:5], v[102:103], v[122:123]
	v_add_f64 v[6:7], v[6:7], v[152:153]
	s_waitcnt vmcnt(4)
	v_fma_f64 v[4:5], v[100:101], v[134:135], -v[4:5]
	v_fmac_f64_e32 v[156:157], v[102:103], v[134:135]
	v_add_f64 v[6:7], v[6:7], v[154:155]
	v_add_f64 v[2:3], v[2:3], v[4:5]
	;; [unrolled: 1-line block ×3, first 2 shown]
	s_waitcnt vmcnt(2)
	v_add_f64 v[2:3], v[136:137], -v[2:3]
	s_waitcnt vmcnt(0)
	v_add_f64 v[4:5], v[138:139], -v[6:7]
	buffer_store_dword v3, off, s[0:3], 0 offset:100
	buffer_store_dword v2, off, s[0:3], 0 offset:96
	buffer_store_dword v5, off, s[0:3], 0 offset:108
	buffer_store_dword v4, off, s[0:3], 0 offset:104
	s_and_saveexec_b64 s[6:7], vcc
	s_cbranch_execz .LBB80_105
; %bb.104:
	buffer_load_dword v2, v80, s[0:3], 0 offen
	buffer_load_dword v3, v80, s[0:3], 0 offen offset:4
	buffer_load_dword v4, v80, s[0:3], 0 offen offset:8
	;; [unrolled: 1-line block ×3, first 2 shown]
	v_mov_b32_e32 v6, 0
	buffer_store_dword v6, off, s[0:3], 0 offset:80
	buffer_store_dword v6, off, s[0:3], 0 offset:84
	;; [unrolled: 1-line block ×4, first 2 shown]
	s_waitcnt vmcnt(4)
	ds_write_b128 v64, v[2:5]
.LBB80_105:
	s_or_b64 exec, exec, s[6:7]
	s_waitcnt lgkmcnt(0)
	; wave barrier
	s_waitcnt lgkmcnt(0)
	buffer_load_dword v2, off, s[0:3], 0 offset:96
	buffer_load_dword v3, off, s[0:3], 0 offset:100
	;; [unrolled: 1-line block ×48, first 2 shown]
	v_mov_b32_e32 v12, 0
	ds_read_b128 v[14:17], v12 offset:368
	ds_read_b128 v[52:55], v12 offset:384
	;; [unrolled: 1-line block ×11, first 2 shown]
	v_cmp_lt_u32_e32 vcc, 4, v87
	s_waitcnt vmcnt(44) lgkmcnt(10)
	v_mul_f64 v[148:149], v[14:15], v[6:7]
	v_mul_f64 v[6:7], v[16:17], v[6:7]
	v_fmac_f64_e32 v[148:149], v[16:17], v[2:3]
	v_fma_f64 v[2:3], v[14:15], v[2:3], -v[6:7]
	s_waitcnt vmcnt(40) lgkmcnt(9)
	v_mul_f64 v[150:151], v[52:53], v[8:9]
	v_mul_f64 v[6:7], v[54:55], v[8:9]
	v_fmac_f64_e32 v[150:151], v[54:55], v[4:5]
	v_add_f64 v[2:3], v[2:3], 0
	v_fma_f64 v[4:5], v[52:53], v[4:5], -v[6:7]
	v_add_f64 v[2:3], v[2:3], v[4:5]
	s_waitcnt vmcnt(38) lgkmcnt(8)
	v_mul_f64 v[4:5], v[58:59], v[10:11]
	v_mul_f64 v[152:153], v[56:57], v[10:11]
	v_add_f64 v[148:149], v[148:149], 0
	s_waitcnt vmcnt(32) lgkmcnt(7)
	v_mul_f64 v[154:155], v[60:61], v[114:115]
	v_add_f64 v[148:149], v[148:149], v[150:151]
	s_waitcnt lgkmcnt(6)
	v_mul_f64 v[156:157], v[66:67], v[70:71]
	v_fmac_f64_e32 v[156:157], v[68:69], v[112:113]
	s_waitcnt vmcnt(30) lgkmcnt(4)
	v_mul_f64 v[160:161], v[92:93], v[116:117]
	s_waitcnt vmcnt(26)
	v_mul_f64 v[158:159], v[88:89], v[120:121]
	v_fmac_f64_e32 v[160:161], v[94:95], v[118:119]
	s_waitcnt vmcnt(24) lgkmcnt(2)
	v_mul_f64 v[164:165], v[100:101], v[122:123]
	s_waitcnt vmcnt(22)
	v_fmac_f64_e32 v[164:165], v[102:103], v[124:125]
	s_waitcnt vmcnt(20)
	v_mul_f64 v[162:163], v[96:97], v[126:127]
	s_waitcnt vmcnt(16) lgkmcnt(1)
	v_mul_f64 v[166:167], v[104:105], v[132:133]
	s_waitcnt vmcnt(14)
	v_fma_f64 v[4:5], v[56:57], v[134:135], -v[4:5]
	v_add_f64 v[2:3], v[2:3], v[4:5]
	v_mul_f64 v[4:5], v[62:63], v[114:115]
	s_waitcnt vmcnt(12)
	v_fma_f64 v[4:5], v[60:61], v[136:137], -v[4:5]
	v_add_f64 v[2:3], v[2:3], v[4:5]
	v_mul_f64 v[4:5], v[68:69], v[70:71]
	v_fma_f64 v[4:5], v[66:67], v[112:113], -v[4:5]
	v_add_f64 v[2:3], v[2:3], v[4:5]
	v_mul_f64 v[4:5], v[90:91], v[120:121]
	s_waitcnt vmcnt(10)
	v_fma_f64 v[4:5], v[88:89], v[138:139], -v[4:5]
	v_add_f64 v[2:3], v[2:3], v[4:5]
	v_mul_f64 v[4:5], v[94:95], v[116:117]
	v_fma_f64 v[4:5], v[92:93], v[118:119], -v[4:5]
	v_fmac_f64_e32 v[152:153], v[58:59], v[134:135]
	v_add_f64 v[2:3], v[2:3], v[4:5]
	v_mul_f64 v[4:5], v[98:99], v[126:127]
	v_fmac_f64_e32 v[154:155], v[62:63], v[136:137]
	v_add_f64 v[148:149], v[148:149], v[152:153]
	s_waitcnt vmcnt(8)
	v_fma_f64 v[4:5], v[96:97], v[140:141], -v[4:5]
	v_add_f64 v[148:149], v[148:149], v[154:155]
	v_add_f64 v[2:3], v[2:3], v[4:5]
	v_mul_f64 v[4:5], v[102:103], v[122:123]
	v_fmac_f64_e32 v[158:159], v[90:91], v[138:139]
	v_add_f64 v[148:149], v[148:149], v[156:157]
	v_fma_f64 v[4:5], v[100:101], v[124:125], -v[4:5]
	v_add_f64 v[148:149], v[148:149], v[158:159]
	v_add_f64 v[2:3], v[2:3], v[4:5]
	v_mul_f64 v[4:5], v[106:107], v[132:133]
	v_fmac_f64_e32 v[162:163], v[98:99], v[140:141]
	v_add_f64 v[148:149], v[148:149], v[160:161]
	s_waitcnt vmcnt(6)
	v_fma_f64 v[4:5], v[104:105], v[142:143], -v[4:5]
	v_add_f64 v[148:149], v[148:149], v[162:163]
	v_add_f64 v[2:3], v[2:3], v[4:5]
	s_waitcnt vmcnt(5) lgkmcnt(0)
	v_mul_f64 v[4:5], v[110:111], v[128:129]
	v_fmac_f64_e32 v[166:167], v[106:107], v[142:143]
	v_add_f64 v[148:149], v[148:149], v[164:165]
	v_mul_f64 v[150:151], v[108:109], v[128:129]
	s_waitcnt vmcnt(4)
	v_fma_f64 v[4:5], v[108:109], v[130:131], -v[4:5]
	v_add_f64 v[148:149], v[148:149], v[166:167]
	v_fmac_f64_e32 v[150:151], v[110:111], v[130:131]
	v_add_f64 v[2:3], v[2:3], v[4:5]
	v_add_f64 v[148:149], v[148:149], v[150:151]
	s_waitcnt vmcnt(2)
	v_add_f64 v[2:3], v[144:145], -v[2:3]
	s_waitcnt vmcnt(0)
	v_add_f64 v[4:5], v[146:147], -v[148:149]
	buffer_store_dword v3, off, s[0:3], 0 offset:84
	buffer_store_dword v2, off, s[0:3], 0 offset:80
	;; [unrolled: 1-line block ×4, first 2 shown]
	s_and_saveexec_b64 s[6:7], vcc
	s_cbranch_execz .LBB80_107
; %bb.106:
	buffer_load_dword v2, v82, s[0:3], 0 offen
	buffer_load_dword v3, v82, s[0:3], 0 offen offset:4
	buffer_load_dword v4, v82, s[0:3], 0 offen offset:8
	;; [unrolled: 1-line block ×3, first 2 shown]
	s_nop 0
	buffer_store_dword v12, off, s[0:3], 0 offset:64
	buffer_store_dword v12, off, s[0:3], 0 offset:68
	;; [unrolled: 1-line block ×4, first 2 shown]
	s_waitcnt vmcnt(4)
	ds_write_b128 v64, v[2:5]
.LBB80_107:
	s_or_b64 exec, exec, s[6:7]
	s_waitcnt lgkmcnt(0)
	; wave barrier
	s_waitcnt lgkmcnt(0)
	buffer_load_dword v2, off, s[0:3], 0 offset:80
	buffer_load_dword v3, off, s[0:3], 0 offset:84
	;; [unrolled: 1-line block ×52, first 2 shown]
	ds_read_b128 v[14:17], v12 offset:352
	ds_read_b128 v[52:55], v12 offset:368
	ds_read_b128 v[56:59], v12 offset:384
	ds_read_b128 v[60:63], v12 offset:400
	ds_read_b128 v[66:69], v12 offset:416
	ds_read_b128 v[88:91], v12 offset:432
	ds_read_b128 v[92:95], v12 offset:448
	ds_read_b128 v[96:99], v12 offset:464
	ds_read_b128 v[100:103], v12 offset:480
	ds_read_b128 v[104:107], v12 offset:496
	v_cmp_lt_u32_e32 vcc, 3, v87
	s_waitcnt vmcnt(48) lgkmcnt(9)
	v_mul_f64 v[108:109], v[14:15], v[6:7]
	v_mul_f64 v[6:7], v[16:17], v[6:7]
	v_fmac_f64_e32 v[108:109], v[16:17], v[2:3]
	v_fma_f64 v[2:3], v[14:15], v[2:3], -v[6:7]
	s_waitcnt vmcnt(44) lgkmcnt(8)
	v_mul_f64 v[110:111], v[52:53], v[8:9]
	v_mul_f64 v[6:7], v[54:55], v[8:9]
	v_fmac_f64_e32 v[110:111], v[54:55], v[4:5]
	v_add_f64 v[2:3], v[2:3], 0
	v_fma_f64 v[4:5], v[52:53], v[4:5], -v[6:7]
	v_add_f64 v[2:3], v[2:3], v[4:5]
	s_waitcnt vmcnt(42) lgkmcnt(7)
	v_mul_f64 v[4:5], v[58:59], v[10:11]
	v_mul_f64 v[112:113], v[56:57], v[10:11]
	v_add_f64 v[108:109], v[108:109], 0
	s_waitcnt vmcnt(36) lgkmcnt(6)
	v_mul_f64 v[114:115], v[60:61], v[118:119]
	v_add_f64 v[108:109], v[108:109], v[110:111]
	s_waitcnt lgkmcnt(5)
	v_mul_f64 v[156:157], v[66:67], v[70:71]
	v_fmac_f64_e32 v[156:157], v[68:69], v[116:117]
	s_waitcnt vmcnt(34) lgkmcnt(3)
	v_mul_f64 v[160:161], v[92:93], v[120:121]
	s_waitcnt vmcnt(30)
	v_mul_f64 v[158:159], v[88:89], v[124:125]
	v_fmac_f64_e32 v[160:161], v[94:95], v[122:123]
	s_waitcnt vmcnt(26) lgkmcnt(2)
	v_mul_f64 v[162:163], v[96:97], v[130:131]
	s_waitcnt vmcnt(25) lgkmcnt(1)
	v_mul_f64 v[164:165], v[100:101], v[126:127]
	s_waitcnt vmcnt(23)
	v_fma_f64 v[4:5], v[56:57], v[132:133], -v[4:5]
	v_add_f64 v[2:3], v[2:3], v[4:5]
	v_mul_f64 v[4:5], v[62:63], v[118:119]
	s_waitcnt vmcnt(21)
	v_fma_f64 v[4:5], v[60:61], v[134:135], -v[4:5]
	v_fmac_f64_e32 v[112:113], v[58:59], v[132:133]
	v_add_f64 v[2:3], v[2:3], v[4:5]
	v_mul_f64 v[4:5], v[68:69], v[70:71]
	v_fmac_f64_e32 v[114:115], v[62:63], v[134:135]
	v_add_f64 v[108:109], v[108:109], v[112:113]
	v_fma_f64 v[4:5], v[66:67], v[116:117], -v[4:5]
	v_add_f64 v[108:109], v[108:109], v[114:115]
	v_add_f64 v[2:3], v[2:3], v[4:5]
	v_mul_f64 v[4:5], v[90:91], v[124:125]
	s_waitcnt vmcnt(19)
	v_fmac_f64_e32 v[158:159], v[90:91], v[136:137]
	v_add_f64 v[108:109], v[108:109], v[156:157]
	v_fma_f64 v[4:5], v[88:89], v[136:137], -v[4:5]
	v_add_f64 v[108:109], v[108:109], v[158:159]
	v_add_f64 v[2:3], v[2:3], v[4:5]
	v_mul_f64 v[4:5], v[94:95], v[120:121]
	s_waitcnt vmcnt(17)
	v_fmac_f64_e32 v[162:163], v[98:99], v[138:139]
	v_add_f64 v[108:109], v[108:109], v[160:161]
	v_fma_f64 v[4:5], v[92:93], v[122:123], -v[4:5]
	s_waitcnt vmcnt(16)
	v_fmac_f64_e32 v[164:165], v[102:103], v[128:129]
	v_add_f64 v[108:109], v[108:109], v[162:163]
	v_add_f64 v[2:3], v[2:3], v[4:5]
	v_mul_f64 v[4:5], v[98:99], v[130:131]
	v_add_f64 v[156:157], v[108:109], v[164:165]
	ds_read_b128 v[108:111], v12 offset:512
	ds_read_b128 v[112:115], v12 offset:528
	v_fma_f64 v[4:5], v[96:97], v[138:139], -v[4:5]
	v_add_f64 v[2:3], v[2:3], v[4:5]
	v_mul_f64 v[4:5], v[102:103], v[126:127]
	v_fma_f64 v[4:5], v[100:101], v[128:129], -v[4:5]
	v_add_f64 v[2:3], v[2:3], v[4:5]
	s_waitcnt vmcnt(12) lgkmcnt(2)
	v_mul_f64 v[4:5], v[106:107], v[144:145]
	v_mul_f64 v[158:159], v[104:105], v[144:145]
	s_waitcnt vmcnt(10)
	v_fma_f64 v[4:5], v[104:105], v[146:147], -v[4:5]
	v_fmac_f64_e32 v[158:159], v[106:107], v[146:147]
	v_add_f64 v[2:3], v[2:3], v[4:5]
	s_waitcnt vmcnt(8) lgkmcnt(1)
	v_mul_f64 v[4:5], v[110:111], v[140:141]
	v_add_f64 v[12:13], v[156:157], v[158:159]
	v_mul_f64 v[156:157], v[108:109], v[140:141]
	v_fma_f64 v[4:5], v[108:109], v[142:143], -v[4:5]
	v_fmac_f64_e32 v[156:157], v[110:111], v[142:143]
	v_add_f64 v[2:3], v[2:3], v[4:5]
	s_waitcnt vmcnt(6) lgkmcnt(0)
	v_mul_f64 v[4:5], v[114:115], v[148:149]
	v_add_f64 v[12:13], v[12:13], v[156:157]
	v_mul_f64 v[156:157], v[112:113], v[148:149]
	s_waitcnt vmcnt(4)
	v_fma_f64 v[4:5], v[112:113], v[150:151], -v[4:5]
	v_fmac_f64_e32 v[156:157], v[114:115], v[150:151]
	v_add_f64 v[2:3], v[2:3], v[4:5]
	v_add_f64 v[12:13], v[12:13], v[156:157]
	s_waitcnt vmcnt(2)
	v_add_f64 v[2:3], v[152:153], -v[2:3]
	s_waitcnt vmcnt(0)
	v_add_f64 v[4:5], v[154:155], -v[12:13]
	buffer_store_dword v3, off, s[0:3], 0 offset:68
	buffer_store_dword v2, off, s[0:3], 0 offset:64
	;; [unrolled: 1-line block ×4, first 2 shown]
	s_and_saveexec_b64 s[6:7], vcc
	s_cbranch_execz .LBB80_109
; %bb.108:
	buffer_load_dword v2, v85, s[0:3], 0 offen
	buffer_load_dword v3, v85, s[0:3], 0 offen offset:4
	buffer_load_dword v4, v85, s[0:3], 0 offen offset:8
	;; [unrolled: 1-line block ×3, first 2 shown]
	v_mov_b32_e32 v6, 0
	buffer_store_dword v6, off, s[0:3], 0 offset:48
	buffer_store_dword v6, off, s[0:3], 0 offset:52
	;; [unrolled: 1-line block ×4, first 2 shown]
	s_waitcnt vmcnt(4)
	ds_write_b128 v64, v[2:5]
.LBB80_109:
	s_or_b64 exec, exec, s[6:7]
	s_waitcnt lgkmcnt(0)
	; wave barrier
	s_waitcnt lgkmcnt(0)
	buffer_load_dword v2, off, s[0:3], 0 offset:64
	buffer_load_dword v3, off, s[0:3], 0 offset:68
	;; [unrolled: 1-line block ×56, first 2 shown]
	v_mov_b32_e32 v60, 0
	ds_read_b128 v[52:55], v60 offset:336
	ds_read_b128 v[56:59], v60 offset:352
	;; [unrolled: 1-line block ×9, first 2 shown]
	v_cmp_lt_u32_e32 vcc, 2, v87
	s_waitcnt vmcnt(52) lgkmcnt(8)
	v_mul_f64 v[108:109], v[52:53], v[6:7]
	v_fmac_f64_e32 v[108:109], v[54:55], v[2:3]
	v_mul_f64 v[6:7], v[54:55], v[6:7]
	v_add_f64 v[108:109], v[108:109], 0
	s_waitcnt vmcnt(48) lgkmcnt(7)
	v_mul_f64 v[110:111], v[56:57], v[8:9]
	v_fmac_f64_e32 v[110:111], v[58:59], v[4:5]
	s_waitcnt vmcnt(46) lgkmcnt(6)
	v_mul_f64 v[112:113], v[66:67], v[10:11]
	v_fma_f64 v[2:3], v[52:53], v[2:3], -v[6:7]
	v_mul_f64 v[6:7], v[58:59], v[8:9]
	v_add_f64 v[108:109], v[108:109], v[110:111]
	v_add_f64 v[2:3], v[2:3], 0
	v_fma_f64 v[4:5], v[56:57], v[4:5], -v[6:7]
	s_waitcnt vmcnt(40) lgkmcnt(5)
	v_mul_f64 v[114:115], v[88:89], v[16:17]
	s_waitcnt lgkmcnt(4)
	v_mul_f64 v[116:117], v[92:93], v[12:13]
	v_add_f64 v[2:3], v[2:3], v[4:5]
	v_mul_f64 v[4:5], v[68:69], v[10:11]
	s_waitcnt vmcnt(36) lgkmcnt(3)
	v_mul_f64 v[118:119], v[96:97], v[128:129]
	v_fmac_f64_e32 v[116:117], v[94:95], v[14:15]
	s_waitcnt vmcnt(35) lgkmcnt(2)
	v_mul_f64 v[120:121], v[100:101], v[62:63]
	s_waitcnt vmcnt(33)
	v_fmac_f64_e32 v[112:113], v[68:69], v[130:131]
	v_add_f64 v[108:109], v[108:109], v[112:113]
	s_waitcnt vmcnt(31)
	v_fmac_f64_e32 v[114:115], v[90:91], v[132:133]
	v_add_f64 v[108:109], v[108:109], v[114:115]
	v_fma_f64 v[4:5], v[66:67], v[130:131], -v[4:5]
	s_waitcnt vmcnt(29)
	v_fmac_f64_e32 v[118:119], v[98:99], v[134:135]
	v_add_f64 v[108:109], v[108:109], v[116:117]
	v_add_f64 v[2:3], v[2:3], v[4:5]
	v_mul_f64 v[4:5], v[90:91], v[16:17]
	s_waitcnt vmcnt(28)
	v_fmac_f64_e32 v[120:121], v[102:103], v[70:71]
	v_add_f64 v[108:109], v[108:109], v[118:119]
	v_fma_f64 v[4:5], v[88:89], v[132:133], -v[4:5]
	v_add_f64 v[112:113], v[108:109], v[120:121]
	ds_read_b128 v[108:111], v60 offset:464
	s_waitcnt vmcnt(24) lgkmcnt(2)
	v_mul_f64 v[114:115], v[104:105], v[140:141]
	v_add_f64 v[2:3], v[2:3], v[4:5]
	v_mul_f64 v[4:5], v[94:95], v[12:13]
	s_waitcnt vmcnt(22)
	v_fmac_f64_e32 v[114:115], v[106:107], v[142:143]
	v_fma_f64 v[4:5], v[92:93], v[14:15], -v[4:5]
	v_add_f64 v[116:117], v[112:113], v[114:115]
	ds_read_b128 v[112:115], v60 offset:480
	v_add_f64 v[2:3], v[2:3], v[4:5]
	v_mul_f64 v[4:5], v[98:99], v[128:129]
	v_fma_f64 v[4:5], v[96:97], v[134:135], -v[4:5]
	v_add_f64 v[2:3], v[2:3], v[4:5]
	v_mul_f64 v[4:5], v[102:103], v[62:63]
	s_waitcnt vmcnt(20) lgkmcnt(1)
	v_mul_f64 v[118:119], v[108:109], v[136:137]
	v_fma_f64 v[4:5], v[100:101], v[70:71], -v[4:5]
	v_fmac_f64_e32 v[118:119], v[110:111], v[138:139]
	v_add_f64 v[2:3], v[2:3], v[4:5]
	v_mul_f64 v[4:5], v[106:107], v[140:141]
	v_add_f64 v[120:121], v[116:117], v[118:119]
	ds_read_b128 v[116:119], v60 offset:496
	s_waitcnt vmcnt(16) lgkmcnt(1)
	v_mul_f64 v[122:123], v[112:113], v[148:149]
	v_fma_f64 v[4:5], v[104:105], v[142:143], -v[4:5]
	s_waitcnt vmcnt(14)
	v_fmac_f64_e32 v[122:123], v[114:115], v[150:151]
	v_add_f64 v[2:3], v[2:3], v[4:5]
	v_mul_f64 v[4:5], v[110:111], v[136:137]
	v_add_f64 v[164:165], v[120:121], v[122:123]
	ds_read_b128 v[120:123], v60 offset:512
	v_fma_f64 v[4:5], v[108:109], v[138:139], -v[4:5]
	v_add_f64 v[2:3], v[2:3], v[4:5]
	v_mul_f64 v[4:5], v[114:115], v[148:149]
	v_fma_f64 v[4:5], v[112:113], v[150:151], -v[4:5]
	v_add_f64 v[2:3], v[2:3], v[4:5]
	s_waitcnt vmcnt(12) lgkmcnt(1)
	v_mul_f64 v[4:5], v[118:119], v[144:145]
	v_mul_f64 v[166:167], v[116:117], v[144:145]
	v_fma_f64 v[4:5], v[116:117], v[146:147], -v[4:5]
	v_fmac_f64_e32 v[166:167], v[118:119], v[146:147]
	v_add_f64 v[2:3], v[2:3], v[4:5]
	s_waitcnt vmcnt(8) lgkmcnt(0)
	v_mul_f64 v[4:5], v[122:123], v[156:157]
	v_add_f64 v[164:165], v[164:165], v[166:167]
	v_mul_f64 v[166:167], v[120:121], v[156:157]
	s_waitcnt vmcnt(6)
	v_fma_f64 v[4:5], v[120:121], v[158:159], -v[4:5]
	v_fmac_f64_e32 v[166:167], v[122:123], v[158:159]
	v_add_f64 v[2:3], v[2:3], v[4:5]
	s_waitcnt vmcnt(5)
	v_mul_f64 v[4:5], v[126:127], v[152:153]
	v_add_f64 v[164:165], v[164:165], v[166:167]
	v_mul_f64 v[166:167], v[124:125], v[152:153]
	s_waitcnt vmcnt(4)
	v_fma_f64 v[4:5], v[124:125], v[154:155], -v[4:5]
	v_fmac_f64_e32 v[166:167], v[126:127], v[154:155]
	v_add_f64 v[2:3], v[2:3], v[4:5]
	v_add_f64 v[164:165], v[164:165], v[166:167]
	s_waitcnt vmcnt(2)
	v_add_f64 v[2:3], v[160:161], -v[2:3]
	s_waitcnt vmcnt(0)
	v_add_f64 v[4:5], v[162:163], -v[164:165]
	buffer_store_dword v3, off, s[0:3], 0 offset:52
	buffer_store_dword v2, off, s[0:3], 0 offset:48
	buffer_store_dword v5, off, s[0:3], 0 offset:60
	buffer_store_dword v4, off, s[0:3], 0 offset:56
	s_and_saveexec_b64 s[6:7], vcc
	s_cbranch_execz .LBB80_111
; %bb.110:
	buffer_load_dword v2, v86, s[0:3], 0 offen
	buffer_load_dword v3, v86, s[0:3], 0 offen offset:4
	buffer_load_dword v4, v86, s[0:3], 0 offen offset:8
	;; [unrolled: 1-line block ×3, first 2 shown]
	s_nop 0
	buffer_store_dword v60, off, s[0:3], 0 offset:32
	buffer_store_dword v60, off, s[0:3], 0 offset:36
	;; [unrolled: 1-line block ×4, first 2 shown]
	s_waitcnt vmcnt(4)
	ds_write_b128 v64, v[2:5]
.LBB80_111:
	s_or_b64 exec, exec, s[6:7]
	s_waitcnt lgkmcnt(0)
	; wave barrier
	s_waitcnt lgkmcnt(0)
	buffer_load_dword v2, off, s[0:3], 0 offset:48
	buffer_load_dword v3, off, s[0:3], 0 offset:52
	;; [unrolled: 1-line block ×60, first 2 shown]
	ds_read_b128 v[66:69], v60 offset:320
	ds_read_b128 v[88:91], v60 offset:336
	;; [unrolled: 1-line block ×8, first 2 shown]
	v_cmp_lt_u32_e32 vcc, 1, v87
	s_waitcnt vmcnt(56) lgkmcnt(7)
	v_mul_f64 v[62:63], v[66:67], v[6:7]
	v_fmac_f64_e32 v[62:63], v[68:69], v[2:3]
	v_add_f64 v[62:63], v[62:63], 0
	v_mul_f64 v[6:7], v[68:69], v[6:7]
	s_waitcnt vmcnt(52) lgkmcnt(6)
	v_mul_f64 v[116:117], v[88:89], v[8:9]
	v_fmac_f64_e32 v[116:117], v[90:91], v[4:5]
	s_waitcnt vmcnt(50) lgkmcnt(5)
	v_mul_f64 v[118:119], v[92:93], v[10:11]
	v_add_f64 v[62:63], v[62:63], v[116:117]
	s_waitcnt vmcnt(48) lgkmcnt(3)
	v_mul_f64 v[122:123], v[100:101], v[12:13]
	v_fma_f64 v[2:3], v[66:67], v[2:3], -v[6:7]
	s_waitcnt vmcnt(46)
	v_fmac_f64_e32 v[122:123], v[102:103], v[14:15]
	v_mul_f64 v[6:7], v[90:91], v[8:9]
	s_waitcnt vmcnt(44)
	v_mul_f64 v[120:121], v[96:97], v[16:17]
	v_add_f64 v[2:3], v[2:3], 0
	s_waitcnt vmcnt(42) lgkmcnt(2)
	v_mul_f64 v[124:125], v[104:105], v[52:53]
	v_fma_f64 v[4:5], v[88:89], v[4:5], -v[6:7]
	s_waitcnt vmcnt(40)
	v_fmac_f64_e32 v[118:119], v[94:95], v[70:71]
	v_add_f64 v[62:63], v[62:63], v[118:119]
	s_waitcnt vmcnt(38)
	v_fmac_f64_e32 v[120:121], v[98:99], v[136:137]
	v_add_f64 v[62:63], v[62:63], v[120:121]
	;; [unrolled: 3-line block ×3, first 2 shown]
	v_add_f64 v[62:63], v[62:63], v[124:125]
	v_add_f64 v[2:3], v[2:3], v[4:5]
	s_waitcnt vmcnt(32) lgkmcnt(1)
	v_mul_f64 v[116:117], v[108:109], v[54:55]
	v_fmac_f64_e32 v[116:117], v[110:111], v[56:57]
	v_mul_f64 v[4:5], v[94:95], v[10:11]
	v_add_f64 v[62:63], v[62:63], v[116:117]
	ds_read_b128 v[116:119], v60 offset:448
	v_fma_f64 v[4:5], v[92:93], v[70:71], -v[4:5]
	v_add_f64 v[2:3], v[2:3], v[4:5]
	v_mul_f64 v[4:5], v[98:99], v[16:17]
	v_fma_f64 v[4:5], v[96:97], v[136:137], -v[4:5]
	s_waitcnt vmcnt(29) lgkmcnt(1)
	v_mul_f64 v[120:121], v[112:113], v[140:141]
	v_add_f64 v[2:3], v[2:3], v[4:5]
	v_mul_f64 v[4:5], v[102:103], v[12:13]
	s_waitcnt vmcnt(27)
	v_fmac_f64_e32 v[120:121], v[114:115], v[142:143]
	v_fma_f64 v[4:5], v[100:101], v[14:15], -v[4:5]
	v_add_f64 v[62:63], v[62:63], v[120:121]
	ds_read_b128 v[120:123], v60 offset:464
	s_waitcnt vmcnt(24) lgkmcnt(1)
	v_mul_f64 v[124:125], v[116:117], v[138:139]
	v_add_f64 v[2:3], v[2:3], v[4:5]
	v_mul_f64 v[4:5], v[106:107], v[52:53]
	v_fmac_f64_e32 v[124:125], v[118:119], v[144:145]
	v_fma_f64 v[4:5], v[104:105], v[58:59], -v[4:5]
	v_add_f64 v[62:63], v[62:63], v[124:125]
	ds_read_b128 v[124:127], v60 offset:480
	v_add_f64 v[2:3], v[2:3], v[4:5]
	v_mul_f64 v[4:5], v[110:111], v[54:55]
	v_fma_f64 v[4:5], v[108:109], v[56:57], -v[4:5]
	v_add_f64 v[2:3], v[2:3], v[4:5]
	v_mul_f64 v[4:5], v[114:115], v[140:141]
	s_waitcnt vmcnt(21) lgkmcnt(1)
	v_mul_f64 v[128:129], v[120:121], v[148:149]
	v_fma_f64 v[4:5], v[112:113], v[142:143], -v[4:5]
	s_waitcnt vmcnt(19)
	v_fmac_f64_e32 v[128:129], v[122:123], v[150:151]
	v_add_f64 v[2:3], v[2:3], v[4:5]
	v_mul_f64 v[4:5], v[118:119], v[138:139]
	v_add_f64 v[62:63], v[62:63], v[128:129]
	ds_read_b128 v[128:131], v60 offset:496
	s_waitcnt vmcnt(16) lgkmcnt(1)
	v_mul_f64 v[132:133], v[124:125], v[146:147]
	v_fma_f64 v[4:5], v[116:117], v[144:145], -v[4:5]
	v_fmac_f64_e32 v[132:133], v[126:127], v[152:153]
	v_add_f64 v[2:3], v[2:3], v[4:5]
	v_mul_f64 v[4:5], v[122:123], v[148:149]
	v_add_f64 v[170:171], v[62:63], v[132:133]
	ds_read_b128 v[132:135], v60 offset:512
	v_fma_f64 v[4:5], v[120:121], v[150:151], -v[4:5]
	v_add_f64 v[2:3], v[2:3], v[4:5]
	v_mul_f64 v[4:5], v[126:127], v[146:147]
	ds_read_b128 v[60:63], v60 offset:528
	v_fma_f64 v[4:5], v[124:125], v[152:153], -v[4:5]
	v_add_f64 v[2:3], v[2:3], v[4:5]
	s_waitcnt vmcnt(13) lgkmcnt(2)
	v_mul_f64 v[4:5], v[130:131], v[156:157]
	v_mul_f64 v[172:173], v[128:129], v[156:157]
	s_waitcnt vmcnt(11)
	v_fma_f64 v[4:5], v[128:129], v[158:159], -v[4:5]
	v_fmac_f64_e32 v[172:173], v[130:131], v[158:159]
	v_add_f64 v[2:3], v[2:3], v[4:5]
	s_waitcnt vmcnt(8) lgkmcnt(1)
	v_mul_f64 v[4:5], v[134:135], v[154:155]
	v_add_f64 v[170:171], v[170:171], v[172:173]
	v_mul_f64 v[172:173], v[132:133], v[154:155]
	v_fma_f64 v[4:5], v[132:133], v[160:161], -v[4:5]
	v_fmac_f64_e32 v[172:173], v[134:135], v[160:161]
	v_add_f64 v[2:3], v[2:3], v[4:5]
	s_waitcnt vmcnt(6) lgkmcnt(0)
	v_mul_f64 v[4:5], v[62:63], v[162:163]
	v_add_f64 v[170:171], v[170:171], v[172:173]
	v_mul_f64 v[172:173], v[60:61], v[162:163]
	s_waitcnt vmcnt(4)
	v_fma_f64 v[4:5], v[60:61], v[164:165], -v[4:5]
	v_fmac_f64_e32 v[172:173], v[62:63], v[164:165]
	v_add_f64 v[2:3], v[2:3], v[4:5]
	v_add_f64 v[170:171], v[170:171], v[172:173]
	s_waitcnt vmcnt(2)
	v_add_f64 v[2:3], v[166:167], -v[2:3]
	s_waitcnt vmcnt(0)
	v_add_f64 v[4:5], v[168:169], -v[170:171]
	buffer_store_dword v3, off, s[0:3], 0 offset:36
	buffer_store_dword v2, off, s[0:3], 0 offset:32
	;; [unrolled: 1-line block ×4, first 2 shown]
	s_and_saveexec_b64 s[6:7], vcc
	s_cbranch_execz .LBB80_113
; %bb.112:
	buffer_load_dword v2, v84, s[0:3], 0 offen
	buffer_load_dword v3, v84, s[0:3], 0 offen offset:4
	buffer_load_dword v4, v84, s[0:3], 0 offen offset:8
	;; [unrolled: 1-line block ×3, first 2 shown]
	v_mov_b32_e32 v6, 0
	buffer_store_dword v6, off, s[0:3], 0 offset:16
	buffer_store_dword v6, off, s[0:3], 0 offset:20
	;; [unrolled: 1-line block ×4, first 2 shown]
	s_waitcnt vmcnt(4)
	ds_write_b128 v64, v[2:5]
.LBB80_113:
	s_or_b64 exec, exec, s[6:7]
	s_waitcnt lgkmcnt(0)
	; wave barrier
	s_waitcnt lgkmcnt(0)
	buffer_load_dword v2, off, s[0:3], 0 offset:32
	buffer_load_dword v3, off, s[0:3], 0 offset:36
	;; [unrolled: 1-line block ×64, first 2 shown]
	v_mov_b32_e32 v88, 0
	ds_read_b128 v[66:69], v88 offset:304
	ds_read_b128 v[90:93], v88 offset:320
	;; [unrolled: 1-line block ×7, first 2 shown]
	v_cmp_ne_u32_e32 vcc, 0, v87
	s_waitcnt vmcnt(60) lgkmcnt(6)
	v_mul_f64 v[110:111], v[66:67], v[6:7]
	v_fmac_f64_e32 v[110:111], v[68:69], v[2:3]
	v_add_f64 v[110:111], v[110:111], 0
	v_mul_f64 v[6:7], v[68:69], v[6:7]
	s_waitcnt vmcnt(56) lgkmcnt(5)
	v_mul_f64 v[112:113], v[90:91], v[8:9]
	v_fmac_f64_e32 v[112:113], v[92:93], v[4:5]
	s_waitcnt vmcnt(54) lgkmcnt(4)
	v_mul_f64 v[114:115], v[94:95], v[10:11]
	v_add_f64 v[110:111], v[110:111], v[112:113]
	v_fma_f64 v[2:3], v[66:67], v[2:3], -v[6:7]
	v_mul_f64 v[6:7], v[92:93], v[8:9]
	s_waitcnt vmcnt(50) lgkmcnt(3)
	v_mul_f64 v[116:117], v[98:99], v[16:17]
	s_waitcnt vmcnt(49) lgkmcnt(2)
	v_mul_f64 v[118:119], v[102:103], v[12:13]
	v_add_f64 v[2:3], v[2:3], 0
	s_waitcnt vmcnt(47)
	v_fmac_f64_e32 v[114:115], v[96:97], v[54:55]
	v_add_f64 v[110:111], v[110:111], v[114:115]
	s_waitcnt vmcnt(45)
	v_fmac_f64_e32 v[116:117], v[100:101], v[52:53]
	;; [unrolled: 3-line block ×3, first 2 shown]
	v_add_f64 v[114:115], v[110:111], v[118:119]
	ds_read_b128 v[110:113], v88 offset:400
	s_waitcnt vmcnt(40) lgkmcnt(2)
	v_mul_f64 v[116:117], v[106:107], v[60:61]
	v_fma_f64 v[4:5], v[90:91], v[4:5], -v[6:7]
	s_waitcnt vmcnt(38)
	v_fmac_f64_e32 v[116:117], v[108:109], v[62:63]
	v_add_f64 v[118:119], v[114:115], v[116:117]
	ds_read_b128 v[114:117], v88 offset:416
	s_waitcnt vmcnt(36) lgkmcnt(1)
	v_mul_f64 v[120:121], v[110:111], v[56:57]
	v_fmac_f64_e32 v[120:121], v[112:113], v[58:59]
	v_add_f64 v[2:3], v[2:3], v[4:5]
	v_mul_f64 v[4:5], v[96:97], v[10:11]
	v_add_f64 v[122:123], v[118:119], v[120:121]
	ds_read_b128 v[118:121], v88 offset:432
	s_waitcnt vmcnt(32) lgkmcnt(1)
	v_mul_f64 v[124:125], v[114:115], v[148:149]
	v_fma_f64 v[4:5], v[94:95], v[54:55], -v[4:5]
	s_waitcnt vmcnt(30)
	v_fmac_f64_e32 v[124:125], v[116:117], v[150:151]
	v_add_f64 v[2:3], v[2:3], v[4:5]
	v_mul_f64 v[4:5], v[100:101], v[16:17]
	v_add_f64 v[126:127], v[122:123], v[124:125]
	ds_read_b128 v[122:125], v88 offset:448
	v_fma_f64 v[4:5], v[98:99], v[52:53], -v[4:5]
	v_add_f64 v[2:3], v[2:3], v[4:5]
	v_mul_f64 v[4:5], v[104:105], v[12:13]
	v_fma_f64 v[4:5], v[102:103], v[14:15], -v[4:5]
	s_waitcnt vmcnt(28) lgkmcnt(1)
	v_mul_f64 v[128:129], v[118:119], v[70:71]
	v_add_f64 v[2:3], v[2:3], v[4:5]
	v_mul_f64 v[4:5], v[108:109], v[60:61]
	v_fmac_f64_e32 v[128:129], v[120:121], v[146:147]
	v_fma_f64 v[4:5], v[106:107], v[62:63], -v[4:5]
	v_add_f64 v[130:131], v[126:127], v[128:129]
	ds_read_b128 v[126:129], v88 offset:464
	s_waitcnt vmcnt(24) lgkmcnt(1)
	v_mul_f64 v[132:133], v[122:123], v[156:157]
	v_add_f64 v[2:3], v[2:3], v[4:5]
	v_mul_f64 v[4:5], v[112:113], v[56:57]
	s_waitcnt vmcnt(22)
	v_fmac_f64_e32 v[132:133], v[124:125], v[158:159]
	v_fma_f64 v[4:5], v[110:111], v[58:59], -v[4:5]
	v_add_f64 v[134:135], v[130:131], v[132:133]
	ds_read_b128 v[130:133], v88 offset:480
	v_add_f64 v[2:3], v[2:3], v[4:5]
	v_mul_f64 v[4:5], v[116:117], v[148:149]
	v_fma_f64 v[4:5], v[114:115], v[150:151], -v[4:5]
	v_add_f64 v[2:3], v[2:3], v[4:5]
	v_mul_f64 v[4:5], v[120:121], v[70:71]
	s_waitcnt vmcnt(20) lgkmcnt(1)
	v_mul_f64 v[136:137], v[126:127], v[152:153]
	v_fma_f64 v[4:5], v[118:119], v[146:147], -v[4:5]
	v_fmac_f64_e32 v[136:137], v[128:129], v[154:155]
	v_add_f64 v[2:3], v[2:3], v[4:5]
	v_mul_f64 v[4:5], v[124:125], v[156:157]
	v_add_f64 v[138:139], v[134:135], v[136:137]
	ds_read_b128 v[134:137], v88 offset:496
	s_waitcnt vmcnt(16) lgkmcnt(1)
	v_mul_f64 v[140:141], v[130:131], v[164:165]
	v_fma_f64 v[4:5], v[122:123], v[158:159], -v[4:5]
	s_waitcnt vmcnt(14)
	v_fmac_f64_e32 v[140:141], v[132:133], v[166:167]
	v_add_f64 v[2:3], v[2:3], v[4:5]
	v_mul_f64 v[4:5], v[128:129], v[152:153]
	v_add_f64 v[180:181], v[138:139], v[140:141]
	ds_read_b128 v[138:141], v88 offset:512
	v_fma_f64 v[4:5], v[126:127], v[154:155], -v[4:5]
	v_add_f64 v[2:3], v[2:3], v[4:5]
	v_mul_f64 v[4:5], v[132:133], v[164:165]
	v_fma_f64 v[4:5], v[130:131], v[166:167], -v[4:5]
	v_add_f64 v[2:3], v[2:3], v[4:5]
	s_waitcnt vmcnt(12) lgkmcnt(1)
	v_mul_f64 v[4:5], v[136:137], v[160:161]
	v_mul_f64 v[182:183], v[134:135], v[160:161]
	v_fma_f64 v[4:5], v[134:135], v[162:163], -v[4:5]
	v_fmac_f64_e32 v[182:183], v[136:137], v[162:163]
	v_add_f64 v[2:3], v[2:3], v[4:5]
	s_waitcnt vmcnt(8) lgkmcnt(0)
	v_mul_f64 v[4:5], v[140:141], v[172:173]
	v_add_f64 v[180:181], v[180:181], v[182:183]
	v_mul_f64 v[182:183], v[138:139], v[172:173]
	s_waitcnt vmcnt(6)
	v_fma_f64 v[4:5], v[138:139], v[174:175], -v[4:5]
	v_fmac_f64_e32 v[182:183], v[140:141], v[174:175]
	v_add_f64 v[2:3], v[2:3], v[4:5]
	s_waitcnt vmcnt(5)
	v_mul_f64 v[4:5], v[144:145], v[168:169]
	v_add_f64 v[180:181], v[180:181], v[182:183]
	v_mul_f64 v[182:183], v[142:143], v[168:169]
	s_waitcnt vmcnt(4)
	v_fma_f64 v[4:5], v[142:143], v[170:171], -v[4:5]
	v_fmac_f64_e32 v[182:183], v[144:145], v[170:171]
	v_add_f64 v[2:3], v[2:3], v[4:5]
	v_add_f64 v[180:181], v[180:181], v[182:183]
	s_waitcnt vmcnt(2)
	v_add_f64 v[2:3], v[176:177], -v[2:3]
	s_waitcnt vmcnt(0)
	v_add_f64 v[4:5], v[178:179], -v[180:181]
	buffer_store_dword v3, off, s[0:3], 0 offset:20
	buffer_store_dword v2, off, s[0:3], 0 offset:16
	;; [unrolled: 1-line block ×4, first 2 shown]
	s_and_saveexec_b64 s[6:7], vcc
	s_cbranch_execz .LBB80_115
; %bb.114:
	buffer_load_dword v2, off, s[0:3], 0
	buffer_load_dword v3, off, s[0:3], 0 offset:4
	buffer_load_dword v4, off, s[0:3], 0 offset:8
	;; [unrolled: 1-line block ×3, first 2 shown]
	s_nop 0
	buffer_store_dword v88, off, s[0:3], 0
	buffer_store_dword v88, off, s[0:3], 0 offset:4
	buffer_store_dword v88, off, s[0:3], 0 offset:8
	;; [unrolled: 1-line block ×3, first 2 shown]
	s_waitcnt vmcnt(4)
	ds_write_b128 v64, v[2:5]
.LBB80_115:
	s_or_b64 exec, exec, s[6:7]
	s_waitcnt lgkmcnt(0)
	; wave barrier
	s_waitcnt lgkmcnt(0)
	buffer_load_dword v2, off, s[0:3], 0 offset:16
	buffer_load_dword v3, off, s[0:3], 0 offset:20
	;; [unrolled: 1-line block ×64, first 2 shown]
	ds_read_b128 v[90:93], v88 offset:288
	ds_read_b128 v[94:97], v88 offset:304
	;; [unrolled: 1-line block ×4, first 2 shown]
	buffer_load_dword v182, off, s[0:3], 0
	buffer_load_dword v183, off, s[0:3], 0 offset:4
	buffer_load_dword v184, off, s[0:3], 0 offset:8
	;; [unrolled: 1-line block ×3, first 2 shown]
	s_and_b64 vcc, exec, s[18:19]
	ds_read_b128 v[150:153], v88 offset:528
	s_waitcnt vmcnt(62) lgkmcnt(4)
	v_mul_f64 v[106:107], v[90:91], v[4:5]
	v_fmac_f64_e32 v[106:107], v[92:93], v[2:3]
	s_waitcnt lgkmcnt(3)
	v_mul_f64 v[108:109], v[94:95], v[6:7]
	v_add_f64 v[106:107], v[106:107], 0
	s_waitcnt vmcnt(60) lgkmcnt(2)
	v_mul_f64 v[110:111], v[98:99], v[8:9]
	v_mul_f64 v[4:5], v[92:93], v[4:5]
	v_fma_f64 v[2:3], v[90:91], v[2:3], -v[4:5]
	v_mul_f64 v[4:5], v[96:97], v[6:7]
	s_waitcnt vmcnt(56) lgkmcnt(1)
	v_mul_f64 v[112:113], v[102:103], v[14:15]
	v_add_f64 v[2:3], v[2:3], 0
	s_waitcnt vmcnt(54)
	v_fmac_f64_e32 v[108:109], v[96:97], v[54:55]
	v_add_f64 v[114:115], v[106:107], v[108:109]
	ds_read_b128 v[106:109], v88 offset:352
	s_waitcnt vmcnt(52)
	v_fmac_f64_e32 v[110:111], v[100:101], v[52:53]
	v_add_f64 v[110:111], v[114:115], v[110:111]
	s_waitcnt vmcnt(50)
	v_fmac_f64_e32 v[112:113], v[104:105], v[16:17]
	v_add_f64 v[114:115], v[110:111], v[112:113]
	ds_read_b128 v[110:113], v88 offset:368
	s_waitcnt vmcnt(48) lgkmcnt(1)
	v_mul_f64 v[116:117], v[106:107], v[10:11]
	v_fmac_f64_e32 v[116:117], v[108:109], v[12:13]
	v_add_f64 v[118:119], v[114:115], v[116:117]
	ds_read_b128 v[114:117], v88 offset:384
	s_waitcnt vmcnt(44) lgkmcnt(1)
	v_mul_f64 v[120:121], v[110:111], v[60:61]
	s_waitcnt vmcnt(42)
	v_fmac_f64_e32 v[120:121], v[112:113], v[62:63]
	v_add_f64 v[122:123], v[118:119], v[120:121]
	ds_read_b128 v[118:121], v88 offset:400
	s_waitcnt vmcnt(40) lgkmcnt(1)
	v_mul_f64 v[124:125], v[114:115], v[56:57]
	v_fmac_f64_e32 v[124:125], v[116:117], v[58:59]
	v_add_f64 v[126:127], v[122:123], v[124:125]
	ds_read_b128 v[122:125], v88 offset:416
	v_fma_f64 v[4:5], v[94:95], v[54:55], -v[4:5]
	v_add_f64 v[2:3], v[2:3], v[4:5]
	v_mul_f64 v[4:5], v[100:101], v[8:9]
	s_waitcnt vmcnt(36) lgkmcnt(1)
	v_mul_f64 v[128:129], v[118:119], v[68:69]
	v_fma_f64 v[4:5], v[98:99], v[52:53], -v[4:5]
	s_waitcnt vmcnt(34)
	v_fmac_f64_e32 v[128:129], v[120:121], v[70:71]
	v_add_f64 v[2:3], v[2:3], v[4:5]
	v_mul_f64 v[4:5], v[104:105], v[14:15]
	v_add_f64 v[130:131], v[126:127], v[128:129]
	ds_read_b128 v[126:129], v88 offset:432
	s_waitcnt vmcnt(32) lgkmcnt(1)
	v_mul_f64 v[132:133], v[122:123], v[64:65]
	v_fma_f64 v[4:5], v[102:103], v[16:17], -v[4:5]
	v_fmac_f64_e32 v[132:133], v[124:125], v[66:67]
	v_add_f64 v[2:3], v[2:3], v[4:5]
	v_mul_f64 v[4:5], v[108:109], v[10:11]
	v_add_f64 v[134:135], v[130:131], v[132:133]
	ds_read_b128 v[130:133], v88 offset:448
	v_fma_f64 v[4:5], v[106:107], v[12:13], -v[4:5]
	v_add_f64 v[2:3], v[2:3], v[4:5]
	v_mul_f64 v[4:5], v[112:113], v[60:61]
	v_fma_f64 v[4:5], v[110:111], v[62:63], -v[4:5]
	s_waitcnt vmcnt(28) lgkmcnt(1)
	v_mul_f64 v[136:137], v[126:127], v[158:159]
	v_add_f64 v[2:3], v[2:3], v[4:5]
	v_mul_f64 v[4:5], v[116:117], v[56:57]
	s_waitcnt vmcnt(26)
	v_fmac_f64_e32 v[136:137], v[128:129], v[160:161]
	v_fma_f64 v[4:5], v[114:115], v[58:59], -v[4:5]
	v_add_f64 v[138:139], v[134:135], v[136:137]
	ds_read_b128 v[134:137], v88 offset:464
	s_waitcnt vmcnt(24) lgkmcnt(1)
	v_mul_f64 v[140:141], v[130:131], v[154:155]
	v_add_f64 v[2:3], v[2:3], v[4:5]
	v_mul_f64 v[4:5], v[120:121], v[68:69]
	v_fmac_f64_e32 v[140:141], v[132:133], v[156:157]
	v_fma_f64 v[4:5], v[118:119], v[70:71], -v[4:5]
	v_add_f64 v[142:143], v[138:139], v[140:141]
	ds_read_b128 v[138:141], v88 offset:480
	v_add_f64 v[2:3], v[2:3], v[4:5]
	v_mul_f64 v[4:5], v[124:125], v[64:65]
	v_fma_f64 v[4:5], v[122:123], v[66:67], -v[4:5]
	v_add_f64 v[2:3], v[2:3], v[4:5]
	v_mul_f64 v[4:5], v[128:129], v[158:159]
	s_waitcnt vmcnt(20) lgkmcnt(1)
	v_mul_f64 v[144:145], v[134:135], v[166:167]
	v_fma_f64 v[4:5], v[126:127], v[160:161], -v[4:5]
	s_waitcnt vmcnt(18)
	v_fmac_f64_e32 v[144:145], v[136:137], v[168:169]
	v_add_f64 v[2:3], v[2:3], v[4:5]
	v_mul_f64 v[4:5], v[132:133], v[154:155]
	v_add_f64 v[146:147], v[142:143], v[144:145]
	ds_read_b128 v[142:145], v88 offset:496
	s_waitcnt vmcnt(16) lgkmcnt(1)
	v_mul_f64 v[148:149], v[138:139], v[162:163]
	v_fma_f64 v[4:5], v[130:131], v[156:157], -v[4:5]
	v_fmac_f64_e32 v[148:149], v[140:141], v[164:165]
	v_add_f64 v[2:3], v[2:3], v[4:5]
	v_mul_f64 v[4:5], v[136:137], v[166:167]
	v_add_f64 v[186:187], v[146:147], v[148:149]
	ds_read_b128 v[146:149], v88 offset:512
	v_fma_f64 v[4:5], v[134:135], v[168:169], -v[4:5]
	v_add_f64 v[2:3], v[2:3], v[4:5]
	v_mul_f64 v[4:5], v[140:141], v[162:163]
	v_fma_f64 v[4:5], v[138:139], v[164:165], -v[4:5]
	v_add_f64 v[2:3], v[2:3], v[4:5]
	s_waitcnt vmcnt(12) lgkmcnt(1)
	v_mul_f64 v[4:5], v[144:145], v[174:175]
	v_mul_f64 v[188:189], v[142:143], v[174:175]
	s_waitcnt vmcnt(10)
	v_fma_f64 v[4:5], v[142:143], v[176:177], -v[4:5]
	v_fmac_f64_e32 v[188:189], v[144:145], v[176:177]
	v_add_f64 v[2:3], v[2:3], v[4:5]
	s_waitcnt vmcnt(8) lgkmcnt(0)
	v_mul_f64 v[4:5], v[148:149], v[170:171]
	v_add_f64 v[88:89], v[186:187], v[188:189]
	v_mul_f64 v[186:187], v[146:147], v[170:171]
	v_fma_f64 v[4:5], v[146:147], v[172:173], -v[4:5]
	v_fmac_f64_e32 v[186:187], v[148:149], v[172:173]
	v_add_f64 v[2:3], v[2:3], v[4:5]
	s_waitcnt vmcnt(6)
	v_mul_f64 v[4:5], v[152:153], v[178:179]
	v_add_f64 v[88:89], v[88:89], v[186:187]
	v_mul_f64 v[186:187], v[150:151], v[178:179]
	s_waitcnt vmcnt(4)
	v_fma_f64 v[4:5], v[150:151], v[180:181], -v[4:5]
	v_fmac_f64_e32 v[186:187], v[152:153], v[180:181]
	v_add_f64 v[2:3], v[2:3], v[4:5]
	v_add_f64 v[88:89], v[88:89], v[186:187]
	s_waitcnt vmcnt(2)
	v_add_f64 v[2:3], v[182:183], -v[2:3]
	s_waitcnt vmcnt(0)
	v_add_f64 v[4:5], v[184:185], -v[88:89]
	buffer_store_dword v3, off, s[0:3], 0 offset:4
	buffer_store_dword v2, off, s[0:3], 0
	buffer_store_dword v5, off, s[0:3], 0 offset:12
	buffer_store_dword v4, off, s[0:3], 0 offset:8
	s_cbranch_vccz .LBB80_149
; %bb.116:
	v_pk_mov_b32 v[2:3], s[16:17], s[16:17] op_sel:[0,1]
	flat_load_dword v2, v[2:3] offset:60
	s_load_dwordx2 s[4:5], s[4:5], 0x4
	v_bfe_u32 v4, v0, 10, 10
	v_bfe_u32 v0, v0, 20, 10
	s_waitcnt lgkmcnt(0)
	s_lshr_b32 s4, s4, 16
	s_mul_i32 s4, s4, s5
	v_mul_u32_u24_e32 v3, s4, v87
	v_mul_u32_u24_e32 v4, s5, v4
	v_add3_u32 v0, v3, v4, v0
	v_mov_b32_e32 v3, 0x228
	v_lshl_add_u32 v0, v0, 4, v3
	s_waitcnt vmcnt(0)
	v_add_u32_e32 v2, -1, v2
	v_cmp_ne_u32_e32 vcc, 15, v2
	s_and_saveexec_b64 s[4:5], vcc
	s_cbranch_execz .LBB80_118
; %bb.117:
	v_mov_b32_e32 v3, 0
	v_lshl_add_u32 v6, v2, 4, v3
	buffer_load_dword v2, v75, s[0:3], 0 offen
	buffer_load_dword v3, v75, s[0:3], 0 offen offset:4
	buffer_load_dword v4, v75, s[0:3], 0 offen offset:8
	buffer_load_dword v5, v75, s[0:3], 0 offen offset:12
	buffer_load_dword v7, v6, s[0:3], 0 offen
	buffer_load_dword v8, v6, s[0:3], 0 offen offset:4
	buffer_load_dword v9, v6, s[0:3], 0 offen offset:8
	buffer_load_dword v10, v6, s[0:3], 0 offen offset:12
	s_waitcnt vmcnt(4)
	ds_write2_b64 v0, v[2:3], v[4:5] offset1:1
	s_waitcnt vmcnt(3)
	buffer_store_dword v7, v75, s[0:3], 0 offen
	s_waitcnt vmcnt(3)
	buffer_store_dword v8, v75, s[0:3], 0 offen offset:4
	s_waitcnt vmcnt(3)
	buffer_store_dword v9, v75, s[0:3], 0 offen offset:8
	s_waitcnt vmcnt(3)
	buffer_store_dword v10, v75, s[0:3], 0 offen offset:12
	buffer_store_dword v5, v6, s[0:3], 0 offen offset:12
	buffer_store_dword v4, v6, s[0:3], 0 offen offset:8
	buffer_store_dword v3, v6, s[0:3], 0 offen offset:4
	buffer_store_dword v2, v6, s[0:3], 0 offen
.LBB80_118:
	s_or_b64 exec, exec, s[4:5]
	v_pk_mov_b32 v[2:3], s[16:17], s[16:17] op_sel:[0,1]
	flat_load_dword v2, v[2:3] offset:56
	s_waitcnt vmcnt(0) lgkmcnt(0)
	v_add_u32_e32 v2, -1, v2
	v_cmp_ne_u32_e32 vcc, 14, v2
	s_and_saveexec_b64 s[4:5], vcc
	s_cbranch_execz .LBB80_120
; %bb.119:
	v_mov_b32_e32 v3, 0
	v_lshl_add_u32 v6, v2, 4, v3
	buffer_load_dword v2, v73, s[0:3], 0 offen
	buffer_load_dword v3, v73, s[0:3], 0 offen offset:4
	buffer_load_dword v4, v73, s[0:3], 0 offen offset:8
	buffer_load_dword v5, v73, s[0:3], 0 offen offset:12
	buffer_load_dword v7, v6, s[0:3], 0 offen
	buffer_load_dword v8, v6, s[0:3], 0 offen offset:4
	buffer_load_dword v9, v6, s[0:3], 0 offen offset:8
	buffer_load_dword v10, v6, s[0:3], 0 offen offset:12
	s_waitcnt vmcnt(4)
	ds_write2_b64 v0, v[2:3], v[4:5] offset1:1
	s_waitcnt vmcnt(3)
	buffer_store_dword v7, v73, s[0:3], 0 offen
	s_waitcnt vmcnt(3)
	buffer_store_dword v8, v73, s[0:3], 0 offen offset:4
	s_waitcnt vmcnt(3)
	buffer_store_dword v9, v73, s[0:3], 0 offen offset:8
	s_waitcnt vmcnt(3)
	buffer_store_dword v10, v73, s[0:3], 0 offen offset:12
	buffer_store_dword v5, v6, s[0:3], 0 offen offset:12
	buffer_store_dword v4, v6, s[0:3], 0 offen offset:8
	buffer_store_dword v3, v6, s[0:3], 0 offen offset:4
	buffer_store_dword v2, v6, s[0:3], 0 offen
.LBB80_120:
	s_or_b64 exec, exec, s[4:5]
	v_pk_mov_b32 v[2:3], s[16:17], s[16:17] op_sel:[0,1]
	flat_load_dword v2, v[2:3] offset:52
	s_waitcnt vmcnt(0) lgkmcnt(0)
	;; [unrolled: 34-line block ×14, first 2 shown]
	v_add_u32_e32 v2, -1, v2
	v_cmp_ne_u32_e32 vcc, 1, v2
	s_and_saveexec_b64 s[4:5], vcc
	s_cbranch_execz .LBB80_146
; %bb.145:
	v_mov_b32_e32 v3, 0
	v_lshl_add_u32 v6, v2, 4, v3
	buffer_load_dword v2, v84, s[0:3], 0 offen
	buffer_load_dword v3, v84, s[0:3], 0 offen offset:4
	buffer_load_dword v4, v84, s[0:3], 0 offen offset:8
	buffer_load_dword v5, v84, s[0:3], 0 offen offset:12
	buffer_load_dword v7, v6, s[0:3], 0 offen
	buffer_load_dword v8, v6, s[0:3], 0 offen offset:4
	buffer_load_dword v9, v6, s[0:3], 0 offen offset:8
	;; [unrolled: 1-line block ×3, first 2 shown]
	s_waitcnt vmcnt(4)
	ds_write2_b64 v0, v[2:3], v[4:5] offset1:1
	s_waitcnt vmcnt(3)
	buffer_store_dword v7, v84, s[0:3], 0 offen
	s_waitcnt vmcnt(3)
	buffer_store_dword v8, v84, s[0:3], 0 offen offset:4
	s_waitcnt vmcnt(3)
	buffer_store_dword v9, v84, s[0:3], 0 offen offset:8
	;; [unrolled: 2-line block ×3, first 2 shown]
	buffer_store_dword v5, v6, s[0:3], 0 offen offset:12
	buffer_store_dword v4, v6, s[0:3], 0 offen offset:8
	;; [unrolled: 1-line block ×3, first 2 shown]
	buffer_store_dword v2, v6, s[0:3], 0 offen
.LBB80_146:
	s_or_b64 exec, exec, s[4:5]
	v_pk_mov_b32 v[2:3], s[16:17], s[16:17] op_sel:[0,1]
	flat_load_dword v2, v[2:3]
	s_waitcnt vmcnt(0) lgkmcnt(0)
	v_add_u32_e32 v2, -1, v2
	v_cmp_ne_u32_e32 vcc, 0, v2
	s_and_saveexec_b64 s[4:5], vcc
	s_cbranch_execz .LBB80_148
; %bb.147:
	v_mov_b32_e32 v3, 0
	v_lshl_add_u32 v6, v2, 4, v3
	buffer_load_dword v2, off, s[0:3], 0
	buffer_load_dword v3, off, s[0:3], 0 offset:4
	buffer_load_dword v4, off, s[0:3], 0 offset:8
	;; [unrolled: 1-line block ×3, first 2 shown]
	buffer_load_dword v7, v6, s[0:3], 0 offen
	buffer_load_dword v8, v6, s[0:3], 0 offen offset:4
	buffer_load_dword v9, v6, s[0:3], 0 offen offset:8
	;; [unrolled: 1-line block ×3, first 2 shown]
	s_waitcnt vmcnt(4)
	ds_write2_b64 v0, v[2:3], v[4:5] offset1:1
	s_waitcnt vmcnt(3)
	buffer_store_dword v7, off, s[0:3], 0
	s_waitcnt vmcnt(3)
	buffer_store_dword v8, off, s[0:3], 0 offset:4
	s_waitcnt vmcnt(3)
	buffer_store_dword v9, off, s[0:3], 0 offset:8
	;; [unrolled: 2-line block ×3, first 2 shown]
	buffer_store_dword v5, v6, s[0:3], 0 offen offset:12
	buffer_store_dword v4, v6, s[0:3], 0 offen offset:8
	;; [unrolled: 1-line block ×3, first 2 shown]
	buffer_store_dword v2, v6, s[0:3], 0 offen
.LBB80_148:
	s_or_b64 exec, exec, s[4:5]
.LBB80_149:
	buffer_load_dword v2, off, s[0:3], 0
	buffer_load_dword v3, off, s[0:3], 0 offset:4
	buffer_load_dword v4, off, s[0:3], 0 offset:8
	;; [unrolled: 1-line block ×3, first 2 shown]
	buffer_load_dword v6, v84, s[0:3], 0 offen
	buffer_load_dword v7, v84, s[0:3], 0 offen offset:4
	buffer_load_dword v8, v84, s[0:3], 0 offen offset:8
	;; [unrolled: 1-line block ×6, first 2 shown]
	buffer_load_dword v14, v85, s[0:3], 0 offen
	buffer_load_dword v15, v85, s[0:3], 0 offen offset:4
	buffer_load_dword v16, v85, s[0:3], 0 offen offset:8
	buffer_load_dword v10, v86, s[0:3], 0 offen
	buffer_load_dword v17, v85, s[0:3], 0 offen offset:12
	buffer_load_dword v53, v82, s[0:3], 0 offen offset:4
	;; [unrolled: 1-line block ×4, first 2 shown]
                                        ; kill: killed $vgpr86
                                        ; kill: killed $vgpr84
                                        ; kill: killed $vgpr85
	buffer_load_dword v56, v80, s[0:3], 0 offen
	buffer_load_dword v57, v80, s[0:3], 0 offen offset:4
	buffer_load_dword v58, v80, s[0:3], 0 offen offset:8
	buffer_load_dword v52, v82, s[0:3], 0 offen
	buffer_load_dword v59, v80, s[0:3], 0 offen offset:12
	buffer_load_dword v61, v83, s[0:3], 0 offen offset:4
	;; [unrolled: 1-line block ×4, first 2 shown]
	buffer_load_dword v64, v81, s[0:3], 0 offen
	buffer_load_dword v65, v81, s[0:3], 0 offen offset:4
	buffer_load_dword v66, v81, s[0:3], 0 offen offset:8
	buffer_load_dword v60, v83, s[0:3], 0 offen
	buffer_load_dword v67, v81, s[0:3], 0 offen offset:12
	buffer_load_dword v69, v76, s[0:3], 0 offen offset:4
	;; [unrolled: 1-line block ×3, first 2 shown]
                                        ; kill: killed $vgpr82
                                        ; kill: killed $vgpr83
                                        ; kill: killed $vgpr80
                                        ; kill: killed $vgpr81
	buffer_load_dword v71, v76, s[0:3], 0 offen offset:12
	buffer_load_dword v80, v78, s[0:3], 0 offen
	s_nop 0
	buffer_load_dword v81, v78, s[0:3], 0 offen offset:4
	buffer_load_dword v82, v78, s[0:3], 0 offen offset:8
	buffer_load_dword v68, v76, s[0:3], 0 offen
	buffer_load_dword v83, v78, s[0:3], 0 offen offset:12
	buffer_load_dword v85, v77, s[0:3], 0 offen offset:4
	;; [unrolled: 1-line block ×4, first 2 shown]
	buffer_load_dword v88, v79, s[0:3], 0 offen
	buffer_load_dword v89, v79, s[0:3], 0 offen offset:4
	buffer_load_dword v90, v79, s[0:3], 0 offen offset:8
	buffer_load_dword v84, v77, s[0:3], 0 offen
	buffer_load_dword v91, v79, s[0:3], 0 offen offset:12
	buffer_load_dword v93, v72, s[0:3], 0 offen offset:4
                                        ; kill: killed $vgpr78
                                        ; kill: killed $vgpr79
                                        ; kill: killed $vgpr76
                                        ; kill: killed $vgpr77
	buffer_load_dword v94, v72, s[0:3], 0 offen offset:8
	buffer_load_dword v95, v72, s[0:3], 0 offen offset:12
	buffer_load_dword v76, v74, s[0:3], 0 offen
	buffer_load_dword v77, v74, s[0:3], 0 offen offset:4
	buffer_load_dword v78, v74, s[0:3], 0 offen offset:8
	buffer_load_dword v92, v72, s[0:3], 0 offen
	buffer_load_dword v79, v74, s[0:3], 0 offen offset:12
	buffer_load_dword v97, v73, s[0:3], 0 offen offset:4
	;; [unrolled: 1-line block ×4, first 2 shown]
	buffer_load_dword v100, v75, s[0:3], 0 offen
	buffer_load_dword v101, v75, s[0:3], 0 offen offset:4
	buffer_load_dword v102, v75, s[0:3], 0 offen offset:8
	buffer_load_dword v96, v73, s[0:3], 0 offen
	buffer_load_dword v103, v75, s[0:3], 0 offen offset:12
                                        ; kill: killed $vgpr74
                                        ; kill: killed $vgpr75
                                        ; kill: killed $vgpr72
                                        ; kill: killed $vgpr73
	buffer_load_dword v72, v1, s[0:3], 0 offen
	s_nop 0
	buffer_load_dword v73, v1, s[0:3], 0 offen offset:4
	buffer_load_dword v74, v1, s[0:3], 0 offen offset:8
	buffer_load_dword v75, v1, s[0:3], 0 offen offset:12
	s_waitcnt vmcnt(62)
	global_store_dwordx4 v[18:19], v[2:5], off
	s_waitcnt vmcnt(61)
	global_store_dwordx4 v[20:21], v[6:9], off
	;; [unrolled: 2-line block ×17, first 2 shown]
	s_endpgm
	.section	.rodata,"a",@progbits
	.p2align	6, 0x0
	.amdhsa_kernel _ZN9rocsolver6v33100L18getri_kernel_smallILi17E19rocblas_complex_numIdEPKPS3_EEvT1_iilPiilS8_bb
		.amdhsa_group_segment_fixed_size 1576
		.amdhsa_private_segment_fixed_size 288
		.amdhsa_kernarg_size 60
		.amdhsa_user_sgpr_count 10
		.amdhsa_user_sgpr_private_segment_buffer 1
		.amdhsa_user_sgpr_dispatch_ptr 1
		.amdhsa_user_sgpr_queue_ptr 0
		.amdhsa_user_sgpr_kernarg_segment_ptr 1
		.amdhsa_user_sgpr_dispatch_id 0
		.amdhsa_user_sgpr_flat_scratch_init 1
		.amdhsa_user_sgpr_kernarg_preload_length 0
		.amdhsa_user_sgpr_kernarg_preload_offset 0
		.amdhsa_user_sgpr_private_segment_size 0
		.amdhsa_uses_dynamic_stack 0
		.amdhsa_system_sgpr_private_segment_wavefront_offset 1
		.amdhsa_system_sgpr_workgroup_id_x 1
		.amdhsa_system_sgpr_workgroup_id_y 0
		.amdhsa_system_sgpr_workgroup_id_z 0
		.amdhsa_system_sgpr_workgroup_info 0
		.amdhsa_system_vgpr_workitem_id 2
		.amdhsa_next_free_vgpr 190
		.amdhsa_next_free_sgpr 24
		.amdhsa_accum_offset 192
		.amdhsa_reserve_vcc 1
		.amdhsa_reserve_flat_scratch 1
		.amdhsa_float_round_mode_32 0
		.amdhsa_float_round_mode_16_64 0
		.amdhsa_float_denorm_mode_32 3
		.amdhsa_float_denorm_mode_16_64 3
		.amdhsa_dx10_clamp 1
		.amdhsa_ieee_mode 1
		.amdhsa_fp16_overflow 0
		.amdhsa_tg_split 0
		.amdhsa_exception_fp_ieee_invalid_op 0
		.amdhsa_exception_fp_denorm_src 0
		.amdhsa_exception_fp_ieee_div_zero 0
		.amdhsa_exception_fp_ieee_overflow 0
		.amdhsa_exception_fp_ieee_underflow 0
		.amdhsa_exception_fp_ieee_inexact 0
		.amdhsa_exception_int_div_zero 0
	.end_amdhsa_kernel
	.section	.text._ZN9rocsolver6v33100L18getri_kernel_smallILi17E19rocblas_complex_numIdEPKPS3_EEvT1_iilPiilS8_bb,"axG",@progbits,_ZN9rocsolver6v33100L18getri_kernel_smallILi17E19rocblas_complex_numIdEPKPS3_EEvT1_iilPiilS8_bb,comdat
.Lfunc_end80:
	.size	_ZN9rocsolver6v33100L18getri_kernel_smallILi17E19rocblas_complex_numIdEPKPS3_EEvT1_iilPiilS8_bb, .Lfunc_end80-_ZN9rocsolver6v33100L18getri_kernel_smallILi17E19rocblas_complex_numIdEPKPS3_EEvT1_iilPiilS8_bb
                                        ; -- End function
	.section	.AMDGPU.csdata,"",@progbits
; Kernel info:
; codeLenInByte = 26888
; NumSgprs: 30
; NumVgprs: 190
; NumAgprs: 0
; TotalNumVgprs: 190
; ScratchSize: 288
; MemoryBound: 0
; FloatMode: 240
; IeeeMode: 1
; LDSByteSize: 1576 bytes/workgroup (compile time only)
; SGPRBlocks: 3
; VGPRBlocks: 23
; NumSGPRsForWavesPerEU: 30
; NumVGPRsForWavesPerEU: 190
; AccumOffset: 192
; Occupancy: 2
; WaveLimiterHint : 1
; COMPUTE_PGM_RSRC2:SCRATCH_EN: 1
; COMPUTE_PGM_RSRC2:USER_SGPR: 10
; COMPUTE_PGM_RSRC2:TRAP_HANDLER: 0
; COMPUTE_PGM_RSRC2:TGID_X_EN: 1
; COMPUTE_PGM_RSRC2:TGID_Y_EN: 0
; COMPUTE_PGM_RSRC2:TGID_Z_EN: 0
; COMPUTE_PGM_RSRC2:TIDIG_COMP_CNT: 2
; COMPUTE_PGM_RSRC3_GFX90A:ACCUM_OFFSET: 47
; COMPUTE_PGM_RSRC3_GFX90A:TG_SPLIT: 0
	.section	.text._ZN9rocsolver6v33100L18getri_kernel_smallILi18E19rocblas_complex_numIdEPKPS3_EEvT1_iilPiilS8_bb,"axG",@progbits,_ZN9rocsolver6v33100L18getri_kernel_smallILi18E19rocblas_complex_numIdEPKPS3_EEvT1_iilPiilS8_bb,comdat
	.globl	_ZN9rocsolver6v33100L18getri_kernel_smallILi18E19rocblas_complex_numIdEPKPS3_EEvT1_iilPiilS8_bb ; -- Begin function _ZN9rocsolver6v33100L18getri_kernel_smallILi18E19rocblas_complex_numIdEPKPS3_EEvT1_iilPiilS8_bb
	.p2align	8
	.type	_ZN9rocsolver6v33100L18getri_kernel_smallILi18E19rocblas_complex_numIdEPKPS3_EEvT1_iilPiilS8_bb,@function
_ZN9rocsolver6v33100L18getri_kernel_smallILi18E19rocblas_complex_numIdEPKPS3_EEvT1_iilPiilS8_bb: ; @_ZN9rocsolver6v33100L18getri_kernel_smallILi18E19rocblas_complex_numIdEPKPS3_EEvT1_iilPiilS8_bb
; %bb.0:
	s_add_u32 flat_scratch_lo, s8, s11
	s_addc_u32 flat_scratch_hi, s9, 0
	s_add_u32 s0, s0, s11
	v_and_b32_e32 v112, 0x3ff, v0
	s_addc_u32 s1, s1, 0
	v_cmp_gt_u32_e32 vcc, 18, v112
	s_and_saveexec_b64 s[8:9], vcc
	s_cbranch_execz .LBB81_86
; %bb.1:
	s_load_dword s22, s[6:7], 0x38
	s_load_dwordx2 s[8:9], s[6:7], 0x0
	s_load_dwordx4 s[12:15], s[6:7], 0x28
	s_waitcnt lgkmcnt(0)
	s_bitcmp1_b32 s22, 8
	s_cselect_b64 s[18:19], -1, 0
	s_ashr_i32 s11, s10, 31
	s_lshl_b64 s[16:17], s[10:11], 3
	s_add_u32 s8, s8, s16
	s_addc_u32 s9, s9, s17
	s_load_dwordx2 s[20:21], s[8:9], 0x0
	s_bfe_u32 s8, s22, 0x10008
	s_cmp_eq_u32 s8, 0
                                        ; implicit-def: $sgpr16_sgpr17
	s_cbranch_scc1 .LBB81_3
; %bb.2:
	s_load_dword s8, s[6:7], 0x20
	s_load_dwordx2 s[16:17], s[6:7], 0x18
	s_mul_i32 s9, s10, s13
	s_mul_hi_u32 s13, s10, s12
	s_add_i32 s13, s13, s9
	s_mul_i32 s23, s11, s12
	s_add_i32 s13, s13, s23
	s_mul_i32 s12, s10, s12
	s_waitcnt lgkmcnt(0)
	s_ashr_i32 s9, s8, 31
	s_lshl_b64 s[12:13], s[12:13], 2
	s_add_u32 s12, s16, s12
	s_addc_u32 s13, s17, s13
	s_lshl_b64 s[8:9], s[8:9], 2
	s_add_u32 s16, s12, s8
	s_addc_u32 s17, s13, s9
.LBB81_3:
	s_load_dwordx2 s[8:9], s[6:7], 0x8
	v_lshlrev_b32_e32 v12, 4, v112
	s_waitcnt lgkmcnt(0)
	s_ashr_i32 s7, s8, 31
	s_mov_b32 s6, s8
	s_lshl_b64 s[6:7], s[6:7], 4
	s_add_u32 s6, s20, s6
	s_addc_u32 s7, s21, s7
	s_mov_b32 s12, s9
	s_ashr_i32 s13, s9, 31
	s_add_i32 s8, s9, s9
	v_mov_b32_e32 v1, s7
	v_add_co_u32_e32 v30, vcc, s6, v12
	s_lshl_b64 s[12:13], s[12:13], 4
	v_add_u32_e32 v6, s8, v112
	v_addc_co_u32_e32 v31, vcc, 0, v1, vcc
	v_mov_b32_e32 v1, s13
	v_ashrrev_i32_e32 v7, 31, v6
	v_add_co_u32_e32 v32, vcc, s12, v30
	v_add_u32_e32 v8, s9, v6
	v_addc_co_u32_e32 v33, vcc, v31, v1, vcc
	v_lshlrev_b64 v[6:7], 4, v[6:7]
	v_mov_b32_e32 v11, s7
	v_ashrrev_i32_e32 v9, 31, v8
	v_add_co_u32_e32 v34, vcc, s6, v6
	v_add_u32_e32 v10, s9, v8
	v_addc_co_u32_e32 v35, vcc, v11, v7, vcc
	v_lshlrev_b64 v[18:19], 4, v[8:9]
	v_mov_b32_e32 v13, s7
	v_ashrrev_i32_e32 v11, 31, v10
	v_add_u32_e32 v26, s9, v10
	v_add_co_u32_e32 v36, vcc, s6, v18
	v_addc_co_u32_e32 v37, vcc, v13, v19, vcc
	v_lshlrev_b64 v[10:11], 4, v[10:11]
	v_add_u32_e32 v28, s9, v26
	v_add_co_u32_e32 v40, vcc, s6, v10
	v_add_u32_e32 v10, s9, v28
	v_add_u32_e32 v48, s9, v10
	;; [unrolled: 1-line block ×11, first 2 shown]
	v_mov_b32_e32 v20, s7
	v_ashrrev_i32_e32 v19, 31, v18
	v_addc_co_u32_e32 v41, vcc, v20, v11, vcc
	v_lshlrev_b64 v[18:19], 4, v[18:19]
	v_mov_b32_e32 v21, s7
	v_add_co_u32_e32 v38, vcc, s6, v18
	v_ashrrev_i32_e32 v27, 31, v26
	v_addc_co_u32_e32 v39, vcc, v21, v19, vcc
	v_lshlrev_b64 v[26:27], 4, v[26:27]
	v_mov_b32_e32 v1, s7
	v_add_co_u32_e32 v42, vcc, s6, v26
	v_ashrrev_i32_e32 v29, 31, v28
	v_addc_co_u32_e32 v43, vcc, v1, v27, vcc
	v_lshlrev_b64 v[26:27], 4, v[28:29]
	v_add_co_u32_e32 v44, vcc, s6, v26
	v_ashrrev_i32_e32 v11, 31, v10
	v_addc_co_u32_e32 v45, vcc, v1, v27, vcc
	v_lshlrev_b64 v[10:11], 4, v[10:11]
	;; [unrolled: 4-line block ×11, first 2 shown]
	global_load_dwordx4 v[2:5], v12, s[6:7]
	global_load_dwordx4 v[6:9], v[32:33], off
	global_load_dwordx4 v[14:17], v[34:35], off
	;; [unrolled: 1-line block ×10, first 2 shown]
	v_add_co_u32_e32 v64, vcc, s6, v10
	global_load_dwordx4 v[94:97], v[58:59], off
	global_load_dwordx4 v[98:101], v[60:61], off
	v_addc_co_u32_e32 v65, vcc, v1, v11, vcc
	global_load_dwordx4 v[86:89], v[54:55], off
	global_load_dwordx4 v[90:93], v[56:57], off
	;; [unrolled: 1-line block ×5, first 2 shown]
	s_waitcnt vmcnt(17)
	buffer_store_dword v5, off, s[0:3], 0 offset:12
	buffer_store_dword v4, off, s[0:3], 0 offset:8
	;; [unrolled: 1-line block ×3, first 2 shown]
	buffer_store_dword v2, off, s[0:3], 0
	s_waitcnt vmcnt(20)
	buffer_store_dword v9, off, s[0:3], 0 offset:28
	buffer_store_dword v8, off, s[0:3], 0 offset:24
	buffer_store_dword v7, off, s[0:3], 0 offset:20
	buffer_store_dword v6, off, s[0:3], 0 offset:16
	s_waitcnt vmcnt(23)
	buffer_store_dword v17, off, s[0:3], 0 offset:44
	buffer_store_dword v16, off, s[0:3], 0 offset:40
	buffer_store_dword v15, off, s[0:3], 0 offset:36
	buffer_store_dword v14, off, s[0:3], 0 offset:32
	;; [unrolled: 5-line block ×12, first 2 shown]
	v_mov_b32_e32 v2, 0
	v_add_u32_e32 v109, 16, v2
	buffer_store_dword v97, off, s[0:3], 0 offset:220
	buffer_store_dword v96, off, s[0:3], 0 offset:216
	;; [unrolled: 1-line block ×4, first 2 shown]
	v_add_u32_e32 v111, 32, v2
	v_add_u32_e32 v110, 48, v2
	;; [unrolled: 1-line block ×4, first 2 shown]
	buffer_store_dword v101, off, s[0:3], 0 offset:236
	buffer_store_dword v100, off, s[0:3], 0 offset:232
	buffer_store_dword v99, off, s[0:3], 0 offset:228
	buffer_store_dword v98, off, s[0:3], 0 offset:224
	v_add_u32_e32 v108, 0x60, v2
	v_add_u32_e32 v102, 0x70, v2
	;; [unrolled: 1-line block ×12, first 2 shown]
	s_bitcmp0_b32 s22, 0
	s_mov_b64 s[8:9], -1
	s_waitcnt vmcnt(62)
	buffer_store_dword v117, off, s[0:3], 0 offset:252
	buffer_store_dword v116, off, s[0:3], 0 offset:248
	;; [unrolled: 1-line block ×4, first 2 shown]
	s_waitcnt vmcnt(62)
	buffer_store_dword v121, off, s[0:3], 0 offset:268
	buffer_store_dword v120, off, s[0:3], 0 offset:264
	;; [unrolled: 1-line block ×8, first 2 shown]
	s_cbranch_scc1 .LBB81_84
; %bb.4:
	v_cmp_eq_u32_e64 s[6:7], 0, v112
	s_and_saveexec_b64 s[8:9], s[6:7]
	s_cbranch_execz .LBB81_6
; %bb.5:
	v_mov_b32_e32 v2, 0
	ds_write_b32 v2, v2 offset:576
.LBB81_6:
	s_or_b64 exec, exec, s[8:9]
	v_mov_b32_e32 v2, 0
	v_lshl_add_u32 v13, v112, 4, v2
	s_waitcnt lgkmcnt(0)
	; wave barrier
	s_waitcnt lgkmcnt(0)
	buffer_load_dword v2, v13, s[0:3], 0 offen
	buffer_load_dword v3, v13, s[0:3], 0 offen offset:4
	buffer_load_dword v4, v13, s[0:3], 0 offen offset:8
	buffer_load_dword v5, v13, s[0:3], 0 offen offset:12
	s_waitcnt vmcnt(2)
	v_cmp_eq_f64_e32 vcc, 0, v[2:3]
	s_waitcnt vmcnt(0)
	v_cmp_eq_f64_e64 s[8:9], 0, v[4:5]
	s_and_b64 s[8:9], vcc, s[8:9]
	s_and_saveexec_b64 s[12:13], s[8:9]
	s_cbranch_execz .LBB81_10
; %bb.7:
	v_mov_b32_e32 v2, 0
	ds_read_b32 v4, v2 offset:576
	v_add_u32_e32 v3, 1, v112
	s_waitcnt lgkmcnt(0)
	v_readfirstlane_b32 s8, v4
	s_cmp_eq_u32 s8, 0
	s_cselect_b64 s[20:21], -1, 0
	v_cmp_gt_i32_e32 vcc, s8, v3
	s_or_b64 s[20:21], s[20:21], vcc
	s_and_b64 exec, exec, s[20:21]
	s_cbranch_execz .LBB81_10
; %bb.8:
	s_mov_b64 s[20:21], 0
	v_mov_b32_e32 v4, s8
.LBB81_9:                               ; =>This Inner Loop Header: Depth=1
	ds_cmpst_rtn_b32 v4, v2, v4, v3 offset:576
	s_waitcnt lgkmcnt(0)
	v_cmp_ne_u32_e32 vcc, 0, v4
	v_cmp_le_i32_e64 s[8:9], v4, v3
	s_and_b64 s[8:9], vcc, s[8:9]
	s_and_b64 s[8:9], exec, s[8:9]
	s_or_b64 s[20:21], s[8:9], s[20:21]
	s_andn2_b64 exec, exec, s[20:21]
	s_cbranch_execnz .LBB81_9
.LBB81_10:
	s_or_b64 exec, exec, s[12:13]
	v_mov_b32_e32 v3, 0
	s_waitcnt lgkmcnt(0)
	; wave barrier
	ds_read_b32 v2, v3 offset:576
	s_and_saveexec_b64 s[8:9], s[6:7]
	s_cbranch_execz .LBB81_12
; %bb.11:
	s_lshl_b64 s[12:13], s[10:11], 2
	s_add_u32 s12, s14, s12
	s_addc_u32 s13, s15, s13
	s_waitcnt lgkmcnt(0)
	global_store_dword v3, v2, s[12:13]
.LBB81_12:
	s_or_b64 exec, exec, s[8:9]
	s_waitcnt lgkmcnt(0)
	v_cmp_ne_u32_e32 vcc, 0, v2
	s_mov_b64 s[8:9], 0
	s_cbranch_vccnz .LBB81_84
; %bb.13:
	buffer_load_dword v7, v13, s[0:3], 0 offen offset:4
	buffer_load_dword v6, v13, s[0:3], 0 offen
	buffer_load_dword v9, v13, s[0:3], 0 offen offset:12
	buffer_load_dword v8, v13, s[0:3], 0 offen offset:8
                                        ; implicit-def: $vgpr10_vgpr11
	s_waitcnt vmcnt(3)
	v_xor_b32_e32 v3, 0x80000000, v7
	s_waitcnt vmcnt(2)
	v_cmp_gt_f64_e32 vcc, 0, v[6:7]
	s_waitcnt vmcnt(1)
	v_xor_b32_e32 v4, 0x80000000, v9
	v_cndmask_b32_e32 v3, v7, v3, vcc
	s_waitcnt vmcnt(0)
	v_cmp_gt_f64_e32 vcc, 0, v[8:9]
	v_mov_b32_e32 v2, v6
	v_cndmask_b32_e32 v5, v9, v4, vcc
	v_mov_b32_e32 v4, v8
	v_cmp_ngt_f64_e32 vcc, v[2:3], v[4:5]
                                        ; implicit-def: $vgpr4_vgpr5
	s_and_saveexec_b64 s[8:9], vcc
	s_xor_b64 s[8:9], exec, s[8:9]
	s_cbranch_execz .LBB81_15
; %bb.14:
	v_div_scale_f64 v[2:3], s[12:13], v[8:9], v[8:9], v[6:7]
	v_rcp_f64_e32 v[4:5], v[2:3]
	v_div_scale_f64 v[10:11], vcc, v[6:7], v[8:9], v[6:7]
	v_fma_f64 v[14:15], -v[2:3], v[4:5], 1.0
	v_fmac_f64_e32 v[4:5], v[4:5], v[14:15]
	v_fma_f64 v[14:15], -v[2:3], v[4:5], 1.0
	v_fmac_f64_e32 v[4:5], v[4:5], v[14:15]
	v_mul_f64 v[14:15], v[10:11], v[4:5]
	v_fma_f64 v[2:3], -v[2:3], v[14:15], v[10:11]
	v_div_fmas_f64 v[2:3], v[2:3], v[4:5], v[14:15]
	v_div_fixup_f64 v[2:3], v[2:3], v[8:9], v[6:7]
	v_fmac_f64_e32 v[8:9], v[6:7], v[2:3]
	v_div_scale_f64 v[4:5], s[12:13], v[8:9], v[8:9], 1.0
	v_rcp_f64_e32 v[6:7], v[4:5]
	v_fma_f64 v[10:11], -v[4:5], v[6:7], 1.0
	v_fmac_f64_e32 v[6:7], v[6:7], v[10:11]
	v_fma_f64 v[10:11], -v[4:5], v[6:7], 1.0
	v_fmac_f64_e32 v[6:7], v[6:7], v[10:11]
	v_div_scale_f64 v[10:11], vcc, 1.0, v[8:9], 1.0
	v_mul_f64 v[14:15], v[10:11], v[6:7]
	v_fma_f64 v[4:5], -v[4:5], v[14:15], v[10:11]
	s_nop 1
	v_div_fmas_f64 v[4:5], v[4:5], v[6:7], v[14:15]
	v_div_fixup_f64 v[4:5], v[4:5], v[8:9], 1.0
	v_mul_f64 v[10:11], v[2:3], v[4:5]
	v_xor_b32_e32 v5, 0x80000000, v5
	v_xor_b32_e32 v3, 0x80000000, v11
	v_mov_b32_e32 v2, v10
                                        ; implicit-def: $vgpr6_vgpr7
                                        ; implicit-def: $vgpr8_vgpr9
.LBB81_15:
	s_andn2_saveexec_b64 s[8:9], s[8:9]
	s_cbranch_execz .LBB81_17
; %bb.16:
	v_div_scale_f64 v[2:3], s[12:13], v[6:7], v[6:7], v[8:9]
	v_rcp_f64_e32 v[4:5], v[2:3]
	v_div_scale_f64 v[10:11], vcc, v[8:9], v[6:7], v[8:9]
	v_fma_f64 v[14:15], -v[2:3], v[4:5], 1.0
	v_fmac_f64_e32 v[4:5], v[4:5], v[14:15]
	v_fma_f64 v[14:15], -v[2:3], v[4:5], 1.0
	v_fmac_f64_e32 v[4:5], v[4:5], v[14:15]
	v_mul_f64 v[14:15], v[10:11], v[4:5]
	v_fma_f64 v[2:3], -v[2:3], v[14:15], v[10:11]
	v_div_fmas_f64 v[2:3], v[2:3], v[4:5], v[14:15]
	v_div_fixup_f64 v[4:5], v[2:3], v[6:7], v[8:9]
	v_fmac_f64_e32 v[6:7], v[8:9], v[4:5]
	v_div_scale_f64 v[2:3], s[12:13], v[6:7], v[6:7], 1.0
	v_rcp_f64_e32 v[8:9], v[2:3]
	v_fma_f64 v[10:11], -v[2:3], v[8:9], 1.0
	v_fmac_f64_e32 v[8:9], v[8:9], v[10:11]
	v_fma_f64 v[10:11], -v[2:3], v[8:9], 1.0
	v_fmac_f64_e32 v[8:9], v[8:9], v[10:11]
	v_div_scale_f64 v[10:11], vcc, 1.0, v[6:7], 1.0
	v_mul_f64 v[14:15], v[10:11], v[8:9]
	v_fma_f64 v[2:3], -v[2:3], v[14:15], v[10:11]
	s_nop 1
	v_div_fmas_f64 v[2:3], v[2:3], v[8:9], v[14:15]
	v_div_fixup_f64 v[10:11], v[2:3], v[6:7], 1.0
	v_xor_b32_e32 v3, 0x80000000, v11
	v_mov_b32_e32 v2, v10
	v_mul_f64 v[4:5], v[4:5], -v[10:11]
.LBB81_17:
	s_or_b64 exec, exec, s[8:9]
	buffer_store_dword v11, v13, s[0:3], 0 offen offset:4
	buffer_store_dword v10, v13, s[0:3], 0 offen
	buffer_store_dword v5, v13, s[0:3], 0 offen offset:12
	buffer_store_dword v4, v13, s[0:3], 0 offen offset:8
	buffer_load_dword v11, v109, s[0:3], 0 offen offset:12
	s_nop 0
	buffer_load_dword v10, v109, s[0:3], 0 offen offset:8
	buffer_load_dword v9, v109, s[0:3], 0 offen offset:4
	buffer_load_dword v8, v109, s[0:3], 0 offen
	v_xor_b32_e32 v5, 0x80000000, v5
	v_add_u32_e32 v6, 0x120, v12
	ds_write_b128 v12, v[2:5]
	s_waitcnt vmcnt(0)
	ds_write_b128 v12, v[8:11] offset:288
	s_waitcnt lgkmcnt(0)
	; wave barrier
	s_waitcnt lgkmcnt(0)
	s_and_saveexec_b64 s[8:9], s[6:7]
	s_cbranch_execz .LBB81_19
; %bb.18:
	buffer_load_dword v14, v13, s[0:3], 0 offen offset:8
	buffer_load_dword v15, v13, s[0:3], 0 offen offset:12
	buffer_load_dword v16, v13, s[0:3], 0 offen
	buffer_load_dword v17, v13, s[0:3], 0 offen offset:4
	ds_read_b128 v[2:5], v6
	v_mov_b32_e32 v7, 0
	ds_read_b128 v[8:11], v7 offset:16
	s_waitcnt vmcnt(2) lgkmcnt(1)
	v_mul_f64 v[18:19], v[4:5], v[14:15]
	v_mul_f64 v[14:15], v[2:3], v[14:15]
	s_waitcnt vmcnt(0)
	v_fmac_f64_e32 v[14:15], v[4:5], v[16:17]
	v_fma_f64 v[2:3], v[2:3], v[16:17], -v[18:19]
	v_add_f64 v[4:5], v[14:15], 0
	v_add_f64 v[2:3], v[2:3], 0
	s_waitcnt lgkmcnt(0)
	v_mul_f64 v[14:15], v[4:5], v[10:11]
	v_mul_f64 v[10:11], v[2:3], v[10:11]
	v_fma_f64 v[2:3], v[2:3], v[8:9], -v[14:15]
	v_fmac_f64_e32 v[10:11], v[4:5], v[8:9]
	buffer_store_dword v2, off, s[0:3], 0 offset:16
	buffer_store_dword v3, off, s[0:3], 0 offset:20
	;; [unrolled: 1-line block ×4, first 2 shown]
.LBB81_19:
	s_or_b64 exec, exec, s[8:9]
	s_waitcnt lgkmcnt(0)
	; wave barrier
	buffer_load_dword v2, v111, s[0:3], 0 offen
	buffer_load_dword v3, v111, s[0:3], 0 offen offset:4
	buffer_load_dword v4, v111, s[0:3], 0 offen offset:8
	;; [unrolled: 1-line block ×3, first 2 shown]
	v_cmp_gt_u32_e32 vcc, 2, v112
	s_waitcnt vmcnt(0)
	ds_write_b128 v6, v[2:5]
	s_waitcnt lgkmcnt(0)
	; wave barrier
	s_waitcnt lgkmcnt(0)
	s_and_saveexec_b64 s[8:9], vcc
	s_cbranch_execz .LBB81_23
; %bb.20:
	buffer_load_dword v8, v13, s[0:3], 0 offen offset:8
	buffer_load_dword v9, v13, s[0:3], 0 offen offset:12
	buffer_load_dword v10, v13, s[0:3], 0 offen
	buffer_load_dword v11, v13, s[0:3], 0 offen offset:4
	ds_read_b128 v[2:5], v6
	s_waitcnt vmcnt(2) lgkmcnt(0)
	v_mul_f64 v[14:15], v[4:5], v[8:9]
	v_mul_f64 v[8:9], v[2:3], v[8:9]
	s_waitcnt vmcnt(0)
	v_fma_f64 v[2:3], v[2:3], v[10:11], -v[14:15]
	v_fmac_f64_e32 v[8:9], v[4:5], v[10:11]
	v_add_f64 v[4:5], v[2:3], 0
	v_add_f64 v[2:3], v[8:9], 0
	s_and_saveexec_b64 s[12:13], s[6:7]
	s_cbranch_execz .LBB81_22
; %bb.21:
	buffer_load_dword v14, off, s[0:3], 0 offset:24
	buffer_load_dword v15, off, s[0:3], 0 offset:28
	;; [unrolled: 1-line block ×4, first 2 shown]
	v_mov_b32_e32 v7, 0
	ds_read_b128 v[8:11], v7 offset:304
	s_waitcnt vmcnt(2) lgkmcnt(0)
	v_mul_f64 v[18:19], v[8:9], v[14:15]
	v_mul_f64 v[14:15], v[10:11], v[14:15]
	s_waitcnt vmcnt(0)
	v_fmac_f64_e32 v[18:19], v[10:11], v[16:17]
	v_fma_f64 v[8:9], v[8:9], v[16:17], -v[14:15]
	v_add_f64 v[2:3], v[2:3], v[18:19]
	v_add_f64 v[4:5], v[4:5], v[8:9]
.LBB81_22:
	s_or_b64 exec, exec, s[12:13]
	v_mov_b32_e32 v7, 0
	ds_read_b128 v[8:11], v7 offset:32
	s_waitcnt lgkmcnt(0)
	v_mul_f64 v[14:15], v[2:3], v[10:11]
	v_mul_f64 v[10:11], v[4:5], v[10:11]
	v_fma_f64 v[4:5], v[4:5], v[8:9], -v[14:15]
	v_fmac_f64_e32 v[10:11], v[2:3], v[8:9]
	buffer_store_dword v5, off, s[0:3], 0 offset:36
	buffer_store_dword v4, off, s[0:3], 0 offset:32
	;; [unrolled: 1-line block ×4, first 2 shown]
.LBB81_23:
	s_or_b64 exec, exec, s[8:9]
	s_waitcnt lgkmcnt(0)
	; wave barrier
	buffer_load_dword v2, v110, s[0:3], 0 offen
	buffer_load_dword v3, v110, s[0:3], 0 offen offset:4
	buffer_load_dword v4, v110, s[0:3], 0 offen offset:8
	;; [unrolled: 1-line block ×3, first 2 shown]
	v_cmp_gt_u32_e32 vcc, 3, v112
	v_add_u32_e32 v7, -1, v112
	s_waitcnt vmcnt(0)
	ds_write_b128 v6, v[2:5]
	s_waitcnt lgkmcnt(0)
	; wave barrier
	s_waitcnt lgkmcnt(0)
	s_and_saveexec_b64 s[6:7], vcc
	s_cbranch_execz .LBB81_27
; %bb.24:
	v_pk_mov_b32 v[2:3], 0, 0
	v_add_u32_e32 v8, -1, v112
	v_add_u32_e32 v9, 0x120, v12
	v_add_u32_e32 v10, 0, v12
	s_mov_b64 s[8:9], 0
	v_pk_mov_b32 v[4:5], v[2:3], v[2:3] op_sel:[0,1]
.LBB81_25:                              ; =>This Inner Loop Header: Depth=1
	buffer_load_dword v18, v10, s[0:3], 0 offen offset:8
	buffer_load_dword v19, v10, s[0:3], 0 offen offset:12
	buffer_load_dword v20, v10, s[0:3], 0 offen
	buffer_load_dword v21, v10, s[0:3], 0 offen offset:4
	ds_read_b128 v[14:17], v9
	v_add_u32_e32 v8, 1, v8
	v_cmp_lt_u32_e32 vcc, 1, v8
	v_add_u32_e32 v9, 16, v9
	v_add_u32_e32 v10, 16, v10
	s_or_b64 s[8:9], vcc, s[8:9]
	s_waitcnt vmcnt(2) lgkmcnt(0)
	v_mul_f64 v[22:23], v[16:17], v[18:19]
	v_mul_f64 v[18:19], v[14:15], v[18:19]
	s_waitcnt vmcnt(0)
	v_fma_f64 v[14:15], v[14:15], v[20:21], -v[22:23]
	v_fmac_f64_e32 v[18:19], v[16:17], v[20:21]
	v_add_f64 v[4:5], v[4:5], v[14:15]
	v_add_f64 v[2:3], v[2:3], v[18:19]
	s_andn2_b64 exec, exec, s[8:9]
	s_cbranch_execnz .LBB81_25
; %bb.26:
	s_or_b64 exec, exec, s[8:9]
	v_mov_b32_e32 v8, 0
	ds_read_b128 v[8:11], v8 offset:48
	s_waitcnt lgkmcnt(0)
	v_mul_f64 v[14:15], v[2:3], v[10:11]
	v_mul_f64 v[10:11], v[4:5], v[10:11]
	v_fma_f64 v[4:5], v[4:5], v[8:9], -v[14:15]
	v_fmac_f64_e32 v[10:11], v[2:3], v[8:9]
	buffer_store_dword v5, off, s[0:3], 0 offset:52
	buffer_store_dword v4, off, s[0:3], 0 offset:48
	buffer_store_dword v11, off, s[0:3], 0 offset:60
	buffer_store_dword v10, off, s[0:3], 0 offset:56
.LBB81_27:
	s_or_b64 exec, exec, s[6:7]
	s_waitcnt lgkmcnt(0)
	; wave barrier
	buffer_load_dword v2, v107, s[0:3], 0 offen
	buffer_load_dword v3, v107, s[0:3], 0 offen offset:4
	buffer_load_dword v4, v107, s[0:3], 0 offen offset:8
	buffer_load_dword v5, v107, s[0:3], 0 offen offset:12
	v_cmp_gt_u32_e32 vcc, 4, v112
	s_waitcnt vmcnt(0)
	ds_write_b128 v6, v[2:5]
	s_waitcnt lgkmcnt(0)
	; wave barrier
	s_waitcnt lgkmcnt(0)
	s_and_saveexec_b64 s[6:7], vcc
	s_cbranch_execz .LBB81_31
; %bb.28:
	v_pk_mov_b32 v[2:3], 0, 0
	v_add_u32_e32 v8, -1, v112
	v_add_u32_e32 v9, 0x120, v12
	v_add_u32_e32 v10, 0, v12
	s_mov_b64 s[8:9], 0
	v_pk_mov_b32 v[4:5], v[2:3], v[2:3] op_sel:[0,1]
.LBB81_29:                              ; =>This Inner Loop Header: Depth=1
	buffer_load_dword v18, v10, s[0:3], 0 offen offset:8
	buffer_load_dword v19, v10, s[0:3], 0 offen offset:12
	buffer_load_dword v20, v10, s[0:3], 0 offen
	buffer_load_dword v21, v10, s[0:3], 0 offen offset:4
	ds_read_b128 v[14:17], v9
	v_add_u32_e32 v8, 1, v8
	v_cmp_lt_u32_e32 vcc, 2, v8
	v_add_u32_e32 v9, 16, v9
	v_add_u32_e32 v10, 16, v10
	s_or_b64 s[8:9], vcc, s[8:9]
	s_waitcnt vmcnt(2) lgkmcnt(0)
	v_mul_f64 v[22:23], v[16:17], v[18:19]
	v_mul_f64 v[18:19], v[14:15], v[18:19]
	s_waitcnt vmcnt(0)
	v_fma_f64 v[14:15], v[14:15], v[20:21], -v[22:23]
	v_fmac_f64_e32 v[18:19], v[16:17], v[20:21]
	v_add_f64 v[4:5], v[4:5], v[14:15]
	v_add_f64 v[2:3], v[2:3], v[18:19]
	s_andn2_b64 exec, exec, s[8:9]
	s_cbranch_execnz .LBB81_29
; %bb.30:
	s_or_b64 exec, exec, s[8:9]
	v_mov_b32_e32 v8, 0
	ds_read_b128 v[8:11], v8 offset:64
	s_waitcnt lgkmcnt(0)
	v_mul_f64 v[14:15], v[2:3], v[10:11]
	v_mul_f64 v[10:11], v[4:5], v[10:11]
	v_fma_f64 v[4:5], v[4:5], v[8:9], -v[14:15]
	v_fmac_f64_e32 v[10:11], v[2:3], v[8:9]
	buffer_store_dword v5, off, s[0:3], 0 offset:68
	buffer_store_dword v4, off, s[0:3], 0 offset:64
	buffer_store_dword v11, off, s[0:3], 0 offset:76
	buffer_store_dword v10, off, s[0:3], 0 offset:72
.LBB81_31:
	s_or_b64 exec, exec, s[6:7]
	s_waitcnt lgkmcnt(0)
	; wave barrier
	buffer_load_dword v2, v106, s[0:3], 0 offen
	buffer_load_dword v3, v106, s[0:3], 0 offen offset:4
	buffer_load_dword v4, v106, s[0:3], 0 offen offset:8
	buffer_load_dword v5, v106, s[0:3], 0 offen offset:12
	v_cmp_gt_u32_e32 vcc, 5, v112
	;; [unrolled: 57-line block ×13, first 2 shown]
	s_waitcnt vmcnt(0)
	ds_write_b128 v6, v[2:5]
	s_waitcnt lgkmcnt(0)
	; wave barrier
	s_waitcnt lgkmcnt(0)
	s_and_saveexec_b64 s[6:7], vcc
	s_cbranch_execz .LBB81_79
; %bb.76:
	v_pk_mov_b32 v[2:3], 0, 0
	v_add_u32_e32 v8, -1, v112
	v_add_u32_e32 v9, 0x120, v12
	v_add_u32_e32 v10, 0, v12
	s_mov_b64 s[8:9], 0
	v_pk_mov_b32 v[4:5], v[2:3], v[2:3] op_sel:[0,1]
.LBB81_77:                              ; =>This Inner Loop Header: Depth=1
	buffer_load_dword v18, v10, s[0:3], 0 offen offset:8
	buffer_load_dword v19, v10, s[0:3], 0 offen offset:12
	buffer_load_dword v20, v10, s[0:3], 0 offen
	buffer_load_dword v21, v10, s[0:3], 0 offen offset:4
	ds_read_b128 v[14:17], v9
	v_add_u32_e32 v8, 1, v8
	v_cmp_lt_u32_e32 vcc, 14, v8
	v_add_u32_e32 v9, 16, v9
	v_add_u32_e32 v10, 16, v10
	s_or_b64 s[8:9], vcc, s[8:9]
	s_waitcnt vmcnt(2) lgkmcnt(0)
	v_mul_f64 v[22:23], v[16:17], v[18:19]
	v_mul_f64 v[18:19], v[14:15], v[18:19]
	s_waitcnt vmcnt(0)
	v_fma_f64 v[14:15], v[14:15], v[20:21], -v[22:23]
	v_fmac_f64_e32 v[18:19], v[16:17], v[20:21]
	v_add_f64 v[4:5], v[4:5], v[14:15]
	v_add_f64 v[2:3], v[2:3], v[18:19]
	s_andn2_b64 exec, exec, s[8:9]
	s_cbranch_execnz .LBB81_77
; %bb.78:
	s_or_b64 exec, exec, s[8:9]
	v_mov_b32_e32 v8, 0
	ds_read_b128 v[8:11], v8 offset:256
	s_waitcnt lgkmcnt(0)
	v_mul_f64 v[14:15], v[2:3], v[10:11]
	v_mul_f64 v[10:11], v[4:5], v[10:11]
	v_fma_f64 v[4:5], v[4:5], v[8:9], -v[14:15]
	v_fmac_f64_e32 v[10:11], v[2:3], v[8:9]
	buffer_store_dword v5, off, s[0:3], 0 offset:260
	buffer_store_dword v4, off, s[0:3], 0 offset:256
	;; [unrolled: 1-line block ×4, first 2 shown]
.LBB81_79:
	s_or_b64 exec, exec, s[6:7]
	s_waitcnt lgkmcnt(0)
	; wave barrier
	buffer_load_dword v2, v96, s[0:3], 0 offen
	buffer_load_dword v3, v96, s[0:3], 0 offen offset:4
	buffer_load_dword v4, v96, s[0:3], 0 offen offset:8
	;; [unrolled: 1-line block ×3, first 2 shown]
	v_cmp_ne_u32_e32 vcc, 17, v112
	s_waitcnt vmcnt(0)
	ds_write_b128 v6, v[2:5]
	s_waitcnt lgkmcnt(0)
	; wave barrier
	s_waitcnt lgkmcnt(0)
	s_and_saveexec_b64 s[6:7], vcc
	s_cbranch_execz .LBB81_83
; %bb.80:
	v_pk_mov_b32 v[2:3], 0, 0
	v_add_u32_e32 v6, 0x120, v12
	v_add_u32_e32 v8, 0, v12
	s_mov_b64 s[8:9], 0
	v_pk_mov_b32 v[4:5], v[2:3], v[2:3] op_sel:[0,1]
.LBB81_81:                              ; =>This Inner Loop Header: Depth=1
	buffer_load_dword v14, v8, s[0:3], 0 offen offset:8
	buffer_load_dword v15, v8, s[0:3], 0 offen offset:12
	buffer_load_dword v16, v8, s[0:3], 0 offen
	buffer_load_dword v17, v8, s[0:3], 0 offen offset:4
	ds_read_b128 v[10:13], v6
	v_add_u32_e32 v7, 1, v7
	v_cmp_lt_u32_e32 vcc, 15, v7
	v_add_u32_e32 v6, 16, v6
	v_add_u32_e32 v8, 16, v8
	s_or_b64 s[8:9], vcc, s[8:9]
	s_waitcnt vmcnt(2) lgkmcnt(0)
	v_mul_f64 v[18:19], v[12:13], v[14:15]
	v_mul_f64 v[14:15], v[10:11], v[14:15]
	s_waitcnt vmcnt(0)
	v_fma_f64 v[10:11], v[10:11], v[16:17], -v[18:19]
	v_fmac_f64_e32 v[14:15], v[12:13], v[16:17]
	v_add_f64 v[4:5], v[4:5], v[10:11]
	v_add_f64 v[2:3], v[2:3], v[14:15]
	s_andn2_b64 exec, exec, s[8:9]
	s_cbranch_execnz .LBB81_81
; %bb.82:
	s_or_b64 exec, exec, s[8:9]
	v_mov_b32_e32 v6, 0
	ds_read_b128 v[6:9], v6 offset:272
	s_waitcnt lgkmcnt(0)
	v_mul_f64 v[10:11], v[2:3], v[8:9]
	v_mul_f64 v[8:9], v[4:5], v[8:9]
	v_fma_f64 v[4:5], v[4:5], v[6:7], -v[10:11]
	v_fmac_f64_e32 v[8:9], v[2:3], v[6:7]
	buffer_store_dword v5, off, s[0:3], 0 offset:276
	buffer_store_dword v4, off, s[0:3], 0 offset:272
	;; [unrolled: 1-line block ×4, first 2 shown]
.LBB81_83:
	s_or_b64 exec, exec, s[6:7]
	s_mov_b64 s[8:9], -1
	s_waitcnt lgkmcnt(0)
	; wave barrier
.LBB81_84:
	s_and_b64 vcc, exec, s[8:9]
	s_cbranch_vccz .LBB81_86
; %bb.85:
	s_lshl_b64 s[6:7], s[10:11], 2
	s_add_u32 s6, s14, s6
	s_addc_u32 s7, s15, s7
	v_mov_b32_e32 v2, 0
	global_load_dword v2, v2, s[6:7]
	s_waitcnt vmcnt(0)
	v_cmp_ne_u32_e32 vcc, 0, v2
	s_cbranch_vccz .LBB81_87
.LBB81_86:
	s_endpgm
.LBB81_87:
	v_mov_b32_e32 v2, 0x120
	v_lshl_add_u32 v113, v112, 4, v2
	v_cmp_eq_u32_e32 vcc, 17, v112
	s_and_saveexec_b64 s[6:7], vcc
	s_cbranch_execz .LBB81_89
; %bb.88:
	buffer_load_dword v2, v97, s[0:3], 0 offen
	buffer_load_dword v3, v97, s[0:3], 0 offen offset:4
	buffer_load_dword v4, v97, s[0:3], 0 offen offset:8
	;; [unrolled: 1-line block ×3, first 2 shown]
	v_mov_b32_e32 v6, 0
	buffer_store_dword v6, off, s[0:3], 0 offset:256
	buffer_store_dword v6, off, s[0:3], 0 offset:260
	;; [unrolled: 1-line block ×4, first 2 shown]
	s_waitcnt vmcnt(4)
	ds_write_b128 v113, v[2:5]
.LBB81_89:
	s_or_b64 exec, exec, s[6:7]
	s_waitcnt lgkmcnt(0)
	; wave barrier
	s_waitcnt lgkmcnt(0)
	buffer_load_dword v8, off, s[0:3], 0 offset:280
	buffer_load_dword v9, off, s[0:3], 0 offset:284
	;; [unrolled: 1-line block ×8, first 2 shown]
	v_mov_b32_e32 v2, 0
	ds_read_b128 v[4:7], v2 offset:560
	v_cmp_lt_u32_e32 vcc, 15, v112
	s_waitcnt vmcnt(6) lgkmcnt(0)
	v_mul_f64 v[16:17], v[4:5], v[8:9]
	v_mul_f64 v[8:9], v[6:7], v[8:9]
	s_waitcnt vmcnt(4)
	v_fma_f64 v[4:5], v[4:5], v[10:11], -v[8:9]
	v_fmac_f64_e32 v[16:17], v[6:7], v[10:11]
	v_add_f64 v[4:5], v[4:5], 0
	v_add_f64 v[6:7], v[16:17], 0
	s_waitcnt vmcnt(2)
	v_add_f64 v[4:5], v[12:13], -v[4:5]
	s_waitcnt vmcnt(0)
	v_add_f64 v[6:7], v[14:15], -v[6:7]
	buffer_store_dword v4, off, s[0:3], 0 offset:256
	buffer_store_dword v5, off, s[0:3], 0 offset:260
	;; [unrolled: 1-line block ×4, first 2 shown]
	s_and_saveexec_b64 s[6:7], vcc
	s_cbranch_execz .LBB81_91
; %bb.90:
	buffer_load_dword v4, v1, s[0:3], 0 offen
	buffer_load_dword v5, v1, s[0:3], 0 offen offset:4
	buffer_load_dword v6, v1, s[0:3], 0 offen offset:8
	;; [unrolled: 1-line block ×3, first 2 shown]
	s_nop 0
	buffer_store_dword v2, off, s[0:3], 0 offset:240
	buffer_store_dword v2, off, s[0:3], 0 offset:244
	;; [unrolled: 1-line block ×4, first 2 shown]
	s_waitcnt vmcnt(4)
	ds_write_b128 v113, v[4:7]
.LBB81_91:
	s_or_b64 exec, exec, s[6:7]
	s_waitcnt lgkmcnt(0)
	; wave barrier
	s_waitcnt lgkmcnt(0)
	buffer_load_dword v12, off, s[0:3], 0 offset:264
	buffer_load_dword v13, off, s[0:3], 0 offset:268
	;; [unrolled: 1-line block ×12, first 2 shown]
	ds_read_b128 v[4:7], v2 offset:544
	ds_read_b128 v[8:11], v2 offset:560
	v_cmp_lt_u32_e32 vcc, 14, v112
	s_waitcnt vmcnt(10) lgkmcnt(1)
	v_mul_f64 v[2:3], v[4:5], v[12:13]
	v_mul_f64 v[12:13], v[6:7], v[12:13]
	s_waitcnt vmcnt(8) lgkmcnt(0)
	v_mul_f64 v[24:25], v[8:9], v[14:15]
	v_mul_f64 v[14:15], v[10:11], v[14:15]
	s_waitcnt vmcnt(6)
	v_fma_f64 v[4:5], v[4:5], v[16:17], -v[12:13]
	v_fmac_f64_e32 v[2:3], v[6:7], v[16:17]
	s_waitcnt vmcnt(4)
	v_fma_f64 v[6:7], v[8:9], v[18:19], -v[14:15]
	v_add_f64 v[4:5], v[4:5], 0
	v_fmac_f64_e32 v[24:25], v[10:11], v[18:19]
	v_add_f64 v[2:3], v[2:3], 0
	v_add_f64 v[4:5], v[4:5], v[6:7]
	;; [unrolled: 1-line block ×3, first 2 shown]
	s_waitcnt vmcnt(2)
	v_add_f64 v[4:5], v[20:21], -v[4:5]
	s_waitcnt vmcnt(0)
	v_add_f64 v[2:3], v[22:23], -v[2:3]
	buffer_store_dword v4, off, s[0:3], 0 offset:240
	buffer_store_dword v5, off, s[0:3], 0 offset:244
	;; [unrolled: 1-line block ×4, first 2 shown]
	s_and_saveexec_b64 s[6:7], vcc
	s_cbranch_execz .LBB81_93
; %bb.92:
	buffer_load_dword v2, v101, s[0:3], 0 offen
	buffer_load_dword v3, v101, s[0:3], 0 offen offset:4
	buffer_load_dword v4, v101, s[0:3], 0 offen offset:8
	;; [unrolled: 1-line block ×3, first 2 shown]
	v_mov_b32_e32 v6, 0
	buffer_store_dword v6, off, s[0:3], 0 offset:224
	buffer_store_dword v6, off, s[0:3], 0 offset:228
	;; [unrolled: 1-line block ×4, first 2 shown]
	s_waitcnt vmcnt(4)
	ds_write_b128 v113, v[2:5]
.LBB81_93:
	s_or_b64 exec, exec, s[6:7]
	s_waitcnt lgkmcnt(0)
	; wave barrier
	s_waitcnt lgkmcnt(0)
	buffer_load_dword v16, off, s[0:3], 0 offset:248
	buffer_load_dword v17, off, s[0:3], 0 offset:252
	;; [unrolled: 1-line block ×16, first 2 shown]
	v_mov_b32_e32 v2, 0
	ds_read_b128 v[4:7], v2 offset:528
	ds_read_b128 v[8:11], v2 offset:544
	;; [unrolled: 1-line block ×3, first 2 shown]
	v_cmp_lt_u32_e32 vcc, 13, v112
	s_waitcnt vmcnt(14) lgkmcnt(2)
	v_mul_f64 v[68:69], v[4:5], v[16:17]
	v_mul_f64 v[16:17], v[6:7], v[16:17]
	s_waitcnt vmcnt(12) lgkmcnt(1)
	v_mul_f64 v[70:71], v[8:9], v[18:19]
	v_mul_f64 v[18:19], v[10:11], v[18:19]
	;; [unrolled: 3-line block ×3, first 2 shown]
	s_waitcnt vmcnt(8)
	v_fma_f64 v[4:5], v[4:5], v[22:23], -v[16:17]
	v_fmac_f64_e32 v[68:69], v[6:7], v[22:23]
	s_waitcnt vmcnt(6)
	v_fma_f64 v[6:7], v[8:9], v[24:25], -v[18:19]
	v_add_f64 v[4:5], v[4:5], 0
	v_fmac_f64_e32 v[70:71], v[10:11], v[24:25]
	s_waitcnt vmcnt(4)
	v_fma_f64 v[8:9], v[12:13], v[26:27], -v[20:21]
	v_add_f64 v[10:11], v[68:69], 0
	v_add_f64 v[4:5], v[4:5], v[6:7]
	v_fmac_f64_e32 v[72:73], v[14:15], v[26:27]
	v_add_f64 v[10:11], v[10:11], v[70:71]
	v_add_f64 v[4:5], v[4:5], v[8:9]
	;; [unrolled: 1-line block ×3, first 2 shown]
	s_waitcnt vmcnt(2)
	v_add_f64 v[4:5], v[28:29], -v[4:5]
	s_waitcnt vmcnt(0)
	v_add_f64 v[6:7], v[66:67], -v[6:7]
	buffer_store_dword v4, off, s[0:3], 0 offset:224
	buffer_store_dword v5, off, s[0:3], 0 offset:228
	;; [unrolled: 1-line block ×4, first 2 shown]
	s_and_saveexec_b64 s[6:7], vcc
	s_cbranch_execz .LBB81_95
; %bb.94:
	buffer_load_dword v4, v100, s[0:3], 0 offen
	buffer_load_dword v5, v100, s[0:3], 0 offen offset:4
	buffer_load_dword v6, v100, s[0:3], 0 offen offset:8
	;; [unrolled: 1-line block ×3, first 2 shown]
	s_nop 0
	buffer_store_dword v2, off, s[0:3], 0 offset:208
	buffer_store_dword v2, off, s[0:3], 0 offset:212
	;; [unrolled: 1-line block ×4, first 2 shown]
	s_waitcnt vmcnt(4)
	ds_write_b128 v113, v[4:7]
.LBB81_95:
	s_or_b64 exec, exec, s[6:7]
	s_waitcnt lgkmcnt(0)
	; wave barrier
	s_waitcnt lgkmcnt(0)
	buffer_load_dword v20, off, s[0:3], 0 offset:232
	buffer_load_dword v21, off, s[0:3], 0 offset:236
	;; [unrolled: 1-line block ×20, first 2 shown]
	ds_read_b128 v[4:7], v2 offset:512
	ds_read_b128 v[8:11], v2 offset:528
	;; [unrolled: 1-line block ×4, first 2 shown]
	v_cmp_lt_u32_e32 vcc, 12, v112
	s_waitcnt vmcnt(18) lgkmcnt(3)
	v_mul_f64 v[2:3], v[4:5], v[20:21]
	v_mul_f64 v[20:21], v[6:7], v[20:21]
	s_waitcnt vmcnt(16) lgkmcnt(2)
	v_mul_f64 v[76:77], v[8:9], v[22:23]
	v_mul_f64 v[22:23], v[10:11], v[22:23]
	;; [unrolled: 3-line block ×4, first 2 shown]
	s_waitcnt vmcnt(10)
	v_fma_f64 v[4:5], v[4:5], v[28:29], -v[20:21]
	v_fmac_f64_e32 v[2:3], v[6:7], v[28:29]
	s_waitcnt vmcnt(8)
	v_fma_f64 v[6:7], v[8:9], v[66:67], -v[22:23]
	v_add_f64 v[4:5], v[4:5], 0
	v_fmac_f64_e32 v[76:77], v[10:11], v[66:67]
	s_waitcnt vmcnt(6)
	v_fma_f64 v[8:9], v[12:13], v[68:69], -v[24:25]
	v_add_f64 v[2:3], v[2:3], 0
	v_add_f64 v[4:5], v[4:5], v[6:7]
	v_fmac_f64_e32 v[78:79], v[14:15], v[68:69]
	s_waitcnt vmcnt(4)
	v_fma_f64 v[10:11], v[16:17], v[70:71], -v[26:27]
	v_add_f64 v[2:3], v[2:3], v[76:77]
	v_add_f64 v[4:5], v[4:5], v[8:9]
	v_fmac_f64_e32 v[80:81], v[18:19], v[70:71]
	v_add_f64 v[2:3], v[2:3], v[78:79]
	v_add_f64 v[4:5], v[4:5], v[10:11]
	;; [unrolled: 1-line block ×3, first 2 shown]
	s_waitcnt vmcnt(2)
	v_add_f64 v[4:5], v[72:73], -v[4:5]
	s_waitcnt vmcnt(0)
	v_add_f64 v[2:3], v[74:75], -v[2:3]
	buffer_store_dword v4, off, s[0:3], 0 offset:208
	buffer_store_dword v5, off, s[0:3], 0 offset:212
	;; [unrolled: 1-line block ×4, first 2 shown]
	s_and_saveexec_b64 s[6:7], vcc
	s_cbranch_execz .LBB81_97
; %bb.96:
	buffer_load_dword v2, v98, s[0:3], 0 offen
	buffer_load_dword v3, v98, s[0:3], 0 offen offset:4
	buffer_load_dword v4, v98, s[0:3], 0 offen offset:8
	;; [unrolled: 1-line block ×3, first 2 shown]
	v_mov_b32_e32 v6, 0
	buffer_store_dword v6, off, s[0:3], 0 offset:192
	buffer_store_dword v6, off, s[0:3], 0 offset:196
	;; [unrolled: 1-line block ×4, first 2 shown]
	s_waitcnt vmcnt(4)
	ds_write_b128 v113, v[2:5]
.LBB81_97:
	s_or_b64 exec, exec, s[6:7]
	s_waitcnt lgkmcnt(0)
	; wave barrier
	s_waitcnt lgkmcnt(0)
	buffer_load_dword v24, off, s[0:3], 0 offset:216
	buffer_load_dword v25, off, s[0:3], 0 offset:220
	;; [unrolled: 1-line block ×24, first 2 shown]
	v_mov_b32_e32 v2, 0
	ds_read_b128 v[4:7], v2 offset:496
	ds_read_b128 v[8:11], v2 offset:512
	;; [unrolled: 1-line block ×5, first 2 shown]
	v_cmp_lt_u32_e32 vcc, 11, v112
	s_waitcnt vmcnt(22) lgkmcnt(4)
	v_mul_f64 v[84:85], v[4:5], v[24:25]
	v_mul_f64 v[24:25], v[6:7], v[24:25]
	s_waitcnt vmcnt(20) lgkmcnt(3)
	v_mul_f64 v[86:87], v[8:9], v[26:27]
	v_mul_f64 v[26:27], v[10:11], v[26:27]
	;; [unrolled: 3-line block ×4, first 2 shown]
	s_waitcnt vmcnt(13) lgkmcnt(0)
	v_mul_f64 v[92:93], v[20:21], v[66:67]
	s_waitcnt vmcnt(11)
	v_fma_f64 v[4:5], v[4:5], v[72:73], -v[24:25]
	v_fmac_f64_e32 v[84:85], v[6:7], v[72:73]
	s_waitcnt vmcnt(9)
	v_fma_f64 v[6:7], v[8:9], v[74:75], -v[26:27]
	v_add_f64 v[4:5], v[4:5], 0
	v_fmac_f64_e32 v[86:87], v[10:11], v[74:75]
	s_waitcnt vmcnt(7)
	v_fmac_f64_e32 v[88:89], v[14:15], v[76:77]
	v_fma_f64 v[8:9], v[12:13], v[76:77], -v[28:29]
	v_add_f64 v[14:15], v[84:85], 0
	v_add_f64 v[4:5], v[4:5], v[6:7]
	v_mul_f64 v[66:67], v[22:23], v[66:67]
	s_waitcnt vmcnt(5)
	v_fma_f64 v[10:11], v[16:17], v[78:79], -v[70:71]
	v_add_f64 v[14:15], v[14:15], v[86:87]
	v_add_f64 v[4:5], v[4:5], v[8:9]
	v_fmac_f64_e32 v[90:91], v[18:19], v[78:79]
	s_waitcnt vmcnt(4)
	v_fma_f64 v[12:13], v[20:21], v[68:69], -v[66:67]
	v_add_f64 v[6:7], v[14:15], v[88:89]
	v_add_f64 v[4:5], v[4:5], v[10:11]
	v_fmac_f64_e32 v[92:93], v[22:23], v[68:69]
	v_add_f64 v[6:7], v[6:7], v[90:91]
	v_add_f64 v[4:5], v[4:5], v[12:13]
	;; [unrolled: 1-line block ×3, first 2 shown]
	s_waitcnt vmcnt(2)
	v_add_f64 v[4:5], v[80:81], -v[4:5]
	s_waitcnt vmcnt(0)
	v_add_f64 v[6:7], v[82:83], -v[6:7]
	buffer_store_dword v5, off, s[0:3], 0 offset:196
	buffer_store_dword v4, off, s[0:3], 0 offset:192
	;; [unrolled: 1-line block ×4, first 2 shown]
	s_and_saveexec_b64 s[6:7], vcc
	s_cbranch_execz .LBB81_99
; %bb.98:
	buffer_load_dword v4, v99, s[0:3], 0 offen
	buffer_load_dword v5, v99, s[0:3], 0 offen offset:4
	buffer_load_dword v6, v99, s[0:3], 0 offen offset:8
	buffer_load_dword v7, v99, s[0:3], 0 offen offset:12
	s_nop 0
	buffer_store_dword v2, off, s[0:3], 0 offset:176
	buffer_store_dword v2, off, s[0:3], 0 offset:180
	;; [unrolled: 1-line block ×4, first 2 shown]
	s_waitcnt vmcnt(4)
	ds_write_b128 v113, v[4:7]
.LBB81_99:
	s_or_b64 exec, exec, s[6:7]
	s_waitcnt lgkmcnt(0)
	; wave barrier
	s_waitcnt lgkmcnt(0)
	buffer_load_dword v28, off, s[0:3], 0 offset:200
	buffer_load_dword v29, off, s[0:3], 0 offset:204
	;; [unrolled: 1-line block ×28, first 2 shown]
	ds_read_b128 v[4:7], v2 offset:480
	ds_read_b128 v[8:11], v2 offset:496
	;; [unrolled: 1-line block ×6, first 2 shown]
	v_cmp_lt_u32_e32 vcc, 10, v112
	s_waitcnt vmcnt(26) lgkmcnt(5)
	v_mul_f64 v[2:3], v[4:5], v[28:29]
	v_mul_f64 v[28:29], v[6:7], v[28:29]
	s_waitcnt vmcnt(24) lgkmcnt(4)
	v_mul_f64 v[92:93], v[8:9], v[66:67]
	v_mul_f64 v[66:67], v[10:11], v[66:67]
	;; [unrolled: 3-line block ×4, first 2 shown]
	s_waitcnt vmcnt(17)
	v_mul_f64 v[114:115], v[16:17], v[74:75]
	v_mul_f64 v[74:75], v[18:19], v[74:75]
	s_waitcnt vmcnt(15) lgkmcnt(0)
	v_mul_f64 v[118:119], v[24:25], v[76:77]
	v_mul_f64 v[76:77], v[26:27], v[76:77]
	s_waitcnt vmcnt(14)
	v_fmac_f64_e32 v[116:117], v[22:23], v[72:73]
	s_waitcnt vmcnt(12)
	v_fma_f64 v[4:5], v[4:5], v[78:79], -v[28:29]
	v_fmac_f64_e32 v[2:3], v[6:7], v[78:79]
	s_waitcnt vmcnt(10)
	v_fma_f64 v[6:7], v[8:9], v[80:81], -v[66:67]
	v_add_f64 v[4:5], v[4:5], 0
	v_fmac_f64_e32 v[92:93], v[10:11], v[80:81]
	s_waitcnt vmcnt(8)
	v_fma_f64 v[8:9], v[12:13], v[82:83], -v[68:69]
	v_add_f64 v[2:3], v[2:3], 0
	v_add_f64 v[4:5], v[4:5], v[6:7]
	v_fmac_f64_e32 v[94:95], v[14:15], v[82:83]
	s_waitcnt vmcnt(6)
	v_fma_f64 v[10:11], v[16:17], v[84:85], -v[74:75]
	v_add_f64 v[2:3], v[2:3], v[92:93]
	v_add_f64 v[4:5], v[4:5], v[8:9]
	v_fmac_f64_e32 v[114:115], v[18:19], v[84:85]
	v_fma_f64 v[12:13], v[20:21], v[72:73], -v[70:71]
	v_add_f64 v[2:3], v[2:3], v[94:95]
	v_add_f64 v[4:5], v[4:5], v[10:11]
	s_waitcnt vmcnt(4)
	v_fma_f64 v[14:15], v[24:25], v[86:87], -v[76:77]
	v_add_f64 v[2:3], v[2:3], v[114:115]
	v_add_f64 v[4:5], v[4:5], v[12:13]
	v_fmac_f64_e32 v[118:119], v[26:27], v[86:87]
	v_add_f64 v[2:3], v[2:3], v[116:117]
	v_add_f64 v[4:5], v[4:5], v[14:15]
	;; [unrolled: 1-line block ×3, first 2 shown]
	s_waitcnt vmcnt(2)
	v_add_f64 v[4:5], v[88:89], -v[4:5]
	s_waitcnt vmcnt(0)
	v_add_f64 v[2:3], v[90:91], -v[2:3]
	buffer_store_dword v5, off, s[0:3], 0 offset:180
	buffer_store_dword v4, off, s[0:3], 0 offset:176
	;; [unrolled: 1-line block ×4, first 2 shown]
	s_and_saveexec_b64 s[6:7], vcc
	s_cbranch_execz .LBB81_101
; %bb.100:
	buffer_load_dword v2, v105, s[0:3], 0 offen
	buffer_load_dword v3, v105, s[0:3], 0 offen offset:4
	buffer_load_dword v4, v105, s[0:3], 0 offen offset:8
	;; [unrolled: 1-line block ×3, first 2 shown]
	v_mov_b32_e32 v6, 0
	buffer_store_dword v6, off, s[0:3], 0 offset:160
	buffer_store_dword v6, off, s[0:3], 0 offset:164
	;; [unrolled: 1-line block ×4, first 2 shown]
	s_waitcnt vmcnt(4)
	ds_write_b128 v113, v[2:5]
.LBB81_101:
	s_or_b64 exec, exec, s[6:7]
	v_mov_b32_e32 v6, 0
	s_waitcnt lgkmcnt(0)
	; wave barrier
	s_waitcnt lgkmcnt(0)
	ds_read_b128 v[8:11], v6 offset:464
	ds_read_b128 v[12:15], v6 offset:480
	;; [unrolled: 1-line block ×4, first 2 shown]
	buffer_load_dword v4, off, s[0:3], 0 offset:160
	buffer_load_dword v5, off, s[0:3], 0 offset:164
	;; [unrolled: 1-line block ×20, first 2 shown]
	v_cmp_lt_u32_e32 vcc, 9, v112
	s_waitcnt vmcnt(12) lgkmcnt(3)
	v_mul_f64 v[24:25], v[8:9], v[74:75]
	v_fmac_f64_e32 v[24:25], v[10:11], v[28:29]
	v_add_f64 v[24:25], v[24:25], 0
	v_mul_f64 v[10:11], v[10:11], v[74:75]
	s_waitcnt vmcnt(8) lgkmcnt(2)
	v_mul_f64 v[26:27], v[12:13], v[78:79]
	v_fmac_f64_e32 v[26:27], v[14:15], v[76:77]
	v_add_f64 v[24:25], v[24:25], v[26:27]
	v_fma_f64 v[8:9], v[8:9], v[28:29], -v[10:11]
	s_waitcnt vmcnt(4) lgkmcnt(1)
	v_mul_f64 v[26:27], v[16:17], v[82:83]
	v_fmac_f64_e32 v[26:27], v[18:19], v[80:81]
	v_add_f64 v[24:25], v[24:25], v[26:27]
	s_waitcnt vmcnt(0) lgkmcnt(0)
	v_mul_f64 v[26:27], v[20:21], v[86:87]
	v_fmac_f64_e32 v[26:27], v[22:23], v[84:85]
	v_add_f64 v[66:67], v[24:25], v[26:27]
	ds_read_b128 v[24:27], v6 offset:528
	buffer_load_dword v89, off, s[0:3], 0 offset:244
	buffer_load_dword v88, off, s[0:3], 0 offset:240
	;; [unrolled: 1-line block ×4, first 2 shown]
	v_mul_f64 v[10:11], v[14:15], v[78:79]
	v_add_f64 v[8:9], v[8:9], 0
	v_fma_f64 v[10:11], v[12:13], v[76:77], -v[10:11]
	v_add_f64 v[8:9], v[8:9], v[10:11]
	v_mul_f64 v[10:11], v[18:19], v[82:83]
	v_fma_f64 v[10:11], v[16:17], v[80:81], -v[10:11]
	v_add_f64 v[8:9], v[8:9], v[10:11]
	v_mul_f64 v[10:11], v[22:23], v[86:87]
	v_fma_f64 v[10:11], v[20:21], v[84:85], -v[10:11]
	v_add_f64 v[8:9], v[8:9], v[10:11]
	s_waitcnt vmcnt(0) lgkmcnt(0)
	v_mul_f64 v[68:69], v[24:25], v[90:91]
	v_fmac_f64_e32 v[68:69], v[26:27], v[88:89]
	v_add_f64 v[70:71], v[66:67], v[68:69]
	ds_read_b128 v[66:69], v6 offset:544
	buffer_load_dword v93, off, s[0:3], 0 offset:260
	buffer_load_dword v92, off, s[0:3], 0 offset:256
	;; [unrolled: 1-line block ×4, first 2 shown]
	v_mul_f64 v[10:11], v[26:27], v[90:91]
	v_fma_f64 v[10:11], v[24:25], v[88:89], -v[10:11]
	v_add_f64 v[8:9], v[8:9], v[10:11]
	s_waitcnt vmcnt(0) lgkmcnt(0)
	v_mul_f64 v[72:73], v[66:67], v[94:95]
	v_fmac_f64_e32 v[72:73], v[68:69], v[92:93]
	v_add_f64 v[114:115], v[70:71], v[72:73]
	ds_read_b128 v[70:73], v6 offset:560
	buffer_load_dword v117, off, s[0:3], 0 offset:276
	buffer_load_dword v116, off, s[0:3], 0 offset:272
	buffer_load_dword v119, off, s[0:3], 0 offset:284
	buffer_load_dword v118, off, s[0:3], 0 offset:280
	v_mul_f64 v[10:11], v[68:69], v[94:95]
	v_fma_f64 v[10:11], v[66:67], v[92:93], -v[10:11]
	v_add_f64 v[8:9], v[8:9], v[10:11]
	s_waitcnt vmcnt(0) lgkmcnt(0)
	v_mul_f64 v[10:11], v[72:73], v[118:119]
	v_mul_f64 v[120:121], v[70:71], v[118:119]
	v_fma_f64 v[10:11], v[70:71], v[116:117], -v[10:11]
	v_fmac_f64_e32 v[120:121], v[72:73], v[116:117]
	v_add_f64 v[8:9], v[8:9], v[10:11]
	v_add_f64 v[114:115], v[114:115], v[120:121]
	v_add_f64 v[4:5], v[4:5], -v[8:9]
	v_add_f64 v[2:3], v[2:3], -v[114:115]
	buffer_store_dword v5, off, s[0:3], 0 offset:164
	buffer_store_dword v4, off, s[0:3], 0 offset:160
	;; [unrolled: 1-line block ×4, first 2 shown]
	s_and_saveexec_b64 s[6:7], vcc
	s_cbranch_execz .LBB81_103
; %bb.102:
	buffer_load_dword v2, v104, s[0:3], 0 offen
	buffer_load_dword v3, v104, s[0:3], 0 offen offset:4
	buffer_load_dword v4, v104, s[0:3], 0 offen offset:8
	;; [unrolled: 1-line block ×3, first 2 shown]
	s_nop 0
	buffer_store_dword v6, off, s[0:3], 0 offset:144
	buffer_store_dword v6, off, s[0:3], 0 offset:148
	;; [unrolled: 1-line block ×4, first 2 shown]
	s_waitcnt vmcnt(4)
	ds_write_b128 v113, v[2:5]
.LBB81_103:
	s_or_b64 exec, exec, s[6:7]
	s_waitcnt lgkmcnt(0)
	; wave barrier
	s_waitcnt lgkmcnt(0)
	buffer_load_dword v28, off, s[0:3], 0 offset:168
	buffer_load_dword v29, off, s[0:3], 0 offset:172
	;; [unrolled: 1-line block ×36, first 2 shown]
	ds_read_b128 v[2:5], v6 offset:448
	ds_read_b128 v[8:11], v6 offset:464
	;; [unrolled: 1-line block ×8, first 2 shown]
	v_cmp_lt_u32_e32 vcc, 8, v112
	s_waitcnt vmcnt(34) lgkmcnt(7)
	v_mul_f64 v[6:7], v[2:3], v[28:29]
	v_mul_f64 v[28:29], v[4:5], v[28:29]
	s_waitcnt vmcnt(32) lgkmcnt(6)
	v_mul_f64 v[126:127], v[8:9], v[74:75]
	v_mul_f64 v[74:75], v[10:11], v[74:75]
	;; [unrolled: 3-line block ×4, first 2 shown]
	s_waitcnt vmcnt(25)
	v_mul_f64 v[130:131], v[16:17], v[82:83]
	v_mul_f64 v[82:83], v[18:19], v[82:83]
	s_waitcnt vmcnt(23) lgkmcnt(1)
	v_mul_f64 v[136:137], v[66:67], v[84:85]
	v_mul_f64 v[84:85], v[68:69], v[84:85]
	s_waitcnt vmcnt(20)
	v_mul_f64 v[134:135], v[24:25], v[88:89]
	v_mul_f64 v[88:89], v[26:27], v[88:89]
	s_waitcnt vmcnt(18) lgkmcnt(0)
	v_mul_f64 v[138:139], v[70:71], v[90:91]
	s_waitcnt vmcnt(17)
	v_fmac_f64_e32 v[132:133], v[22:23], v[80:81]
	s_waitcnt vmcnt(16)
	v_fmac_f64_e32 v[136:137], v[68:69], v[86:87]
	s_waitcnt vmcnt(14)
	v_fma_f64 v[2:3], v[2:3], v[92:93], -v[28:29]
	v_fmac_f64_e32 v[6:7], v[4:5], v[92:93]
	s_waitcnt vmcnt(12)
	v_fma_f64 v[4:5], v[8:9], v[94:95], -v[74:75]
	v_add_f64 v[2:3], v[2:3], 0
	v_fmac_f64_e32 v[126:127], v[10:11], v[94:95]
	s_waitcnt vmcnt(10)
	v_fma_f64 v[8:9], v[12:13], v[114:115], -v[76:77]
	v_add_f64 v[6:7], v[6:7], 0
	v_add_f64 v[2:3], v[2:3], v[4:5]
	v_fmac_f64_e32 v[128:129], v[14:15], v[114:115]
	s_waitcnt vmcnt(8)
	v_fma_f64 v[10:11], v[16:17], v[116:117], -v[82:83]
	v_add_f64 v[6:7], v[6:7], v[126:127]
	v_add_f64 v[2:3], v[2:3], v[8:9]
	v_fmac_f64_e32 v[130:131], v[18:19], v[116:117]
	v_fma_f64 v[12:13], v[20:21], v[80:81], -v[78:79]
	v_add_f64 v[4:5], v[6:7], v[128:129]
	v_add_f64 v[2:3], v[2:3], v[10:11]
	s_waitcnt vmcnt(6)
	v_fma_f64 v[14:15], v[24:25], v[118:119], -v[88:89]
	v_add_f64 v[4:5], v[4:5], v[130:131]
	v_add_f64 v[2:3], v[2:3], v[12:13]
	v_fmac_f64_e32 v[134:135], v[26:27], v[118:119]
	v_fma_f64 v[16:17], v[66:67], v[86:87], -v[84:85]
	v_add_f64 v[4:5], v[4:5], v[132:133]
	v_add_f64 v[2:3], v[2:3], v[14:15]
	v_mul_f64 v[6:7], v[72:73], v[90:91]
	v_add_f64 v[4:5], v[4:5], v[134:135]
	v_add_f64 v[2:3], v[2:3], v[16:17]
	s_waitcnt vmcnt(4)
	v_fma_f64 v[6:7], v[70:71], v[120:121], -v[6:7]
	v_fmac_f64_e32 v[138:139], v[72:73], v[120:121]
	v_add_f64 v[4:5], v[4:5], v[136:137]
	v_add_f64 v[2:3], v[2:3], v[6:7]
	;; [unrolled: 1-line block ×3, first 2 shown]
	s_waitcnt vmcnt(2)
	v_add_f64 v[2:3], v[122:123], -v[2:3]
	s_waitcnt vmcnt(0)
	v_add_f64 v[4:5], v[124:125], -v[4:5]
	buffer_store_dword v3, off, s[0:3], 0 offset:148
	buffer_store_dword v2, off, s[0:3], 0 offset:144
	;; [unrolled: 1-line block ×4, first 2 shown]
	s_and_saveexec_b64 s[6:7], vcc
	s_cbranch_execz .LBB81_105
; %bb.104:
	buffer_load_dword v2, v103, s[0:3], 0 offen
	buffer_load_dword v3, v103, s[0:3], 0 offen offset:4
	buffer_load_dword v4, v103, s[0:3], 0 offen offset:8
	;; [unrolled: 1-line block ×3, first 2 shown]
	v_mov_b32_e32 v6, 0
	buffer_store_dword v6, off, s[0:3], 0 offset:128
	buffer_store_dword v6, off, s[0:3], 0 offset:132
	;; [unrolled: 1-line block ×4, first 2 shown]
	s_waitcnt vmcnt(4)
	ds_write_b128 v113, v[2:5]
.LBB81_105:
	s_or_b64 exec, exec, s[6:7]
	s_waitcnt lgkmcnt(0)
	; wave barrier
	s_waitcnt lgkmcnt(0)
	buffer_load_dword v28, off, s[0:3], 0 offset:152
	buffer_load_dword v29, off, s[0:3], 0 offset:156
	;; [unrolled: 1-line block ×40, first 2 shown]
	v_mov_b32_e32 v6, 0
	ds_read_b128 v[2:5], v6 offset:432
	ds_read_b128 v[8:11], v6 offset:448
	;; [unrolled: 1-line block ×9, first 2 shown]
	v_cmp_lt_u32_e32 vcc, 7, v112
	s_waitcnt vmcnt(38) lgkmcnt(8)
	v_mul_f64 v[134:135], v[2:3], v[28:29]
	v_mul_f64 v[28:29], v[4:5], v[28:29]
	s_waitcnt vmcnt(36) lgkmcnt(7)
	v_mul_f64 v[136:137], v[8:9], v[78:79]
	v_mul_f64 v[78:79], v[10:11], v[78:79]
	;; [unrolled: 3-line block ×3, first 2 shown]
	s_waitcnt vmcnt(32) lgkmcnt(4)
	v_mul_f64 v[142:143], v[20:21], v[82:83]
	s_waitcnt vmcnt(30)
	v_fmac_f64_e32 v[142:143], v[22:23], v[84:85]
	s_waitcnt vmcnt(28)
	v_mul_f64 v[140:141], v[16:17], v[86:87]
	v_mul_f64 v[86:87], v[18:19], v[86:87]
	s_waitcnt vmcnt(26) lgkmcnt(2)
	v_mul_f64 v[146:147], v[66:67], v[88:89]
	s_waitcnt vmcnt(24)
	v_fmac_f64_e32 v[146:147], v[68:69], v[90:91]
	s_waitcnt vmcnt(22)
	v_mul_f64 v[144:145], v[24:25], v[92:93]
	s_waitcnt vmcnt(18) lgkmcnt(1)
	v_mul_f64 v[148:149], v[70:71], v[116:117]
	s_waitcnt vmcnt(17) lgkmcnt(0)
	v_mul_f64 v[150:151], v[74:75], v[94:95]
	s_waitcnt vmcnt(15)
	v_fma_f64 v[2:3], v[2:3], v[118:119], -v[28:29]
	v_fmac_f64_e32 v[134:135], v[4:5], v[118:119]
	s_waitcnt vmcnt(13)
	v_fma_f64 v[4:5], v[8:9], v[120:121], -v[78:79]
	v_add_f64 v[2:3], v[2:3], 0
	s_waitcnt vmcnt(11)
	v_fma_f64 v[8:9], v[12:13], v[122:123], -v[80:81]
	v_add_f64 v[2:3], v[2:3], v[4:5]
	v_fmac_f64_e32 v[136:137], v[10:11], v[120:121]
	s_waitcnt vmcnt(9)
	v_fma_f64 v[10:11], v[16:17], v[124:125], -v[86:87]
	v_add_f64 v[2:3], v[2:3], v[8:9]
	v_mul_f64 v[8:9], v[22:23], v[82:83]
	v_add_f64 v[2:3], v[2:3], v[10:11]
	v_fma_f64 v[8:9], v[20:21], v[84:85], -v[8:9]
	v_add_f64 v[2:3], v[2:3], v[8:9]
	v_mul_f64 v[8:9], v[26:27], v[92:93]
	v_add_f64 v[12:13], v[134:135], 0
	s_waitcnt vmcnt(7)
	v_fma_f64 v[8:9], v[24:25], v[126:127], -v[8:9]
	v_fmac_f64_e32 v[138:139], v[14:15], v[122:123]
	v_add_f64 v[12:13], v[12:13], v[136:137]
	v_add_f64 v[2:3], v[2:3], v[8:9]
	v_mul_f64 v[8:9], v[68:69], v[88:89]
	v_fmac_f64_e32 v[140:141], v[18:19], v[124:125]
	v_add_f64 v[4:5], v[12:13], v[138:139]
	v_fma_f64 v[8:9], v[66:67], v[90:91], -v[8:9]
	v_add_f64 v[4:5], v[4:5], v[140:141]
	v_add_f64 v[2:3], v[2:3], v[8:9]
	v_mul_f64 v[8:9], v[72:73], v[116:117]
	v_fmac_f64_e32 v[144:145], v[26:27], v[126:127]
	v_add_f64 v[4:5], v[4:5], v[142:143]
	s_waitcnt vmcnt(5)
	v_fma_f64 v[8:9], v[70:71], v[128:129], -v[8:9]
	v_add_f64 v[4:5], v[4:5], v[144:145]
	v_add_f64 v[2:3], v[2:3], v[8:9]
	v_mul_f64 v[8:9], v[76:77], v[94:95]
	v_fmac_f64_e32 v[148:149], v[72:73], v[128:129]
	v_add_f64 v[4:5], v[4:5], v[146:147]
	s_waitcnt vmcnt(4)
	v_fma_f64 v[8:9], v[74:75], v[114:115], -v[8:9]
	v_fmac_f64_e32 v[150:151], v[76:77], v[114:115]
	v_add_f64 v[4:5], v[4:5], v[148:149]
	v_add_f64 v[2:3], v[2:3], v[8:9]
	;; [unrolled: 1-line block ×3, first 2 shown]
	s_waitcnt vmcnt(2)
	v_add_f64 v[2:3], v[130:131], -v[2:3]
	s_waitcnt vmcnt(0)
	v_add_f64 v[4:5], v[132:133], -v[4:5]
	buffer_store_dword v3, off, s[0:3], 0 offset:132
	buffer_store_dword v2, off, s[0:3], 0 offset:128
	;; [unrolled: 1-line block ×4, first 2 shown]
	s_and_saveexec_b64 s[6:7], vcc
	s_cbranch_execz .LBB81_107
; %bb.106:
	buffer_load_dword v2, v102, s[0:3], 0 offen
	buffer_load_dword v3, v102, s[0:3], 0 offen offset:4
	buffer_load_dword v4, v102, s[0:3], 0 offen offset:8
	;; [unrolled: 1-line block ×3, first 2 shown]
	s_nop 0
	buffer_store_dword v6, off, s[0:3], 0 offset:112
	buffer_store_dword v6, off, s[0:3], 0 offset:116
	;; [unrolled: 1-line block ×4, first 2 shown]
	s_waitcnt vmcnt(4)
	ds_write_b128 v113, v[2:5]
.LBB81_107:
	s_or_b64 exec, exec, s[6:7]
	s_waitcnt lgkmcnt(0)
	; wave barrier
	s_waitcnt lgkmcnt(0)
	buffer_load_dword v4, off, s[0:3], 0 offset:128
	buffer_load_dword v5, off, s[0:3], 0 offset:132
	;; [unrolled: 1-line block ×44, first 2 shown]
	ds_read_b128 v[8:11], v6 offset:416
	ds_read_b128 v[12:15], v6 offset:432
	;; [unrolled: 1-line block ×10, first 2 shown]
	v_cmp_lt_u32_e32 vcc, 6, v112
	s_waitcnt vmcnt(40) lgkmcnt(9)
	v_mul_f64 v[6:7], v[8:9], v[28:29]
	v_mul_f64 v[28:29], v[10:11], v[28:29]
	s_waitcnt vmcnt(38) lgkmcnt(8)
	v_mul_f64 v[142:143], v[12:13], v[86:87]
	v_mul_f64 v[86:87], v[14:15], v[86:87]
	v_fmac_f64_e32 v[6:7], v[10:11], v[4:5]
	v_fma_f64 v[4:5], v[8:9], v[4:5], -v[28:29]
	s_waitcnt vmcnt(36) lgkmcnt(7)
	v_mul_f64 v[144:145], v[16:17], v[2:3]
	v_add_f64 v[4:5], v[4:5], 0
	v_mul_f64 v[2:3], v[18:19], v[2:3]
	v_add_f64 v[6:7], v[6:7], 0
	s_waitcnt vmcnt(30) lgkmcnt(6)
	v_mul_f64 v[146:147], v[20:21], v[92:93]
	s_waitcnt lgkmcnt(5)
	v_mul_f64 v[148:149], v[24:25], v[88:89]
	v_fmac_f64_e32 v[148:149], v[26:27], v[90:91]
	s_waitcnt vmcnt(28) lgkmcnt(3)
	v_mul_f64 v[152:153], v[70:71], v[94:95]
	s_waitcnt vmcnt(26)
	v_fmac_f64_e32 v[152:153], v[72:73], v[114:115]
	s_waitcnt vmcnt(24)
	v_mul_f64 v[150:151], v[66:67], v[116:117]
	s_waitcnt vmcnt(22) lgkmcnt(1)
	v_mul_f64 v[156:157], v[78:79], v[118:119]
	s_waitcnt vmcnt(20)
	v_fmac_f64_e32 v[156:157], v[80:81], v[120:121]
	s_waitcnt vmcnt(18)
	v_mul_f64 v[154:155], v[74:75], v[122:123]
	s_waitcnt vmcnt(16) lgkmcnt(0)
	v_mul_f64 v[158:159], v[82:83], v[124:125]
	s_waitcnt vmcnt(14)
	v_fma_f64 v[8:9], v[12:13], v[126:127], -v[86:87]
	v_add_f64 v[4:5], v[4:5], v[8:9]
	s_waitcnt vmcnt(12)
	v_fma_f64 v[2:3], v[16:17], v[128:129], -v[2:3]
	v_add_f64 v[2:3], v[4:5], v[2:3]
	v_mul_f64 v[4:5], v[22:23], v[92:93]
	s_waitcnt vmcnt(10)
	v_fma_f64 v[4:5], v[20:21], v[130:131], -v[4:5]
	v_add_f64 v[2:3], v[2:3], v[4:5]
	v_mul_f64 v[4:5], v[26:27], v[88:89]
	v_fma_f64 v[4:5], v[24:25], v[90:91], -v[4:5]
	v_add_f64 v[2:3], v[2:3], v[4:5]
	v_mul_f64 v[4:5], v[68:69], v[116:117]
	s_waitcnt vmcnt(8)
	v_fma_f64 v[4:5], v[66:67], v[132:133], -v[4:5]
	v_fmac_f64_e32 v[142:143], v[14:15], v[126:127]
	v_add_f64 v[2:3], v[2:3], v[4:5]
	v_mul_f64 v[4:5], v[72:73], v[94:95]
	v_fmac_f64_e32 v[144:145], v[18:19], v[128:129]
	v_add_f64 v[6:7], v[6:7], v[142:143]
	v_fma_f64 v[4:5], v[70:71], v[114:115], -v[4:5]
	v_fmac_f64_e32 v[146:147], v[22:23], v[130:131]
	v_add_f64 v[6:7], v[6:7], v[144:145]
	v_add_f64 v[2:3], v[2:3], v[4:5]
	v_mul_f64 v[4:5], v[76:77], v[122:123]
	v_add_f64 v[6:7], v[6:7], v[146:147]
	s_waitcnt vmcnt(6)
	v_fma_f64 v[4:5], v[74:75], v[134:135], -v[4:5]
	v_fmac_f64_e32 v[150:151], v[68:69], v[132:133]
	v_add_f64 v[6:7], v[6:7], v[148:149]
	v_add_f64 v[2:3], v[2:3], v[4:5]
	v_mul_f64 v[4:5], v[80:81], v[118:119]
	v_add_f64 v[6:7], v[6:7], v[150:151]
	v_fma_f64 v[4:5], v[78:79], v[120:121], -v[4:5]
	v_fmac_f64_e32 v[154:155], v[76:77], v[134:135]
	v_add_f64 v[6:7], v[6:7], v[152:153]
	v_add_f64 v[2:3], v[2:3], v[4:5]
	v_mul_f64 v[4:5], v[84:85], v[124:125]
	v_add_f64 v[6:7], v[6:7], v[154:155]
	s_waitcnt vmcnt(4)
	v_fma_f64 v[4:5], v[82:83], v[136:137], -v[4:5]
	v_fmac_f64_e32 v[158:159], v[84:85], v[136:137]
	v_add_f64 v[6:7], v[6:7], v[156:157]
	v_add_f64 v[2:3], v[2:3], v[4:5]
	;; [unrolled: 1-line block ×3, first 2 shown]
	s_waitcnt vmcnt(2)
	v_add_f64 v[2:3], v[138:139], -v[2:3]
	s_waitcnt vmcnt(0)
	v_add_f64 v[4:5], v[140:141], -v[6:7]
	buffer_store_dword v3, off, s[0:3], 0 offset:116
	buffer_store_dword v2, off, s[0:3], 0 offset:112
	buffer_store_dword v5, off, s[0:3], 0 offset:124
	buffer_store_dword v4, off, s[0:3], 0 offset:120
	s_and_saveexec_b64 s[6:7], vcc
	s_cbranch_execz .LBB81_109
; %bb.108:
	buffer_load_dword v2, v108, s[0:3], 0 offen
	buffer_load_dword v3, v108, s[0:3], 0 offen offset:4
	buffer_load_dword v4, v108, s[0:3], 0 offen offset:8
	;; [unrolled: 1-line block ×3, first 2 shown]
	v_mov_b32_e32 v6, 0
	buffer_store_dword v6, off, s[0:3], 0 offset:96
	buffer_store_dword v6, off, s[0:3], 0 offset:100
	;; [unrolled: 1-line block ×4, first 2 shown]
	s_waitcnt vmcnt(4)
	ds_write_b128 v113, v[2:5]
.LBB81_109:
	s_or_b64 exec, exec, s[6:7]
	v_mov_b32_e32 v114, 0
	s_waitcnt lgkmcnt(0)
	; wave barrier
	s_waitcnt lgkmcnt(0)
	ds_read_b128 v[14:17], v114 offset:400
	ds_read_b128 v[10:13], v114 offset:416
	;; [unrolled: 1-line block ×4, first 2 shown]
	buffer_load_dword v68, off, s[0:3], 0 offset:96
	buffer_load_dword v69, off, s[0:3], 0 offset:100
	;; [unrolled: 1-line block ×20, first 2 shown]
	v_cmp_lt_u32_e32 vcc, 5, v112
	s_waitcnt vmcnt(12) lgkmcnt(3)
	v_mul_f64 v[18:19], v[14:15], v[76:77]
	v_fmac_f64_e32 v[18:19], v[16:17], v[70:71]
	v_add_f64 v[18:19], v[18:19], 0
	v_mul_f64 v[16:17], v[16:17], v[76:77]
	s_waitcnt vmcnt(8) lgkmcnt(2)
	v_mul_f64 v[20:21], v[10:11], v[78:79]
	v_fmac_f64_e32 v[20:21], v[12:13], v[72:73]
	v_add_f64 v[18:19], v[18:19], v[20:21]
	v_fma_f64 v[14:15], v[14:15], v[70:71], -v[16:17]
	s_waitcnt vmcnt(4) lgkmcnt(1)
	v_mul_f64 v[20:21], v[6:7], v[80:81]
	v_fmac_f64_e32 v[20:21], v[8:9], v[74:75]
	v_add_f64 v[18:19], v[18:19], v[20:21]
	s_waitcnt vmcnt(0) lgkmcnt(0)
	v_mul_f64 v[20:21], v[2:3], v[84:85]
	v_fmac_f64_e32 v[20:21], v[4:5], v[82:83]
	v_add_f64 v[22:23], v[18:19], v[20:21]
	ds_read_b128 v[18:21], v114 offset:464
	buffer_load_dword v87, off, s[0:3], 0 offset:180
	buffer_load_dword v86, off, s[0:3], 0 offset:176
	buffer_load_dword v89, off, s[0:3], 0 offset:188
	buffer_load_dword v88, off, s[0:3], 0 offset:184
	v_mul_f64 v[12:13], v[12:13], v[78:79]
	v_add_f64 v[14:15], v[14:15], 0
	v_fma_f64 v[10:11], v[10:11], v[72:73], -v[12:13]
	v_mul_f64 v[8:9], v[8:9], v[80:81]
	v_add_f64 v[10:11], v[14:15], v[10:11]
	v_fma_f64 v[6:7], v[6:7], v[74:75], -v[8:9]
	;; [unrolled: 3-line block ×3, first 2 shown]
	v_add_f64 v[2:3], v[6:7], v[2:3]
	s_waitcnt vmcnt(0) lgkmcnt(0)
	v_mul_f64 v[24:25], v[18:19], v[88:89]
	v_fmac_f64_e32 v[24:25], v[20:21], v[86:87]
	v_add_f64 v[26:27], v[22:23], v[24:25]
	ds_read_b128 v[22:25], v114 offset:480
	buffer_load_dword v91, off, s[0:3], 0 offset:196
	buffer_load_dword v90, off, s[0:3], 0 offset:192
	buffer_load_dword v93, off, s[0:3], 0 offset:204
	buffer_load_dword v92, off, s[0:3], 0 offset:200
	v_mul_f64 v[4:5], v[20:21], v[88:89]
	v_fma_f64 v[4:5], v[18:19], v[86:87], -v[4:5]
	v_add_f64 v[2:3], v[2:3], v[4:5]
	s_waitcnt vmcnt(0) lgkmcnt(0)
	v_mul_f64 v[28:29], v[22:23], v[92:93]
	v_fmac_f64_e32 v[28:29], v[24:25], v[90:91]
	v_add_f64 v[94:95], v[26:27], v[28:29]
	ds_read_b128 v[26:29], v114 offset:496
	buffer_load_dword v133, off, s[0:3], 0 offset:212
	buffer_load_dword v132, off, s[0:3], 0 offset:208
	buffer_load_dword v135, off, s[0:3], 0 offset:220
	buffer_load_dword v134, off, s[0:3], 0 offset:216
	v_mul_f64 v[4:5], v[24:25], v[92:93]
	v_fma_f64 v[4:5], v[22:23], v[90:91], -v[4:5]
	;; [unrolled: 12-line block ×6, first 2 shown]
	v_add_f64 v[2:3], v[2:3], v[4:5]
	s_waitcnt vmcnt(0) lgkmcnt(0)
	v_mul_f64 v[4:5], v[130:131], v[150:151]
	v_mul_f64 v[152:153], v[128:129], v[150:151]
	v_fma_f64 v[4:5], v[128:129], v[148:149], -v[4:5]
	v_fmac_f64_e32 v[152:153], v[130:131], v[148:149]
	v_add_f64 v[2:3], v[2:3], v[4:5]
	v_add_f64 v[94:95], v[94:95], v[152:153]
	v_add_f64 v[2:3], v[68:69], -v[2:3]
	v_add_f64 v[4:5], v[66:67], -v[94:95]
	buffer_store_dword v3, off, s[0:3], 0 offset:100
	buffer_store_dword v2, off, s[0:3], 0 offset:96
	;; [unrolled: 1-line block ×4, first 2 shown]
	s_and_saveexec_b64 s[6:7], vcc
	s_cbranch_execz .LBB81_111
; %bb.110:
	buffer_load_dword v2, v106, s[0:3], 0 offen
	buffer_load_dword v3, v106, s[0:3], 0 offen offset:4
	buffer_load_dword v4, v106, s[0:3], 0 offen offset:8
	;; [unrolled: 1-line block ×3, first 2 shown]
	s_nop 0
	buffer_store_dword v114, off, s[0:3], 0 offset:80
	buffer_store_dword v114, off, s[0:3], 0 offset:84
	;; [unrolled: 1-line block ×4, first 2 shown]
	s_waitcnt vmcnt(4)
	ds_write_b128 v113, v[2:5]
.LBB81_111:
	s_or_b64 exec, exec, s[6:7]
	s_waitcnt lgkmcnt(0)
	; wave barrier
	s_waitcnt lgkmcnt(0)
	ds_read_b128 v[14:17], v114 offset:384
	ds_read_b128 v[10:13], v114 offset:400
	;; [unrolled: 1-line block ×4, first 2 shown]
	buffer_load_dword v68, off, s[0:3], 0 offset:80
	buffer_load_dword v69, off, s[0:3], 0 offset:84
	;; [unrolled: 1-line block ×20, first 2 shown]
	v_cmp_lt_u32_e32 vcc, 4, v112
	s_waitcnt vmcnt(12) lgkmcnt(3)
	v_mul_f64 v[18:19], v[14:15], v[76:77]
	v_fmac_f64_e32 v[18:19], v[16:17], v[70:71]
	v_add_f64 v[18:19], v[18:19], 0
	v_mul_f64 v[16:17], v[16:17], v[76:77]
	s_waitcnt vmcnt(8) lgkmcnt(2)
	v_mul_f64 v[20:21], v[10:11], v[78:79]
	v_fmac_f64_e32 v[20:21], v[12:13], v[72:73]
	v_add_f64 v[18:19], v[18:19], v[20:21]
	v_fma_f64 v[14:15], v[14:15], v[70:71], -v[16:17]
	s_waitcnt vmcnt(4) lgkmcnt(1)
	v_mul_f64 v[20:21], v[6:7], v[80:81]
	v_fmac_f64_e32 v[20:21], v[8:9], v[74:75]
	v_add_f64 v[18:19], v[18:19], v[20:21]
	s_waitcnt vmcnt(0) lgkmcnt(0)
	v_mul_f64 v[20:21], v[2:3], v[84:85]
	v_fmac_f64_e32 v[20:21], v[4:5], v[82:83]
	v_add_f64 v[22:23], v[18:19], v[20:21]
	ds_read_b128 v[18:21], v114 offset:448
	buffer_load_dword v87, off, s[0:3], 0 offset:164
	buffer_load_dword v86, off, s[0:3], 0 offset:160
	;; [unrolled: 1-line block ×4, first 2 shown]
	v_mul_f64 v[12:13], v[12:13], v[78:79]
	v_add_f64 v[14:15], v[14:15], 0
	v_fma_f64 v[10:11], v[10:11], v[72:73], -v[12:13]
	v_mul_f64 v[8:9], v[8:9], v[80:81]
	v_add_f64 v[10:11], v[14:15], v[10:11]
	v_fma_f64 v[6:7], v[6:7], v[74:75], -v[8:9]
	;; [unrolled: 3-line block ×3, first 2 shown]
	v_add_f64 v[2:3], v[6:7], v[2:3]
	s_waitcnt vmcnt(0) lgkmcnt(0)
	v_mul_f64 v[24:25], v[18:19], v[88:89]
	v_fmac_f64_e32 v[24:25], v[20:21], v[86:87]
	v_add_f64 v[26:27], v[22:23], v[24:25]
	ds_read_b128 v[22:25], v114 offset:464
	buffer_load_dword v91, off, s[0:3], 0 offset:180
	buffer_load_dword v90, off, s[0:3], 0 offset:176
	buffer_load_dword v93, off, s[0:3], 0 offset:188
	buffer_load_dword v92, off, s[0:3], 0 offset:184
	v_mul_f64 v[4:5], v[20:21], v[88:89]
	v_fma_f64 v[4:5], v[18:19], v[86:87], -v[4:5]
	v_add_f64 v[2:3], v[2:3], v[4:5]
	s_waitcnt vmcnt(0) lgkmcnt(0)
	v_mul_f64 v[28:29], v[22:23], v[92:93]
	v_fmac_f64_e32 v[28:29], v[24:25], v[90:91]
	v_add_f64 v[116:117], v[26:27], v[28:29]
	ds_read_b128 v[26:29], v114 offset:480
	buffer_load_dword v95, off, s[0:3], 0 offset:196
	buffer_load_dword v94, off, s[0:3], 0 offset:192
	buffer_load_dword v137, off, s[0:3], 0 offset:204
	buffer_load_dword v136, off, s[0:3], 0 offset:200
	v_mul_f64 v[4:5], v[24:25], v[92:93]
	v_fma_f64 v[4:5], v[22:23], v[90:91], -v[4:5]
	v_add_f64 v[2:3], v[2:3], v[4:5]
	s_waitcnt vmcnt(0) lgkmcnt(0)
	v_mul_f64 v[118:119], v[26:27], v[136:137]
	v_fmac_f64_e32 v[118:119], v[28:29], v[94:95]
	v_add_f64 v[120:121], v[116:117], v[118:119]
	ds_read_b128 v[116:119], v114 offset:496
	buffer_load_dword v139, off, s[0:3], 0 offset:212
	buffer_load_dword v138, off, s[0:3], 0 offset:208
	buffer_load_dword v141, off, s[0:3], 0 offset:220
	buffer_load_dword v140, off, s[0:3], 0 offset:216
	v_mul_f64 v[4:5], v[28:29], v[136:137]
	v_fma_f64 v[4:5], v[26:27], v[94:95], -v[4:5]
	v_add_f64 v[2:3], v[2:3], v[4:5]
	s_waitcnt vmcnt(0) lgkmcnt(0)
	v_mul_f64 v[122:123], v[116:117], v[140:141]
	v_fmac_f64_e32 v[122:123], v[118:119], v[138:139]
	v_add_f64 v[124:125], v[120:121], v[122:123]
	ds_read_b128 v[120:123], v114 offset:512
	buffer_load_dword v143, off, s[0:3], 0 offset:228
	buffer_load_dword v142, off, s[0:3], 0 offset:224
	buffer_load_dword v145, off, s[0:3], 0 offset:236
	buffer_load_dword v144, off, s[0:3], 0 offset:232
	v_mul_f64 v[4:5], v[118:119], v[140:141]
	v_fma_f64 v[4:5], v[116:117], v[138:139], -v[4:5]
	v_add_f64 v[2:3], v[2:3], v[4:5]
	s_waitcnt vmcnt(0) lgkmcnt(0)
	v_mul_f64 v[126:127], v[120:121], v[144:145]
	v_fmac_f64_e32 v[126:127], v[122:123], v[142:143]
	v_add_f64 v[128:129], v[124:125], v[126:127]
	ds_read_b128 v[124:127], v114 offset:528
	buffer_load_dword v147, off, s[0:3], 0 offset:244
	buffer_load_dword v146, off, s[0:3], 0 offset:240
	buffer_load_dword v149, off, s[0:3], 0 offset:252
	buffer_load_dword v148, off, s[0:3], 0 offset:248
	v_mul_f64 v[4:5], v[122:123], v[144:145]
	v_fma_f64 v[4:5], v[120:121], v[142:143], -v[4:5]
	v_add_f64 v[2:3], v[2:3], v[4:5]
	s_waitcnt vmcnt(0) lgkmcnt(0)
	v_mul_f64 v[130:131], v[124:125], v[148:149]
	v_fmac_f64_e32 v[130:131], v[126:127], v[146:147]
	v_add_f64 v[132:133], v[128:129], v[130:131]
	ds_read_b128 v[128:131], v114 offset:544
	buffer_load_dword v151, off, s[0:3], 0 offset:260
	buffer_load_dword v150, off, s[0:3], 0 offset:256
	buffer_load_dword v153, off, s[0:3], 0 offset:268
	buffer_load_dword v152, off, s[0:3], 0 offset:264
	v_mul_f64 v[4:5], v[126:127], v[148:149]
	v_fma_f64 v[4:5], v[124:125], v[146:147], -v[4:5]
	v_add_f64 v[2:3], v[2:3], v[4:5]
	s_waitcnt vmcnt(0) lgkmcnt(0)
	v_mul_f64 v[134:135], v[128:129], v[152:153]
	v_fmac_f64_e32 v[134:135], v[130:131], v[150:151]
	v_add_f64 v[154:155], v[132:133], v[134:135]
	ds_read_b128 v[132:135], v114 offset:560
	buffer_load_dword v115, off, s[0:3], 0 offset:276
	buffer_load_dword v114, off, s[0:3], 0 offset:272
	buffer_load_dword v157, off, s[0:3], 0 offset:284
	buffer_load_dword v156, off, s[0:3], 0 offset:280
	v_mul_f64 v[4:5], v[130:131], v[152:153]
	v_fma_f64 v[4:5], v[128:129], v[150:151], -v[4:5]
	v_add_f64 v[2:3], v[2:3], v[4:5]
	s_waitcnt vmcnt(0) lgkmcnt(0)
	v_mul_f64 v[4:5], v[134:135], v[156:157]
	v_mul_f64 v[158:159], v[132:133], v[156:157]
	v_fma_f64 v[4:5], v[132:133], v[114:115], -v[4:5]
	v_fmac_f64_e32 v[158:159], v[134:135], v[114:115]
	v_add_f64 v[2:3], v[2:3], v[4:5]
	v_add_f64 v[154:155], v[154:155], v[158:159]
	v_add_f64 v[2:3], v[68:69], -v[2:3]
	v_add_f64 v[4:5], v[66:67], -v[154:155]
	buffer_store_dword v3, off, s[0:3], 0 offset:84
	buffer_store_dword v2, off, s[0:3], 0 offset:80
	;; [unrolled: 1-line block ×4, first 2 shown]
	s_and_saveexec_b64 s[6:7], vcc
	s_cbranch_execz .LBB81_113
; %bb.112:
	buffer_load_dword v2, v107, s[0:3], 0 offen
	buffer_load_dword v3, v107, s[0:3], 0 offen offset:4
	buffer_load_dword v4, v107, s[0:3], 0 offen offset:8
	;; [unrolled: 1-line block ×3, first 2 shown]
	v_mov_b32_e32 v6, 0
	buffer_store_dword v6, off, s[0:3], 0 offset:64
	buffer_store_dword v6, off, s[0:3], 0 offset:68
	;; [unrolled: 1-line block ×4, first 2 shown]
	s_waitcnt vmcnt(4)
	ds_write_b128 v113, v[2:5]
.LBB81_113:
	s_or_b64 exec, exec, s[6:7]
	s_waitcnt lgkmcnt(0)
	; wave barrier
	s_waitcnt lgkmcnt(0)
	buffer_load_dword v2, off, s[0:3], 0 offset:80
	buffer_load_dword v3, off, s[0:3], 0 offset:84
	;; [unrolled: 1-line block ×56, first 2 shown]
	v_mov_b32_e32 v24, 0
	ds_read_b128 v[26:29], v24 offset:368
	ds_read_b128 v[66:69], v24 offset:384
	;; [unrolled: 1-line block ×9, first 2 shown]
	v_cmp_lt_u32_e32 vcc, 3, v112
	s_waitcnt vmcnt(52) lgkmcnt(8)
	v_mul_f64 v[118:119], v[26:27], v[6:7]
	v_mul_f64 v[6:7], v[28:29], v[6:7]
	v_fmac_f64_e32 v[118:119], v[28:29], v[2:3]
	v_fma_f64 v[2:3], v[26:27], v[2:3], -v[6:7]
	s_waitcnt vmcnt(48) lgkmcnt(7)
	v_mul_f64 v[120:121], v[66:67], v[8:9]
	v_mul_f64 v[6:7], v[68:69], v[8:9]
	s_waitcnt vmcnt(46) lgkmcnt(6)
	v_mul_f64 v[122:123], v[70:71], v[10:11]
	v_fmac_f64_e32 v[120:121], v[68:69], v[4:5]
	v_add_f64 v[118:119], v[118:119], 0
	v_add_f64 v[2:3], v[2:3], 0
	v_fma_f64 v[4:5], v[66:67], v[4:5], -v[6:7]
	v_add_f64 v[118:119], v[118:119], v[120:121]
	s_waitcnt vmcnt(40) lgkmcnt(5)
	v_mul_f64 v[124:125], v[74:75], v[16:17]
	v_add_f64 v[2:3], v[2:3], v[4:5]
	v_mul_f64 v[4:5], v[72:73], v[10:11]
	s_waitcnt lgkmcnt(4)
	v_mul_f64 v[126:127], v[78:79], v[12:13]
	s_waitcnt vmcnt(36) lgkmcnt(3)
	v_mul_f64 v[128:129], v[82:83], v[22:23]
	v_fmac_f64_e32 v[126:127], v[80:81], v[14:15]
	s_waitcnt vmcnt(35) lgkmcnt(2)
	v_mul_f64 v[130:131], v[86:87], v[18:19]
	s_waitcnt vmcnt(33)
	v_fmac_f64_e32 v[122:123], v[72:73], v[94:95]
	v_add_f64 v[118:119], v[118:119], v[122:123]
	s_waitcnt vmcnt(31)
	v_fmac_f64_e32 v[124:125], v[76:77], v[134:135]
	v_fma_f64 v[4:5], v[70:71], v[94:95], -v[4:5]
	v_add_f64 v[118:119], v[118:119], v[124:125]
	v_add_f64 v[2:3], v[2:3], v[4:5]
	v_mul_f64 v[4:5], v[76:77], v[16:17]
	s_waitcnt vmcnt(29)
	v_fmac_f64_e32 v[128:129], v[84:85], v[136:137]
	v_add_f64 v[118:119], v[118:119], v[126:127]
	v_fma_f64 v[4:5], v[74:75], v[134:135], -v[4:5]
	s_waitcnt vmcnt(28)
	v_fmac_f64_e32 v[130:131], v[88:89], v[20:21]
	v_add_f64 v[118:119], v[118:119], v[128:129]
	s_waitcnt vmcnt(25) lgkmcnt(1)
	v_mul_f64 v[120:121], v[90:91], v[140:141]
	v_add_f64 v[2:3], v[2:3], v[4:5]
	v_mul_f64 v[4:5], v[80:81], v[12:13]
	v_add_f64 v[118:119], v[118:119], v[130:131]
	s_waitcnt vmcnt(23)
	v_fmac_f64_e32 v[120:121], v[92:93], v[142:143]
	v_fma_f64 v[4:5], v[78:79], v[14:15], -v[4:5]
	v_add_f64 v[122:123], v[118:119], v[120:121]
	ds_read_b128 v[118:121], v24 offset:512
	v_add_f64 v[2:3], v[2:3], v[4:5]
	v_mul_f64 v[4:5], v[84:85], v[22:23]
	v_fma_f64 v[4:5], v[82:83], v[136:137], -v[4:5]
	v_add_f64 v[2:3], v[2:3], v[4:5]
	v_mul_f64 v[4:5], v[88:89], v[18:19]
	s_waitcnt vmcnt(20) lgkmcnt(1)
	v_mul_f64 v[124:125], v[114:115], v[138:139]
	v_fma_f64 v[4:5], v[86:87], v[20:21], -v[4:5]
	v_fmac_f64_e32 v[124:125], v[116:117], v[144:145]
	v_add_f64 v[2:3], v[2:3], v[4:5]
	v_mul_f64 v[4:5], v[92:93], v[140:141]
	v_add_f64 v[126:127], v[122:123], v[124:125]
	ds_read_b128 v[122:125], v24 offset:528
	s_waitcnt vmcnt(17) lgkmcnt(1)
	v_mul_f64 v[128:129], v[118:119], v[148:149]
	v_fma_f64 v[4:5], v[90:91], v[142:143], -v[4:5]
	s_waitcnt vmcnt(15)
	v_fmac_f64_e32 v[128:129], v[120:121], v[150:151]
	v_add_f64 v[2:3], v[2:3], v[4:5]
	v_mul_f64 v[4:5], v[116:117], v[138:139]
	v_add_f64 v[166:167], v[126:127], v[128:129]
	ds_read_b128 v[126:129], v24 offset:544
	ds_read_b128 v[130:133], v24 offset:560
	v_fma_f64 v[4:5], v[114:115], v[144:145], -v[4:5]
	v_add_f64 v[2:3], v[2:3], v[4:5]
	v_mul_f64 v[4:5], v[120:121], v[148:149]
	v_fma_f64 v[4:5], v[118:119], v[150:151], -v[4:5]
	v_add_f64 v[2:3], v[2:3], v[4:5]
	s_waitcnt vmcnt(12) lgkmcnt(2)
	v_mul_f64 v[4:5], v[124:125], v[146:147]
	v_mul_f64 v[168:169], v[122:123], v[146:147]
	v_fma_f64 v[4:5], v[122:123], v[152:153], -v[4:5]
	v_fmac_f64_e32 v[168:169], v[124:125], v[152:153]
	v_add_f64 v[2:3], v[2:3], v[4:5]
	s_waitcnt vmcnt(9) lgkmcnt(1)
	v_mul_f64 v[4:5], v[128:129], v[156:157]
	v_add_f64 v[166:167], v[166:167], v[168:169]
	v_mul_f64 v[168:169], v[126:127], v[156:157]
	s_waitcnt vmcnt(7)
	v_fma_f64 v[4:5], v[126:127], v[158:159], -v[4:5]
	v_fmac_f64_e32 v[168:169], v[128:129], v[158:159]
	v_add_f64 v[2:3], v[2:3], v[4:5]
	s_waitcnt vmcnt(5) lgkmcnt(0)
	v_mul_f64 v[4:5], v[132:133], v[154:155]
	v_add_f64 v[166:167], v[166:167], v[168:169]
	v_mul_f64 v[168:169], v[130:131], v[154:155]
	s_waitcnt vmcnt(4)
	v_fma_f64 v[4:5], v[130:131], v[160:161], -v[4:5]
	v_fmac_f64_e32 v[168:169], v[132:133], v[160:161]
	v_add_f64 v[2:3], v[2:3], v[4:5]
	v_add_f64 v[166:167], v[166:167], v[168:169]
	s_waitcnt vmcnt(2)
	v_add_f64 v[2:3], v[162:163], -v[2:3]
	s_waitcnt vmcnt(0)
	v_add_f64 v[4:5], v[164:165], -v[166:167]
	buffer_store_dword v3, off, s[0:3], 0 offset:68
	buffer_store_dword v2, off, s[0:3], 0 offset:64
	;; [unrolled: 1-line block ×4, first 2 shown]
	s_and_saveexec_b64 s[6:7], vcc
	s_cbranch_execz .LBB81_115
; %bb.114:
	buffer_load_dword v2, v110, s[0:3], 0 offen
	buffer_load_dword v3, v110, s[0:3], 0 offen offset:4
	buffer_load_dword v4, v110, s[0:3], 0 offen offset:8
	;; [unrolled: 1-line block ×3, first 2 shown]
	s_nop 0
	buffer_store_dword v24, off, s[0:3], 0 offset:48
	buffer_store_dword v24, off, s[0:3], 0 offset:52
	;; [unrolled: 1-line block ×4, first 2 shown]
	s_waitcnt vmcnt(4)
	ds_write_b128 v113, v[2:5]
.LBB81_115:
	s_or_b64 exec, exec, s[6:7]
	s_waitcnt lgkmcnt(0)
	; wave barrier
	s_waitcnt lgkmcnt(0)
	buffer_load_dword v2, off, s[0:3], 0 offset:64
	buffer_load_dword v3, off, s[0:3], 0 offset:68
	;; [unrolled: 1-line block ×60, first 2 shown]
	ds_read_b128 v[26:29], v24 offset:352
	ds_read_b128 v[66:69], v24 offset:368
	;; [unrolled: 1-line block ×8, first 2 shown]
	v_cmp_lt_u32_e32 vcc, 2, v112
	ds_read_b128 v[134:137], v24 offset:560
	s_waitcnt vmcnt(56) lgkmcnt(8)
	v_mul_f64 v[114:115], v[26:27], v[6:7]
	v_fmac_f64_e32 v[114:115], v[28:29], v[2:3]
	v_add_f64 v[114:115], v[114:115], 0
	v_mul_f64 v[6:7], v[28:29], v[6:7]
	s_waitcnt vmcnt(52) lgkmcnt(7)
	v_mul_f64 v[116:117], v[66:67], v[8:9]
	v_fmac_f64_e32 v[116:117], v[68:69], v[4:5]
	s_waitcnt vmcnt(50) lgkmcnt(6)
	v_mul_f64 v[118:119], v[70:71], v[10:11]
	v_add_f64 v[114:115], v[114:115], v[116:117]
	s_waitcnt vmcnt(48) lgkmcnt(4)
	v_mul_f64 v[122:123], v[78:79], v[12:13]
	v_fma_f64 v[2:3], v[26:27], v[2:3], -v[6:7]
	s_waitcnt vmcnt(46)
	v_fmac_f64_e32 v[122:123], v[80:81], v[14:15]
	v_mul_f64 v[6:7], v[68:69], v[8:9]
	s_waitcnt vmcnt(44)
	v_mul_f64 v[120:121], v[74:75], v[16:17]
	v_add_f64 v[2:3], v[2:3], 0
	v_fma_f64 v[4:5], v[66:67], v[4:5], -v[6:7]
	v_add_f64 v[2:3], v[2:3], v[4:5]
	s_waitcnt vmcnt(40) lgkmcnt(3)
	v_mul_f64 v[124:125], v[82:83], v[22:23]
	v_mul_f64 v[4:5], v[72:73], v[10:11]
	s_waitcnt vmcnt(38)
	v_fmac_f64_e32 v[118:119], v[72:73], v[94:95]
	v_add_f64 v[114:115], v[114:115], v[118:119]
	s_waitcnt vmcnt(36)
	v_fmac_f64_e32 v[120:121], v[76:77], v[138:139]
	v_add_f64 v[114:115], v[114:115], v[120:121]
	;; [unrolled: 3-line block ×3, first 2 shown]
	s_waitcnt vmcnt(32) lgkmcnt(2)
	v_mul_f64 v[116:117], v[86:87], v[18:19]
	v_add_f64 v[114:115], v[114:115], v[124:125]
	v_fmac_f64_e32 v[116:117], v[88:89], v[20:21]
	v_add_f64 v[118:119], v[114:115], v[116:117]
	ds_read_b128 v[114:117], v24 offset:480
	v_fma_f64 v[4:5], v[70:71], v[94:95], -v[4:5]
	v_add_f64 v[2:3], v[2:3], v[4:5]
	v_mul_f64 v[4:5], v[76:77], v[16:17]
	v_fma_f64 v[4:5], v[74:75], v[138:139], -v[4:5]
	s_waitcnt vmcnt(28) lgkmcnt(2)
	v_mul_f64 v[120:121], v[90:91], v[146:147]
	v_add_f64 v[2:3], v[2:3], v[4:5]
	v_mul_f64 v[4:5], v[80:81], v[12:13]
	s_waitcnt vmcnt(26)
	v_fmac_f64_e32 v[120:121], v[92:93], v[148:149]
	v_fma_f64 v[4:5], v[78:79], v[14:15], -v[4:5]
	v_add_f64 v[122:123], v[118:119], v[120:121]
	ds_read_b128 v[118:121], v24 offset:496
	s_waitcnt vmcnt(24) lgkmcnt(1)
	v_mul_f64 v[124:125], v[114:115], v[142:143]
	v_add_f64 v[2:3], v[2:3], v[4:5]
	v_mul_f64 v[4:5], v[84:85], v[22:23]
	v_fmac_f64_e32 v[124:125], v[116:117], v[144:145]
	v_fma_f64 v[4:5], v[82:83], v[140:141], -v[4:5]
	v_add_f64 v[126:127], v[122:123], v[124:125]
	ds_read_b128 v[122:125], v24 offset:512
	v_add_f64 v[2:3], v[2:3], v[4:5]
	v_mul_f64 v[4:5], v[88:89], v[18:19]
	v_fma_f64 v[4:5], v[86:87], v[20:21], -v[4:5]
	v_add_f64 v[2:3], v[2:3], v[4:5]
	v_mul_f64 v[4:5], v[92:93], v[146:147]
	s_waitcnt vmcnt(20) lgkmcnt(1)
	v_mul_f64 v[128:129], v[118:119], v[154:155]
	v_fma_f64 v[4:5], v[90:91], v[148:149], -v[4:5]
	s_waitcnt vmcnt(18)
	v_fmac_f64_e32 v[128:129], v[120:121], v[156:157]
	v_add_f64 v[2:3], v[2:3], v[4:5]
	v_mul_f64 v[4:5], v[116:117], v[142:143]
	v_add_f64 v[130:131], v[126:127], v[128:129]
	ds_read_b128 v[126:129], v24 offset:528
	s_waitcnt vmcnt(16) lgkmcnt(1)
	v_mul_f64 v[132:133], v[122:123], v[150:151]
	v_fma_f64 v[4:5], v[114:115], v[144:145], -v[4:5]
	v_fmac_f64_e32 v[132:133], v[124:125], v[152:153]
	v_add_f64 v[2:3], v[2:3], v[4:5]
	v_mul_f64 v[4:5], v[120:121], v[154:155]
	v_add_f64 v[174:175], v[130:131], v[132:133]
	ds_read_b128 v[130:133], v24 offset:544
	v_fma_f64 v[4:5], v[118:119], v[156:157], -v[4:5]
	v_add_f64 v[2:3], v[2:3], v[4:5]
	v_mul_f64 v[4:5], v[124:125], v[150:151]
	v_fma_f64 v[4:5], v[122:123], v[152:153], -v[4:5]
	v_add_f64 v[2:3], v[2:3], v[4:5]
	s_waitcnt vmcnt(12) lgkmcnt(1)
	v_mul_f64 v[4:5], v[128:129], v[162:163]
	v_mul_f64 v[176:177], v[126:127], v[162:163]
	s_waitcnt vmcnt(10)
	v_fma_f64 v[4:5], v[126:127], v[164:165], -v[4:5]
	v_fmac_f64_e32 v[176:177], v[128:129], v[164:165]
	v_add_f64 v[2:3], v[2:3], v[4:5]
	s_waitcnt vmcnt(8) lgkmcnt(0)
	v_mul_f64 v[4:5], v[132:133], v[158:159]
	v_add_f64 v[24:25], v[174:175], v[176:177]
	v_mul_f64 v[174:175], v[130:131], v[158:159]
	v_fma_f64 v[4:5], v[130:131], v[160:161], -v[4:5]
	v_fmac_f64_e32 v[174:175], v[132:133], v[160:161]
	v_add_f64 v[2:3], v[2:3], v[4:5]
	s_waitcnt vmcnt(6)
	v_mul_f64 v[4:5], v[136:137], v[166:167]
	v_add_f64 v[24:25], v[24:25], v[174:175]
	v_mul_f64 v[174:175], v[134:135], v[166:167]
	s_waitcnt vmcnt(4)
	v_fma_f64 v[4:5], v[134:135], v[168:169], -v[4:5]
	v_fmac_f64_e32 v[174:175], v[136:137], v[168:169]
	v_add_f64 v[2:3], v[2:3], v[4:5]
	v_add_f64 v[24:25], v[24:25], v[174:175]
	s_waitcnt vmcnt(2)
	v_add_f64 v[2:3], v[170:171], -v[2:3]
	s_waitcnt vmcnt(0)
	v_add_f64 v[4:5], v[172:173], -v[24:25]
	buffer_store_dword v3, off, s[0:3], 0 offset:52
	buffer_store_dword v2, off, s[0:3], 0 offset:48
	;; [unrolled: 1-line block ×4, first 2 shown]
	s_and_saveexec_b64 s[6:7], vcc
	s_cbranch_execz .LBB81_117
; %bb.116:
	buffer_load_dword v2, v111, s[0:3], 0 offen
	buffer_load_dword v3, v111, s[0:3], 0 offen offset:4
	buffer_load_dword v4, v111, s[0:3], 0 offen offset:8
	;; [unrolled: 1-line block ×3, first 2 shown]
	v_mov_b32_e32 v6, 0
	buffer_store_dword v6, off, s[0:3], 0 offset:32
	buffer_store_dword v6, off, s[0:3], 0 offset:36
	;; [unrolled: 1-line block ×4, first 2 shown]
	s_waitcnt vmcnt(4)
	ds_write_b128 v113, v[2:5]
.LBB81_117:
	s_or_b64 exec, exec, s[6:7]
	s_waitcnt lgkmcnt(0)
	; wave barrier
	s_waitcnt lgkmcnt(0)
	buffer_load_dword v2, off, s[0:3], 0 offset:48
	buffer_load_dword v3, off, s[0:3], 0 offset:52
	;; [unrolled: 1-line block ×64, first 2 shown]
	v_mov_b32_e32 v74, 0
	ds_read_b128 v[66:69], v74 offset:336
	ds_read_b128 v[70:73], v74 offset:352
	;; [unrolled: 1-line block ×7, first 2 shown]
	v_cmp_lt_u32_e32 vcc, 1, v112
	s_waitcnt vmcnt(60) lgkmcnt(6)
	v_mul_f64 v[92:93], v[66:67], v[6:7]
	v_fmac_f64_e32 v[92:93], v[68:69], v[2:3]
	v_add_f64 v[92:93], v[92:93], 0
	v_mul_f64 v[6:7], v[68:69], v[6:7]
	s_waitcnt vmcnt(56) lgkmcnt(5)
	v_mul_f64 v[94:95], v[70:71], v[8:9]
	v_fmac_f64_e32 v[94:95], v[72:73], v[4:5]
	s_waitcnt vmcnt(54) lgkmcnt(4)
	v_mul_f64 v[114:115], v[76:77], v[10:11]
	v_add_f64 v[92:93], v[92:93], v[94:95]
	v_fma_f64 v[2:3], v[66:67], v[2:3], -v[6:7]
	v_mul_f64 v[6:7], v[72:73], v[8:9]
	s_waitcnt vmcnt(50) lgkmcnt(3)
	v_mul_f64 v[116:117], v[80:81], v[16:17]
	s_waitcnt vmcnt(49) lgkmcnt(2)
	v_mul_f64 v[118:119], v[84:85], v[12:13]
	v_add_f64 v[2:3], v[2:3], 0
	s_waitcnt vmcnt(47)
	v_fmac_f64_e32 v[114:115], v[78:79], v[20:21]
	v_add_f64 v[92:93], v[92:93], v[114:115]
	s_waitcnt vmcnt(45)
	v_fmac_f64_e32 v[116:117], v[82:83], v[18:19]
	v_add_f64 v[92:93], v[92:93], v[116:117]
	s_waitcnt vmcnt(44)
	v_fmac_f64_e32 v[118:119], v[86:87], v[14:15]
	v_add_f64 v[114:115], v[92:93], v[118:119]
	ds_read_b128 v[92:95], v74 offset:432
	s_waitcnt vmcnt(40) lgkmcnt(2)
	v_mul_f64 v[116:117], v[88:89], v[26:27]
	v_fma_f64 v[4:5], v[70:71], v[4:5], -v[6:7]
	s_waitcnt vmcnt(38)
	v_fmac_f64_e32 v[116:117], v[90:91], v[28:29]
	v_add_f64 v[118:119], v[114:115], v[116:117]
	ds_read_b128 v[114:117], v74 offset:448
	s_waitcnt vmcnt(36) lgkmcnt(1)
	v_mul_f64 v[120:121], v[92:93], v[22:23]
	v_fmac_f64_e32 v[120:121], v[94:95], v[24:25]
	v_add_f64 v[2:3], v[2:3], v[4:5]
	v_mul_f64 v[4:5], v[78:79], v[10:11]
	v_add_f64 v[122:123], v[118:119], v[120:121]
	ds_read_b128 v[118:121], v74 offset:464
	s_waitcnt vmcnt(32) lgkmcnt(1)
	v_mul_f64 v[124:125], v[114:115], v[150:151]
	v_fma_f64 v[4:5], v[76:77], v[20:21], -v[4:5]
	s_waitcnt vmcnt(30)
	v_fmac_f64_e32 v[124:125], v[116:117], v[152:153]
	v_add_f64 v[2:3], v[2:3], v[4:5]
	v_mul_f64 v[4:5], v[82:83], v[16:17]
	v_add_f64 v[126:127], v[122:123], v[124:125]
	ds_read_b128 v[122:125], v74 offset:480
	v_fma_f64 v[4:5], v[80:81], v[18:19], -v[4:5]
	v_add_f64 v[2:3], v[2:3], v[4:5]
	v_mul_f64 v[4:5], v[86:87], v[12:13]
	v_fma_f64 v[4:5], v[84:85], v[14:15], -v[4:5]
	s_waitcnt vmcnt(28) lgkmcnt(1)
	v_mul_f64 v[128:129], v[118:119], v[146:147]
	v_add_f64 v[2:3], v[2:3], v[4:5]
	v_mul_f64 v[4:5], v[90:91], v[26:27]
	v_fmac_f64_e32 v[128:129], v[120:121], v[148:149]
	v_fma_f64 v[4:5], v[88:89], v[28:29], -v[4:5]
	v_add_f64 v[130:131], v[126:127], v[128:129]
	ds_read_b128 v[126:129], v74 offset:496
	s_waitcnt vmcnt(24) lgkmcnt(1)
	v_mul_f64 v[132:133], v[122:123], v[158:159]
	v_add_f64 v[2:3], v[2:3], v[4:5]
	v_mul_f64 v[4:5], v[94:95], v[22:23]
	s_waitcnt vmcnt(22)
	v_fmac_f64_e32 v[132:133], v[124:125], v[160:161]
	v_fma_f64 v[4:5], v[92:93], v[24:25], -v[4:5]
	v_add_f64 v[134:135], v[130:131], v[132:133]
	ds_read_b128 v[130:133], v74 offset:512
	v_add_f64 v[2:3], v[2:3], v[4:5]
	v_mul_f64 v[4:5], v[116:117], v[150:151]
	v_fma_f64 v[4:5], v[114:115], v[152:153], -v[4:5]
	v_add_f64 v[2:3], v[2:3], v[4:5]
	v_mul_f64 v[4:5], v[120:121], v[146:147]
	s_waitcnt vmcnt(20) lgkmcnt(1)
	v_mul_f64 v[136:137], v[126:127], v[154:155]
	v_fma_f64 v[4:5], v[118:119], v[148:149], -v[4:5]
	v_fmac_f64_e32 v[136:137], v[128:129], v[156:157]
	v_add_f64 v[2:3], v[2:3], v[4:5]
	v_mul_f64 v[4:5], v[124:125], v[158:159]
	v_add_f64 v[138:139], v[134:135], v[136:137]
	ds_read_b128 v[134:137], v74 offset:528
	s_waitcnt vmcnt(16) lgkmcnt(1)
	v_mul_f64 v[140:141], v[130:131], v[166:167]
	v_fma_f64 v[4:5], v[122:123], v[160:161], -v[4:5]
	s_waitcnt vmcnt(14)
	v_fmac_f64_e32 v[140:141], v[132:133], v[168:169]
	v_add_f64 v[2:3], v[2:3], v[4:5]
	v_mul_f64 v[4:5], v[128:129], v[154:155]
	v_add_f64 v[182:183], v[138:139], v[140:141]
	ds_read_b128 v[138:141], v74 offset:544
	v_fma_f64 v[4:5], v[126:127], v[156:157], -v[4:5]
	v_add_f64 v[2:3], v[2:3], v[4:5]
	v_mul_f64 v[4:5], v[132:133], v[166:167]
	v_fma_f64 v[4:5], v[130:131], v[168:169], -v[4:5]
	v_add_f64 v[2:3], v[2:3], v[4:5]
	s_waitcnt vmcnt(12) lgkmcnt(1)
	v_mul_f64 v[4:5], v[136:137], v[162:163]
	v_mul_f64 v[184:185], v[134:135], v[162:163]
	v_fma_f64 v[4:5], v[134:135], v[164:165], -v[4:5]
	v_fmac_f64_e32 v[184:185], v[136:137], v[164:165]
	v_add_f64 v[2:3], v[2:3], v[4:5]
	s_waitcnt vmcnt(8) lgkmcnt(0)
	v_mul_f64 v[4:5], v[140:141], v[174:175]
	v_add_f64 v[182:183], v[182:183], v[184:185]
	v_mul_f64 v[184:185], v[138:139], v[174:175]
	s_waitcnt vmcnt(6)
	v_fma_f64 v[4:5], v[138:139], v[176:177], -v[4:5]
	v_fmac_f64_e32 v[184:185], v[140:141], v[176:177]
	v_add_f64 v[2:3], v[2:3], v[4:5]
	s_waitcnt vmcnt(5)
	v_mul_f64 v[4:5], v[144:145], v[170:171]
	v_add_f64 v[182:183], v[182:183], v[184:185]
	v_mul_f64 v[184:185], v[142:143], v[170:171]
	s_waitcnt vmcnt(4)
	v_fma_f64 v[4:5], v[142:143], v[172:173], -v[4:5]
	v_fmac_f64_e32 v[184:185], v[144:145], v[172:173]
	v_add_f64 v[2:3], v[2:3], v[4:5]
	v_add_f64 v[182:183], v[182:183], v[184:185]
	s_waitcnt vmcnt(2)
	v_add_f64 v[2:3], v[178:179], -v[2:3]
	s_waitcnt vmcnt(0)
	v_add_f64 v[4:5], v[180:181], -v[182:183]
	buffer_store_dword v3, off, s[0:3], 0 offset:36
	buffer_store_dword v2, off, s[0:3], 0 offset:32
	;; [unrolled: 1-line block ×4, first 2 shown]
	s_and_saveexec_b64 s[6:7], vcc
	s_cbranch_execz .LBB81_119
; %bb.118:
	buffer_load_dword v2, v109, s[0:3], 0 offen
	buffer_load_dword v3, v109, s[0:3], 0 offen offset:4
	buffer_load_dword v4, v109, s[0:3], 0 offen offset:8
	;; [unrolled: 1-line block ×3, first 2 shown]
	s_nop 0
	buffer_store_dword v74, off, s[0:3], 0 offset:16
	buffer_store_dword v74, off, s[0:3], 0 offset:20
	;; [unrolled: 1-line block ×4, first 2 shown]
	s_waitcnt vmcnt(4)
	ds_write_b128 v113, v[2:5]
.LBB81_119:
	s_or_b64 exec, exec, s[6:7]
	s_waitcnt lgkmcnt(0)
	; wave barrier
	s_waitcnt lgkmcnt(0)
	buffer_load_dword v2, off, s[0:3], 0 offset:32
	buffer_load_dword v3, off, s[0:3], 0 offset:36
	buffer_load_dword v4, off, s[0:3], 0 offset:40
	buffer_load_dword v5, off, s[0:3], 0 offset:44
	buffer_load_dword v6, off, s[0:3], 0 offset:56
	buffer_load_dword v7, off, s[0:3], 0 offset:60
	buffer_load_dword v8, off, s[0:3], 0 offset:72
	buffer_load_dword v9, off, s[0:3], 0 offset:76
	buffer_load_dword v10, off, s[0:3], 0 offset:104
	buffer_load_dword v12, off, s[0:3], 0 offset:96
	buffer_load_dword v15, off, s[0:3], 0 offset:92
	buffer_load_dword v14, off, s[0:3], 0 offset:88
	buffer_load_dword v20, off, s[0:3], 0 offset:48
	buffer_load_dword v21, off, s[0:3], 0 offset:52
	buffer_load_dword v18, off, s[0:3], 0 offset:64
	buffer_load_dword v19, off, s[0:3], 0 offset:68
	buffer_load_dword v17, off, s[0:3], 0 offset:84
	buffer_load_dword v16, off, s[0:3], 0 offset:80
	buffer_load_dword v13, off, s[0:3], 0 offset:100
	buffer_load_dword v11, off, s[0:3], 0 offset:108
	buffer_load_dword v22, off, s[0:3], 0 offset:136
	buffer_load_dword v24, off, s[0:3], 0 offset:128
	buffer_load_dword v27, off, s[0:3], 0 offset:124
	buffer_load_dword v26, off, s[0:3], 0 offset:120
	buffer_load_dword v29, off, s[0:3], 0 offset:116
	buffer_load_dword v28, off, s[0:3], 0 offset:112
	buffer_load_dword v25, off, s[0:3], 0 offset:132
	buffer_load_dword v23, off, s[0:3], 0 offset:140
	buffer_load_dword v66, off, s[0:3], 0 offset:168
	buffer_load_dword v68, off, s[0:3], 0 offset:160
	buffer_load_dword v71, off, s[0:3], 0 offset:156
	buffer_load_dword v70, off, s[0:3], 0 offset:152
	buffer_load_dword v73, off, s[0:3], 0 offset:148
	buffer_load_dword v72, off, s[0:3], 0 offset:144
	buffer_load_dword v69, off, s[0:3], 0 offset:164
	buffer_load_dword v67, off, s[0:3], 0 offset:172
	buffer_load_dword v158, off, s[0:3], 0 offset:200
	buffer_load_dword v160, off, s[0:3], 0 offset:192
	buffer_load_dword v163, off, s[0:3], 0 offset:188
	buffer_load_dword v162, off, s[0:3], 0 offset:184
	buffer_load_dword v165, off, s[0:3], 0 offset:180
	buffer_load_dword v164, off, s[0:3], 0 offset:176
	buffer_load_dword v161, off, s[0:3], 0 offset:196
	buffer_load_dword v159, off, s[0:3], 0 offset:204
	buffer_load_dword v166, off, s[0:3], 0 offset:232
	buffer_load_dword v168, off, s[0:3], 0 offset:224
	buffer_load_dword v171, off, s[0:3], 0 offset:220
	buffer_load_dword v170, off, s[0:3], 0 offset:216
	buffer_load_dword v173, off, s[0:3], 0 offset:212
	buffer_load_dword v172, off, s[0:3], 0 offset:208
	buffer_load_dword v169, off, s[0:3], 0 offset:228
	buffer_load_dword v167, off, s[0:3], 0 offset:236
	buffer_load_dword v174, off, s[0:3], 0 offset:264
	buffer_load_dword v176, off, s[0:3], 0 offset:256
	buffer_load_dword v179, off, s[0:3], 0 offset:252
	buffer_load_dword v178, off, s[0:3], 0 offset:248
	buffer_load_dword v181, off, s[0:3], 0 offset:244
	buffer_load_dword v180, off, s[0:3], 0 offset:240
	buffer_load_dword v177, off, s[0:3], 0 offset:260
	buffer_load_dword v175, off, s[0:3], 0 offset:268
	buffer_load_dword v183, off, s[0:3], 0 offset:284
	buffer_load_dword v182, off, s[0:3], 0 offset:280
	buffer_load_dword v185, off, s[0:3], 0 offset:276
	buffer_load_dword v184, off, s[0:3], 0 offset:272
	ds_read_b128 v[76:79], v74 offset:320
	ds_read_b128 v[80:83], v74 offset:336
	;; [unrolled: 1-line block ×4, first 2 shown]
	buffer_load_dword v186, off, s[0:3], 0 offset:16
	buffer_load_dword v187, off, s[0:3], 0 offset:20
	;; [unrolled: 1-line block ×4, first 2 shown]
	v_cmp_ne_u32_e32 vcc, 0, v112
	ds_read_b128 v[154:157], v74 offset:560
	s_waitcnt vmcnt(62) lgkmcnt(4)
	v_mul_f64 v[92:93], v[76:77], v[4:5]
	v_fmac_f64_e32 v[92:93], v[78:79], v[2:3]
	s_waitcnt lgkmcnt(3)
	v_mul_f64 v[94:95], v[80:81], v[6:7]
	v_add_f64 v[92:93], v[92:93], 0
	s_waitcnt vmcnt(60) lgkmcnt(2)
	v_mul_f64 v[114:115], v[84:85], v[8:9]
	v_mul_f64 v[4:5], v[78:79], v[4:5]
	v_fma_f64 v[2:3], v[76:77], v[2:3], -v[4:5]
	v_mul_f64 v[4:5], v[82:83], v[6:7]
	s_waitcnt vmcnt(56) lgkmcnt(1)
	v_mul_f64 v[116:117], v[88:89], v[14:15]
	v_add_f64 v[2:3], v[2:3], 0
	s_waitcnt vmcnt(54)
	v_fmac_f64_e32 v[94:95], v[82:83], v[20:21]
	v_add_f64 v[118:119], v[92:93], v[94:95]
	ds_read_b128 v[92:95], v74 offset:384
	s_waitcnt vmcnt(52)
	v_fmac_f64_e32 v[114:115], v[86:87], v[18:19]
	v_add_f64 v[114:115], v[118:119], v[114:115]
	s_waitcnt vmcnt(50)
	v_fmac_f64_e32 v[116:117], v[90:91], v[16:17]
	v_add_f64 v[118:119], v[114:115], v[116:117]
	ds_read_b128 v[114:117], v74 offset:400
	s_waitcnt vmcnt(48) lgkmcnt(1)
	v_mul_f64 v[120:121], v[92:93], v[10:11]
	v_fmac_f64_e32 v[120:121], v[94:95], v[12:13]
	v_add_f64 v[122:123], v[118:119], v[120:121]
	ds_read_b128 v[118:121], v74 offset:416
	s_waitcnt vmcnt(44) lgkmcnt(1)
	v_mul_f64 v[124:125], v[114:115], v[26:27]
	s_waitcnt vmcnt(42)
	v_fmac_f64_e32 v[124:125], v[116:117], v[28:29]
	v_add_f64 v[126:127], v[122:123], v[124:125]
	ds_read_b128 v[122:125], v74 offset:432
	s_waitcnt vmcnt(40) lgkmcnt(1)
	v_mul_f64 v[128:129], v[118:119], v[22:23]
	v_fmac_f64_e32 v[128:129], v[120:121], v[24:25]
	v_add_f64 v[130:131], v[126:127], v[128:129]
	ds_read_b128 v[126:129], v74 offset:448
	v_fma_f64 v[4:5], v[80:81], v[20:21], -v[4:5]
	v_add_f64 v[2:3], v[2:3], v[4:5]
	v_mul_f64 v[4:5], v[86:87], v[8:9]
	s_waitcnt vmcnt(36) lgkmcnt(1)
	v_mul_f64 v[132:133], v[122:123], v[70:71]
	v_fma_f64 v[4:5], v[84:85], v[18:19], -v[4:5]
	s_waitcnt vmcnt(34)
	v_fmac_f64_e32 v[132:133], v[124:125], v[72:73]
	v_add_f64 v[2:3], v[2:3], v[4:5]
	v_mul_f64 v[4:5], v[90:91], v[14:15]
	v_add_f64 v[134:135], v[130:131], v[132:133]
	ds_read_b128 v[130:133], v74 offset:464
	s_waitcnt vmcnt(32) lgkmcnt(1)
	v_mul_f64 v[136:137], v[126:127], v[66:67]
	v_fma_f64 v[4:5], v[88:89], v[16:17], -v[4:5]
	v_fmac_f64_e32 v[136:137], v[128:129], v[68:69]
	v_add_f64 v[2:3], v[2:3], v[4:5]
	v_mul_f64 v[4:5], v[94:95], v[10:11]
	v_add_f64 v[138:139], v[134:135], v[136:137]
	ds_read_b128 v[134:137], v74 offset:480
	v_fma_f64 v[4:5], v[92:93], v[12:13], -v[4:5]
	v_add_f64 v[2:3], v[2:3], v[4:5]
	v_mul_f64 v[4:5], v[116:117], v[26:27]
	v_fma_f64 v[4:5], v[114:115], v[28:29], -v[4:5]
	s_waitcnt vmcnt(28) lgkmcnt(1)
	v_mul_f64 v[140:141], v[130:131], v[162:163]
	v_add_f64 v[2:3], v[2:3], v[4:5]
	v_mul_f64 v[4:5], v[120:121], v[22:23]
	s_waitcnt vmcnt(26)
	v_fmac_f64_e32 v[140:141], v[132:133], v[164:165]
	v_fma_f64 v[4:5], v[118:119], v[24:25], -v[4:5]
	v_add_f64 v[142:143], v[138:139], v[140:141]
	ds_read_b128 v[138:141], v74 offset:496
	s_waitcnt vmcnt(24) lgkmcnt(1)
	v_mul_f64 v[144:145], v[134:135], v[158:159]
	v_add_f64 v[2:3], v[2:3], v[4:5]
	v_mul_f64 v[4:5], v[124:125], v[70:71]
	v_fmac_f64_e32 v[144:145], v[136:137], v[160:161]
	v_fma_f64 v[4:5], v[122:123], v[72:73], -v[4:5]
	v_add_f64 v[146:147], v[142:143], v[144:145]
	ds_read_b128 v[142:145], v74 offset:512
	v_add_f64 v[2:3], v[2:3], v[4:5]
	v_mul_f64 v[4:5], v[128:129], v[66:67]
	v_fma_f64 v[4:5], v[126:127], v[68:69], -v[4:5]
	v_add_f64 v[2:3], v[2:3], v[4:5]
	v_mul_f64 v[4:5], v[132:133], v[162:163]
	s_waitcnt vmcnt(20) lgkmcnt(1)
	v_mul_f64 v[148:149], v[138:139], v[170:171]
	v_fma_f64 v[4:5], v[130:131], v[164:165], -v[4:5]
	s_waitcnt vmcnt(18)
	v_fmac_f64_e32 v[148:149], v[140:141], v[172:173]
	v_add_f64 v[2:3], v[2:3], v[4:5]
	v_mul_f64 v[4:5], v[136:137], v[158:159]
	v_add_f64 v[150:151], v[146:147], v[148:149]
	ds_read_b128 v[146:149], v74 offset:528
	s_waitcnt vmcnt(16) lgkmcnt(1)
	v_mul_f64 v[152:153], v[142:143], v[166:167]
	v_fma_f64 v[4:5], v[134:135], v[160:161], -v[4:5]
	v_fmac_f64_e32 v[152:153], v[144:145], v[168:169]
	v_add_f64 v[2:3], v[2:3], v[4:5]
	v_mul_f64 v[4:5], v[140:141], v[170:171]
	v_add_f64 v[190:191], v[150:151], v[152:153]
	ds_read_b128 v[150:153], v74 offset:544
	v_fma_f64 v[4:5], v[138:139], v[172:173], -v[4:5]
	v_add_f64 v[2:3], v[2:3], v[4:5]
	v_mul_f64 v[4:5], v[144:145], v[166:167]
	v_fma_f64 v[4:5], v[142:143], v[168:169], -v[4:5]
	v_add_f64 v[2:3], v[2:3], v[4:5]
	s_waitcnt vmcnt(12) lgkmcnt(1)
	v_mul_f64 v[4:5], v[148:149], v[178:179]
	v_mul_f64 v[192:193], v[146:147], v[178:179]
	s_waitcnt vmcnt(10)
	v_fma_f64 v[4:5], v[146:147], v[180:181], -v[4:5]
	v_fmac_f64_e32 v[192:193], v[148:149], v[180:181]
	v_add_f64 v[2:3], v[2:3], v[4:5]
	s_waitcnt vmcnt(8) lgkmcnt(0)
	v_mul_f64 v[4:5], v[152:153], v[174:175]
	v_add_f64 v[74:75], v[190:191], v[192:193]
	v_mul_f64 v[190:191], v[150:151], v[174:175]
	v_fma_f64 v[4:5], v[150:151], v[176:177], -v[4:5]
	v_fmac_f64_e32 v[190:191], v[152:153], v[176:177]
	v_add_f64 v[2:3], v[2:3], v[4:5]
	s_waitcnt vmcnt(6)
	v_mul_f64 v[4:5], v[156:157], v[182:183]
	v_add_f64 v[74:75], v[74:75], v[190:191]
	v_mul_f64 v[190:191], v[154:155], v[182:183]
	s_waitcnt vmcnt(4)
	v_fma_f64 v[4:5], v[154:155], v[184:185], -v[4:5]
	v_fmac_f64_e32 v[190:191], v[156:157], v[184:185]
	v_add_f64 v[2:3], v[2:3], v[4:5]
	v_add_f64 v[74:75], v[74:75], v[190:191]
	s_waitcnt vmcnt(2)
	v_add_f64 v[2:3], v[186:187], -v[2:3]
	s_waitcnt vmcnt(0)
	v_add_f64 v[4:5], v[188:189], -v[74:75]
	buffer_store_dword v3, off, s[0:3], 0 offset:20
	buffer_store_dword v2, off, s[0:3], 0 offset:16
	;; [unrolled: 1-line block ×4, first 2 shown]
	s_and_saveexec_b64 s[6:7], vcc
	s_cbranch_execz .LBB81_121
; %bb.120:
	buffer_load_dword v2, off, s[0:3], 0
	buffer_load_dword v3, off, s[0:3], 0 offset:4
	buffer_load_dword v4, off, s[0:3], 0 offset:8
	;; [unrolled: 1-line block ×3, first 2 shown]
	v_mov_b32_e32 v6, 0
	buffer_store_dword v6, off, s[0:3], 0
	buffer_store_dword v6, off, s[0:3], 0 offset:4
	buffer_store_dword v6, off, s[0:3], 0 offset:8
	;; [unrolled: 1-line block ×3, first 2 shown]
	s_waitcnt vmcnt(4)
	ds_write_b128 v113, v[2:5]
.LBB81_121:
	s_or_b64 exec, exec, s[6:7]
	s_waitcnt lgkmcnt(0)
	; wave barrier
	s_waitcnt lgkmcnt(0)
	buffer_load_dword v2, off, s[0:3], 0 offset:16
	buffer_load_dword v3, off, s[0:3], 0 offset:20
	;; [unrolled: 1-line block ×68, first 2 shown]
	v_mov_b32_e32 v113, 0
	ds_read_b128 v[78:81], v113 offset:304
	ds_read_b128 v[82:85], v113 offset:320
	buffer_load_dword v192, off, s[0:3], 0
	buffer_load_dword v193, off, s[0:3], 0 offset:4
	buffer_load_dword v194, off, s[0:3], 0 offset:8
	;; [unrolled: 1-line block ×3, first 2 shown]
	ds_read_b128 v[86:89], v113 offset:336
	ds_read_b128 v[90:93], v113 offset:352
	;; [unrolled: 1-line block ×3, first 2 shown]
	s_and_b64 vcc, exec, s[18:19]
	s_waitcnt vmcnt(62) lgkmcnt(4)
	v_mul_f64 v[114:115], v[78:79], v[8:9]
	v_fmac_f64_e32 v[114:115], v[80:81], v[2:3]
	v_add_f64 v[114:115], v[114:115], 0
	v_mul_f64 v[8:9], v[80:81], v[8:9]
	s_waitcnt lgkmcnt(3)
	v_mul_f64 v[116:117], v[82:83], v[10:11]
	v_fmac_f64_e32 v[116:117], v[84:85], v[4:5]
	v_add_f64 v[114:115], v[114:115], v[116:117]
	v_fma_f64 v[2:3], v[78:79], v[2:3], -v[8:9]
	s_waitcnt vmcnt(60) lgkmcnt(2)
	v_mul_f64 v[116:117], v[86:87], v[12:13]
	v_fmac_f64_e32 v[116:117], v[88:89], v[6:7]
	v_add_f64 v[118:119], v[114:115], v[116:117]
	ds_read_b128 v[114:117], v113 offset:368
	s_waitcnt vmcnt(56) lgkmcnt(2)
	v_mul_f64 v[120:121], v[90:91], v[18:19]
	v_mul_f64 v[8:9], v[84:85], v[10:11]
	s_waitcnt vmcnt(54)
	v_fmac_f64_e32 v[120:121], v[92:93], v[20:21]
	v_add_f64 v[122:123], v[118:119], v[120:121]
	ds_read_b128 v[118:121], v113 offset:384
	s_waitcnt vmcnt(52) lgkmcnt(1)
	v_mul_f64 v[124:125], v[114:115], v[14:15]
	v_fmac_f64_e32 v[124:125], v[116:117], v[16:17]
	v_add_f64 v[126:127], v[122:123], v[124:125]
	ds_read_b128 v[122:125], v113 offset:400
	s_waitcnt vmcnt(48) lgkmcnt(1)
	v_mul_f64 v[128:129], v[118:119], v[26:27]
	s_waitcnt vmcnt(46)
	v_fmac_f64_e32 v[128:129], v[120:121], v[28:29]
	v_add_f64 v[130:131], v[126:127], v[128:129]
	ds_read_b128 v[126:129], v113 offset:416
	s_waitcnt vmcnt(44) lgkmcnt(1)
	v_mul_f64 v[132:133], v[122:123], v[22:23]
	v_fmac_f64_e32 v[132:133], v[124:125], v[24:25]
	v_add_f64 v[134:135], v[130:131], v[132:133]
	ds_read_b128 v[130:133], v113 offset:432
	s_waitcnt vmcnt(40) lgkmcnt(1)
	v_mul_f64 v[136:137], v[126:127], v[70:71]
	s_waitcnt vmcnt(38)
	v_fmac_f64_e32 v[136:137], v[128:129], v[72:73]
	v_add_f64 v[2:3], v[2:3], 0
	v_fma_f64 v[4:5], v[82:83], v[4:5], -v[8:9]
	v_add_f64 v[138:139], v[134:135], v[136:137]
	ds_read_b128 v[134:137], v113 offset:448
	v_add_f64 v[2:3], v[2:3], v[4:5]
	v_mul_f64 v[4:5], v[88:89], v[12:13]
	v_fma_f64 v[4:5], v[86:87], v[6:7], -v[4:5]
	v_add_f64 v[2:3], v[2:3], v[4:5]
	v_mul_f64 v[4:5], v[92:93], v[18:19]
	s_waitcnt vmcnt(36) lgkmcnt(1)
	v_mul_f64 v[140:141], v[130:131], v[66:67]
	v_fma_f64 v[4:5], v[90:91], v[20:21], -v[4:5]
	v_fmac_f64_e32 v[140:141], v[132:133], v[68:69]
	v_add_f64 v[2:3], v[2:3], v[4:5]
	v_mul_f64 v[4:5], v[116:117], v[14:15]
	v_add_f64 v[142:143], v[138:139], v[140:141]
	ds_read_b128 v[138:141], v113 offset:464
	s_waitcnt vmcnt(32) lgkmcnt(1)
	v_mul_f64 v[144:145], v[134:135], v[94:95]
	v_fma_f64 v[4:5], v[114:115], v[16:17], -v[4:5]
	s_waitcnt vmcnt(30)
	v_fmac_f64_e32 v[144:145], v[136:137], v[166:167]
	v_add_f64 v[2:3], v[2:3], v[4:5]
	v_mul_f64 v[4:5], v[120:121], v[26:27]
	v_add_f64 v[146:147], v[142:143], v[144:145]
	ds_read_b128 v[142:145], v113 offset:480
	v_fma_f64 v[4:5], v[118:119], v[28:29], -v[4:5]
	v_add_f64 v[2:3], v[2:3], v[4:5]
	v_mul_f64 v[4:5], v[124:125], v[22:23]
	v_fma_f64 v[4:5], v[122:123], v[24:25], -v[4:5]
	s_waitcnt vmcnt(28) lgkmcnt(1)
	v_mul_f64 v[148:149], v[138:139], v[74:75]
	v_add_f64 v[2:3], v[2:3], v[4:5]
	v_mul_f64 v[4:5], v[128:129], v[70:71]
	v_fmac_f64_e32 v[148:149], v[140:141], v[76:77]
	v_fma_f64 v[4:5], v[126:127], v[72:73], -v[4:5]
	v_add_f64 v[150:151], v[146:147], v[148:149]
	ds_read_b128 v[146:149], v113 offset:496
	s_waitcnt vmcnt(24) lgkmcnt(1)
	v_mul_f64 v[152:153], v[142:143], v[172:173]
	v_add_f64 v[2:3], v[2:3], v[4:5]
	v_mul_f64 v[4:5], v[132:133], v[66:67]
	s_waitcnt vmcnt(22)
	v_fmac_f64_e32 v[152:153], v[144:145], v[174:175]
	v_fma_f64 v[4:5], v[130:131], v[68:69], -v[4:5]
	v_add_f64 v[154:155], v[150:151], v[152:153]
	ds_read_b128 v[150:153], v113 offset:512
	v_add_f64 v[2:3], v[2:3], v[4:5]
	v_mul_f64 v[4:5], v[136:137], v[94:95]
	v_fma_f64 v[4:5], v[134:135], v[166:167], -v[4:5]
	v_add_f64 v[2:3], v[2:3], v[4:5]
	v_mul_f64 v[4:5], v[140:141], v[74:75]
	s_waitcnt vmcnt(20) lgkmcnt(1)
	v_mul_f64 v[156:157], v[146:147], v[168:169]
	v_fma_f64 v[4:5], v[138:139], v[76:77], -v[4:5]
	v_fmac_f64_e32 v[156:157], v[148:149], v[170:171]
	v_add_f64 v[2:3], v[2:3], v[4:5]
	v_mul_f64 v[4:5], v[144:145], v[172:173]
	v_add_f64 v[158:159], v[154:155], v[156:157]
	ds_read_b128 v[154:157], v113 offset:528
	s_waitcnt vmcnt(16) lgkmcnt(1)
	v_mul_f64 v[160:161], v[150:151], v[180:181]
	v_fma_f64 v[4:5], v[142:143], v[174:175], -v[4:5]
	s_waitcnt vmcnt(14)
	v_fmac_f64_e32 v[160:161], v[152:153], v[182:183]
	v_add_f64 v[2:3], v[2:3], v[4:5]
	v_mul_f64 v[4:5], v[148:149], v[168:169]
	v_add_f64 v[196:197], v[158:159], v[160:161]
	ds_read_b128 v[158:161], v113 offset:544
	v_fma_f64 v[4:5], v[146:147], v[170:171], -v[4:5]
	v_add_f64 v[2:3], v[2:3], v[4:5]
	v_mul_f64 v[4:5], v[152:153], v[180:181]
	v_fma_f64 v[4:5], v[150:151], v[182:183], -v[4:5]
	v_add_f64 v[2:3], v[2:3], v[4:5]
	s_waitcnt vmcnt(12) lgkmcnt(1)
	v_mul_f64 v[4:5], v[156:157], v[176:177]
	v_mul_f64 v[198:199], v[154:155], v[176:177]
	v_fma_f64 v[4:5], v[154:155], v[178:179], -v[4:5]
	v_fmac_f64_e32 v[198:199], v[156:157], v[178:179]
	v_add_f64 v[2:3], v[2:3], v[4:5]
	s_waitcnt vmcnt(8) lgkmcnt(0)
	v_mul_f64 v[4:5], v[160:161], v[188:189]
	v_add_f64 v[196:197], v[196:197], v[198:199]
	v_mul_f64 v[198:199], v[158:159], v[188:189]
	s_waitcnt vmcnt(6)
	v_fma_f64 v[4:5], v[158:159], v[190:191], -v[4:5]
	v_fmac_f64_e32 v[198:199], v[160:161], v[190:191]
	v_add_f64 v[2:3], v[2:3], v[4:5]
	s_waitcnt vmcnt(5)
	v_mul_f64 v[4:5], v[164:165], v[184:185]
	v_add_f64 v[196:197], v[196:197], v[198:199]
	v_mul_f64 v[198:199], v[162:163], v[184:185]
	s_waitcnt vmcnt(4)
	v_fma_f64 v[4:5], v[162:163], v[186:187], -v[4:5]
	v_fmac_f64_e32 v[198:199], v[164:165], v[186:187]
	v_add_f64 v[2:3], v[2:3], v[4:5]
	v_add_f64 v[196:197], v[196:197], v[198:199]
	s_waitcnt vmcnt(2)
	v_add_f64 v[2:3], v[192:193], -v[2:3]
	s_waitcnt vmcnt(0)
	v_add_f64 v[4:5], v[194:195], -v[196:197]
	buffer_store_dword v3, off, s[0:3], 0 offset:4
	buffer_store_dword v2, off, s[0:3], 0
	buffer_store_dword v5, off, s[0:3], 0 offset:12
	buffer_store_dword v4, off, s[0:3], 0 offset:8
	s_cbranch_vccz .LBB81_157
; %bb.122:
	v_pk_mov_b32 v[2:3], s[16:17], s[16:17] op_sel:[0,1]
	flat_load_dword v2, v[2:3] offset:64
	s_load_dwordx2 s[4:5], s[4:5], 0x4
	v_bfe_u32 v4, v0, 10, 10
	v_bfe_u32 v0, v0, 20, 10
	s_waitcnt lgkmcnt(0)
	s_lshr_b32 s4, s4, 16
	s_mul_i32 s4, s4, s5
	v_mul_u32_u24_e32 v3, s4, v112
	v_mul_u32_u24_e32 v4, s5, v4
	v_add3_u32 v0, v3, v4, v0
	v_mov_b32_e32 v3, 0x248
	v_lshl_add_u32 v0, v0, 4, v3
	s_waitcnt vmcnt(0)
	v_add_u32_e32 v2, -1, v2
	v_cmp_ne_u32_e32 vcc, 16, v2
	s_and_saveexec_b64 s[4:5], vcc
	s_cbranch_execz .LBB81_124
; %bb.123:
	v_mov_b32_e32 v3, 0
	v_lshl_add_u32 v6, v2, 4, v3
	buffer_load_dword v2, v97, s[0:3], 0 offen
	buffer_load_dword v3, v97, s[0:3], 0 offen offset:4
	buffer_load_dword v4, v97, s[0:3], 0 offen offset:8
	buffer_load_dword v5, v97, s[0:3], 0 offen offset:12
	buffer_load_dword v7, v6, s[0:3], 0 offen
	buffer_load_dword v8, v6, s[0:3], 0 offen offset:4
	buffer_load_dword v9, v6, s[0:3], 0 offen offset:8
	buffer_load_dword v10, v6, s[0:3], 0 offen offset:12
	s_waitcnt vmcnt(4)
	ds_write2_b64 v0, v[2:3], v[4:5] offset1:1
	s_waitcnt vmcnt(3)
	buffer_store_dword v7, v97, s[0:3], 0 offen
	s_waitcnt vmcnt(3)
	buffer_store_dword v8, v97, s[0:3], 0 offen offset:4
	s_waitcnt vmcnt(3)
	buffer_store_dword v9, v97, s[0:3], 0 offen offset:8
	s_waitcnt vmcnt(3)
	buffer_store_dword v10, v97, s[0:3], 0 offen offset:12
	buffer_store_dword v5, v6, s[0:3], 0 offen offset:12
	buffer_store_dword v4, v6, s[0:3], 0 offen offset:8
	buffer_store_dword v3, v6, s[0:3], 0 offen offset:4
	buffer_store_dword v2, v6, s[0:3], 0 offen
.LBB81_124:
	s_or_b64 exec, exec, s[4:5]
	v_pk_mov_b32 v[2:3], s[16:17], s[16:17] op_sel:[0,1]
	flat_load_dword v2, v[2:3] offset:60
	s_waitcnt vmcnt(0) lgkmcnt(0)
	v_add_u32_e32 v2, -1, v2
	v_cmp_ne_u32_e32 vcc, 15, v2
	s_and_saveexec_b64 s[4:5], vcc
	s_cbranch_execz .LBB81_126
; %bb.125:
	v_mov_b32_e32 v3, 0
	v_lshl_add_u32 v6, v2, 4, v3
	buffer_load_dword v2, v1, s[0:3], 0 offen
	buffer_load_dword v3, v1, s[0:3], 0 offen offset:4
	buffer_load_dword v4, v1, s[0:3], 0 offen offset:8
	buffer_load_dword v5, v1, s[0:3], 0 offen offset:12
	buffer_load_dword v7, v6, s[0:3], 0 offen
	buffer_load_dword v8, v6, s[0:3], 0 offen offset:4
	buffer_load_dword v9, v6, s[0:3], 0 offen offset:8
	buffer_load_dword v10, v6, s[0:3], 0 offen offset:12
	s_waitcnt vmcnt(4)
	ds_write2_b64 v0, v[2:3], v[4:5] offset1:1
	s_waitcnt vmcnt(3)
	buffer_store_dword v7, v1, s[0:3], 0 offen
	s_waitcnt vmcnt(3)
	buffer_store_dword v8, v1, s[0:3], 0 offen offset:4
	s_waitcnt vmcnt(3)
	buffer_store_dword v9, v1, s[0:3], 0 offen offset:8
	s_waitcnt vmcnt(3)
	buffer_store_dword v10, v1, s[0:3], 0 offen offset:12
	buffer_store_dword v5, v6, s[0:3], 0 offen offset:12
	buffer_store_dword v4, v6, s[0:3], 0 offen offset:8
	buffer_store_dword v3, v6, s[0:3], 0 offen offset:4
	buffer_store_dword v2, v6, s[0:3], 0 offen
.LBB81_126:
	s_or_b64 exec, exec, s[4:5]
	v_pk_mov_b32 v[2:3], s[16:17], s[16:17] op_sel:[0,1]
	flat_load_dword v2, v[2:3] offset:56
	s_waitcnt vmcnt(0) lgkmcnt(0)
	;; [unrolled: 34-line block ×15, first 2 shown]
	v_add_u32_e32 v2, -1, v2
	v_cmp_ne_u32_e32 vcc, 1, v2
	s_and_saveexec_b64 s[4:5], vcc
	s_cbranch_execz .LBB81_154
; %bb.153:
	v_mov_b32_e32 v3, 0
	v_lshl_add_u32 v6, v2, 4, v3
	buffer_load_dword v2, v109, s[0:3], 0 offen
	buffer_load_dword v3, v109, s[0:3], 0 offen offset:4
	buffer_load_dword v4, v109, s[0:3], 0 offen offset:8
	;; [unrolled: 1-line block ×3, first 2 shown]
	buffer_load_dword v7, v6, s[0:3], 0 offen
	buffer_load_dword v8, v6, s[0:3], 0 offen offset:4
	buffer_load_dword v9, v6, s[0:3], 0 offen offset:8
	;; [unrolled: 1-line block ×3, first 2 shown]
	s_waitcnt vmcnt(4)
	ds_write2_b64 v0, v[2:3], v[4:5] offset1:1
	s_waitcnt vmcnt(3)
	buffer_store_dword v7, v109, s[0:3], 0 offen
	s_waitcnt vmcnt(3)
	buffer_store_dword v8, v109, s[0:3], 0 offen offset:4
	s_waitcnt vmcnt(3)
	buffer_store_dword v9, v109, s[0:3], 0 offen offset:8
	;; [unrolled: 2-line block ×3, first 2 shown]
	buffer_store_dword v5, v6, s[0:3], 0 offen offset:12
	buffer_store_dword v4, v6, s[0:3], 0 offen offset:8
	;; [unrolled: 1-line block ×3, first 2 shown]
	buffer_store_dword v2, v6, s[0:3], 0 offen
.LBB81_154:
	s_or_b64 exec, exec, s[4:5]
	v_pk_mov_b32 v[2:3], s[16:17], s[16:17] op_sel:[0,1]
	flat_load_dword v2, v[2:3]
	s_waitcnt vmcnt(0) lgkmcnt(0)
	v_add_u32_e32 v2, -1, v2
	v_cmp_ne_u32_e32 vcc, 0, v2
	s_and_saveexec_b64 s[4:5], vcc
	s_cbranch_execz .LBB81_156
; %bb.155:
	v_mov_b32_e32 v3, 0
	v_lshl_add_u32 v6, v2, 4, v3
	buffer_load_dword v2, off, s[0:3], 0
	buffer_load_dword v3, off, s[0:3], 0 offset:4
	buffer_load_dword v4, off, s[0:3], 0 offset:8
	;; [unrolled: 1-line block ×3, first 2 shown]
	buffer_load_dword v7, v6, s[0:3], 0 offen
	buffer_load_dword v8, v6, s[0:3], 0 offen offset:4
	buffer_load_dword v9, v6, s[0:3], 0 offen offset:8
	;; [unrolled: 1-line block ×3, first 2 shown]
	s_waitcnt vmcnt(4)
	ds_write2_b64 v0, v[2:3], v[4:5] offset1:1
	s_waitcnt vmcnt(3)
	buffer_store_dword v7, off, s[0:3], 0
	s_waitcnt vmcnt(3)
	buffer_store_dword v8, off, s[0:3], 0 offset:4
	s_waitcnt vmcnt(3)
	buffer_store_dword v9, off, s[0:3], 0 offset:8
	;; [unrolled: 2-line block ×3, first 2 shown]
	buffer_store_dword v5, v6, s[0:3], 0 offen offset:12
	buffer_store_dword v4, v6, s[0:3], 0 offen offset:8
	;; [unrolled: 1-line block ×3, first 2 shown]
	buffer_store_dword v2, v6, s[0:3], 0 offen
.LBB81_156:
	s_or_b64 exec, exec, s[4:5]
.LBB81_157:
	buffer_load_dword v2, off, s[0:3], 0
	buffer_load_dword v3, off, s[0:3], 0 offset:4
	buffer_load_dword v4, off, s[0:3], 0 offset:8
	;; [unrolled: 1-line block ×3, first 2 shown]
	buffer_load_dword v7, v109, s[0:3], 0 offen offset:4
	buffer_load_dword v8, v109, s[0:3], 0 offen offset:8
	;; [unrolled: 1-line block ×3, first 2 shown]
	buffer_load_dword v10, v111, s[0:3], 0 offen
	buffer_load_dword v11, v111, s[0:3], 0 offen offset:4
	buffer_load_dword v12, v111, s[0:3], 0 offen offset:8
	buffer_load_dword v6, v109, s[0:3], 0 offen
	buffer_load_dword v13, v111, s[0:3], 0 offen offset:12
	buffer_load_dword v15, v110, s[0:3], 0 offen offset:4
	;; [unrolled: 1-line block ×4, first 2 shown]
	buffer_load_dword v18, v107, s[0:3], 0 offen
	buffer_load_dword v19, v107, s[0:3], 0 offen offset:4
	buffer_load_dword v20, v107, s[0:3], 0 offen offset:8
	buffer_load_dword v14, v110, s[0:3], 0 offen
                                        ; kill: killed $vgpr111
                                        ; kill: killed $vgpr109
                                        ; kill: killed $vgpr110
	buffer_load_dword v21, v107, s[0:3], 0 offen offset:12
	buffer_load_dword v23, v106, s[0:3], 0 offen offset:4
	;; [unrolled: 1-line block ×4, first 2 shown]
	buffer_load_dword v26, v108, s[0:3], 0 offen
	buffer_load_dword v27, v108, s[0:3], 0 offen offset:4
	buffer_load_dword v28, v108, s[0:3], 0 offen offset:8
	buffer_load_dword v22, v106, s[0:3], 0 offen
	buffer_load_dword v29, v108, s[0:3], 0 offen offset:12
	buffer_load_dword v67, v102, s[0:3], 0 offen offset:4
	buffer_load_dword v68, v102, s[0:3], 0 offen offset:8
	buffer_load_dword v69, v102, s[0:3], 0 offen offset:12
	buffer_load_dword v70, v103, s[0:3], 0 offen
	buffer_load_dword v71, v103, s[0:3], 0 offen offset:4
	buffer_load_dword v72, v103, s[0:3], 0 offen offset:8
                                        ; kill: killed $vgpr107
                                        ; kill: killed $vgpr108
                                        ; kill: killed $vgpr106
	buffer_load_dword v66, v102, s[0:3], 0 offen
	buffer_load_dword v73, v103, s[0:3], 0 offen offset:12
	buffer_load_dword v75, v104, s[0:3], 0 offen offset:4
	;; [unrolled: 1-line block ×4, first 2 shown]
	buffer_load_dword v78, v105, s[0:3], 0 offen
	buffer_load_dword v79, v105, s[0:3], 0 offen offset:4
	buffer_load_dword v80, v105, s[0:3], 0 offen offset:8
	buffer_load_dword v74, v104, s[0:3], 0 offen
	buffer_load_dword v81, v105, s[0:3], 0 offen offset:12
	buffer_load_dword v83, v99, s[0:3], 0 offen offset:4
	;; [unrolled: 1-line block ×4, first 2 shown]
	buffer_load_dword v86, v98, s[0:3], 0 offen
	buffer_load_dword v87, v98, s[0:3], 0 offen offset:4
                                        ; kill: killed $vgpr104
                                        ; kill: killed $vgpr103
                                        ; kill: killed $vgpr105
                                        ; kill: killed $vgpr102
	buffer_load_dword v88, v98, s[0:3], 0 offen offset:8
	buffer_load_dword v82, v99, s[0:3], 0 offen
	buffer_load_dword v89, v98, s[0:3], 0 offen offset:12
	buffer_load_dword v91, v100, s[0:3], 0 offen offset:4
	;; [unrolled: 1-line block ×4, first 2 shown]
	buffer_load_dword v102, v101, s[0:3], 0 offen
	buffer_load_dword v103, v101, s[0:3], 0 offen offset:4
	buffer_load_dword v104, v101, s[0:3], 0 offen offset:8
	buffer_load_dword v90, v100, s[0:3], 0 offen
	buffer_load_dword v105, v101, s[0:3], 0 offen offset:12
	buffer_load_dword v107, v1, s[0:3], 0 offen offset:4
	;; [unrolled: 1-line block ×4, first 2 shown]
	buffer_load_dword v110, v97, s[0:3], 0 offen
                                        ; kill: killed $vgpr101
                                        ; kill: killed $vgpr99
                                        ; kill: killed $vgpr100
                                        ; kill: killed $vgpr98
	buffer_load_dword v111, v97, s[0:3], 0 offen offset:4
	buffer_load_dword v112, v97, s[0:3], 0 offen offset:8
	buffer_load_dword v106, v1, s[0:3], 0 offen
	buffer_load_dword v113, v97, s[0:3], 0 offen offset:12
	buffer_load_dword v98, v96, s[0:3], 0 offen
	buffer_load_dword v99, v96, s[0:3], 0 offen offset:4
	buffer_load_dword v100, v96, s[0:3], 0 offen offset:8
	;; [unrolled: 1-line block ×3, first 2 shown]
	s_waitcnt vmcnt(62)
	global_store_dwordx4 v[30:31], v[2:5], off
	s_waitcnt vmcnt(62)
	global_store_dwordx4 v[32:33], v[6:9], off
	;; [unrolled: 2-line block ×18, first 2 shown]
	s_endpgm
	.section	.rodata,"a",@progbits
	.p2align	6, 0x0
	.amdhsa_kernel _ZN9rocsolver6v33100L18getri_kernel_smallILi18E19rocblas_complex_numIdEPKPS3_EEvT1_iilPiilS8_bb
		.amdhsa_group_segment_fixed_size 1608
		.amdhsa_private_segment_fixed_size 304
		.amdhsa_kernarg_size 60
		.amdhsa_user_sgpr_count 10
		.amdhsa_user_sgpr_private_segment_buffer 1
		.amdhsa_user_sgpr_dispatch_ptr 1
		.amdhsa_user_sgpr_queue_ptr 0
		.amdhsa_user_sgpr_kernarg_segment_ptr 1
		.amdhsa_user_sgpr_dispatch_id 0
		.amdhsa_user_sgpr_flat_scratch_init 1
		.amdhsa_user_sgpr_kernarg_preload_length 0
		.amdhsa_user_sgpr_kernarg_preload_offset 0
		.amdhsa_user_sgpr_private_segment_size 0
		.amdhsa_uses_dynamic_stack 0
		.amdhsa_system_sgpr_private_segment_wavefront_offset 1
		.amdhsa_system_sgpr_workgroup_id_x 1
		.amdhsa_system_sgpr_workgroup_id_y 0
		.amdhsa_system_sgpr_workgroup_id_z 0
		.amdhsa_system_sgpr_workgroup_info 0
		.amdhsa_system_vgpr_workitem_id 2
		.amdhsa_next_free_vgpr 200
		.amdhsa_next_free_sgpr 24
		.amdhsa_accum_offset 200
		.amdhsa_reserve_vcc 1
		.amdhsa_reserve_flat_scratch 1
		.amdhsa_float_round_mode_32 0
		.amdhsa_float_round_mode_16_64 0
		.amdhsa_float_denorm_mode_32 3
		.amdhsa_float_denorm_mode_16_64 3
		.amdhsa_dx10_clamp 1
		.amdhsa_ieee_mode 1
		.amdhsa_fp16_overflow 0
		.amdhsa_tg_split 0
		.amdhsa_exception_fp_ieee_invalid_op 0
		.amdhsa_exception_fp_denorm_src 0
		.amdhsa_exception_fp_ieee_div_zero 0
		.amdhsa_exception_fp_ieee_overflow 0
		.amdhsa_exception_fp_ieee_underflow 0
		.amdhsa_exception_fp_ieee_inexact 0
		.amdhsa_exception_int_div_zero 0
	.end_amdhsa_kernel
	.section	.text._ZN9rocsolver6v33100L18getri_kernel_smallILi18E19rocblas_complex_numIdEPKPS3_EEvT1_iilPiilS8_bb,"axG",@progbits,_ZN9rocsolver6v33100L18getri_kernel_smallILi18E19rocblas_complex_numIdEPKPS3_EEvT1_iilPiilS8_bb,comdat
.Lfunc_end81:
	.size	_ZN9rocsolver6v33100L18getri_kernel_smallILi18E19rocblas_complex_numIdEPKPS3_EEvT1_iilPiilS8_bb, .Lfunc_end81-_ZN9rocsolver6v33100L18getri_kernel_smallILi18E19rocblas_complex_numIdEPKPS3_EEvT1_iilPiilS8_bb
                                        ; -- End function
	.section	.AMDGPU.csdata,"",@progbits
; Kernel info:
; codeLenInByte = 29184
; NumSgprs: 30
; NumVgprs: 200
; NumAgprs: 0
; TotalNumVgprs: 200
; ScratchSize: 304
; MemoryBound: 0
; FloatMode: 240
; IeeeMode: 1
; LDSByteSize: 1608 bytes/workgroup (compile time only)
; SGPRBlocks: 3
; VGPRBlocks: 24
; NumSGPRsForWavesPerEU: 30
; NumVGPRsForWavesPerEU: 200
; AccumOffset: 200
; Occupancy: 2
; WaveLimiterHint : 1
; COMPUTE_PGM_RSRC2:SCRATCH_EN: 1
; COMPUTE_PGM_RSRC2:USER_SGPR: 10
; COMPUTE_PGM_RSRC2:TRAP_HANDLER: 0
; COMPUTE_PGM_RSRC2:TGID_X_EN: 1
; COMPUTE_PGM_RSRC2:TGID_Y_EN: 0
; COMPUTE_PGM_RSRC2:TGID_Z_EN: 0
; COMPUTE_PGM_RSRC2:TIDIG_COMP_CNT: 2
; COMPUTE_PGM_RSRC3_GFX90A:ACCUM_OFFSET: 49
; COMPUTE_PGM_RSRC3_GFX90A:TG_SPLIT: 0
	.section	.text._ZN9rocsolver6v33100L18getri_kernel_smallILi19E19rocblas_complex_numIdEPKPS3_EEvT1_iilPiilS8_bb,"axG",@progbits,_ZN9rocsolver6v33100L18getri_kernel_smallILi19E19rocblas_complex_numIdEPKPS3_EEvT1_iilPiilS8_bb,comdat
	.globl	_ZN9rocsolver6v33100L18getri_kernel_smallILi19E19rocblas_complex_numIdEPKPS3_EEvT1_iilPiilS8_bb ; -- Begin function _ZN9rocsolver6v33100L18getri_kernel_smallILi19E19rocblas_complex_numIdEPKPS3_EEvT1_iilPiilS8_bb
	.p2align	8
	.type	_ZN9rocsolver6v33100L18getri_kernel_smallILi19E19rocblas_complex_numIdEPKPS3_EEvT1_iilPiilS8_bb,@function
_ZN9rocsolver6v33100L18getri_kernel_smallILi19E19rocblas_complex_numIdEPKPS3_EEvT1_iilPiilS8_bb: ; @_ZN9rocsolver6v33100L18getri_kernel_smallILi19E19rocblas_complex_numIdEPKPS3_EEvT1_iilPiilS8_bb
; %bb.0:
	s_add_u32 flat_scratch_lo, s8, s11
	s_addc_u32 flat_scratch_hi, s9, 0
	s_add_u32 s0, s0, s11
	v_and_b32_e32 v115, 0x3ff, v0
	s_addc_u32 s1, s1, 0
	v_cmp_gt_u32_e32 vcc, 19, v115
	s_and_saveexec_b64 s[8:9], vcc
	s_cbranch_execz .LBB82_90
; %bb.1:
	s_load_dword s20, s[6:7], 0x38
	s_load_dwordx2 s[8:9], s[6:7], 0x0
	s_load_dwordx4 s[12:15], s[6:7], 0x28
	s_waitcnt lgkmcnt(0)
	s_bitcmp1_b32 s20, 8
	s_cselect_b64 s[18:19], -1, 0
	s_ashr_i32 s11, s10, 31
	s_lshl_b64 s[16:17], s[10:11], 3
	s_add_u32 s8, s8, s16
	s_addc_u32 s9, s9, s17
	s_load_dwordx2 s[8:9], s[8:9], 0x0
	s_bfe_u32 s16, s20, 0x10008
	s_cmp_eq_u32 s16, 0
                                        ; implicit-def: $sgpr16_sgpr17
	s_cbranch_scc1 .LBB82_3
; %bb.2:
	s_load_dword s16, s[6:7], 0x20
	s_load_dwordx2 s[22:23], s[6:7], 0x18
	s_mul_i32 s13, s10, s13
	s_mul_hi_u32 s17, s10, s12
	s_add_i32 s13, s17, s13
	s_mul_i32 s21, s11, s12
	s_add_i32 s13, s13, s21
	s_mul_i32 s12, s10, s12
	s_waitcnt lgkmcnt(0)
	s_ashr_i32 s17, s16, 31
	s_lshl_b64 s[12:13], s[12:13], 2
	s_add_u32 s21, s22, s12
	s_addc_u32 s22, s23, s13
	s_lshl_b64 s[12:13], s[16:17], 2
	s_add_u32 s16, s21, s12
	s_addc_u32 s17, s22, s13
.LBB82_3:
	s_load_dwordx2 s[6:7], s[6:7], 0x8
	v_lshlrev_b32_e32 v12, 4, v115
	s_waitcnt lgkmcnt(0)
	s_ashr_i32 s13, s6, 31
	s_mov_b32 s12, s6
	s_lshl_b64 s[12:13], s[12:13], 4
	s_add_u32 s8, s8, s12
	s_addc_u32 s9, s9, s13
	v_mov_b32_e32 v1, s9
	v_add_co_u32_e32 v30, vcc, s8, v12
	global_load_dwordx4 v[6:9], v12, s[8:9]
	s_ashr_i32 s13, s7, 31
	s_mov_b32 s12, s7
	v_addc_co_u32_e32 v31, vcc, 0, v1, vcc
	s_lshl_b64 s[12:13], s[12:13], 4
	v_mov_b32_e32 v1, s13
	v_add_co_u32_e32 v32, vcc, s12, v30
	s_add_i32 s6, s7, s7
	v_addc_co_u32_e32 v33, vcc, v31, v1, vcc
	global_load_dwordx4 v[14:17], v[32:33], off
	v_add_u32_e32 v10, s6, v115
	v_ashrrev_i32_e32 v11, 31, v10
	v_lshlrev_b64 v[2:3], 4, v[10:11]
	v_mov_b32_e32 v1, s9
	v_add_co_u32_e32 v34, vcc, s8, v2
	v_addc_co_u32_e32 v35, vcc, v1, v3, vcc
	global_load_dwordx4 v[2:5], v[34:35], off
	v_add_u32_e32 v10, s7, v10
	v_ashrrev_i32_e32 v11, 31, v10
	v_add_u32_e32 v18, s7, v10
	v_lshlrev_b64 v[10:11], 4, v[10:11]
	v_ashrrev_i32_e32 v19, 31, v18
	v_add_co_u32_e32 v36, vcc, s8, v10
	v_add_u32_e32 v20, s7, v18
	v_addc_co_u32_e32 v37, vcc, v1, v11, vcc
	v_lshlrev_b64 v[10:11], 4, v[18:19]
	v_mov_b32_e32 v13, s9
	v_ashrrev_i32_e32 v21, 31, v20
	v_add_co_u32_e32 v38, vcc, s8, v10
	v_add_u32_e32 v26, s7, v20
	v_addc_co_u32_e32 v39, vcc, v13, v11, vcc
	v_lshlrev_b64 v[10:11], 4, v[20:21]
	v_mov_b32_e32 v29, s9
	;; [unrolled: 6-line block ×4, first 2 shown]
	v_ashrrev_i32_e32 v49, 31, v48
	v_add_co_u32_e32 v44, vcc, s8, v10
	v_addc_co_u32_e32 v45, vcc, v45, v11, vcc
	v_lshlrev_b64 v[10:11], 4, v[48:49]
	v_mov_b32_e32 v47, s9
	v_add_co_u32_e32 v46, vcc, s8, v10
	v_add_u32_e32 v10, s7, v48
	v_addc_co_u32_e32 v47, vcc, v47, v11, vcc
	v_ashrrev_i32_e32 v11, 31, v10
	v_lshlrev_b64 v[48:49], 4, v[10:11]
	v_add_u32_e32 v10, s7, v10
	v_add_co_u32_e32 v48, vcc, s8, v48
	v_ashrrev_i32_e32 v11, 31, v10
	v_addc_co_u32_e32 v49, vcc, v1, v49, vcc
	v_lshlrev_b64 v[50:51], 4, v[10:11]
	v_add_u32_e32 v10, s7, v10
	v_add_co_u32_e32 v50, vcc, s8, v50
	v_ashrrev_i32_e32 v11, 31, v10
	v_addc_co_u32_e32 v51, vcc, v1, v51, vcc
	;; [unrolled: 5-line block ×8, first 2 shown]
	v_lshlrev_b64 v[64:65], 4, v[10:11]
	v_add_u32_e32 v10, s7, v10
	v_add_co_u32_e32 v64, vcc, s8, v64
	v_ashrrev_i32_e32 v11, 31, v10
	global_load_dwordx4 v[18:21], v[36:37], off
	global_load_dwordx4 v[22:25], v[38:39], off
	;; [unrolled: 1-line block ×4, first 2 shown]
	s_waitcnt vmcnt(6)
	buffer_store_dword v9, off, s[0:3], 0 offset:12
	buffer_store_dword v8, off, s[0:3], 0 offset:8
	;; [unrolled: 1-line block ×3, first 2 shown]
	buffer_store_dword v6, off, s[0:3], 0
	s_waitcnt vmcnt(9)
	buffer_store_dword v17, off, s[0:3], 0 offset:28
	buffer_store_dword v16, off, s[0:3], 0 offset:24
	;; [unrolled: 1-line block ×4, first 2 shown]
	s_waitcnt vmcnt(12)
	buffer_store_dword v5, off, s[0:3], 0 offset:44
	v_addc_co_u32_e32 v65, vcc, v1, v65, vcc
	v_lshlrev_b64 v[10:11], 4, v[10:11]
	global_load_dwordx4 v[6:9], v[44:45], off
	global_load_dwordx4 v[14:17], v[46:47], off
	;; [unrolled: 1-line block ×8, first 2 shown]
	v_add_co_u32_e32 v66, vcc, s8, v10
	global_load_dwordx4 v[96:99], v[60:61], off
	global_load_dwordx4 v[100:103], v[62:63], off
	v_addc_co_u32_e32 v67, vcc, v1, v11, vcc
	global_load_dwordx4 v[116:119], v[64:65], off
	global_load_dwordx4 v[120:123], v[66:67], off
	s_bitcmp0_b32 s20, 0
	s_mov_b64 s[8:9], -1
	buffer_store_dword v4, off, s[0:3], 0 offset:40
	buffer_store_dword v3, off, s[0:3], 0 offset:36
	buffer_store_dword v2, off, s[0:3], 0 offset:32
	s_waitcnt vmcnt(27)
	buffer_store_dword v21, off, s[0:3], 0 offset:60
	buffer_store_dword v20, off, s[0:3], 0 offset:56
	buffer_store_dword v19, off, s[0:3], 0 offset:52
	buffer_store_dword v18, off, s[0:3], 0 offset:48
	s_waitcnt vmcnt(30)
	buffer_store_dword v25, off, s[0:3], 0 offset:76
	;; [unrolled: 5-line block ×12, first 2 shown]
	buffer_store_dword v94, off, s[0:3], 0 offset:232
	buffer_store_dword v93, off, s[0:3], 0 offset:228
	;; [unrolled: 1-line block ×3, first 2 shown]
	v_mov_b32_e32 v2, 0
	v_add_u32_e32 v112, 16, v2
	v_add_u32_e32 v114, 32, v2
	;; [unrolled: 1-line block ×3, first 2 shown]
	s_waitcnt vmcnt(54)
	buffer_store_dword v99, off, s[0:3], 0 offset:252
	buffer_store_dword v98, off, s[0:3], 0 offset:248
	buffer_store_dword v97, off, s[0:3], 0 offset:244
	buffer_store_dword v96, off, s[0:3], 0 offset:240
	v_add_u32_e32 v108, 64, v2
	v_add_u32_e32 v110, 0x50, v2
	;; [unrolled: 1-line block ×4, first 2 shown]
	s_waitcnt vmcnt(57)
	buffer_store_dword v103, off, s[0:3], 0 offset:268
	buffer_store_dword v102, off, s[0:3], 0 offset:264
	buffer_store_dword v101, off, s[0:3], 0 offset:260
	buffer_store_dword v100, off, s[0:3], 0 offset:256
	v_add_u32_e32 v104, 0x80, v2
	v_add_u32_e32 v106, 0x90, v2
	;; [unrolled: 1-line block ×11, first 2 shown]
	s_waitcnt vmcnt(60)
	buffer_store_dword v119, off, s[0:3], 0 offset:284
	buffer_store_dword v118, off, s[0:3], 0 offset:280
	;; [unrolled: 1-line block ×4, first 2 shown]
	s_waitcnt vmcnt(62)
	buffer_store_dword v123, off, s[0:3], 0 offset:300
	buffer_store_dword v122, off, s[0:3], 0 offset:296
	;; [unrolled: 1-line block ×4, first 2 shown]
	s_cbranch_scc1 .LBB82_88
; %bb.4:
	v_cmp_eq_u32_e64 s[6:7], 0, v115
	s_and_saveexec_b64 s[8:9], s[6:7]
	s_cbranch_execz .LBB82_6
; %bb.5:
	v_mov_b32_e32 v2, 0
	ds_write_b32 v2, v2 offset:608
.LBB82_6:
	s_or_b64 exec, exec, s[8:9]
	v_mov_b32_e32 v2, 0
	v_lshl_add_u32 v13, v115, 4, v2
	s_waitcnt lgkmcnt(0)
	; wave barrier
	s_waitcnt lgkmcnt(0)
	buffer_load_dword v2, v13, s[0:3], 0 offen
	buffer_load_dword v3, v13, s[0:3], 0 offen offset:4
	buffer_load_dword v4, v13, s[0:3], 0 offen offset:8
	;; [unrolled: 1-line block ×3, first 2 shown]
	s_waitcnt vmcnt(2)
	v_cmp_eq_f64_e32 vcc, 0, v[2:3]
	s_waitcnt vmcnt(0)
	v_cmp_eq_f64_e64 s[8:9], 0, v[4:5]
	s_and_b64 s[8:9], vcc, s[8:9]
	s_and_saveexec_b64 s[12:13], s[8:9]
	s_cbranch_execz .LBB82_10
; %bb.7:
	v_mov_b32_e32 v2, 0
	ds_read_b32 v4, v2 offset:608
	v_add_u32_e32 v3, 1, v115
	s_waitcnt lgkmcnt(0)
	v_readfirstlane_b32 s8, v4
	s_cmp_eq_u32 s8, 0
	s_cselect_b64 s[20:21], -1, 0
	v_cmp_gt_i32_e32 vcc, s8, v3
	s_or_b64 s[20:21], s[20:21], vcc
	s_and_b64 exec, exec, s[20:21]
	s_cbranch_execz .LBB82_10
; %bb.8:
	s_mov_b64 s[20:21], 0
	v_mov_b32_e32 v4, s8
.LBB82_9:                               ; =>This Inner Loop Header: Depth=1
	ds_cmpst_rtn_b32 v4, v2, v4, v3 offset:608
	s_waitcnt lgkmcnt(0)
	v_cmp_ne_u32_e32 vcc, 0, v4
	v_cmp_le_i32_e64 s[8:9], v4, v3
	s_and_b64 s[8:9], vcc, s[8:9]
	s_and_b64 s[8:9], exec, s[8:9]
	s_or_b64 s[20:21], s[8:9], s[20:21]
	s_andn2_b64 exec, exec, s[20:21]
	s_cbranch_execnz .LBB82_9
.LBB82_10:
	s_or_b64 exec, exec, s[12:13]
	v_mov_b32_e32 v3, 0
	s_waitcnt lgkmcnt(0)
	; wave barrier
	ds_read_b32 v2, v3 offset:608
	s_and_saveexec_b64 s[8:9], s[6:7]
	s_cbranch_execz .LBB82_12
; %bb.11:
	s_lshl_b64 s[12:13], s[10:11], 2
	s_add_u32 s12, s14, s12
	s_addc_u32 s13, s15, s13
	s_waitcnt lgkmcnt(0)
	global_store_dword v3, v2, s[12:13]
.LBB82_12:
	s_or_b64 exec, exec, s[8:9]
	s_waitcnt lgkmcnt(0)
	v_cmp_ne_u32_e32 vcc, 0, v2
	s_mov_b64 s[8:9], 0
	s_cbranch_vccnz .LBB82_88
; %bb.13:
	buffer_load_dword v7, v13, s[0:3], 0 offen offset:4
	buffer_load_dword v6, v13, s[0:3], 0 offen
	buffer_load_dword v9, v13, s[0:3], 0 offen offset:12
	buffer_load_dword v8, v13, s[0:3], 0 offen offset:8
                                        ; implicit-def: $vgpr10_vgpr11
	s_waitcnt vmcnt(3)
	v_xor_b32_e32 v3, 0x80000000, v7
	s_waitcnt vmcnt(2)
	v_cmp_gt_f64_e32 vcc, 0, v[6:7]
	s_waitcnt vmcnt(1)
	v_xor_b32_e32 v4, 0x80000000, v9
	v_cndmask_b32_e32 v3, v7, v3, vcc
	s_waitcnt vmcnt(0)
	v_cmp_gt_f64_e32 vcc, 0, v[8:9]
	v_mov_b32_e32 v2, v6
	v_cndmask_b32_e32 v5, v9, v4, vcc
	v_mov_b32_e32 v4, v8
	v_cmp_ngt_f64_e32 vcc, v[2:3], v[4:5]
                                        ; implicit-def: $vgpr4_vgpr5
	s_and_saveexec_b64 s[8:9], vcc
	s_xor_b64 s[8:9], exec, s[8:9]
	s_cbranch_execz .LBB82_15
; %bb.14:
	v_div_scale_f64 v[2:3], s[12:13], v[8:9], v[8:9], v[6:7]
	v_rcp_f64_e32 v[4:5], v[2:3]
	v_div_scale_f64 v[10:11], vcc, v[6:7], v[8:9], v[6:7]
	v_fma_f64 v[14:15], -v[2:3], v[4:5], 1.0
	v_fmac_f64_e32 v[4:5], v[4:5], v[14:15]
	v_fma_f64 v[14:15], -v[2:3], v[4:5], 1.0
	v_fmac_f64_e32 v[4:5], v[4:5], v[14:15]
	v_mul_f64 v[14:15], v[10:11], v[4:5]
	v_fma_f64 v[2:3], -v[2:3], v[14:15], v[10:11]
	v_div_fmas_f64 v[2:3], v[2:3], v[4:5], v[14:15]
	v_div_fixup_f64 v[2:3], v[2:3], v[8:9], v[6:7]
	v_fmac_f64_e32 v[8:9], v[6:7], v[2:3]
	v_div_scale_f64 v[4:5], s[12:13], v[8:9], v[8:9], 1.0
	v_rcp_f64_e32 v[6:7], v[4:5]
	v_fma_f64 v[10:11], -v[4:5], v[6:7], 1.0
	v_fmac_f64_e32 v[6:7], v[6:7], v[10:11]
	v_fma_f64 v[10:11], -v[4:5], v[6:7], 1.0
	v_fmac_f64_e32 v[6:7], v[6:7], v[10:11]
	v_div_scale_f64 v[10:11], vcc, 1.0, v[8:9], 1.0
	v_mul_f64 v[14:15], v[10:11], v[6:7]
	v_fma_f64 v[4:5], -v[4:5], v[14:15], v[10:11]
	s_nop 1
	v_div_fmas_f64 v[4:5], v[4:5], v[6:7], v[14:15]
	v_div_fixup_f64 v[4:5], v[4:5], v[8:9], 1.0
	v_mul_f64 v[10:11], v[2:3], v[4:5]
	v_xor_b32_e32 v5, 0x80000000, v5
	v_xor_b32_e32 v3, 0x80000000, v11
	v_mov_b32_e32 v2, v10
                                        ; implicit-def: $vgpr6_vgpr7
                                        ; implicit-def: $vgpr8_vgpr9
.LBB82_15:
	s_andn2_saveexec_b64 s[8:9], s[8:9]
	s_cbranch_execz .LBB82_17
; %bb.16:
	v_div_scale_f64 v[2:3], s[12:13], v[6:7], v[6:7], v[8:9]
	v_rcp_f64_e32 v[4:5], v[2:3]
	v_div_scale_f64 v[10:11], vcc, v[8:9], v[6:7], v[8:9]
	v_fma_f64 v[14:15], -v[2:3], v[4:5], 1.0
	v_fmac_f64_e32 v[4:5], v[4:5], v[14:15]
	v_fma_f64 v[14:15], -v[2:3], v[4:5], 1.0
	v_fmac_f64_e32 v[4:5], v[4:5], v[14:15]
	v_mul_f64 v[14:15], v[10:11], v[4:5]
	v_fma_f64 v[2:3], -v[2:3], v[14:15], v[10:11]
	v_div_fmas_f64 v[2:3], v[2:3], v[4:5], v[14:15]
	v_div_fixup_f64 v[4:5], v[2:3], v[6:7], v[8:9]
	v_fmac_f64_e32 v[6:7], v[8:9], v[4:5]
	v_div_scale_f64 v[2:3], s[12:13], v[6:7], v[6:7], 1.0
	v_rcp_f64_e32 v[8:9], v[2:3]
	v_fma_f64 v[10:11], -v[2:3], v[8:9], 1.0
	v_fmac_f64_e32 v[8:9], v[8:9], v[10:11]
	v_fma_f64 v[10:11], -v[2:3], v[8:9], 1.0
	v_fmac_f64_e32 v[8:9], v[8:9], v[10:11]
	v_div_scale_f64 v[10:11], vcc, 1.0, v[6:7], 1.0
	v_mul_f64 v[14:15], v[10:11], v[8:9]
	v_fma_f64 v[2:3], -v[2:3], v[14:15], v[10:11]
	s_nop 1
	v_div_fmas_f64 v[2:3], v[2:3], v[8:9], v[14:15]
	v_div_fixup_f64 v[10:11], v[2:3], v[6:7], 1.0
	v_xor_b32_e32 v3, 0x80000000, v11
	v_mov_b32_e32 v2, v10
	v_mul_f64 v[4:5], v[4:5], -v[10:11]
.LBB82_17:
	s_or_b64 exec, exec, s[8:9]
	buffer_store_dword v11, v13, s[0:3], 0 offen offset:4
	buffer_store_dword v10, v13, s[0:3], 0 offen
	buffer_store_dword v5, v13, s[0:3], 0 offen offset:12
	buffer_store_dword v4, v13, s[0:3], 0 offen offset:8
	buffer_load_dword v11, v112, s[0:3], 0 offen offset:12
	s_nop 0
	buffer_load_dword v10, v112, s[0:3], 0 offen offset:8
	buffer_load_dword v9, v112, s[0:3], 0 offen offset:4
	buffer_load_dword v8, v112, s[0:3], 0 offen
	v_xor_b32_e32 v5, 0x80000000, v5
	v_add_u32_e32 v6, 0x130, v12
	ds_write_b128 v12, v[2:5]
	s_waitcnt vmcnt(0)
	ds_write_b128 v12, v[8:11] offset:304
	s_waitcnt lgkmcnt(0)
	; wave barrier
	s_waitcnt lgkmcnt(0)
	s_and_saveexec_b64 s[8:9], s[6:7]
	s_cbranch_execz .LBB82_19
; %bb.18:
	buffer_load_dword v14, v13, s[0:3], 0 offen offset:8
	buffer_load_dword v15, v13, s[0:3], 0 offen offset:12
	buffer_load_dword v16, v13, s[0:3], 0 offen
	buffer_load_dword v17, v13, s[0:3], 0 offen offset:4
	ds_read_b128 v[2:5], v6
	v_mov_b32_e32 v7, 0
	ds_read_b128 v[8:11], v7 offset:16
	s_waitcnt vmcnt(2) lgkmcnt(1)
	v_mul_f64 v[18:19], v[4:5], v[14:15]
	v_mul_f64 v[14:15], v[2:3], v[14:15]
	s_waitcnt vmcnt(0)
	v_fmac_f64_e32 v[14:15], v[4:5], v[16:17]
	v_fma_f64 v[2:3], v[2:3], v[16:17], -v[18:19]
	v_add_f64 v[4:5], v[14:15], 0
	v_add_f64 v[2:3], v[2:3], 0
	s_waitcnt lgkmcnt(0)
	v_mul_f64 v[14:15], v[4:5], v[10:11]
	v_mul_f64 v[10:11], v[2:3], v[10:11]
	v_fma_f64 v[2:3], v[2:3], v[8:9], -v[14:15]
	v_fmac_f64_e32 v[10:11], v[4:5], v[8:9]
	buffer_store_dword v2, off, s[0:3], 0 offset:16
	buffer_store_dword v3, off, s[0:3], 0 offset:20
	buffer_store_dword v10, off, s[0:3], 0 offset:24
	buffer_store_dword v11, off, s[0:3], 0 offset:28
.LBB82_19:
	s_or_b64 exec, exec, s[8:9]
	s_waitcnt lgkmcnt(0)
	; wave barrier
	buffer_load_dword v2, v114, s[0:3], 0 offen
	buffer_load_dword v3, v114, s[0:3], 0 offen offset:4
	buffer_load_dword v4, v114, s[0:3], 0 offen offset:8
	buffer_load_dword v5, v114, s[0:3], 0 offen offset:12
	v_cmp_gt_u32_e32 vcc, 2, v115
	s_waitcnt vmcnt(0)
	ds_write_b128 v6, v[2:5]
	s_waitcnt lgkmcnt(0)
	; wave barrier
	s_waitcnt lgkmcnt(0)
	s_and_saveexec_b64 s[8:9], vcc
	s_cbranch_execz .LBB82_23
; %bb.20:
	buffer_load_dword v8, v13, s[0:3], 0 offen offset:8
	buffer_load_dword v9, v13, s[0:3], 0 offen offset:12
	buffer_load_dword v10, v13, s[0:3], 0 offen
	buffer_load_dword v11, v13, s[0:3], 0 offen offset:4
	ds_read_b128 v[2:5], v6
	s_waitcnt vmcnt(2) lgkmcnt(0)
	v_mul_f64 v[14:15], v[4:5], v[8:9]
	v_mul_f64 v[8:9], v[2:3], v[8:9]
	s_waitcnt vmcnt(0)
	v_fma_f64 v[2:3], v[2:3], v[10:11], -v[14:15]
	v_fmac_f64_e32 v[8:9], v[4:5], v[10:11]
	v_add_f64 v[4:5], v[2:3], 0
	v_add_f64 v[2:3], v[8:9], 0
	s_and_saveexec_b64 s[12:13], s[6:7]
	s_cbranch_execz .LBB82_22
; %bb.21:
	buffer_load_dword v14, off, s[0:3], 0 offset:24
	buffer_load_dword v15, off, s[0:3], 0 offset:28
	;; [unrolled: 1-line block ×4, first 2 shown]
	v_mov_b32_e32 v7, 0
	ds_read_b128 v[8:11], v7 offset:320
	s_waitcnt vmcnt(2) lgkmcnt(0)
	v_mul_f64 v[18:19], v[8:9], v[14:15]
	v_mul_f64 v[14:15], v[10:11], v[14:15]
	s_waitcnt vmcnt(0)
	v_fmac_f64_e32 v[18:19], v[10:11], v[16:17]
	v_fma_f64 v[8:9], v[8:9], v[16:17], -v[14:15]
	v_add_f64 v[2:3], v[2:3], v[18:19]
	v_add_f64 v[4:5], v[4:5], v[8:9]
.LBB82_22:
	s_or_b64 exec, exec, s[12:13]
	v_mov_b32_e32 v7, 0
	ds_read_b128 v[8:11], v7 offset:32
	s_waitcnt lgkmcnt(0)
	v_mul_f64 v[14:15], v[2:3], v[10:11]
	v_mul_f64 v[10:11], v[4:5], v[10:11]
	v_fma_f64 v[4:5], v[4:5], v[8:9], -v[14:15]
	v_fmac_f64_e32 v[10:11], v[2:3], v[8:9]
	buffer_store_dword v5, off, s[0:3], 0 offset:36
	buffer_store_dword v4, off, s[0:3], 0 offset:32
	;; [unrolled: 1-line block ×4, first 2 shown]
.LBB82_23:
	s_or_b64 exec, exec, s[8:9]
	s_waitcnt lgkmcnt(0)
	; wave barrier
	buffer_load_dword v2, v113, s[0:3], 0 offen
	buffer_load_dword v3, v113, s[0:3], 0 offen offset:4
	buffer_load_dword v4, v113, s[0:3], 0 offen offset:8
	;; [unrolled: 1-line block ×3, first 2 shown]
	v_cmp_gt_u32_e32 vcc, 3, v115
	v_add_u32_e32 v7, -1, v115
	s_waitcnt vmcnt(0)
	ds_write_b128 v6, v[2:5]
	s_waitcnt lgkmcnt(0)
	; wave barrier
	s_waitcnt lgkmcnt(0)
	s_and_saveexec_b64 s[6:7], vcc
	s_cbranch_execz .LBB82_27
; %bb.24:
	v_pk_mov_b32 v[2:3], 0, 0
	v_add_u32_e32 v8, -1, v115
	v_add_u32_e32 v9, 0x130, v12
	v_add_u32_e32 v10, 0, v12
	s_mov_b64 s[8:9], 0
	v_pk_mov_b32 v[4:5], v[2:3], v[2:3] op_sel:[0,1]
.LBB82_25:                              ; =>This Inner Loop Header: Depth=1
	buffer_load_dword v18, v10, s[0:3], 0 offen offset:8
	buffer_load_dword v19, v10, s[0:3], 0 offen offset:12
	buffer_load_dword v20, v10, s[0:3], 0 offen
	buffer_load_dword v21, v10, s[0:3], 0 offen offset:4
	ds_read_b128 v[14:17], v9
	v_add_u32_e32 v8, 1, v8
	v_cmp_lt_u32_e32 vcc, 1, v8
	v_add_u32_e32 v9, 16, v9
	v_add_u32_e32 v10, 16, v10
	s_or_b64 s[8:9], vcc, s[8:9]
	s_waitcnt vmcnt(2) lgkmcnt(0)
	v_mul_f64 v[22:23], v[16:17], v[18:19]
	v_mul_f64 v[18:19], v[14:15], v[18:19]
	s_waitcnt vmcnt(0)
	v_fma_f64 v[14:15], v[14:15], v[20:21], -v[22:23]
	v_fmac_f64_e32 v[18:19], v[16:17], v[20:21]
	v_add_f64 v[4:5], v[4:5], v[14:15]
	v_add_f64 v[2:3], v[2:3], v[18:19]
	s_andn2_b64 exec, exec, s[8:9]
	s_cbranch_execnz .LBB82_25
; %bb.26:
	s_or_b64 exec, exec, s[8:9]
	v_mov_b32_e32 v8, 0
	ds_read_b128 v[8:11], v8 offset:48
	s_waitcnt lgkmcnt(0)
	v_mul_f64 v[14:15], v[2:3], v[10:11]
	v_mul_f64 v[10:11], v[4:5], v[10:11]
	v_fma_f64 v[4:5], v[4:5], v[8:9], -v[14:15]
	v_fmac_f64_e32 v[10:11], v[2:3], v[8:9]
	buffer_store_dword v5, off, s[0:3], 0 offset:52
	buffer_store_dword v4, off, s[0:3], 0 offset:48
	buffer_store_dword v11, off, s[0:3], 0 offset:60
	buffer_store_dword v10, off, s[0:3], 0 offset:56
.LBB82_27:
	s_or_b64 exec, exec, s[6:7]
	s_waitcnt lgkmcnt(0)
	; wave barrier
	buffer_load_dword v2, v108, s[0:3], 0 offen
	buffer_load_dword v3, v108, s[0:3], 0 offen offset:4
	buffer_load_dword v4, v108, s[0:3], 0 offen offset:8
	buffer_load_dword v5, v108, s[0:3], 0 offen offset:12
	v_cmp_gt_u32_e32 vcc, 4, v115
	s_waitcnt vmcnt(0)
	ds_write_b128 v6, v[2:5]
	s_waitcnt lgkmcnt(0)
	; wave barrier
	s_waitcnt lgkmcnt(0)
	s_and_saveexec_b64 s[6:7], vcc
	s_cbranch_execz .LBB82_31
; %bb.28:
	v_pk_mov_b32 v[2:3], 0, 0
	v_add_u32_e32 v8, -1, v115
	v_add_u32_e32 v9, 0x130, v12
	v_add_u32_e32 v10, 0, v12
	s_mov_b64 s[8:9], 0
	v_pk_mov_b32 v[4:5], v[2:3], v[2:3] op_sel:[0,1]
.LBB82_29:                              ; =>This Inner Loop Header: Depth=1
	buffer_load_dword v18, v10, s[0:3], 0 offen offset:8
	buffer_load_dword v19, v10, s[0:3], 0 offen offset:12
	buffer_load_dword v20, v10, s[0:3], 0 offen
	buffer_load_dword v21, v10, s[0:3], 0 offen offset:4
	ds_read_b128 v[14:17], v9
	v_add_u32_e32 v8, 1, v8
	v_cmp_lt_u32_e32 vcc, 2, v8
	v_add_u32_e32 v9, 16, v9
	v_add_u32_e32 v10, 16, v10
	s_or_b64 s[8:9], vcc, s[8:9]
	s_waitcnt vmcnt(2) lgkmcnt(0)
	v_mul_f64 v[22:23], v[16:17], v[18:19]
	v_mul_f64 v[18:19], v[14:15], v[18:19]
	s_waitcnt vmcnt(0)
	v_fma_f64 v[14:15], v[14:15], v[20:21], -v[22:23]
	v_fmac_f64_e32 v[18:19], v[16:17], v[20:21]
	v_add_f64 v[4:5], v[4:5], v[14:15]
	v_add_f64 v[2:3], v[2:3], v[18:19]
	s_andn2_b64 exec, exec, s[8:9]
	s_cbranch_execnz .LBB82_29
; %bb.30:
	s_or_b64 exec, exec, s[8:9]
	v_mov_b32_e32 v8, 0
	ds_read_b128 v[8:11], v8 offset:64
	s_waitcnt lgkmcnt(0)
	v_mul_f64 v[14:15], v[2:3], v[10:11]
	v_mul_f64 v[10:11], v[4:5], v[10:11]
	v_fma_f64 v[4:5], v[4:5], v[8:9], -v[14:15]
	v_fmac_f64_e32 v[10:11], v[2:3], v[8:9]
	buffer_store_dword v5, off, s[0:3], 0 offset:68
	buffer_store_dword v4, off, s[0:3], 0 offset:64
	buffer_store_dword v11, off, s[0:3], 0 offset:76
	buffer_store_dword v10, off, s[0:3], 0 offset:72
.LBB82_31:
	s_or_b64 exec, exec, s[6:7]
	s_waitcnt lgkmcnt(0)
	; wave barrier
	buffer_load_dword v2, v110, s[0:3], 0 offen
	buffer_load_dword v3, v110, s[0:3], 0 offen offset:4
	buffer_load_dword v4, v110, s[0:3], 0 offen offset:8
	buffer_load_dword v5, v110, s[0:3], 0 offen offset:12
	v_cmp_gt_u32_e32 vcc, 5, v115
	;; [unrolled: 57-line block ×14, first 2 shown]
	s_waitcnt vmcnt(0)
	ds_write_b128 v6, v[2:5]
	s_waitcnt lgkmcnt(0)
	; wave barrier
	s_waitcnt lgkmcnt(0)
	s_and_saveexec_b64 s[6:7], vcc
	s_cbranch_execz .LBB82_83
; %bb.80:
	v_pk_mov_b32 v[2:3], 0, 0
	v_add_u32_e32 v8, -1, v115
	v_add_u32_e32 v9, 0x130, v12
	v_add_u32_e32 v10, 0, v12
	s_mov_b64 s[8:9], 0
	v_pk_mov_b32 v[4:5], v[2:3], v[2:3] op_sel:[0,1]
.LBB82_81:                              ; =>This Inner Loop Header: Depth=1
	buffer_load_dword v18, v10, s[0:3], 0 offen offset:8
	buffer_load_dword v19, v10, s[0:3], 0 offen offset:12
	buffer_load_dword v20, v10, s[0:3], 0 offen
	buffer_load_dword v21, v10, s[0:3], 0 offen offset:4
	ds_read_b128 v[14:17], v9
	v_add_u32_e32 v8, 1, v8
	v_cmp_lt_u32_e32 vcc, 15, v8
	v_add_u32_e32 v9, 16, v9
	v_add_u32_e32 v10, 16, v10
	s_or_b64 s[8:9], vcc, s[8:9]
	s_waitcnt vmcnt(2) lgkmcnt(0)
	v_mul_f64 v[22:23], v[16:17], v[18:19]
	v_mul_f64 v[18:19], v[14:15], v[18:19]
	s_waitcnt vmcnt(0)
	v_fma_f64 v[14:15], v[14:15], v[20:21], -v[22:23]
	v_fmac_f64_e32 v[18:19], v[16:17], v[20:21]
	v_add_f64 v[4:5], v[4:5], v[14:15]
	v_add_f64 v[2:3], v[2:3], v[18:19]
	s_andn2_b64 exec, exec, s[8:9]
	s_cbranch_execnz .LBB82_81
; %bb.82:
	s_or_b64 exec, exec, s[8:9]
	v_mov_b32_e32 v8, 0
	ds_read_b128 v[8:11], v8 offset:272
	s_waitcnt lgkmcnt(0)
	v_mul_f64 v[14:15], v[2:3], v[10:11]
	v_mul_f64 v[10:11], v[4:5], v[10:11]
	v_fma_f64 v[4:5], v[4:5], v[8:9], -v[14:15]
	v_fmac_f64_e32 v[10:11], v[2:3], v[8:9]
	buffer_store_dword v5, off, s[0:3], 0 offset:276
	buffer_store_dword v4, off, s[0:3], 0 offset:272
	;; [unrolled: 1-line block ×4, first 2 shown]
.LBB82_83:
	s_or_b64 exec, exec, s[6:7]
	s_waitcnt lgkmcnt(0)
	; wave barrier
	buffer_load_dword v2, v98, s[0:3], 0 offen
	buffer_load_dword v3, v98, s[0:3], 0 offen offset:4
	buffer_load_dword v4, v98, s[0:3], 0 offen offset:8
	;; [unrolled: 1-line block ×3, first 2 shown]
	v_cmp_ne_u32_e32 vcc, 18, v115
	s_waitcnt vmcnt(0)
	ds_write_b128 v6, v[2:5]
	s_waitcnt lgkmcnt(0)
	; wave barrier
	s_waitcnt lgkmcnt(0)
	s_and_saveexec_b64 s[6:7], vcc
	s_cbranch_execz .LBB82_87
; %bb.84:
	v_pk_mov_b32 v[2:3], 0, 0
	v_add_u32_e32 v6, 0x130, v12
	v_add_u32_e32 v8, 0, v12
	s_mov_b64 s[8:9], 0
	v_pk_mov_b32 v[4:5], v[2:3], v[2:3] op_sel:[0,1]
.LBB82_85:                              ; =>This Inner Loop Header: Depth=1
	buffer_load_dword v14, v8, s[0:3], 0 offen offset:8
	buffer_load_dword v15, v8, s[0:3], 0 offen offset:12
	buffer_load_dword v16, v8, s[0:3], 0 offen
	buffer_load_dword v17, v8, s[0:3], 0 offen offset:4
	ds_read_b128 v[10:13], v6
	v_add_u32_e32 v7, 1, v7
	v_cmp_lt_u32_e32 vcc, 16, v7
	v_add_u32_e32 v6, 16, v6
	v_add_u32_e32 v8, 16, v8
	s_or_b64 s[8:9], vcc, s[8:9]
	s_waitcnt vmcnt(2) lgkmcnt(0)
	v_mul_f64 v[18:19], v[12:13], v[14:15]
	v_mul_f64 v[14:15], v[10:11], v[14:15]
	s_waitcnt vmcnt(0)
	v_fma_f64 v[10:11], v[10:11], v[16:17], -v[18:19]
	v_fmac_f64_e32 v[14:15], v[12:13], v[16:17]
	v_add_f64 v[4:5], v[4:5], v[10:11]
	v_add_f64 v[2:3], v[2:3], v[14:15]
	s_andn2_b64 exec, exec, s[8:9]
	s_cbranch_execnz .LBB82_85
; %bb.86:
	s_or_b64 exec, exec, s[8:9]
	v_mov_b32_e32 v6, 0
	ds_read_b128 v[6:9], v6 offset:288
	s_waitcnt lgkmcnt(0)
	v_mul_f64 v[10:11], v[2:3], v[8:9]
	v_mul_f64 v[8:9], v[4:5], v[8:9]
	v_fma_f64 v[4:5], v[4:5], v[6:7], -v[10:11]
	v_fmac_f64_e32 v[8:9], v[2:3], v[6:7]
	buffer_store_dword v5, off, s[0:3], 0 offset:292
	buffer_store_dword v4, off, s[0:3], 0 offset:288
	;; [unrolled: 1-line block ×4, first 2 shown]
.LBB82_87:
	s_or_b64 exec, exec, s[6:7]
	s_mov_b64 s[8:9], -1
	s_waitcnt lgkmcnt(0)
	; wave barrier
.LBB82_88:
	s_and_b64 vcc, exec, s[8:9]
	s_cbranch_vccz .LBB82_90
; %bb.89:
	s_lshl_b64 s[6:7], s[10:11], 2
	s_add_u32 s6, s14, s6
	s_addc_u32 s7, s15, s7
	v_mov_b32_e32 v2, 0
	global_load_dword v2, v2, s[6:7]
	s_waitcnt vmcnt(0)
	v_cmp_ne_u32_e32 vcc, 0, v2
	s_cbranch_vccz .LBB82_91
.LBB82_90:
	s_endpgm
.LBB82_91:
	v_mov_b32_e32 v2, 0x130
	v_lshl_add_u32 v116, v115, 4, v2
	v_cmp_eq_u32_e32 vcc, 18, v115
	s_and_saveexec_b64 s[6:7], vcc
	s_cbranch_execz .LBB82_93
; %bb.92:
	buffer_load_dword v2, v99, s[0:3], 0 offen
	buffer_load_dword v3, v99, s[0:3], 0 offen offset:4
	buffer_load_dword v4, v99, s[0:3], 0 offen offset:8
	;; [unrolled: 1-line block ×3, first 2 shown]
	v_mov_b32_e32 v6, 0
	buffer_store_dword v6, off, s[0:3], 0 offset:272
	buffer_store_dword v6, off, s[0:3], 0 offset:276
	;; [unrolled: 1-line block ×4, first 2 shown]
	s_waitcnt vmcnt(4)
	ds_write_b128 v116, v[2:5]
.LBB82_93:
	s_or_b64 exec, exec, s[6:7]
	s_waitcnt lgkmcnt(0)
	; wave barrier
	s_waitcnt lgkmcnt(0)
	buffer_load_dword v8, off, s[0:3], 0 offset:296
	buffer_load_dword v9, off, s[0:3], 0 offset:300
	;; [unrolled: 1-line block ×8, first 2 shown]
	v_mov_b32_e32 v2, 0
	ds_read_b128 v[4:7], v2 offset:592
	v_cmp_lt_u32_e32 vcc, 16, v115
	s_waitcnt vmcnt(6) lgkmcnt(0)
	v_mul_f64 v[16:17], v[4:5], v[8:9]
	v_mul_f64 v[8:9], v[6:7], v[8:9]
	s_waitcnt vmcnt(4)
	v_fma_f64 v[4:5], v[4:5], v[10:11], -v[8:9]
	v_fmac_f64_e32 v[16:17], v[6:7], v[10:11]
	v_add_f64 v[4:5], v[4:5], 0
	v_add_f64 v[6:7], v[16:17], 0
	s_waitcnt vmcnt(2)
	v_add_f64 v[4:5], v[12:13], -v[4:5]
	s_waitcnt vmcnt(0)
	v_add_f64 v[6:7], v[14:15], -v[6:7]
	buffer_store_dword v4, off, s[0:3], 0 offset:272
	buffer_store_dword v5, off, s[0:3], 0 offset:276
	;; [unrolled: 1-line block ×4, first 2 shown]
	s_and_saveexec_b64 s[6:7], vcc
	s_cbranch_execz .LBB82_95
; %bb.94:
	buffer_load_dword v4, v1, s[0:3], 0 offen
	buffer_load_dword v5, v1, s[0:3], 0 offen offset:4
	buffer_load_dword v6, v1, s[0:3], 0 offen offset:8
	;; [unrolled: 1-line block ×3, first 2 shown]
	s_nop 0
	buffer_store_dword v2, off, s[0:3], 0 offset:256
	buffer_store_dword v2, off, s[0:3], 0 offset:260
	;; [unrolled: 1-line block ×4, first 2 shown]
	s_waitcnt vmcnt(4)
	ds_write_b128 v116, v[4:7]
.LBB82_95:
	s_or_b64 exec, exec, s[6:7]
	s_waitcnt lgkmcnt(0)
	; wave barrier
	s_waitcnt lgkmcnt(0)
	buffer_load_dword v12, off, s[0:3], 0 offset:280
	buffer_load_dword v13, off, s[0:3], 0 offset:284
	;; [unrolled: 1-line block ×12, first 2 shown]
	ds_read_b128 v[4:7], v2 offset:576
	ds_read_b128 v[8:11], v2 offset:592
	v_cmp_lt_u32_e32 vcc, 15, v115
	s_waitcnt vmcnt(10) lgkmcnt(1)
	v_mul_f64 v[2:3], v[4:5], v[12:13]
	v_mul_f64 v[12:13], v[6:7], v[12:13]
	s_waitcnt vmcnt(8) lgkmcnt(0)
	v_mul_f64 v[24:25], v[8:9], v[14:15]
	v_mul_f64 v[14:15], v[10:11], v[14:15]
	s_waitcnt vmcnt(6)
	v_fma_f64 v[4:5], v[4:5], v[16:17], -v[12:13]
	v_fmac_f64_e32 v[2:3], v[6:7], v[16:17]
	s_waitcnt vmcnt(4)
	v_fma_f64 v[6:7], v[8:9], v[18:19], -v[14:15]
	v_add_f64 v[4:5], v[4:5], 0
	v_fmac_f64_e32 v[24:25], v[10:11], v[18:19]
	v_add_f64 v[2:3], v[2:3], 0
	v_add_f64 v[4:5], v[4:5], v[6:7]
	v_add_f64 v[2:3], v[2:3], v[24:25]
	s_waitcnt vmcnt(2)
	v_add_f64 v[4:5], v[20:21], -v[4:5]
	s_waitcnt vmcnt(0)
	v_add_f64 v[2:3], v[22:23], -v[2:3]
	buffer_store_dword v4, off, s[0:3], 0 offset:256
	buffer_store_dword v5, off, s[0:3], 0 offset:260
	;; [unrolled: 1-line block ×4, first 2 shown]
	s_and_saveexec_b64 s[6:7], vcc
	s_cbranch_execz .LBB82_97
; %bb.96:
	buffer_load_dword v2, v101, s[0:3], 0 offen
	buffer_load_dword v3, v101, s[0:3], 0 offen offset:4
	buffer_load_dword v4, v101, s[0:3], 0 offen offset:8
	;; [unrolled: 1-line block ×3, first 2 shown]
	v_mov_b32_e32 v6, 0
	buffer_store_dword v6, off, s[0:3], 0 offset:240
	buffer_store_dword v6, off, s[0:3], 0 offset:244
	;; [unrolled: 1-line block ×4, first 2 shown]
	s_waitcnt vmcnt(4)
	ds_write_b128 v116, v[2:5]
.LBB82_97:
	s_or_b64 exec, exec, s[6:7]
	s_waitcnt lgkmcnt(0)
	; wave barrier
	s_waitcnt lgkmcnt(0)
	buffer_load_dword v16, off, s[0:3], 0 offset:264
	buffer_load_dword v17, off, s[0:3], 0 offset:268
	;; [unrolled: 1-line block ×16, first 2 shown]
	v_mov_b32_e32 v2, 0
	ds_read_b128 v[4:7], v2 offset:560
	ds_read_b128 v[8:11], v2 offset:576
	;; [unrolled: 1-line block ×3, first 2 shown]
	v_cmp_lt_u32_e32 vcc, 14, v115
	s_waitcnt vmcnt(14) lgkmcnt(2)
	v_mul_f64 v[70:71], v[4:5], v[16:17]
	v_mul_f64 v[16:17], v[6:7], v[16:17]
	s_waitcnt vmcnt(12) lgkmcnt(1)
	v_mul_f64 v[72:73], v[8:9], v[18:19]
	v_mul_f64 v[18:19], v[10:11], v[18:19]
	;; [unrolled: 3-line block ×3, first 2 shown]
	s_waitcnt vmcnt(8)
	v_fma_f64 v[4:5], v[4:5], v[22:23], -v[16:17]
	v_fmac_f64_e32 v[70:71], v[6:7], v[22:23]
	s_waitcnt vmcnt(6)
	v_fma_f64 v[6:7], v[8:9], v[24:25], -v[18:19]
	v_add_f64 v[4:5], v[4:5], 0
	v_fmac_f64_e32 v[72:73], v[10:11], v[24:25]
	s_waitcnt vmcnt(4)
	v_fma_f64 v[8:9], v[12:13], v[26:27], -v[20:21]
	v_add_f64 v[10:11], v[70:71], 0
	v_add_f64 v[4:5], v[4:5], v[6:7]
	v_fmac_f64_e32 v[74:75], v[14:15], v[26:27]
	v_add_f64 v[10:11], v[10:11], v[72:73]
	v_add_f64 v[4:5], v[4:5], v[8:9]
	;; [unrolled: 1-line block ×3, first 2 shown]
	s_waitcnt vmcnt(2)
	v_add_f64 v[4:5], v[28:29], -v[4:5]
	s_waitcnt vmcnt(0)
	v_add_f64 v[6:7], v[68:69], -v[6:7]
	buffer_store_dword v4, off, s[0:3], 0 offset:240
	buffer_store_dword v5, off, s[0:3], 0 offset:244
	;; [unrolled: 1-line block ×4, first 2 shown]
	s_and_saveexec_b64 s[6:7], vcc
	s_cbranch_execz .LBB82_99
; %bb.98:
	buffer_load_dword v4, v103, s[0:3], 0 offen
	buffer_load_dword v5, v103, s[0:3], 0 offen offset:4
	buffer_load_dword v6, v103, s[0:3], 0 offen offset:8
	;; [unrolled: 1-line block ×3, first 2 shown]
	s_nop 0
	buffer_store_dword v2, off, s[0:3], 0 offset:224
	buffer_store_dword v2, off, s[0:3], 0 offset:228
	;; [unrolled: 1-line block ×4, first 2 shown]
	s_waitcnt vmcnt(4)
	ds_write_b128 v116, v[4:7]
.LBB82_99:
	s_or_b64 exec, exec, s[6:7]
	s_waitcnt lgkmcnt(0)
	; wave barrier
	s_waitcnt lgkmcnt(0)
	buffer_load_dword v20, off, s[0:3], 0 offset:248
	buffer_load_dword v21, off, s[0:3], 0 offset:252
	buffer_load_dword v22, off, s[0:3], 0 offset:264
	buffer_load_dword v23, off, s[0:3], 0 offset:268
	buffer_load_dword v24, off, s[0:3], 0 offset:280
	buffer_load_dword v25, off, s[0:3], 0 offset:284
	buffer_load_dword v27, off, s[0:3], 0 offset:300
	buffer_load_dword v26, off, s[0:3], 0 offset:296
	buffer_load_dword v28, off, s[0:3], 0 offset:240
	buffer_load_dword v29, off, s[0:3], 0 offset:244
	buffer_load_dword v68, off, s[0:3], 0 offset:256
	buffer_load_dword v69, off, s[0:3], 0 offset:260
	buffer_load_dword v70, off, s[0:3], 0 offset:272
	buffer_load_dword v71, off, s[0:3], 0 offset:276
	buffer_load_dword v73, off, s[0:3], 0 offset:292
	buffer_load_dword v72, off, s[0:3], 0 offset:288
	buffer_load_dword v74, off, s[0:3], 0 offset:224
	buffer_load_dword v75, off, s[0:3], 0 offset:228
	buffer_load_dword v76, off, s[0:3], 0 offset:232
	buffer_load_dword v77, off, s[0:3], 0 offset:236
	ds_read_b128 v[4:7], v2 offset:544
	ds_read_b128 v[8:11], v2 offset:560
	;; [unrolled: 1-line block ×4, first 2 shown]
	v_cmp_lt_u32_e32 vcc, 13, v115
	s_waitcnt vmcnt(18) lgkmcnt(3)
	v_mul_f64 v[2:3], v[4:5], v[20:21]
	v_mul_f64 v[20:21], v[6:7], v[20:21]
	s_waitcnt vmcnt(16) lgkmcnt(2)
	v_mul_f64 v[78:79], v[8:9], v[22:23]
	v_mul_f64 v[22:23], v[10:11], v[22:23]
	;; [unrolled: 3-line block ×4, first 2 shown]
	s_waitcnt vmcnt(10)
	v_fma_f64 v[4:5], v[4:5], v[28:29], -v[20:21]
	v_fmac_f64_e32 v[2:3], v[6:7], v[28:29]
	s_waitcnt vmcnt(8)
	v_fma_f64 v[6:7], v[8:9], v[68:69], -v[22:23]
	v_add_f64 v[4:5], v[4:5], 0
	v_fmac_f64_e32 v[78:79], v[10:11], v[68:69]
	s_waitcnt vmcnt(6)
	v_fma_f64 v[8:9], v[12:13], v[70:71], -v[24:25]
	v_add_f64 v[2:3], v[2:3], 0
	v_add_f64 v[4:5], v[4:5], v[6:7]
	v_fmac_f64_e32 v[80:81], v[14:15], v[70:71]
	s_waitcnt vmcnt(4)
	v_fma_f64 v[10:11], v[16:17], v[72:73], -v[26:27]
	v_add_f64 v[2:3], v[2:3], v[78:79]
	v_add_f64 v[4:5], v[4:5], v[8:9]
	v_fmac_f64_e32 v[82:83], v[18:19], v[72:73]
	v_add_f64 v[2:3], v[2:3], v[80:81]
	v_add_f64 v[4:5], v[4:5], v[10:11]
	;; [unrolled: 1-line block ×3, first 2 shown]
	s_waitcnt vmcnt(2)
	v_add_f64 v[4:5], v[74:75], -v[4:5]
	s_waitcnt vmcnt(0)
	v_add_f64 v[2:3], v[76:77], -v[2:3]
	buffer_store_dword v4, off, s[0:3], 0 offset:224
	buffer_store_dword v5, off, s[0:3], 0 offset:228
	buffer_store_dword v2, off, s[0:3], 0 offset:232
	buffer_store_dword v3, off, s[0:3], 0 offset:236
	s_and_saveexec_b64 s[6:7], vcc
	s_cbranch_execz .LBB82_101
; %bb.100:
	buffer_load_dword v2, v100, s[0:3], 0 offen
	buffer_load_dword v3, v100, s[0:3], 0 offen offset:4
	buffer_load_dword v4, v100, s[0:3], 0 offen offset:8
	;; [unrolled: 1-line block ×3, first 2 shown]
	v_mov_b32_e32 v6, 0
	buffer_store_dword v6, off, s[0:3], 0 offset:208
	buffer_store_dword v6, off, s[0:3], 0 offset:212
	;; [unrolled: 1-line block ×4, first 2 shown]
	s_waitcnt vmcnt(4)
	ds_write_b128 v116, v[2:5]
.LBB82_101:
	s_or_b64 exec, exec, s[6:7]
	s_waitcnt lgkmcnt(0)
	; wave barrier
	s_waitcnt lgkmcnt(0)
	buffer_load_dword v24, off, s[0:3], 0 offset:232
	buffer_load_dword v25, off, s[0:3], 0 offset:236
	;; [unrolled: 1-line block ×24, first 2 shown]
	v_mov_b32_e32 v2, 0
	ds_read_b128 v[4:7], v2 offset:528
	ds_read_b128 v[8:11], v2 offset:544
	;; [unrolled: 1-line block ×5, first 2 shown]
	v_cmp_lt_u32_e32 vcc, 12, v115
	s_waitcnt vmcnt(22) lgkmcnt(4)
	v_mul_f64 v[86:87], v[4:5], v[24:25]
	v_mul_f64 v[24:25], v[6:7], v[24:25]
	s_waitcnt vmcnt(20) lgkmcnt(3)
	v_mul_f64 v[88:89], v[8:9], v[26:27]
	v_mul_f64 v[26:27], v[10:11], v[26:27]
	;; [unrolled: 3-line block ×4, first 2 shown]
	s_waitcnt vmcnt(13) lgkmcnt(0)
	v_mul_f64 v[94:95], v[20:21], v[68:69]
	s_waitcnt vmcnt(11)
	v_fma_f64 v[4:5], v[4:5], v[74:75], -v[24:25]
	v_fmac_f64_e32 v[86:87], v[6:7], v[74:75]
	s_waitcnt vmcnt(9)
	v_fma_f64 v[6:7], v[8:9], v[76:77], -v[26:27]
	v_add_f64 v[4:5], v[4:5], 0
	v_fmac_f64_e32 v[88:89], v[10:11], v[76:77]
	s_waitcnt vmcnt(7)
	v_fmac_f64_e32 v[90:91], v[14:15], v[78:79]
	v_fma_f64 v[8:9], v[12:13], v[78:79], -v[28:29]
	v_add_f64 v[14:15], v[86:87], 0
	v_add_f64 v[4:5], v[4:5], v[6:7]
	v_mul_f64 v[68:69], v[22:23], v[68:69]
	s_waitcnt vmcnt(5)
	v_fma_f64 v[10:11], v[16:17], v[80:81], -v[72:73]
	v_add_f64 v[14:15], v[14:15], v[88:89]
	v_add_f64 v[4:5], v[4:5], v[8:9]
	v_fmac_f64_e32 v[92:93], v[18:19], v[80:81]
	s_waitcnt vmcnt(4)
	v_fma_f64 v[12:13], v[20:21], v[70:71], -v[68:69]
	v_add_f64 v[6:7], v[14:15], v[90:91]
	v_add_f64 v[4:5], v[4:5], v[10:11]
	v_fmac_f64_e32 v[94:95], v[22:23], v[70:71]
	v_add_f64 v[6:7], v[6:7], v[92:93]
	v_add_f64 v[4:5], v[4:5], v[12:13]
	;; [unrolled: 1-line block ×3, first 2 shown]
	s_waitcnt vmcnt(2)
	v_add_f64 v[4:5], v[82:83], -v[4:5]
	s_waitcnt vmcnt(0)
	v_add_f64 v[6:7], v[84:85], -v[6:7]
	buffer_store_dword v5, off, s[0:3], 0 offset:212
	buffer_store_dword v4, off, s[0:3], 0 offset:208
	;; [unrolled: 1-line block ×4, first 2 shown]
	s_and_saveexec_b64 s[6:7], vcc
	s_cbranch_execz .LBB82_103
; %bb.102:
	buffer_load_dword v4, v102, s[0:3], 0 offen
	buffer_load_dword v5, v102, s[0:3], 0 offen offset:4
	buffer_load_dword v6, v102, s[0:3], 0 offen offset:8
	;; [unrolled: 1-line block ×3, first 2 shown]
	s_nop 0
	buffer_store_dword v2, off, s[0:3], 0 offset:192
	buffer_store_dword v2, off, s[0:3], 0 offset:196
	buffer_store_dword v2, off, s[0:3], 0 offset:200
	buffer_store_dword v2, off, s[0:3], 0 offset:204
	s_waitcnt vmcnt(4)
	ds_write_b128 v116, v[4:7]
.LBB82_103:
	s_or_b64 exec, exec, s[6:7]
	s_waitcnt lgkmcnt(0)
	; wave barrier
	s_waitcnt lgkmcnt(0)
	buffer_load_dword v28, off, s[0:3], 0 offset:216
	buffer_load_dword v29, off, s[0:3], 0 offset:220
	;; [unrolled: 1-line block ×28, first 2 shown]
	ds_read_b128 v[4:7], v2 offset:512
	ds_read_b128 v[8:11], v2 offset:528
	;; [unrolled: 1-line block ×6, first 2 shown]
	v_cmp_lt_u32_e32 vcc, 11, v115
	s_waitcnt vmcnt(26) lgkmcnt(5)
	v_mul_f64 v[2:3], v[4:5], v[28:29]
	v_mul_f64 v[28:29], v[6:7], v[28:29]
	s_waitcnt vmcnt(24) lgkmcnt(4)
	v_mul_f64 v[94:95], v[8:9], v[68:69]
	v_mul_f64 v[68:69], v[10:11], v[68:69]
	;; [unrolled: 3-line block ×4, first 2 shown]
	s_waitcnt vmcnt(17)
	v_mul_f64 v[118:119], v[16:17], v[76:77]
	v_mul_f64 v[76:77], v[18:19], v[76:77]
	s_waitcnt vmcnt(15) lgkmcnt(0)
	v_mul_f64 v[122:123], v[24:25], v[78:79]
	v_mul_f64 v[78:79], v[26:27], v[78:79]
	s_waitcnt vmcnt(14)
	v_fmac_f64_e32 v[120:121], v[22:23], v[74:75]
	s_waitcnt vmcnt(12)
	v_fma_f64 v[4:5], v[4:5], v[80:81], -v[28:29]
	v_fmac_f64_e32 v[2:3], v[6:7], v[80:81]
	s_waitcnt vmcnt(10)
	v_fma_f64 v[6:7], v[8:9], v[82:83], -v[68:69]
	v_add_f64 v[4:5], v[4:5], 0
	v_fmac_f64_e32 v[94:95], v[10:11], v[82:83]
	s_waitcnt vmcnt(8)
	v_fma_f64 v[8:9], v[12:13], v[84:85], -v[70:71]
	v_add_f64 v[2:3], v[2:3], 0
	v_add_f64 v[4:5], v[4:5], v[6:7]
	v_fmac_f64_e32 v[96:97], v[14:15], v[84:85]
	s_waitcnt vmcnt(6)
	v_fma_f64 v[10:11], v[16:17], v[86:87], -v[76:77]
	v_add_f64 v[2:3], v[2:3], v[94:95]
	v_add_f64 v[4:5], v[4:5], v[8:9]
	v_fmac_f64_e32 v[118:119], v[18:19], v[86:87]
	v_fma_f64 v[12:13], v[20:21], v[74:75], -v[72:73]
	v_add_f64 v[2:3], v[2:3], v[96:97]
	v_add_f64 v[4:5], v[4:5], v[10:11]
	s_waitcnt vmcnt(4)
	v_fma_f64 v[14:15], v[24:25], v[88:89], -v[78:79]
	v_add_f64 v[2:3], v[2:3], v[118:119]
	v_add_f64 v[4:5], v[4:5], v[12:13]
	v_fmac_f64_e32 v[122:123], v[26:27], v[88:89]
	v_add_f64 v[2:3], v[2:3], v[120:121]
	v_add_f64 v[4:5], v[4:5], v[14:15]
	;; [unrolled: 1-line block ×3, first 2 shown]
	s_waitcnt vmcnt(2)
	v_add_f64 v[4:5], v[90:91], -v[4:5]
	s_waitcnt vmcnt(0)
	v_add_f64 v[2:3], v[92:93], -v[2:3]
	buffer_store_dword v5, off, s[0:3], 0 offset:196
	buffer_store_dword v4, off, s[0:3], 0 offset:192
	;; [unrolled: 1-line block ×4, first 2 shown]
	s_and_saveexec_b64 s[6:7], vcc
	s_cbranch_execz .LBB82_105
; %bb.104:
	buffer_load_dword v2, v107, s[0:3], 0 offen
	buffer_load_dword v3, v107, s[0:3], 0 offen offset:4
	buffer_load_dword v4, v107, s[0:3], 0 offen offset:8
	;; [unrolled: 1-line block ×3, first 2 shown]
	v_mov_b32_e32 v6, 0
	buffer_store_dword v6, off, s[0:3], 0 offset:176
	buffer_store_dword v6, off, s[0:3], 0 offset:180
	buffer_store_dword v6, off, s[0:3], 0 offset:184
	buffer_store_dword v6, off, s[0:3], 0 offset:188
	s_waitcnt vmcnt(4)
	ds_write_b128 v116, v[2:5]
.LBB82_105:
	s_or_b64 exec, exec, s[6:7]
	v_mov_b32_e32 v6, 0
	s_waitcnt lgkmcnt(0)
	; wave barrier
	s_waitcnt lgkmcnt(0)
	ds_read_b128 v[8:11], v6 offset:496
	ds_read_b128 v[12:15], v6 offset:512
	;; [unrolled: 1-line block ×4, first 2 shown]
	buffer_load_dword v4, off, s[0:3], 0 offset:176
	buffer_load_dword v5, off, s[0:3], 0 offset:180
	;; [unrolled: 1-line block ×20, first 2 shown]
	v_cmp_lt_u32_e32 vcc, 10, v115
	s_waitcnt vmcnt(12) lgkmcnt(3)
	v_mul_f64 v[24:25], v[8:9], v[76:77]
	v_fmac_f64_e32 v[24:25], v[10:11], v[28:29]
	v_add_f64 v[24:25], v[24:25], 0
	v_mul_f64 v[10:11], v[10:11], v[76:77]
	s_waitcnt vmcnt(8) lgkmcnt(2)
	v_mul_f64 v[26:27], v[12:13], v[80:81]
	v_fmac_f64_e32 v[26:27], v[14:15], v[78:79]
	v_add_f64 v[24:25], v[24:25], v[26:27]
	v_fma_f64 v[8:9], v[8:9], v[28:29], -v[10:11]
	s_waitcnt vmcnt(4) lgkmcnt(1)
	v_mul_f64 v[26:27], v[16:17], v[84:85]
	v_fmac_f64_e32 v[26:27], v[18:19], v[82:83]
	v_add_f64 v[24:25], v[24:25], v[26:27]
	s_waitcnt vmcnt(0) lgkmcnt(0)
	v_mul_f64 v[26:27], v[20:21], v[88:89]
	v_fmac_f64_e32 v[26:27], v[22:23], v[86:87]
	v_add_f64 v[68:69], v[24:25], v[26:27]
	ds_read_b128 v[24:27], v6 offset:560
	buffer_load_dword v91, off, s[0:3], 0 offset:260
	buffer_load_dword v90, off, s[0:3], 0 offset:256
	;; [unrolled: 1-line block ×4, first 2 shown]
	v_mul_f64 v[10:11], v[14:15], v[80:81]
	v_add_f64 v[8:9], v[8:9], 0
	v_fma_f64 v[10:11], v[12:13], v[78:79], -v[10:11]
	v_add_f64 v[8:9], v[8:9], v[10:11]
	v_mul_f64 v[10:11], v[18:19], v[84:85]
	v_fma_f64 v[10:11], v[16:17], v[82:83], -v[10:11]
	v_add_f64 v[8:9], v[8:9], v[10:11]
	v_mul_f64 v[10:11], v[22:23], v[88:89]
	v_fma_f64 v[10:11], v[20:21], v[86:87], -v[10:11]
	v_add_f64 v[8:9], v[8:9], v[10:11]
	s_waitcnt vmcnt(0) lgkmcnt(0)
	v_mul_f64 v[70:71], v[24:25], v[92:93]
	v_fmac_f64_e32 v[70:71], v[26:27], v[90:91]
	v_add_f64 v[72:73], v[68:69], v[70:71]
	ds_read_b128 v[68:71], v6 offset:576
	buffer_load_dword v95, off, s[0:3], 0 offset:276
	buffer_load_dword v94, off, s[0:3], 0 offset:272
	;; [unrolled: 1-line block ×4, first 2 shown]
	v_mul_f64 v[10:11], v[26:27], v[92:93]
	v_fma_f64 v[10:11], v[24:25], v[90:91], -v[10:11]
	v_add_f64 v[8:9], v[8:9], v[10:11]
	s_waitcnt vmcnt(0) lgkmcnt(0)
	v_mul_f64 v[74:75], v[68:69], v[96:97]
	v_fmac_f64_e32 v[74:75], v[70:71], v[94:95]
	v_add_f64 v[118:119], v[72:73], v[74:75]
	ds_read_b128 v[72:75], v6 offset:592
	buffer_load_dword v121, off, s[0:3], 0 offset:292
	buffer_load_dword v120, off, s[0:3], 0 offset:288
	;; [unrolled: 1-line block ×4, first 2 shown]
	v_mul_f64 v[10:11], v[70:71], v[96:97]
	v_fma_f64 v[10:11], v[68:69], v[94:95], -v[10:11]
	v_add_f64 v[8:9], v[8:9], v[10:11]
	s_waitcnt vmcnt(0) lgkmcnt(0)
	v_mul_f64 v[10:11], v[74:75], v[122:123]
	v_mul_f64 v[124:125], v[72:73], v[122:123]
	v_fma_f64 v[10:11], v[72:73], v[120:121], -v[10:11]
	v_fmac_f64_e32 v[124:125], v[74:75], v[120:121]
	v_add_f64 v[8:9], v[8:9], v[10:11]
	v_add_f64 v[118:119], v[118:119], v[124:125]
	v_add_f64 v[4:5], v[4:5], -v[8:9]
	v_add_f64 v[2:3], v[2:3], -v[118:119]
	buffer_store_dword v5, off, s[0:3], 0 offset:180
	buffer_store_dword v4, off, s[0:3], 0 offset:176
	buffer_store_dword v3, off, s[0:3], 0 offset:188
	buffer_store_dword v2, off, s[0:3], 0 offset:184
	s_and_saveexec_b64 s[6:7], vcc
	s_cbranch_execz .LBB82_107
; %bb.106:
	buffer_load_dword v2, v105, s[0:3], 0 offen
	buffer_load_dword v3, v105, s[0:3], 0 offen offset:4
	buffer_load_dword v4, v105, s[0:3], 0 offen offset:8
	;; [unrolled: 1-line block ×3, first 2 shown]
	s_nop 0
	buffer_store_dword v6, off, s[0:3], 0 offset:160
	buffer_store_dword v6, off, s[0:3], 0 offset:164
	;; [unrolled: 1-line block ×4, first 2 shown]
	s_waitcnt vmcnt(4)
	ds_write_b128 v116, v[2:5]
.LBB82_107:
	s_or_b64 exec, exec, s[6:7]
	s_waitcnt lgkmcnt(0)
	; wave barrier
	s_waitcnt lgkmcnt(0)
	buffer_load_dword v28, off, s[0:3], 0 offset:184
	buffer_load_dword v29, off, s[0:3], 0 offset:188
	;; [unrolled: 1-line block ×36, first 2 shown]
	ds_read_b128 v[2:5], v6 offset:480
	ds_read_b128 v[8:11], v6 offset:496
	;; [unrolled: 1-line block ×8, first 2 shown]
	v_cmp_lt_u32_e32 vcc, 9, v115
	s_waitcnt vmcnt(34) lgkmcnt(7)
	v_mul_f64 v[6:7], v[2:3], v[28:29]
	v_mul_f64 v[28:29], v[4:5], v[28:29]
	s_waitcnt vmcnt(32) lgkmcnt(6)
	v_mul_f64 v[130:131], v[8:9], v[76:77]
	v_mul_f64 v[76:77], v[10:11], v[76:77]
	;; [unrolled: 3-line block ×4, first 2 shown]
	s_waitcnt vmcnt(25)
	v_mul_f64 v[134:135], v[16:17], v[84:85]
	v_mul_f64 v[84:85], v[18:19], v[84:85]
	s_waitcnt vmcnt(23) lgkmcnt(1)
	v_mul_f64 v[140:141], v[68:69], v[86:87]
	v_mul_f64 v[86:87], v[70:71], v[86:87]
	s_waitcnt vmcnt(20)
	v_mul_f64 v[138:139], v[24:25], v[90:91]
	v_mul_f64 v[90:91], v[26:27], v[90:91]
	s_waitcnt vmcnt(18) lgkmcnt(0)
	v_mul_f64 v[142:143], v[72:73], v[92:93]
	s_waitcnt vmcnt(17)
	v_fmac_f64_e32 v[136:137], v[22:23], v[82:83]
	s_waitcnt vmcnt(16)
	v_fmac_f64_e32 v[140:141], v[70:71], v[88:89]
	s_waitcnt vmcnt(14)
	v_fma_f64 v[2:3], v[2:3], v[94:95], -v[28:29]
	v_fmac_f64_e32 v[6:7], v[4:5], v[94:95]
	s_waitcnt vmcnt(12)
	v_fma_f64 v[4:5], v[8:9], v[96:97], -v[76:77]
	v_add_f64 v[2:3], v[2:3], 0
	v_fmac_f64_e32 v[130:131], v[10:11], v[96:97]
	s_waitcnt vmcnt(10)
	v_fma_f64 v[8:9], v[12:13], v[118:119], -v[78:79]
	v_add_f64 v[6:7], v[6:7], 0
	v_add_f64 v[2:3], v[2:3], v[4:5]
	v_fmac_f64_e32 v[132:133], v[14:15], v[118:119]
	s_waitcnt vmcnt(8)
	v_fma_f64 v[10:11], v[16:17], v[120:121], -v[84:85]
	v_add_f64 v[6:7], v[6:7], v[130:131]
	v_add_f64 v[2:3], v[2:3], v[8:9]
	v_fmac_f64_e32 v[134:135], v[18:19], v[120:121]
	v_fma_f64 v[12:13], v[20:21], v[82:83], -v[80:81]
	v_add_f64 v[4:5], v[6:7], v[132:133]
	v_add_f64 v[2:3], v[2:3], v[10:11]
	s_waitcnt vmcnt(6)
	v_fma_f64 v[14:15], v[24:25], v[122:123], -v[90:91]
	v_add_f64 v[4:5], v[4:5], v[134:135]
	v_add_f64 v[2:3], v[2:3], v[12:13]
	v_fmac_f64_e32 v[138:139], v[26:27], v[122:123]
	v_fma_f64 v[16:17], v[68:69], v[88:89], -v[86:87]
	v_add_f64 v[4:5], v[4:5], v[136:137]
	v_add_f64 v[2:3], v[2:3], v[14:15]
	v_mul_f64 v[6:7], v[74:75], v[92:93]
	v_add_f64 v[4:5], v[4:5], v[138:139]
	v_add_f64 v[2:3], v[2:3], v[16:17]
	s_waitcnt vmcnt(4)
	v_fma_f64 v[6:7], v[72:73], v[124:125], -v[6:7]
	v_fmac_f64_e32 v[142:143], v[74:75], v[124:125]
	v_add_f64 v[4:5], v[4:5], v[140:141]
	v_add_f64 v[2:3], v[2:3], v[6:7]
	;; [unrolled: 1-line block ×3, first 2 shown]
	s_waitcnt vmcnt(2)
	v_add_f64 v[2:3], v[126:127], -v[2:3]
	s_waitcnt vmcnt(0)
	v_add_f64 v[4:5], v[128:129], -v[4:5]
	buffer_store_dword v3, off, s[0:3], 0 offset:164
	buffer_store_dword v2, off, s[0:3], 0 offset:160
	;; [unrolled: 1-line block ×4, first 2 shown]
	s_and_saveexec_b64 s[6:7], vcc
	s_cbranch_execz .LBB82_109
; %bb.108:
	buffer_load_dword v2, v106, s[0:3], 0 offen
	buffer_load_dword v3, v106, s[0:3], 0 offen offset:4
	buffer_load_dword v4, v106, s[0:3], 0 offen offset:8
	;; [unrolled: 1-line block ×3, first 2 shown]
	v_mov_b32_e32 v6, 0
	buffer_store_dword v6, off, s[0:3], 0 offset:144
	buffer_store_dword v6, off, s[0:3], 0 offset:148
	;; [unrolled: 1-line block ×4, first 2 shown]
	s_waitcnt vmcnt(4)
	ds_write_b128 v116, v[2:5]
.LBB82_109:
	s_or_b64 exec, exec, s[6:7]
	s_waitcnt lgkmcnt(0)
	; wave barrier
	s_waitcnt lgkmcnt(0)
	buffer_load_dword v28, off, s[0:3], 0 offset:168
	buffer_load_dword v29, off, s[0:3], 0 offset:172
	buffer_load_dword v80, off, s[0:3], 0 offset:184
	buffer_load_dword v81, off, s[0:3], 0 offset:188
	buffer_load_dword v82, off, s[0:3], 0 offset:200
	buffer_load_dword v83, off, s[0:3], 0 offset:204
	buffer_load_dword v85, off, s[0:3], 0 offset:236
	buffer_load_dword v84, off, s[0:3], 0 offset:232
	buffer_load_dword v87, off, s[0:3], 0 offset:228
	buffer_load_dword v86, off, s[0:3], 0 offset:224
	buffer_load_dword v89, off, s[0:3], 0 offset:220
	buffer_load_dword v88, off, s[0:3], 0 offset:216
	buffer_load_dword v91, off, s[0:3], 0 offset:268
	buffer_load_dword v90, off, s[0:3], 0 offset:264
	buffer_load_dword v93, off, s[0:3], 0 offset:260
	buffer_load_dword v92, off, s[0:3], 0 offset:256
	buffer_load_dword v95, off, s[0:3], 0 offset:252
	buffer_load_dword v94, off, s[0:3], 0 offset:248
	buffer_load_dword v96, off, s[0:3], 0 offset:296
	buffer_load_dword v118, off, s[0:3], 0 offset:288
	buffer_load_dword v121, off, s[0:3], 0 offset:284
	buffer_load_dword v120, off, s[0:3], 0 offset:280
	buffer_load_dword v97, off, s[0:3], 0 offset:300
	buffer_load_dword v122, off, s[0:3], 0 offset:160
	buffer_load_dword v123, off, s[0:3], 0 offset:164
	buffer_load_dword v124, off, s[0:3], 0 offset:176
	buffer_load_dword v125, off, s[0:3], 0 offset:180
	buffer_load_dword v126, off, s[0:3], 0 offset:192
	buffer_load_dword v127, off, s[0:3], 0 offset:196
	buffer_load_dword v129, off, s[0:3], 0 offset:212
	buffer_load_dword v128, off, s[0:3], 0 offset:208
	buffer_load_dword v131, off, s[0:3], 0 offset:244
	buffer_load_dword v130, off, s[0:3], 0 offset:240
	buffer_load_dword v133, off, s[0:3], 0 offset:276
	buffer_load_dword v132, off, s[0:3], 0 offset:272
	buffer_load_dword v119, off, s[0:3], 0 offset:292
	buffer_load_dword v134, off, s[0:3], 0 offset:144
	buffer_load_dword v135, off, s[0:3], 0 offset:148
	buffer_load_dword v136, off, s[0:3], 0 offset:152
	buffer_load_dword v137, off, s[0:3], 0 offset:156
	v_mov_b32_e32 v6, 0
	ds_read_b128 v[2:5], v6 offset:464
	ds_read_b128 v[8:11], v6 offset:480
	;; [unrolled: 1-line block ×9, first 2 shown]
	v_cmp_lt_u32_e32 vcc, 8, v115
	s_waitcnt vmcnt(38) lgkmcnt(8)
	v_mul_f64 v[138:139], v[2:3], v[28:29]
	v_mul_f64 v[28:29], v[4:5], v[28:29]
	s_waitcnt vmcnt(36) lgkmcnt(7)
	v_mul_f64 v[140:141], v[8:9], v[80:81]
	v_mul_f64 v[80:81], v[10:11], v[80:81]
	;; [unrolled: 3-line block ×3, first 2 shown]
	s_waitcnt vmcnt(32) lgkmcnt(4)
	v_mul_f64 v[146:147], v[20:21], v[84:85]
	s_waitcnt vmcnt(30)
	v_fmac_f64_e32 v[146:147], v[22:23], v[86:87]
	s_waitcnt vmcnt(28)
	v_mul_f64 v[144:145], v[16:17], v[88:89]
	v_mul_f64 v[88:89], v[18:19], v[88:89]
	s_waitcnt vmcnt(26) lgkmcnt(2)
	v_mul_f64 v[150:151], v[68:69], v[90:91]
	s_waitcnt vmcnt(24)
	v_fmac_f64_e32 v[150:151], v[70:71], v[92:93]
	s_waitcnt vmcnt(22)
	v_mul_f64 v[148:149], v[24:25], v[94:95]
	s_waitcnt vmcnt(18) lgkmcnt(1)
	v_mul_f64 v[152:153], v[72:73], v[120:121]
	s_waitcnt vmcnt(17) lgkmcnt(0)
	v_mul_f64 v[154:155], v[76:77], v[96:97]
	s_waitcnt vmcnt(15)
	v_fma_f64 v[2:3], v[2:3], v[122:123], -v[28:29]
	v_fmac_f64_e32 v[138:139], v[4:5], v[122:123]
	s_waitcnt vmcnt(13)
	v_fma_f64 v[4:5], v[8:9], v[124:125], -v[80:81]
	v_add_f64 v[2:3], v[2:3], 0
	s_waitcnt vmcnt(11)
	v_fma_f64 v[8:9], v[12:13], v[126:127], -v[82:83]
	v_add_f64 v[2:3], v[2:3], v[4:5]
	v_fmac_f64_e32 v[140:141], v[10:11], v[124:125]
	s_waitcnt vmcnt(9)
	v_fma_f64 v[10:11], v[16:17], v[128:129], -v[88:89]
	v_add_f64 v[2:3], v[2:3], v[8:9]
	v_mul_f64 v[8:9], v[22:23], v[84:85]
	v_add_f64 v[2:3], v[2:3], v[10:11]
	v_fma_f64 v[8:9], v[20:21], v[86:87], -v[8:9]
	v_add_f64 v[2:3], v[2:3], v[8:9]
	v_mul_f64 v[8:9], v[26:27], v[94:95]
	v_add_f64 v[12:13], v[138:139], 0
	s_waitcnt vmcnt(7)
	v_fma_f64 v[8:9], v[24:25], v[130:131], -v[8:9]
	v_fmac_f64_e32 v[142:143], v[14:15], v[126:127]
	v_add_f64 v[12:13], v[12:13], v[140:141]
	v_add_f64 v[2:3], v[2:3], v[8:9]
	v_mul_f64 v[8:9], v[70:71], v[90:91]
	v_fmac_f64_e32 v[144:145], v[18:19], v[128:129]
	v_add_f64 v[4:5], v[12:13], v[142:143]
	v_fma_f64 v[8:9], v[68:69], v[92:93], -v[8:9]
	v_add_f64 v[4:5], v[4:5], v[144:145]
	v_add_f64 v[2:3], v[2:3], v[8:9]
	v_mul_f64 v[8:9], v[74:75], v[120:121]
	v_fmac_f64_e32 v[148:149], v[26:27], v[130:131]
	v_add_f64 v[4:5], v[4:5], v[146:147]
	s_waitcnt vmcnt(5)
	v_fma_f64 v[8:9], v[72:73], v[132:133], -v[8:9]
	v_add_f64 v[4:5], v[4:5], v[148:149]
	v_add_f64 v[2:3], v[2:3], v[8:9]
	v_mul_f64 v[8:9], v[78:79], v[96:97]
	v_fmac_f64_e32 v[152:153], v[74:75], v[132:133]
	v_add_f64 v[4:5], v[4:5], v[150:151]
	s_waitcnt vmcnt(4)
	v_fma_f64 v[8:9], v[76:77], v[118:119], -v[8:9]
	v_fmac_f64_e32 v[154:155], v[78:79], v[118:119]
	v_add_f64 v[4:5], v[4:5], v[152:153]
	v_add_f64 v[2:3], v[2:3], v[8:9]
	;; [unrolled: 1-line block ×3, first 2 shown]
	s_waitcnt vmcnt(2)
	v_add_f64 v[2:3], v[134:135], -v[2:3]
	s_waitcnt vmcnt(0)
	v_add_f64 v[4:5], v[136:137], -v[4:5]
	buffer_store_dword v3, off, s[0:3], 0 offset:148
	buffer_store_dword v2, off, s[0:3], 0 offset:144
	buffer_store_dword v5, off, s[0:3], 0 offset:156
	buffer_store_dword v4, off, s[0:3], 0 offset:152
	s_and_saveexec_b64 s[6:7], vcc
	s_cbranch_execz .LBB82_111
; %bb.110:
	buffer_load_dword v2, v104, s[0:3], 0 offen
	buffer_load_dword v3, v104, s[0:3], 0 offen offset:4
	buffer_load_dword v4, v104, s[0:3], 0 offen offset:8
	;; [unrolled: 1-line block ×3, first 2 shown]
	s_nop 0
	buffer_store_dword v6, off, s[0:3], 0 offset:128
	buffer_store_dword v6, off, s[0:3], 0 offset:132
	;; [unrolled: 1-line block ×4, first 2 shown]
	s_waitcnt vmcnt(4)
	ds_write_b128 v116, v[2:5]
.LBB82_111:
	s_or_b64 exec, exec, s[6:7]
	s_waitcnt lgkmcnt(0)
	; wave barrier
	s_waitcnt lgkmcnt(0)
	buffer_load_dword v4, off, s[0:3], 0 offset:144
	buffer_load_dword v5, off, s[0:3], 0 offset:148
	;; [unrolled: 1-line block ×44, first 2 shown]
	ds_read_b128 v[8:11], v6 offset:448
	ds_read_b128 v[12:15], v6 offset:464
	;; [unrolled: 1-line block ×10, first 2 shown]
	v_cmp_lt_u32_e32 vcc, 7, v115
	s_waitcnt vmcnt(40) lgkmcnt(9)
	v_mul_f64 v[6:7], v[8:9], v[28:29]
	v_mul_f64 v[28:29], v[10:11], v[28:29]
	s_waitcnt vmcnt(38) lgkmcnt(8)
	v_mul_f64 v[146:147], v[12:13], v[88:89]
	v_mul_f64 v[88:89], v[14:15], v[88:89]
	v_fmac_f64_e32 v[6:7], v[10:11], v[4:5]
	v_fma_f64 v[4:5], v[8:9], v[4:5], -v[28:29]
	s_waitcnt vmcnt(36) lgkmcnt(7)
	v_mul_f64 v[148:149], v[16:17], v[2:3]
	v_add_f64 v[4:5], v[4:5], 0
	v_mul_f64 v[2:3], v[18:19], v[2:3]
	v_add_f64 v[6:7], v[6:7], 0
	s_waitcnt vmcnt(30) lgkmcnt(6)
	v_mul_f64 v[150:151], v[20:21], v[94:95]
	s_waitcnt lgkmcnt(5)
	v_mul_f64 v[152:153], v[24:25], v[90:91]
	v_fmac_f64_e32 v[152:153], v[26:27], v[92:93]
	s_waitcnt vmcnt(28) lgkmcnt(3)
	v_mul_f64 v[156:157], v[72:73], v[96:97]
	s_waitcnt vmcnt(26)
	v_fmac_f64_e32 v[156:157], v[74:75], v[118:119]
	s_waitcnt vmcnt(24)
	v_mul_f64 v[154:155], v[68:69], v[120:121]
	s_waitcnt vmcnt(22) lgkmcnt(1)
	v_mul_f64 v[160:161], v[80:81], v[122:123]
	s_waitcnt vmcnt(20)
	v_fmac_f64_e32 v[160:161], v[82:83], v[124:125]
	s_waitcnt vmcnt(18)
	v_mul_f64 v[158:159], v[76:77], v[126:127]
	s_waitcnt vmcnt(16) lgkmcnt(0)
	v_mul_f64 v[162:163], v[84:85], v[128:129]
	s_waitcnt vmcnt(14)
	v_fma_f64 v[8:9], v[12:13], v[130:131], -v[88:89]
	v_add_f64 v[4:5], v[4:5], v[8:9]
	s_waitcnt vmcnt(12)
	v_fma_f64 v[2:3], v[16:17], v[132:133], -v[2:3]
	v_add_f64 v[2:3], v[4:5], v[2:3]
	v_mul_f64 v[4:5], v[22:23], v[94:95]
	s_waitcnt vmcnt(10)
	v_fma_f64 v[4:5], v[20:21], v[134:135], -v[4:5]
	v_add_f64 v[2:3], v[2:3], v[4:5]
	v_mul_f64 v[4:5], v[26:27], v[90:91]
	v_fma_f64 v[4:5], v[24:25], v[92:93], -v[4:5]
	v_add_f64 v[2:3], v[2:3], v[4:5]
	v_mul_f64 v[4:5], v[70:71], v[120:121]
	s_waitcnt vmcnt(8)
	v_fma_f64 v[4:5], v[68:69], v[136:137], -v[4:5]
	v_fmac_f64_e32 v[146:147], v[14:15], v[130:131]
	v_add_f64 v[2:3], v[2:3], v[4:5]
	v_mul_f64 v[4:5], v[74:75], v[96:97]
	v_fmac_f64_e32 v[148:149], v[18:19], v[132:133]
	v_add_f64 v[6:7], v[6:7], v[146:147]
	v_fma_f64 v[4:5], v[72:73], v[118:119], -v[4:5]
	v_fmac_f64_e32 v[150:151], v[22:23], v[134:135]
	v_add_f64 v[6:7], v[6:7], v[148:149]
	v_add_f64 v[2:3], v[2:3], v[4:5]
	v_mul_f64 v[4:5], v[78:79], v[126:127]
	v_add_f64 v[6:7], v[6:7], v[150:151]
	s_waitcnt vmcnt(6)
	v_fma_f64 v[4:5], v[76:77], v[138:139], -v[4:5]
	v_fmac_f64_e32 v[154:155], v[70:71], v[136:137]
	v_add_f64 v[6:7], v[6:7], v[152:153]
	v_add_f64 v[2:3], v[2:3], v[4:5]
	v_mul_f64 v[4:5], v[82:83], v[122:123]
	v_add_f64 v[6:7], v[6:7], v[154:155]
	v_fma_f64 v[4:5], v[80:81], v[124:125], -v[4:5]
	v_fmac_f64_e32 v[158:159], v[78:79], v[138:139]
	v_add_f64 v[6:7], v[6:7], v[156:157]
	v_add_f64 v[2:3], v[2:3], v[4:5]
	v_mul_f64 v[4:5], v[86:87], v[128:129]
	v_add_f64 v[6:7], v[6:7], v[158:159]
	s_waitcnt vmcnt(4)
	v_fma_f64 v[4:5], v[84:85], v[140:141], -v[4:5]
	v_fmac_f64_e32 v[162:163], v[86:87], v[140:141]
	v_add_f64 v[6:7], v[6:7], v[160:161]
	v_add_f64 v[2:3], v[2:3], v[4:5]
	;; [unrolled: 1-line block ×3, first 2 shown]
	s_waitcnt vmcnt(2)
	v_add_f64 v[2:3], v[142:143], -v[2:3]
	s_waitcnt vmcnt(0)
	v_add_f64 v[4:5], v[144:145], -v[6:7]
	buffer_store_dword v3, off, s[0:3], 0 offset:132
	buffer_store_dword v2, off, s[0:3], 0 offset:128
	;; [unrolled: 1-line block ×4, first 2 shown]
	s_and_saveexec_b64 s[6:7], vcc
	s_cbranch_execz .LBB82_113
; %bb.112:
	buffer_load_dword v2, v111, s[0:3], 0 offen
	buffer_load_dword v3, v111, s[0:3], 0 offen offset:4
	buffer_load_dword v4, v111, s[0:3], 0 offen offset:8
	;; [unrolled: 1-line block ×3, first 2 shown]
	v_mov_b32_e32 v6, 0
	buffer_store_dword v6, off, s[0:3], 0 offset:112
	buffer_store_dword v6, off, s[0:3], 0 offset:116
	;; [unrolled: 1-line block ×4, first 2 shown]
	s_waitcnt vmcnt(4)
	ds_write_b128 v116, v[2:5]
.LBB82_113:
	s_or_b64 exec, exec, s[6:7]
	v_mov_b32_e32 v117, 0
	s_waitcnt lgkmcnt(0)
	; wave barrier
	s_waitcnt lgkmcnt(0)
	ds_read_b128 v[14:17], v117 offset:432
	ds_read_b128 v[10:13], v117 offset:448
	;; [unrolled: 1-line block ×4, first 2 shown]
	buffer_load_dword v70, off, s[0:3], 0 offset:112
	buffer_load_dword v71, off, s[0:3], 0 offset:116
	;; [unrolled: 1-line block ×20, first 2 shown]
	v_cmp_lt_u32_e32 vcc, 6, v115
	s_waitcnt vmcnt(12) lgkmcnt(3)
	v_mul_f64 v[18:19], v[14:15], v[78:79]
	v_fmac_f64_e32 v[18:19], v[16:17], v[72:73]
	v_add_f64 v[18:19], v[18:19], 0
	v_mul_f64 v[16:17], v[16:17], v[78:79]
	s_waitcnt vmcnt(8) lgkmcnt(2)
	v_mul_f64 v[20:21], v[10:11], v[80:81]
	v_fmac_f64_e32 v[20:21], v[12:13], v[74:75]
	v_add_f64 v[18:19], v[18:19], v[20:21]
	v_fma_f64 v[14:15], v[14:15], v[72:73], -v[16:17]
	s_waitcnt vmcnt(4) lgkmcnt(1)
	v_mul_f64 v[20:21], v[6:7], v[82:83]
	v_fmac_f64_e32 v[20:21], v[8:9], v[76:77]
	v_add_f64 v[18:19], v[18:19], v[20:21]
	s_waitcnt vmcnt(0) lgkmcnt(0)
	v_mul_f64 v[20:21], v[2:3], v[86:87]
	v_fmac_f64_e32 v[20:21], v[4:5], v[84:85]
	v_add_f64 v[22:23], v[18:19], v[20:21]
	ds_read_b128 v[18:21], v117 offset:496
	buffer_load_dword v89, off, s[0:3], 0 offset:196
	buffer_load_dword v88, off, s[0:3], 0 offset:192
	;; [unrolled: 1-line block ×4, first 2 shown]
	v_mul_f64 v[12:13], v[12:13], v[80:81]
	v_add_f64 v[14:15], v[14:15], 0
	v_fma_f64 v[10:11], v[10:11], v[74:75], -v[12:13]
	v_mul_f64 v[8:9], v[8:9], v[82:83]
	v_add_f64 v[10:11], v[14:15], v[10:11]
	v_fma_f64 v[6:7], v[6:7], v[76:77], -v[8:9]
	v_mul_f64 v[4:5], v[4:5], v[86:87]
	v_add_f64 v[6:7], v[10:11], v[6:7]
	v_fma_f64 v[2:3], v[2:3], v[84:85], -v[4:5]
	v_add_f64 v[2:3], v[6:7], v[2:3]
	s_waitcnt vmcnt(0) lgkmcnt(0)
	v_mul_f64 v[24:25], v[18:19], v[90:91]
	v_fmac_f64_e32 v[24:25], v[20:21], v[88:89]
	v_add_f64 v[26:27], v[22:23], v[24:25]
	ds_read_b128 v[22:25], v117 offset:512
	buffer_load_dword v93, off, s[0:3], 0 offset:212
	buffer_load_dword v92, off, s[0:3], 0 offset:208
	buffer_load_dword v95, off, s[0:3], 0 offset:220
	buffer_load_dword v94, off, s[0:3], 0 offset:216
	v_mul_f64 v[4:5], v[20:21], v[90:91]
	v_fma_f64 v[4:5], v[18:19], v[88:89], -v[4:5]
	v_add_f64 v[2:3], v[2:3], v[4:5]
	s_waitcnt vmcnt(0) lgkmcnt(0)
	v_mul_f64 v[28:29], v[22:23], v[94:95]
	v_fmac_f64_e32 v[28:29], v[24:25], v[92:93]
	v_add_f64 v[96:97], v[26:27], v[28:29]
	ds_read_b128 v[26:29], v117 offset:528
	buffer_load_dword v135, off, s[0:3], 0 offset:228
	buffer_load_dword v134, off, s[0:3], 0 offset:224
	buffer_load_dword v137, off, s[0:3], 0 offset:236
	buffer_load_dword v136, off, s[0:3], 0 offset:232
	v_mul_f64 v[4:5], v[24:25], v[94:95]
	v_fma_f64 v[4:5], v[22:23], v[92:93], -v[4:5]
	;; [unrolled: 12-line block ×6, first 2 shown]
	v_add_f64 v[2:3], v[2:3], v[4:5]
	s_waitcnt vmcnt(0) lgkmcnt(0)
	v_mul_f64 v[4:5], v[132:133], v[152:153]
	v_mul_f64 v[154:155], v[130:131], v[152:153]
	v_fma_f64 v[4:5], v[130:131], v[150:151], -v[4:5]
	v_fmac_f64_e32 v[154:155], v[132:133], v[150:151]
	v_add_f64 v[2:3], v[2:3], v[4:5]
	v_add_f64 v[96:97], v[96:97], v[154:155]
	v_add_f64 v[2:3], v[70:71], -v[2:3]
	v_add_f64 v[4:5], v[68:69], -v[96:97]
	buffer_store_dword v3, off, s[0:3], 0 offset:116
	buffer_store_dword v2, off, s[0:3], 0 offset:112
	;; [unrolled: 1-line block ×4, first 2 shown]
	s_and_saveexec_b64 s[6:7], vcc
	s_cbranch_execz .LBB82_115
; %bb.114:
	buffer_load_dword v2, v109, s[0:3], 0 offen
	buffer_load_dword v3, v109, s[0:3], 0 offen offset:4
	buffer_load_dword v4, v109, s[0:3], 0 offen offset:8
	;; [unrolled: 1-line block ×3, first 2 shown]
	s_nop 0
	buffer_store_dword v117, off, s[0:3], 0 offset:96
	buffer_store_dword v117, off, s[0:3], 0 offset:100
	;; [unrolled: 1-line block ×4, first 2 shown]
	s_waitcnt vmcnt(4)
	ds_write_b128 v116, v[2:5]
.LBB82_115:
	s_or_b64 exec, exec, s[6:7]
	s_waitcnt lgkmcnt(0)
	; wave barrier
	s_waitcnt lgkmcnt(0)
	ds_read_b128 v[14:17], v117 offset:416
	ds_read_b128 v[10:13], v117 offset:432
	;; [unrolled: 1-line block ×4, first 2 shown]
	buffer_load_dword v70, off, s[0:3], 0 offset:96
	buffer_load_dword v71, off, s[0:3], 0 offset:100
	;; [unrolled: 1-line block ×20, first 2 shown]
	v_cmp_lt_u32_e32 vcc, 5, v115
	s_waitcnt vmcnt(12) lgkmcnt(3)
	v_mul_f64 v[18:19], v[14:15], v[78:79]
	v_fmac_f64_e32 v[18:19], v[16:17], v[72:73]
	v_add_f64 v[18:19], v[18:19], 0
	v_mul_f64 v[16:17], v[16:17], v[78:79]
	s_waitcnt vmcnt(8) lgkmcnt(2)
	v_mul_f64 v[20:21], v[10:11], v[80:81]
	v_fmac_f64_e32 v[20:21], v[12:13], v[74:75]
	v_add_f64 v[18:19], v[18:19], v[20:21]
	v_fma_f64 v[14:15], v[14:15], v[72:73], -v[16:17]
	s_waitcnt vmcnt(4) lgkmcnt(1)
	v_mul_f64 v[20:21], v[6:7], v[82:83]
	v_fmac_f64_e32 v[20:21], v[8:9], v[76:77]
	v_add_f64 v[18:19], v[18:19], v[20:21]
	s_waitcnt vmcnt(0) lgkmcnt(0)
	v_mul_f64 v[20:21], v[2:3], v[86:87]
	v_fmac_f64_e32 v[20:21], v[4:5], v[84:85]
	v_add_f64 v[22:23], v[18:19], v[20:21]
	ds_read_b128 v[18:21], v117 offset:480
	buffer_load_dword v89, off, s[0:3], 0 offset:180
	buffer_load_dword v88, off, s[0:3], 0 offset:176
	;; [unrolled: 1-line block ×4, first 2 shown]
	v_mul_f64 v[12:13], v[12:13], v[80:81]
	v_add_f64 v[14:15], v[14:15], 0
	v_fma_f64 v[10:11], v[10:11], v[74:75], -v[12:13]
	v_mul_f64 v[8:9], v[8:9], v[82:83]
	v_add_f64 v[10:11], v[14:15], v[10:11]
	v_fma_f64 v[6:7], v[6:7], v[76:77], -v[8:9]
	v_mul_f64 v[4:5], v[4:5], v[86:87]
	v_add_f64 v[6:7], v[10:11], v[6:7]
	v_fma_f64 v[2:3], v[2:3], v[84:85], -v[4:5]
	v_add_f64 v[2:3], v[6:7], v[2:3]
	s_waitcnt vmcnt(0) lgkmcnt(0)
	v_mul_f64 v[24:25], v[18:19], v[90:91]
	v_fmac_f64_e32 v[24:25], v[20:21], v[88:89]
	v_add_f64 v[26:27], v[22:23], v[24:25]
	ds_read_b128 v[22:25], v117 offset:496
	buffer_load_dword v93, off, s[0:3], 0 offset:196
	buffer_load_dword v92, off, s[0:3], 0 offset:192
	buffer_load_dword v95, off, s[0:3], 0 offset:204
	buffer_load_dword v94, off, s[0:3], 0 offset:200
	v_mul_f64 v[4:5], v[20:21], v[90:91]
	v_fma_f64 v[4:5], v[18:19], v[88:89], -v[4:5]
	v_add_f64 v[2:3], v[2:3], v[4:5]
	s_waitcnt vmcnt(0) lgkmcnt(0)
	v_mul_f64 v[28:29], v[22:23], v[94:95]
	v_fmac_f64_e32 v[28:29], v[24:25], v[92:93]
	v_add_f64 v[118:119], v[26:27], v[28:29]
	ds_read_b128 v[26:29], v117 offset:512
	buffer_load_dword v97, off, s[0:3], 0 offset:212
	buffer_load_dword v96, off, s[0:3], 0 offset:208
	buffer_load_dword v139, off, s[0:3], 0 offset:220
	buffer_load_dword v138, off, s[0:3], 0 offset:216
	v_mul_f64 v[4:5], v[24:25], v[94:95]
	v_fma_f64 v[4:5], v[22:23], v[92:93], -v[4:5]
	;; [unrolled: 12-line block ×7, first 2 shown]
	v_add_f64 v[2:3], v[2:3], v[4:5]
	s_waitcnt vmcnt(0) lgkmcnt(0)
	v_mul_f64 v[4:5], v[136:137], v[160:161]
	v_mul_f64 v[162:163], v[134:135], v[160:161]
	v_fma_f64 v[4:5], v[134:135], v[158:159], -v[4:5]
	v_fmac_f64_e32 v[162:163], v[136:137], v[158:159]
	v_add_f64 v[2:3], v[2:3], v[4:5]
	v_add_f64 v[156:157], v[156:157], v[162:163]
	v_add_f64 v[2:3], v[70:71], -v[2:3]
	v_add_f64 v[4:5], v[68:69], -v[156:157]
	buffer_store_dword v3, off, s[0:3], 0 offset:100
	buffer_store_dword v2, off, s[0:3], 0 offset:96
	;; [unrolled: 1-line block ×4, first 2 shown]
	s_and_saveexec_b64 s[6:7], vcc
	s_cbranch_execz .LBB82_117
; %bb.116:
	buffer_load_dword v2, v110, s[0:3], 0 offen
	buffer_load_dword v3, v110, s[0:3], 0 offen offset:4
	buffer_load_dword v4, v110, s[0:3], 0 offen offset:8
	;; [unrolled: 1-line block ×3, first 2 shown]
	v_mov_b32_e32 v6, 0
	buffer_store_dword v6, off, s[0:3], 0 offset:80
	buffer_store_dword v6, off, s[0:3], 0 offset:84
	;; [unrolled: 1-line block ×4, first 2 shown]
	s_waitcnt vmcnt(4)
	ds_write_b128 v116, v[2:5]
.LBB82_117:
	s_or_b64 exec, exec, s[6:7]
	s_waitcnt lgkmcnt(0)
	; wave barrier
	s_waitcnt lgkmcnt(0)
	buffer_load_dword v2, off, s[0:3], 0 offset:96
	buffer_load_dword v3, off, s[0:3], 0 offset:100
	;; [unrolled: 1-line block ×56, first 2 shown]
	v_mov_b32_e32 v24, 0
	ds_read_b128 v[26:29], v24 offset:400
	ds_read_b128 v[68:71], v24 offset:416
	;; [unrolled: 1-line block ×9, first 2 shown]
	v_cmp_lt_u32_e32 vcc, 4, v115
	s_waitcnt vmcnt(52) lgkmcnt(8)
	v_mul_f64 v[122:123], v[26:27], v[6:7]
	v_mul_f64 v[6:7], v[28:29], v[6:7]
	v_fmac_f64_e32 v[122:123], v[28:29], v[2:3]
	v_fma_f64 v[2:3], v[26:27], v[2:3], -v[6:7]
	s_waitcnt vmcnt(48) lgkmcnt(7)
	v_mul_f64 v[124:125], v[68:69], v[8:9]
	v_mul_f64 v[6:7], v[70:71], v[8:9]
	s_waitcnt vmcnt(46) lgkmcnt(6)
	v_mul_f64 v[126:127], v[72:73], v[10:11]
	v_fmac_f64_e32 v[124:125], v[70:71], v[4:5]
	v_add_f64 v[122:123], v[122:123], 0
	v_add_f64 v[2:3], v[2:3], 0
	v_fma_f64 v[4:5], v[68:69], v[4:5], -v[6:7]
	v_add_f64 v[122:123], v[122:123], v[124:125]
	s_waitcnt vmcnt(40) lgkmcnt(5)
	v_mul_f64 v[128:129], v[76:77], v[16:17]
	v_add_f64 v[2:3], v[2:3], v[4:5]
	v_mul_f64 v[4:5], v[74:75], v[10:11]
	s_waitcnt lgkmcnt(4)
	v_mul_f64 v[130:131], v[80:81], v[12:13]
	s_waitcnt vmcnt(36) lgkmcnt(3)
	v_mul_f64 v[132:133], v[84:85], v[22:23]
	v_fmac_f64_e32 v[130:131], v[82:83], v[14:15]
	s_waitcnt vmcnt(35) lgkmcnt(2)
	v_mul_f64 v[134:135], v[88:89], v[18:19]
	s_waitcnt vmcnt(33)
	v_fmac_f64_e32 v[126:127], v[74:75], v[96:97]
	v_add_f64 v[122:123], v[122:123], v[126:127]
	s_waitcnt vmcnt(31)
	v_fmac_f64_e32 v[128:129], v[78:79], v[138:139]
	v_fma_f64 v[4:5], v[72:73], v[96:97], -v[4:5]
	v_add_f64 v[122:123], v[122:123], v[128:129]
	v_add_f64 v[2:3], v[2:3], v[4:5]
	v_mul_f64 v[4:5], v[78:79], v[16:17]
	s_waitcnt vmcnt(29)
	v_fmac_f64_e32 v[132:133], v[86:87], v[140:141]
	v_add_f64 v[122:123], v[122:123], v[130:131]
	v_fma_f64 v[4:5], v[76:77], v[138:139], -v[4:5]
	s_waitcnt vmcnt(28)
	v_fmac_f64_e32 v[134:135], v[90:91], v[20:21]
	v_add_f64 v[122:123], v[122:123], v[132:133]
	s_waitcnt vmcnt(25) lgkmcnt(1)
	v_mul_f64 v[124:125], v[92:93], v[144:145]
	v_add_f64 v[2:3], v[2:3], v[4:5]
	v_mul_f64 v[4:5], v[82:83], v[12:13]
	v_add_f64 v[122:123], v[122:123], v[134:135]
	s_waitcnt vmcnt(23)
	v_fmac_f64_e32 v[124:125], v[94:95], v[146:147]
	v_fma_f64 v[4:5], v[80:81], v[14:15], -v[4:5]
	v_add_f64 v[126:127], v[122:123], v[124:125]
	ds_read_b128 v[122:125], v24 offset:544
	v_add_f64 v[2:3], v[2:3], v[4:5]
	v_mul_f64 v[4:5], v[86:87], v[22:23]
	v_fma_f64 v[4:5], v[84:85], v[140:141], -v[4:5]
	v_add_f64 v[2:3], v[2:3], v[4:5]
	v_mul_f64 v[4:5], v[90:91], v[18:19]
	s_waitcnt vmcnt(20) lgkmcnt(1)
	v_mul_f64 v[128:129], v[118:119], v[142:143]
	v_fma_f64 v[4:5], v[88:89], v[20:21], -v[4:5]
	v_fmac_f64_e32 v[128:129], v[120:121], v[148:149]
	v_add_f64 v[2:3], v[2:3], v[4:5]
	v_mul_f64 v[4:5], v[94:95], v[144:145]
	v_add_f64 v[130:131], v[126:127], v[128:129]
	ds_read_b128 v[126:129], v24 offset:560
	s_waitcnt vmcnt(17) lgkmcnt(1)
	v_mul_f64 v[132:133], v[122:123], v[152:153]
	v_fma_f64 v[4:5], v[92:93], v[146:147], -v[4:5]
	s_waitcnt vmcnt(15)
	v_fmac_f64_e32 v[132:133], v[124:125], v[154:155]
	v_add_f64 v[2:3], v[2:3], v[4:5]
	v_mul_f64 v[4:5], v[120:121], v[142:143]
	v_add_f64 v[170:171], v[130:131], v[132:133]
	ds_read_b128 v[130:133], v24 offset:576
	ds_read_b128 v[134:137], v24 offset:592
	v_fma_f64 v[4:5], v[118:119], v[148:149], -v[4:5]
	v_add_f64 v[2:3], v[2:3], v[4:5]
	v_mul_f64 v[4:5], v[124:125], v[152:153]
	v_fma_f64 v[4:5], v[122:123], v[154:155], -v[4:5]
	v_add_f64 v[2:3], v[2:3], v[4:5]
	s_waitcnt vmcnt(12) lgkmcnt(2)
	v_mul_f64 v[4:5], v[128:129], v[150:151]
	v_mul_f64 v[172:173], v[126:127], v[150:151]
	v_fma_f64 v[4:5], v[126:127], v[156:157], -v[4:5]
	v_fmac_f64_e32 v[172:173], v[128:129], v[156:157]
	v_add_f64 v[2:3], v[2:3], v[4:5]
	s_waitcnt vmcnt(9) lgkmcnt(1)
	v_mul_f64 v[4:5], v[132:133], v[160:161]
	v_add_f64 v[170:171], v[170:171], v[172:173]
	v_mul_f64 v[172:173], v[130:131], v[160:161]
	s_waitcnt vmcnt(7)
	v_fma_f64 v[4:5], v[130:131], v[162:163], -v[4:5]
	v_fmac_f64_e32 v[172:173], v[132:133], v[162:163]
	v_add_f64 v[2:3], v[2:3], v[4:5]
	s_waitcnt vmcnt(5) lgkmcnt(0)
	v_mul_f64 v[4:5], v[136:137], v[158:159]
	v_add_f64 v[170:171], v[170:171], v[172:173]
	v_mul_f64 v[172:173], v[134:135], v[158:159]
	s_waitcnt vmcnt(4)
	v_fma_f64 v[4:5], v[134:135], v[164:165], -v[4:5]
	v_fmac_f64_e32 v[172:173], v[136:137], v[164:165]
	v_add_f64 v[2:3], v[2:3], v[4:5]
	v_add_f64 v[170:171], v[170:171], v[172:173]
	s_waitcnt vmcnt(2)
	v_add_f64 v[2:3], v[166:167], -v[2:3]
	s_waitcnt vmcnt(0)
	v_add_f64 v[4:5], v[168:169], -v[170:171]
	buffer_store_dword v3, off, s[0:3], 0 offset:84
	buffer_store_dword v2, off, s[0:3], 0 offset:80
	;; [unrolled: 1-line block ×4, first 2 shown]
	s_and_saveexec_b64 s[6:7], vcc
	s_cbranch_execz .LBB82_119
; %bb.118:
	buffer_load_dword v2, v108, s[0:3], 0 offen
	buffer_load_dword v3, v108, s[0:3], 0 offen offset:4
	buffer_load_dword v4, v108, s[0:3], 0 offen offset:8
	;; [unrolled: 1-line block ×3, first 2 shown]
	s_nop 0
	buffer_store_dword v24, off, s[0:3], 0 offset:64
	buffer_store_dword v24, off, s[0:3], 0 offset:68
	buffer_store_dword v24, off, s[0:3], 0 offset:72
	buffer_store_dword v24, off, s[0:3], 0 offset:76
	s_waitcnt vmcnt(4)
	ds_write_b128 v116, v[2:5]
.LBB82_119:
	s_or_b64 exec, exec, s[6:7]
	s_waitcnt lgkmcnt(0)
	; wave barrier
	s_waitcnt lgkmcnt(0)
	buffer_load_dword v2, off, s[0:3], 0 offset:80
	buffer_load_dword v3, off, s[0:3], 0 offset:84
	;; [unrolled: 1-line block ×60, first 2 shown]
	ds_read_b128 v[26:29], v24 offset:384
	ds_read_b128 v[68:71], v24 offset:400
	;; [unrolled: 1-line block ×8, first 2 shown]
	v_cmp_lt_u32_e32 vcc, 3, v115
	ds_read_b128 v[138:141], v24 offset:592
	s_waitcnt vmcnt(56) lgkmcnt(8)
	v_mul_f64 v[118:119], v[26:27], v[6:7]
	v_fmac_f64_e32 v[118:119], v[28:29], v[2:3]
	v_add_f64 v[118:119], v[118:119], 0
	v_mul_f64 v[6:7], v[28:29], v[6:7]
	s_waitcnt vmcnt(52) lgkmcnt(7)
	v_mul_f64 v[120:121], v[68:69], v[8:9]
	v_fmac_f64_e32 v[120:121], v[70:71], v[4:5]
	s_waitcnt vmcnt(50) lgkmcnt(6)
	v_mul_f64 v[122:123], v[72:73], v[10:11]
	v_add_f64 v[118:119], v[118:119], v[120:121]
	s_waitcnt vmcnt(48) lgkmcnt(4)
	v_mul_f64 v[126:127], v[80:81], v[12:13]
	v_fma_f64 v[2:3], v[26:27], v[2:3], -v[6:7]
	s_waitcnt vmcnt(46)
	v_fmac_f64_e32 v[126:127], v[82:83], v[14:15]
	v_mul_f64 v[6:7], v[70:71], v[8:9]
	s_waitcnt vmcnt(44)
	v_mul_f64 v[124:125], v[76:77], v[16:17]
	v_add_f64 v[2:3], v[2:3], 0
	v_fma_f64 v[4:5], v[68:69], v[4:5], -v[6:7]
	v_add_f64 v[2:3], v[2:3], v[4:5]
	s_waitcnt vmcnt(40) lgkmcnt(3)
	v_mul_f64 v[128:129], v[84:85], v[22:23]
	v_mul_f64 v[4:5], v[74:75], v[10:11]
	s_waitcnt vmcnt(38)
	v_fmac_f64_e32 v[122:123], v[74:75], v[96:97]
	v_add_f64 v[118:119], v[118:119], v[122:123]
	s_waitcnt vmcnt(36)
	v_fmac_f64_e32 v[124:125], v[78:79], v[142:143]
	v_add_f64 v[118:119], v[118:119], v[124:125]
	;; [unrolled: 3-line block ×3, first 2 shown]
	s_waitcnt vmcnt(32) lgkmcnt(2)
	v_mul_f64 v[120:121], v[88:89], v[18:19]
	v_add_f64 v[118:119], v[118:119], v[128:129]
	v_fmac_f64_e32 v[120:121], v[90:91], v[20:21]
	v_add_f64 v[122:123], v[118:119], v[120:121]
	ds_read_b128 v[118:121], v24 offset:512
	v_fma_f64 v[4:5], v[72:73], v[96:97], -v[4:5]
	v_add_f64 v[2:3], v[2:3], v[4:5]
	v_mul_f64 v[4:5], v[78:79], v[16:17]
	v_fma_f64 v[4:5], v[76:77], v[142:143], -v[4:5]
	s_waitcnt vmcnt(28) lgkmcnt(2)
	v_mul_f64 v[124:125], v[92:93], v[150:151]
	v_add_f64 v[2:3], v[2:3], v[4:5]
	v_mul_f64 v[4:5], v[82:83], v[12:13]
	s_waitcnt vmcnt(26)
	v_fmac_f64_e32 v[124:125], v[94:95], v[152:153]
	v_fma_f64 v[4:5], v[80:81], v[14:15], -v[4:5]
	v_add_f64 v[126:127], v[122:123], v[124:125]
	ds_read_b128 v[122:125], v24 offset:528
	s_waitcnt vmcnt(24) lgkmcnt(1)
	v_mul_f64 v[128:129], v[118:119], v[146:147]
	v_add_f64 v[2:3], v[2:3], v[4:5]
	v_mul_f64 v[4:5], v[86:87], v[22:23]
	v_fmac_f64_e32 v[128:129], v[120:121], v[148:149]
	v_fma_f64 v[4:5], v[84:85], v[144:145], -v[4:5]
	v_add_f64 v[130:131], v[126:127], v[128:129]
	ds_read_b128 v[126:129], v24 offset:544
	v_add_f64 v[2:3], v[2:3], v[4:5]
	v_mul_f64 v[4:5], v[90:91], v[18:19]
	v_fma_f64 v[4:5], v[88:89], v[20:21], -v[4:5]
	v_add_f64 v[2:3], v[2:3], v[4:5]
	v_mul_f64 v[4:5], v[94:95], v[150:151]
	s_waitcnt vmcnt(20) lgkmcnt(1)
	v_mul_f64 v[132:133], v[122:123], v[158:159]
	v_fma_f64 v[4:5], v[92:93], v[152:153], -v[4:5]
	s_waitcnt vmcnt(18)
	v_fmac_f64_e32 v[132:133], v[124:125], v[160:161]
	v_add_f64 v[2:3], v[2:3], v[4:5]
	v_mul_f64 v[4:5], v[120:121], v[146:147]
	v_add_f64 v[134:135], v[130:131], v[132:133]
	ds_read_b128 v[130:133], v24 offset:560
	s_waitcnt vmcnt(16) lgkmcnt(1)
	v_mul_f64 v[136:137], v[126:127], v[154:155]
	v_fma_f64 v[4:5], v[118:119], v[148:149], -v[4:5]
	v_fmac_f64_e32 v[136:137], v[128:129], v[156:157]
	v_add_f64 v[2:3], v[2:3], v[4:5]
	v_mul_f64 v[4:5], v[124:125], v[158:159]
	v_add_f64 v[178:179], v[134:135], v[136:137]
	ds_read_b128 v[134:137], v24 offset:576
	v_fma_f64 v[4:5], v[122:123], v[160:161], -v[4:5]
	v_add_f64 v[2:3], v[2:3], v[4:5]
	v_mul_f64 v[4:5], v[128:129], v[154:155]
	v_fma_f64 v[4:5], v[126:127], v[156:157], -v[4:5]
	v_add_f64 v[2:3], v[2:3], v[4:5]
	s_waitcnt vmcnt(12) lgkmcnt(1)
	v_mul_f64 v[4:5], v[132:133], v[166:167]
	v_mul_f64 v[180:181], v[130:131], v[166:167]
	s_waitcnt vmcnt(10)
	v_fma_f64 v[4:5], v[130:131], v[168:169], -v[4:5]
	v_fmac_f64_e32 v[180:181], v[132:133], v[168:169]
	v_add_f64 v[2:3], v[2:3], v[4:5]
	s_waitcnt vmcnt(8) lgkmcnt(0)
	v_mul_f64 v[4:5], v[136:137], v[162:163]
	v_add_f64 v[24:25], v[178:179], v[180:181]
	v_mul_f64 v[178:179], v[134:135], v[162:163]
	v_fma_f64 v[4:5], v[134:135], v[164:165], -v[4:5]
	v_fmac_f64_e32 v[178:179], v[136:137], v[164:165]
	v_add_f64 v[2:3], v[2:3], v[4:5]
	s_waitcnt vmcnt(6)
	v_mul_f64 v[4:5], v[140:141], v[170:171]
	v_add_f64 v[24:25], v[24:25], v[178:179]
	v_mul_f64 v[178:179], v[138:139], v[170:171]
	s_waitcnt vmcnt(4)
	v_fma_f64 v[4:5], v[138:139], v[172:173], -v[4:5]
	v_fmac_f64_e32 v[178:179], v[140:141], v[172:173]
	v_add_f64 v[2:3], v[2:3], v[4:5]
	v_add_f64 v[24:25], v[24:25], v[178:179]
	s_waitcnt vmcnt(2)
	v_add_f64 v[2:3], v[174:175], -v[2:3]
	s_waitcnt vmcnt(0)
	v_add_f64 v[4:5], v[176:177], -v[24:25]
	buffer_store_dword v3, off, s[0:3], 0 offset:68
	buffer_store_dword v2, off, s[0:3], 0 offset:64
	;; [unrolled: 1-line block ×4, first 2 shown]
	s_and_saveexec_b64 s[6:7], vcc
	s_cbranch_execz .LBB82_121
; %bb.120:
	buffer_load_dword v2, v113, s[0:3], 0 offen
	buffer_load_dword v3, v113, s[0:3], 0 offen offset:4
	buffer_load_dword v4, v113, s[0:3], 0 offen offset:8
	;; [unrolled: 1-line block ×3, first 2 shown]
	v_mov_b32_e32 v6, 0
	buffer_store_dword v6, off, s[0:3], 0 offset:48
	buffer_store_dword v6, off, s[0:3], 0 offset:52
	buffer_store_dword v6, off, s[0:3], 0 offset:56
	buffer_store_dword v6, off, s[0:3], 0 offset:60
	s_waitcnt vmcnt(4)
	ds_write_b128 v116, v[2:5]
.LBB82_121:
	s_or_b64 exec, exec, s[6:7]
	s_waitcnt lgkmcnt(0)
	; wave barrier
	s_waitcnt lgkmcnt(0)
	buffer_load_dword v2, off, s[0:3], 0 offset:64
	buffer_load_dword v3, off, s[0:3], 0 offset:68
	;; [unrolled: 1-line block ×64, first 2 shown]
	v_mov_b32_e32 v76, 0
	ds_read_b128 v[68:71], v76 offset:368
	ds_read_b128 v[72:75], v76 offset:384
	;; [unrolled: 1-line block ×7, first 2 shown]
	v_cmp_lt_u32_e32 vcc, 2, v115
	s_waitcnt vmcnt(60) lgkmcnt(6)
	v_mul_f64 v[94:95], v[68:69], v[6:7]
	v_fmac_f64_e32 v[94:95], v[70:71], v[2:3]
	v_add_f64 v[94:95], v[94:95], 0
	v_mul_f64 v[6:7], v[70:71], v[6:7]
	s_waitcnt vmcnt(56) lgkmcnt(5)
	v_mul_f64 v[96:97], v[72:73], v[8:9]
	v_fmac_f64_e32 v[96:97], v[74:75], v[4:5]
	s_waitcnt vmcnt(54) lgkmcnt(4)
	v_mul_f64 v[118:119], v[78:79], v[10:11]
	v_add_f64 v[94:95], v[94:95], v[96:97]
	v_fma_f64 v[2:3], v[68:69], v[2:3], -v[6:7]
	v_mul_f64 v[6:7], v[74:75], v[8:9]
	s_waitcnt vmcnt(50) lgkmcnt(3)
	v_mul_f64 v[120:121], v[82:83], v[16:17]
	s_waitcnt vmcnt(49) lgkmcnt(2)
	v_mul_f64 v[122:123], v[86:87], v[12:13]
	v_add_f64 v[2:3], v[2:3], 0
	s_waitcnt vmcnt(47)
	v_fmac_f64_e32 v[118:119], v[80:81], v[20:21]
	v_add_f64 v[94:95], v[94:95], v[118:119]
	s_waitcnt vmcnt(45)
	v_fmac_f64_e32 v[120:121], v[84:85], v[18:19]
	;; [unrolled: 3-line block ×3, first 2 shown]
	v_add_f64 v[118:119], v[94:95], v[122:123]
	ds_read_b128 v[94:97], v76 offset:464
	s_waitcnt vmcnt(40) lgkmcnt(2)
	v_mul_f64 v[120:121], v[90:91], v[26:27]
	v_fma_f64 v[4:5], v[72:73], v[4:5], -v[6:7]
	s_waitcnt vmcnt(38)
	v_fmac_f64_e32 v[120:121], v[92:93], v[28:29]
	v_add_f64 v[122:123], v[118:119], v[120:121]
	ds_read_b128 v[118:121], v76 offset:480
	s_waitcnt vmcnt(36) lgkmcnt(1)
	v_mul_f64 v[124:125], v[94:95], v[22:23]
	v_fmac_f64_e32 v[124:125], v[96:97], v[24:25]
	v_add_f64 v[2:3], v[2:3], v[4:5]
	v_mul_f64 v[4:5], v[80:81], v[10:11]
	v_add_f64 v[126:127], v[122:123], v[124:125]
	ds_read_b128 v[122:125], v76 offset:496
	s_waitcnt vmcnt(32) lgkmcnt(1)
	v_mul_f64 v[128:129], v[118:119], v[154:155]
	v_fma_f64 v[4:5], v[78:79], v[20:21], -v[4:5]
	s_waitcnt vmcnt(30)
	v_fmac_f64_e32 v[128:129], v[120:121], v[156:157]
	v_add_f64 v[2:3], v[2:3], v[4:5]
	v_mul_f64 v[4:5], v[84:85], v[16:17]
	v_add_f64 v[130:131], v[126:127], v[128:129]
	ds_read_b128 v[126:129], v76 offset:512
	v_fma_f64 v[4:5], v[82:83], v[18:19], -v[4:5]
	v_add_f64 v[2:3], v[2:3], v[4:5]
	v_mul_f64 v[4:5], v[88:89], v[12:13]
	v_fma_f64 v[4:5], v[86:87], v[14:15], -v[4:5]
	s_waitcnt vmcnt(28) lgkmcnt(1)
	v_mul_f64 v[132:133], v[122:123], v[150:151]
	v_add_f64 v[2:3], v[2:3], v[4:5]
	v_mul_f64 v[4:5], v[92:93], v[26:27]
	v_fmac_f64_e32 v[132:133], v[124:125], v[152:153]
	v_fma_f64 v[4:5], v[90:91], v[28:29], -v[4:5]
	v_add_f64 v[134:135], v[130:131], v[132:133]
	ds_read_b128 v[130:133], v76 offset:528
	s_waitcnt vmcnt(24) lgkmcnt(1)
	v_mul_f64 v[136:137], v[126:127], v[162:163]
	v_add_f64 v[2:3], v[2:3], v[4:5]
	v_mul_f64 v[4:5], v[96:97], v[22:23]
	s_waitcnt vmcnt(22)
	v_fmac_f64_e32 v[136:137], v[128:129], v[164:165]
	v_fma_f64 v[4:5], v[94:95], v[24:25], -v[4:5]
	v_add_f64 v[138:139], v[134:135], v[136:137]
	ds_read_b128 v[134:137], v76 offset:544
	v_add_f64 v[2:3], v[2:3], v[4:5]
	v_mul_f64 v[4:5], v[120:121], v[154:155]
	v_fma_f64 v[4:5], v[118:119], v[156:157], -v[4:5]
	v_add_f64 v[2:3], v[2:3], v[4:5]
	v_mul_f64 v[4:5], v[124:125], v[150:151]
	s_waitcnt vmcnt(20) lgkmcnt(1)
	v_mul_f64 v[140:141], v[130:131], v[158:159]
	v_fma_f64 v[4:5], v[122:123], v[152:153], -v[4:5]
	v_fmac_f64_e32 v[140:141], v[132:133], v[160:161]
	v_add_f64 v[2:3], v[2:3], v[4:5]
	v_mul_f64 v[4:5], v[128:129], v[162:163]
	v_add_f64 v[142:143], v[138:139], v[140:141]
	ds_read_b128 v[138:141], v76 offset:560
	s_waitcnt vmcnt(16) lgkmcnt(1)
	v_mul_f64 v[144:145], v[134:135], v[170:171]
	v_fma_f64 v[4:5], v[126:127], v[164:165], -v[4:5]
	s_waitcnt vmcnt(14)
	v_fmac_f64_e32 v[144:145], v[136:137], v[172:173]
	v_add_f64 v[2:3], v[2:3], v[4:5]
	v_mul_f64 v[4:5], v[132:133], v[158:159]
	v_add_f64 v[186:187], v[142:143], v[144:145]
	ds_read_b128 v[142:145], v76 offset:576
	v_fma_f64 v[4:5], v[130:131], v[160:161], -v[4:5]
	v_add_f64 v[2:3], v[2:3], v[4:5]
	v_mul_f64 v[4:5], v[136:137], v[170:171]
	v_fma_f64 v[4:5], v[134:135], v[172:173], -v[4:5]
	v_add_f64 v[2:3], v[2:3], v[4:5]
	s_waitcnt vmcnt(12) lgkmcnt(1)
	v_mul_f64 v[4:5], v[140:141], v[166:167]
	v_mul_f64 v[188:189], v[138:139], v[166:167]
	v_fma_f64 v[4:5], v[138:139], v[168:169], -v[4:5]
	v_fmac_f64_e32 v[188:189], v[140:141], v[168:169]
	v_add_f64 v[2:3], v[2:3], v[4:5]
	s_waitcnt vmcnt(8) lgkmcnt(0)
	v_mul_f64 v[4:5], v[144:145], v[178:179]
	v_add_f64 v[186:187], v[186:187], v[188:189]
	v_mul_f64 v[188:189], v[142:143], v[178:179]
	s_waitcnt vmcnt(6)
	v_fma_f64 v[4:5], v[142:143], v[180:181], -v[4:5]
	v_fmac_f64_e32 v[188:189], v[144:145], v[180:181]
	v_add_f64 v[2:3], v[2:3], v[4:5]
	s_waitcnt vmcnt(5)
	v_mul_f64 v[4:5], v[148:149], v[174:175]
	v_add_f64 v[186:187], v[186:187], v[188:189]
	v_mul_f64 v[188:189], v[146:147], v[174:175]
	s_waitcnt vmcnt(4)
	v_fma_f64 v[4:5], v[146:147], v[176:177], -v[4:5]
	v_fmac_f64_e32 v[188:189], v[148:149], v[176:177]
	v_add_f64 v[2:3], v[2:3], v[4:5]
	v_add_f64 v[186:187], v[186:187], v[188:189]
	s_waitcnt vmcnt(2)
	v_add_f64 v[2:3], v[182:183], -v[2:3]
	s_waitcnt vmcnt(0)
	v_add_f64 v[4:5], v[184:185], -v[186:187]
	buffer_store_dword v3, off, s[0:3], 0 offset:52
	buffer_store_dword v2, off, s[0:3], 0 offset:48
	;; [unrolled: 1-line block ×4, first 2 shown]
	s_and_saveexec_b64 s[6:7], vcc
	s_cbranch_execz .LBB82_123
; %bb.122:
	buffer_load_dword v2, v114, s[0:3], 0 offen
	buffer_load_dword v3, v114, s[0:3], 0 offen offset:4
	buffer_load_dword v4, v114, s[0:3], 0 offen offset:8
	;; [unrolled: 1-line block ×3, first 2 shown]
	s_nop 0
	buffer_store_dword v76, off, s[0:3], 0 offset:32
	buffer_store_dword v76, off, s[0:3], 0 offset:36
	;; [unrolled: 1-line block ×4, first 2 shown]
	s_waitcnt vmcnt(4)
	ds_write_b128 v116, v[2:5]
.LBB82_123:
	s_or_b64 exec, exec, s[6:7]
	s_waitcnt lgkmcnt(0)
	; wave barrier
	s_waitcnt lgkmcnt(0)
	buffer_load_dword v2, off, s[0:3], 0 offset:48
	buffer_load_dword v3, off, s[0:3], 0 offset:52
	;; [unrolled: 1-line block ×64, first 2 shown]
	ds_read_b128 v[78:81], v76 offset:352
	ds_read_b128 v[82:85], v76 offset:368
	;; [unrolled: 1-line block ×4, first 2 shown]
	buffer_load_dword v190, off, s[0:3], 0 offset:32
	buffer_load_dword v191, off, s[0:3], 0 offset:36
	;; [unrolled: 1-line block ×4, first 2 shown]
	v_cmp_lt_u32_e32 vcc, 1, v115
	ds_read_b128 v[158:161], v76 offset:592
	s_waitcnt vmcnt(62) lgkmcnt(4)
	v_mul_f64 v[94:95], v[78:79], v[4:5]
	v_fmac_f64_e32 v[94:95], v[80:81], v[2:3]
	s_waitcnt lgkmcnt(3)
	v_mul_f64 v[96:97], v[82:83], v[6:7]
	v_add_f64 v[94:95], v[94:95], 0
	s_waitcnt vmcnt(60) lgkmcnt(2)
	v_mul_f64 v[118:119], v[86:87], v[8:9]
	v_mul_f64 v[4:5], v[80:81], v[4:5]
	v_fma_f64 v[2:3], v[78:79], v[2:3], -v[4:5]
	v_mul_f64 v[4:5], v[84:85], v[6:7]
	s_waitcnt vmcnt(56) lgkmcnt(1)
	v_mul_f64 v[120:121], v[90:91], v[14:15]
	v_add_f64 v[2:3], v[2:3], 0
	s_waitcnt vmcnt(54)
	v_fmac_f64_e32 v[96:97], v[84:85], v[20:21]
	v_add_f64 v[122:123], v[94:95], v[96:97]
	ds_read_b128 v[94:97], v76 offset:416
	s_waitcnt vmcnt(52)
	v_fmac_f64_e32 v[118:119], v[88:89], v[18:19]
	v_add_f64 v[118:119], v[122:123], v[118:119]
	s_waitcnt vmcnt(50)
	v_fmac_f64_e32 v[120:121], v[92:93], v[16:17]
	v_add_f64 v[122:123], v[118:119], v[120:121]
	ds_read_b128 v[118:121], v76 offset:432
	s_waitcnt vmcnt(48) lgkmcnt(1)
	v_mul_f64 v[124:125], v[94:95], v[10:11]
	v_fmac_f64_e32 v[124:125], v[96:97], v[12:13]
	v_add_f64 v[126:127], v[122:123], v[124:125]
	ds_read_b128 v[122:125], v76 offset:448
	s_waitcnt vmcnt(44) lgkmcnt(1)
	v_mul_f64 v[128:129], v[118:119], v[26:27]
	s_waitcnt vmcnt(42)
	v_fmac_f64_e32 v[128:129], v[120:121], v[28:29]
	v_add_f64 v[130:131], v[126:127], v[128:129]
	ds_read_b128 v[126:129], v76 offset:464
	s_waitcnt vmcnt(40) lgkmcnt(1)
	v_mul_f64 v[132:133], v[122:123], v[22:23]
	v_fmac_f64_e32 v[132:133], v[124:125], v[24:25]
	v_add_f64 v[134:135], v[130:131], v[132:133]
	ds_read_b128 v[130:133], v76 offset:480
	v_fma_f64 v[4:5], v[82:83], v[20:21], -v[4:5]
	v_add_f64 v[2:3], v[2:3], v[4:5]
	v_mul_f64 v[4:5], v[88:89], v[8:9]
	s_waitcnt vmcnt(36) lgkmcnt(1)
	v_mul_f64 v[136:137], v[126:127], v[72:73]
	v_fma_f64 v[4:5], v[86:87], v[18:19], -v[4:5]
	s_waitcnt vmcnt(34)
	v_fmac_f64_e32 v[136:137], v[128:129], v[74:75]
	v_add_f64 v[2:3], v[2:3], v[4:5]
	v_mul_f64 v[4:5], v[92:93], v[14:15]
	v_add_f64 v[138:139], v[134:135], v[136:137]
	ds_read_b128 v[134:137], v76 offset:496
	s_waitcnt vmcnt(32) lgkmcnt(1)
	v_mul_f64 v[140:141], v[130:131], v[68:69]
	v_fma_f64 v[4:5], v[90:91], v[16:17], -v[4:5]
	v_fmac_f64_e32 v[140:141], v[132:133], v[70:71]
	v_add_f64 v[2:3], v[2:3], v[4:5]
	v_mul_f64 v[4:5], v[96:97], v[10:11]
	v_add_f64 v[142:143], v[138:139], v[140:141]
	ds_read_b128 v[138:141], v76 offset:512
	v_fma_f64 v[4:5], v[94:95], v[12:13], -v[4:5]
	v_add_f64 v[2:3], v[2:3], v[4:5]
	v_mul_f64 v[4:5], v[120:121], v[26:27]
	v_fma_f64 v[4:5], v[118:119], v[28:29], -v[4:5]
	s_waitcnt vmcnt(28) lgkmcnt(1)
	v_mul_f64 v[144:145], v[134:135], v[166:167]
	v_add_f64 v[2:3], v[2:3], v[4:5]
	v_mul_f64 v[4:5], v[124:125], v[22:23]
	s_waitcnt vmcnt(26)
	v_fmac_f64_e32 v[144:145], v[136:137], v[168:169]
	v_fma_f64 v[4:5], v[122:123], v[24:25], -v[4:5]
	v_add_f64 v[146:147], v[142:143], v[144:145]
	ds_read_b128 v[142:145], v76 offset:528
	s_waitcnt vmcnt(24) lgkmcnt(1)
	v_mul_f64 v[148:149], v[138:139], v[162:163]
	v_add_f64 v[2:3], v[2:3], v[4:5]
	v_mul_f64 v[4:5], v[128:129], v[72:73]
	v_fmac_f64_e32 v[148:149], v[140:141], v[164:165]
	v_fma_f64 v[4:5], v[126:127], v[74:75], -v[4:5]
	v_add_f64 v[150:151], v[146:147], v[148:149]
	ds_read_b128 v[146:149], v76 offset:544
	v_add_f64 v[2:3], v[2:3], v[4:5]
	v_mul_f64 v[4:5], v[132:133], v[68:69]
	v_fma_f64 v[4:5], v[130:131], v[70:71], -v[4:5]
	v_add_f64 v[2:3], v[2:3], v[4:5]
	v_mul_f64 v[4:5], v[136:137], v[166:167]
	s_waitcnt vmcnt(20) lgkmcnt(1)
	v_mul_f64 v[152:153], v[142:143], v[174:175]
	v_fma_f64 v[4:5], v[134:135], v[168:169], -v[4:5]
	s_waitcnt vmcnt(18)
	v_fmac_f64_e32 v[152:153], v[144:145], v[176:177]
	v_add_f64 v[2:3], v[2:3], v[4:5]
	v_mul_f64 v[4:5], v[140:141], v[162:163]
	v_add_f64 v[154:155], v[150:151], v[152:153]
	ds_read_b128 v[150:153], v76 offset:560
	s_waitcnt vmcnt(16) lgkmcnt(1)
	v_mul_f64 v[156:157], v[146:147], v[170:171]
	v_fma_f64 v[4:5], v[138:139], v[164:165], -v[4:5]
	v_fmac_f64_e32 v[156:157], v[148:149], v[172:173]
	v_add_f64 v[2:3], v[2:3], v[4:5]
	v_mul_f64 v[4:5], v[144:145], v[174:175]
	v_add_f64 v[194:195], v[154:155], v[156:157]
	ds_read_b128 v[154:157], v76 offset:576
	v_fma_f64 v[4:5], v[142:143], v[176:177], -v[4:5]
	v_add_f64 v[2:3], v[2:3], v[4:5]
	v_mul_f64 v[4:5], v[148:149], v[170:171]
	v_fma_f64 v[4:5], v[146:147], v[172:173], -v[4:5]
	v_add_f64 v[2:3], v[2:3], v[4:5]
	s_waitcnt vmcnt(12) lgkmcnt(1)
	v_mul_f64 v[4:5], v[152:153], v[182:183]
	v_mul_f64 v[196:197], v[150:151], v[182:183]
	s_waitcnt vmcnt(10)
	v_fma_f64 v[4:5], v[150:151], v[184:185], -v[4:5]
	v_fmac_f64_e32 v[196:197], v[152:153], v[184:185]
	v_add_f64 v[2:3], v[2:3], v[4:5]
	s_waitcnt vmcnt(8) lgkmcnt(0)
	v_mul_f64 v[4:5], v[156:157], v[178:179]
	v_add_f64 v[76:77], v[194:195], v[196:197]
	v_mul_f64 v[194:195], v[154:155], v[178:179]
	v_fma_f64 v[4:5], v[154:155], v[180:181], -v[4:5]
	v_fmac_f64_e32 v[194:195], v[156:157], v[180:181]
	v_add_f64 v[2:3], v[2:3], v[4:5]
	s_waitcnt vmcnt(6)
	v_mul_f64 v[4:5], v[160:161], v[186:187]
	v_add_f64 v[76:77], v[76:77], v[194:195]
	v_mul_f64 v[194:195], v[158:159], v[186:187]
	s_waitcnt vmcnt(4)
	v_fma_f64 v[4:5], v[158:159], v[188:189], -v[4:5]
	v_fmac_f64_e32 v[194:195], v[160:161], v[188:189]
	v_add_f64 v[2:3], v[2:3], v[4:5]
	v_add_f64 v[76:77], v[76:77], v[194:195]
	s_waitcnt vmcnt(2)
	v_add_f64 v[2:3], v[190:191], -v[2:3]
	s_waitcnt vmcnt(0)
	v_add_f64 v[4:5], v[192:193], -v[76:77]
	buffer_store_dword v3, off, s[0:3], 0 offset:36
	buffer_store_dword v2, off, s[0:3], 0 offset:32
	buffer_store_dword v5, off, s[0:3], 0 offset:44
	buffer_store_dword v4, off, s[0:3], 0 offset:40
	s_and_saveexec_b64 s[6:7], vcc
	s_cbranch_execz .LBB82_125
; %bb.124:
	buffer_load_dword v2, v112, s[0:3], 0 offen
	buffer_load_dword v3, v112, s[0:3], 0 offen offset:4
	buffer_load_dword v4, v112, s[0:3], 0 offen offset:8
	;; [unrolled: 1-line block ×3, first 2 shown]
	v_mov_b32_e32 v6, 0
	buffer_store_dword v6, off, s[0:3], 0 offset:16
	buffer_store_dword v6, off, s[0:3], 0 offset:20
	;; [unrolled: 1-line block ×4, first 2 shown]
	s_waitcnt vmcnt(4)
	ds_write_b128 v116, v[2:5]
.LBB82_125:
	s_or_b64 exec, exec, s[6:7]
	s_waitcnt lgkmcnt(0)
	; wave barrier
	s_waitcnt lgkmcnt(0)
	buffer_load_dword v2, off, s[0:3], 0 offset:32
	buffer_load_dword v3, off, s[0:3], 0 offset:36
	;; [unrolled: 1-line block ×68, first 2 shown]
	v_mov_b32_e32 v84, 0
	ds_read_b128 v[80:83], v84 offset:336
	ds_read_b128 v[86:89], v84 offset:352
	buffer_load_dword v198, off, s[0:3], 0 offset:16
	buffer_load_dword v199, off, s[0:3], 0 offset:20
	;; [unrolled: 1-line block ×4, first 2 shown]
	ds_read_b128 v[90:93], v84 offset:368
	ds_read_b128 v[94:97], v84 offset:384
	;; [unrolled: 1-line block ×3, first 2 shown]
	v_cmp_ne_u32_e32 vcc, 0, v115
	s_waitcnt vmcnt(62) lgkmcnt(4)
	v_mul_f64 v[118:119], v[80:81], v[8:9]
	v_fmac_f64_e32 v[118:119], v[82:83], v[2:3]
	v_add_f64 v[118:119], v[118:119], 0
	v_mul_f64 v[8:9], v[82:83], v[8:9]
	s_waitcnt lgkmcnt(3)
	v_mul_f64 v[120:121], v[86:87], v[10:11]
	v_fmac_f64_e32 v[120:121], v[88:89], v[4:5]
	v_add_f64 v[118:119], v[118:119], v[120:121]
	v_fma_f64 v[2:3], v[80:81], v[2:3], -v[8:9]
	s_waitcnt vmcnt(60) lgkmcnt(2)
	v_mul_f64 v[120:121], v[90:91], v[12:13]
	v_fmac_f64_e32 v[120:121], v[92:93], v[6:7]
	v_add_f64 v[122:123], v[118:119], v[120:121]
	ds_read_b128 v[118:121], v84 offset:400
	s_waitcnt vmcnt(56) lgkmcnt(2)
	v_mul_f64 v[124:125], v[94:95], v[18:19]
	v_mul_f64 v[8:9], v[88:89], v[10:11]
	s_waitcnt vmcnt(54)
	v_fmac_f64_e32 v[124:125], v[96:97], v[20:21]
	v_add_f64 v[126:127], v[122:123], v[124:125]
	ds_read_b128 v[122:125], v84 offset:416
	s_waitcnt vmcnt(52) lgkmcnt(1)
	v_mul_f64 v[128:129], v[118:119], v[14:15]
	v_fmac_f64_e32 v[128:129], v[120:121], v[16:17]
	v_add_f64 v[130:131], v[126:127], v[128:129]
	ds_read_b128 v[126:129], v84 offset:432
	s_waitcnt vmcnt(48) lgkmcnt(1)
	v_mul_f64 v[132:133], v[122:123], v[26:27]
	s_waitcnt vmcnt(46)
	v_fmac_f64_e32 v[132:133], v[124:125], v[28:29]
	v_add_f64 v[134:135], v[130:131], v[132:133]
	ds_read_b128 v[130:133], v84 offset:448
	s_waitcnt vmcnt(44) lgkmcnt(1)
	v_mul_f64 v[136:137], v[126:127], v[22:23]
	v_fmac_f64_e32 v[136:137], v[128:129], v[24:25]
	v_add_f64 v[138:139], v[134:135], v[136:137]
	ds_read_b128 v[134:137], v84 offset:464
	s_waitcnt vmcnt(40) lgkmcnt(1)
	v_mul_f64 v[140:141], v[130:131], v[72:73]
	s_waitcnt vmcnt(38)
	v_fmac_f64_e32 v[140:141], v[132:133], v[74:75]
	v_add_f64 v[2:3], v[2:3], 0
	v_fma_f64 v[4:5], v[86:87], v[4:5], -v[8:9]
	v_add_f64 v[142:143], v[138:139], v[140:141]
	ds_read_b128 v[138:141], v84 offset:480
	v_add_f64 v[2:3], v[2:3], v[4:5]
	v_mul_f64 v[4:5], v[92:93], v[12:13]
	v_fma_f64 v[4:5], v[90:91], v[6:7], -v[4:5]
	v_add_f64 v[2:3], v[2:3], v[4:5]
	v_mul_f64 v[4:5], v[96:97], v[18:19]
	s_waitcnt vmcnt(36) lgkmcnt(1)
	v_mul_f64 v[144:145], v[134:135], v[68:69]
	v_fma_f64 v[4:5], v[94:95], v[20:21], -v[4:5]
	v_fmac_f64_e32 v[144:145], v[136:137], v[70:71]
	v_add_f64 v[2:3], v[2:3], v[4:5]
	v_mul_f64 v[4:5], v[120:121], v[14:15]
	v_add_f64 v[146:147], v[142:143], v[144:145]
	ds_read_b128 v[142:145], v84 offset:496
	s_waitcnt vmcnt(32) lgkmcnt(1)
	v_mul_f64 v[148:149], v[138:139], v[170:171]
	v_fma_f64 v[4:5], v[118:119], v[16:17], -v[4:5]
	s_waitcnt vmcnt(30)
	v_fmac_f64_e32 v[148:149], v[140:141], v[172:173]
	v_add_f64 v[2:3], v[2:3], v[4:5]
	v_mul_f64 v[4:5], v[124:125], v[26:27]
	v_add_f64 v[150:151], v[146:147], v[148:149]
	ds_read_b128 v[146:149], v84 offset:512
	v_fma_f64 v[4:5], v[122:123], v[28:29], -v[4:5]
	v_add_f64 v[2:3], v[2:3], v[4:5]
	v_mul_f64 v[4:5], v[128:129], v[22:23]
	v_fma_f64 v[4:5], v[126:127], v[24:25], -v[4:5]
	s_waitcnt vmcnt(28) lgkmcnt(1)
	v_mul_f64 v[152:153], v[142:143], v[76:77]
	v_add_f64 v[2:3], v[2:3], v[4:5]
	v_mul_f64 v[4:5], v[132:133], v[72:73]
	v_fmac_f64_e32 v[152:153], v[144:145], v[78:79]
	v_fma_f64 v[4:5], v[130:131], v[74:75], -v[4:5]
	v_add_f64 v[154:155], v[150:151], v[152:153]
	ds_read_b128 v[150:153], v84 offset:528
	s_waitcnt vmcnt(24) lgkmcnt(1)
	v_mul_f64 v[156:157], v[146:147], v[178:179]
	v_add_f64 v[2:3], v[2:3], v[4:5]
	v_mul_f64 v[4:5], v[136:137], v[68:69]
	s_waitcnt vmcnt(22)
	v_fmac_f64_e32 v[156:157], v[148:149], v[180:181]
	v_fma_f64 v[4:5], v[134:135], v[70:71], -v[4:5]
	v_add_f64 v[158:159], v[154:155], v[156:157]
	ds_read_b128 v[154:157], v84 offset:544
	v_add_f64 v[2:3], v[2:3], v[4:5]
	v_mul_f64 v[4:5], v[140:141], v[170:171]
	v_fma_f64 v[4:5], v[138:139], v[172:173], -v[4:5]
	v_add_f64 v[2:3], v[2:3], v[4:5]
	v_mul_f64 v[4:5], v[144:145], v[76:77]
	s_waitcnt vmcnt(20) lgkmcnt(1)
	v_mul_f64 v[160:161], v[150:151], v[174:175]
	v_fma_f64 v[4:5], v[142:143], v[78:79], -v[4:5]
	v_fmac_f64_e32 v[160:161], v[152:153], v[176:177]
	v_add_f64 v[2:3], v[2:3], v[4:5]
	v_mul_f64 v[4:5], v[148:149], v[178:179]
	v_add_f64 v[162:163], v[158:159], v[160:161]
	ds_read_b128 v[158:161], v84 offset:560
	s_waitcnt vmcnt(16) lgkmcnt(1)
	v_mul_f64 v[164:165], v[154:155], v[186:187]
	v_fma_f64 v[4:5], v[146:147], v[180:181], -v[4:5]
	s_waitcnt vmcnt(14)
	v_fmac_f64_e32 v[164:165], v[156:157], v[188:189]
	v_add_f64 v[2:3], v[2:3], v[4:5]
	v_mul_f64 v[4:5], v[152:153], v[174:175]
	v_add_f64 v[202:203], v[162:163], v[164:165]
	ds_read_b128 v[162:165], v84 offset:576
	v_fma_f64 v[4:5], v[150:151], v[176:177], -v[4:5]
	v_add_f64 v[2:3], v[2:3], v[4:5]
	v_mul_f64 v[4:5], v[156:157], v[186:187]
	v_fma_f64 v[4:5], v[154:155], v[188:189], -v[4:5]
	v_add_f64 v[2:3], v[2:3], v[4:5]
	s_waitcnt vmcnt(12) lgkmcnt(1)
	v_mul_f64 v[4:5], v[160:161], v[182:183]
	v_mul_f64 v[204:205], v[158:159], v[182:183]
	v_fma_f64 v[4:5], v[158:159], v[184:185], -v[4:5]
	v_fmac_f64_e32 v[204:205], v[160:161], v[184:185]
	v_add_f64 v[2:3], v[2:3], v[4:5]
	s_waitcnt vmcnt(8) lgkmcnt(0)
	v_mul_f64 v[4:5], v[164:165], v[194:195]
	v_add_f64 v[202:203], v[202:203], v[204:205]
	v_mul_f64 v[204:205], v[162:163], v[194:195]
	s_waitcnt vmcnt(6)
	v_fma_f64 v[4:5], v[162:163], v[196:197], -v[4:5]
	v_fmac_f64_e32 v[204:205], v[164:165], v[196:197]
	v_add_f64 v[2:3], v[2:3], v[4:5]
	s_waitcnt vmcnt(5)
	v_mul_f64 v[4:5], v[168:169], v[190:191]
	v_add_f64 v[202:203], v[202:203], v[204:205]
	v_mul_f64 v[204:205], v[166:167], v[190:191]
	s_waitcnt vmcnt(4)
	v_fma_f64 v[4:5], v[166:167], v[192:193], -v[4:5]
	v_fmac_f64_e32 v[204:205], v[168:169], v[192:193]
	v_add_f64 v[2:3], v[2:3], v[4:5]
	v_add_f64 v[202:203], v[202:203], v[204:205]
	s_waitcnt vmcnt(2)
	v_add_f64 v[2:3], v[198:199], -v[2:3]
	s_waitcnt vmcnt(0)
	v_add_f64 v[4:5], v[200:201], -v[202:203]
	buffer_store_dword v3, off, s[0:3], 0 offset:20
	buffer_store_dword v2, off, s[0:3], 0 offset:16
	buffer_store_dword v5, off, s[0:3], 0 offset:28
	buffer_store_dword v4, off, s[0:3], 0 offset:24
	s_and_saveexec_b64 s[6:7], vcc
	s_cbranch_execz .LBB82_127
; %bb.126:
	buffer_load_dword v2, off, s[0:3], 0
	buffer_load_dword v3, off, s[0:3], 0 offset:4
	buffer_load_dword v4, off, s[0:3], 0 offset:8
	buffer_load_dword v5, off, s[0:3], 0 offset:12
	s_nop 0
	buffer_store_dword v84, off, s[0:3], 0
	buffer_store_dword v84, off, s[0:3], 0 offset:4
	buffer_store_dword v84, off, s[0:3], 0 offset:8
	;; [unrolled: 1-line block ×3, first 2 shown]
	s_waitcnt vmcnt(4)
	ds_write_b128 v116, v[2:5]
.LBB82_127:
	s_or_b64 exec, exec, s[6:7]
	s_waitcnt lgkmcnt(0)
	; wave barrier
	s_waitcnt lgkmcnt(0)
	buffer_load_dword v2, off, s[0:3], 0 offset:16
	buffer_load_dword v3, off, s[0:3], 0 offset:20
	;; [unrolled: 1-line block ×72, first 2 shown]
	ds_read_b128 v[86:89], v84 offset:320
	buffer_load_dword v204, off, s[0:3], 0
	buffer_load_dword v205, off, s[0:3], 0 offset:4
	buffer_load_dword v206, off, s[0:3], 0 offset:8
	;; [unrolled: 1-line block ×3, first 2 shown]
	ds_read_b128 v[90:93], v84 offset:336
	ds_read_b128 v[94:97], v84 offset:352
	;; [unrolled: 1-line block ×3, first 2 shown]
	s_and_b64 vcc, exec, s[18:19]
	ds_read_b128 v[172:175], v84 offset:592
	s_waitcnt vmcnt(62) lgkmcnt(4)
	v_mul_f64 v[120:121], v[86:87], v[8:9]
	v_fmac_f64_e32 v[120:121], v[88:89], v[2:3]
	v_add_f64 v[120:121], v[120:121], 0
	v_mul_f64 v[8:9], v[88:89], v[8:9]
	s_waitcnt lgkmcnt(3)
	v_mul_f64 v[122:123], v[90:91], v[10:11]
	v_fmac_f64_e32 v[122:123], v[92:93], v[4:5]
	v_add_f64 v[120:121], v[120:121], v[122:123]
	v_fma_f64 v[2:3], v[86:87], v[2:3], -v[8:9]
	s_waitcnt lgkmcnt(2)
	v_mul_f64 v[122:123], v[94:95], v[12:13]
	v_fmac_f64_e32 v[122:123], v[96:97], v[6:7]
	v_add_f64 v[124:125], v[120:121], v[122:123]
	ds_read_b128 v[120:123], v84 offset:384
	s_waitcnt vmcnt(60) lgkmcnt(2)
	v_mul_f64 v[126:127], v[116:117], v[18:19]
	v_mul_f64 v[8:9], v[92:93], v[10:11]
	s_waitcnt vmcnt(58)
	v_fmac_f64_e32 v[126:127], v[118:119], v[20:21]
	v_add_f64 v[128:129], v[124:125], v[126:127]
	ds_read_b128 v[124:127], v84 offset:400
	s_waitcnt vmcnt(56) lgkmcnt(1)
	v_mul_f64 v[130:131], v[120:121], v[14:15]
	v_fmac_f64_e32 v[130:131], v[122:123], v[16:17]
	v_add_f64 v[132:133], v[128:129], v[130:131]
	ds_read_b128 v[128:131], v84 offset:416
	s_waitcnt vmcnt(52) lgkmcnt(1)
	v_mul_f64 v[134:135], v[124:125], v[26:27]
	s_waitcnt vmcnt(50)
	v_fmac_f64_e32 v[134:135], v[126:127], v[28:29]
	v_add_f64 v[136:137], v[132:133], v[134:135]
	ds_read_b128 v[132:135], v84 offset:432
	s_waitcnt vmcnt(48) lgkmcnt(1)
	v_mul_f64 v[138:139], v[128:129], v[22:23]
	v_fmac_f64_e32 v[138:139], v[130:131], v[24:25]
	v_add_f64 v[140:141], v[136:137], v[138:139]
	ds_read_b128 v[136:139], v84 offset:448
	s_waitcnt vmcnt(44) lgkmcnt(1)
	v_mul_f64 v[142:143], v[132:133], v[72:73]
	s_waitcnt vmcnt(42)
	v_fmac_f64_e32 v[142:143], v[134:135], v[74:75]
	v_add_f64 v[2:3], v[2:3], 0
	v_fma_f64 v[4:5], v[90:91], v[4:5], -v[8:9]
	v_add_f64 v[144:145], v[140:141], v[142:143]
	ds_read_b128 v[140:143], v84 offset:464
	s_waitcnt vmcnt(40) lgkmcnt(1)
	v_mul_f64 v[146:147], v[136:137], v[68:69]
	v_add_f64 v[2:3], v[2:3], v[4:5]
	v_mul_f64 v[4:5], v[96:97], v[12:13]
	v_fmac_f64_e32 v[146:147], v[138:139], v[70:71]
	v_fma_f64 v[4:5], v[94:95], v[6:7], -v[4:5]
	v_add_f64 v[148:149], v[144:145], v[146:147]
	ds_read_b128 v[144:147], v84 offset:480
	v_add_f64 v[2:3], v[2:3], v[4:5]
	v_mul_f64 v[4:5], v[118:119], v[18:19]
	v_fma_f64 v[4:5], v[116:117], v[20:21], -v[4:5]
	v_add_f64 v[2:3], v[2:3], v[4:5]
	v_mul_f64 v[4:5], v[122:123], v[14:15]
	s_waitcnt vmcnt(36) lgkmcnt(1)
	v_mul_f64 v[150:151], v[140:141], v[80:81]
	v_fma_f64 v[4:5], v[120:121], v[16:17], -v[4:5]
	s_waitcnt vmcnt(34)
	v_fmac_f64_e32 v[150:151], v[142:143], v[82:83]
	v_add_f64 v[2:3], v[2:3], v[4:5]
	v_mul_f64 v[4:5], v[126:127], v[26:27]
	v_add_f64 v[152:153], v[148:149], v[150:151]
	ds_read_b128 v[148:151], v84 offset:496
	s_waitcnt vmcnt(32) lgkmcnt(1)
	v_mul_f64 v[154:155], v[144:145], v[76:77]
	v_fma_f64 v[4:5], v[124:125], v[28:29], -v[4:5]
	v_fmac_f64_e32 v[154:155], v[146:147], v[78:79]
	v_add_f64 v[2:3], v[2:3], v[4:5]
	v_mul_f64 v[4:5], v[130:131], v[22:23]
	v_add_f64 v[156:157], v[152:153], v[154:155]
	ds_read_b128 v[152:155], v84 offset:512
	v_fma_f64 v[4:5], v[128:129], v[24:25], -v[4:5]
	v_add_f64 v[2:3], v[2:3], v[4:5]
	v_mul_f64 v[4:5], v[134:135], v[72:73]
	v_fma_f64 v[4:5], v[132:133], v[74:75], -v[4:5]
	s_waitcnt vmcnt(28) lgkmcnt(1)
	v_mul_f64 v[158:159], v[148:149], v[180:181]
	v_add_f64 v[2:3], v[2:3], v[4:5]
	v_mul_f64 v[4:5], v[138:139], v[68:69]
	s_waitcnt vmcnt(26)
	v_fmac_f64_e32 v[158:159], v[150:151], v[182:183]
	v_fma_f64 v[4:5], v[136:137], v[70:71], -v[4:5]
	v_add_f64 v[160:161], v[156:157], v[158:159]
	ds_read_b128 v[156:159], v84 offset:528
	s_waitcnt vmcnt(24) lgkmcnt(1)
	v_mul_f64 v[162:163], v[152:153], v[176:177]
	v_add_f64 v[2:3], v[2:3], v[4:5]
	v_mul_f64 v[4:5], v[142:143], v[80:81]
	v_fmac_f64_e32 v[162:163], v[154:155], v[178:179]
	v_fma_f64 v[4:5], v[140:141], v[82:83], -v[4:5]
	v_add_f64 v[164:165], v[160:161], v[162:163]
	ds_read_b128 v[160:163], v84 offset:544
	v_add_f64 v[2:3], v[2:3], v[4:5]
	v_mul_f64 v[4:5], v[146:147], v[76:77]
	v_fma_f64 v[4:5], v[144:145], v[78:79], -v[4:5]
	v_add_f64 v[2:3], v[2:3], v[4:5]
	v_mul_f64 v[4:5], v[150:151], v[180:181]
	s_waitcnt vmcnt(20) lgkmcnt(1)
	v_mul_f64 v[166:167], v[156:157], v[188:189]
	v_fma_f64 v[4:5], v[148:149], v[182:183], -v[4:5]
	s_waitcnt vmcnt(18)
	v_fmac_f64_e32 v[166:167], v[158:159], v[190:191]
	v_add_f64 v[2:3], v[2:3], v[4:5]
	v_mul_f64 v[4:5], v[154:155], v[176:177]
	v_add_f64 v[168:169], v[164:165], v[166:167]
	ds_read_b128 v[164:167], v84 offset:560
	s_waitcnt vmcnt(16) lgkmcnt(1)
	v_mul_f64 v[170:171], v[160:161], v[184:185]
	v_fma_f64 v[4:5], v[152:153], v[178:179], -v[4:5]
	v_fmac_f64_e32 v[170:171], v[162:163], v[186:187]
	v_add_f64 v[2:3], v[2:3], v[4:5]
	v_mul_f64 v[4:5], v[158:159], v[188:189]
	v_add_f64 v[208:209], v[168:169], v[170:171]
	ds_read_b128 v[168:171], v84 offset:576
	v_fma_f64 v[4:5], v[156:157], v[190:191], -v[4:5]
	v_add_f64 v[2:3], v[2:3], v[4:5]
	v_mul_f64 v[4:5], v[162:163], v[184:185]
	v_fma_f64 v[4:5], v[160:161], v[186:187], -v[4:5]
	v_add_f64 v[2:3], v[2:3], v[4:5]
	s_waitcnt vmcnt(12) lgkmcnt(1)
	v_mul_f64 v[4:5], v[166:167], v[196:197]
	v_mul_f64 v[210:211], v[164:165], v[196:197]
	s_waitcnt vmcnt(10)
	v_fma_f64 v[4:5], v[164:165], v[198:199], -v[4:5]
	v_fmac_f64_e32 v[210:211], v[166:167], v[198:199]
	v_add_f64 v[2:3], v[2:3], v[4:5]
	s_waitcnt vmcnt(8) lgkmcnt(0)
	v_mul_f64 v[4:5], v[170:171], v[192:193]
	v_add_f64 v[84:85], v[208:209], v[210:211]
	v_mul_f64 v[208:209], v[168:169], v[192:193]
	v_fma_f64 v[4:5], v[168:169], v[194:195], -v[4:5]
	v_fmac_f64_e32 v[208:209], v[170:171], v[194:195]
	v_add_f64 v[2:3], v[2:3], v[4:5]
	s_waitcnt vmcnt(6)
	v_mul_f64 v[4:5], v[174:175], v[200:201]
	v_add_f64 v[84:85], v[84:85], v[208:209]
	v_mul_f64 v[208:209], v[172:173], v[200:201]
	s_waitcnt vmcnt(4)
	v_fma_f64 v[4:5], v[172:173], v[202:203], -v[4:5]
	v_fmac_f64_e32 v[208:209], v[174:175], v[202:203]
	v_add_f64 v[2:3], v[2:3], v[4:5]
	v_add_f64 v[84:85], v[84:85], v[208:209]
	s_waitcnt vmcnt(2)
	v_add_f64 v[2:3], v[204:205], -v[2:3]
	s_waitcnt vmcnt(0)
	v_add_f64 v[4:5], v[206:207], -v[84:85]
	buffer_store_dword v3, off, s[0:3], 0 offset:4
	buffer_store_dword v2, off, s[0:3], 0
	buffer_store_dword v5, off, s[0:3], 0 offset:12
	buffer_store_dword v4, off, s[0:3], 0 offset:8
	s_cbranch_vccz .LBB82_165
; %bb.128:
	v_pk_mov_b32 v[2:3], s[16:17], s[16:17] op_sel:[0,1]
	flat_load_dword v2, v[2:3] offset:68
	s_load_dwordx2 s[4:5], s[4:5], 0x4
	v_bfe_u32 v4, v0, 10, 10
	v_bfe_u32 v0, v0, 20, 10
	s_waitcnt lgkmcnt(0)
	s_lshr_b32 s4, s4, 16
	s_mul_i32 s4, s4, s5
	v_mul_u32_u24_e32 v3, s4, v115
	v_mul_u32_u24_e32 v4, s5, v4
	v_add3_u32 v0, v3, v4, v0
	v_mov_b32_e32 v3, 0x268
	v_lshl_add_u32 v0, v0, 4, v3
	s_waitcnt vmcnt(0)
	v_add_u32_e32 v2, -1, v2
	v_cmp_ne_u32_e32 vcc, 17, v2
	s_and_saveexec_b64 s[4:5], vcc
	s_cbranch_execz .LBB82_130
; %bb.129:
	v_mov_b32_e32 v3, 0
	v_lshl_add_u32 v6, v2, 4, v3
	buffer_load_dword v2, v99, s[0:3], 0 offen
	buffer_load_dword v3, v99, s[0:3], 0 offen offset:4
	buffer_load_dword v4, v99, s[0:3], 0 offen offset:8
	buffer_load_dword v5, v99, s[0:3], 0 offen offset:12
	buffer_load_dword v7, v6, s[0:3], 0 offen
	buffer_load_dword v8, v6, s[0:3], 0 offen offset:4
	buffer_load_dword v9, v6, s[0:3], 0 offen offset:8
	buffer_load_dword v10, v6, s[0:3], 0 offen offset:12
	s_waitcnt vmcnt(4)
	ds_write2_b64 v0, v[2:3], v[4:5] offset1:1
	s_waitcnt vmcnt(3)
	buffer_store_dword v7, v99, s[0:3], 0 offen
	s_waitcnt vmcnt(3)
	buffer_store_dword v8, v99, s[0:3], 0 offen offset:4
	s_waitcnt vmcnt(3)
	buffer_store_dword v9, v99, s[0:3], 0 offen offset:8
	s_waitcnt vmcnt(3)
	buffer_store_dword v10, v99, s[0:3], 0 offen offset:12
	buffer_store_dword v5, v6, s[0:3], 0 offen offset:12
	buffer_store_dword v4, v6, s[0:3], 0 offen offset:8
	buffer_store_dword v3, v6, s[0:3], 0 offen offset:4
	buffer_store_dword v2, v6, s[0:3], 0 offen
.LBB82_130:
	s_or_b64 exec, exec, s[4:5]
	v_pk_mov_b32 v[2:3], s[16:17], s[16:17] op_sel:[0,1]
	flat_load_dword v2, v[2:3] offset:64
	s_waitcnt vmcnt(0) lgkmcnt(0)
	v_add_u32_e32 v2, -1, v2
	v_cmp_ne_u32_e32 vcc, 16, v2
	s_and_saveexec_b64 s[4:5], vcc
	s_cbranch_execz .LBB82_132
; %bb.131:
	v_mov_b32_e32 v3, 0
	v_lshl_add_u32 v6, v2, 4, v3
	buffer_load_dword v2, v1, s[0:3], 0 offen
	buffer_load_dword v3, v1, s[0:3], 0 offen offset:4
	buffer_load_dword v4, v1, s[0:3], 0 offen offset:8
	buffer_load_dword v5, v1, s[0:3], 0 offen offset:12
	buffer_load_dword v7, v6, s[0:3], 0 offen
	buffer_load_dword v8, v6, s[0:3], 0 offen offset:4
	buffer_load_dword v9, v6, s[0:3], 0 offen offset:8
	buffer_load_dword v10, v6, s[0:3], 0 offen offset:12
	s_waitcnt vmcnt(4)
	ds_write2_b64 v0, v[2:3], v[4:5] offset1:1
	s_waitcnt vmcnt(3)
	buffer_store_dword v7, v1, s[0:3], 0 offen
	s_waitcnt vmcnt(3)
	buffer_store_dword v8, v1, s[0:3], 0 offen offset:4
	s_waitcnt vmcnt(3)
	buffer_store_dword v9, v1, s[0:3], 0 offen offset:8
	s_waitcnt vmcnt(3)
	buffer_store_dword v10, v1, s[0:3], 0 offen offset:12
	buffer_store_dword v5, v6, s[0:3], 0 offen offset:12
	buffer_store_dword v4, v6, s[0:3], 0 offen offset:8
	buffer_store_dword v3, v6, s[0:3], 0 offen offset:4
	buffer_store_dword v2, v6, s[0:3], 0 offen
.LBB82_132:
	s_or_b64 exec, exec, s[4:5]
	v_pk_mov_b32 v[2:3], s[16:17], s[16:17] op_sel:[0,1]
	flat_load_dword v2, v[2:3] offset:60
	s_waitcnt vmcnt(0) lgkmcnt(0)
	;; [unrolled: 34-line block ×16, first 2 shown]
	v_add_u32_e32 v2, -1, v2
	v_cmp_ne_u32_e32 vcc, 1, v2
	s_and_saveexec_b64 s[4:5], vcc
	s_cbranch_execz .LBB82_162
; %bb.161:
	v_mov_b32_e32 v3, 0
	v_lshl_add_u32 v6, v2, 4, v3
	buffer_load_dword v2, v112, s[0:3], 0 offen
	buffer_load_dword v3, v112, s[0:3], 0 offen offset:4
	buffer_load_dword v4, v112, s[0:3], 0 offen offset:8
	;; [unrolled: 1-line block ×3, first 2 shown]
	buffer_load_dword v7, v6, s[0:3], 0 offen
	buffer_load_dword v8, v6, s[0:3], 0 offen offset:4
	buffer_load_dword v9, v6, s[0:3], 0 offen offset:8
	;; [unrolled: 1-line block ×3, first 2 shown]
	s_waitcnt vmcnt(4)
	ds_write2_b64 v0, v[2:3], v[4:5] offset1:1
	s_waitcnt vmcnt(3)
	buffer_store_dword v7, v112, s[0:3], 0 offen
	s_waitcnt vmcnt(3)
	buffer_store_dword v8, v112, s[0:3], 0 offen offset:4
	s_waitcnt vmcnt(3)
	buffer_store_dword v9, v112, s[0:3], 0 offen offset:8
	;; [unrolled: 2-line block ×3, first 2 shown]
	buffer_store_dword v5, v6, s[0:3], 0 offen offset:12
	buffer_store_dword v4, v6, s[0:3], 0 offen offset:8
	;; [unrolled: 1-line block ×3, first 2 shown]
	buffer_store_dword v2, v6, s[0:3], 0 offen
.LBB82_162:
	s_or_b64 exec, exec, s[4:5]
	v_pk_mov_b32 v[2:3], s[16:17], s[16:17] op_sel:[0,1]
	flat_load_dword v2, v[2:3]
	s_waitcnt vmcnt(0) lgkmcnt(0)
	v_add_u32_e32 v2, -1, v2
	v_cmp_ne_u32_e32 vcc, 0, v2
	s_and_saveexec_b64 s[4:5], vcc
	s_cbranch_execz .LBB82_164
; %bb.163:
	v_mov_b32_e32 v3, 0
	v_lshl_add_u32 v6, v2, 4, v3
	buffer_load_dword v2, off, s[0:3], 0
	buffer_load_dword v3, off, s[0:3], 0 offset:4
	buffer_load_dword v4, off, s[0:3], 0 offset:8
	;; [unrolled: 1-line block ×3, first 2 shown]
	buffer_load_dword v7, v6, s[0:3], 0 offen
	buffer_load_dword v8, v6, s[0:3], 0 offen offset:4
	buffer_load_dword v9, v6, s[0:3], 0 offen offset:8
	;; [unrolled: 1-line block ×3, first 2 shown]
	s_waitcnt vmcnt(4)
	ds_write2_b64 v0, v[2:3], v[4:5] offset1:1
	s_waitcnt vmcnt(3)
	buffer_store_dword v7, off, s[0:3], 0
	s_waitcnt vmcnt(3)
	buffer_store_dword v8, off, s[0:3], 0 offset:4
	s_waitcnt vmcnt(3)
	buffer_store_dword v9, off, s[0:3], 0 offset:8
	;; [unrolled: 2-line block ×3, first 2 shown]
	buffer_store_dword v5, v6, s[0:3], 0 offen offset:12
	buffer_store_dword v4, v6, s[0:3], 0 offen offset:8
	;; [unrolled: 1-line block ×3, first 2 shown]
	buffer_store_dword v2, v6, s[0:3], 0 offen
.LBB82_164:
	s_or_b64 exec, exec, s[4:5]
.LBB82_165:
	buffer_load_dword v2, off, s[0:3], 0
	buffer_load_dword v3, off, s[0:3], 0 offset:4
	buffer_load_dword v4, off, s[0:3], 0 offset:8
	;; [unrolled: 1-line block ×3, first 2 shown]
	buffer_load_dword v6, v112, s[0:3], 0 offen
	buffer_load_dword v7, v112, s[0:3], 0 offen offset:4
	buffer_load_dword v8, v112, s[0:3], 0 offen offset:8
	;; [unrolled: 1-line block ×6, first 2 shown]
	buffer_load_dword v14, v113, s[0:3], 0 offen
	buffer_load_dword v15, v113, s[0:3], 0 offen offset:4
	buffer_load_dword v16, v113, s[0:3], 0 offen offset:8
	buffer_load_dword v10, v114, s[0:3], 0 offen
	buffer_load_dword v17, v113, s[0:3], 0 offen offset:12
	buffer_load_dword v19, v108, s[0:3], 0 offen offset:4
	;; [unrolled: 1-line block ×4, first 2 shown]
                                        ; kill: killed $vgpr114
                                        ; kill: killed $vgpr112
                                        ; kill: killed $vgpr113
	buffer_load_dword v22, v110, s[0:3], 0 offen
	buffer_load_dword v23, v110, s[0:3], 0 offen offset:4
	buffer_load_dword v24, v110, s[0:3], 0 offen offset:8
	buffer_load_dword v18, v108, s[0:3], 0 offen
	buffer_load_dword v25, v110, s[0:3], 0 offen offset:12
	buffer_load_dword v27, v109, s[0:3], 0 offen offset:4
	;; [unrolled: 1-line block ×4, first 2 shown]
	buffer_load_dword v68, v111, s[0:3], 0 offen
	buffer_load_dword v69, v111, s[0:3], 0 offen offset:4
	buffer_load_dword v70, v111, s[0:3], 0 offen offset:8
	buffer_load_dword v26, v109, s[0:3], 0 offen
	buffer_load_dword v71, v111, s[0:3], 0 offen offset:12
	buffer_load_dword v73, v104, s[0:3], 0 offen offset:4
	;; [unrolled: 1-line block ×3, first 2 shown]
                                        ; kill: killed $vgpr110
                                        ; kill: killed $vgpr111
                                        ; kill: killed $vgpr108
                                        ; kill: killed $vgpr109
	buffer_load_dword v75, v104, s[0:3], 0 offen offset:12
	buffer_load_dword v76, v106, s[0:3], 0 offen
	buffer_load_dword v77, v106, s[0:3], 0 offen offset:4
	buffer_load_dword v78, v106, s[0:3], 0 offen offset:8
	buffer_load_dword v72, v104, s[0:3], 0 offen
	buffer_load_dword v79, v106, s[0:3], 0 offen offset:12
	buffer_load_dword v81, v105, s[0:3], 0 offen offset:4
	;; [unrolled: 1-line block ×4, first 2 shown]
	buffer_load_dword v84, v107, s[0:3], 0 offen
	buffer_load_dword v85, v107, s[0:3], 0 offen offset:4
	buffer_load_dword v86, v107, s[0:3], 0 offen offset:8
	buffer_load_dword v80, v105, s[0:3], 0 offen
	buffer_load_dword v87, v107, s[0:3], 0 offen offset:12
	buffer_load_dword v89, v102, s[0:3], 0 offen offset:4
                                        ; kill: killed $vgpr106
                                        ; kill: killed $vgpr107
                                        ; kill: killed $vgpr104
                                        ; kill: killed $vgpr105
	buffer_load_dword v90, v102, s[0:3], 0 offen offset:8
	buffer_load_dword v91, v102, s[0:3], 0 offen offset:12
	buffer_load_dword v92, v100, s[0:3], 0 offen
	buffer_load_dword v93, v100, s[0:3], 0 offen offset:4
	buffer_load_dword v94, v100, s[0:3], 0 offen offset:8
	buffer_load_dword v88, v102, s[0:3], 0 offen
	buffer_load_dword v95, v100, s[0:3], 0 offen offset:12
	buffer_load_dword v105, v103, s[0:3], 0 offen offset:4
	;; [unrolled: 1-line block ×4, first 2 shown]
	buffer_load_dword v108, v101, s[0:3], 0 offen
	buffer_load_dword v109, v101, s[0:3], 0 offen offset:4
	buffer_load_dword v110, v101, s[0:3], 0 offen offset:8
	buffer_load_dword v104, v103, s[0:3], 0 offen
	buffer_load_dword v111, v101, s[0:3], 0 offen offset:12
                                        ; kill: killed $vgpr102
                                        ; kill: killed $vgpr103
                                        ; kill: killed $vgpr100
                                        ; kill: killed $vgpr101
	s_nop 0
	buffer_load_dword v101, v1, s[0:3], 0 offen offset:4
	buffer_load_dword v102, v1, s[0:3], 0 offen offset:8
	;; [unrolled: 1-line block ×3, first 2 shown]
	buffer_load_dword v112, v99, s[0:3], 0 offen
	buffer_load_dword v113, v99, s[0:3], 0 offen offset:4
	buffer_load_dword v114, v99, s[0:3], 0 offen offset:8
	buffer_load_dword v100, v1, s[0:3], 0 offen
	buffer_load_dword v115, v99, s[0:3], 0 offen offset:12
	buffer_load_dword v116, v98, s[0:3], 0 offen
	buffer_load_dword v117, v98, s[0:3], 0 offen offset:4
	buffer_load_dword v118, v98, s[0:3], 0 offen offset:8
	;; [unrolled: 1-line block ×3, first 2 shown]
	s_waitcnt vmcnt(62)
	global_store_dwordx4 v[30:31], v[2:5], off
	global_store_dwordx4 v[32:33], v[6:9], off
	s_waitcnt vmcnt(62)
	global_store_dwordx4 v[34:35], v[10:13], off
	global_store_dwordx4 v[36:37], v[14:17], off
	s_waitcnt vmcnt(57)
	global_store_dwordx4 v[38:39], v[18:21], off
	s_waitcnt vmcnt(57)
	;; [unrolled: 2-line block ×15, first 2 shown]
	global_store_dwordx4 v[66:67], v[116:119], off
	s_endpgm
	.section	.rodata,"a",@progbits
	.p2align	6, 0x0
	.amdhsa_kernel _ZN9rocsolver6v33100L18getri_kernel_smallILi19E19rocblas_complex_numIdEPKPS3_EEvT1_iilPiilS8_bb
		.amdhsa_group_segment_fixed_size 1640
		.amdhsa_private_segment_fixed_size 320
		.amdhsa_kernarg_size 60
		.amdhsa_user_sgpr_count 10
		.amdhsa_user_sgpr_private_segment_buffer 1
		.amdhsa_user_sgpr_dispatch_ptr 1
		.amdhsa_user_sgpr_queue_ptr 0
		.amdhsa_user_sgpr_kernarg_segment_ptr 1
		.amdhsa_user_sgpr_dispatch_id 0
		.amdhsa_user_sgpr_flat_scratch_init 1
		.amdhsa_user_sgpr_kernarg_preload_length 0
		.amdhsa_user_sgpr_kernarg_preload_offset 0
		.amdhsa_user_sgpr_private_segment_size 0
		.amdhsa_uses_dynamic_stack 0
		.amdhsa_system_sgpr_private_segment_wavefront_offset 1
		.amdhsa_system_sgpr_workgroup_id_x 1
		.amdhsa_system_sgpr_workgroup_id_y 0
		.amdhsa_system_sgpr_workgroup_id_z 0
		.amdhsa_system_sgpr_workgroup_info 0
		.amdhsa_system_vgpr_workitem_id 2
		.amdhsa_next_free_vgpr 212
		.amdhsa_next_free_sgpr 24
		.amdhsa_accum_offset 212
		.amdhsa_reserve_vcc 1
		.amdhsa_reserve_flat_scratch 1
		.amdhsa_float_round_mode_32 0
		.amdhsa_float_round_mode_16_64 0
		.amdhsa_float_denorm_mode_32 3
		.amdhsa_float_denorm_mode_16_64 3
		.amdhsa_dx10_clamp 1
		.amdhsa_ieee_mode 1
		.amdhsa_fp16_overflow 0
		.amdhsa_tg_split 0
		.amdhsa_exception_fp_ieee_invalid_op 0
		.amdhsa_exception_fp_denorm_src 0
		.amdhsa_exception_fp_ieee_div_zero 0
		.amdhsa_exception_fp_ieee_overflow 0
		.amdhsa_exception_fp_ieee_underflow 0
		.amdhsa_exception_fp_ieee_inexact 0
		.amdhsa_exception_int_div_zero 0
	.end_amdhsa_kernel
	.section	.text._ZN9rocsolver6v33100L18getri_kernel_smallILi19E19rocblas_complex_numIdEPKPS3_EEvT1_iilPiilS8_bb,"axG",@progbits,_ZN9rocsolver6v33100L18getri_kernel_smallILi19E19rocblas_complex_numIdEPKPS3_EEvT1_iilPiilS8_bb,comdat
.Lfunc_end82:
	.size	_ZN9rocsolver6v33100L18getri_kernel_smallILi19E19rocblas_complex_numIdEPKPS3_EEvT1_iilPiilS8_bb, .Lfunc_end82-_ZN9rocsolver6v33100L18getri_kernel_smallILi19E19rocblas_complex_numIdEPKPS3_EEvT1_iilPiilS8_bb
                                        ; -- End function
	.section	.AMDGPU.csdata,"",@progbits
; Kernel info:
; codeLenInByte = 31640
; NumSgprs: 30
; NumVgprs: 212
; NumAgprs: 0
; TotalNumVgprs: 212
; ScratchSize: 320
; MemoryBound: 0
; FloatMode: 240
; IeeeMode: 1
; LDSByteSize: 1640 bytes/workgroup (compile time only)
; SGPRBlocks: 3
; VGPRBlocks: 26
; NumSGPRsForWavesPerEU: 30
; NumVGPRsForWavesPerEU: 212
; AccumOffset: 212
; Occupancy: 2
; WaveLimiterHint : 1
; COMPUTE_PGM_RSRC2:SCRATCH_EN: 1
; COMPUTE_PGM_RSRC2:USER_SGPR: 10
; COMPUTE_PGM_RSRC2:TRAP_HANDLER: 0
; COMPUTE_PGM_RSRC2:TGID_X_EN: 1
; COMPUTE_PGM_RSRC2:TGID_Y_EN: 0
; COMPUTE_PGM_RSRC2:TGID_Z_EN: 0
; COMPUTE_PGM_RSRC2:TIDIG_COMP_CNT: 2
; COMPUTE_PGM_RSRC3_GFX90A:ACCUM_OFFSET: 52
; COMPUTE_PGM_RSRC3_GFX90A:TG_SPLIT: 0
	.section	.text._ZN9rocsolver6v33100L18getri_kernel_smallILi20E19rocblas_complex_numIdEPKPS3_EEvT1_iilPiilS8_bb,"axG",@progbits,_ZN9rocsolver6v33100L18getri_kernel_smallILi20E19rocblas_complex_numIdEPKPS3_EEvT1_iilPiilS8_bb,comdat
	.globl	_ZN9rocsolver6v33100L18getri_kernel_smallILi20E19rocblas_complex_numIdEPKPS3_EEvT1_iilPiilS8_bb ; -- Begin function _ZN9rocsolver6v33100L18getri_kernel_smallILi20E19rocblas_complex_numIdEPKPS3_EEvT1_iilPiilS8_bb
	.p2align	8
	.type	_ZN9rocsolver6v33100L18getri_kernel_smallILi20E19rocblas_complex_numIdEPKPS3_EEvT1_iilPiilS8_bb,@function
_ZN9rocsolver6v33100L18getri_kernel_smallILi20E19rocblas_complex_numIdEPKPS3_EEvT1_iilPiilS8_bb: ; @_ZN9rocsolver6v33100L18getri_kernel_smallILi20E19rocblas_complex_numIdEPKPS3_EEvT1_iilPiilS8_bb
; %bb.0:
	s_add_u32 flat_scratch_lo, s8, s11
	s_addc_u32 flat_scratch_hi, s9, 0
	s_add_u32 s0, s0, s11
	v_and_b32_e32 v118, 0x3ff, v0
	s_addc_u32 s1, s1, 0
	v_cmp_gt_u32_e32 vcc, 20, v118
	s_and_saveexec_b64 s[8:9], vcc
	s_cbranch_execz .LBB83_94
; %bb.1:
	s_load_dword s22, s[6:7], 0x38
	s_load_dwordx2 s[8:9], s[6:7], 0x0
	s_load_dwordx4 s[12:15], s[6:7], 0x28
	s_waitcnt lgkmcnt(0)
	s_bitcmp1_b32 s22, 8
	s_cselect_b64 s[18:19], -1, 0
	s_ashr_i32 s11, s10, 31
	s_lshl_b64 s[16:17], s[10:11], 3
	s_add_u32 s8, s8, s16
	s_addc_u32 s9, s9, s17
	s_load_dwordx2 s[20:21], s[8:9], 0x0
	s_bfe_u32 s8, s22, 0x10008
	s_cmp_eq_u32 s8, 0
                                        ; implicit-def: $sgpr16_sgpr17
	s_cbranch_scc1 .LBB83_3
; %bb.2:
	s_load_dword s8, s[6:7], 0x20
	s_load_dwordx2 s[16:17], s[6:7], 0x18
	s_mul_i32 s9, s10, s13
	s_mul_hi_u32 s13, s10, s12
	s_add_i32 s13, s13, s9
	s_mul_i32 s23, s11, s12
	s_add_i32 s13, s13, s23
	s_mul_i32 s12, s10, s12
	s_waitcnt lgkmcnt(0)
	s_ashr_i32 s9, s8, 31
	s_lshl_b64 s[12:13], s[12:13], 2
	s_add_u32 s12, s16, s12
	s_addc_u32 s13, s17, s13
	s_lshl_b64 s[8:9], s[8:9], 2
	s_add_u32 s16, s12, s8
	s_addc_u32 s17, s13, s9
.LBB83_3:
	s_load_dwordx2 s[8:9], s[6:7], 0x8
	v_lshlrev_b32_e32 v12, 4, v118
	s_waitcnt lgkmcnt(0)
	s_ashr_i32 s7, s8, 31
	s_mov_b32 s6, s8
	s_lshl_b64 s[6:7], s[6:7], 4
	s_add_u32 s6, s20, s6
	s_addc_u32 s7, s21, s7
	global_load_dwordx4 v[2:5], v12, s[6:7]
	s_mov_b32 s12, s9
	s_ashr_i32 s13, s9, 31
	s_add_i32 s8, s9, s9
	v_mov_b32_e32 v1, s7
	v_add_co_u32_e32 v30, vcc, s6, v12
	s_lshl_b64 s[12:13], s[12:13], 4
	v_add_u32_e32 v6, s8, v118
	v_addc_co_u32_e32 v31, vcc, 0, v1, vcc
	v_mov_b32_e32 v1, s13
	v_ashrrev_i32_e32 v7, 31, v6
	v_add_co_u32_e32 v32, vcc, s12, v30
	v_add_u32_e32 v8, s9, v6
	v_addc_co_u32_e32 v33, vcc, v31, v1, vcc
	v_lshlrev_b64 v[6:7], 4, v[6:7]
	v_mov_b32_e32 v11, s7
	v_ashrrev_i32_e32 v9, 31, v8
	v_add_co_u32_e32 v34, vcc, s6, v6
	v_add_u32_e32 v10, s9, v8
	v_addc_co_u32_e32 v35, vcc, v11, v7, vcc
	v_lshlrev_b64 v[18:19], 4, v[8:9]
	;; [unrolled: 6-line block ×3, first 2 shown]
	v_mov_b32_e32 v22, s7
	v_ashrrev_i32_e32 v21, 31, v20
	v_add_u32_e32 v26, s9, v20
	v_add_co_u32_e32 v38, vcc, s6, v10
	v_addc_co_u32_e32 v39, vcc, v22, v11, vcc
	v_lshlrev_b64 v[10:11], 4, v[20:21]
	v_add_u32_e32 v46, s9, v26
	v_add_co_u32_e32 v40, vcc, s6, v10
	v_add_u32_e32 v10, s9, v46
	v_add_u32_e32 v50, s9, v10
	v_add_u32_e32 v52, s9, v50
	v_add_u32_e32 v54, s9, v52
	v_add_u32_e32 v56, s9, v54
	v_add_u32_e32 v58, s9, v56
	v_add_u32_e32 v60, s9, v58
	v_add_u32_e32 v62, s9, v60
	v_add_u32_e32 v64, s9, v62
	v_mov_b32_e32 v23, s7
	v_ashrrev_i32_e32 v27, 31, v26
	v_add_u32_e32 v66, s9, v64
	v_addc_co_u32_e32 v41, vcc, v23, v11, vcc
	v_lshlrev_b64 v[26:27], 4, v[26:27]
	v_add_u32_e32 v68, s9, v66
	v_mov_b32_e32 v29, s7
	v_add_co_u32_e32 v44, vcc, s6, v26
	v_add_u32_e32 v26, s9, v68
	v_addc_co_u32_e32 v45, vcc, v29, v27, vcc
	v_ashrrev_i32_e32 v27, 31, v26
	v_lshlrev_b64 v[26:27], 4, v[26:27]
	v_mov_b32_e32 v28, s7
	v_add_co_u32_e32 v42, vcc, s6, v26
	v_addc_co_u32_e32 v43, vcc, v28, v27, vcc
	v_ashrrev_i32_e32 v47, 31, v46
	global_load_dwordx4 v[6:9], v[32:33], off
	global_load_dwordx4 v[14:17], v[34:35], off
	;; [unrolled: 1-line block ×5, first 2 shown]
	s_waitcnt vmcnt(5)
	buffer_store_dword v5, off, s[0:3], 0 offset:12
	buffer_store_dword v4, off, s[0:3], 0 offset:8
	buffer_store_dword v3, off, s[0:3], 0 offset:4
	v_lshlrev_b64 v[4:5], 4, v[46:47]
	v_mov_b32_e32 v1, s7
	v_add_co_u32_e32 v46, vcc, s6, v4
	v_ashrrev_i32_e32 v11, 31, v10
	v_addc_co_u32_e32 v47, vcc, v1, v5, vcc
	v_lshlrev_b64 v[4:5], 4, v[10:11]
	v_add_co_u32_e32 v48, vcc, s6, v4
	v_ashrrev_i32_e32 v51, 31, v50
	v_addc_co_u32_e32 v49, vcc, v1, v5, vcc
	v_lshlrev_b64 v[4:5], 4, v[50:51]
	;; [unrolled: 4-line block ×11, first 2 shown]
	global_load_dwordx4 v[70:73], v[40:41], off
	global_load_dwordx4 v[74:77], v[44:45], off
	;; [unrolled: 1-line block ×10, first 2 shown]
	v_add_co_u32_e32 v68, vcc, s6, v4
	v_addc_co_u32_e32 v69, vcc, v1, v5, vcc
	global_load_dwordx4 v[110:113], v[62:63], off
	global_load_dwordx4 v[120:123], v[64:65], off
	;; [unrolled: 1-line block ×4, first 2 shown]
	s_bitcmp0_b32 s22, 0
	s_mov_b64 s[8:9], -1
	buffer_store_dword v2, off, s[0:3], 0
	s_waitcnt vmcnt(22)
	buffer_store_dword v9, off, s[0:3], 0 offset:28
	buffer_store_dword v8, off, s[0:3], 0 offset:24
	buffer_store_dword v7, off, s[0:3], 0 offset:20
	buffer_store_dword v6, off, s[0:3], 0 offset:16
	s_waitcnt vmcnt(25)
	buffer_store_dword v17, off, s[0:3], 0 offset:44
	buffer_store_dword v16, off, s[0:3], 0 offset:40
	buffer_store_dword v15, off, s[0:3], 0 offset:36
	buffer_store_dword v14, off, s[0:3], 0 offset:32
	;; [unrolled: 5-line block ×15, first 2 shown]
	v_mov_b32_e32 v2, 0
	v_add_u32_e32 v115, 16, v2
	v_add_u32_e32 v117, 32, v2
	;; [unrolled: 1-line block ×19, first 2 shown]
	s_waitcnt vmcnt(62)
	buffer_store_dword v123, off, s[0:3], 0 offset:268
	buffer_store_dword v122, off, s[0:3], 0 offset:264
	buffer_store_dword v121, off, s[0:3], 0 offset:260
	buffer_store_dword v120, off, s[0:3], 0 offset:256
	buffer_store_dword v127, off, s[0:3], 0 offset:284
	buffer_store_dword v126, off, s[0:3], 0 offset:280
	buffer_store_dword v125, off, s[0:3], 0 offset:276
	buffer_store_dword v124, off, s[0:3], 0 offset:272
	s_waitcnt vmcnt(62)
	buffer_store_dword v131, off, s[0:3], 0 offset:300
	buffer_store_dword v130, off, s[0:3], 0 offset:296
	;; [unrolled: 1-line block ×8, first 2 shown]
	s_cbranch_scc1 .LBB83_92
; %bb.4:
	v_cmp_eq_u32_e64 s[6:7], 0, v118
	s_and_saveexec_b64 s[8:9], s[6:7]
	s_cbranch_execz .LBB83_6
; %bb.5:
	v_mov_b32_e32 v2, 0
	ds_write_b32 v2, v2 offset:640
.LBB83_6:
	s_or_b64 exec, exec, s[8:9]
	v_mov_b32_e32 v2, 0
	v_lshl_add_u32 v13, v118, 4, v2
	s_waitcnt lgkmcnt(0)
	; wave barrier
	s_waitcnt lgkmcnt(0)
	buffer_load_dword v2, v13, s[0:3], 0 offen
	buffer_load_dword v3, v13, s[0:3], 0 offen offset:4
	buffer_load_dword v4, v13, s[0:3], 0 offen offset:8
	;; [unrolled: 1-line block ×3, first 2 shown]
	s_waitcnt vmcnt(2)
	v_cmp_eq_f64_e32 vcc, 0, v[2:3]
	s_waitcnt vmcnt(0)
	v_cmp_eq_f64_e64 s[8:9], 0, v[4:5]
	s_and_b64 s[8:9], vcc, s[8:9]
	s_and_saveexec_b64 s[12:13], s[8:9]
	s_cbranch_execz .LBB83_10
; %bb.7:
	v_mov_b32_e32 v2, 0
	ds_read_b32 v4, v2 offset:640
	v_add_u32_e32 v3, 1, v118
	s_waitcnt lgkmcnt(0)
	v_readfirstlane_b32 s8, v4
	s_cmp_eq_u32 s8, 0
	s_cselect_b64 s[20:21], -1, 0
	v_cmp_gt_i32_e32 vcc, s8, v3
	s_or_b64 s[20:21], s[20:21], vcc
	s_and_b64 exec, exec, s[20:21]
	s_cbranch_execz .LBB83_10
; %bb.8:
	s_mov_b64 s[20:21], 0
	v_mov_b32_e32 v4, s8
.LBB83_9:                               ; =>This Inner Loop Header: Depth=1
	ds_cmpst_rtn_b32 v4, v2, v4, v3 offset:640
	s_waitcnt lgkmcnt(0)
	v_cmp_ne_u32_e32 vcc, 0, v4
	v_cmp_le_i32_e64 s[8:9], v4, v3
	s_and_b64 s[8:9], vcc, s[8:9]
	s_and_b64 s[8:9], exec, s[8:9]
	s_or_b64 s[20:21], s[8:9], s[20:21]
	s_andn2_b64 exec, exec, s[20:21]
	s_cbranch_execnz .LBB83_9
.LBB83_10:
	s_or_b64 exec, exec, s[12:13]
	v_mov_b32_e32 v3, 0
	s_waitcnt lgkmcnt(0)
	; wave barrier
	ds_read_b32 v2, v3 offset:640
	s_and_saveexec_b64 s[8:9], s[6:7]
	s_cbranch_execz .LBB83_12
; %bb.11:
	s_lshl_b64 s[12:13], s[10:11], 2
	s_add_u32 s12, s14, s12
	s_addc_u32 s13, s15, s13
	s_waitcnt lgkmcnt(0)
	global_store_dword v3, v2, s[12:13]
.LBB83_12:
	s_or_b64 exec, exec, s[8:9]
	s_waitcnt lgkmcnt(0)
	v_cmp_ne_u32_e32 vcc, 0, v2
	s_mov_b64 s[8:9], 0
	s_cbranch_vccnz .LBB83_92
; %bb.13:
	buffer_load_dword v7, v13, s[0:3], 0 offen offset:4
	buffer_load_dword v6, v13, s[0:3], 0 offen
	buffer_load_dword v9, v13, s[0:3], 0 offen offset:12
	buffer_load_dword v8, v13, s[0:3], 0 offen offset:8
                                        ; implicit-def: $vgpr10_vgpr11
	s_waitcnt vmcnt(3)
	v_xor_b32_e32 v3, 0x80000000, v7
	s_waitcnt vmcnt(2)
	v_cmp_gt_f64_e32 vcc, 0, v[6:7]
	s_waitcnt vmcnt(1)
	v_xor_b32_e32 v4, 0x80000000, v9
	v_cndmask_b32_e32 v3, v7, v3, vcc
	s_waitcnt vmcnt(0)
	v_cmp_gt_f64_e32 vcc, 0, v[8:9]
	v_mov_b32_e32 v2, v6
	v_cndmask_b32_e32 v5, v9, v4, vcc
	v_mov_b32_e32 v4, v8
	v_cmp_ngt_f64_e32 vcc, v[2:3], v[4:5]
                                        ; implicit-def: $vgpr4_vgpr5
	s_and_saveexec_b64 s[8:9], vcc
	s_xor_b64 s[8:9], exec, s[8:9]
	s_cbranch_execz .LBB83_15
; %bb.14:
	v_div_scale_f64 v[2:3], s[12:13], v[8:9], v[8:9], v[6:7]
	v_rcp_f64_e32 v[4:5], v[2:3]
	v_div_scale_f64 v[10:11], vcc, v[6:7], v[8:9], v[6:7]
	v_fma_f64 v[14:15], -v[2:3], v[4:5], 1.0
	v_fmac_f64_e32 v[4:5], v[4:5], v[14:15]
	v_fma_f64 v[14:15], -v[2:3], v[4:5], 1.0
	v_fmac_f64_e32 v[4:5], v[4:5], v[14:15]
	v_mul_f64 v[14:15], v[10:11], v[4:5]
	v_fma_f64 v[2:3], -v[2:3], v[14:15], v[10:11]
	v_div_fmas_f64 v[2:3], v[2:3], v[4:5], v[14:15]
	v_div_fixup_f64 v[2:3], v[2:3], v[8:9], v[6:7]
	v_fmac_f64_e32 v[8:9], v[6:7], v[2:3]
	v_div_scale_f64 v[4:5], s[12:13], v[8:9], v[8:9], 1.0
	v_rcp_f64_e32 v[6:7], v[4:5]
	v_fma_f64 v[10:11], -v[4:5], v[6:7], 1.0
	v_fmac_f64_e32 v[6:7], v[6:7], v[10:11]
	v_fma_f64 v[10:11], -v[4:5], v[6:7], 1.0
	v_fmac_f64_e32 v[6:7], v[6:7], v[10:11]
	v_div_scale_f64 v[10:11], vcc, 1.0, v[8:9], 1.0
	v_mul_f64 v[14:15], v[10:11], v[6:7]
	v_fma_f64 v[4:5], -v[4:5], v[14:15], v[10:11]
	s_nop 1
	v_div_fmas_f64 v[4:5], v[4:5], v[6:7], v[14:15]
	v_div_fixup_f64 v[4:5], v[4:5], v[8:9], 1.0
	v_mul_f64 v[10:11], v[2:3], v[4:5]
	v_xor_b32_e32 v5, 0x80000000, v5
	v_xor_b32_e32 v3, 0x80000000, v11
	v_mov_b32_e32 v2, v10
                                        ; implicit-def: $vgpr6_vgpr7
                                        ; implicit-def: $vgpr8_vgpr9
.LBB83_15:
	s_andn2_saveexec_b64 s[8:9], s[8:9]
	s_cbranch_execz .LBB83_17
; %bb.16:
	v_div_scale_f64 v[2:3], s[12:13], v[6:7], v[6:7], v[8:9]
	v_rcp_f64_e32 v[4:5], v[2:3]
	v_div_scale_f64 v[10:11], vcc, v[8:9], v[6:7], v[8:9]
	v_fma_f64 v[14:15], -v[2:3], v[4:5], 1.0
	v_fmac_f64_e32 v[4:5], v[4:5], v[14:15]
	v_fma_f64 v[14:15], -v[2:3], v[4:5], 1.0
	v_fmac_f64_e32 v[4:5], v[4:5], v[14:15]
	v_mul_f64 v[14:15], v[10:11], v[4:5]
	v_fma_f64 v[2:3], -v[2:3], v[14:15], v[10:11]
	v_div_fmas_f64 v[2:3], v[2:3], v[4:5], v[14:15]
	v_div_fixup_f64 v[4:5], v[2:3], v[6:7], v[8:9]
	v_fmac_f64_e32 v[6:7], v[8:9], v[4:5]
	v_div_scale_f64 v[2:3], s[12:13], v[6:7], v[6:7], 1.0
	v_rcp_f64_e32 v[8:9], v[2:3]
	v_fma_f64 v[10:11], -v[2:3], v[8:9], 1.0
	v_fmac_f64_e32 v[8:9], v[8:9], v[10:11]
	v_fma_f64 v[10:11], -v[2:3], v[8:9], 1.0
	v_fmac_f64_e32 v[8:9], v[8:9], v[10:11]
	v_div_scale_f64 v[10:11], vcc, 1.0, v[6:7], 1.0
	v_mul_f64 v[14:15], v[10:11], v[8:9]
	v_fma_f64 v[2:3], -v[2:3], v[14:15], v[10:11]
	s_nop 1
	v_div_fmas_f64 v[2:3], v[2:3], v[8:9], v[14:15]
	v_div_fixup_f64 v[10:11], v[2:3], v[6:7], 1.0
	v_xor_b32_e32 v3, 0x80000000, v11
	v_mov_b32_e32 v2, v10
	v_mul_f64 v[4:5], v[4:5], -v[10:11]
.LBB83_17:
	s_or_b64 exec, exec, s[8:9]
	buffer_store_dword v11, v13, s[0:3], 0 offen offset:4
	buffer_store_dword v10, v13, s[0:3], 0 offen
	buffer_store_dword v5, v13, s[0:3], 0 offen offset:12
	buffer_store_dword v4, v13, s[0:3], 0 offen offset:8
	buffer_load_dword v11, v115, s[0:3], 0 offen offset:12
	s_nop 0
	buffer_load_dword v10, v115, s[0:3], 0 offen offset:8
	buffer_load_dword v9, v115, s[0:3], 0 offen offset:4
	buffer_load_dword v8, v115, s[0:3], 0 offen
	v_xor_b32_e32 v5, 0x80000000, v5
	v_add_u32_e32 v6, 0x140, v12
	ds_write_b128 v12, v[2:5]
	s_waitcnt vmcnt(0)
	ds_write_b128 v12, v[8:11] offset:320
	s_waitcnt lgkmcnt(0)
	; wave barrier
	s_waitcnt lgkmcnt(0)
	s_and_saveexec_b64 s[8:9], s[6:7]
	s_cbranch_execz .LBB83_19
; %bb.18:
	buffer_load_dword v14, v13, s[0:3], 0 offen offset:8
	buffer_load_dword v15, v13, s[0:3], 0 offen offset:12
	buffer_load_dword v16, v13, s[0:3], 0 offen
	buffer_load_dword v17, v13, s[0:3], 0 offen offset:4
	ds_read_b128 v[2:5], v6
	v_mov_b32_e32 v7, 0
	ds_read_b128 v[8:11], v7 offset:16
	s_waitcnt vmcnt(2) lgkmcnt(1)
	v_mul_f64 v[18:19], v[4:5], v[14:15]
	v_mul_f64 v[14:15], v[2:3], v[14:15]
	s_waitcnt vmcnt(0)
	v_fmac_f64_e32 v[14:15], v[4:5], v[16:17]
	v_fma_f64 v[2:3], v[2:3], v[16:17], -v[18:19]
	v_add_f64 v[4:5], v[14:15], 0
	v_add_f64 v[2:3], v[2:3], 0
	s_waitcnt lgkmcnt(0)
	v_mul_f64 v[14:15], v[4:5], v[10:11]
	v_mul_f64 v[10:11], v[2:3], v[10:11]
	v_fma_f64 v[2:3], v[2:3], v[8:9], -v[14:15]
	v_fmac_f64_e32 v[10:11], v[4:5], v[8:9]
	buffer_store_dword v2, off, s[0:3], 0 offset:16
	buffer_store_dword v3, off, s[0:3], 0 offset:20
	buffer_store_dword v10, off, s[0:3], 0 offset:24
	buffer_store_dword v11, off, s[0:3], 0 offset:28
.LBB83_19:
	s_or_b64 exec, exec, s[8:9]
	s_waitcnt lgkmcnt(0)
	; wave barrier
	buffer_load_dword v2, v117, s[0:3], 0 offen
	buffer_load_dword v3, v117, s[0:3], 0 offen offset:4
	buffer_load_dword v4, v117, s[0:3], 0 offen offset:8
	;; [unrolled: 1-line block ×3, first 2 shown]
	v_cmp_gt_u32_e32 vcc, 2, v118
	s_waitcnt vmcnt(0)
	ds_write_b128 v6, v[2:5]
	s_waitcnt lgkmcnt(0)
	; wave barrier
	s_waitcnt lgkmcnt(0)
	s_and_saveexec_b64 s[8:9], vcc
	s_cbranch_execz .LBB83_23
; %bb.20:
	buffer_load_dword v8, v13, s[0:3], 0 offen offset:8
	buffer_load_dword v9, v13, s[0:3], 0 offen offset:12
	buffer_load_dword v10, v13, s[0:3], 0 offen
	buffer_load_dword v11, v13, s[0:3], 0 offen offset:4
	ds_read_b128 v[2:5], v6
	s_waitcnt vmcnt(2) lgkmcnt(0)
	v_mul_f64 v[14:15], v[4:5], v[8:9]
	v_mul_f64 v[8:9], v[2:3], v[8:9]
	s_waitcnt vmcnt(0)
	v_fma_f64 v[2:3], v[2:3], v[10:11], -v[14:15]
	v_fmac_f64_e32 v[8:9], v[4:5], v[10:11]
	v_add_f64 v[4:5], v[2:3], 0
	v_add_f64 v[2:3], v[8:9], 0
	s_and_saveexec_b64 s[12:13], s[6:7]
	s_cbranch_execz .LBB83_22
; %bb.21:
	buffer_load_dword v14, off, s[0:3], 0 offset:24
	buffer_load_dword v15, off, s[0:3], 0 offset:28
	;; [unrolled: 1-line block ×4, first 2 shown]
	v_mov_b32_e32 v7, 0
	ds_read_b128 v[8:11], v7 offset:336
	s_waitcnt vmcnt(2) lgkmcnt(0)
	v_mul_f64 v[18:19], v[8:9], v[14:15]
	v_mul_f64 v[14:15], v[10:11], v[14:15]
	s_waitcnt vmcnt(0)
	v_fmac_f64_e32 v[18:19], v[10:11], v[16:17]
	v_fma_f64 v[8:9], v[8:9], v[16:17], -v[14:15]
	v_add_f64 v[2:3], v[2:3], v[18:19]
	v_add_f64 v[4:5], v[4:5], v[8:9]
.LBB83_22:
	s_or_b64 exec, exec, s[12:13]
	v_mov_b32_e32 v7, 0
	ds_read_b128 v[8:11], v7 offset:32
	s_waitcnt lgkmcnt(0)
	v_mul_f64 v[14:15], v[2:3], v[10:11]
	v_mul_f64 v[10:11], v[4:5], v[10:11]
	v_fma_f64 v[4:5], v[4:5], v[8:9], -v[14:15]
	v_fmac_f64_e32 v[10:11], v[2:3], v[8:9]
	buffer_store_dword v5, off, s[0:3], 0 offset:36
	buffer_store_dword v4, off, s[0:3], 0 offset:32
	buffer_store_dword v11, off, s[0:3], 0 offset:44
	buffer_store_dword v10, off, s[0:3], 0 offset:40
.LBB83_23:
	s_or_b64 exec, exec, s[8:9]
	s_waitcnt lgkmcnt(0)
	; wave barrier
	buffer_load_dword v2, v116, s[0:3], 0 offen
	buffer_load_dword v3, v116, s[0:3], 0 offen offset:4
	buffer_load_dword v4, v116, s[0:3], 0 offen offset:8
	;; [unrolled: 1-line block ×3, first 2 shown]
	v_cmp_gt_u32_e32 vcc, 3, v118
	v_add_u32_e32 v7, -1, v118
	s_waitcnt vmcnt(0)
	ds_write_b128 v6, v[2:5]
	s_waitcnt lgkmcnt(0)
	; wave barrier
	s_waitcnt lgkmcnt(0)
	s_and_saveexec_b64 s[6:7], vcc
	s_cbranch_execz .LBB83_27
; %bb.24:
	v_pk_mov_b32 v[2:3], 0, 0
	v_add_u32_e32 v8, -1, v118
	v_add_u32_e32 v9, 0x140, v12
	v_add_u32_e32 v10, 0, v12
	s_mov_b64 s[8:9], 0
	v_pk_mov_b32 v[4:5], v[2:3], v[2:3] op_sel:[0,1]
.LBB83_25:                              ; =>This Inner Loop Header: Depth=1
	buffer_load_dword v18, v10, s[0:3], 0 offen offset:8
	buffer_load_dword v19, v10, s[0:3], 0 offen offset:12
	buffer_load_dword v20, v10, s[0:3], 0 offen
	buffer_load_dword v21, v10, s[0:3], 0 offen offset:4
	ds_read_b128 v[14:17], v9
	v_add_u32_e32 v8, 1, v8
	v_cmp_lt_u32_e32 vcc, 1, v8
	v_add_u32_e32 v9, 16, v9
	v_add_u32_e32 v10, 16, v10
	s_or_b64 s[8:9], vcc, s[8:9]
	s_waitcnt vmcnt(2) lgkmcnt(0)
	v_mul_f64 v[22:23], v[16:17], v[18:19]
	v_mul_f64 v[18:19], v[14:15], v[18:19]
	s_waitcnt vmcnt(0)
	v_fma_f64 v[14:15], v[14:15], v[20:21], -v[22:23]
	v_fmac_f64_e32 v[18:19], v[16:17], v[20:21]
	v_add_f64 v[4:5], v[4:5], v[14:15]
	v_add_f64 v[2:3], v[2:3], v[18:19]
	s_andn2_b64 exec, exec, s[8:9]
	s_cbranch_execnz .LBB83_25
; %bb.26:
	s_or_b64 exec, exec, s[8:9]
	v_mov_b32_e32 v8, 0
	ds_read_b128 v[8:11], v8 offset:48
	s_waitcnt lgkmcnt(0)
	v_mul_f64 v[14:15], v[2:3], v[10:11]
	v_mul_f64 v[10:11], v[4:5], v[10:11]
	v_fma_f64 v[4:5], v[4:5], v[8:9], -v[14:15]
	v_fmac_f64_e32 v[10:11], v[2:3], v[8:9]
	buffer_store_dword v5, off, s[0:3], 0 offset:52
	buffer_store_dword v4, off, s[0:3], 0 offset:48
	buffer_store_dword v11, off, s[0:3], 0 offset:60
	buffer_store_dword v10, off, s[0:3], 0 offset:56
.LBB83_27:
	s_or_b64 exec, exec, s[6:7]
	s_waitcnt lgkmcnt(0)
	; wave barrier
	buffer_load_dword v2, v112, s[0:3], 0 offen
	buffer_load_dword v3, v112, s[0:3], 0 offen offset:4
	buffer_load_dword v4, v112, s[0:3], 0 offen offset:8
	buffer_load_dword v5, v112, s[0:3], 0 offen offset:12
	v_cmp_gt_u32_e32 vcc, 4, v118
	s_waitcnt vmcnt(0)
	ds_write_b128 v6, v[2:5]
	s_waitcnt lgkmcnt(0)
	; wave barrier
	s_waitcnt lgkmcnt(0)
	s_and_saveexec_b64 s[6:7], vcc
	s_cbranch_execz .LBB83_31
; %bb.28:
	v_pk_mov_b32 v[2:3], 0, 0
	v_add_u32_e32 v8, -1, v118
	v_add_u32_e32 v9, 0x140, v12
	v_add_u32_e32 v10, 0, v12
	s_mov_b64 s[8:9], 0
	v_pk_mov_b32 v[4:5], v[2:3], v[2:3] op_sel:[0,1]
.LBB83_29:                              ; =>This Inner Loop Header: Depth=1
	buffer_load_dword v18, v10, s[0:3], 0 offen offset:8
	buffer_load_dword v19, v10, s[0:3], 0 offen offset:12
	buffer_load_dword v20, v10, s[0:3], 0 offen
	buffer_load_dword v21, v10, s[0:3], 0 offen offset:4
	ds_read_b128 v[14:17], v9
	v_add_u32_e32 v8, 1, v8
	v_cmp_lt_u32_e32 vcc, 2, v8
	v_add_u32_e32 v9, 16, v9
	v_add_u32_e32 v10, 16, v10
	s_or_b64 s[8:9], vcc, s[8:9]
	s_waitcnt vmcnt(2) lgkmcnt(0)
	v_mul_f64 v[22:23], v[16:17], v[18:19]
	v_mul_f64 v[18:19], v[14:15], v[18:19]
	s_waitcnt vmcnt(0)
	v_fma_f64 v[14:15], v[14:15], v[20:21], -v[22:23]
	v_fmac_f64_e32 v[18:19], v[16:17], v[20:21]
	v_add_f64 v[4:5], v[4:5], v[14:15]
	v_add_f64 v[2:3], v[2:3], v[18:19]
	s_andn2_b64 exec, exec, s[8:9]
	s_cbranch_execnz .LBB83_29
; %bb.30:
	s_or_b64 exec, exec, s[8:9]
	v_mov_b32_e32 v8, 0
	ds_read_b128 v[8:11], v8 offset:64
	s_waitcnt lgkmcnt(0)
	v_mul_f64 v[14:15], v[2:3], v[10:11]
	v_mul_f64 v[10:11], v[4:5], v[10:11]
	v_fma_f64 v[4:5], v[4:5], v[8:9], -v[14:15]
	v_fmac_f64_e32 v[10:11], v[2:3], v[8:9]
	buffer_store_dword v5, off, s[0:3], 0 offset:68
	buffer_store_dword v4, off, s[0:3], 0 offset:64
	buffer_store_dword v11, off, s[0:3], 0 offset:76
	buffer_store_dword v10, off, s[0:3], 0 offset:72
.LBB83_31:
	s_or_b64 exec, exec, s[6:7]
	s_waitcnt lgkmcnt(0)
	; wave barrier
	buffer_load_dword v2, v113, s[0:3], 0 offen
	buffer_load_dword v3, v113, s[0:3], 0 offen offset:4
	buffer_load_dword v4, v113, s[0:3], 0 offen offset:8
	buffer_load_dword v5, v113, s[0:3], 0 offen offset:12
	v_cmp_gt_u32_e32 vcc, 5, v118
	;; [unrolled: 57-line block ×15, first 2 shown]
	s_waitcnt vmcnt(0)
	ds_write_b128 v6, v[2:5]
	s_waitcnt lgkmcnt(0)
	; wave barrier
	s_waitcnt lgkmcnt(0)
	s_and_saveexec_b64 s[6:7], vcc
	s_cbranch_execz .LBB83_87
; %bb.84:
	v_pk_mov_b32 v[2:3], 0, 0
	v_add_u32_e32 v8, -1, v118
	v_add_u32_e32 v9, 0x140, v12
	v_add_u32_e32 v10, 0, v12
	s_mov_b64 s[8:9], 0
	v_pk_mov_b32 v[4:5], v[2:3], v[2:3] op_sel:[0,1]
.LBB83_85:                              ; =>This Inner Loop Header: Depth=1
	buffer_load_dword v18, v10, s[0:3], 0 offen offset:8
	buffer_load_dword v19, v10, s[0:3], 0 offen offset:12
	buffer_load_dword v20, v10, s[0:3], 0 offen
	buffer_load_dword v21, v10, s[0:3], 0 offen offset:4
	ds_read_b128 v[14:17], v9
	v_add_u32_e32 v8, 1, v8
	v_cmp_lt_u32_e32 vcc, 16, v8
	v_add_u32_e32 v9, 16, v9
	v_add_u32_e32 v10, 16, v10
	s_or_b64 s[8:9], vcc, s[8:9]
	s_waitcnt vmcnt(2) lgkmcnt(0)
	v_mul_f64 v[22:23], v[16:17], v[18:19]
	v_mul_f64 v[18:19], v[14:15], v[18:19]
	s_waitcnt vmcnt(0)
	v_fma_f64 v[14:15], v[14:15], v[20:21], -v[22:23]
	v_fmac_f64_e32 v[18:19], v[16:17], v[20:21]
	v_add_f64 v[4:5], v[4:5], v[14:15]
	v_add_f64 v[2:3], v[2:3], v[18:19]
	s_andn2_b64 exec, exec, s[8:9]
	s_cbranch_execnz .LBB83_85
; %bb.86:
	s_or_b64 exec, exec, s[8:9]
	v_mov_b32_e32 v8, 0
	ds_read_b128 v[8:11], v8 offset:288
	s_waitcnt lgkmcnt(0)
	v_mul_f64 v[14:15], v[2:3], v[10:11]
	v_mul_f64 v[10:11], v[4:5], v[10:11]
	v_fma_f64 v[4:5], v[4:5], v[8:9], -v[14:15]
	v_fmac_f64_e32 v[10:11], v[2:3], v[8:9]
	buffer_store_dword v5, off, s[0:3], 0 offset:292
	buffer_store_dword v4, off, s[0:3], 0 offset:288
	;; [unrolled: 1-line block ×4, first 2 shown]
.LBB83_87:
	s_or_b64 exec, exec, s[6:7]
	s_waitcnt lgkmcnt(0)
	; wave barrier
	buffer_load_dword v2, v100, s[0:3], 0 offen
	buffer_load_dword v3, v100, s[0:3], 0 offen offset:4
	buffer_load_dword v4, v100, s[0:3], 0 offen offset:8
	;; [unrolled: 1-line block ×3, first 2 shown]
	v_cmp_ne_u32_e32 vcc, 19, v118
	s_waitcnt vmcnt(0)
	ds_write_b128 v6, v[2:5]
	s_waitcnt lgkmcnt(0)
	; wave barrier
	s_waitcnt lgkmcnt(0)
	s_and_saveexec_b64 s[6:7], vcc
	s_cbranch_execz .LBB83_91
; %bb.88:
	v_pk_mov_b32 v[2:3], 0, 0
	v_add_u32_e32 v6, 0x140, v12
	v_add_u32_e32 v8, 0, v12
	s_mov_b64 s[8:9], 0
	v_pk_mov_b32 v[4:5], v[2:3], v[2:3] op_sel:[0,1]
.LBB83_89:                              ; =>This Inner Loop Header: Depth=1
	buffer_load_dword v14, v8, s[0:3], 0 offen offset:8
	buffer_load_dword v15, v8, s[0:3], 0 offen offset:12
	buffer_load_dword v16, v8, s[0:3], 0 offen
	buffer_load_dword v17, v8, s[0:3], 0 offen offset:4
	ds_read_b128 v[10:13], v6
	v_add_u32_e32 v7, 1, v7
	v_cmp_lt_u32_e32 vcc, 17, v7
	v_add_u32_e32 v6, 16, v6
	v_add_u32_e32 v8, 16, v8
	s_or_b64 s[8:9], vcc, s[8:9]
	s_waitcnt vmcnt(2) lgkmcnt(0)
	v_mul_f64 v[18:19], v[12:13], v[14:15]
	v_mul_f64 v[14:15], v[10:11], v[14:15]
	s_waitcnt vmcnt(0)
	v_fma_f64 v[10:11], v[10:11], v[16:17], -v[18:19]
	v_fmac_f64_e32 v[14:15], v[12:13], v[16:17]
	v_add_f64 v[4:5], v[4:5], v[10:11]
	v_add_f64 v[2:3], v[2:3], v[14:15]
	s_andn2_b64 exec, exec, s[8:9]
	s_cbranch_execnz .LBB83_89
; %bb.90:
	s_or_b64 exec, exec, s[8:9]
	v_mov_b32_e32 v6, 0
	ds_read_b128 v[6:9], v6 offset:304
	s_waitcnt lgkmcnt(0)
	v_mul_f64 v[10:11], v[2:3], v[8:9]
	v_mul_f64 v[8:9], v[4:5], v[8:9]
	v_fma_f64 v[4:5], v[4:5], v[6:7], -v[10:11]
	v_fmac_f64_e32 v[8:9], v[2:3], v[6:7]
	buffer_store_dword v5, off, s[0:3], 0 offset:308
	buffer_store_dword v4, off, s[0:3], 0 offset:304
	;; [unrolled: 1-line block ×4, first 2 shown]
.LBB83_91:
	s_or_b64 exec, exec, s[6:7]
	s_mov_b64 s[8:9], -1
	s_waitcnt lgkmcnt(0)
	; wave barrier
.LBB83_92:
	s_and_b64 vcc, exec, s[8:9]
	s_cbranch_vccz .LBB83_94
; %bb.93:
	s_lshl_b64 s[6:7], s[10:11], 2
	s_add_u32 s6, s14, s6
	s_addc_u32 s7, s15, s7
	v_mov_b32_e32 v2, 0
	global_load_dword v2, v2, s[6:7]
	s_waitcnt vmcnt(0)
	v_cmp_ne_u32_e32 vcc, 0, v2
	s_cbranch_vccz .LBB83_95
.LBB83_94:
	s_endpgm
.LBB83_95:
	v_mov_b32_e32 v2, 0x140
	v_lshl_add_u32 v119, v118, 4, v2
	v_cmp_eq_u32_e32 vcc, 19, v118
	s_and_saveexec_b64 s[6:7], vcc
	s_cbranch_execz .LBB83_97
; %bb.96:
	buffer_load_dword v2, v102, s[0:3], 0 offen
	buffer_load_dword v3, v102, s[0:3], 0 offen offset:4
	buffer_load_dword v4, v102, s[0:3], 0 offen offset:8
	;; [unrolled: 1-line block ×3, first 2 shown]
	v_mov_b32_e32 v6, 0
	buffer_store_dword v6, off, s[0:3], 0 offset:288
	buffer_store_dword v6, off, s[0:3], 0 offset:292
	;; [unrolled: 1-line block ×4, first 2 shown]
	s_waitcnt vmcnt(4)
	ds_write_b128 v119, v[2:5]
.LBB83_97:
	s_or_b64 exec, exec, s[6:7]
	s_waitcnt lgkmcnt(0)
	; wave barrier
	s_waitcnt lgkmcnt(0)
	buffer_load_dword v8, off, s[0:3], 0 offset:312
	buffer_load_dword v9, off, s[0:3], 0 offset:316
	buffer_load_dword v10, off, s[0:3], 0 offset:304
	buffer_load_dword v11, off, s[0:3], 0 offset:308
	buffer_load_dword v12, off, s[0:3], 0 offset:288
	buffer_load_dword v13, off, s[0:3], 0 offset:292
	buffer_load_dword v14, off, s[0:3], 0 offset:296
	buffer_load_dword v15, off, s[0:3], 0 offset:300
	v_mov_b32_e32 v2, 0
	ds_read_b128 v[4:7], v2 offset:624
	v_cmp_lt_u32_e32 vcc, 17, v118
	s_waitcnt vmcnt(6) lgkmcnt(0)
	v_mul_f64 v[16:17], v[4:5], v[8:9]
	v_mul_f64 v[8:9], v[6:7], v[8:9]
	s_waitcnt vmcnt(4)
	v_fma_f64 v[4:5], v[4:5], v[10:11], -v[8:9]
	v_fmac_f64_e32 v[16:17], v[6:7], v[10:11]
	v_add_f64 v[4:5], v[4:5], 0
	v_add_f64 v[6:7], v[16:17], 0
	s_waitcnt vmcnt(2)
	v_add_f64 v[4:5], v[12:13], -v[4:5]
	s_waitcnt vmcnt(0)
	v_add_f64 v[6:7], v[14:15], -v[6:7]
	buffer_store_dword v4, off, s[0:3], 0 offset:288
	buffer_store_dword v5, off, s[0:3], 0 offset:292
	;; [unrolled: 1-line block ×4, first 2 shown]
	s_and_saveexec_b64 s[6:7], vcc
	s_cbranch_execz .LBB83_99
; %bb.98:
	buffer_load_dword v4, v103, s[0:3], 0 offen
	buffer_load_dword v5, v103, s[0:3], 0 offen offset:4
	buffer_load_dword v6, v103, s[0:3], 0 offen offset:8
	;; [unrolled: 1-line block ×3, first 2 shown]
	s_nop 0
	buffer_store_dword v2, off, s[0:3], 0 offset:272
	buffer_store_dword v2, off, s[0:3], 0 offset:276
	;; [unrolled: 1-line block ×4, first 2 shown]
	s_waitcnt vmcnt(4)
	ds_write_b128 v119, v[4:7]
.LBB83_99:
	s_or_b64 exec, exec, s[6:7]
	s_waitcnt lgkmcnt(0)
	; wave barrier
	s_waitcnt lgkmcnt(0)
	buffer_load_dword v12, off, s[0:3], 0 offset:296
	buffer_load_dword v13, off, s[0:3], 0 offset:300
	;; [unrolled: 1-line block ×12, first 2 shown]
	ds_read_b128 v[4:7], v2 offset:608
	ds_read_b128 v[8:11], v2 offset:624
	v_cmp_lt_u32_e32 vcc, 16, v118
	s_waitcnt vmcnt(10) lgkmcnt(1)
	v_mul_f64 v[2:3], v[4:5], v[12:13]
	v_mul_f64 v[12:13], v[6:7], v[12:13]
	s_waitcnt vmcnt(8) lgkmcnt(0)
	v_mul_f64 v[24:25], v[8:9], v[14:15]
	v_mul_f64 v[14:15], v[10:11], v[14:15]
	s_waitcnt vmcnt(6)
	v_fma_f64 v[4:5], v[4:5], v[16:17], -v[12:13]
	v_fmac_f64_e32 v[2:3], v[6:7], v[16:17]
	s_waitcnt vmcnt(4)
	v_fma_f64 v[6:7], v[8:9], v[18:19], -v[14:15]
	v_add_f64 v[4:5], v[4:5], 0
	v_fmac_f64_e32 v[24:25], v[10:11], v[18:19]
	v_add_f64 v[2:3], v[2:3], 0
	v_add_f64 v[4:5], v[4:5], v[6:7]
	;; [unrolled: 1-line block ×3, first 2 shown]
	s_waitcnt vmcnt(2)
	v_add_f64 v[4:5], v[20:21], -v[4:5]
	s_waitcnt vmcnt(0)
	v_add_f64 v[2:3], v[22:23], -v[2:3]
	buffer_store_dword v4, off, s[0:3], 0 offset:272
	buffer_store_dword v5, off, s[0:3], 0 offset:276
	;; [unrolled: 1-line block ×4, first 2 shown]
	s_and_saveexec_b64 s[6:7], vcc
	s_cbranch_execz .LBB83_101
; %bb.100:
	buffer_load_dword v2, v101, s[0:3], 0 offen
	buffer_load_dword v3, v101, s[0:3], 0 offen offset:4
	buffer_load_dword v4, v101, s[0:3], 0 offen offset:8
	;; [unrolled: 1-line block ×3, first 2 shown]
	v_mov_b32_e32 v6, 0
	buffer_store_dword v6, off, s[0:3], 0 offset:256
	buffer_store_dword v6, off, s[0:3], 0 offset:260
	buffer_store_dword v6, off, s[0:3], 0 offset:264
	buffer_store_dword v6, off, s[0:3], 0 offset:268
	s_waitcnt vmcnt(4)
	ds_write_b128 v119, v[2:5]
.LBB83_101:
	s_or_b64 exec, exec, s[6:7]
	s_waitcnt lgkmcnt(0)
	; wave barrier
	s_waitcnt lgkmcnt(0)
	buffer_load_dword v16, off, s[0:3], 0 offset:280
	buffer_load_dword v17, off, s[0:3], 0 offset:284
	;; [unrolled: 1-line block ×16, first 2 shown]
	v_mov_b32_e32 v2, 0
	ds_read_b128 v[4:7], v2 offset:592
	ds_read_b128 v[8:11], v2 offset:608
	;; [unrolled: 1-line block ×3, first 2 shown]
	v_cmp_lt_u32_e32 vcc, 15, v118
	s_waitcnt vmcnt(14) lgkmcnt(2)
	v_mul_f64 v[72:73], v[4:5], v[16:17]
	v_mul_f64 v[16:17], v[6:7], v[16:17]
	s_waitcnt vmcnt(12) lgkmcnt(1)
	v_mul_f64 v[74:75], v[8:9], v[18:19]
	v_mul_f64 v[18:19], v[10:11], v[18:19]
	;; [unrolled: 3-line block ×3, first 2 shown]
	s_waitcnt vmcnt(8)
	v_fma_f64 v[4:5], v[4:5], v[22:23], -v[16:17]
	v_fmac_f64_e32 v[72:73], v[6:7], v[22:23]
	s_waitcnt vmcnt(6)
	v_fma_f64 v[6:7], v[8:9], v[24:25], -v[18:19]
	v_add_f64 v[4:5], v[4:5], 0
	v_fmac_f64_e32 v[74:75], v[10:11], v[24:25]
	s_waitcnt vmcnt(4)
	v_fma_f64 v[8:9], v[12:13], v[26:27], -v[20:21]
	v_add_f64 v[10:11], v[72:73], 0
	v_add_f64 v[4:5], v[4:5], v[6:7]
	v_fmac_f64_e32 v[76:77], v[14:15], v[26:27]
	v_add_f64 v[10:11], v[10:11], v[74:75]
	v_add_f64 v[4:5], v[4:5], v[8:9]
	;; [unrolled: 1-line block ×3, first 2 shown]
	s_waitcnt vmcnt(2)
	v_add_f64 v[4:5], v[28:29], -v[4:5]
	s_waitcnt vmcnt(0)
	v_add_f64 v[6:7], v[70:71], -v[6:7]
	buffer_store_dword v4, off, s[0:3], 0 offset:256
	buffer_store_dword v5, off, s[0:3], 0 offset:260
	;; [unrolled: 1-line block ×4, first 2 shown]
	s_and_saveexec_b64 s[6:7], vcc
	s_cbranch_execz .LBB83_103
; %bb.102:
	buffer_load_dword v4, v1, s[0:3], 0 offen
	buffer_load_dword v5, v1, s[0:3], 0 offen offset:4
	buffer_load_dword v6, v1, s[0:3], 0 offen offset:8
	;; [unrolled: 1-line block ×3, first 2 shown]
	s_nop 0
	buffer_store_dword v2, off, s[0:3], 0 offset:240
	buffer_store_dword v2, off, s[0:3], 0 offset:244
	;; [unrolled: 1-line block ×4, first 2 shown]
	s_waitcnt vmcnt(4)
	ds_write_b128 v119, v[4:7]
.LBB83_103:
	s_or_b64 exec, exec, s[6:7]
	s_waitcnt lgkmcnt(0)
	; wave barrier
	s_waitcnt lgkmcnt(0)
	buffer_load_dword v20, off, s[0:3], 0 offset:264
	buffer_load_dword v21, off, s[0:3], 0 offset:268
	;; [unrolled: 1-line block ×20, first 2 shown]
	ds_read_b128 v[4:7], v2 offset:576
	ds_read_b128 v[8:11], v2 offset:592
	;; [unrolled: 1-line block ×4, first 2 shown]
	v_cmp_lt_u32_e32 vcc, 14, v118
	s_waitcnt vmcnt(18) lgkmcnt(3)
	v_mul_f64 v[2:3], v[4:5], v[20:21]
	v_mul_f64 v[20:21], v[6:7], v[20:21]
	s_waitcnt vmcnt(16) lgkmcnt(2)
	v_mul_f64 v[80:81], v[8:9], v[22:23]
	v_mul_f64 v[22:23], v[10:11], v[22:23]
	s_waitcnt vmcnt(14) lgkmcnt(1)
	v_mul_f64 v[82:83], v[12:13], v[24:25]
	v_mul_f64 v[24:25], v[14:15], v[24:25]
	s_waitcnt vmcnt(12) lgkmcnt(0)
	v_mul_f64 v[84:85], v[16:17], v[26:27]
	v_mul_f64 v[26:27], v[18:19], v[26:27]
	s_waitcnt vmcnt(10)
	v_fma_f64 v[4:5], v[4:5], v[28:29], -v[20:21]
	v_fmac_f64_e32 v[2:3], v[6:7], v[28:29]
	s_waitcnt vmcnt(8)
	v_fma_f64 v[6:7], v[8:9], v[70:71], -v[22:23]
	v_add_f64 v[4:5], v[4:5], 0
	v_fmac_f64_e32 v[80:81], v[10:11], v[70:71]
	s_waitcnt vmcnt(6)
	v_fma_f64 v[8:9], v[12:13], v[72:73], -v[24:25]
	v_add_f64 v[2:3], v[2:3], 0
	v_add_f64 v[4:5], v[4:5], v[6:7]
	v_fmac_f64_e32 v[82:83], v[14:15], v[72:73]
	s_waitcnt vmcnt(4)
	v_fma_f64 v[10:11], v[16:17], v[74:75], -v[26:27]
	v_add_f64 v[2:3], v[2:3], v[80:81]
	v_add_f64 v[4:5], v[4:5], v[8:9]
	v_fmac_f64_e32 v[84:85], v[18:19], v[74:75]
	v_add_f64 v[2:3], v[2:3], v[82:83]
	v_add_f64 v[4:5], v[4:5], v[10:11]
	;; [unrolled: 1-line block ×3, first 2 shown]
	s_waitcnt vmcnt(2)
	v_add_f64 v[4:5], v[76:77], -v[4:5]
	s_waitcnt vmcnt(0)
	v_add_f64 v[2:3], v[78:79], -v[2:3]
	buffer_store_dword v4, off, s[0:3], 0 offset:240
	buffer_store_dword v5, off, s[0:3], 0 offset:244
	;; [unrolled: 1-line block ×4, first 2 shown]
	s_and_saveexec_b64 s[6:7], vcc
	s_cbranch_execz .LBB83_105
; %bb.104:
	buffer_load_dword v2, v107, s[0:3], 0 offen
	buffer_load_dword v3, v107, s[0:3], 0 offen offset:4
	buffer_load_dword v4, v107, s[0:3], 0 offen offset:8
	;; [unrolled: 1-line block ×3, first 2 shown]
	v_mov_b32_e32 v6, 0
	buffer_store_dword v6, off, s[0:3], 0 offset:224
	buffer_store_dword v6, off, s[0:3], 0 offset:228
	;; [unrolled: 1-line block ×4, first 2 shown]
	s_waitcnt vmcnt(4)
	ds_write_b128 v119, v[2:5]
.LBB83_105:
	s_or_b64 exec, exec, s[6:7]
	s_waitcnt lgkmcnt(0)
	; wave barrier
	s_waitcnt lgkmcnt(0)
	buffer_load_dword v24, off, s[0:3], 0 offset:248
	buffer_load_dword v25, off, s[0:3], 0 offset:252
	;; [unrolled: 1-line block ×24, first 2 shown]
	v_mov_b32_e32 v2, 0
	ds_read_b128 v[4:7], v2 offset:560
	ds_read_b128 v[8:11], v2 offset:576
	;; [unrolled: 1-line block ×5, first 2 shown]
	v_cmp_lt_u32_e32 vcc, 13, v118
	s_waitcnt vmcnt(22) lgkmcnt(4)
	v_mul_f64 v[88:89], v[4:5], v[24:25]
	v_mul_f64 v[24:25], v[6:7], v[24:25]
	s_waitcnt vmcnt(20) lgkmcnt(3)
	v_mul_f64 v[90:91], v[8:9], v[26:27]
	v_mul_f64 v[26:27], v[10:11], v[26:27]
	;; [unrolled: 3-line block ×4, first 2 shown]
	s_waitcnt vmcnt(13) lgkmcnt(0)
	v_mul_f64 v[96:97], v[20:21], v[70:71]
	s_waitcnt vmcnt(11)
	v_fma_f64 v[4:5], v[4:5], v[76:77], -v[24:25]
	v_fmac_f64_e32 v[88:89], v[6:7], v[76:77]
	s_waitcnt vmcnt(9)
	v_fma_f64 v[6:7], v[8:9], v[78:79], -v[26:27]
	v_add_f64 v[4:5], v[4:5], 0
	v_fmac_f64_e32 v[90:91], v[10:11], v[78:79]
	s_waitcnt vmcnt(7)
	v_fmac_f64_e32 v[92:93], v[14:15], v[80:81]
	v_fma_f64 v[8:9], v[12:13], v[80:81], -v[28:29]
	v_add_f64 v[14:15], v[88:89], 0
	v_add_f64 v[4:5], v[4:5], v[6:7]
	v_mul_f64 v[70:71], v[22:23], v[70:71]
	s_waitcnt vmcnt(5)
	v_fma_f64 v[10:11], v[16:17], v[82:83], -v[74:75]
	v_add_f64 v[14:15], v[14:15], v[90:91]
	v_add_f64 v[4:5], v[4:5], v[8:9]
	v_fmac_f64_e32 v[94:95], v[18:19], v[82:83]
	s_waitcnt vmcnt(4)
	v_fma_f64 v[12:13], v[20:21], v[72:73], -v[70:71]
	v_add_f64 v[6:7], v[14:15], v[92:93]
	v_add_f64 v[4:5], v[4:5], v[10:11]
	v_fmac_f64_e32 v[96:97], v[22:23], v[72:73]
	v_add_f64 v[6:7], v[6:7], v[94:95]
	v_add_f64 v[4:5], v[4:5], v[12:13]
	;; [unrolled: 1-line block ×3, first 2 shown]
	s_waitcnt vmcnt(2)
	v_add_f64 v[4:5], v[84:85], -v[4:5]
	s_waitcnt vmcnt(0)
	v_add_f64 v[6:7], v[86:87], -v[6:7]
	buffer_store_dword v5, off, s[0:3], 0 offset:228
	buffer_store_dword v4, off, s[0:3], 0 offset:224
	;; [unrolled: 1-line block ×4, first 2 shown]
	s_and_saveexec_b64 s[6:7], vcc
	s_cbranch_execz .LBB83_107
; %bb.106:
	buffer_load_dword v4, v105, s[0:3], 0 offen
	buffer_load_dword v5, v105, s[0:3], 0 offen offset:4
	buffer_load_dword v6, v105, s[0:3], 0 offen offset:8
	;; [unrolled: 1-line block ×3, first 2 shown]
	s_nop 0
	buffer_store_dword v2, off, s[0:3], 0 offset:208
	buffer_store_dword v2, off, s[0:3], 0 offset:212
	;; [unrolled: 1-line block ×4, first 2 shown]
	s_waitcnt vmcnt(4)
	ds_write_b128 v119, v[4:7]
.LBB83_107:
	s_or_b64 exec, exec, s[6:7]
	s_waitcnt lgkmcnt(0)
	; wave barrier
	s_waitcnt lgkmcnt(0)
	buffer_load_dword v28, off, s[0:3], 0 offset:232
	buffer_load_dword v29, off, s[0:3], 0 offset:236
	;; [unrolled: 1-line block ×28, first 2 shown]
	ds_read_b128 v[4:7], v2 offset:544
	ds_read_b128 v[8:11], v2 offset:560
	;; [unrolled: 1-line block ×6, first 2 shown]
	v_cmp_lt_u32_e32 vcc, 12, v118
	s_waitcnt vmcnt(26) lgkmcnt(5)
	v_mul_f64 v[2:3], v[4:5], v[28:29]
	v_mul_f64 v[28:29], v[6:7], v[28:29]
	s_waitcnt vmcnt(24) lgkmcnt(4)
	v_mul_f64 v[96:97], v[8:9], v[70:71]
	v_mul_f64 v[70:71], v[10:11], v[70:71]
	;; [unrolled: 3-line block ×4, first 2 shown]
	s_waitcnt vmcnt(17)
	v_mul_f64 v[120:121], v[16:17], v[78:79]
	v_mul_f64 v[78:79], v[18:19], v[78:79]
	s_waitcnt vmcnt(15) lgkmcnt(0)
	v_mul_f64 v[124:125], v[24:25], v[80:81]
	v_mul_f64 v[80:81], v[26:27], v[80:81]
	s_waitcnt vmcnt(14)
	v_fmac_f64_e32 v[122:123], v[22:23], v[76:77]
	s_waitcnt vmcnt(12)
	v_fma_f64 v[4:5], v[4:5], v[82:83], -v[28:29]
	v_fmac_f64_e32 v[2:3], v[6:7], v[82:83]
	s_waitcnt vmcnt(10)
	v_fma_f64 v[6:7], v[8:9], v[84:85], -v[70:71]
	v_add_f64 v[4:5], v[4:5], 0
	v_fmac_f64_e32 v[96:97], v[10:11], v[84:85]
	s_waitcnt vmcnt(8)
	v_fma_f64 v[8:9], v[12:13], v[86:87], -v[72:73]
	v_add_f64 v[2:3], v[2:3], 0
	v_add_f64 v[4:5], v[4:5], v[6:7]
	v_fmac_f64_e32 v[98:99], v[14:15], v[86:87]
	s_waitcnt vmcnt(6)
	v_fma_f64 v[10:11], v[16:17], v[88:89], -v[78:79]
	v_add_f64 v[2:3], v[2:3], v[96:97]
	v_add_f64 v[4:5], v[4:5], v[8:9]
	v_fmac_f64_e32 v[120:121], v[18:19], v[88:89]
	v_fma_f64 v[12:13], v[20:21], v[76:77], -v[74:75]
	v_add_f64 v[2:3], v[2:3], v[98:99]
	v_add_f64 v[4:5], v[4:5], v[10:11]
	s_waitcnt vmcnt(4)
	v_fma_f64 v[14:15], v[24:25], v[90:91], -v[80:81]
	v_add_f64 v[2:3], v[2:3], v[120:121]
	v_add_f64 v[4:5], v[4:5], v[12:13]
	v_fmac_f64_e32 v[124:125], v[26:27], v[90:91]
	v_add_f64 v[2:3], v[2:3], v[122:123]
	v_add_f64 v[4:5], v[4:5], v[14:15]
	v_add_f64 v[2:3], v[2:3], v[124:125]
	s_waitcnt vmcnt(2)
	v_add_f64 v[4:5], v[92:93], -v[4:5]
	s_waitcnt vmcnt(0)
	v_add_f64 v[2:3], v[94:95], -v[2:3]
	buffer_store_dword v5, off, s[0:3], 0 offset:212
	buffer_store_dword v4, off, s[0:3], 0 offset:208
	;; [unrolled: 1-line block ×4, first 2 shown]
	s_and_saveexec_b64 s[6:7], vcc
	s_cbranch_execz .LBB83_109
; %bb.108:
	buffer_load_dword v2, v106, s[0:3], 0 offen
	buffer_load_dword v3, v106, s[0:3], 0 offen offset:4
	buffer_load_dword v4, v106, s[0:3], 0 offen offset:8
	;; [unrolled: 1-line block ×3, first 2 shown]
	v_mov_b32_e32 v6, 0
	buffer_store_dword v6, off, s[0:3], 0 offset:192
	buffer_store_dword v6, off, s[0:3], 0 offset:196
	;; [unrolled: 1-line block ×4, first 2 shown]
	s_waitcnt vmcnt(4)
	ds_write_b128 v119, v[2:5]
.LBB83_109:
	s_or_b64 exec, exec, s[6:7]
	s_waitcnt lgkmcnt(0)
	; wave barrier
	s_waitcnt lgkmcnt(0)
	buffer_load_dword v28, off, s[0:3], 0 offset:216
	buffer_load_dword v29, off, s[0:3], 0 offset:220
	;; [unrolled: 1-line block ×32, first 2 shown]
	v_mov_b32_e32 v2, 0
	ds_read_b128 v[4:7], v2 offset:528
	ds_read_b128 v[8:11], v2 offset:544
	;; [unrolled: 1-line block ×7, first 2 shown]
	v_cmp_lt_u32_e32 vcc, 11, v118
	s_waitcnt vmcnt(30) lgkmcnt(6)
	v_mul_f64 v[124:125], v[4:5], v[28:29]
	v_mul_f64 v[28:29], v[6:7], v[28:29]
	s_waitcnt vmcnt(28) lgkmcnt(5)
	v_mul_f64 v[126:127], v[8:9], v[74:75]
	v_mul_f64 v[74:75], v[10:11], v[74:75]
	;; [unrolled: 3-line block ×4, first 2 shown]
	s_waitcnt vmcnt(21)
	v_mul_f64 v[130:131], v[16:17], v[82:83]
	v_mul_f64 v[82:83], v[18:19], v[82:83]
	s_waitcnt vmcnt(17) lgkmcnt(1)
	v_mul_f64 v[134:135], v[24:25], v[88:89]
	v_mul_f64 v[88:89], v[26:27], v[88:89]
	s_waitcnt vmcnt(16) lgkmcnt(0)
	v_mul_f64 v[136:137], v[70:71], v[84:85]
	v_mul_f64 v[84:85], v[72:73], v[84:85]
	s_waitcnt vmcnt(13)
	v_fma_f64 v[4:5], v[4:5], v[90:91], -v[28:29]
	v_fmac_f64_e32 v[124:125], v[6:7], v[90:91]
	s_waitcnt vmcnt(11)
	v_fma_f64 v[6:7], v[8:9], v[92:93], -v[74:75]
	v_add_f64 v[4:5], v[4:5], 0
	v_fmac_f64_e32 v[126:127], v[10:11], v[92:93]
	s_waitcnt vmcnt(9)
	v_fma_f64 v[8:9], v[12:13], v[94:95], -v[76:77]
	s_waitcnt vmcnt(7)
	v_fmac_f64_e32 v[130:131], v[18:19], v[96:97]
	v_add_f64 v[18:19], v[124:125], 0
	v_add_f64 v[4:5], v[4:5], v[6:7]
	v_fmac_f64_e32 v[128:129], v[14:15], v[94:95]
	v_fma_f64 v[10:11], v[16:17], v[96:97], -v[82:83]
	v_add_f64 v[18:19], v[18:19], v[126:127]
	v_add_f64 v[4:5], v[4:5], v[8:9]
	v_fma_f64 v[12:13], v[20:21], v[80:81], -v[78:79]
	v_add_f64 v[6:7], v[18:19], v[128:129]
	v_add_f64 v[4:5], v[4:5], v[10:11]
	v_fmac_f64_e32 v[132:133], v[22:23], v[80:81]
	s_waitcnt vmcnt(5)
	v_fma_f64 v[14:15], v[24:25], v[98:99], -v[88:89]
	v_add_f64 v[6:7], v[6:7], v[130:131]
	v_add_f64 v[4:5], v[4:5], v[12:13]
	v_fmac_f64_e32 v[134:135], v[26:27], v[98:99]
	s_waitcnt vmcnt(4)
	v_fma_f64 v[16:17], v[70:71], v[86:87], -v[84:85]
	v_add_f64 v[6:7], v[6:7], v[132:133]
	v_add_f64 v[4:5], v[4:5], v[14:15]
	v_fmac_f64_e32 v[136:137], v[72:73], v[86:87]
	v_add_f64 v[6:7], v[6:7], v[134:135]
	v_add_f64 v[4:5], v[4:5], v[16:17]
	v_add_f64 v[6:7], v[6:7], v[136:137]
	s_waitcnt vmcnt(2)
	v_add_f64 v[4:5], v[120:121], -v[4:5]
	s_waitcnt vmcnt(0)
	v_add_f64 v[6:7], v[122:123], -v[6:7]
	buffer_store_dword v5, off, s[0:3], 0 offset:196
	buffer_store_dword v4, off, s[0:3], 0 offset:192
	;; [unrolled: 1-line block ×4, first 2 shown]
	s_and_saveexec_b64 s[6:7], vcc
	s_cbranch_execz .LBB83_111
; %bb.110:
	buffer_load_dword v4, v104, s[0:3], 0 offen
	buffer_load_dword v5, v104, s[0:3], 0 offen offset:4
	buffer_load_dword v6, v104, s[0:3], 0 offen offset:8
	;; [unrolled: 1-line block ×3, first 2 shown]
	s_nop 0
	buffer_store_dword v2, off, s[0:3], 0 offset:176
	buffer_store_dword v2, off, s[0:3], 0 offset:180
	buffer_store_dword v2, off, s[0:3], 0 offset:184
	buffer_store_dword v2, off, s[0:3], 0 offset:188
	s_waitcnt vmcnt(4)
	ds_write_b128 v119, v[4:7]
.LBB83_111:
	s_or_b64 exec, exec, s[6:7]
	s_waitcnt lgkmcnt(0)
	; wave barrier
	s_waitcnt lgkmcnt(0)
	buffer_load_dword v28, off, s[0:3], 0 offset:200
	buffer_load_dword v29, off, s[0:3], 0 offset:204
	;; [unrolled: 1-line block ×36, first 2 shown]
	ds_read_b128 v[4:7], v2 offset:512
	ds_read_b128 v[8:11], v2 offset:528
	;; [unrolled: 1-line block ×8, first 2 shown]
	v_cmp_lt_u32_e32 vcc, 10, v118
	s_waitcnt vmcnt(34) lgkmcnt(7)
	v_mul_f64 v[2:3], v[4:5], v[28:29]
	v_mul_f64 v[28:29], v[6:7], v[28:29]
	s_waitcnt vmcnt(32) lgkmcnt(6)
	v_mul_f64 v[132:133], v[8:9], v[78:79]
	v_mul_f64 v[78:79], v[10:11], v[78:79]
	;; [unrolled: 3-line block ×4, first 2 shown]
	s_waitcnt vmcnt(25)
	v_mul_f64 v[136:137], v[16:17], v[86:87]
	v_mul_f64 v[86:87], v[18:19], v[86:87]
	s_waitcnt vmcnt(23) lgkmcnt(1)
	v_mul_f64 v[142:143], v[70:71], v[88:89]
	v_mul_f64 v[88:89], v[72:73], v[88:89]
	s_waitcnt vmcnt(20)
	v_mul_f64 v[140:141], v[24:25], v[92:93]
	v_mul_f64 v[92:93], v[26:27], v[92:93]
	s_waitcnt vmcnt(18) lgkmcnt(0)
	v_mul_f64 v[144:145], v[74:75], v[94:95]
	s_waitcnt vmcnt(17)
	v_fmac_f64_e32 v[138:139], v[22:23], v[84:85]
	s_waitcnt vmcnt(16)
	v_fmac_f64_e32 v[142:143], v[72:73], v[90:91]
	s_waitcnt vmcnt(14)
	v_fma_f64 v[4:5], v[4:5], v[96:97], -v[28:29]
	v_fmac_f64_e32 v[2:3], v[6:7], v[96:97]
	s_waitcnt vmcnt(12)
	v_fma_f64 v[6:7], v[8:9], v[98:99], -v[78:79]
	v_add_f64 v[4:5], v[4:5], 0
	v_fmac_f64_e32 v[132:133], v[10:11], v[98:99]
	s_waitcnt vmcnt(10)
	v_fma_f64 v[8:9], v[12:13], v[120:121], -v[80:81]
	v_add_f64 v[2:3], v[2:3], 0
	v_add_f64 v[4:5], v[4:5], v[6:7]
	v_fmac_f64_e32 v[134:135], v[14:15], v[120:121]
	s_waitcnt vmcnt(8)
	v_fma_f64 v[10:11], v[16:17], v[122:123], -v[86:87]
	v_add_f64 v[2:3], v[2:3], v[132:133]
	v_add_f64 v[4:5], v[4:5], v[8:9]
	v_fmac_f64_e32 v[136:137], v[18:19], v[122:123]
	v_fma_f64 v[12:13], v[20:21], v[84:85], -v[82:83]
	v_add_f64 v[2:3], v[2:3], v[134:135]
	v_add_f64 v[4:5], v[4:5], v[10:11]
	s_waitcnt vmcnt(6)
	v_fma_f64 v[14:15], v[24:25], v[124:125], -v[92:93]
	v_add_f64 v[2:3], v[2:3], v[136:137]
	v_add_f64 v[4:5], v[4:5], v[12:13]
	v_fmac_f64_e32 v[140:141], v[26:27], v[124:125]
	v_fma_f64 v[16:17], v[70:71], v[90:91], -v[88:89]
	v_add_f64 v[2:3], v[2:3], v[138:139]
	v_add_f64 v[4:5], v[4:5], v[14:15]
	v_mul_f64 v[6:7], v[76:77], v[94:95]
	v_add_f64 v[2:3], v[2:3], v[140:141]
	v_add_f64 v[4:5], v[4:5], v[16:17]
	s_waitcnt vmcnt(4)
	v_fma_f64 v[6:7], v[74:75], v[126:127], -v[6:7]
	v_fmac_f64_e32 v[144:145], v[76:77], v[126:127]
	v_add_f64 v[2:3], v[2:3], v[142:143]
	v_add_f64 v[4:5], v[4:5], v[6:7]
	;; [unrolled: 1-line block ×3, first 2 shown]
	s_waitcnt vmcnt(2)
	v_add_f64 v[4:5], v[128:129], -v[4:5]
	s_waitcnt vmcnt(0)
	v_add_f64 v[2:3], v[130:131], -v[2:3]
	buffer_store_dword v5, off, s[0:3], 0 offset:180
	buffer_store_dword v4, off, s[0:3], 0 offset:176
	;; [unrolled: 1-line block ×4, first 2 shown]
	s_and_saveexec_b64 s[6:7], vcc
	s_cbranch_execz .LBB83_113
; %bb.112:
	buffer_load_dword v2, v111, s[0:3], 0 offen
	buffer_load_dword v3, v111, s[0:3], 0 offen offset:4
	buffer_load_dword v4, v111, s[0:3], 0 offen offset:8
	;; [unrolled: 1-line block ×3, first 2 shown]
	v_mov_b32_e32 v6, 0
	buffer_store_dword v6, off, s[0:3], 0 offset:160
	buffer_store_dword v6, off, s[0:3], 0 offset:164
	;; [unrolled: 1-line block ×4, first 2 shown]
	s_waitcnt vmcnt(4)
	ds_write_b128 v119, v[2:5]
.LBB83_113:
	s_or_b64 exec, exec, s[6:7]
	s_waitcnt lgkmcnt(0)
	; wave barrier
	s_waitcnt lgkmcnt(0)
	buffer_load_dword v28, off, s[0:3], 0 offset:184
	buffer_load_dword v29, off, s[0:3], 0 offset:188
	;; [unrolled: 1-line block ×40, first 2 shown]
	v_mov_b32_e32 v6, 0
	ds_read_b128 v[2:5], v6 offset:496
	ds_read_b128 v[8:11], v6 offset:512
	;; [unrolled: 1-line block ×9, first 2 shown]
	v_cmp_lt_u32_e32 vcc, 9, v118
	s_waitcnt vmcnt(38) lgkmcnt(8)
	v_mul_f64 v[140:141], v[2:3], v[28:29]
	v_mul_f64 v[28:29], v[4:5], v[28:29]
	s_waitcnt vmcnt(36) lgkmcnt(7)
	v_mul_f64 v[142:143], v[8:9], v[82:83]
	v_mul_f64 v[82:83], v[10:11], v[82:83]
	;; [unrolled: 3-line block ×3, first 2 shown]
	s_waitcnt vmcnt(32) lgkmcnt(4)
	v_mul_f64 v[148:149], v[20:21], v[86:87]
	s_waitcnt vmcnt(30)
	v_fmac_f64_e32 v[148:149], v[22:23], v[88:89]
	s_waitcnt vmcnt(28)
	v_mul_f64 v[146:147], v[16:17], v[90:91]
	v_mul_f64 v[90:91], v[18:19], v[90:91]
	s_waitcnt vmcnt(26) lgkmcnt(2)
	v_mul_f64 v[152:153], v[70:71], v[92:93]
	s_waitcnt vmcnt(24)
	v_fmac_f64_e32 v[152:153], v[72:73], v[94:95]
	s_waitcnt vmcnt(22)
	v_mul_f64 v[150:151], v[24:25], v[96:97]
	s_waitcnt vmcnt(18) lgkmcnt(1)
	v_mul_f64 v[154:155], v[74:75], v[122:123]
	s_waitcnt vmcnt(17) lgkmcnt(0)
	v_mul_f64 v[156:157], v[78:79], v[98:99]
	s_waitcnt vmcnt(15)
	v_fma_f64 v[2:3], v[2:3], v[124:125], -v[28:29]
	v_fmac_f64_e32 v[140:141], v[4:5], v[124:125]
	s_waitcnt vmcnt(13)
	v_fma_f64 v[4:5], v[8:9], v[126:127], -v[82:83]
	v_add_f64 v[2:3], v[2:3], 0
	s_waitcnt vmcnt(11)
	v_fma_f64 v[8:9], v[12:13], v[128:129], -v[84:85]
	v_add_f64 v[2:3], v[2:3], v[4:5]
	v_fmac_f64_e32 v[142:143], v[10:11], v[126:127]
	s_waitcnt vmcnt(9)
	v_fma_f64 v[10:11], v[16:17], v[130:131], -v[90:91]
	v_add_f64 v[2:3], v[2:3], v[8:9]
	v_mul_f64 v[8:9], v[22:23], v[86:87]
	v_add_f64 v[2:3], v[2:3], v[10:11]
	v_fma_f64 v[8:9], v[20:21], v[88:89], -v[8:9]
	v_add_f64 v[2:3], v[2:3], v[8:9]
	v_mul_f64 v[8:9], v[26:27], v[96:97]
	v_add_f64 v[12:13], v[140:141], 0
	s_waitcnt vmcnt(7)
	v_fma_f64 v[8:9], v[24:25], v[132:133], -v[8:9]
	v_fmac_f64_e32 v[144:145], v[14:15], v[128:129]
	v_add_f64 v[12:13], v[12:13], v[142:143]
	v_add_f64 v[2:3], v[2:3], v[8:9]
	v_mul_f64 v[8:9], v[72:73], v[92:93]
	v_fmac_f64_e32 v[146:147], v[18:19], v[130:131]
	v_add_f64 v[4:5], v[12:13], v[144:145]
	v_fma_f64 v[8:9], v[70:71], v[94:95], -v[8:9]
	v_add_f64 v[4:5], v[4:5], v[146:147]
	v_add_f64 v[2:3], v[2:3], v[8:9]
	v_mul_f64 v[8:9], v[76:77], v[122:123]
	v_fmac_f64_e32 v[150:151], v[26:27], v[132:133]
	v_add_f64 v[4:5], v[4:5], v[148:149]
	s_waitcnt vmcnt(5)
	v_fma_f64 v[8:9], v[74:75], v[134:135], -v[8:9]
	v_add_f64 v[4:5], v[4:5], v[150:151]
	v_add_f64 v[2:3], v[2:3], v[8:9]
	v_mul_f64 v[8:9], v[80:81], v[98:99]
	v_fmac_f64_e32 v[154:155], v[76:77], v[134:135]
	v_add_f64 v[4:5], v[4:5], v[152:153]
	s_waitcnt vmcnt(4)
	v_fma_f64 v[8:9], v[78:79], v[120:121], -v[8:9]
	v_fmac_f64_e32 v[156:157], v[80:81], v[120:121]
	v_add_f64 v[4:5], v[4:5], v[154:155]
	v_add_f64 v[2:3], v[2:3], v[8:9]
	;; [unrolled: 1-line block ×3, first 2 shown]
	s_waitcnt vmcnt(2)
	v_add_f64 v[2:3], v[136:137], -v[2:3]
	s_waitcnt vmcnt(0)
	v_add_f64 v[4:5], v[138:139], -v[4:5]
	buffer_store_dword v3, off, s[0:3], 0 offset:164
	buffer_store_dword v2, off, s[0:3], 0 offset:160
	;; [unrolled: 1-line block ×4, first 2 shown]
	s_and_saveexec_b64 s[6:7], vcc
	s_cbranch_execz .LBB83_115
; %bb.114:
	buffer_load_dword v2, v110, s[0:3], 0 offen
	buffer_load_dword v3, v110, s[0:3], 0 offen offset:4
	buffer_load_dword v4, v110, s[0:3], 0 offen offset:8
	;; [unrolled: 1-line block ×3, first 2 shown]
	s_nop 0
	buffer_store_dword v6, off, s[0:3], 0 offset:144
	buffer_store_dword v6, off, s[0:3], 0 offset:148
	;; [unrolled: 1-line block ×4, first 2 shown]
	s_waitcnt vmcnt(4)
	ds_write_b128 v119, v[2:5]
.LBB83_115:
	s_or_b64 exec, exec, s[6:7]
	s_waitcnt lgkmcnt(0)
	; wave barrier
	s_waitcnt lgkmcnt(0)
	buffer_load_dword v4, off, s[0:3], 0 offset:160
	buffer_load_dword v5, off, s[0:3], 0 offset:164
	;; [unrolled: 1-line block ×44, first 2 shown]
	ds_read_b128 v[8:11], v6 offset:480
	ds_read_b128 v[12:15], v6 offset:496
	ds_read_b128 v[16:19], v6 offset:512
	ds_read_b128 v[20:23], v6 offset:528
	ds_read_b128 v[24:27], v6 offset:544
	ds_read_b128 v[70:73], v6 offset:560
	ds_read_b128 v[74:77], v6 offset:576
	ds_read_b128 v[78:81], v6 offset:592
	ds_read_b128 v[82:85], v6 offset:608
	ds_read_b128 v[86:89], v6 offset:624
	v_cmp_lt_u32_e32 vcc, 8, v118
	s_waitcnt vmcnt(40) lgkmcnt(9)
	v_mul_f64 v[6:7], v[8:9], v[28:29]
	v_mul_f64 v[28:29], v[10:11], v[28:29]
	s_waitcnt vmcnt(38) lgkmcnt(8)
	v_mul_f64 v[148:149], v[12:13], v[90:91]
	v_mul_f64 v[90:91], v[14:15], v[90:91]
	v_fmac_f64_e32 v[6:7], v[10:11], v[4:5]
	v_fma_f64 v[4:5], v[8:9], v[4:5], -v[28:29]
	s_waitcnt vmcnt(36) lgkmcnt(7)
	v_mul_f64 v[150:151], v[16:17], v[2:3]
	v_add_f64 v[4:5], v[4:5], 0
	v_mul_f64 v[2:3], v[18:19], v[2:3]
	v_add_f64 v[6:7], v[6:7], 0
	s_waitcnt vmcnt(30) lgkmcnt(6)
	v_mul_f64 v[152:153], v[20:21], v[96:97]
	s_waitcnt lgkmcnt(5)
	v_mul_f64 v[154:155], v[24:25], v[92:93]
	v_fmac_f64_e32 v[154:155], v[26:27], v[94:95]
	s_waitcnt vmcnt(28) lgkmcnt(3)
	v_mul_f64 v[158:159], v[74:75], v[98:99]
	s_waitcnt vmcnt(26)
	v_fmac_f64_e32 v[158:159], v[76:77], v[120:121]
	s_waitcnt vmcnt(24)
	v_mul_f64 v[156:157], v[70:71], v[122:123]
	s_waitcnt vmcnt(22) lgkmcnt(1)
	v_mul_f64 v[162:163], v[82:83], v[124:125]
	s_waitcnt vmcnt(20)
	v_fmac_f64_e32 v[162:163], v[84:85], v[126:127]
	s_waitcnt vmcnt(18)
	v_mul_f64 v[160:161], v[78:79], v[128:129]
	s_waitcnt vmcnt(16) lgkmcnt(0)
	v_mul_f64 v[164:165], v[86:87], v[130:131]
	s_waitcnt vmcnt(14)
	v_fma_f64 v[8:9], v[12:13], v[132:133], -v[90:91]
	v_add_f64 v[4:5], v[4:5], v[8:9]
	s_waitcnt vmcnt(12)
	v_fma_f64 v[2:3], v[16:17], v[134:135], -v[2:3]
	v_add_f64 v[2:3], v[4:5], v[2:3]
	v_mul_f64 v[4:5], v[22:23], v[96:97]
	s_waitcnt vmcnt(10)
	v_fma_f64 v[4:5], v[20:21], v[136:137], -v[4:5]
	v_add_f64 v[2:3], v[2:3], v[4:5]
	v_mul_f64 v[4:5], v[26:27], v[92:93]
	v_fma_f64 v[4:5], v[24:25], v[94:95], -v[4:5]
	v_add_f64 v[2:3], v[2:3], v[4:5]
	v_mul_f64 v[4:5], v[72:73], v[122:123]
	s_waitcnt vmcnt(8)
	v_fma_f64 v[4:5], v[70:71], v[138:139], -v[4:5]
	v_fmac_f64_e32 v[148:149], v[14:15], v[132:133]
	v_add_f64 v[2:3], v[2:3], v[4:5]
	v_mul_f64 v[4:5], v[76:77], v[98:99]
	v_fmac_f64_e32 v[150:151], v[18:19], v[134:135]
	v_add_f64 v[6:7], v[6:7], v[148:149]
	v_fma_f64 v[4:5], v[74:75], v[120:121], -v[4:5]
	v_fmac_f64_e32 v[152:153], v[22:23], v[136:137]
	v_add_f64 v[6:7], v[6:7], v[150:151]
	v_add_f64 v[2:3], v[2:3], v[4:5]
	v_mul_f64 v[4:5], v[80:81], v[128:129]
	v_add_f64 v[6:7], v[6:7], v[152:153]
	s_waitcnt vmcnt(6)
	v_fma_f64 v[4:5], v[78:79], v[140:141], -v[4:5]
	v_fmac_f64_e32 v[156:157], v[72:73], v[138:139]
	v_add_f64 v[6:7], v[6:7], v[154:155]
	v_add_f64 v[2:3], v[2:3], v[4:5]
	v_mul_f64 v[4:5], v[84:85], v[124:125]
	v_add_f64 v[6:7], v[6:7], v[156:157]
	v_fma_f64 v[4:5], v[82:83], v[126:127], -v[4:5]
	v_fmac_f64_e32 v[160:161], v[80:81], v[140:141]
	v_add_f64 v[6:7], v[6:7], v[158:159]
	v_add_f64 v[2:3], v[2:3], v[4:5]
	v_mul_f64 v[4:5], v[88:89], v[130:131]
	v_add_f64 v[6:7], v[6:7], v[160:161]
	s_waitcnt vmcnt(4)
	v_fma_f64 v[4:5], v[86:87], v[142:143], -v[4:5]
	v_fmac_f64_e32 v[164:165], v[88:89], v[142:143]
	v_add_f64 v[6:7], v[6:7], v[162:163]
	v_add_f64 v[2:3], v[2:3], v[4:5]
	;; [unrolled: 1-line block ×3, first 2 shown]
	s_waitcnt vmcnt(2)
	v_add_f64 v[2:3], v[144:145], -v[2:3]
	s_waitcnt vmcnt(0)
	v_add_f64 v[4:5], v[146:147], -v[6:7]
	buffer_store_dword v3, off, s[0:3], 0 offset:148
	buffer_store_dword v2, off, s[0:3], 0 offset:144
	;; [unrolled: 1-line block ×4, first 2 shown]
	s_and_saveexec_b64 s[6:7], vcc
	s_cbranch_execz .LBB83_117
; %bb.116:
	buffer_load_dword v2, v108, s[0:3], 0 offen
	buffer_load_dword v3, v108, s[0:3], 0 offen offset:4
	buffer_load_dword v4, v108, s[0:3], 0 offen offset:8
	;; [unrolled: 1-line block ×3, first 2 shown]
	v_mov_b32_e32 v6, 0
	buffer_store_dword v6, off, s[0:3], 0 offset:128
	buffer_store_dword v6, off, s[0:3], 0 offset:132
	;; [unrolled: 1-line block ×4, first 2 shown]
	s_waitcnt vmcnt(4)
	ds_write_b128 v119, v[2:5]
.LBB83_117:
	s_or_b64 exec, exec, s[6:7]
	v_mov_b32_e32 v120, 0
	s_waitcnt lgkmcnt(0)
	; wave barrier
	s_waitcnt lgkmcnt(0)
	ds_read_b128 v[14:17], v120 offset:464
	ds_read_b128 v[10:13], v120 offset:480
	;; [unrolled: 1-line block ×4, first 2 shown]
	buffer_load_dword v72, off, s[0:3], 0 offset:128
	buffer_load_dword v73, off, s[0:3], 0 offset:132
	;; [unrolled: 1-line block ×20, first 2 shown]
	v_cmp_lt_u32_e32 vcc, 7, v118
	s_waitcnt vmcnt(12) lgkmcnt(3)
	v_mul_f64 v[18:19], v[14:15], v[80:81]
	v_fmac_f64_e32 v[18:19], v[16:17], v[74:75]
	v_add_f64 v[18:19], v[18:19], 0
	v_mul_f64 v[16:17], v[16:17], v[80:81]
	s_waitcnt vmcnt(8) lgkmcnt(2)
	v_mul_f64 v[20:21], v[10:11], v[82:83]
	v_fmac_f64_e32 v[20:21], v[12:13], v[76:77]
	v_add_f64 v[18:19], v[18:19], v[20:21]
	v_fma_f64 v[14:15], v[14:15], v[74:75], -v[16:17]
	s_waitcnt vmcnt(4) lgkmcnt(1)
	v_mul_f64 v[20:21], v[6:7], v[84:85]
	v_fmac_f64_e32 v[20:21], v[8:9], v[78:79]
	v_add_f64 v[18:19], v[18:19], v[20:21]
	s_waitcnt vmcnt(0) lgkmcnt(0)
	v_mul_f64 v[20:21], v[2:3], v[88:89]
	v_fmac_f64_e32 v[20:21], v[4:5], v[86:87]
	v_add_f64 v[22:23], v[18:19], v[20:21]
	ds_read_b128 v[18:21], v120 offset:528
	buffer_load_dword v91, off, s[0:3], 0 offset:212
	buffer_load_dword v90, off, s[0:3], 0 offset:208
	;; [unrolled: 1-line block ×4, first 2 shown]
	v_mul_f64 v[12:13], v[12:13], v[82:83]
	v_add_f64 v[14:15], v[14:15], 0
	v_fma_f64 v[10:11], v[10:11], v[76:77], -v[12:13]
	v_mul_f64 v[8:9], v[8:9], v[84:85]
	v_add_f64 v[10:11], v[14:15], v[10:11]
	v_fma_f64 v[6:7], v[6:7], v[78:79], -v[8:9]
	;; [unrolled: 3-line block ×3, first 2 shown]
	v_add_f64 v[2:3], v[6:7], v[2:3]
	s_waitcnt vmcnt(0) lgkmcnt(0)
	v_mul_f64 v[24:25], v[18:19], v[92:93]
	v_fmac_f64_e32 v[24:25], v[20:21], v[90:91]
	v_add_f64 v[26:27], v[22:23], v[24:25]
	ds_read_b128 v[22:25], v120 offset:544
	buffer_load_dword v95, off, s[0:3], 0 offset:228
	buffer_load_dword v94, off, s[0:3], 0 offset:224
	buffer_load_dword v97, off, s[0:3], 0 offset:236
	buffer_load_dword v96, off, s[0:3], 0 offset:232
	v_mul_f64 v[4:5], v[20:21], v[92:93]
	v_fma_f64 v[4:5], v[18:19], v[90:91], -v[4:5]
	v_add_f64 v[2:3], v[2:3], v[4:5]
	s_waitcnt vmcnt(0) lgkmcnt(0)
	v_mul_f64 v[28:29], v[22:23], v[96:97]
	v_fmac_f64_e32 v[28:29], v[24:25], v[94:95]
	v_add_f64 v[98:99], v[26:27], v[28:29]
	ds_read_b128 v[26:29], v120 offset:560
	buffer_load_dword v139, off, s[0:3], 0 offset:244
	buffer_load_dword v138, off, s[0:3], 0 offset:240
	buffer_load_dword v141, off, s[0:3], 0 offset:252
	buffer_load_dword v140, off, s[0:3], 0 offset:248
	v_mul_f64 v[4:5], v[24:25], v[96:97]
	v_fma_f64 v[4:5], v[22:23], v[94:95], -v[4:5]
	;; [unrolled: 12-line block ×6, first 2 shown]
	v_add_f64 v[2:3], v[2:3], v[4:5]
	s_waitcnt vmcnt(0) lgkmcnt(0)
	v_mul_f64 v[4:5], v[136:137], v[156:157]
	v_mul_f64 v[158:159], v[134:135], v[156:157]
	v_fma_f64 v[4:5], v[134:135], v[154:155], -v[4:5]
	v_fmac_f64_e32 v[158:159], v[136:137], v[154:155]
	v_add_f64 v[2:3], v[2:3], v[4:5]
	v_add_f64 v[98:99], v[98:99], v[158:159]
	v_add_f64 v[2:3], v[72:73], -v[2:3]
	v_add_f64 v[4:5], v[70:71], -v[98:99]
	buffer_store_dword v3, off, s[0:3], 0 offset:132
	buffer_store_dword v2, off, s[0:3], 0 offset:128
	buffer_store_dword v5, off, s[0:3], 0 offset:140
	buffer_store_dword v4, off, s[0:3], 0 offset:136
	s_and_saveexec_b64 s[6:7], vcc
	s_cbranch_execz .LBB83_119
; %bb.118:
	buffer_load_dword v2, v109, s[0:3], 0 offen
	buffer_load_dword v3, v109, s[0:3], 0 offen offset:4
	buffer_load_dword v4, v109, s[0:3], 0 offen offset:8
	;; [unrolled: 1-line block ×3, first 2 shown]
	s_nop 0
	buffer_store_dword v120, off, s[0:3], 0 offset:112
	buffer_store_dword v120, off, s[0:3], 0 offset:116
	;; [unrolled: 1-line block ×4, first 2 shown]
	s_waitcnt vmcnt(4)
	ds_write_b128 v119, v[2:5]
.LBB83_119:
	s_or_b64 exec, exec, s[6:7]
	s_waitcnt lgkmcnt(0)
	; wave barrier
	s_waitcnt lgkmcnt(0)
	ds_read_b128 v[14:17], v120 offset:448
	ds_read_b128 v[10:13], v120 offset:464
	;; [unrolled: 1-line block ×4, first 2 shown]
	buffer_load_dword v72, off, s[0:3], 0 offset:112
	buffer_load_dword v73, off, s[0:3], 0 offset:116
	;; [unrolled: 1-line block ×20, first 2 shown]
	v_cmp_lt_u32_e32 vcc, 6, v118
	s_waitcnt vmcnt(12) lgkmcnt(3)
	v_mul_f64 v[18:19], v[14:15], v[80:81]
	v_fmac_f64_e32 v[18:19], v[16:17], v[74:75]
	v_add_f64 v[18:19], v[18:19], 0
	v_mul_f64 v[16:17], v[16:17], v[80:81]
	s_waitcnt vmcnt(8) lgkmcnt(2)
	v_mul_f64 v[20:21], v[10:11], v[82:83]
	v_fmac_f64_e32 v[20:21], v[12:13], v[76:77]
	v_add_f64 v[18:19], v[18:19], v[20:21]
	v_fma_f64 v[14:15], v[14:15], v[74:75], -v[16:17]
	s_waitcnt vmcnt(4) lgkmcnt(1)
	v_mul_f64 v[20:21], v[6:7], v[84:85]
	v_fmac_f64_e32 v[20:21], v[8:9], v[78:79]
	v_add_f64 v[18:19], v[18:19], v[20:21]
	s_waitcnt vmcnt(0) lgkmcnt(0)
	v_mul_f64 v[20:21], v[2:3], v[88:89]
	v_fmac_f64_e32 v[20:21], v[4:5], v[86:87]
	v_add_f64 v[22:23], v[18:19], v[20:21]
	ds_read_b128 v[18:21], v120 offset:512
	buffer_load_dword v91, off, s[0:3], 0 offset:196
	buffer_load_dword v90, off, s[0:3], 0 offset:192
	;; [unrolled: 1-line block ×4, first 2 shown]
	v_mul_f64 v[12:13], v[12:13], v[82:83]
	v_add_f64 v[14:15], v[14:15], 0
	v_fma_f64 v[10:11], v[10:11], v[76:77], -v[12:13]
	v_mul_f64 v[8:9], v[8:9], v[84:85]
	v_add_f64 v[10:11], v[14:15], v[10:11]
	v_fma_f64 v[6:7], v[6:7], v[78:79], -v[8:9]
	;; [unrolled: 3-line block ×3, first 2 shown]
	v_add_f64 v[2:3], v[6:7], v[2:3]
	s_waitcnt vmcnt(0) lgkmcnt(0)
	v_mul_f64 v[24:25], v[18:19], v[92:93]
	v_fmac_f64_e32 v[24:25], v[20:21], v[90:91]
	v_add_f64 v[26:27], v[22:23], v[24:25]
	ds_read_b128 v[22:25], v120 offset:528
	buffer_load_dword v95, off, s[0:3], 0 offset:212
	buffer_load_dword v94, off, s[0:3], 0 offset:208
	buffer_load_dword v97, off, s[0:3], 0 offset:220
	buffer_load_dword v96, off, s[0:3], 0 offset:216
	v_mul_f64 v[4:5], v[20:21], v[92:93]
	v_fma_f64 v[4:5], v[18:19], v[90:91], -v[4:5]
	v_add_f64 v[2:3], v[2:3], v[4:5]
	s_waitcnt vmcnt(0) lgkmcnt(0)
	v_mul_f64 v[28:29], v[22:23], v[96:97]
	v_fmac_f64_e32 v[28:29], v[24:25], v[94:95]
	v_add_f64 v[122:123], v[26:27], v[28:29]
	ds_read_b128 v[26:29], v120 offset:544
	buffer_load_dword v99, off, s[0:3], 0 offset:228
	buffer_load_dword v98, off, s[0:3], 0 offset:224
	buffer_load_dword v143, off, s[0:3], 0 offset:236
	buffer_load_dword v142, off, s[0:3], 0 offset:232
	v_mul_f64 v[4:5], v[24:25], v[96:97]
	v_fma_f64 v[4:5], v[22:23], v[94:95], -v[4:5]
	;; [unrolled: 12-line block ×7, first 2 shown]
	v_add_f64 v[2:3], v[2:3], v[4:5]
	s_waitcnt vmcnt(0) lgkmcnt(0)
	v_mul_f64 v[4:5], v[140:141], v[162:163]
	v_mul_f64 v[164:165], v[138:139], v[162:163]
	v_fma_f64 v[4:5], v[138:139], v[120:121], -v[4:5]
	v_fmac_f64_e32 v[164:165], v[140:141], v[120:121]
	v_add_f64 v[2:3], v[2:3], v[4:5]
	v_add_f64 v[160:161], v[160:161], v[164:165]
	v_add_f64 v[2:3], v[72:73], -v[2:3]
	v_add_f64 v[4:5], v[70:71], -v[160:161]
	buffer_store_dword v3, off, s[0:3], 0 offset:116
	buffer_store_dword v2, off, s[0:3], 0 offset:112
	;; [unrolled: 1-line block ×4, first 2 shown]
	s_and_saveexec_b64 s[6:7], vcc
	s_cbranch_execz .LBB83_121
; %bb.120:
	buffer_load_dword v2, v114, s[0:3], 0 offen
	buffer_load_dword v3, v114, s[0:3], 0 offen offset:4
	buffer_load_dword v4, v114, s[0:3], 0 offen offset:8
	;; [unrolled: 1-line block ×3, first 2 shown]
	v_mov_b32_e32 v6, 0
	buffer_store_dword v6, off, s[0:3], 0 offset:96
	buffer_store_dword v6, off, s[0:3], 0 offset:100
	buffer_store_dword v6, off, s[0:3], 0 offset:104
	buffer_store_dword v6, off, s[0:3], 0 offset:108
	s_waitcnt vmcnt(4)
	ds_write_b128 v119, v[2:5]
.LBB83_121:
	s_or_b64 exec, exec, s[6:7]
	s_waitcnt lgkmcnt(0)
	; wave barrier
	s_waitcnt lgkmcnt(0)
	buffer_load_dword v2, off, s[0:3], 0 offset:112
	buffer_load_dword v3, off, s[0:3], 0 offset:116
	;; [unrolled: 1-line block ×56, first 2 shown]
	v_mov_b32_e32 v24, 0
	ds_read_b128 v[26:29], v24 offset:432
	ds_read_b128 v[70:73], v24 offset:448
	;; [unrolled: 1-line block ×9, first 2 shown]
	v_cmp_lt_u32_e32 vcc, 5, v118
	s_waitcnt vmcnt(52) lgkmcnt(8)
	v_mul_f64 v[124:125], v[26:27], v[6:7]
	v_mul_f64 v[6:7], v[28:29], v[6:7]
	v_fmac_f64_e32 v[124:125], v[28:29], v[2:3]
	v_fma_f64 v[2:3], v[26:27], v[2:3], -v[6:7]
	s_waitcnt vmcnt(48) lgkmcnt(7)
	v_mul_f64 v[126:127], v[70:71], v[8:9]
	v_mul_f64 v[6:7], v[72:73], v[8:9]
	s_waitcnt vmcnt(46) lgkmcnt(6)
	v_mul_f64 v[128:129], v[74:75], v[10:11]
	v_fmac_f64_e32 v[126:127], v[72:73], v[4:5]
	v_add_f64 v[124:125], v[124:125], 0
	v_add_f64 v[2:3], v[2:3], 0
	v_fma_f64 v[4:5], v[70:71], v[4:5], -v[6:7]
	v_add_f64 v[124:125], v[124:125], v[126:127]
	s_waitcnt vmcnt(40) lgkmcnt(5)
	v_mul_f64 v[130:131], v[78:79], v[16:17]
	v_add_f64 v[2:3], v[2:3], v[4:5]
	v_mul_f64 v[4:5], v[76:77], v[10:11]
	s_waitcnt lgkmcnt(4)
	v_mul_f64 v[132:133], v[82:83], v[12:13]
	s_waitcnt vmcnt(36) lgkmcnt(3)
	v_mul_f64 v[134:135], v[86:87], v[22:23]
	v_fmac_f64_e32 v[132:133], v[84:85], v[14:15]
	s_waitcnt vmcnt(35) lgkmcnt(2)
	v_mul_f64 v[136:137], v[90:91], v[18:19]
	s_waitcnt vmcnt(33)
	v_fmac_f64_e32 v[128:129], v[76:77], v[98:99]
	v_add_f64 v[124:125], v[124:125], v[128:129]
	s_waitcnt vmcnt(31)
	v_fmac_f64_e32 v[130:131], v[80:81], v[140:141]
	v_fma_f64 v[4:5], v[74:75], v[98:99], -v[4:5]
	v_add_f64 v[124:125], v[124:125], v[130:131]
	v_add_f64 v[2:3], v[2:3], v[4:5]
	v_mul_f64 v[4:5], v[80:81], v[16:17]
	s_waitcnt vmcnt(29)
	v_fmac_f64_e32 v[134:135], v[88:89], v[142:143]
	v_add_f64 v[124:125], v[124:125], v[132:133]
	v_fma_f64 v[4:5], v[78:79], v[140:141], -v[4:5]
	s_waitcnt vmcnt(28)
	v_fmac_f64_e32 v[136:137], v[92:93], v[20:21]
	v_add_f64 v[124:125], v[124:125], v[134:135]
	s_waitcnt vmcnt(25) lgkmcnt(1)
	v_mul_f64 v[126:127], v[94:95], v[146:147]
	v_add_f64 v[2:3], v[2:3], v[4:5]
	v_mul_f64 v[4:5], v[84:85], v[12:13]
	v_add_f64 v[124:125], v[124:125], v[136:137]
	s_waitcnt vmcnt(23)
	v_fmac_f64_e32 v[126:127], v[96:97], v[148:149]
	v_fma_f64 v[4:5], v[82:83], v[14:15], -v[4:5]
	v_add_f64 v[128:129], v[124:125], v[126:127]
	ds_read_b128 v[124:127], v24 offset:576
	v_add_f64 v[2:3], v[2:3], v[4:5]
	v_mul_f64 v[4:5], v[88:89], v[22:23]
	v_fma_f64 v[4:5], v[86:87], v[142:143], -v[4:5]
	v_add_f64 v[2:3], v[2:3], v[4:5]
	v_mul_f64 v[4:5], v[92:93], v[18:19]
	s_waitcnt vmcnt(20) lgkmcnt(1)
	v_mul_f64 v[130:131], v[120:121], v[144:145]
	v_fma_f64 v[4:5], v[90:91], v[20:21], -v[4:5]
	v_fmac_f64_e32 v[130:131], v[122:123], v[150:151]
	v_add_f64 v[2:3], v[2:3], v[4:5]
	v_mul_f64 v[4:5], v[96:97], v[146:147]
	v_add_f64 v[132:133], v[128:129], v[130:131]
	ds_read_b128 v[128:131], v24 offset:592
	s_waitcnt vmcnt(17) lgkmcnt(1)
	v_mul_f64 v[134:135], v[124:125], v[154:155]
	v_fma_f64 v[4:5], v[94:95], v[148:149], -v[4:5]
	s_waitcnt vmcnt(15)
	v_fmac_f64_e32 v[134:135], v[126:127], v[156:157]
	v_add_f64 v[2:3], v[2:3], v[4:5]
	v_mul_f64 v[4:5], v[122:123], v[144:145]
	v_add_f64 v[172:173], v[132:133], v[134:135]
	ds_read_b128 v[132:135], v24 offset:608
	ds_read_b128 v[136:139], v24 offset:624
	v_fma_f64 v[4:5], v[120:121], v[150:151], -v[4:5]
	v_add_f64 v[2:3], v[2:3], v[4:5]
	v_mul_f64 v[4:5], v[126:127], v[154:155]
	v_fma_f64 v[4:5], v[124:125], v[156:157], -v[4:5]
	v_add_f64 v[2:3], v[2:3], v[4:5]
	s_waitcnt vmcnt(12) lgkmcnt(2)
	v_mul_f64 v[4:5], v[130:131], v[152:153]
	v_mul_f64 v[174:175], v[128:129], v[152:153]
	v_fma_f64 v[4:5], v[128:129], v[158:159], -v[4:5]
	v_fmac_f64_e32 v[174:175], v[130:131], v[158:159]
	v_add_f64 v[2:3], v[2:3], v[4:5]
	s_waitcnt vmcnt(9) lgkmcnt(1)
	v_mul_f64 v[4:5], v[134:135], v[162:163]
	v_add_f64 v[172:173], v[172:173], v[174:175]
	v_mul_f64 v[174:175], v[132:133], v[162:163]
	s_waitcnt vmcnt(7)
	v_fma_f64 v[4:5], v[132:133], v[164:165], -v[4:5]
	v_fmac_f64_e32 v[174:175], v[134:135], v[164:165]
	v_add_f64 v[2:3], v[2:3], v[4:5]
	s_waitcnt vmcnt(5) lgkmcnt(0)
	v_mul_f64 v[4:5], v[138:139], v[160:161]
	v_add_f64 v[172:173], v[172:173], v[174:175]
	v_mul_f64 v[174:175], v[136:137], v[160:161]
	s_waitcnt vmcnt(4)
	v_fma_f64 v[4:5], v[136:137], v[166:167], -v[4:5]
	v_fmac_f64_e32 v[174:175], v[138:139], v[166:167]
	v_add_f64 v[2:3], v[2:3], v[4:5]
	v_add_f64 v[172:173], v[172:173], v[174:175]
	s_waitcnt vmcnt(2)
	v_add_f64 v[2:3], v[168:169], -v[2:3]
	s_waitcnt vmcnt(0)
	v_add_f64 v[4:5], v[170:171], -v[172:173]
	buffer_store_dword v3, off, s[0:3], 0 offset:100
	buffer_store_dword v2, off, s[0:3], 0 offset:96
	;; [unrolled: 1-line block ×4, first 2 shown]
	s_and_saveexec_b64 s[6:7], vcc
	s_cbranch_execz .LBB83_123
; %bb.122:
	buffer_load_dword v2, v113, s[0:3], 0 offen
	buffer_load_dword v3, v113, s[0:3], 0 offen offset:4
	buffer_load_dword v4, v113, s[0:3], 0 offen offset:8
	;; [unrolled: 1-line block ×3, first 2 shown]
	s_nop 0
	buffer_store_dword v24, off, s[0:3], 0 offset:80
	buffer_store_dword v24, off, s[0:3], 0 offset:84
	;; [unrolled: 1-line block ×4, first 2 shown]
	s_waitcnt vmcnt(4)
	ds_write_b128 v119, v[2:5]
.LBB83_123:
	s_or_b64 exec, exec, s[6:7]
	s_waitcnt lgkmcnt(0)
	; wave barrier
	s_waitcnt lgkmcnt(0)
	buffer_load_dword v2, off, s[0:3], 0 offset:96
	buffer_load_dword v3, off, s[0:3], 0 offset:100
	;; [unrolled: 1-line block ×60, first 2 shown]
	ds_read_b128 v[26:29], v24 offset:416
	ds_read_b128 v[70:73], v24 offset:432
	;; [unrolled: 1-line block ×8, first 2 shown]
	v_cmp_lt_u32_e32 vcc, 4, v118
	ds_read_b128 v[140:143], v24 offset:624
	s_waitcnt vmcnt(56) lgkmcnt(8)
	v_mul_f64 v[120:121], v[26:27], v[6:7]
	v_fmac_f64_e32 v[120:121], v[28:29], v[2:3]
	v_add_f64 v[120:121], v[120:121], 0
	v_mul_f64 v[6:7], v[28:29], v[6:7]
	s_waitcnt vmcnt(52) lgkmcnt(7)
	v_mul_f64 v[122:123], v[70:71], v[8:9]
	v_fmac_f64_e32 v[122:123], v[72:73], v[4:5]
	s_waitcnt vmcnt(50) lgkmcnt(6)
	v_mul_f64 v[124:125], v[74:75], v[10:11]
	v_add_f64 v[120:121], v[120:121], v[122:123]
	s_waitcnt vmcnt(48) lgkmcnt(4)
	v_mul_f64 v[128:129], v[82:83], v[12:13]
	v_fma_f64 v[2:3], v[26:27], v[2:3], -v[6:7]
	s_waitcnt vmcnt(46)
	v_fmac_f64_e32 v[128:129], v[84:85], v[14:15]
	v_mul_f64 v[6:7], v[72:73], v[8:9]
	s_waitcnt vmcnt(44)
	v_mul_f64 v[126:127], v[78:79], v[16:17]
	v_add_f64 v[2:3], v[2:3], 0
	v_fma_f64 v[4:5], v[70:71], v[4:5], -v[6:7]
	v_add_f64 v[2:3], v[2:3], v[4:5]
	s_waitcnt vmcnt(40) lgkmcnt(3)
	v_mul_f64 v[130:131], v[86:87], v[22:23]
	v_mul_f64 v[4:5], v[76:77], v[10:11]
	s_waitcnt vmcnt(38)
	v_fmac_f64_e32 v[124:125], v[76:77], v[98:99]
	v_add_f64 v[120:121], v[120:121], v[124:125]
	s_waitcnt vmcnt(36)
	v_fmac_f64_e32 v[126:127], v[80:81], v[144:145]
	v_add_f64 v[120:121], v[120:121], v[126:127]
	;; [unrolled: 3-line block ×3, first 2 shown]
	s_waitcnt vmcnt(32) lgkmcnt(2)
	v_mul_f64 v[122:123], v[90:91], v[18:19]
	v_add_f64 v[120:121], v[120:121], v[130:131]
	v_fmac_f64_e32 v[122:123], v[92:93], v[20:21]
	v_add_f64 v[124:125], v[120:121], v[122:123]
	ds_read_b128 v[120:123], v24 offset:544
	v_fma_f64 v[4:5], v[74:75], v[98:99], -v[4:5]
	v_add_f64 v[2:3], v[2:3], v[4:5]
	v_mul_f64 v[4:5], v[80:81], v[16:17]
	v_fma_f64 v[4:5], v[78:79], v[144:145], -v[4:5]
	s_waitcnt vmcnt(28) lgkmcnt(2)
	v_mul_f64 v[126:127], v[94:95], v[152:153]
	v_add_f64 v[2:3], v[2:3], v[4:5]
	v_mul_f64 v[4:5], v[84:85], v[12:13]
	s_waitcnt vmcnt(26)
	v_fmac_f64_e32 v[126:127], v[96:97], v[154:155]
	v_fma_f64 v[4:5], v[82:83], v[14:15], -v[4:5]
	v_add_f64 v[128:129], v[124:125], v[126:127]
	ds_read_b128 v[124:127], v24 offset:560
	s_waitcnt vmcnt(24) lgkmcnt(1)
	v_mul_f64 v[130:131], v[120:121], v[148:149]
	v_add_f64 v[2:3], v[2:3], v[4:5]
	v_mul_f64 v[4:5], v[88:89], v[22:23]
	v_fmac_f64_e32 v[130:131], v[122:123], v[150:151]
	v_fma_f64 v[4:5], v[86:87], v[146:147], -v[4:5]
	v_add_f64 v[132:133], v[128:129], v[130:131]
	ds_read_b128 v[128:131], v24 offset:576
	v_add_f64 v[2:3], v[2:3], v[4:5]
	v_mul_f64 v[4:5], v[92:93], v[18:19]
	v_fma_f64 v[4:5], v[90:91], v[20:21], -v[4:5]
	v_add_f64 v[2:3], v[2:3], v[4:5]
	v_mul_f64 v[4:5], v[96:97], v[152:153]
	s_waitcnt vmcnt(20) lgkmcnt(1)
	v_mul_f64 v[134:135], v[124:125], v[160:161]
	v_fma_f64 v[4:5], v[94:95], v[154:155], -v[4:5]
	s_waitcnt vmcnt(18)
	v_fmac_f64_e32 v[134:135], v[126:127], v[162:163]
	v_add_f64 v[2:3], v[2:3], v[4:5]
	v_mul_f64 v[4:5], v[122:123], v[148:149]
	v_add_f64 v[136:137], v[132:133], v[134:135]
	ds_read_b128 v[132:135], v24 offset:592
	s_waitcnt vmcnt(16) lgkmcnt(1)
	v_mul_f64 v[138:139], v[128:129], v[156:157]
	v_fma_f64 v[4:5], v[120:121], v[150:151], -v[4:5]
	v_fmac_f64_e32 v[138:139], v[130:131], v[158:159]
	v_add_f64 v[2:3], v[2:3], v[4:5]
	v_mul_f64 v[4:5], v[126:127], v[160:161]
	v_add_f64 v[180:181], v[136:137], v[138:139]
	ds_read_b128 v[136:139], v24 offset:608
	v_fma_f64 v[4:5], v[124:125], v[162:163], -v[4:5]
	v_add_f64 v[2:3], v[2:3], v[4:5]
	v_mul_f64 v[4:5], v[130:131], v[156:157]
	v_fma_f64 v[4:5], v[128:129], v[158:159], -v[4:5]
	v_add_f64 v[2:3], v[2:3], v[4:5]
	s_waitcnt vmcnt(12) lgkmcnt(1)
	v_mul_f64 v[4:5], v[134:135], v[168:169]
	v_mul_f64 v[182:183], v[132:133], v[168:169]
	s_waitcnt vmcnt(10)
	v_fma_f64 v[4:5], v[132:133], v[170:171], -v[4:5]
	v_fmac_f64_e32 v[182:183], v[134:135], v[170:171]
	v_add_f64 v[2:3], v[2:3], v[4:5]
	s_waitcnt vmcnt(8) lgkmcnt(0)
	v_mul_f64 v[4:5], v[138:139], v[164:165]
	v_add_f64 v[24:25], v[180:181], v[182:183]
	v_mul_f64 v[180:181], v[136:137], v[164:165]
	v_fma_f64 v[4:5], v[136:137], v[166:167], -v[4:5]
	v_fmac_f64_e32 v[180:181], v[138:139], v[166:167]
	v_add_f64 v[2:3], v[2:3], v[4:5]
	s_waitcnt vmcnt(6)
	v_mul_f64 v[4:5], v[142:143], v[172:173]
	v_add_f64 v[24:25], v[24:25], v[180:181]
	v_mul_f64 v[180:181], v[140:141], v[172:173]
	s_waitcnt vmcnt(4)
	v_fma_f64 v[4:5], v[140:141], v[174:175], -v[4:5]
	v_fmac_f64_e32 v[180:181], v[142:143], v[174:175]
	v_add_f64 v[2:3], v[2:3], v[4:5]
	v_add_f64 v[24:25], v[24:25], v[180:181]
	s_waitcnt vmcnt(2)
	v_add_f64 v[2:3], v[176:177], -v[2:3]
	s_waitcnt vmcnt(0)
	v_add_f64 v[4:5], v[178:179], -v[24:25]
	buffer_store_dword v3, off, s[0:3], 0 offset:84
	buffer_store_dword v2, off, s[0:3], 0 offset:80
	;; [unrolled: 1-line block ×4, first 2 shown]
	s_and_saveexec_b64 s[6:7], vcc
	s_cbranch_execz .LBB83_125
; %bb.124:
	buffer_load_dword v2, v112, s[0:3], 0 offen
	buffer_load_dword v3, v112, s[0:3], 0 offen offset:4
	buffer_load_dword v4, v112, s[0:3], 0 offen offset:8
	;; [unrolled: 1-line block ×3, first 2 shown]
	v_mov_b32_e32 v6, 0
	buffer_store_dword v6, off, s[0:3], 0 offset:64
	buffer_store_dword v6, off, s[0:3], 0 offset:68
	;; [unrolled: 1-line block ×4, first 2 shown]
	s_waitcnt vmcnt(4)
	ds_write_b128 v119, v[2:5]
.LBB83_125:
	s_or_b64 exec, exec, s[6:7]
	s_waitcnt lgkmcnt(0)
	; wave barrier
	s_waitcnt lgkmcnt(0)
	buffer_load_dword v2, off, s[0:3], 0 offset:80
	buffer_load_dword v3, off, s[0:3], 0 offset:84
	;; [unrolled: 1-line block ×64, first 2 shown]
	v_mov_b32_e32 v78, 0
	ds_read_b128 v[70:73], v78 offset:400
	ds_read_b128 v[74:77], v78 offset:416
	;; [unrolled: 1-line block ×7, first 2 shown]
	v_cmp_lt_u32_e32 vcc, 3, v118
	s_waitcnt vmcnt(60) lgkmcnt(6)
	v_mul_f64 v[96:97], v[70:71], v[6:7]
	v_fmac_f64_e32 v[96:97], v[72:73], v[2:3]
	v_add_f64 v[96:97], v[96:97], 0
	v_mul_f64 v[6:7], v[72:73], v[6:7]
	s_waitcnt vmcnt(56) lgkmcnt(5)
	v_mul_f64 v[98:99], v[74:75], v[8:9]
	v_fmac_f64_e32 v[98:99], v[76:77], v[4:5]
	s_waitcnt vmcnt(54) lgkmcnt(4)
	v_mul_f64 v[120:121], v[80:81], v[10:11]
	v_add_f64 v[96:97], v[96:97], v[98:99]
	v_fma_f64 v[2:3], v[70:71], v[2:3], -v[6:7]
	v_mul_f64 v[6:7], v[76:77], v[8:9]
	s_waitcnt vmcnt(50) lgkmcnt(3)
	v_mul_f64 v[122:123], v[84:85], v[16:17]
	s_waitcnt vmcnt(49) lgkmcnt(2)
	v_mul_f64 v[124:125], v[88:89], v[12:13]
	v_add_f64 v[2:3], v[2:3], 0
	s_waitcnt vmcnt(47)
	v_fmac_f64_e32 v[120:121], v[82:83], v[20:21]
	v_add_f64 v[96:97], v[96:97], v[120:121]
	s_waitcnt vmcnt(45)
	v_fmac_f64_e32 v[122:123], v[86:87], v[18:19]
	;; [unrolled: 3-line block ×3, first 2 shown]
	v_add_f64 v[120:121], v[96:97], v[124:125]
	ds_read_b128 v[96:99], v78 offset:496
	s_waitcnt vmcnt(40) lgkmcnt(2)
	v_mul_f64 v[122:123], v[92:93], v[26:27]
	v_fma_f64 v[4:5], v[74:75], v[4:5], -v[6:7]
	s_waitcnt vmcnt(38)
	v_fmac_f64_e32 v[122:123], v[94:95], v[28:29]
	v_add_f64 v[124:125], v[120:121], v[122:123]
	ds_read_b128 v[120:123], v78 offset:512
	s_waitcnt vmcnt(36) lgkmcnt(1)
	v_mul_f64 v[126:127], v[96:97], v[22:23]
	v_fmac_f64_e32 v[126:127], v[98:99], v[24:25]
	v_add_f64 v[2:3], v[2:3], v[4:5]
	v_mul_f64 v[4:5], v[82:83], v[10:11]
	v_add_f64 v[128:129], v[124:125], v[126:127]
	ds_read_b128 v[124:127], v78 offset:528
	s_waitcnt vmcnt(32) lgkmcnt(1)
	v_mul_f64 v[130:131], v[120:121], v[156:157]
	v_fma_f64 v[4:5], v[80:81], v[20:21], -v[4:5]
	s_waitcnt vmcnt(30)
	v_fmac_f64_e32 v[130:131], v[122:123], v[158:159]
	v_add_f64 v[2:3], v[2:3], v[4:5]
	v_mul_f64 v[4:5], v[86:87], v[16:17]
	v_add_f64 v[132:133], v[128:129], v[130:131]
	ds_read_b128 v[128:131], v78 offset:544
	v_fma_f64 v[4:5], v[84:85], v[18:19], -v[4:5]
	v_add_f64 v[2:3], v[2:3], v[4:5]
	v_mul_f64 v[4:5], v[90:91], v[12:13]
	v_fma_f64 v[4:5], v[88:89], v[14:15], -v[4:5]
	s_waitcnt vmcnt(28) lgkmcnt(1)
	v_mul_f64 v[134:135], v[124:125], v[152:153]
	v_add_f64 v[2:3], v[2:3], v[4:5]
	v_mul_f64 v[4:5], v[94:95], v[26:27]
	v_fmac_f64_e32 v[134:135], v[126:127], v[154:155]
	v_fma_f64 v[4:5], v[92:93], v[28:29], -v[4:5]
	v_add_f64 v[136:137], v[132:133], v[134:135]
	ds_read_b128 v[132:135], v78 offset:560
	s_waitcnt vmcnt(24) lgkmcnt(1)
	v_mul_f64 v[138:139], v[128:129], v[164:165]
	v_add_f64 v[2:3], v[2:3], v[4:5]
	v_mul_f64 v[4:5], v[98:99], v[22:23]
	s_waitcnt vmcnt(22)
	v_fmac_f64_e32 v[138:139], v[130:131], v[166:167]
	v_fma_f64 v[4:5], v[96:97], v[24:25], -v[4:5]
	v_add_f64 v[140:141], v[136:137], v[138:139]
	ds_read_b128 v[136:139], v78 offset:576
	v_add_f64 v[2:3], v[2:3], v[4:5]
	v_mul_f64 v[4:5], v[122:123], v[156:157]
	v_fma_f64 v[4:5], v[120:121], v[158:159], -v[4:5]
	v_add_f64 v[2:3], v[2:3], v[4:5]
	v_mul_f64 v[4:5], v[126:127], v[152:153]
	s_waitcnt vmcnt(20) lgkmcnt(1)
	v_mul_f64 v[142:143], v[132:133], v[160:161]
	v_fma_f64 v[4:5], v[124:125], v[154:155], -v[4:5]
	v_fmac_f64_e32 v[142:143], v[134:135], v[162:163]
	v_add_f64 v[2:3], v[2:3], v[4:5]
	v_mul_f64 v[4:5], v[130:131], v[164:165]
	v_add_f64 v[144:145], v[140:141], v[142:143]
	ds_read_b128 v[140:143], v78 offset:592
	s_waitcnt vmcnt(16) lgkmcnt(1)
	v_mul_f64 v[146:147], v[136:137], v[172:173]
	v_fma_f64 v[4:5], v[128:129], v[166:167], -v[4:5]
	s_waitcnt vmcnt(14)
	v_fmac_f64_e32 v[146:147], v[138:139], v[174:175]
	v_add_f64 v[2:3], v[2:3], v[4:5]
	v_mul_f64 v[4:5], v[134:135], v[160:161]
	v_add_f64 v[188:189], v[144:145], v[146:147]
	ds_read_b128 v[144:147], v78 offset:608
	v_fma_f64 v[4:5], v[132:133], v[162:163], -v[4:5]
	v_add_f64 v[2:3], v[2:3], v[4:5]
	v_mul_f64 v[4:5], v[138:139], v[172:173]
	v_fma_f64 v[4:5], v[136:137], v[174:175], -v[4:5]
	v_add_f64 v[2:3], v[2:3], v[4:5]
	s_waitcnt vmcnt(12) lgkmcnt(1)
	v_mul_f64 v[4:5], v[142:143], v[168:169]
	v_mul_f64 v[190:191], v[140:141], v[168:169]
	v_fma_f64 v[4:5], v[140:141], v[170:171], -v[4:5]
	v_fmac_f64_e32 v[190:191], v[142:143], v[170:171]
	v_add_f64 v[2:3], v[2:3], v[4:5]
	s_waitcnt vmcnt(8) lgkmcnt(0)
	v_mul_f64 v[4:5], v[146:147], v[180:181]
	v_add_f64 v[188:189], v[188:189], v[190:191]
	v_mul_f64 v[190:191], v[144:145], v[180:181]
	s_waitcnt vmcnt(6)
	v_fma_f64 v[4:5], v[144:145], v[182:183], -v[4:5]
	v_fmac_f64_e32 v[190:191], v[146:147], v[182:183]
	v_add_f64 v[2:3], v[2:3], v[4:5]
	s_waitcnt vmcnt(5)
	v_mul_f64 v[4:5], v[150:151], v[176:177]
	v_add_f64 v[188:189], v[188:189], v[190:191]
	v_mul_f64 v[190:191], v[148:149], v[176:177]
	s_waitcnt vmcnt(4)
	v_fma_f64 v[4:5], v[148:149], v[178:179], -v[4:5]
	v_fmac_f64_e32 v[190:191], v[150:151], v[178:179]
	v_add_f64 v[2:3], v[2:3], v[4:5]
	v_add_f64 v[188:189], v[188:189], v[190:191]
	s_waitcnt vmcnt(2)
	v_add_f64 v[2:3], v[184:185], -v[2:3]
	s_waitcnt vmcnt(0)
	v_add_f64 v[4:5], v[186:187], -v[188:189]
	buffer_store_dword v3, off, s[0:3], 0 offset:68
	buffer_store_dword v2, off, s[0:3], 0 offset:64
	;; [unrolled: 1-line block ×4, first 2 shown]
	s_and_saveexec_b64 s[6:7], vcc
	s_cbranch_execz .LBB83_127
; %bb.126:
	buffer_load_dword v2, v116, s[0:3], 0 offen
	buffer_load_dword v3, v116, s[0:3], 0 offen offset:4
	buffer_load_dword v4, v116, s[0:3], 0 offen offset:8
	;; [unrolled: 1-line block ×3, first 2 shown]
	s_nop 0
	buffer_store_dword v78, off, s[0:3], 0 offset:48
	buffer_store_dword v78, off, s[0:3], 0 offset:52
	;; [unrolled: 1-line block ×4, first 2 shown]
	s_waitcnt vmcnt(4)
	ds_write_b128 v119, v[2:5]
.LBB83_127:
	s_or_b64 exec, exec, s[6:7]
	s_waitcnt lgkmcnt(0)
	; wave barrier
	s_waitcnt lgkmcnt(0)
	buffer_load_dword v2, off, s[0:3], 0 offset:64
	buffer_load_dword v3, off, s[0:3], 0 offset:68
	;; [unrolled: 1-line block ×64, first 2 shown]
	ds_read_b128 v[80:83], v78 offset:384
	ds_read_b128 v[84:87], v78 offset:400
	;; [unrolled: 1-line block ×4, first 2 shown]
	buffer_load_dword v192, off, s[0:3], 0 offset:48
	buffer_load_dword v193, off, s[0:3], 0 offset:52
	;; [unrolled: 1-line block ×4, first 2 shown]
	v_cmp_lt_u32_e32 vcc, 2, v118
	ds_read_b128 v[160:163], v78 offset:624
	s_waitcnt vmcnt(62) lgkmcnt(4)
	v_mul_f64 v[96:97], v[80:81], v[4:5]
	v_fmac_f64_e32 v[96:97], v[82:83], v[2:3]
	s_waitcnt lgkmcnt(3)
	v_mul_f64 v[98:99], v[84:85], v[6:7]
	v_add_f64 v[96:97], v[96:97], 0
	s_waitcnt vmcnt(60) lgkmcnt(2)
	v_mul_f64 v[120:121], v[88:89], v[8:9]
	v_mul_f64 v[4:5], v[82:83], v[4:5]
	v_fma_f64 v[2:3], v[80:81], v[2:3], -v[4:5]
	v_mul_f64 v[4:5], v[86:87], v[6:7]
	s_waitcnt vmcnt(56) lgkmcnt(1)
	v_mul_f64 v[122:123], v[92:93], v[14:15]
	v_add_f64 v[2:3], v[2:3], 0
	s_waitcnt vmcnt(54)
	v_fmac_f64_e32 v[98:99], v[86:87], v[20:21]
	v_add_f64 v[124:125], v[96:97], v[98:99]
	ds_read_b128 v[96:99], v78 offset:448
	s_waitcnt vmcnt(52)
	v_fmac_f64_e32 v[120:121], v[90:91], v[18:19]
	v_add_f64 v[120:121], v[124:125], v[120:121]
	s_waitcnt vmcnt(50)
	v_fmac_f64_e32 v[122:123], v[94:95], v[16:17]
	v_add_f64 v[124:125], v[120:121], v[122:123]
	ds_read_b128 v[120:123], v78 offset:464
	s_waitcnt vmcnt(48) lgkmcnt(1)
	v_mul_f64 v[126:127], v[96:97], v[10:11]
	v_fmac_f64_e32 v[126:127], v[98:99], v[12:13]
	v_add_f64 v[128:129], v[124:125], v[126:127]
	ds_read_b128 v[124:127], v78 offset:480
	s_waitcnt vmcnt(44) lgkmcnt(1)
	v_mul_f64 v[130:131], v[120:121], v[26:27]
	s_waitcnt vmcnt(42)
	v_fmac_f64_e32 v[130:131], v[122:123], v[28:29]
	v_add_f64 v[132:133], v[128:129], v[130:131]
	ds_read_b128 v[128:131], v78 offset:496
	s_waitcnt vmcnt(40) lgkmcnt(1)
	v_mul_f64 v[134:135], v[124:125], v[22:23]
	v_fmac_f64_e32 v[134:135], v[126:127], v[24:25]
	v_add_f64 v[136:137], v[132:133], v[134:135]
	ds_read_b128 v[132:135], v78 offset:512
	v_fma_f64 v[4:5], v[84:85], v[20:21], -v[4:5]
	v_add_f64 v[2:3], v[2:3], v[4:5]
	v_mul_f64 v[4:5], v[90:91], v[8:9]
	s_waitcnt vmcnt(36) lgkmcnt(1)
	v_mul_f64 v[138:139], v[128:129], v[74:75]
	v_fma_f64 v[4:5], v[88:89], v[18:19], -v[4:5]
	s_waitcnt vmcnt(34)
	v_fmac_f64_e32 v[138:139], v[130:131], v[76:77]
	v_add_f64 v[2:3], v[2:3], v[4:5]
	v_mul_f64 v[4:5], v[94:95], v[14:15]
	v_add_f64 v[140:141], v[136:137], v[138:139]
	ds_read_b128 v[136:139], v78 offset:528
	s_waitcnt vmcnt(32) lgkmcnt(1)
	v_mul_f64 v[142:143], v[132:133], v[70:71]
	v_fma_f64 v[4:5], v[92:93], v[16:17], -v[4:5]
	v_fmac_f64_e32 v[142:143], v[134:135], v[72:73]
	v_add_f64 v[2:3], v[2:3], v[4:5]
	v_mul_f64 v[4:5], v[98:99], v[10:11]
	v_add_f64 v[144:145], v[140:141], v[142:143]
	ds_read_b128 v[140:143], v78 offset:544
	v_fma_f64 v[4:5], v[96:97], v[12:13], -v[4:5]
	v_add_f64 v[2:3], v[2:3], v[4:5]
	v_mul_f64 v[4:5], v[122:123], v[26:27]
	v_fma_f64 v[4:5], v[120:121], v[28:29], -v[4:5]
	s_waitcnt vmcnt(28) lgkmcnt(1)
	v_mul_f64 v[146:147], v[136:137], v[168:169]
	v_add_f64 v[2:3], v[2:3], v[4:5]
	v_mul_f64 v[4:5], v[126:127], v[22:23]
	s_waitcnt vmcnt(26)
	v_fmac_f64_e32 v[146:147], v[138:139], v[170:171]
	v_fma_f64 v[4:5], v[124:125], v[24:25], -v[4:5]
	v_add_f64 v[148:149], v[144:145], v[146:147]
	ds_read_b128 v[144:147], v78 offset:560
	s_waitcnt vmcnt(24) lgkmcnt(1)
	v_mul_f64 v[150:151], v[140:141], v[164:165]
	v_add_f64 v[2:3], v[2:3], v[4:5]
	v_mul_f64 v[4:5], v[130:131], v[74:75]
	v_fmac_f64_e32 v[150:151], v[142:143], v[166:167]
	v_fma_f64 v[4:5], v[128:129], v[76:77], -v[4:5]
	v_add_f64 v[152:153], v[148:149], v[150:151]
	ds_read_b128 v[148:151], v78 offset:576
	v_add_f64 v[2:3], v[2:3], v[4:5]
	v_mul_f64 v[4:5], v[134:135], v[70:71]
	v_fma_f64 v[4:5], v[132:133], v[72:73], -v[4:5]
	v_add_f64 v[2:3], v[2:3], v[4:5]
	v_mul_f64 v[4:5], v[138:139], v[168:169]
	s_waitcnt vmcnt(20) lgkmcnt(1)
	v_mul_f64 v[154:155], v[144:145], v[176:177]
	v_fma_f64 v[4:5], v[136:137], v[170:171], -v[4:5]
	s_waitcnt vmcnt(18)
	v_fmac_f64_e32 v[154:155], v[146:147], v[178:179]
	v_add_f64 v[2:3], v[2:3], v[4:5]
	v_mul_f64 v[4:5], v[142:143], v[164:165]
	v_add_f64 v[156:157], v[152:153], v[154:155]
	ds_read_b128 v[152:155], v78 offset:592
	s_waitcnt vmcnt(16) lgkmcnt(1)
	v_mul_f64 v[158:159], v[148:149], v[172:173]
	v_fma_f64 v[4:5], v[140:141], v[166:167], -v[4:5]
	v_fmac_f64_e32 v[158:159], v[150:151], v[174:175]
	v_add_f64 v[2:3], v[2:3], v[4:5]
	v_mul_f64 v[4:5], v[146:147], v[176:177]
	v_add_f64 v[196:197], v[156:157], v[158:159]
	ds_read_b128 v[156:159], v78 offset:608
	v_fma_f64 v[4:5], v[144:145], v[178:179], -v[4:5]
	v_add_f64 v[2:3], v[2:3], v[4:5]
	v_mul_f64 v[4:5], v[150:151], v[172:173]
	v_fma_f64 v[4:5], v[148:149], v[174:175], -v[4:5]
	v_add_f64 v[2:3], v[2:3], v[4:5]
	s_waitcnt vmcnt(12) lgkmcnt(1)
	v_mul_f64 v[4:5], v[154:155], v[184:185]
	v_mul_f64 v[198:199], v[152:153], v[184:185]
	s_waitcnt vmcnt(10)
	v_fma_f64 v[4:5], v[152:153], v[186:187], -v[4:5]
	v_fmac_f64_e32 v[198:199], v[154:155], v[186:187]
	v_add_f64 v[2:3], v[2:3], v[4:5]
	s_waitcnt vmcnt(8) lgkmcnt(0)
	v_mul_f64 v[4:5], v[158:159], v[180:181]
	v_add_f64 v[78:79], v[196:197], v[198:199]
	v_mul_f64 v[196:197], v[156:157], v[180:181]
	v_fma_f64 v[4:5], v[156:157], v[182:183], -v[4:5]
	v_fmac_f64_e32 v[196:197], v[158:159], v[182:183]
	v_add_f64 v[2:3], v[2:3], v[4:5]
	s_waitcnt vmcnt(6)
	v_mul_f64 v[4:5], v[162:163], v[188:189]
	v_add_f64 v[78:79], v[78:79], v[196:197]
	v_mul_f64 v[196:197], v[160:161], v[188:189]
	s_waitcnt vmcnt(4)
	v_fma_f64 v[4:5], v[160:161], v[190:191], -v[4:5]
	v_fmac_f64_e32 v[196:197], v[162:163], v[190:191]
	v_add_f64 v[2:3], v[2:3], v[4:5]
	v_add_f64 v[78:79], v[78:79], v[196:197]
	s_waitcnt vmcnt(2)
	v_add_f64 v[2:3], v[192:193], -v[2:3]
	s_waitcnt vmcnt(0)
	v_add_f64 v[4:5], v[194:195], -v[78:79]
	buffer_store_dword v3, off, s[0:3], 0 offset:52
	buffer_store_dword v2, off, s[0:3], 0 offset:48
	;; [unrolled: 1-line block ×4, first 2 shown]
	s_and_saveexec_b64 s[6:7], vcc
	s_cbranch_execz .LBB83_129
; %bb.128:
	buffer_load_dword v2, v117, s[0:3], 0 offen
	buffer_load_dword v3, v117, s[0:3], 0 offen offset:4
	buffer_load_dword v4, v117, s[0:3], 0 offen offset:8
	;; [unrolled: 1-line block ×3, first 2 shown]
	v_mov_b32_e32 v6, 0
	buffer_store_dword v6, off, s[0:3], 0 offset:32
	buffer_store_dword v6, off, s[0:3], 0 offset:36
	;; [unrolled: 1-line block ×4, first 2 shown]
	s_waitcnt vmcnt(4)
	ds_write_b128 v119, v[2:5]
.LBB83_129:
	s_or_b64 exec, exec, s[6:7]
	s_waitcnt lgkmcnt(0)
	; wave barrier
	s_waitcnt lgkmcnt(0)
	buffer_load_dword v2, off, s[0:3], 0 offset:48
	buffer_load_dword v3, off, s[0:3], 0 offset:52
	;; [unrolled: 1-line block ×68, first 2 shown]
	v_mov_b32_e32 v86, 0
	ds_read_b128 v[82:85], v86 offset:368
	ds_read_b128 v[88:91], v86 offset:384
	buffer_load_dword v200, off, s[0:3], 0 offset:32
	buffer_load_dword v201, off, s[0:3], 0 offset:36
	;; [unrolled: 1-line block ×4, first 2 shown]
	ds_read_b128 v[92:95], v86 offset:400
	ds_read_b128 v[96:99], v86 offset:416
	;; [unrolled: 1-line block ×3, first 2 shown]
	v_cmp_lt_u32_e32 vcc, 1, v118
	s_waitcnt vmcnt(62) lgkmcnt(4)
	v_mul_f64 v[120:121], v[82:83], v[8:9]
	v_fmac_f64_e32 v[120:121], v[84:85], v[2:3]
	v_add_f64 v[120:121], v[120:121], 0
	v_mul_f64 v[8:9], v[84:85], v[8:9]
	s_waitcnt lgkmcnt(3)
	v_mul_f64 v[122:123], v[88:89], v[10:11]
	v_fmac_f64_e32 v[122:123], v[90:91], v[4:5]
	v_add_f64 v[120:121], v[120:121], v[122:123]
	v_fma_f64 v[2:3], v[82:83], v[2:3], -v[8:9]
	s_waitcnt vmcnt(60) lgkmcnt(2)
	v_mul_f64 v[122:123], v[92:93], v[12:13]
	v_fmac_f64_e32 v[122:123], v[94:95], v[6:7]
	v_add_f64 v[124:125], v[120:121], v[122:123]
	ds_read_b128 v[120:123], v86 offset:432
	s_waitcnt vmcnt(56) lgkmcnt(2)
	v_mul_f64 v[126:127], v[96:97], v[18:19]
	v_mul_f64 v[8:9], v[90:91], v[10:11]
	s_waitcnt vmcnt(54)
	v_fmac_f64_e32 v[126:127], v[98:99], v[20:21]
	v_add_f64 v[128:129], v[124:125], v[126:127]
	ds_read_b128 v[124:127], v86 offset:448
	s_waitcnt vmcnt(52) lgkmcnt(1)
	v_mul_f64 v[130:131], v[120:121], v[14:15]
	v_fmac_f64_e32 v[130:131], v[122:123], v[16:17]
	v_add_f64 v[132:133], v[128:129], v[130:131]
	ds_read_b128 v[128:131], v86 offset:464
	s_waitcnt vmcnt(48) lgkmcnt(1)
	v_mul_f64 v[134:135], v[124:125], v[26:27]
	s_waitcnt vmcnt(46)
	v_fmac_f64_e32 v[134:135], v[126:127], v[28:29]
	v_add_f64 v[136:137], v[132:133], v[134:135]
	ds_read_b128 v[132:135], v86 offset:480
	s_waitcnt vmcnt(44) lgkmcnt(1)
	v_mul_f64 v[138:139], v[128:129], v[22:23]
	v_fmac_f64_e32 v[138:139], v[130:131], v[24:25]
	v_add_f64 v[140:141], v[136:137], v[138:139]
	ds_read_b128 v[136:139], v86 offset:496
	s_waitcnt vmcnt(40) lgkmcnt(1)
	v_mul_f64 v[142:143], v[132:133], v[74:75]
	s_waitcnt vmcnt(38)
	v_fmac_f64_e32 v[142:143], v[134:135], v[76:77]
	v_add_f64 v[2:3], v[2:3], 0
	v_fma_f64 v[4:5], v[88:89], v[4:5], -v[8:9]
	v_add_f64 v[144:145], v[140:141], v[142:143]
	ds_read_b128 v[140:143], v86 offset:512
	v_add_f64 v[2:3], v[2:3], v[4:5]
	v_mul_f64 v[4:5], v[94:95], v[12:13]
	v_fma_f64 v[4:5], v[92:93], v[6:7], -v[4:5]
	v_add_f64 v[2:3], v[2:3], v[4:5]
	v_mul_f64 v[4:5], v[98:99], v[18:19]
	s_waitcnt vmcnt(36) lgkmcnt(1)
	v_mul_f64 v[146:147], v[136:137], v[70:71]
	v_fma_f64 v[4:5], v[96:97], v[20:21], -v[4:5]
	v_fmac_f64_e32 v[146:147], v[138:139], v[72:73]
	v_add_f64 v[2:3], v[2:3], v[4:5]
	v_mul_f64 v[4:5], v[122:123], v[14:15]
	v_add_f64 v[148:149], v[144:145], v[146:147]
	ds_read_b128 v[144:147], v86 offset:528
	s_waitcnt vmcnt(32) lgkmcnt(1)
	v_mul_f64 v[150:151], v[140:141], v[172:173]
	v_fma_f64 v[4:5], v[120:121], v[16:17], -v[4:5]
	s_waitcnt vmcnt(30)
	v_fmac_f64_e32 v[150:151], v[142:143], v[174:175]
	v_add_f64 v[2:3], v[2:3], v[4:5]
	v_mul_f64 v[4:5], v[126:127], v[26:27]
	v_add_f64 v[152:153], v[148:149], v[150:151]
	ds_read_b128 v[148:151], v86 offset:544
	v_fma_f64 v[4:5], v[124:125], v[28:29], -v[4:5]
	v_add_f64 v[2:3], v[2:3], v[4:5]
	v_mul_f64 v[4:5], v[130:131], v[22:23]
	v_fma_f64 v[4:5], v[128:129], v[24:25], -v[4:5]
	s_waitcnt vmcnt(28) lgkmcnt(1)
	v_mul_f64 v[154:155], v[144:145], v[78:79]
	v_add_f64 v[2:3], v[2:3], v[4:5]
	v_mul_f64 v[4:5], v[134:135], v[74:75]
	v_fmac_f64_e32 v[154:155], v[146:147], v[80:81]
	v_fma_f64 v[4:5], v[132:133], v[76:77], -v[4:5]
	v_add_f64 v[156:157], v[152:153], v[154:155]
	ds_read_b128 v[152:155], v86 offset:560
	s_waitcnt vmcnt(24) lgkmcnt(1)
	v_mul_f64 v[158:159], v[148:149], v[180:181]
	v_add_f64 v[2:3], v[2:3], v[4:5]
	v_mul_f64 v[4:5], v[138:139], v[70:71]
	s_waitcnt vmcnt(22)
	v_fmac_f64_e32 v[158:159], v[150:151], v[182:183]
	v_fma_f64 v[4:5], v[136:137], v[72:73], -v[4:5]
	v_add_f64 v[160:161], v[156:157], v[158:159]
	ds_read_b128 v[156:159], v86 offset:576
	v_add_f64 v[2:3], v[2:3], v[4:5]
	v_mul_f64 v[4:5], v[142:143], v[172:173]
	v_fma_f64 v[4:5], v[140:141], v[174:175], -v[4:5]
	v_add_f64 v[2:3], v[2:3], v[4:5]
	v_mul_f64 v[4:5], v[146:147], v[78:79]
	s_waitcnt vmcnt(20) lgkmcnt(1)
	v_mul_f64 v[162:163], v[152:153], v[176:177]
	v_fma_f64 v[4:5], v[144:145], v[80:81], -v[4:5]
	v_fmac_f64_e32 v[162:163], v[154:155], v[178:179]
	v_add_f64 v[2:3], v[2:3], v[4:5]
	v_mul_f64 v[4:5], v[150:151], v[180:181]
	v_add_f64 v[164:165], v[160:161], v[162:163]
	ds_read_b128 v[160:163], v86 offset:592
	s_waitcnt vmcnt(16) lgkmcnt(1)
	v_mul_f64 v[166:167], v[156:157], v[188:189]
	v_fma_f64 v[4:5], v[148:149], v[182:183], -v[4:5]
	s_waitcnt vmcnt(14)
	v_fmac_f64_e32 v[166:167], v[158:159], v[190:191]
	v_add_f64 v[2:3], v[2:3], v[4:5]
	v_mul_f64 v[4:5], v[154:155], v[176:177]
	v_add_f64 v[204:205], v[164:165], v[166:167]
	ds_read_b128 v[164:167], v86 offset:608
	v_fma_f64 v[4:5], v[152:153], v[178:179], -v[4:5]
	v_add_f64 v[2:3], v[2:3], v[4:5]
	v_mul_f64 v[4:5], v[158:159], v[188:189]
	v_fma_f64 v[4:5], v[156:157], v[190:191], -v[4:5]
	v_add_f64 v[2:3], v[2:3], v[4:5]
	s_waitcnt vmcnt(12) lgkmcnt(1)
	v_mul_f64 v[4:5], v[162:163], v[184:185]
	v_mul_f64 v[206:207], v[160:161], v[184:185]
	v_fma_f64 v[4:5], v[160:161], v[186:187], -v[4:5]
	v_fmac_f64_e32 v[206:207], v[162:163], v[186:187]
	v_add_f64 v[2:3], v[2:3], v[4:5]
	s_waitcnt vmcnt(8) lgkmcnt(0)
	v_mul_f64 v[4:5], v[166:167], v[196:197]
	v_add_f64 v[204:205], v[204:205], v[206:207]
	v_mul_f64 v[206:207], v[164:165], v[196:197]
	s_waitcnt vmcnt(6)
	v_fma_f64 v[4:5], v[164:165], v[198:199], -v[4:5]
	v_fmac_f64_e32 v[206:207], v[166:167], v[198:199]
	v_add_f64 v[2:3], v[2:3], v[4:5]
	s_waitcnt vmcnt(5)
	v_mul_f64 v[4:5], v[170:171], v[192:193]
	v_add_f64 v[204:205], v[204:205], v[206:207]
	v_mul_f64 v[206:207], v[168:169], v[192:193]
	s_waitcnt vmcnt(4)
	v_fma_f64 v[4:5], v[168:169], v[194:195], -v[4:5]
	v_fmac_f64_e32 v[206:207], v[170:171], v[194:195]
	v_add_f64 v[2:3], v[2:3], v[4:5]
	v_add_f64 v[204:205], v[204:205], v[206:207]
	s_waitcnt vmcnt(2)
	v_add_f64 v[2:3], v[200:201], -v[2:3]
	s_waitcnt vmcnt(0)
	v_add_f64 v[4:5], v[202:203], -v[204:205]
	buffer_store_dword v3, off, s[0:3], 0 offset:36
	buffer_store_dword v2, off, s[0:3], 0 offset:32
	;; [unrolled: 1-line block ×4, first 2 shown]
	s_and_saveexec_b64 s[6:7], vcc
	s_cbranch_execz .LBB83_131
; %bb.130:
	buffer_load_dword v2, v115, s[0:3], 0 offen
	buffer_load_dword v3, v115, s[0:3], 0 offen offset:4
	buffer_load_dword v4, v115, s[0:3], 0 offen offset:8
	;; [unrolled: 1-line block ×3, first 2 shown]
	s_nop 0
	buffer_store_dword v86, off, s[0:3], 0 offset:16
	buffer_store_dword v86, off, s[0:3], 0 offset:20
	;; [unrolled: 1-line block ×4, first 2 shown]
	s_waitcnt vmcnt(4)
	ds_write_b128 v119, v[2:5]
.LBB83_131:
	s_or_b64 exec, exec, s[6:7]
	s_waitcnt lgkmcnt(0)
	; wave barrier
	s_waitcnt lgkmcnt(0)
	buffer_load_dword v2, off, s[0:3], 0 offset:32
	buffer_load_dword v3, off, s[0:3], 0 offset:36
	;; [unrolled: 1-line block ×72, first 2 shown]
	ds_read_b128 v[88:91], v86 offset:352
	buffer_load_dword v208, off, s[0:3], 0 offset:16
	buffer_load_dword v209, off, s[0:3], 0 offset:20
	;; [unrolled: 1-line block ×4, first 2 shown]
	ds_read_b128 v[92:95], v86 offset:368
	ds_read_b128 v[96:99], v86 offset:384
	;; [unrolled: 1-line block ×3, first 2 shown]
	v_cmp_ne_u32_e32 vcc, 0, v118
	ds_read_b128 v[176:179], v86 offset:624
	s_waitcnt vmcnt(62) lgkmcnt(4)
	v_mul_f64 v[124:125], v[88:89], v[8:9]
	v_fmac_f64_e32 v[124:125], v[90:91], v[2:3]
	v_add_f64 v[124:125], v[124:125], 0
	v_mul_f64 v[8:9], v[90:91], v[8:9]
	s_waitcnt lgkmcnt(3)
	v_mul_f64 v[126:127], v[92:93], v[10:11]
	v_fmac_f64_e32 v[126:127], v[94:95], v[4:5]
	v_add_f64 v[124:125], v[124:125], v[126:127]
	v_fma_f64 v[2:3], v[88:89], v[2:3], -v[8:9]
	s_waitcnt lgkmcnt(2)
	v_mul_f64 v[126:127], v[96:97], v[12:13]
	v_fmac_f64_e32 v[126:127], v[98:99], v[6:7]
	v_add_f64 v[128:129], v[124:125], v[126:127]
	ds_read_b128 v[124:127], v86 offset:416
	s_waitcnt vmcnt(60) lgkmcnt(2)
	v_mul_f64 v[130:131], v[120:121], v[18:19]
	v_mul_f64 v[8:9], v[94:95], v[10:11]
	s_waitcnt vmcnt(58)
	v_fmac_f64_e32 v[130:131], v[122:123], v[20:21]
	v_add_f64 v[132:133], v[128:129], v[130:131]
	ds_read_b128 v[128:131], v86 offset:432
	s_waitcnt vmcnt(56) lgkmcnt(1)
	v_mul_f64 v[134:135], v[124:125], v[14:15]
	v_fmac_f64_e32 v[134:135], v[126:127], v[16:17]
	v_add_f64 v[136:137], v[132:133], v[134:135]
	ds_read_b128 v[132:135], v86 offset:448
	s_waitcnt vmcnt(52) lgkmcnt(1)
	v_mul_f64 v[138:139], v[128:129], v[26:27]
	s_waitcnt vmcnt(50)
	v_fmac_f64_e32 v[138:139], v[130:131], v[28:29]
	v_add_f64 v[140:141], v[136:137], v[138:139]
	ds_read_b128 v[136:139], v86 offset:464
	s_waitcnt vmcnt(48) lgkmcnt(1)
	v_mul_f64 v[142:143], v[132:133], v[22:23]
	v_fmac_f64_e32 v[142:143], v[134:135], v[24:25]
	v_add_f64 v[144:145], v[140:141], v[142:143]
	ds_read_b128 v[140:143], v86 offset:480
	s_waitcnt vmcnt(44) lgkmcnt(1)
	v_mul_f64 v[146:147], v[136:137], v[74:75]
	s_waitcnt vmcnt(42)
	v_fmac_f64_e32 v[146:147], v[138:139], v[76:77]
	v_add_f64 v[2:3], v[2:3], 0
	v_fma_f64 v[4:5], v[92:93], v[4:5], -v[8:9]
	v_add_f64 v[148:149], v[144:145], v[146:147]
	ds_read_b128 v[144:147], v86 offset:496
	s_waitcnt vmcnt(40) lgkmcnt(1)
	v_mul_f64 v[150:151], v[140:141], v[70:71]
	v_add_f64 v[2:3], v[2:3], v[4:5]
	v_mul_f64 v[4:5], v[98:99], v[12:13]
	v_fmac_f64_e32 v[150:151], v[142:143], v[72:73]
	v_fma_f64 v[4:5], v[96:97], v[6:7], -v[4:5]
	v_add_f64 v[152:153], v[148:149], v[150:151]
	ds_read_b128 v[148:151], v86 offset:512
	v_add_f64 v[2:3], v[2:3], v[4:5]
	v_mul_f64 v[4:5], v[122:123], v[18:19]
	v_fma_f64 v[4:5], v[120:121], v[20:21], -v[4:5]
	v_add_f64 v[2:3], v[2:3], v[4:5]
	v_mul_f64 v[4:5], v[126:127], v[14:15]
	s_waitcnt vmcnt(36) lgkmcnt(1)
	v_mul_f64 v[154:155], v[144:145], v[82:83]
	v_fma_f64 v[4:5], v[124:125], v[16:17], -v[4:5]
	s_waitcnt vmcnt(34)
	v_fmac_f64_e32 v[154:155], v[146:147], v[84:85]
	v_add_f64 v[2:3], v[2:3], v[4:5]
	v_mul_f64 v[4:5], v[130:131], v[26:27]
	v_add_f64 v[156:157], v[152:153], v[154:155]
	ds_read_b128 v[152:155], v86 offset:528
	s_waitcnt vmcnt(32) lgkmcnt(1)
	v_mul_f64 v[158:159], v[148:149], v[78:79]
	v_fma_f64 v[4:5], v[128:129], v[28:29], -v[4:5]
	v_fmac_f64_e32 v[158:159], v[150:151], v[80:81]
	v_add_f64 v[2:3], v[2:3], v[4:5]
	v_mul_f64 v[4:5], v[134:135], v[22:23]
	v_add_f64 v[160:161], v[156:157], v[158:159]
	ds_read_b128 v[156:159], v86 offset:544
	v_fma_f64 v[4:5], v[132:133], v[24:25], -v[4:5]
	v_add_f64 v[2:3], v[2:3], v[4:5]
	v_mul_f64 v[4:5], v[138:139], v[74:75]
	v_fma_f64 v[4:5], v[136:137], v[76:77], -v[4:5]
	s_waitcnt vmcnt(28) lgkmcnt(1)
	v_mul_f64 v[162:163], v[152:153], v[184:185]
	v_add_f64 v[2:3], v[2:3], v[4:5]
	v_mul_f64 v[4:5], v[142:143], v[70:71]
	s_waitcnt vmcnt(26)
	v_fmac_f64_e32 v[162:163], v[154:155], v[186:187]
	v_fma_f64 v[4:5], v[140:141], v[72:73], -v[4:5]
	v_add_f64 v[164:165], v[160:161], v[162:163]
	ds_read_b128 v[160:163], v86 offset:560
	s_waitcnt vmcnt(24) lgkmcnt(1)
	v_mul_f64 v[166:167], v[156:157], v[180:181]
	v_add_f64 v[2:3], v[2:3], v[4:5]
	v_mul_f64 v[4:5], v[146:147], v[82:83]
	v_fmac_f64_e32 v[166:167], v[158:159], v[182:183]
	v_fma_f64 v[4:5], v[144:145], v[84:85], -v[4:5]
	v_add_f64 v[168:169], v[164:165], v[166:167]
	ds_read_b128 v[164:167], v86 offset:576
	v_add_f64 v[2:3], v[2:3], v[4:5]
	v_mul_f64 v[4:5], v[150:151], v[78:79]
	v_fma_f64 v[4:5], v[148:149], v[80:81], -v[4:5]
	v_add_f64 v[2:3], v[2:3], v[4:5]
	v_mul_f64 v[4:5], v[154:155], v[184:185]
	s_waitcnt vmcnt(20) lgkmcnt(1)
	v_mul_f64 v[170:171], v[160:161], v[192:193]
	v_fma_f64 v[4:5], v[152:153], v[186:187], -v[4:5]
	s_waitcnt vmcnt(18)
	v_fmac_f64_e32 v[170:171], v[162:163], v[194:195]
	v_add_f64 v[2:3], v[2:3], v[4:5]
	v_mul_f64 v[4:5], v[158:159], v[180:181]
	v_add_f64 v[172:173], v[168:169], v[170:171]
	ds_read_b128 v[168:171], v86 offset:592
	s_waitcnt vmcnt(16) lgkmcnt(1)
	v_mul_f64 v[174:175], v[164:165], v[188:189]
	v_fma_f64 v[4:5], v[156:157], v[182:183], -v[4:5]
	v_fmac_f64_e32 v[174:175], v[166:167], v[190:191]
	v_add_f64 v[2:3], v[2:3], v[4:5]
	v_mul_f64 v[4:5], v[162:163], v[192:193]
	v_add_f64 v[212:213], v[172:173], v[174:175]
	ds_read_b128 v[172:175], v86 offset:608
	v_fma_f64 v[4:5], v[160:161], v[194:195], -v[4:5]
	v_add_f64 v[2:3], v[2:3], v[4:5]
	v_mul_f64 v[4:5], v[166:167], v[188:189]
	v_fma_f64 v[4:5], v[164:165], v[190:191], -v[4:5]
	v_add_f64 v[2:3], v[2:3], v[4:5]
	s_waitcnt vmcnt(12) lgkmcnt(1)
	v_mul_f64 v[4:5], v[170:171], v[200:201]
	v_mul_f64 v[214:215], v[168:169], v[200:201]
	s_waitcnt vmcnt(10)
	v_fma_f64 v[4:5], v[168:169], v[202:203], -v[4:5]
	v_fmac_f64_e32 v[214:215], v[170:171], v[202:203]
	v_add_f64 v[2:3], v[2:3], v[4:5]
	s_waitcnt vmcnt(8) lgkmcnt(0)
	v_mul_f64 v[4:5], v[174:175], v[196:197]
	v_add_f64 v[86:87], v[212:213], v[214:215]
	v_mul_f64 v[212:213], v[172:173], v[196:197]
	v_fma_f64 v[4:5], v[172:173], v[198:199], -v[4:5]
	v_fmac_f64_e32 v[212:213], v[174:175], v[198:199]
	v_add_f64 v[2:3], v[2:3], v[4:5]
	s_waitcnt vmcnt(6)
	v_mul_f64 v[4:5], v[178:179], v[204:205]
	v_add_f64 v[86:87], v[86:87], v[212:213]
	v_mul_f64 v[212:213], v[176:177], v[204:205]
	s_waitcnt vmcnt(4)
	v_fma_f64 v[4:5], v[176:177], v[206:207], -v[4:5]
	v_fmac_f64_e32 v[212:213], v[178:179], v[206:207]
	v_add_f64 v[2:3], v[2:3], v[4:5]
	v_add_f64 v[86:87], v[86:87], v[212:213]
	s_waitcnt vmcnt(2)
	v_add_f64 v[2:3], v[208:209], -v[2:3]
	s_waitcnt vmcnt(0)
	v_add_f64 v[4:5], v[210:211], -v[86:87]
	buffer_store_dword v3, off, s[0:3], 0 offset:20
	buffer_store_dword v2, off, s[0:3], 0 offset:16
	;; [unrolled: 1-line block ×4, first 2 shown]
	s_and_saveexec_b64 s[6:7], vcc
	s_cbranch_execz .LBB83_133
; %bb.132:
	buffer_load_dword v2, off, s[0:3], 0
	buffer_load_dword v3, off, s[0:3], 0 offset:4
	buffer_load_dword v4, off, s[0:3], 0 offset:8
	buffer_load_dword v5, off, s[0:3], 0 offset:12
	v_mov_b32_e32 v6, 0
	buffer_store_dword v6, off, s[0:3], 0
	buffer_store_dword v6, off, s[0:3], 0 offset:4
	buffer_store_dword v6, off, s[0:3], 0 offset:8
	;; [unrolled: 1-line block ×3, first 2 shown]
	s_waitcnt vmcnt(4)
	ds_write_b128 v119, v[2:5]
.LBB83_133:
	s_or_b64 exec, exec, s[6:7]
	s_waitcnt lgkmcnt(0)
	; wave barrier
	s_waitcnt lgkmcnt(0)
	buffer_load_dword v2, off, s[0:3], 0 offset:16
	buffer_load_dword v3, off, s[0:3], 0 offset:20
	;; [unrolled: 1-line block ×76, first 2 shown]
	v_mov_b32_e32 v119, 0
	ds_read_b128 v[94:97], v119 offset:336
	buffer_load_dword v214, off, s[0:3], 0
	buffer_load_dword v215, off, s[0:3], 0 offset:4
	buffer_load_dword v216, off, s[0:3], 0 offset:8
	;; [unrolled: 1-line block ×3, first 2 shown]
	ds_read_b128 v[120:123], v119 offset:352
	ds_read_b128 v[124:127], v119 offset:368
	;; [unrolled: 1-line block ×4, first 2 shown]
	s_and_b64 vcc, exec, s[18:19]
	s_waitcnt vmcnt(62) lgkmcnt(4)
	v_mul_f64 v[132:133], v[94:95], v[8:9]
	v_fmac_f64_e32 v[132:133], v[96:97], v[2:3]
	v_add_f64 v[132:133], v[132:133], 0
	v_mul_f64 v[8:9], v[96:97], v[8:9]
	s_waitcnt lgkmcnt(3)
	v_mul_f64 v[134:135], v[120:121], v[10:11]
	v_fmac_f64_e32 v[134:135], v[122:123], v[4:5]
	v_add_f64 v[132:133], v[132:133], v[134:135]
	v_fma_f64 v[2:3], v[94:95], v[2:3], -v[8:9]
	s_waitcnt lgkmcnt(2)
	v_mul_f64 v[134:135], v[124:125], v[12:13]
	v_fmac_f64_e32 v[134:135], v[126:127], v[6:7]
	v_add_f64 v[136:137], v[132:133], v[134:135]
	ds_read_b128 v[132:135], v119 offset:400
	s_waitcnt lgkmcnt(2)
	v_mul_f64 v[138:139], v[128:129], v[18:19]
	v_mul_f64 v[8:9], v[122:123], v[10:11]
	v_fmac_f64_e32 v[138:139], v[130:131], v[20:21]
	v_add_f64 v[140:141], v[136:137], v[138:139]
	ds_read_b128 v[136:139], v119 offset:416
	s_waitcnt vmcnt(60) lgkmcnt(1)
	v_mul_f64 v[142:143], v[132:133], v[14:15]
	v_fmac_f64_e32 v[142:143], v[134:135], v[16:17]
	v_add_f64 v[144:145], v[140:141], v[142:143]
	ds_read_b128 v[140:143], v119 offset:432
	s_waitcnt vmcnt(56) lgkmcnt(1)
	v_mul_f64 v[146:147], v[136:137], v[26:27]
	s_waitcnt vmcnt(54)
	v_fmac_f64_e32 v[146:147], v[138:139], v[28:29]
	v_add_f64 v[148:149], v[144:145], v[146:147]
	ds_read_b128 v[144:147], v119 offset:448
	s_waitcnt vmcnt(52) lgkmcnt(1)
	v_mul_f64 v[150:151], v[140:141], v[22:23]
	v_fmac_f64_e32 v[150:151], v[142:143], v[24:25]
	v_add_f64 v[152:153], v[148:149], v[150:151]
	ds_read_b128 v[148:151], v119 offset:464
	s_waitcnt vmcnt(48) lgkmcnt(1)
	v_mul_f64 v[154:155], v[144:145], v[74:75]
	s_waitcnt vmcnt(46)
	v_fmac_f64_e32 v[154:155], v[146:147], v[76:77]
	v_add_f64 v[156:157], v[152:153], v[154:155]
	ds_read_b128 v[152:155], v119 offset:480
	v_add_f64 v[2:3], v[2:3], 0
	v_fma_f64 v[4:5], v[120:121], v[4:5], -v[8:9]
	s_waitcnt vmcnt(44) lgkmcnt(1)
	v_mul_f64 v[158:159], v[148:149], v[70:71]
	v_add_f64 v[2:3], v[2:3], v[4:5]
	v_mul_f64 v[4:5], v[126:127], v[12:13]
	v_fmac_f64_e32 v[158:159], v[150:151], v[72:73]
	v_fma_f64 v[4:5], v[124:125], v[6:7], -v[4:5]
	v_add_f64 v[160:161], v[156:157], v[158:159]
	ds_read_b128 v[156:159], v119 offset:496
	s_waitcnt vmcnt(40) lgkmcnt(1)
	v_mul_f64 v[162:163], v[152:153], v[82:83]
	v_add_f64 v[2:3], v[2:3], v[4:5]
	v_mul_f64 v[4:5], v[130:131], v[18:19]
	s_waitcnt vmcnt(38)
	v_fmac_f64_e32 v[162:163], v[154:155], v[84:85]
	v_fma_f64 v[4:5], v[128:129], v[20:21], -v[4:5]
	v_add_f64 v[164:165], v[160:161], v[162:163]
	ds_read_b128 v[160:163], v119 offset:512
	v_add_f64 v[2:3], v[2:3], v[4:5]
	v_mul_f64 v[4:5], v[134:135], v[14:15]
	v_fma_f64 v[4:5], v[132:133], v[16:17], -v[4:5]
	v_add_f64 v[2:3], v[2:3], v[4:5]
	v_mul_f64 v[4:5], v[138:139], v[26:27]
	s_waitcnt vmcnt(36) lgkmcnt(1)
	v_mul_f64 v[166:167], v[156:157], v[78:79]
	v_fma_f64 v[4:5], v[136:137], v[28:29], -v[4:5]
	v_fmac_f64_e32 v[166:167], v[158:159], v[80:81]
	v_add_f64 v[2:3], v[2:3], v[4:5]
	v_mul_f64 v[4:5], v[142:143], v[22:23]
	v_add_f64 v[168:169], v[164:165], v[166:167]
	ds_read_b128 v[164:167], v119 offset:528
	s_waitcnt vmcnt(32) lgkmcnt(1)
	v_mul_f64 v[170:171], v[160:161], v[90:91]
	v_fma_f64 v[4:5], v[140:141], v[24:25], -v[4:5]
	s_waitcnt vmcnt(30)
	v_fmac_f64_e32 v[170:171], v[162:163], v[92:93]
	v_add_f64 v[2:3], v[2:3], v[4:5]
	v_mul_f64 v[4:5], v[146:147], v[74:75]
	v_add_f64 v[172:173], v[168:169], v[170:171]
	ds_read_b128 v[168:171], v119 offset:544
	v_fma_f64 v[4:5], v[144:145], v[76:77], -v[4:5]
	v_add_f64 v[2:3], v[2:3], v[4:5]
	v_mul_f64 v[4:5], v[150:151], v[70:71]
	v_fma_f64 v[4:5], v[148:149], v[72:73], -v[4:5]
	s_waitcnt vmcnt(28) lgkmcnt(1)
	v_mul_f64 v[174:175], v[164:165], v[86:87]
	v_add_f64 v[2:3], v[2:3], v[4:5]
	v_mul_f64 v[4:5], v[154:155], v[82:83]
	v_fmac_f64_e32 v[174:175], v[166:167], v[88:89]
	v_fma_f64 v[4:5], v[152:153], v[84:85], -v[4:5]
	v_add_f64 v[176:177], v[172:173], v[174:175]
	ds_read_b128 v[172:175], v119 offset:560
	s_waitcnt vmcnt(24) lgkmcnt(1)
	v_mul_f64 v[178:179], v[168:169], v[194:195]
	v_add_f64 v[2:3], v[2:3], v[4:5]
	v_mul_f64 v[4:5], v[158:159], v[78:79]
	s_waitcnt vmcnt(22)
	v_fmac_f64_e32 v[178:179], v[170:171], v[196:197]
	v_fma_f64 v[4:5], v[156:157], v[80:81], -v[4:5]
	v_add_f64 v[180:181], v[176:177], v[178:179]
	ds_read_b128 v[176:179], v119 offset:576
	v_add_f64 v[2:3], v[2:3], v[4:5]
	v_mul_f64 v[4:5], v[162:163], v[90:91]
	v_fma_f64 v[4:5], v[160:161], v[92:93], -v[4:5]
	v_add_f64 v[2:3], v[2:3], v[4:5]
	v_mul_f64 v[4:5], v[166:167], v[86:87]
	s_waitcnt vmcnt(20) lgkmcnt(1)
	v_mul_f64 v[182:183], v[172:173], v[98:99]
	v_fma_f64 v[4:5], v[164:165], v[88:89], -v[4:5]
	v_fmac_f64_e32 v[182:183], v[174:175], v[192:193]
	v_add_f64 v[2:3], v[2:3], v[4:5]
	v_mul_f64 v[4:5], v[170:171], v[194:195]
	v_add_f64 v[184:185], v[180:181], v[182:183]
	ds_read_b128 v[180:183], v119 offset:592
	s_waitcnt vmcnt(16) lgkmcnt(1)
	v_mul_f64 v[186:187], v[176:177], v[202:203]
	v_fma_f64 v[4:5], v[168:169], v[196:197], -v[4:5]
	s_waitcnt vmcnt(14)
	v_fmac_f64_e32 v[186:187], v[178:179], v[204:205]
	v_add_f64 v[2:3], v[2:3], v[4:5]
	v_mul_f64 v[4:5], v[174:175], v[98:99]
	v_add_f64 v[218:219], v[184:185], v[186:187]
	ds_read_b128 v[184:187], v119 offset:608
	v_fma_f64 v[4:5], v[172:173], v[192:193], -v[4:5]
	v_add_f64 v[2:3], v[2:3], v[4:5]
	v_mul_f64 v[4:5], v[178:179], v[202:203]
	v_fma_f64 v[4:5], v[176:177], v[204:205], -v[4:5]
	v_add_f64 v[2:3], v[2:3], v[4:5]
	s_waitcnt vmcnt(12) lgkmcnt(1)
	v_mul_f64 v[4:5], v[182:183], v[198:199]
	v_mul_f64 v[220:221], v[180:181], v[198:199]
	v_fma_f64 v[4:5], v[180:181], v[200:201], -v[4:5]
	v_fmac_f64_e32 v[220:221], v[182:183], v[200:201]
	v_add_f64 v[2:3], v[2:3], v[4:5]
	s_waitcnt vmcnt(8) lgkmcnt(0)
	v_mul_f64 v[4:5], v[186:187], v[210:211]
	v_add_f64 v[218:219], v[218:219], v[220:221]
	v_mul_f64 v[220:221], v[184:185], v[210:211]
	s_waitcnt vmcnt(6)
	v_fma_f64 v[4:5], v[184:185], v[212:213], -v[4:5]
	v_fmac_f64_e32 v[220:221], v[186:187], v[212:213]
	v_add_f64 v[2:3], v[2:3], v[4:5]
	s_waitcnt vmcnt(5)
	v_mul_f64 v[4:5], v[190:191], v[206:207]
	v_add_f64 v[218:219], v[218:219], v[220:221]
	v_mul_f64 v[220:221], v[188:189], v[206:207]
	s_waitcnt vmcnt(4)
	v_fma_f64 v[4:5], v[188:189], v[208:209], -v[4:5]
	v_fmac_f64_e32 v[220:221], v[190:191], v[208:209]
	v_add_f64 v[2:3], v[2:3], v[4:5]
	v_add_f64 v[218:219], v[218:219], v[220:221]
	s_waitcnt vmcnt(2)
	v_add_f64 v[2:3], v[214:215], -v[2:3]
	s_waitcnt vmcnt(0)
	v_add_f64 v[4:5], v[216:217], -v[218:219]
	buffer_store_dword v3, off, s[0:3], 0 offset:4
	buffer_store_dword v2, off, s[0:3], 0
	buffer_store_dword v5, off, s[0:3], 0 offset:12
	buffer_store_dword v4, off, s[0:3], 0 offset:8
	s_cbranch_vccz .LBB83_173
; %bb.134:
	v_pk_mov_b32 v[2:3], s[16:17], s[16:17] op_sel:[0,1]
	flat_load_dword v2, v[2:3] offset:72
	s_load_dwordx2 s[4:5], s[4:5], 0x4
	v_bfe_u32 v4, v0, 10, 10
	v_bfe_u32 v0, v0, 20, 10
	s_waitcnt lgkmcnt(0)
	s_lshr_b32 s4, s4, 16
	s_mul_i32 s4, s4, s5
	v_mul_u32_u24_e32 v3, s4, v118
	v_mul_u32_u24_e32 v4, s5, v4
	v_add3_u32 v0, v3, v4, v0
	v_mov_b32_e32 v3, 0x288
	v_lshl_add_u32 v0, v0, 4, v3
	s_waitcnt vmcnt(0)
	v_add_u32_e32 v2, -1, v2
	v_cmp_ne_u32_e32 vcc, 18, v2
	s_and_saveexec_b64 s[4:5], vcc
	s_cbranch_execz .LBB83_136
; %bb.135:
	v_mov_b32_e32 v3, 0
	v_lshl_add_u32 v6, v2, 4, v3
	buffer_load_dword v2, v102, s[0:3], 0 offen
	buffer_load_dword v3, v102, s[0:3], 0 offen offset:4
	buffer_load_dword v4, v102, s[0:3], 0 offen offset:8
	buffer_load_dword v5, v102, s[0:3], 0 offen offset:12
	buffer_load_dword v7, v6, s[0:3], 0 offen
	buffer_load_dword v8, v6, s[0:3], 0 offen offset:4
	buffer_load_dword v9, v6, s[0:3], 0 offen offset:8
	buffer_load_dword v10, v6, s[0:3], 0 offen offset:12
	s_waitcnt vmcnt(4)
	ds_write2_b64 v0, v[2:3], v[4:5] offset1:1
	s_waitcnt vmcnt(3)
	buffer_store_dword v7, v102, s[0:3], 0 offen
	s_waitcnt vmcnt(3)
	buffer_store_dword v8, v102, s[0:3], 0 offen offset:4
	s_waitcnt vmcnt(3)
	buffer_store_dword v9, v102, s[0:3], 0 offen offset:8
	s_waitcnt vmcnt(3)
	buffer_store_dword v10, v102, s[0:3], 0 offen offset:12
	buffer_store_dword v5, v6, s[0:3], 0 offen offset:12
	buffer_store_dword v4, v6, s[0:3], 0 offen offset:8
	buffer_store_dword v3, v6, s[0:3], 0 offen offset:4
	buffer_store_dword v2, v6, s[0:3], 0 offen
.LBB83_136:
	s_or_b64 exec, exec, s[4:5]
	v_pk_mov_b32 v[2:3], s[16:17], s[16:17] op_sel:[0,1]
	flat_load_dword v2, v[2:3] offset:68
	s_waitcnt vmcnt(0) lgkmcnt(0)
	v_add_u32_e32 v2, -1, v2
	v_cmp_ne_u32_e32 vcc, 17, v2
	s_and_saveexec_b64 s[4:5], vcc
	s_cbranch_execz .LBB83_138
; %bb.137:
	v_mov_b32_e32 v3, 0
	v_lshl_add_u32 v6, v2, 4, v3
	buffer_load_dword v2, v103, s[0:3], 0 offen
	buffer_load_dword v3, v103, s[0:3], 0 offen offset:4
	buffer_load_dword v4, v103, s[0:3], 0 offen offset:8
	buffer_load_dword v5, v103, s[0:3], 0 offen offset:12
	buffer_load_dword v7, v6, s[0:3], 0 offen
	buffer_load_dword v8, v6, s[0:3], 0 offen offset:4
	buffer_load_dword v9, v6, s[0:3], 0 offen offset:8
	buffer_load_dword v10, v6, s[0:3], 0 offen offset:12
	s_waitcnt vmcnt(4)
	ds_write2_b64 v0, v[2:3], v[4:5] offset1:1
	s_waitcnt vmcnt(3)
	buffer_store_dword v7, v103, s[0:3], 0 offen
	s_waitcnt vmcnt(3)
	buffer_store_dword v8, v103, s[0:3], 0 offen offset:4
	s_waitcnt vmcnt(3)
	buffer_store_dword v9, v103, s[0:3], 0 offen offset:8
	s_waitcnt vmcnt(3)
	buffer_store_dword v10, v103, s[0:3], 0 offen offset:12
	buffer_store_dword v5, v6, s[0:3], 0 offen offset:12
	buffer_store_dword v4, v6, s[0:3], 0 offen offset:8
	buffer_store_dword v3, v6, s[0:3], 0 offen offset:4
	buffer_store_dword v2, v6, s[0:3], 0 offen
.LBB83_138:
	s_or_b64 exec, exec, s[4:5]
	v_pk_mov_b32 v[2:3], s[16:17], s[16:17] op_sel:[0,1]
	flat_load_dword v2, v[2:3] offset:64
	s_waitcnt vmcnt(0) lgkmcnt(0)
	;; [unrolled: 34-line block ×17, first 2 shown]
	v_add_u32_e32 v2, -1, v2
	v_cmp_ne_u32_e32 vcc, 1, v2
	s_and_saveexec_b64 s[4:5], vcc
	s_cbranch_execz .LBB83_170
; %bb.169:
	v_mov_b32_e32 v3, 0
	v_lshl_add_u32 v6, v2, 4, v3
	buffer_load_dword v2, v115, s[0:3], 0 offen
	buffer_load_dword v3, v115, s[0:3], 0 offen offset:4
	buffer_load_dword v4, v115, s[0:3], 0 offen offset:8
	;; [unrolled: 1-line block ×3, first 2 shown]
	buffer_load_dword v7, v6, s[0:3], 0 offen
	buffer_load_dword v8, v6, s[0:3], 0 offen offset:4
	buffer_load_dword v9, v6, s[0:3], 0 offen offset:8
	;; [unrolled: 1-line block ×3, first 2 shown]
	s_waitcnt vmcnt(4)
	ds_write2_b64 v0, v[2:3], v[4:5] offset1:1
	s_waitcnt vmcnt(3)
	buffer_store_dword v7, v115, s[0:3], 0 offen
	s_waitcnt vmcnt(3)
	buffer_store_dword v8, v115, s[0:3], 0 offen offset:4
	s_waitcnt vmcnt(3)
	buffer_store_dword v9, v115, s[0:3], 0 offen offset:8
	;; [unrolled: 2-line block ×3, first 2 shown]
	buffer_store_dword v5, v6, s[0:3], 0 offen offset:12
	buffer_store_dword v4, v6, s[0:3], 0 offen offset:8
	;; [unrolled: 1-line block ×3, first 2 shown]
	buffer_store_dword v2, v6, s[0:3], 0 offen
.LBB83_170:
	s_or_b64 exec, exec, s[4:5]
	v_pk_mov_b32 v[2:3], s[16:17], s[16:17] op_sel:[0,1]
	flat_load_dword v2, v[2:3]
	s_waitcnt vmcnt(0) lgkmcnt(0)
	v_add_u32_e32 v2, -1, v2
	v_cmp_ne_u32_e32 vcc, 0, v2
	s_and_saveexec_b64 s[4:5], vcc
	s_cbranch_execz .LBB83_172
; %bb.171:
	v_mov_b32_e32 v3, 0
	v_lshl_add_u32 v6, v2, 4, v3
	buffer_load_dword v2, off, s[0:3], 0
	buffer_load_dword v3, off, s[0:3], 0 offset:4
	buffer_load_dword v4, off, s[0:3], 0 offset:8
	;; [unrolled: 1-line block ×3, first 2 shown]
	buffer_load_dword v7, v6, s[0:3], 0 offen
	buffer_load_dword v8, v6, s[0:3], 0 offen offset:4
	buffer_load_dword v9, v6, s[0:3], 0 offen offset:8
	buffer_load_dword v10, v6, s[0:3], 0 offen offset:12
	s_waitcnt vmcnt(4)
	ds_write2_b64 v0, v[2:3], v[4:5] offset1:1
	s_waitcnt vmcnt(3)
	buffer_store_dword v7, off, s[0:3], 0
	s_waitcnt vmcnt(3)
	buffer_store_dword v8, off, s[0:3], 0 offset:4
	s_waitcnt vmcnt(3)
	buffer_store_dword v9, off, s[0:3], 0 offset:8
	;; [unrolled: 2-line block ×3, first 2 shown]
	buffer_store_dword v5, v6, s[0:3], 0 offen offset:12
	buffer_store_dword v4, v6, s[0:3], 0 offen offset:8
	;; [unrolled: 1-line block ×3, first 2 shown]
	buffer_store_dword v2, v6, s[0:3], 0 offen
.LBB83_172:
	s_or_b64 exec, exec, s[4:5]
.LBB83_173:
	buffer_load_dword v2, off, s[0:3], 0
	buffer_load_dword v3, off, s[0:3], 0 offset:4
	buffer_load_dword v4, off, s[0:3], 0 offset:8
	;; [unrolled: 1-line block ×3, first 2 shown]
	buffer_load_dword v7, v115, s[0:3], 0 offen offset:4
	buffer_load_dword v8, v115, s[0:3], 0 offen offset:8
	;; [unrolled: 1-line block ×3, first 2 shown]
	buffer_load_dword v10, v117, s[0:3], 0 offen
	buffer_load_dword v11, v117, s[0:3], 0 offen offset:4
	buffer_load_dword v12, v117, s[0:3], 0 offen offset:8
	buffer_load_dword v6, v115, s[0:3], 0 offen
	buffer_load_dword v13, v117, s[0:3], 0 offen offset:12
	buffer_load_dword v15, v116, s[0:3], 0 offen offset:4
	;; [unrolled: 1-line block ×4, first 2 shown]
	buffer_load_dword v18, v112, s[0:3], 0 offen
	buffer_load_dword v19, v112, s[0:3], 0 offen offset:4
	buffer_load_dword v20, v112, s[0:3], 0 offen offset:8
	buffer_load_dword v14, v116, s[0:3], 0 offen
                                        ; kill: killed $vgpr117
                                        ; kill: killed $vgpr115
                                        ; kill: killed $vgpr116
	buffer_load_dword v21, v112, s[0:3], 0 offen offset:12
	buffer_load_dword v23, v113, s[0:3], 0 offen offset:4
	;; [unrolled: 1-line block ×4, first 2 shown]
	buffer_load_dword v26, v114, s[0:3], 0 offen
	buffer_load_dword v27, v114, s[0:3], 0 offen offset:4
	buffer_load_dword v28, v114, s[0:3], 0 offen offset:8
	buffer_load_dword v22, v113, s[0:3], 0 offen
	buffer_load_dword v29, v114, s[0:3], 0 offen offset:12
	buffer_load_dword v71, v109, s[0:3], 0 offen offset:4
	;; [unrolled: 1-line block ×4, first 2 shown]
	buffer_load_dword v74, v108, s[0:3], 0 offen
	buffer_load_dword v75, v108, s[0:3], 0 offen offset:4
	buffer_load_dword v76, v108, s[0:3], 0 offen offset:8
                                        ; kill: killed $vgpr113
                                        ; kill: killed $vgpr112
                                        ; kill: killed $vgpr114
	buffer_load_dword v70, v109, s[0:3], 0 offen
	buffer_load_dword v77, v108, s[0:3], 0 offen offset:12
	buffer_load_dword v79, v110, s[0:3], 0 offen offset:4
	;; [unrolled: 1-line block ×4, first 2 shown]
	buffer_load_dword v82, v111, s[0:3], 0 offen
	buffer_load_dword v83, v111, s[0:3], 0 offen offset:4
	buffer_load_dword v84, v111, s[0:3], 0 offen offset:8
	buffer_load_dword v78, v110, s[0:3], 0 offen
	buffer_load_dword v85, v111, s[0:3], 0 offen offset:12
	buffer_load_dword v87, v104, s[0:3], 0 offen offset:4
	;; [unrolled: 1-line block ×4, first 2 shown]
	buffer_load_dword v90, v106, s[0:3], 0 offen
	buffer_load_dword v91, v106, s[0:3], 0 offen offset:4
                                        ; kill: killed $vgpr111
                                        ; kill: killed $vgpr109
                                        ; kill: killed $vgpr110
                                        ; kill: killed $vgpr108
	buffer_load_dword v92, v106, s[0:3], 0 offen offset:8
	buffer_load_dword v86, v104, s[0:3], 0 offen
	buffer_load_dword v93, v106, s[0:3], 0 offen offset:12
	buffer_load_dword v95, v105, s[0:3], 0 offen offset:4
	buffer_load_dword v96, v105, s[0:3], 0 offen offset:8
	buffer_load_dword v97, v105, s[0:3], 0 offen offset:12
	buffer_load_dword v108, v107, s[0:3], 0 offen
	buffer_load_dword v109, v107, s[0:3], 0 offen offset:4
	buffer_load_dword v110, v107, s[0:3], 0 offen offset:8
	buffer_load_dword v94, v105, s[0:3], 0 offen
	buffer_load_dword v111, v107, s[0:3], 0 offen offset:12
	buffer_load_dword v113, v1, s[0:3], 0 offen offset:4
	;; [unrolled: 1-line block ×4, first 2 shown]
	buffer_load_dword v116, v101, s[0:3], 0 offen
                                        ; kill: killed $vgpr106
                                        ; kill: killed $vgpr107
                                        ; kill: killed $vgpr104
                                        ; kill: killed $vgpr105
	buffer_load_dword v117, v101, s[0:3], 0 offen offset:4
	buffer_load_dword v118, v101, s[0:3], 0 offen offset:8
	buffer_load_dword v112, v1, s[0:3], 0 offen
	buffer_load_dword v119, v101, s[0:3], 0 offen offset:12
	buffer_load_dword v105, v103, s[0:3], 0 offen offset:4
	;; [unrolled: 1-line block ×4, first 2 shown]
	buffer_load_dword v120, v102, s[0:3], 0 offen
	buffer_load_dword v121, v102, s[0:3], 0 offen offset:4
	buffer_load_dword v122, v102, s[0:3], 0 offen offset:8
	buffer_load_dword v104, v103, s[0:3], 0 offen
	buffer_load_dword v123, v102, s[0:3], 0 offen offset:12
	buffer_load_dword v124, v100, s[0:3], 0 offen
	buffer_load_dword v125, v100, s[0:3], 0 offen offset:4
	buffer_load_dword v126, v100, s[0:3], 0 offen offset:8
                                        ; kill: killed $vgpr103
                                        ; kill: killed $vgpr101
                                        ; kill: killed $vgpr102
                                        ; kill: killed $vgpr1
	buffer_load_dword v127, v100, s[0:3], 0 offen offset:12
	s_waitcnt vmcnt(62)
	global_store_dwordx4 v[30:31], v[2:5], off
	global_store_dwordx4 v[32:33], v[6:9], off
	;; [unrolled: 1-line block ×3, first 2 shown]
	s_waitcnt vmcnt(62)
	global_store_dwordx4 v[36:37], v[14:17], off
	global_store_dwordx4 v[38:39], v[18:21], off
	s_waitcnt vmcnt(58)
	global_store_dwordx4 v[40:41], v[22:25], off
	s_waitcnt vmcnt(58)
	global_store_dwordx4 v[44:45], v[26:29], off
	s_waitcnt vmcnt(52)
	global_store_dwordx4 v[46:47], v[70:73], off
	s_waitcnt vmcnt(52)
	global_store_dwordx4 v[48:49], v[74:77], off
	s_waitcnt vmcnt(46)
	global_store_dwordx4 v[50:51], v[78:81], off
	s_waitcnt vmcnt(46)
	global_store_dwordx4 v[52:53], v[82:85], off
	s_waitcnt vmcnt(40)
	global_store_dwordx4 v[54:55], v[86:89], off
	s_waitcnt vmcnt(40)
	global_store_dwordx4 v[56:57], v[90:93], off
	s_waitcnt vmcnt(34)
	global_store_dwordx4 v[58:59], v[94:97], off
	s_waitcnt vmcnt(34)
	global_store_dwordx4 v[60:61], v[108:111], off
	s_waitcnt vmcnt(28)
	global_store_dwordx4 v[62:63], v[112:115], off
	s_waitcnt vmcnt(28)
	global_store_dwordx4 v[64:65], v[116:119], off
	s_waitcnt vmcnt(22)
	global_store_dwordx4 v[66:67], v[104:107], off
	s_waitcnt vmcnt(22)
	global_store_dwordx4 v[68:69], v[120:123], off
	s_waitcnt vmcnt(19)
	global_store_dwordx4 v[42:43], v[124:127], off
	s_endpgm
	.section	.rodata,"a",@progbits
	.p2align	6, 0x0
	.amdhsa_kernel _ZN9rocsolver6v33100L18getri_kernel_smallILi20E19rocblas_complex_numIdEPKPS3_EEvT1_iilPiilS8_bb
		.amdhsa_group_segment_fixed_size 1672
		.amdhsa_private_segment_fixed_size 336
		.amdhsa_kernarg_size 60
		.amdhsa_user_sgpr_count 10
		.amdhsa_user_sgpr_private_segment_buffer 1
		.amdhsa_user_sgpr_dispatch_ptr 1
		.amdhsa_user_sgpr_queue_ptr 0
		.amdhsa_user_sgpr_kernarg_segment_ptr 1
		.amdhsa_user_sgpr_dispatch_id 0
		.amdhsa_user_sgpr_flat_scratch_init 1
		.amdhsa_user_sgpr_kernarg_preload_length 0
		.amdhsa_user_sgpr_kernarg_preload_offset 0
		.amdhsa_user_sgpr_private_segment_size 0
		.amdhsa_uses_dynamic_stack 0
		.amdhsa_system_sgpr_private_segment_wavefront_offset 1
		.amdhsa_system_sgpr_workgroup_id_x 1
		.amdhsa_system_sgpr_workgroup_id_y 0
		.amdhsa_system_sgpr_workgroup_id_z 0
		.amdhsa_system_sgpr_workgroup_info 0
		.amdhsa_system_vgpr_workitem_id 2
		.amdhsa_next_free_vgpr 222
		.amdhsa_next_free_sgpr 24
		.amdhsa_accum_offset 224
		.amdhsa_reserve_vcc 1
		.amdhsa_reserve_flat_scratch 1
		.amdhsa_float_round_mode_32 0
		.amdhsa_float_round_mode_16_64 0
		.amdhsa_float_denorm_mode_32 3
		.amdhsa_float_denorm_mode_16_64 3
		.amdhsa_dx10_clamp 1
		.amdhsa_ieee_mode 1
		.amdhsa_fp16_overflow 0
		.amdhsa_tg_split 0
		.amdhsa_exception_fp_ieee_invalid_op 0
		.amdhsa_exception_fp_denorm_src 0
		.amdhsa_exception_fp_ieee_div_zero 0
		.amdhsa_exception_fp_ieee_overflow 0
		.amdhsa_exception_fp_ieee_underflow 0
		.amdhsa_exception_fp_ieee_inexact 0
		.amdhsa_exception_int_div_zero 0
	.end_amdhsa_kernel
	.section	.text._ZN9rocsolver6v33100L18getri_kernel_smallILi20E19rocblas_complex_numIdEPKPS3_EEvT1_iilPiilS8_bb,"axG",@progbits,_ZN9rocsolver6v33100L18getri_kernel_smallILi20E19rocblas_complex_numIdEPKPS3_EEvT1_iilPiilS8_bb,comdat
.Lfunc_end83:
	.size	_ZN9rocsolver6v33100L18getri_kernel_smallILi20E19rocblas_complex_numIdEPKPS3_EEvT1_iilPiilS8_bb, .Lfunc_end83-_ZN9rocsolver6v33100L18getri_kernel_smallILi20E19rocblas_complex_numIdEPKPS3_EEvT1_iilPiilS8_bb
                                        ; -- End function
	.section	.AMDGPU.csdata,"",@progbits
; Kernel info:
; codeLenInByte = 34196
; NumSgprs: 30
; NumVgprs: 222
; NumAgprs: 0
; TotalNumVgprs: 222
; ScratchSize: 336
; MemoryBound: 0
; FloatMode: 240
; IeeeMode: 1
; LDSByteSize: 1672 bytes/workgroup (compile time only)
; SGPRBlocks: 3
; VGPRBlocks: 27
; NumSGPRsForWavesPerEU: 30
; NumVGPRsForWavesPerEU: 222
; AccumOffset: 224
; Occupancy: 2
; WaveLimiterHint : 1
; COMPUTE_PGM_RSRC2:SCRATCH_EN: 1
; COMPUTE_PGM_RSRC2:USER_SGPR: 10
; COMPUTE_PGM_RSRC2:TRAP_HANDLER: 0
; COMPUTE_PGM_RSRC2:TGID_X_EN: 1
; COMPUTE_PGM_RSRC2:TGID_Y_EN: 0
; COMPUTE_PGM_RSRC2:TGID_Z_EN: 0
; COMPUTE_PGM_RSRC2:TIDIG_COMP_CNT: 2
; COMPUTE_PGM_RSRC3_GFX90A:ACCUM_OFFSET: 55
; COMPUTE_PGM_RSRC3_GFX90A:TG_SPLIT: 0
	.section	.text._ZN9rocsolver6v33100L18getri_kernel_smallILi21E19rocblas_complex_numIdEPKPS3_EEvT1_iilPiilS8_bb,"axG",@progbits,_ZN9rocsolver6v33100L18getri_kernel_smallILi21E19rocblas_complex_numIdEPKPS3_EEvT1_iilPiilS8_bb,comdat
	.globl	_ZN9rocsolver6v33100L18getri_kernel_smallILi21E19rocblas_complex_numIdEPKPS3_EEvT1_iilPiilS8_bb ; -- Begin function _ZN9rocsolver6v33100L18getri_kernel_smallILi21E19rocblas_complex_numIdEPKPS3_EEvT1_iilPiilS8_bb
	.p2align	8
	.type	_ZN9rocsolver6v33100L18getri_kernel_smallILi21E19rocblas_complex_numIdEPKPS3_EEvT1_iilPiilS8_bb,@function
_ZN9rocsolver6v33100L18getri_kernel_smallILi21E19rocblas_complex_numIdEPKPS3_EEvT1_iilPiilS8_bb: ; @_ZN9rocsolver6v33100L18getri_kernel_smallILi21E19rocblas_complex_numIdEPKPS3_EEvT1_iilPiilS8_bb
; %bb.0:
	s_add_u32 flat_scratch_lo, s8, s11
	s_addc_u32 flat_scratch_hi, s9, 0
	s_add_u32 s0, s0, s11
	v_and_b32_e32 v119, 0x3ff, v0
	s_addc_u32 s1, s1, 0
	v_cmp_gt_u32_e32 vcc, 21, v119
	s_and_saveexec_b64 s[8:9], vcc
	s_cbranch_execz .LBB84_98
; %bb.1:
	s_load_dword s20, s[6:7], 0x38
	s_load_dwordx2 s[8:9], s[6:7], 0x0
	s_load_dwordx4 s[12:15], s[6:7], 0x28
	s_waitcnt lgkmcnt(0)
	s_bitcmp1_b32 s20, 8
	s_cselect_b64 s[18:19], -1, 0
	s_ashr_i32 s11, s10, 31
	s_lshl_b64 s[16:17], s[10:11], 3
	s_add_u32 s8, s8, s16
	s_addc_u32 s9, s9, s17
	s_load_dwordx2 s[8:9], s[8:9], 0x0
	s_bfe_u32 s16, s20, 0x10008
	s_cmp_eq_u32 s16, 0
                                        ; implicit-def: $sgpr16_sgpr17
	s_cbranch_scc1 .LBB84_3
; %bb.2:
	s_load_dword s16, s[6:7], 0x20
	s_load_dwordx2 s[22:23], s[6:7], 0x18
	s_mul_i32 s13, s10, s13
	s_mul_hi_u32 s17, s10, s12
	s_add_i32 s13, s17, s13
	s_mul_i32 s21, s11, s12
	s_add_i32 s13, s13, s21
	s_mul_i32 s12, s10, s12
	s_waitcnt lgkmcnt(0)
	s_ashr_i32 s17, s16, 31
	s_lshl_b64 s[12:13], s[12:13], 2
	s_add_u32 s21, s22, s12
	s_addc_u32 s22, s23, s13
	s_lshl_b64 s[12:13], s[16:17], 2
	s_add_u32 s16, s21, s12
	s_addc_u32 s17, s22, s13
.LBB84_3:
	s_load_dwordx2 s[6:7], s[6:7], 0x8
	v_lshlrev_b32_e32 v76, 4, v119
	s_waitcnt lgkmcnt(0)
	s_ashr_i32 s13, s6, 31
	s_mov_b32 s12, s6
	s_lshl_b64 s[12:13], s[12:13], 4
	s_add_u32 s8, s8, s12
	s_addc_u32 s9, s9, s13
	v_mov_b32_e32 v1, s9
	v_add_co_u32_e32 v34, vcc, s8, v76
	global_load_dwordx4 v[18:21], v76, s[8:9]
	s_ashr_i32 s13, s7, 31
	s_mov_b32 s12, s7
	v_addc_co_u32_e32 v35, vcc, 0, v1, vcc
	s_lshl_b64 s[12:13], s[12:13], 4
	v_mov_b32_e32 v1, s13
	v_add_co_u32_e32 v36, vcc, s12, v34
	s_add_i32 s6, s7, s7
	v_addc_co_u32_e32 v37, vcc, v35, v1, vcc
	global_load_dwordx4 v[22:25], v[36:37], off
	v_add_u32_e32 v2, s6, v119
	v_ashrrev_i32_e32 v3, 31, v2
	v_lshlrev_b64 v[4:5], 4, v[2:3]
	v_mov_b32_e32 v1, s9
	v_add_co_u32_e32 v38, vcc, s8, v4
	v_addc_co_u32_e32 v39, vcc, v1, v5, vcc
	global_load_dwordx4 v[26:29], v[38:39], off
	v_add_u32_e32 v6, s7, v2
	v_ashrrev_i32_e32 v7, 31, v6
	v_lshlrev_b64 v[2:3], 4, v[6:7]
	v_add_co_u32_e32 v40, vcc, s8, v2
	v_addc_co_u32_e32 v41, vcc, v1, v3, vcc
	global_load_dwordx4 v[2:5], v[40:41], off
	v_add_u32_e32 v6, s7, v6
	v_ashrrev_i32_e32 v7, 31, v6
	v_add_u32_e32 v8, s7, v6
	v_lshlrev_b64 v[6:7], 4, v[6:7]
	v_ashrrev_i32_e32 v9, 31, v8
	v_add_co_u32_e32 v42, vcc, s8, v6
	v_add_u32_e32 v10, s7, v8
	v_addc_co_u32_e32 v43, vcc, v1, v7, vcc
	v_lshlrev_b64 v[12:13], 4, v[8:9]
	v_mov_b32_e32 v15, s9
	v_ashrrev_i32_e32 v11, 31, v10
	v_add_co_u32_e32 v44, vcc, s8, v12
	v_add_u32_e32 v14, s7, v10
	v_addc_co_u32_e32 v45, vcc, v15, v13, vcc
	v_lshlrev_b64 v[10:11], 4, v[10:11]
	v_mov_b32_e32 v16, s9
	;; [unrolled: 6-line block ×3, first 2 shown]
	v_ashrrev_i32_e32 v31, 31, v30
	v_add_co_u32_e32 v48, vcc, s8, v32
	global_load_dwordx4 v[6:9], v[42:43], off
	global_load_dwordx4 v[14:17], v[44:45], off
	;; [unrolled: 1-line block ×3, first 2 shown]
	v_addc_co_u32_e32 v49, vcc, v49, v33, vcc
	v_lshlrev_b64 v[32:33], 4, v[30:31]
	v_mov_b32_e32 v51, s9
	v_add_co_u32_e32 v50, vcc, s8, v32
	v_addc_co_u32_e32 v51, vcc, v51, v33, vcc
	s_bitcmp0_b32 s20, 0
	s_waitcnt vmcnt(6)
	buffer_store_dword v21, off, s[0:3], 0 offset:12
	buffer_store_dword v20, off, s[0:3], 0 offset:8
	;; [unrolled: 1-line block ×3, first 2 shown]
	buffer_store_dword v18, off, s[0:3], 0
	s_waitcnt vmcnt(9)
	buffer_store_dword v25, off, s[0:3], 0 offset:28
	buffer_store_dword v24, off, s[0:3], 0 offset:24
	buffer_store_dword v23, off, s[0:3], 0 offset:20
	buffer_store_dword v22, off, s[0:3], 0 offset:16
	s_waitcnt vmcnt(12)
	buffer_store_dword v29, off, s[0:3], 0 offset:44
	buffer_store_dword v28, off, s[0:3], 0 offset:40
	;; [unrolled: 1-line block ×4, first 2 shown]
	v_add_u32_e32 v26, s7, v30
	v_ashrrev_i32_e32 v27, 31, v26
	v_lshlrev_b64 v[28:29], 4, v[26:27]
	v_add_u32_e32 v56, s7, v26
	v_add_co_u32_e32 v52, vcc, s8, v28
	v_ashrrev_i32_e32 v57, 31, v56
	v_addc_co_u32_e32 v53, vcc, v1, v29, vcc
	v_lshlrev_b64 v[26:27], 4, v[56:57]
	v_add_u32_e32 v58, s7, v56
	v_add_co_u32_e32 v54, vcc, s8, v26
	v_ashrrev_i32_e32 v59, 31, v58
	v_addc_co_u32_e32 v55, vcc, v1, v27, vcc
	;; [unrolled: 5-line block ×11, first 2 shown]
	v_lshlrev_b64 v[74:75], 4, v[74:75]
	global_load_dwordx4 v[18:21], v[48:49], off
	global_load_dwordx4 v[22:25], v[50:51], off
	;; [unrolled: 1-line block ×4, first 2 shown]
	v_add_co_u32_e32 v74, vcc, s8, v74
	s_waitcnt vmcnt(19)
	buffer_store_dword v5, off, s[0:3], 0 offset:60
	global_load_dwordx4 v[78:81], v[56:57], off
	global_load_dwordx4 v[82:85], v[58:59], off
	;; [unrolled: 1-line block ×8, first 2 shown]
	v_addc_co_u32_e32 v75, vcc, v1, v75, vcc
	global_load_dwordx4 v[120:123], v[72:73], off
	global_load_dwordx4 v[124:127], v[74:75], off
	v_mov_b32_e32 v1, 0
	buffer_store_dword v4, off, s[0:3], 0 offset:56
	buffer_store_dword v3, off, s[0:3], 0 offset:52
	buffer_store_dword v2, off, s[0:3], 0 offset:48
	s_waitcnt vmcnt(32)
	buffer_store_dword v9, off, s[0:3], 0 offset:76
	buffer_store_dword v8, off, s[0:3], 0 offset:72
	buffer_store_dword v7, off, s[0:3], 0 offset:68
	buffer_store_dword v6, off, s[0:3], 0 offset:64
	s_waitcnt vmcnt(35)
	buffer_store_dword v17, off, s[0:3], 0 offset:92
	;; [unrolled: 5-line block ×14, first 2 shown]
	buffer_store_dword v104, off, s[0:3], 0 offset:280
	buffer_store_dword v103, off, s[0:3], 0 offset:276
	;; [unrolled: 1-line block ×3, first 2 shown]
	v_add_u32_e32 v116, 16, v1
	v_add_u32_e32 v118, 32, v1
	;; [unrolled: 1-line block ×3, first 2 shown]
	s_waitcnt vmcnt(61)
	buffer_store_dword v109, off, s[0:3], 0 offset:300
	buffer_store_dword v108, off, s[0:3], 0 offset:296
	;; [unrolled: 1-line block ×4, first 2 shown]
	v_add_u32_e32 v113, 64, v1
	v_add_u32_e32 v112, 0x50, v1
	;; [unrolled: 1-line block ×17, first 2 shown]
	s_mov_b64 s[8:9], -1
	s_waitcnt vmcnt(62)
	buffer_store_dword v123, off, s[0:3], 0 offset:316
	buffer_store_dword v122, off, s[0:3], 0 offset:312
	;; [unrolled: 1-line block ×8, first 2 shown]
	s_cbranch_scc1 .LBB84_96
; %bb.4:
	v_cmp_eq_u32_e64 s[6:7], 0, v119
	s_and_saveexec_b64 s[8:9], s[6:7]
	s_cbranch_execz .LBB84_6
; %bb.5:
	v_mov_b32_e32 v2, 0
	ds_write_b32 v2, v2 offset:672
.LBB84_6:
	s_or_b64 exec, exec, s[8:9]
	v_mov_b32_e32 v2, 0
	v_lshl_add_u32 v12, v119, 4, v2
	s_waitcnt lgkmcnt(0)
	; wave barrier
	s_waitcnt lgkmcnt(0)
	buffer_load_dword v2, v12, s[0:3], 0 offen
	buffer_load_dword v3, v12, s[0:3], 0 offen offset:4
	buffer_load_dword v4, v12, s[0:3], 0 offen offset:8
	;; [unrolled: 1-line block ×3, first 2 shown]
	s_waitcnt vmcnt(2)
	v_cmp_eq_f64_e32 vcc, 0, v[2:3]
	s_waitcnt vmcnt(0)
	v_cmp_eq_f64_e64 s[8:9], 0, v[4:5]
	s_and_b64 s[8:9], vcc, s[8:9]
	s_and_saveexec_b64 s[12:13], s[8:9]
	s_cbranch_execz .LBB84_10
; %bb.7:
	v_mov_b32_e32 v2, 0
	ds_read_b32 v4, v2 offset:672
	v_add_u32_e32 v3, 1, v119
	s_waitcnt lgkmcnt(0)
	v_readfirstlane_b32 s8, v4
	s_cmp_eq_u32 s8, 0
	s_cselect_b64 s[20:21], -1, 0
	v_cmp_gt_i32_e32 vcc, s8, v3
	s_or_b64 s[20:21], s[20:21], vcc
	s_and_b64 exec, exec, s[20:21]
	s_cbranch_execz .LBB84_10
; %bb.8:
	s_mov_b64 s[20:21], 0
	v_mov_b32_e32 v4, s8
.LBB84_9:                               ; =>This Inner Loop Header: Depth=1
	ds_cmpst_rtn_b32 v4, v2, v4, v3 offset:672
	s_waitcnt lgkmcnt(0)
	v_cmp_ne_u32_e32 vcc, 0, v4
	v_cmp_le_i32_e64 s[8:9], v4, v3
	s_and_b64 s[8:9], vcc, s[8:9]
	s_and_b64 s[8:9], exec, s[8:9]
	s_or_b64 s[20:21], s[8:9], s[20:21]
	s_andn2_b64 exec, exec, s[20:21]
	s_cbranch_execnz .LBB84_9
.LBB84_10:
	s_or_b64 exec, exec, s[12:13]
	v_mov_b32_e32 v3, 0
	s_waitcnt lgkmcnt(0)
	; wave barrier
	ds_read_b32 v2, v3 offset:672
	s_and_saveexec_b64 s[8:9], s[6:7]
	s_cbranch_execz .LBB84_12
; %bb.11:
	s_lshl_b64 s[12:13], s[10:11], 2
	s_add_u32 s12, s14, s12
	s_addc_u32 s13, s15, s13
	s_waitcnt lgkmcnt(0)
	global_store_dword v3, v2, s[12:13]
.LBB84_12:
	s_or_b64 exec, exec, s[8:9]
	s_waitcnt lgkmcnt(0)
	v_cmp_ne_u32_e32 vcc, 0, v2
	s_mov_b64 s[8:9], 0
	s_cbranch_vccnz .LBB84_96
; %bb.13:
	buffer_load_dword v7, v12, s[0:3], 0 offen offset:4
	buffer_load_dword v6, v12, s[0:3], 0 offen
	buffer_load_dword v9, v12, s[0:3], 0 offen offset:12
	buffer_load_dword v8, v12, s[0:3], 0 offen offset:8
                                        ; implicit-def: $vgpr10_vgpr11
	s_waitcnt vmcnt(3)
	v_xor_b32_e32 v3, 0x80000000, v7
	s_waitcnt vmcnt(2)
	v_cmp_gt_f64_e32 vcc, 0, v[6:7]
	s_waitcnt vmcnt(1)
	v_xor_b32_e32 v4, 0x80000000, v9
	v_cndmask_b32_e32 v3, v7, v3, vcc
	s_waitcnt vmcnt(0)
	v_cmp_gt_f64_e32 vcc, 0, v[8:9]
	v_mov_b32_e32 v2, v6
	v_cndmask_b32_e32 v5, v9, v4, vcc
	v_mov_b32_e32 v4, v8
	v_cmp_ngt_f64_e32 vcc, v[2:3], v[4:5]
                                        ; implicit-def: $vgpr4_vgpr5
	s_and_saveexec_b64 s[8:9], vcc
	s_xor_b64 s[8:9], exec, s[8:9]
	s_cbranch_execz .LBB84_15
; %bb.14:
	v_div_scale_f64 v[2:3], s[12:13], v[8:9], v[8:9], v[6:7]
	v_rcp_f64_e32 v[4:5], v[2:3]
	v_div_scale_f64 v[10:11], vcc, v[6:7], v[8:9], v[6:7]
	v_fma_f64 v[14:15], -v[2:3], v[4:5], 1.0
	v_fmac_f64_e32 v[4:5], v[4:5], v[14:15]
	v_fma_f64 v[14:15], -v[2:3], v[4:5], 1.0
	v_fmac_f64_e32 v[4:5], v[4:5], v[14:15]
	v_mul_f64 v[14:15], v[10:11], v[4:5]
	v_fma_f64 v[2:3], -v[2:3], v[14:15], v[10:11]
	v_div_fmas_f64 v[2:3], v[2:3], v[4:5], v[14:15]
	v_div_fixup_f64 v[2:3], v[2:3], v[8:9], v[6:7]
	v_fmac_f64_e32 v[8:9], v[6:7], v[2:3]
	v_div_scale_f64 v[4:5], s[12:13], v[8:9], v[8:9], 1.0
	v_rcp_f64_e32 v[6:7], v[4:5]
	v_fma_f64 v[10:11], -v[4:5], v[6:7], 1.0
	v_fmac_f64_e32 v[6:7], v[6:7], v[10:11]
	v_fma_f64 v[10:11], -v[4:5], v[6:7], 1.0
	v_fmac_f64_e32 v[6:7], v[6:7], v[10:11]
	v_div_scale_f64 v[10:11], vcc, 1.0, v[8:9], 1.0
	v_mul_f64 v[14:15], v[10:11], v[6:7]
	v_fma_f64 v[4:5], -v[4:5], v[14:15], v[10:11]
	s_nop 1
	v_div_fmas_f64 v[4:5], v[4:5], v[6:7], v[14:15]
	v_div_fixup_f64 v[4:5], v[4:5], v[8:9], 1.0
	v_mul_f64 v[10:11], v[2:3], v[4:5]
	v_xor_b32_e32 v5, 0x80000000, v5
	v_xor_b32_e32 v3, 0x80000000, v11
	v_mov_b32_e32 v2, v10
                                        ; implicit-def: $vgpr6_vgpr7
                                        ; implicit-def: $vgpr8_vgpr9
.LBB84_15:
	s_andn2_saveexec_b64 s[8:9], s[8:9]
	s_cbranch_execz .LBB84_17
; %bb.16:
	v_div_scale_f64 v[2:3], s[12:13], v[6:7], v[6:7], v[8:9]
	v_rcp_f64_e32 v[4:5], v[2:3]
	v_div_scale_f64 v[10:11], vcc, v[8:9], v[6:7], v[8:9]
	v_fma_f64 v[14:15], -v[2:3], v[4:5], 1.0
	v_fmac_f64_e32 v[4:5], v[4:5], v[14:15]
	v_fma_f64 v[14:15], -v[2:3], v[4:5], 1.0
	v_fmac_f64_e32 v[4:5], v[4:5], v[14:15]
	v_mul_f64 v[14:15], v[10:11], v[4:5]
	v_fma_f64 v[2:3], -v[2:3], v[14:15], v[10:11]
	v_div_fmas_f64 v[2:3], v[2:3], v[4:5], v[14:15]
	v_div_fixup_f64 v[4:5], v[2:3], v[6:7], v[8:9]
	v_fmac_f64_e32 v[6:7], v[8:9], v[4:5]
	v_div_scale_f64 v[2:3], s[12:13], v[6:7], v[6:7], 1.0
	v_rcp_f64_e32 v[8:9], v[2:3]
	v_fma_f64 v[10:11], -v[2:3], v[8:9], 1.0
	v_fmac_f64_e32 v[8:9], v[8:9], v[10:11]
	v_fma_f64 v[10:11], -v[2:3], v[8:9], 1.0
	v_fmac_f64_e32 v[8:9], v[8:9], v[10:11]
	v_div_scale_f64 v[10:11], vcc, 1.0, v[6:7], 1.0
	v_mul_f64 v[14:15], v[10:11], v[8:9]
	v_fma_f64 v[2:3], -v[2:3], v[14:15], v[10:11]
	s_nop 1
	v_div_fmas_f64 v[2:3], v[2:3], v[8:9], v[14:15]
	v_div_fixup_f64 v[10:11], v[2:3], v[6:7], 1.0
	v_xor_b32_e32 v3, 0x80000000, v11
	v_mov_b32_e32 v2, v10
	v_mul_f64 v[4:5], v[4:5], -v[10:11]
.LBB84_17:
	s_or_b64 exec, exec, s[8:9]
	buffer_store_dword v11, v12, s[0:3], 0 offen offset:4
	buffer_store_dword v10, v12, s[0:3], 0 offen
	buffer_store_dword v5, v12, s[0:3], 0 offen offset:12
	buffer_store_dword v4, v12, s[0:3], 0 offen offset:8
	buffer_load_dword v11, v116, s[0:3], 0 offen offset:12
	s_nop 0
	buffer_load_dword v10, v116, s[0:3], 0 offen offset:8
	buffer_load_dword v9, v116, s[0:3], 0 offen offset:4
	buffer_load_dword v8, v116, s[0:3], 0 offen
	v_xor_b32_e32 v5, 0x80000000, v5
	v_add_u32_e32 v6, 0x150, v76
	ds_write_b128 v76, v[2:5]
	s_waitcnt vmcnt(0)
	ds_write_b128 v76, v[8:11] offset:336
	s_waitcnt lgkmcnt(0)
	; wave barrier
	s_waitcnt lgkmcnt(0)
	s_and_saveexec_b64 s[8:9], s[6:7]
	s_cbranch_execz .LBB84_19
; %bb.18:
	buffer_load_dword v14, v12, s[0:3], 0 offen offset:8
	buffer_load_dword v15, v12, s[0:3], 0 offen offset:12
	buffer_load_dword v16, v12, s[0:3], 0 offen
	buffer_load_dword v17, v12, s[0:3], 0 offen offset:4
	ds_read_b128 v[2:5], v6
	v_mov_b32_e32 v7, 0
	ds_read_b128 v[8:11], v7 offset:16
	s_waitcnt vmcnt(2) lgkmcnt(1)
	v_mul_f64 v[18:19], v[4:5], v[14:15]
	v_mul_f64 v[14:15], v[2:3], v[14:15]
	s_waitcnt vmcnt(0)
	v_fmac_f64_e32 v[14:15], v[4:5], v[16:17]
	v_fma_f64 v[2:3], v[2:3], v[16:17], -v[18:19]
	v_add_f64 v[4:5], v[14:15], 0
	v_add_f64 v[2:3], v[2:3], 0
	s_waitcnt lgkmcnt(0)
	v_mul_f64 v[14:15], v[4:5], v[10:11]
	v_mul_f64 v[10:11], v[2:3], v[10:11]
	v_fma_f64 v[2:3], v[2:3], v[8:9], -v[14:15]
	v_fmac_f64_e32 v[10:11], v[4:5], v[8:9]
	buffer_store_dword v2, off, s[0:3], 0 offset:16
	buffer_store_dword v3, off, s[0:3], 0 offset:20
	;; [unrolled: 1-line block ×4, first 2 shown]
.LBB84_19:
	s_or_b64 exec, exec, s[8:9]
	s_waitcnt lgkmcnt(0)
	; wave barrier
	buffer_load_dword v2, v118, s[0:3], 0 offen
	buffer_load_dword v3, v118, s[0:3], 0 offen offset:4
	buffer_load_dword v4, v118, s[0:3], 0 offen offset:8
	;; [unrolled: 1-line block ×3, first 2 shown]
	v_cmp_gt_u32_e32 vcc, 2, v119
	s_waitcnt vmcnt(0)
	ds_write_b128 v6, v[2:5]
	s_waitcnt lgkmcnt(0)
	; wave barrier
	s_waitcnt lgkmcnt(0)
	s_and_saveexec_b64 s[8:9], vcc
	s_cbranch_execz .LBB84_23
; %bb.20:
	buffer_load_dword v8, v12, s[0:3], 0 offen offset:8
	buffer_load_dword v9, v12, s[0:3], 0 offen offset:12
	buffer_load_dword v10, v12, s[0:3], 0 offen
	buffer_load_dword v11, v12, s[0:3], 0 offen offset:4
	ds_read_b128 v[2:5], v6
	s_waitcnt vmcnt(2) lgkmcnt(0)
	v_mul_f64 v[12:13], v[4:5], v[8:9]
	v_mul_f64 v[8:9], v[2:3], v[8:9]
	s_waitcnt vmcnt(0)
	v_fma_f64 v[2:3], v[2:3], v[10:11], -v[12:13]
	v_fmac_f64_e32 v[8:9], v[4:5], v[10:11]
	v_add_f64 v[4:5], v[2:3], 0
	v_add_f64 v[2:3], v[8:9], 0
	s_and_saveexec_b64 s[12:13], s[6:7]
	s_cbranch_execz .LBB84_22
; %bb.21:
	buffer_load_dword v12, off, s[0:3], 0 offset:24
	buffer_load_dword v13, off, s[0:3], 0 offset:28
	;; [unrolled: 1-line block ×4, first 2 shown]
	v_mov_b32_e32 v7, 0
	ds_read_b128 v[8:11], v7 offset:352
	s_waitcnt vmcnt(2) lgkmcnt(0)
	v_mul_f64 v[16:17], v[8:9], v[12:13]
	v_mul_f64 v[12:13], v[10:11], v[12:13]
	s_waitcnt vmcnt(0)
	v_fmac_f64_e32 v[16:17], v[10:11], v[14:15]
	v_fma_f64 v[8:9], v[8:9], v[14:15], -v[12:13]
	v_add_f64 v[2:3], v[2:3], v[16:17]
	v_add_f64 v[4:5], v[4:5], v[8:9]
.LBB84_22:
	s_or_b64 exec, exec, s[12:13]
	v_mov_b32_e32 v7, 0
	ds_read_b128 v[8:11], v7 offset:32
	s_waitcnt lgkmcnt(0)
	v_mul_f64 v[12:13], v[2:3], v[10:11]
	v_mul_f64 v[10:11], v[4:5], v[10:11]
	v_fma_f64 v[4:5], v[4:5], v[8:9], -v[12:13]
	v_fmac_f64_e32 v[10:11], v[2:3], v[8:9]
	buffer_store_dword v5, off, s[0:3], 0 offset:36
	buffer_store_dword v4, off, s[0:3], 0 offset:32
	buffer_store_dword v11, off, s[0:3], 0 offset:44
	buffer_store_dword v10, off, s[0:3], 0 offset:40
.LBB84_23:
	s_or_b64 exec, exec, s[8:9]
	s_waitcnt lgkmcnt(0)
	; wave barrier
	buffer_load_dword v2, v117, s[0:3], 0 offen
	buffer_load_dword v3, v117, s[0:3], 0 offen offset:4
	buffer_load_dword v4, v117, s[0:3], 0 offen offset:8
	;; [unrolled: 1-line block ×3, first 2 shown]
	v_cmp_gt_u32_e32 vcc, 3, v119
	v_add_u32_e32 v7, -1, v119
	s_waitcnt vmcnt(0)
	ds_write_b128 v6, v[2:5]
	s_waitcnt lgkmcnt(0)
	; wave barrier
	s_waitcnt lgkmcnt(0)
	s_and_saveexec_b64 s[6:7], vcc
	s_cbranch_execz .LBB84_27
; %bb.24:
	v_pk_mov_b32 v[2:3], 0, 0
	v_add_u32_e32 v8, -1, v119
	v_add_u32_e32 v9, 0x150, v76
	v_add_u32_e32 v10, 0, v76
	s_mov_b64 s[8:9], 0
	v_pk_mov_b32 v[4:5], v[2:3], v[2:3] op_sel:[0,1]
.LBB84_25:                              ; =>This Inner Loop Header: Depth=1
	buffer_load_dword v16, v10, s[0:3], 0 offen offset:8
	buffer_load_dword v17, v10, s[0:3], 0 offen offset:12
	buffer_load_dword v18, v10, s[0:3], 0 offen
	buffer_load_dword v19, v10, s[0:3], 0 offen offset:4
	ds_read_b128 v[12:15], v9
	v_add_u32_e32 v8, 1, v8
	v_cmp_lt_u32_e32 vcc, 1, v8
	v_add_u32_e32 v9, 16, v9
	v_add_u32_e32 v10, 16, v10
	s_or_b64 s[8:9], vcc, s[8:9]
	s_waitcnt vmcnt(2) lgkmcnt(0)
	v_mul_f64 v[20:21], v[14:15], v[16:17]
	v_mul_f64 v[16:17], v[12:13], v[16:17]
	s_waitcnt vmcnt(0)
	v_fma_f64 v[12:13], v[12:13], v[18:19], -v[20:21]
	v_fmac_f64_e32 v[16:17], v[14:15], v[18:19]
	v_add_f64 v[4:5], v[4:5], v[12:13]
	v_add_f64 v[2:3], v[2:3], v[16:17]
	s_andn2_b64 exec, exec, s[8:9]
	s_cbranch_execnz .LBB84_25
; %bb.26:
	s_or_b64 exec, exec, s[8:9]
	v_mov_b32_e32 v8, 0
	ds_read_b128 v[8:11], v8 offset:48
	s_waitcnt lgkmcnt(0)
	v_mul_f64 v[12:13], v[2:3], v[10:11]
	v_mul_f64 v[10:11], v[4:5], v[10:11]
	v_fma_f64 v[4:5], v[4:5], v[8:9], -v[12:13]
	v_fmac_f64_e32 v[10:11], v[2:3], v[8:9]
	buffer_store_dword v5, off, s[0:3], 0 offset:52
	buffer_store_dword v4, off, s[0:3], 0 offset:48
	buffer_store_dword v11, off, s[0:3], 0 offset:60
	buffer_store_dword v10, off, s[0:3], 0 offset:56
.LBB84_27:
	s_or_b64 exec, exec, s[6:7]
	s_waitcnt lgkmcnt(0)
	; wave barrier
	buffer_load_dword v2, v113, s[0:3], 0 offen
	buffer_load_dword v3, v113, s[0:3], 0 offen offset:4
	buffer_load_dword v4, v113, s[0:3], 0 offen offset:8
	buffer_load_dword v5, v113, s[0:3], 0 offen offset:12
	v_cmp_gt_u32_e32 vcc, 4, v119
	s_waitcnt vmcnt(0)
	ds_write_b128 v6, v[2:5]
	s_waitcnt lgkmcnt(0)
	; wave barrier
	s_waitcnt lgkmcnt(0)
	s_and_saveexec_b64 s[6:7], vcc
	s_cbranch_execz .LBB84_31
; %bb.28:
	v_pk_mov_b32 v[2:3], 0, 0
	v_add_u32_e32 v8, -1, v119
	v_add_u32_e32 v9, 0x150, v76
	v_add_u32_e32 v10, 0, v76
	s_mov_b64 s[8:9], 0
	v_pk_mov_b32 v[4:5], v[2:3], v[2:3] op_sel:[0,1]
.LBB84_29:                              ; =>This Inner Loop Header: Depth=1
	buffer_load_dword v16, v10, s[0:3], 0 offen offset:8
	buffer_load_dword v17, v10, s[0:3], 0 offen offset:12
	buffer_load_dword v18, v10, s[0:3], 0 offen
	buffer_load_dword v19, v10, s[0:3], 0 offen offset:4
	ds_read_b128 v[12:15], v9
	v_add_u32_e32 v8, 1, v8
	v_cmp_lt_u32_e32 vcc, 2, v8
	v_add_u32_e32 v9, 16, v9
	v_add_u32_e32 v10, 16, v10
	s_or_b64 s[8:9], vcc, s[8:9]
	s_waitcnt vmcnt(2) lgkmcnt(0)
	v_mul_f64 v[20:21], v[14:15], v[16:17]
	v_mul_f64 v[16:17], v[12:13], v[16:17]
	s_waitcnt vmcnt(0)
	v_fma_f64 v[12:13], v[12:13], v[18:19], -v[20:21]
	v_fmac_f64_e32 v[16:17], v[14:15], v[18:19]
	v_add_f64 v[4:5], v[4:5], v[12:13]
	v_add_f64 v[2:3], v[2:3], v[16:17]
	s_andn2_b64 exec, exec, s[8:9]
	s_cbranch_execnz .LBB84_29
; %bb.30:
	s_or_b64 exec, exec, s[8:9]
	v_mov_b32_e32 v8, 0
	ds_read_b128 v[8:11], v8 offset:64
	s_waitcnt lgkmcnt(0)
	v_mul_f64 v[12:13], v[2:3], v[10:11]
	v_mul_f64 v[10:11], v[4:5], v[10:11]
	v_fma_f64 v[4:5], v[4:5], v[8:9], -v[12:13]
	v_fmac_f64_e32 v[10:11], v[2:3], v[8:9]
	buffer_store_dword v5, off, s[0:3], 0 offset:68
	buffer_store_dword v4, off, s[0:3], 0 offset:64
	buffer_store_dword v11, off, s[0:3], 0 offset:76
	buffer_store_dword v10, off, s[0:3], 0 offset:72
.LBB84_31:
	s_or_b64 exec, exec, s[6:7]
	s_waitcnt lgkmcnt(0)
	; wave barrier
	buffer_load_dword v2, v112, s[0:3], 0 offen
	buffer_load_dword v3, v112, s[0:3], 0 offen offset:4
	buffer_load_dword v4, v112, s[0:3], 0 offen offset:8
	buffer_load_dword v5, v112, s[0:3], 0 offen offset:12
	v_cmp_gt_u32_e32 vcc, 5, v119
	;; [unrolled: 57-line block ×16, first 2 shown]
	s_waitcnt vmcnt(0)
	ds_write_b128 v6, v[2:5]
	s_waitcnt lgkmcnt(0)
	; wave barrier
	s_waitcnt lgkmcnt(0)
	s_and_saveexec_b64 s[6:7], vcc
	s_cbranch_execz .LBB84_91
; %bb.88:
	v_pk_mov_b32 v[2:3], 0, 0
	v_add_u32_e32 v8, -1, v119
	v_add_u32_e32 v9, 0x150, v76
	v_add_u32_e32 v10, 0, v76
	s_mov_b64 s[8:9], 0
	v_pk_mov_b32 v[4:5], v[2:3], v[2:3] op_sel:[0,1]
.LBB84_89:                              ; =>This Inner Loop Header: Depth=1
	buffer_load_dword v16, v10, s[0:3], 0 offen offset:8
	buffer_load_dword v17, v10, s[0:3], 0 offen offset:12
	buffer_load_dword v18, v10, s[0:3], 0 offen
	buffer_load_dword v19, v10, s[0:3], 0 offen offset:4
	ds_read_b128 v[12:15], v9
	v_add_u32_e32 v8, 1, v8
	v_cmp_lt_u32_e32 vcc, 17, v8
	v_add_u32_e32 v9, 16, v9
	v_add_u32_e32 v10, 16, v10
	s_or_b64 s[8:9], vcc, s[8:9]
	s_waitcnt vmcnt(2) lgkmcnt(0)
	v_mul_f64 v[20:21], v[14:15], v[16:17]
	v_mul_f64 v[16:17], v[12:13], v[16:17]
	s_waitcnt vmcnt(0)
	v_fma_f64 v[12:13], v[12:13], v[18:19], -v[20:21]
	v_fmac_f64_e32 v[16:17], v[14:15], v[18:19]
	v_add_f64 v[4:5], v[4:5], v[12:13]
	v_add_f64 v[2:3], v[2:3], v[16:17]
	s_andn2_b64 exec, exec, s[8:9]
	s_cbranch_execnz .LBB84_89
; %bb.90:
	s_or_b64 exec, exec, s[8:9]
	v_mov_b32_e32 v8, 0
	ds_read_b128 v[8:11], v8 offset:304
	s_waitcnt lgkmcnt(0)
	v_mul_f64 v[12:13], v[2:3], v[10:11]
	v_mul_f64 v[10:11], v[4:5], v[10:11]
	v_fma_f64 v[4:5], v[4:5], v[8:9], -v[12:13]
	v_fmac_f64_e32 v[10:11], v[2:3], v[8:9]
	buffer_store_dword v5, off, s[0:3], 0 offset:308
	buffer_store_dword v4, off, s[0:3], 0 offset:304
	;; [unrolled: 1-line block ×4, first 2 shown]
.LBB84_91:
	s_or_b64 exec, exec, s[6:7]
	s_waitcnt lgkmcnt(0)
	; wave barrier
	buffer_load_dword v2, v1, s[0:3], 0 offen
	buffer_load_dword v3, v1, s[0:3], 0 offen offset:4
	buffer_load_dword v4, v1, s[0:3], 0 offen offset:8
	;; [unrolled: 1-line block ×3, first 2 shown]
	v_cmp_ne_u32_e32 vcc, 20, v119
	s_waitcnt vmcnt(0)
	ds_write_b128 v6, v[2:5]
	s_waitcnt lgkmcnt(0)
	; wave barrier
	s_waitcnt lgkmcnt(0)
	s_and_saveexec_b64 s[6:7], vcc
	s_cbranch_execz .LBB84_95
; %bb.92:
	v_pk_mov_b32 v[2:3], 0, 0
	v_add_u32_e32 v6, 0x150, v76
	v_add_u32_e32 v8, 0, v76
	s_mov_b64 s[8:9], 0
	v_pk_mov_b32 v[4:5], v[2:3], v[2:3] op_sel:[0,1]
.LBB84_93:                              ; =>This Inner Loop Header: Depth=1
	buffer_load_dword v14, v8, s[0:3], 0 offen offset:8
	buffer_load_dword v15, v8, s[0:3], 0 offen offset:12
	buffer_load_dword v16, v8, s[0:3], 0 offen
	buffer_load_dword v17, v8, s[0:3], 0 offen offset:4
	ds_read_b128 v[10:13], v6
	v_add_u32_e32 v7, 1, v7
	v_cmp_lt_u32_e32 vcc, 18, v7
	v_add_u32_e32 v6, 16, v6
	v_add_u32_e32 v8, 16, v8
	s_or_b64 s[8:9], vcc, s[8:9]
	s_waitcnt vmcnt(2) lgkmcnt(0)
	v_mul_f64 v[18:19], v[12:13], v[14:15]
	v_mul_f64 v[14:15], v[10:11], v[14:15]
	s_waitcnt vmcnt(0)
	v_fma_f64 v[10:11], v[10:11], v[16:17], -v[18:19]
	v_fmac_f64_e32 v[14:15], v[12:13], v[16:17]
	v_add_f64 v[4:5], v[4:5], v[10:11]
	v_add_f64 v[2:3], v[2:3], v[14:15]
	s_andn2_b64 exec, exec, s[8:9]
	s_cbranch_execnz .LBB84_93
; %bb.94:
	s_or_b64 exec, exec, s[8:9]
	v_mov_b32_e32 v6, 0
	ds_read_b128 v[6:9], v6 offset:320
	s_waitcnt lgkmcnt(0)
	v_mul_f64 v[10:11], v[2:3], v[8:9]
	v_mul_f64 v[8:9], v[4:5], v[8:9]
	v_fma_f64 v[4:5], v[4:5], v[6:7], -v[10:11]
	v_fmac_f64_e32 v[8:9], v[2:3], v[6:7]
	buffer_store_dword v5, off, s[0:3], 0 offset:324
	buffer_store_dword v4, off, s[0:3], 0 offset:320
	;; [unrolled: 1-line block ×4, first 2 shown]
.LBB84_95:
	s_or_b64 exec, exec, s[6:7]
	s_mov_b64 s[8:9], -1
	s_waitcnt lgkmcnt(0)
	; wave barrier
.LBB84_96:
	s_and_b64 vcc, exec, s[8:9]
	s_cbranch_vccz .LBB84_98
; %bb.97:
	s_lshl_b64 s[6:7], s[10:11], 2
	s_add_u32 s6, s14, s6
	s_addc_u32 s7, s15, s7
	v_mov_b32_e32 v2, 0
	global_load_dword v2, v2, s[6:7]
	s_waitcnt vmcnt(0)
	v_cmp_ne_u32_e32 vcc, 0, v2
	s_cbranch_vccz .LBB84_99
.LBB84_98:
	s_endpgm
.LBB84_99:
	v_mov_b32_e32 v2, 0x150
	v_lshl_add_u32 v120, v119, 4, v2
	v_cmp_eq_u32_e32 vcc, 20, v119
	s_and_saveexec_b64 s[6:7], vcc
	s_cbranch_execz .LBB84_101
; %bb.100:
	buffer_load_dword v2, v100, s[0:3], 0 offen
	buffer_load_dword v3, v100, s[0:3], 0 offen offset:4
	buffer_load_dword v4, v100, s[0:3], 0 offen offset:8
	;; [unrolled: 1-line block ×3, first 2 shown]
	v_mov_b32_e32 v6, 0
	buffer_store_dword v6, off, s[0:3], 0 offset:304
	buffer_store_dword v6, off, s[0:3], 0 offset:308
	;; [unrolled: 1-line block ×4, first 2 shown]
	s_waitcnt vmcnt(4)
	ds_write_b128 v120, v[2:5]
.LBB84_101:
	s_or_b64 exec, exec, s[6:7]
	s_waitcnt lgkmcnt(0)
	; wave barrier
	s_waitcnt lgkmcnt(0)
	buffer_load_dword v8, off, s[0:3], 0 offset:328
	buffer_load_dword v9, off, s[0:3], 0 offset:332
	;; [unrolled: 1-line block ×8, first 2 shown]
	v_mov_b32_e32 v2, 0
	ds_read_b128 v[4:7], v2 offset:656
	v_cmp_lt_u32_e32 vcc, 18, v119
	s_waitcnt vmcnt(6) lgkmcnt(0)
	v_mul_f64 v[16:17], v[4:5], v[8:9]
	v_mul_f64 v[8:9], v[6:7], v[8:9]
	s_waitcnt vmcnt(4)
	v_fma_f64 v[4:5], v[4:5], v[10:11], -v[8:9]
	v_fmac_f64_e32 v[16:17], v[6:7], v[10:11]
	v_add_f64 v[4:5], v[4:5], 0
	v_add_f64 v[6:7], v[16:17], 0
	s_waitcnt vmcnt(2)
	v_add_f64 v[4:5], v[12:13], -v[4:5]
	s_waitcnt vmcnt(0)
	v_add_f64 v[6:7], v[14:15], -v[6:7]
	buffer_store_dword v4, off, s[0:3], 0 offset:304
	buffer_store_dword v5, off, s[0:3], 0 offset:308
	buffer_store_dword v6, off, s[0:3], 0 offset:312
	buffer_store_dword v7, off, s[0:3], 0 offset:316
	s_and_saveexec_b64 s[6:7], vcc
	s_cbranch_execz .LBB84_103
; %bb.102:
	buffer_load_dword v4, v103, s[0:3], 0 offen
	buffer_load_dword v5, v103, s[0:3], 0 offen offset:4
	buffer_load_dword v6, v103, s[0:3], 0 offen offset:8
	;; [unrolled: 1-line block ×3, first 2 shown]
	s_nop 0
	buffer_store_dword v2, off, s[0:3], 0 offset:288
	buffer_store_dword v2, off, s[0:3], 0 offset:292
	;; [unrolled: 1-line block ×4, first 2 shown]
	s_waitcnt vmcnt(4)
	ds_write_b128 v120, v[4:7]
.LBB84_103:
	s_or_b64 exec, exec, s[6:7]
	s_waitcnt lgkmcnt(0)
	; wave barrier
	s_waitcnt lgkmcnt(0)
	buffer_load_dword v12, off, s[0:3], 0 offset:312
	buffer_load_dword v13, off, s[0:3], 0 offset:316
	;; [unrolled: 1-line block ×12, first 2 shown]
	ds_read_b128 v[4:7], v2 offset:640
	ds_read_b128 v[8:11], v2 offset:656
	v_cmp_lt_u32_e32 vcc, 17, v119
	s_waitcnt vmcnt(10) lgkmcnt(1)
	v_mul_f64 v[2:3], v[4:5], v[12:13]
	v_mul_f64 v[12:13], v[6:7], v[12:13]
	s_waitcnt vmcnt(8) lgkmcnt(0)
	v_mul_f64 v[24:25], v[8:9], v[14:15]
	v_mul_f64 v[14:15], v[10:11], v[14:15]
	s_waitcnt vmcnt(6)
	v_fma_f64 v[4:5], v[4:5], v[16:17], -v[12:13]
	v_fmac_f64_e32 v[2:3], v[6:7], v[16:17]
	s_waitcnt vmcnt(4)
	v_fma_f64 v[6:7], v[8:9], v[18:19], -v[14:15]
	v_add_f64 v[4:5], v[4:5], 0
	v_fmac_f64_e32 v[24:25], v[10:11], v[18:19]
	v_add_f64 v[2:3], v[2:3], 0
	v_add_f64 v[4:5], v[4:5], v[6:7]
	;; [unrolled: 1-line block ×3, first 2 shown]
	s_waitcnt vmcnt(2)
	v_add_f64 v[4:5], v[20:21], -v[4:5]
	s_waitcnt vmcnt(0)
	v_add_f64 v[2:3], v[22:23], -v[2:3]
	buffer_store_dword v4, off, s[0:3], 0 offset:288
	buffer_store_dword v5, off, s[0:3], 0 offset:292
	;; [unrolled: 1-line block ×4, first 2 shown]
	s_and_saveexec_b64 s[6:7], vcc
	s_cbranch_execz .LBB84_105
; %bb.104:
	buffer_load_dword v2, v101, s[0:3], 0 offen
	buffer_load_dword v3, v101, s[0:3], 0 offen offset:4
	buffer_load_dword v4, v101, s[0:3], 0 offen offset:8
	buffer_load_dword v5, v101, s[0:3], 0 offen offset:12
	v_mov_b32_e32 v6, 0
	buffer_store_dword v6, off, s[0:3], 0 offset:272
	buffer_store_dword v6, off, s[0:3], 0 offset:276
	;; [unrolled: 1-line block ×4, first 2 shown]
	s_waitcnt vmcnt(4)
	ds_write_b128 v120, v[2:5]
.LBB84_105:
	s_or_b64 exec, exec, s[6:7]
	s_waitcnt lgkmcnt(0)
	; wave barrier
	s_waitcnt lgkmcnt(0)
	buffer_load_dword v16, off, s[0:3], 0 offset:296
	buffer_load_dword v17, off, s[0:3], 0 offset:300
	buffer_load_dword v18, off, s[0:3], 0 offset:312
	buffer_load_dword v19, off, s[0:3], 0 offset:316
	buffer_load_dword v20, off, s[0:3], 0 offset:328
	buffer_load_dword v21, off, s[0:3], 0 offset:332
	buffer_load_dword v22, off, s[0:3], 0 offset:288
	buffer_load_dword v23, off, s[0:3], 0 offset:292
	buffer_load_dword v24, off, s[0:3], 0 offset:304
	buffer_load_dword v25, off, s[0:3], 0 offset:308
	buffer_load_dword v26, off, s[0:3], 0 offset:320
	buffer_load_dword v27, off, s[0:3], 0 offset:324
	buffer_load_dword v28, off, s[0:3], 0 offset:272
	buffer_load_dword v29, off, s[0:3], 0 offset:276
	buffer_load_dword v30, off, s[0:3], 0 offset:280
	buffer_load_dword v31, off, s[0:3], 0 offset:284
	v_mov_b32_e32 v2, 0
	ds_read_b128 v[4:7], v2 offset:624
	ds_read_b128 v[8:11], v2 offset:640
	;; [unrolled: 1-line block ×3, first 2 shown]
	v_cmp_lt_u32_e32 vcc, 16, v119
	s_waitcnt vmcnt(14) lgkmcnt(2)
	v_mul_f64 v[32:33], v[4:5], v[16:17]
	v_mul_f64 v[16:17], v[6:7], v[16:17]
	s_waitcnt vmcnt(12) lgkmcnt(1)
	v_mul_f64 v[76:77], v[8:9], v[18:19]
	v_mul_f64 v[18:19], v[10:11], v[18:19]
	;; [unrolled: 3-line block ×3, first 2 shown]
	s_waitcnt vmcnt(8)
	v_fma_f64 v[4:5], v[4:5], v[22:23], -v[16:17]
	v_fmac_f64_e32 v[32:33], v[6:7], v[22:23]
	s_waitcnt vmcnt(6)
	v_fma_f64 v[6:7], v[8:9], v[24:25], -v[18:19]
	v_add_f64 v[4:5], v[4:5], 0
	v_fmac_f64_e32 v[76:77], v[10:11], v[24:25]
	s_waitcnt vmcnt(4)
	v_fma_f64 v[8:9], v[12:13], v[26:27], -v[20:21]
	v_add_f64 v[10:11], v[32:33], 0
	v_add_f64 v[4:5], v[4:5], v[6:7]
	v_fmac_f64_e32 v[78:79], v[14:15], v[26:27]
	v_add_f64 v[10:11], v[10:11], v[76:77]
	v_add_f64 v[4:5], v[4:5], v[8:9]
	;; [unrolled: 1-line block ×3, first 2 shown]
	s_waitcnt vmcnt(2)
	v_add_f64 v[4:5], v[28:29], -v[4:5]
	s_waitcnt vmcnt(0)
	v_add_f64 v[6:7], v[30:31], -v[6:7]
	buffer_store_dword v4, off, s[0:3], 0 offset:272
	buffer_store_dword v5, off, s[0:3], 0 offset:276
	buffer_store_dword v6, off, s[0:3], 0 offset:280
	buffer_store_dword v7, off, s[0:3], 0 offset:284
	s_and_saveexec_b64 s[6:7], vcc
	s_cbranch_execz .LBB84_107
; %bb.106:
	buffer_load_dword v4, v102, s[0:3], 0 offen
	buffer_load_dword v5, v102, s[0:3], 0 offen offset:4
	buffer_load_dword v6, v102, s[0:3], 0 offen offset:8
	;; [unrolled: 1-line block ×3, first 2 shown]
	s_nop 0
	buffer_store_dword v2, off, s[0:3], 0 offset:256
	buffer_store_dword v2, off, s[0:3], 0 offset:260
	;; [unrolled: 1-line block ×4, first 2 shown]
	s_waitcnt vmcnt(4)
	ds_write_b128 v120, v[4:7]
.LBB84_107:
	s_or_b64 exec, exec, s[6:7]
	s_waitcnt lgkmcnt(0)
	; wave barrier
	s_waitcnt lgkmcnt(0)
	buffer_load_dword v20, off, s[0:3], 0 offset:280
	buffer_load_dword v21, off, s[0:3], 0 offset:284
	;; [unrolled: 1-line block ×20, first 2 shown]
	ds_read_b128 v[4:7], v2 offset:608
	ds_read_b128 v[8:11], v2 offset:624
	;; [unrolled: 1-line block ×4, first 2 shown]
	v_cmp_lt_u32_e32 vcc, 15, v119
	s_waitcnt vmcnt(18) lgkmcnt(3)
	v_mul_f64 v[2:3], v[4:5], v[20:21]
	v_mul_f64 v[20:21], v[6:7], v[20:21]
	s_waitcnt vmcnt(16) lgkmcnt(2)
	v_mul_f64 v[82:83], v[8:9], v[22:23]
	v_mul_f64 v[22:23], v[10:11], v[22:23]
	;; [unrolled: 3-line block ×4, first 2 shown]
	s_waitcnt vmcnt(10)
	v_fma_f64 v[4:5], v[4:5], v[28:29], -v[20:21]
	v_fmac_f64_e32 v[2:3], v[6:7], v[28:29]
	s_waitcnt vmcnt(8)
	v_fma_f64 v[6:7], v[8:9], v[30:31], -v[22:23]
	v_add_f64 v[4:5], v[4:5], 0
	v_fmac_f64_e32 v[82:83], v[10:11], v[30:31]
	s_waitcnt vmcnt(6)
	v_fma_f64 v[8:9], v[12:13], v[32:33], -v[24:25]
	v_add_f64 v[2:3], v[2:3], 0
	v_add_f64 v[4:5], v[4:5], v[6:7]
	v_fmac_f64_e32 v[84:85], v[14:15], v[32:33]
	s_waitcnt vmcnt(4)
	v_fma_f64 v[10:11], v[16:17], v[76:77], -v[26:27]
	v_add_f64 v[2:3], v[2:3], v[82:83]
	v_add_f64 v[4:5], v[4:5], v[8:9]
	v_fmac_f64_e32 v[86:87], v[18:19], v[76:77]
	v_add_f64 v[2:3], v[2:3], v[84:85]
	v_add_f64 v[4:5], v[4:5], v[10:11]
	;; [unrolled: 1-line block ×3, first 2 shown]
	s_waitcnt vmcnt(2)
	v_add_f64 v[4:5], v[78:79], -v[4:5]
	s_waitcnt vmcnt(0)
	v_add_f64 v[2:3], v[80:81], -v[2:3]
	buffer_store_dword v4, off, s[0:3], 0 offset:256
	buffer_store_dword v5, off, s[0:3], 0 offset:260
	;; [unrolled: 1-line block ×4, first 2 shown]
	s_and_saveexec_b64 s[6:7], vcc
	s_cbranch_execz .LBB84_109
; %bb.108:
	buffer_load_dword v2, v106, s[0:3], 0 offen
	buffer_load_dword v3, v106, s[0:3], 0 offen offset:4
	buffer_load_dword v4, v106, s[0:3], 0 offen offset:8
	;; [unrolled: 1-line block ×3, first 2 shown]
	v_mov_b32_e32 v6, 0
	buffer_store_dword v6, off, s[0:3], 0 offset:240
	buffer_store_dword v6, off, s[0:3], 0 offset:244
	;; [unrolled: 1-line block ×4, first 2 shown]
	s_waitcnt vmcnt(4)
	ds_write_b128 v120, v[2:5]
.LBB84_109:
	s_or_b64 exec, exec, s[6:7]
	s_waitcnt lgkmcnt(0)
	; wave barrier
	s_waitcnt lgkmcnt(0)
	buffer_load_dword v24, off, s[0:3], 0 offset:264
	buffer_load_dword v25, off, s[0:3], 0 offset:268
	;; [unrolled: 1-line block ×24, first 2 shown]
	v_mov_b32_e32 v2, 0
	ds_read_b128 v[4:7], v2 offset:592
	ds_read_b128 v[8:11], v2 offset:608
	;; [unrolled: 1-line block ×5, first 2 shown]
	v_cmp_lt_u32_e32 vcc, 14, v119
	s_waitcnt vmcnt(22) lgkmcnt(4)
	v_mul_f64 v[90:91], v[4:5], v[24:25]
	v_mul_f64 v[24:25], v[6:7], v[24:25]
	s_waitcnt vmcnt(20) lgkmcnt(3)
	v_mul_f64 v[92:93], v[8:9], v[26:27]
	v_mul_f64 v[26:27], v[10:11], v[26:27]
	;; [unrolled: 3-line block ×4, first 2 shown]
	s_waitcnt vmcnt(13) lgkmcnt(0)
	v_mul_f64 v[98:99], v[20:21], v[30:31]
	s_waitcnt vmcnt(11)
	v_fma_f64 v[4:5], v[4:5], v[78:79], -v[24:25]
	v_fmac_f64_e32 v[90:91], v[6:7], v[78:79]
	s_waitcnt vmcnt(9)
	v_fma_f64 v[6:7], v[8:9], v[80:81], -v[26:27]
	v_add_f64 v[4:5], v[4:5], 0
	v_fmac_f64_e32 v[92:93], v[10:11], v[80:81]
	s_waitcnt vmcnt(7)
	v_fmac_f64_e32 v[94:95], v[14:15], v[82:83]
	v_fma_f64 v[8:9], v[12:13], v[82:83], -v[28:29]
	v_add_f64 v[14:15], v[90:91], 0
	v_add_f64 v[4:5], v[4:5], v[6:7]
	v_mul_f64 v[30:31], v[22:23], v[30:31]
	s_waitcnt vmcnt(5)
	v_fma_f64 v[10:11], v[16:17], v[84:85], -v[76:77]
	v_add_f64 v[14:15], v[14:15], v[92:93]
	v_add_f64 v[4:5], v[4:5], v[8:9]
	v_fmac_f64_e32 v[96:97], v[18:19], v[84:85]
	s_waitcnt vmcnt(4)
	v_fma_f64 v[12:13], v[20:21], v[32:33], -v[30:31]
	v_add_f64 v[6:7], v[14:15], v[94:95]
	v_add_f64 v[4:5], v[4:5], v[10:11]
	v_fmac_f64_e32 v[98:99], v[22:23], v[32:33]
	v_add_f64 v[6:7], v[6:7], v[96:97]
	v_add_f64 v[4:5], v[4:5], v[12:13]
	;; [unrolled: 1-line block ×3, first 2 shown]
	s_waitcnt vmcnt(2)
	v_add_f64 v[4:5], v[86:87], -v[4:5]
	s_waitcnt vmcnt(0)
	v_add_f64 v[6:7], v[88:89], -v[6:7]
	buffer_store_dword v5, off, s[0:3], 0 offset:244
	buffer_store_dword v4, off, s[0:3], 0 offset:240
	;; [unrolled: 1-line block ×4, first 2 shown]
	s_and_saveexec_b64 s[6:7], vcc
	s_cbranch_execz .LBB84_111
; %bb.110:
	buffer_load_dword v4, v107, s[0:3], 0 offen
	buffer_load_dword v5, v107, s[0:3], 0 offen offset:4
	buffer_load_dword v6, v107, s[0:3], 0 offen offset:8
	;; [unrolled: 1-line block ×3, first 2 shown]
	s_nop 0
	buffer_store_dword v2, off, s[0:3], 0 offset:224
	buffer_store_dword v2, off, s[0:3], 0 offset:228
	;; [unrolled: 1-line block ×4, first 2 shown]
	s_waitcnt vmcnt(4)
	ds_write_b128 v120, v[4:7]
.LBB84_111:
	s_or_b64 exec, exec, s[6:7]
	s_waitcnt lgkmcnt(0)
	; wave barrier
	s_waitcnt lgkmcnt(0)
	ds_read_b128 v[4:7], v2 offset:576
	ds_read_b128 v[8:11], v2 offset:592
	;; [unrolled: 1-line block ×4, first 2 shown]
	buffer_load_dword v28, off, s[0:3], 0 offset:224
	buffer_load_dword v29, off, s[0:3], 0 offset:228
	;; [unrolled: 1-line block ×20, first 2 shown]
	v_cmp_lt_u32_e32 vcc, 13, v119
	s_waitcnt vmcnt(12) lgkmcnt(3)
	v_mul_f64 v[20:21], v[4:5], v[76:77]
	v_fmac_f64_e32 v[20:21], v[6:7], v[32:33]
	v_add_f64 v[20:21], v[20:21], 0
	v_mul_f64 v[6:7], v[6:7], v[76:77]
	s_waitcnt vmcnt(8) lgkmcnt(2)
	v_mul_f64 v[22:23], v[8:9], v[80:81]
	v_fmac_f64_e32 v[22:23], v[10:11], v[78:79]
	v_add_f64 v[20:21], v[20:21], v[22:23]
	v_fma_f64 v[4:5], v[4:5], v[32:33], -v[6:7]
	s_waitcnt vmcnt(4) lgkmcnt(1)
	v_mul_f64 v[22:23], v[12:13], v[84:85]
	v_fmac_f64_e32 v[22:23], v[14:15], v[82:83]
	v_add_f64 v[20:21], v[20:21], v[22:23]
	s_waitcnt vmcnt(0) lgkmcnt(0)
	v_mul_f64 v[22:23], v[16:17], v[88:89]
	v_fmac_f64_e32 v[22:23], v[18:19], v[86:87]
	v_add_f64 v[24:25], v[20:21], v[22:23]
	ds_read_b128 v[20:23], v2 offset:640
	buffer_load_dword v91, off, s[0:3], 0 offset:308
	buffer_load_dword v90, off, s[0:3], 0 offset:304
	;; [unrolled: 1-line block ×4, first 2 shown]
	v_mul_f64 v[6:7], v[10:11], v[80:81]
	v_add_f64 v[4:5], v[4:5], 0
	v_fma_f64 v[6:7], v[8:9], v[78:79], -v[6:7]
	v_add_f64 v[4:5], v[4:5], v[6:7]
	v_mul_f64 v[6:7], v[14:15], v[84:85]
	v_fma_f64 v[6:7], v[12:13], v[82:83], -v[6:7]
	v_add_f64 v[4:5], v[4:5], v[6:7]
	v_mul_f64 v[6:7], v[18:19], v[88:89]
	v_fma_f64 v[6:7], v[16:17], v[86:87], -v[6:7]
	v_add_f64 v[4:5], v[4:5], v[6:7]
	s_waitcnt vmcnt(0) lgkmcnt(0)
	v_mul_f64 v[26:27], v[20:21], v[92:93]
	v_fmac_f64_e32 v[26:27], v[22:23], v[90:91]
	v_add_f64 v[94:95], v[24:25], v[26:27]
	ds_read_b128 v[24:27], v2 offset:656
	buffer_load_dword v3, off, s[0:3], 0 offset:324
	buffer_load_dword v2, off, s[0:3], 0 offset:320
	;; [unrolled: 1-line block ×4, first 2 shown]
	v_mul_f64 v[6:7], v[22:23], v[92:93]
	v_fma_f64 v[6:7], v[20:21], v[90:91], -v[6:7]
	v_add_f64 v[4:5], v[4:5], v[6:7]
	s_waitcnt vmcnt(0) lgkmcnt(0)
	v_mul_f64 v[98:99], v[24:25], v[96:97]
	v_mul_f64 v[6:7], v[26:27], v[96:97]
	v_fmac_f64_e32 v[98:99], v[26:27], v[2:3]
	v_fma_f64 v[2:3], v[24:25], v[2:3], -v[6:7]
	v_add_f64 v[2:3], v[4:5], v[2:3]
	v_add_f64 v[94:95], v[94:95], v[98:99]
	v_add_f64 v[2:3], v[28:29], -v[2:3]
	v_add_f64 v[4:5], v[30:31], -v[94:95]
	buffer_store_dword v3, off, s[0:3], 0 offset:228
	buffer_store_dword v2, off, s[0:3], 0 offset:224
	;; [unrolled: 1-line block ×4, first 2 shown]
	s_and_saveexec_b64 s[6:7], vcc
	s_cbranch_execz .LBB84_113
; %bb.112:
	buffer_load_dword v2, v105, s[0:3], 0 offen
	buffer_load_dword v3, v105, s[0:3], 0 offen offset:4
	buffer_load_dword v4, v105, s[0:3], 0 offen offset:8
	;; [unrolled: 1-line block ×3, first 2 shown]
	v_mov_b32_e32 v6, 0
	buffer_store_dword v6, off, s[0:3], 0 offset:208
	buffer_store_dword v6, off, s[0:3], 0 offset:212
	;; [unrolled: 1-line block ×4, first 2 shown]
	s_waitcnt vmcnt(4)
	ds_write_b128 v120, v[2:5]
.LBB84_113:
	s_or_b64 exec, exec, s[6:7]
	s_waitcnt lgkmcnt(0)
	; wave barrier
	s_waitcnt lgkmcnt(0)
	buffer_load_dword v32, off, s[0:3], 0 offset:232
	buffer_load_dword v33, off, s[0:3], 0 offset:236
	;; [unrolled: 1-line block ×32, first 2 shown]
	v_mov_b32_e32 v2, 0
	ds_read_b128 v[4:7], v2 offset:560
	ds_read_b128 v[8:11], v2 offset:576
	;; [unrolled: 1-line block ×7, first 2 shown]
	v_cmp_lt_u32_e32 vcc, 12, v119
	s_waitcnt vmcnt(30) lgkmcnt(6)
	v_mul_f64 v[128:129], v[4:5], v[32:33]
	v_mul_f64 v[32:33], v[6:7], v[32:33]
	s_waitcnt vmcnt(28) lgkmcnt(5)
	v_mul_f64 v[130:131], v[8:9], v[76:77]
	v_mul_f64 v[76:77], v[10:11], v[76:77]
	;; [unrolled: 3-line block ×4, first 2 shown]
	s_waitcnt vmcnt(21)
	v_mul_f64 v[134:135], v[16:17], v[84:85]
	v_mul_f64 v[84:85], v[18:19], v[84:85]
	s_waitcnt vmcnt(17) lgkmcnt(1)
	v_mul_f64 v[138:139], v[24:25], v[90:91]
	v_mul_f64 v[90:91], v[26:27], v[90:91]
	s_waitcnt vmcnt(16) lgkmcnt(0)
	v_mul_f64 v[140:141], v[28:29], v[86:87]
	v_mul_f64 v[86:87], v[30:31], v[86:87]
	s_waitcnt vmcnt(13)
	v_fma_f64 v[4:5], v[4:5], v[92:93], -v[32:33]
	v_fmac_f64_e32 v[128:129], v[6:7], v[92:93]
	s_waitcnt vmcnt(11)
	v_fma_f64 v[6:7], v[8:9], v[94:95], -v[76:77]
	v_add_f64 v[4:5], v[4:5], 0
	v_fmac_f64_e32 v[130:131], v[10:11], v[94:95]
	s_waitcnt vmcnt(9)
	v_fma_f64 v[8:9], v[12:13], v[96:97], -v[78:79]
	s_waitcnt vmcnt(7)
	v_fmac_f64_e32 v[134:135], v[18:19], v[98:99]
	v_add_f64 v[18:19], v[128:129], 0
	v_add_f64 v[4:5], v[4:5], v[6:7]
	v_fmac_f64_e32 v[132:133], v[14:15], v[96:97]
	v_fma_f64 v[10:11], v[16:17], v[98:99], -v[84:85]
	v_add_f64 v[18:19], v[18:19], v[130:131]
	v_add_f64 v[4:5], v[4:5], v[8:9]
	v_fma_f64 v[12:13], v[20:21], v[82:83], -v[80:81]
	v_add_f64 v[6:7], v[18:19], v[132:133]
	v_add_f64 v[4:5], v[4:5], v[10:11]
	v_fmac_f64_e32 v[136:137], v[22:23], v[82:83]
	s_waitcnt vmcnt(5)
	v_fma_f64 v[14:15], v[24:25], v[122:123], -v[90:91]
	v_add_f64 v[6:7], v[6:7], v[134:135]
	v_add_f64 v[4:5], v[4:5], v[12:13]
	v_fmac_f64_e32 v[138:139], v[26:27], v[122:123]
	s_waitcnt vmcnt(4)
	v_fma_f64 v[16:17], v[28:29], v[88:89], -v[86:87]
	v_add_f64 v[6:7], v[6:7], v[136:137]
	v_add_f64 v[4:5], v[4:5], v[14:15]
	v_fmac_f64_e32 v[140:141], v[30:31], v[88:89]
	v_add_f64 v[6:7], v[6:7], v[138:139]
	v_add_f64 v[4:5], v[4:5], v[16:17]
	;; [unrolled: 1-line block ×3, first 2 shown]
	s_waitcnt vmcnt(2)
	v_add_f64 v[4:5], v[124:125], -v[4:5]
	s_waitcnt vmcnt(0)
	v_add_f64 v[6:7], v[126:127], -v[6:7]
	buffer_store_dword v5, off, s[0:3], 0 offset:212
	buffer_store_dword v4, off, s[0:3], 0 offset:208
	;; [unrolled: 1-line block ×4, first 2 shown]
	s_and_saveexec_b64 s[6:7], vcc
	s_cbranch_execz .LBB84_115
; %bb.114:
	buffer_load_dword v4, v104, s[0:3], 0 offen
	buffer_load_dword v5, v104, s[0:3], 0 offen offset:4
	buffer_load_dword v6, v104, s[0:3], 0 offen offset:8
	;; [unrolled: 1-line block ×3, first 2 shown]
	s_nop 0
	buffer_store_dword v2, off, s[0:3], 0 offset:192
	buffer_store_dword v2, off, s[0:3], 0 offset:196
	;; [unrolled: 1-line block ×4, first 2 shown]
	s_waitcnt vmcnt(4)
	ds_write_b128 v120, v[4:7]
.LBB84_115:
	s_or_b64 exec, exec, s[6:7]
	s_waitcnt lgkmcnt(0)
	; wave barrier
	s_waitcnt lgkmcnt(0)
	buffer_load_dword v32, off, s[0:3], 0 offset:216
	buffer_load_dword v33, off, s[0:3], 0 offset:220
	;; [unrolled: 1-line block ×36, first 2 shown]
	ds_read_b128 v[4:7], v2 offset:544
	ds_read_b128 v[8:11], v2 offset:560
	;; [unrolled: 1-line block ×8, first 2 shown]
	v_cmp_lt_u32_e32 vcc, 11, v119
	s_waitcnt vmcnt(34) lgkmcnt(7)
	v_mul_f64 v[2:3], v[4:5], v[32:33]
	v_mul_f64 v[32:33], v[6:7], v[32:33]
	s_waitcnt vmcnt(32) lgkmcnt(6)
	v_mul_f64 v[136:137], v[8:9], v[80:81]
	v_mul_f64 v[80:81], v[10:11], v[80:81]
	;; [unrolled: 3-line block ×4, first 2 shown]
	s_waitcnt vmcnt(25)
	v_mul_f64 v[140:141], v[16:17], v[88:89]
	v_mul_f64 v[88:89], v[18:19], v[88:89]
	s_waitcnt vmcnt(23) lgkmcnt(1)
	v_mul_f64 v[146:147], v[28:29], v[90:91]
	v_mul_f64 v[90:91], v[30:31], v[90:91]
	s_waitcnt vmcnt(20)
	v_mul_f64 v[144:145], v[24:25], v[94:95]
	v_mul_f64 v[94:95], v[26:27], v[94:95]
	s_waitcnt vmcnt(18) lgkmcnt(0)
	v_mul_f64 v[148:149], v[76:77], v[96:97]
	s_waitcnt vmcnt(17)
	v_fmac_f64_e32 v[142:143], v[22:23], v[86:87]
	s_waitcnt vmcnt(16)
	v_fmac_f64_e32 v[146:147], v[30:31], v[92:93]
	s_waitcnt vmcnt(14)
	v_fma_f64 v[4:5], v[4:5], v[98:99], -v[32:33]
	v_fmac_f64_e32 v[2:3], v[6:7], v[98:99]
	s_waitcnt vmcnt(12)
	v_fma_f64 v[6:7], v[8:9], v[122:123], -v[80:81]
	v_add_f64 v[4:5], v[4:5], 0
	v_fmac_f64_e32 v[136:137], v[10:11], v[122:123]
	s_waitcnt vmcnt(10)
	v_fma_f64 v[8:9], v[12:13], v[124:125], -v[82:83]
	v_add_f64 v[2:3], v[2:3], 0
	v_add_f64 v[4:5], v[4:5], v[6:7]
	v_fmac_f64_e32 v[138:139], v[14:15], v[124:125]
	s_waitcnt vmcnt(8)
	v_fma_f64 v[10:11], v[16:17], v[126:127], -v[88:89]
	v_add_f64 v[2:3], v[2:3], v[136:137]
	v_add_f64 v[4:5], v[4:5], v[8:9]
	v_fmac_f64_e32 v[140:141], v[18:19], v[126:127]
	v_fma_f64 v[12:13], v[20:21], v[86:87], -v[84:85]
	v_add_f64 v[2:3], v[2:3], v[138:139]
	v_add_f64 v[4:5], v[4:5], v[10:11]
	s_waitcnt vmcnt(6)
	v_fma_f64 v[14:15], v[24:25], v[128:129], -v[94:95]
	v_add_f64 v[2:3], v[2:3], v[140:141]
	v_add_f64 v[4:5], v[4:5], v[12:13]
	v_fmac_f64_e32 v[144:145], v[26:27], v[128:129]
	v_fma_f64 v[16:17], v[28:29], v[92:93], -v[90:91]
	v_add_f64 v[2:3], v[2:3], v[142:143]
	v_add_f64 v[4:5], v[4:5], v[14:15]
	v_mul_f64 v[6:7], v[78:79], v[96:97]
	v_add_f64 v[2:3], v[2:3], v[144:145]
	v_add_f64 v[4:5], v[4:5], v[16:17]
	s_waitcnt vmcnt(4)
	v_fma_f64 v[6:7], v[76:77], v[130:131], -v[6:7]
	v_fmac_f64_e32 v[148:149], v[78:79], v[130:131]
	v_add_f64 v[2:3], v[2:3], v[146:147]
	v_add_f64 v[4:5], v[4:5], v[6:7]
	;; [unrolled: 1-line block ×3, first 2 shown]
	s_waitcnt vmcnt(2)
	v_add_f64 v[4:5], v[132:133], -v[4:5]
	s_waitcnt vmcnt(0)
	v_add_f64 v[2:3], v[134:135], -v[2:3]
	buffer_store_dword v5, off, s[0:3], 0 offset:196
	buffer_store_dword v4, off, s[0:3], 0 offset:192
	;; [unrolled: 1-line block ×4, first 2 shown]
	s_and_saveexec_b64 s[6:7], vcc
	s_cbranch_execz .LBB84_117
; %bb.116:
	buffer_load_dword v2, v111, s[0:3], 0 offen
	buffer_load_dword v3, v111, s[0:3], 0 offen offset:4
	buffer_load_dword v4, v111, s[0:3], 0 offen offset:8
	;; [unrolled: 1-line block ×3, first 2 shown]
	v_mov_b32_e32 v6, 0
	buffer_store_dword v6, off, s[0:3], 0 offset:176
	buffer_store_dword v6, off, s[0:3], 0 offset:180
	;; [unrolled: 1-line block ×4, first 2 shown]
	s_waitcnt vmcnt(4)
	ds_write_b128 v120, v[2:5]
.LBB84_117:
	s_or_b64 exec, exec, s[6:7]
	s_waitcnt lgkmcnt(0)
	; wave barrier
	s_waitcnt lgkmcnt(0)
	buffer_load_dword v80, off, s[0:3], 0 offset:200
	buffer_load_dword v81, off, s[0:3], 0 offset:204
	;; [unrolled: 1-line block ×40, first 2 shown]
	v_mov_b32_e32 v86, 0
	ds_read_b128 v[2:5], v86 offset:528
	ds_read_b128 v[6:9], v86 offset:544
	;; [unrolled: 1-line block ×9, first 2 shown]
	v_cmp_lt_u32_e32 vcc, 10, v119
	s_waitcnt vmcnt(38) lgkmcnt(8)
	v_mul_f64 v[144:145], v[2:3], v[80:81]
	v_mul_f64 v[80:81], v[4:5], v[80:81]
	s_waitcnt vmcnt(36) lgkmcnt(7)
	v_mul_f64 v[146:147], v[6:7], v[82:83]
	v_mul_f64 v[82:83], v[8:9], v[82:83]
	;; [unrolled: 3-line block ×3, first 2 shown]
	s_waitcnt vmcnt(32) lgkmcnt(4)
	v_mul_f64 v[152:153], v[18:19], v[88:89]
	s_waitcnt vmcnt(30)
	v_fmac_f64_e32 v[152:153], v[20:21], v[90:91]
	s_waitcnt vmcnt(28)
	v_mul_f64 v[150:151], v[14:15], v[92:93]
	v_mul_f64 v[92:93], v[16:17], v[92:93]
	s_waitcnt vmcnt(26) lgkmcnt(2)
	v_mul_f64 v[156:157], v[26:27], v[94:95]
	s_waitcnt vmcnt(24)
	v_fmac_f64_e32 v[156:157], v[28:29], v[96:97]
	s_waitcnt vmcnt(22)
	v_mul_f64 v[154:155], v[22:23], v[98:99]
	s_waitcnt vmcnt(18) lgkmcnt(1)
	v_mul_f64 v[158:159], v[30:31], v[126:127]
	s_waitcnt vmcnt(17) lgkmcnt(0)
	v_mul_f64 v[160:161], v[76:77], v[122:123]
	s_waitcnt vmcnt(15)
	v_fma_f64 v[2:3], v[2:3], v[128:129], -v[80:81]
	v_fmac_f64_e32 v[144:145], v[4:5], v[128:129]
	s_waitcnt vmcnt(13)
	v_fma_f64 v[4:5], v[6:7], v[130:131], -v[82:83]
	v_add_f64 v[2:3], v[2:3], 0
	s_waitcnt vmcnt(11)
	v_fma_f64 v[6:7], v[10:11], v[132:133], -v[84:85]
	v_add_f64 v[2:3], v[2:3], v[4:5]
	v_fmac_f64_e32 v[146:147], v[8:9], v[130:131]
	s_waitcnt vmcnt(9)
	v_fma_f64 v[8:9], v[14:15], v[134:135], -v[92:93]
	v_add_f64 v[2:3], v[2:3], v[6:7]
	v_mul_f64 v[6:7], v[20:21], v[88:89]
	v_add_f64 v[2:3], v[2:3], v[8:9]
	v_fma_f64 v[6:7], v[18:19], v[90:91], -v[6:7]
	v_add_f64 v[2:3], v[2:3], v[6:7]
	v_mul_f64 v[6:7], v[24:25], v[98:99]
	v_add_f64 v[10:11], v[144:145], 0
	s_waitcnt vmcnt(7)
	v_fma_f64 v[6:7], v[22:23], v[136:137], -v[6:7]
	v_fmac_f64_e32 v[148:149], v[12:13], v[132:133]
	v_add_f64 v[10:11], v[10:11], v[146:147]
	v_add_f64 v[2:3], v[2:3], v[6:7]
	v_mul_f64 v[6:7], v[28:29], v[94:95]
	v_fmac_f64_e32 v[150:151], v[16:17], v[134:135]
	v_add_f64 v[4:5], v[10:11], v[148:149]
	v_fma_f64 v[6:7], v[26:27], v[96:97], -v[6:7]
	v_add_f64 v[4:5], v[4:5], v[150:151]
	v_add_f64 v[2:3], v[2:3], v[6:7]
	v_mul_f64 v[6:7], v[32:33], v[126:127]
	v_fmac_f64_e32 v[154:155], v[24:25], v[136:137]
	v_add_f64 v[4:5], v[4:5], v[152:153]
	s_waitcnt vmcnt(5)
	v_fma_f64 v[6:7], v[30:31], v[138:139], -v[6:7]
	v_add_f64 v[4:5], v[4:5], v[154:155]
	v_add_f64 v[2:3], v[2:3], v[6:7]
	v_mul_f64 v[6:7], v[78:79], v[122:123]
	v_fmac_f64_e32 v[158:159], v[32:33], v[138:139]
	v_add_f64 v[4:5], v[4:5], v[156:157]
	s_waitcnt vmcnt(4)
	v_fma_f64 v[6:7], v[76:77], v[124:125], -v[6:7]
	v_fmac_f64_e32 v[160:161], v[78:79], v[124:125]
	v_add_f64 v[4:5], v[4:5], v[158:159]
	v_add_f64 v[2:3], v[2:3], v[6:7]
	;; [unrolled: 1-line block ×3, first 2 shown]
	s_waitcnt vmcnt(2)
	v_add_f64 v[2:3], v[140:141], -v[2:3]
	s_waitcnt vmcnt(0)
	v_add_f64 v[4:5], v[142:143], -v[4:5]
	buffer_store_dword v3, off, s[0:3], 0 offset:180
	buffer_store_dword v2, off, s[0:3], 0 offset:176
	;; [unrolled: 1-line block ×4, first 2 shown]
	s_and_saveexec_b64 s[6:7], vcc
	s_cbranch_execz .LBB84_119
; %bb.118:
	buffer_load_dword v2, v109, s[0:3], 0 offen
	buffer_load_dword v3, v109, s[0:3], 0 offen offset:4
	buffer_load_dword v4, v109, s[0:3], 0 offen offset:8
	;; [unrolled: 1-line block ×3, first 2 shown]
	s_nop 0
	buffer_store_dword v86, off, s[0:3], 0 offset:160
	buffer_store_dword v86, off, s[0:3], 0 offset:164
	;; [unrolled: 1-line block ×4, first 2 shown]
	s_waitcnt vmcnt(4)
	ds_write_b128 v120, v[2:5]
.LBB84_119:
	s_or_b64 exec, exec, s[6:7]
	s_waitcnt lgkmcnt(0)
	; wave barrier
	s_waitcnt lgkmcnt(0)
	ds_read_b128 v[14:17], v86 offset:512
	ds_read_b128 v[10:13], v86 offset:528
	ds_read_b128 v[6:9], v86 offset:544
	ds_read_b128 v[2:5], v86 offset:560
	buffer_load_dword v24, off, s[0:3], 0 offset:160
	buffer_load_dword v25, off, s[0:3], 0 offset:164
	;; [unrolled: 1-line block ×20, first 2 shown]
	v_cmp_lt_u32_e32 vcc, 9, v119
	s_waitcnt vmcnt(12) lgkmcnt(3)
	v_mul_f64 v[18:19], v[14:15], v[82:83]
	v_fmac_f64_e32 v[18:19], v[16:17], v[80:81]
	v_add_f64 v[18:19], v[18:19], 0
	v_mul_f64 v[16:17], v[16:17], v[82:83]
	s_waitcnt vmcnt(8) lgkmcnt(2)
	v_mul_f64 v[20:21], v[10:11], v[84:85]
	v_fmac_f64_e32 v[20:21], v[12:13], v[30:31]
	v_add_f64 v[18:19], v[18:19], v[20:21]
	v_fma_f64 v[14:15], v[14:15], v[80:81], -v[16:17]
	s_waitcnt vmcnt(4) lgkmcnt(1)
	v_mul_f64 v[20:21], v[6:7], v[28:29]
	v_fmac_f64_e32 v[20:21], v[8:9], v[26:27]
	v_add_f64 v[18:19], v[18:19], v[20:21]
	s_waitcnt vmcnt(0) lgkmcnt(0)
	v_mul_f64 v[20:21], v[2:3], v[76:77]
	v_fmac_f64_e32 v[20:21], v[4:5], v[32:33]
	v_add_f64 v[88:89], v[18:19], v[20:21]
	ds_read_b128 v[18:21], v86 offset:576
	buffer_load_dword v79, off, s[0:3], 0 offset:244
	buffer_load_dword v78, off, s[0:3], 0 offset:240
	;; [unrolled: 1-line block ×4, first 2 shown]
	v_mul_f64 v[12:13], v[12:13], v[84:85]
	v_add_f64 v[14:15], v[14:15], 0
	v_fma_f64 v[10:11], v[10:11], v[30:31], -v[12:13]
	v_mul_f64 v[8:9], v[8:9], v[28:29]
	v_add_f64 v[10:11], v[14:15], v[10:11]
	v_fma_f64 v[6:7], v[6:7], v[26:27], -v[8:9]
	;; [unrolled: 3-line block ×3, first 2 shown]
	v_add_f64 v[2:3], v[6:7], v[2:3]
	s_waitcnt vmcnt(0) lgkmcnt(0)
	v_mul_f64 v[90:91], v[18:19], v[130:131]
	v_fmac_f64_e32 v[90:91], v[20:21], v[78:79]
	v_add_f64 v[92:93], v[88:89], v[90:91]
	ds_read_b128 v[88:91], v86 offset:592
	buffer_load_dword v133, off, s[0:3], 0 offset:260
	buffer_load_dword v132, off, s[0:3], 0 offset:256
	buffer_load_dword v135, off, s[0:3], 0 offset:268
	buffer_load_dword v134, off, s[0:3], 0 offset:264
	v_mul_f64 v[4:5], v[20:21], v[130:131]
	v_fma_f64 v[4:5], v[18:19], v[78:79], -v[4:5]
	v_add_f64 v[2:3], v[2:3], v[4:5]
	s_waitcnt vmcnt(0) lgkmcnt(0)
	v_mul_f64 v[94:95], v[88:89], v[134:135]
	v_fmac_f64_e32 v[94:95], v[90:91], v[132:133]
	v_add_f64 v[96:97], v[92:93], v[94:95]
	ds_read_b128 v[92:95], v86 offset:608
	buffer_load_dword v137, off, s[0:3], 0 offset:276
	buffer_load_dword v136, off, s[0:3], 0 offset:272
	buffer_load_dword v139, off, s[0:3], 0 offset:284
	buffer_load_dword v138, off, s[0:3], 0 offset:280
	v_mul_f64 v[4:5], v[90:91], v[134:135]
	v_fma_f64 v[4:5], v[88:89], v[132:133], -v[4:5]
	;; [unrolled: 12-line block ×5, first 2 shown]
	v_add_f64 v[2:3], v[2:3], v[4:5]
	s_waitcnt vmcnt(0) lgkmcnt(0)
	v_mul_f64 v[4:5], v[128:129], v[150:151]
	v_mul_f64 v[152:153], v[126:127], v[150:151]
	v_fma_f64 v[4:5], v[126:127], v[86:87], -v[4:5]
	v_fmac_f64_e32 v[152:153], v[128:129], v[86:87]
	v_add_f64 v[2:3], v[2:3], v[4:5]
	v_add_f64 v[148:149], v[148:149], v[152:153]
	v_add_f64 v[2:3], v[24:25], -v[2:3]
	v_add_f64 v[4:5], v[22:23], -v[148:149]
	buffer_store_dword v3, off, s[0:3], 0 offset:164
	buffer_store_dword v2, off, s[0:3], 0 offset:160
	;; [unrolled: 1-line block ×4, first 2 shown]
	s_and_saveexec_b64 s[6:7], vcc
	s_cbranch_execz .LBB84_121
; %bb.120:
	buffer_load_dword v2, v110, s[0:3], 0 offen
	buffer_load_dword v3, v110, s[0:3], 0 offen offset:4
	buffer_load_dword v4, v110, s[0:3], 0 offen offset:8
	;; [unrolled: 1-line block ×3, first 2 shown]
	v_mov_b32_e32 v6, 0
	buffer_store_dword v6, off, s[0:3], 0 offset:144
	buffer_store_dword v6, off, s[0:3], 0 offset:148
	buffer_store_dword v6, off, s[0:3], 0 offset:152
	buffer_store_dword v6, off, s[0:3], 0 offset:156
	s_waitcnt vmcnt(4)
	ds_write_b128 v120, v[2:5]
.LBB84_121:
	s_or_b64 exec, exec, s[6:7]
	v_mov_b32_e32 v121, 0
	s_waitcnt lgkmcnt(0)
	; wave barrier
	s_waitcnt lgkmcnt(0)
	ds_read_b128 v[14:17], v121 offset:496
	ds_read_b128 v[10:13], v121 offset:512
	;; [unrolled: 1-line block ×4, first 2 shown]
	buffer_load_dword v32, off, s[0:3], 0 offset:144
	buffer_load_dword v33, off, s[0:3], 0 offset:148
	;; [unrolled: 1-line block ×20, first 2 shown]
	v_cmp_lt_u32_e32 vcc, 8, v119
	s_waitcnt vmcnt(12) lgkmcnt(3)
	v_mul_f64 v[18:19], v[14:15], v[82:83]
	v_fmac_f64_e32 v[18:19], v[16:17], v[76:77]
	v_add_f64 v[18:19], v[18:19], 0
	v_mul_f64 v[16:17], v[16:17], v[82:83]
	s_waitcnt vmcnt(8) lgkmcnt(2)
	v_mul_f64 v[20:21], v[10:11], v[84:85]
	v_fmac_f64_e32 v[20:21], v[12:13], v[78:79]
	v_add_f64 v[18:19], v[18:19], v[20:21]
	v_fma_f64 v[14:15], v[14:15], v[76:77], -v[16:17]
	s_waitcnt vmcnt(4) lgkmcnt(1)
	v_mul_f64 v[20:21], v[6:7], v[86:87]
	v_fmac_f64_e32 v[20:21], v[8:9], v[80:81]
	v_add_f64 v[18:19], v[18:19], v[20:21]
	s_waitcnt vmcnt(0) lgkmcnt(0)
	v_mul_f64 v[20:21], v[2:3], v[90:91]
	v_fmac_f64_e32 v[20:21], v[4:5], v[88:89]
	v_add_f64 v[22:23], v[18:19], v[20:21]
	ds_read_b128 v[18:21], v121 offset:560
	buffer_load_dword v93, off, s[0:3], 0 offset:228
	buffer_load_dword v92, off, s[0:3], 0 offset:224
	buffer_load_dword v95, off, s[0:3], 0 offset:236
	buffer_load_dword v94, off, s[0:3], 0 offset:232
	v_mul_f64 v[12:13], v[12:13], v[84:85]
	v_add_f64 v[14:15], v[14:15], 0
	v_fma_f64 v[10:11], v[10:11], v[78:79], -v[12:13]
	v_mul_f64 v[8:9], v[8:9], v[86:87]
	v_add_f64 v[10:11], v[14:15], v[10:11]
	v_fma_f64 v[6:7], v[6:7], v[80:81], -v[8:9]
	;; [unrolled: 3-line block ×3, first 2 shown]
	v_add_f64 v[2:3], v[6:7], v[2:3]
	s_waitcnt vmcnt(0) lgkmcnt(0)
	v_mul_f64 v[24:25], v[18:19], v[94:95]
	v_fmac_f64_e32 v[24:25], v[20:21], v[92:93]
	v_add_f64 v[26:27], v[22:23], v[24:25]
	ds_read_b128 v[22:25], v121 offset:576
	buffer_load_dword v97, off, s[0:3], 0 offset:244
	buffer_load_dword v96, off, s[0:3], 0 offset:240
	buffer_load_dword v99, off, s[0:3], 0 offset:252
	buffer_load_dword v98, off, s[0:3], 0 offset:248
	v_mul_f64 v[4:5], v[20:21], v[94:95]
	v_fma_f64 v[4:5], v[18:19], v[92:93], -v[4:5]
	v_add_f64 v[2:3], v[2:3], v[4:5]
	s_waitcnt vmcnt(0) lgkmcnt(0)
	v_mul_f64 v[28:29], v[22:23], v[98:99]
	v_fmac_f64_e32 v[28:29], v[24:25], v[96:97]
	v_add_f64 v[122:123], v[26:27], v[28:29]
	ds_read_b128 v[26:29], v121 offset:592
	buffer_load_dword v139, off, s[0:3], 0 offset:260
	buffer_load_dword v138, off, s[0:3], 0 offset:256
	buffer_load_dword v141, off, s[0:3], 0 offset:268
	buffer_load_dword v140, off, s[0:3], 0 offset:264
	v_mul_f64 v[4:5], v[24:25], v[98:99]
	v_fma_f64 v[4:5], v[22:23], v[96:97], -v[4:5]
	;; [unrolled: 12-line block ×6, first 2 shown]
	v_add_f64 v[2:3], v[2:3], v[4:5]
	s_waitcnt vmcnt(0) lgkmcnt(0)
	v_mul_f64 v[4:5], v[136:137], v[158:159]
	v_mul_f64 v[160:161], v[134:135], v[158:159]
	v_fma_f64 v[4:5], v[134:135], v[156:157], -v[4:5]
	v_fmac_f64_e32 v[160:161], v[136:137], v[156:157]
	v_add_f64 v[2:3], v[2:3], v[4:5]
	v_add_f64 v[154:155], v[154:155], v[160:161]
	v_add_f64 v[2:3], v[32:33], -v[2:3]
	v_add_f64 v[4:5], v[30:31], -v[154:155]
	buffer_store_dword v3, off, s[0:3], 0 offset:148
	buffer_store_dword v2, off, s[0:3], 0 offset:144
	;; [unrolled: 1-line block ×4, first 2 shown]
	s_and_saveexec_b64 s[6:7], vcc
	s_cbranch_execz .LBB84_123
; %bb.122:
	buffer_load_dword v2, v108, s[0:3], 0 offen
	buffer_load_dword v3, v108, s[0:3], 0 offen offset:4
	buffer_load_dword v4, v108, s[0:3], 0 offen offset:8
	buffer_load_dword v5, v108, s[0:3], 0 offen offset:12
	s_nop 0
	buffer_store_dword v121, off, s[0:3], 0 offset:128
	buffer_store_dword v121, off, s[0:3], 0 offset:132
	;; [unrolled: 1-line block ×4, first 2 shown]
	s_waitcnt vmcnt(4)
	ds_write_b128 v120, v[2:5]
.LBB84_123:
	s_or_b64 exec, exec, s[6:7]
	s_waitcnt lgkmcnt(0)
	; wave barrier
	s_waitcnt lgkmcnt(0)
	buffer_load_dword v2, off, s[0:3], 0 offset:144
	buffer_load_dword v3, off, s[0:3], 0 offset:148
	;; [unrolled: 1-line block ×52, first 2 shown]
	ds_read_b128 v[12:15], v121 offset:480
	ds_read_b128 v[16:19], v121 offset:496
	;; [unrolled: 1-line block ×10, first 2 shown]
	v_cmp_lt_u32_e32 vcc, 7, v119
	s_waitcnt vmcnt(48) lgkmcnt(9)
	v_mul_f64 v[96:97], v[12:13], v[6:7]
	v_mul_f64 v[6:7], v[14:15], v[6:7]
	v_fmac_f64_e32 v[96:97], v[14:15], v[2:3]
	v_fma_f64 v[2:3], v[12:13], v[2:3], -v[6:7]
	s_waitcnt vmcnt(44) lgkmcnt(8)
	v_mul_f64 v[98:99], v[16:17], v[8:9]
	v_mul_f64 v[6:7], v[18:19], v[8:9]
	v_fmac_f64_e32 v[98:99], v[18:19], v[4:5]
	v_add_f64 v[2:3], v[2:3], 0
	v_fma_f64 v[4:5], v[16:17], v[4:5], -v[6:7]
	v_add_f64 v[2:3], v[2:3], v[4:5]
	s_waitcnt vmcnt(42) lgkmcnt(7)
	v_mul_f64 v[4:5], v[22:23], v[10:11]
	v_mul_f64 v[122:123], v[20:21], v[10:11]
	v_add_f64 v[96:97], v[96:97], 0
	s_waitcnt vmcnt(36) lgkmcnt(6)
	v_mul_f64 v[124:125], v[24:25], v[128:129]
	v_add_f64 v[96:97], v[96:97], v[98:99]
	s_waitcnt lgkmcnt(5)
	v_mul_f64 v[166:167], v[28:29], v[32:33]
	v_fmac_f64_e32 v[166:167], v[30:31], v[126:127]
	s_waitcnt vmcnt(34) lgkmcnt(3)
	v_mul_f64 v[170:171], v[80:81], v[130:131]
	s_waitcnt vmcnt(30)
	v_mul_f64 v[168:169], v[76:77], v[134:135]
	v_fmac_f64_e32 v[170:171], v[82:83], v[132:133]
	s_waitcnt vmcnt(26) lgkmcnt(2)
	v_mul_f64 v[172:173], v[84:85], v[140:141]
	s_waitcnt vmcnt(25) lgkmcnt(1)
	v_mul_f64 v[174:175], v[88:89], v[136:137]
	s_waitcnt vmcnt(23)
	v_fma_f64 v[4:5], v[20:21], v[142:143], -v[4:5]
	v_add_f64 v[2:3], v[2:3], v[4:5]
	v_mul_f64 v[4:5], v[26:27], v[128:129]
	s_waitcnt vmcnt(21)
	v_fma_f64 v[4:5], v[24:25], v[144:145], -v[4:5]
	v_fmac_f64_e32 v[122:123], v[22:23], v[142:143]
	v_add_f64 v[2:3], v[2:3], v[4:5]
	v_mul_f64 v[4:5], v[30:31], v[32:33]
	v_fmac_f64_e32 v[124:125], v[26:27], v[144:145]
	v_add_f64 v[96:97], v[96:97], v[122:123]
	v_fma_f64 v[4:5], v[28:29], v[126:127], -v[4:5]
	v_add_f64 v[96:97], v[96:97], v[124:125]
	v_add_f64 v[2:3], v[2:3], v[4:5]
	v_mul_f64 v[4:5], v[78:79], v[134:135]
	s_waitcnt vmcnt(19)
	v_fmac_f64_e32 v[168:169], v[78:79], v[146:147]
	v_add_f64 v[96:97], v[96:97], v[166:167]
	v_fma_f64 v[4:5], v[76:77], v[146:147], -v[4:5]
	v_add_f64 v[96:97], v[96:97], v[168:169]
	v_add_f64 v[2:3], v[2:3], v[4:5]
	v_mul_f64 v[4:5], v[82:83], v[130:131]
	s_waitcnt vmcnt(17)
	v_fmac_f64_e32 v[172:173], v[86:87], v[148:149]
	v_add_f64 v[96:97], v[96:97], v[170:171]
	v_fma_f64 v[4:5], v[80:81], v[132:133], -v[4:5]
	s_waitcnt vmcnt(16)
	v_fmac_f64_e32 v[174:175], v[90:91], v[138:139]
	v_add_f64 v[96:97], v[96:97], v[172:173]
	v_add_f64 v[2:3], v[2:3], v[4:5]
	v_mul_f64 v[4:5], v[86:87], v[140:141]
	v_add_f64 v[166:167], v[96:97], v[174:175]
	ds_read_b128 v[96:99], v121 offset:640
	ds_read_b128 v[122:125], v121 offset:656
	v_fma_f64 v[4:5], v[84:85], v[148:149], -v[4:5]
	v_add_f64 v[2:3], v[2:3], v[4:5]
	v_mul_f64 v[4:5], v[90:91], v[136:137]
	v_fma_f64 v[4:5], v[88:89], v[138:139], -v[4:5]
	v_add_f64 v[2:3], v[2:3], v[4:5]
	s_waitcnt vmcnt(13) lgkmcnt(2)
	v_mul_f64 v[4:5], v[94:95], v[152:153]
	v_mul_f64 v[168:169], v[92:93], v[152:153]
	s_waitcnt vmcnt(11)
	v_fma_f64 v[4:5], v[92:93], v[154:155], -v[4:5]
	v_fmac_f64_e32 v[168:169], v[94:95], v[154:155]
	v_add_f64 v[2:3], v[2:3], v[4:5]
	s_waitcnt vmcnt(8) lgkmcnt(1)
	v_mul_f64 v[4:5], v[98:99], v[150:151]
	v_add_f64 v[166:167], v[166:167], v[168:169]
	v_mul_f64 v[168:169], v[96:97], v[150:151]
	v_fma_f64 v[4:5], v[96:97], v[156:157], -v[4:5]
	v_fmac_f64_e32 v[168:169], v[98:99], v[156:157]
	v_add_f64 v[2:3], v[2:3], v[4:5]
	s_waitcnt vmcnt(6) lgkmcnt(0)
	v_mul_f64 v[4:5], v[124:125], v[158:159]
	v_add_f64 v[166:167], v[166:167], v[168:169]
	v_mul_f64 v[168:169], v[122:123], v[158:159]
	s_waitcnt vmcnt(4)
	v_fma_f64 v[4:5], v[122:123], v[160:161], -v[4:5]
	v_fmac_f64_e32 v[168:169], v[124:125], v[160:161]
	v_add_f64 v[2:3], v[2:3], v[4:5]
	v_add_f64 v[166:167], v[166:167], v[168:169]
	s_waitcnt vmcnt(2)
	v_add_f64 v[2:3], v[162:163], -v[2:3]
	s_waitcnt vmcnt(0)
	v_add_f64 v[4:5], v[164:165], -v[166:167]
	buffer_store_dword v3, off, s[0:3], 0 offset:132
	buffer_store_dword v2, off, s[0:3], 0 offset:128
	;; [unrolled: 1-line block ×4, first 2 shown]
	s_and_saveexec_b64 s[6:7], vcc
	s_cbranch_execz .LBB84_125
; %bb.124:
	buffer_load_dword v2, v115, s[0:3], 0 offen
	buffer_load_dword v3, v115, s[0:3], 0 offen offset:4
	buffer_load_dword v4, v115, s[0:3], 0 offen offset:8
	;; [unrolled: 1-line block ×3, first 2 shown]
	v_mov_b32_e32 v6, 0
	buffer_store_dword v6, off, s[0:3], 0 offset:112
	buffer_store_dword v6, off, s[0:3], 0 offset:116
	;; [unrolled: 1-line block ×4, first 2 shown]
	s_waitcnt vmcnt(4)
	ds_write_b128 v120, v[2:5]
.LBB84_125:
	s_or_b64 exec, exec, s[6:7]
	s_waitcnt lgkmcnt(0)
	; wave barrier
	s_waitcnt lgkmcnt(0)
	buffer_load_dword v2, off, s[0:3], 0 offset:128
	buffer_load_dword v3, off, s[0:3], 0 offset:132
	;; [unrolled: 1-line block ×56, first 2 shown]
	v_mov_b32_e32 v24, 0
	ds_read_b128 v[18:21], v24 offset:464
	ds_read_b128 v[26:29], v24 offset:480
	;; [unrolled: 1-line block ×9, first 2 shown]
	v_cmp_lt_u32_e32 vcc, 6, v119
	s_waitcnt vmcnt(52) lgkmcnt(8)
	v_mul_f64 v[96:97], v[18:19], v[6:7]
	v_fmac_f64_e32 v[96:97], v[20:21], v[2:3]
	v_mul_f64 v[6:7], v[20:21], v[6:7]
	v_add_f64 v[96:97], v[96:97], 0
	s_waitcnt vmcnt(48) lgkmcnt(7)
	v_mul_f64 v[98:99], v[26:27], v[8:9]
	v_fmac_f64_e32 v[98:99], v[28:29], v[4:5]
	s_waitcnt vmcnt(46) lgkmcnt(6)
	v_mul_f64 v[122:123], v[30:31], v[10:11]
	v_fma_f64 v[2:3], v[18:19], v[2:3], -v[6:7]
	v_mul_f64 v[6:7], v[28:29], v[8:9]
	v_add_f64 v[96:97], v[96:97], v[98:99]
	v_add_f64 v[2:3], v[2:3], 0
	v_fma_f64 v[4:5], v[26:27], v[4:5], -v[6:7]
	s_waitcnt vmcnt(40) lgkmcnt(5)
	v_mul_f64 v[124:125], v[76:77], v[16:17]
	s_waitcnt lgkmcnt(4)
	v_mul_f64 v[126:127], v[80:81], v[12:13]
	v_add_f64 v[2:3], v[2:3], v[4:5]
	v_mul_f64 v[4:5], v[32:33], v[10:11]
	s_waitcnt vmcnt(36) lgkmcnt(3)
	v_mul_f64 v[128:129], v[84:85], v[140:141]
	v_fmac_f64_e32 v[126:127], v[82:83], v[14:15]
	s_waitcnt vmcnt(35) lgkmcnt(2)
	v_mul_f64 v[130:131], v[88:89], v[22:23]
	s_waitcnt vmcnt(33)
	v_fmac_f64_e32 v[122:123], v[32:33], v[142:143]
	v_add_f64 v[96:97], v[96:97], v[122:123]
	s_waitcnt vmcnt(31)
	v_fmac_f64_e32 v[124:125], v[78:79], v[144:145]
	v_add_f64 v[96:97], v[96:97], v[124:125]
	v_fma_f64 v[4:5], v[30:31], v[142:143], -v[4:5]
	s_waitcnt vmcnt(29)
	v_fmac_f64_e32 v[128:129], v[86:87], v[146:147]
	v_add_f64 v[96:97], v[96:97], v[126:127]
	v_add_f64 v[2:3], v[2:3], v[4:5]
	v_mul_f64 v[4:5], v[78:79], v[16:17]
	s_waitcnt vmcnt(28)
	v_fmac_f64_e32 v[130:131], v[90:91], v[138:139]
	v_add_f64 v[96:97], v[96:97], v[128:129]
	v_fma_f64 v[4:5], v[76:77], v[144:145], -v[4:5]
	v_add_f64 v[122:123], v[96:97], v[130:131]
	ds_read_b128 v[96:99], v24 offset:592
	s_waitcnt vmcnt(24) lgkmcnt(2)
	v_mul_f64 v[124:125], v[92:93], v[152:153]
	v_add_f64 v[2:3], v[2:3], v[4:5]
	v_mul_f64 v[4:5], v[82:83], v[12:13]
	s_waitcnt vmcnt(22)
	v_fmac_f64_e32 v[124:125], v[94:95], v[154:155]
	v_fma_f64 v[4:5], v[80:81], v[14:15], -v[4:5]
	v_add_f64 v[126:127], v[122:123], v[124:125]
	ds_read_b128 v[122:125], v24 offset:608
	v_add_f64 v[2:3], v[2:3], v[4:5]
	v_mul_f64 v[4:5], v[86:87], v[140:141]
	v_fma_f64 v[4:5], v[84:85], v[146:147], -v[4:5]
	v_add_f64 v[2:3], v[2:3], v[4:5]
	v_mul_f64 v[4:5], v[90:91], v[22:23]
	s_waitcnt vmcnt(20) lgkmcnt(1)
	v_mul_f64 v[128:129], v[96:97], v[148:149]
	v_fma_f64 v[4:5], v[88:89], v[138:139], -v[4:5]
	v_fmac_f64_e32 v[128:129], v[98:99], v[150:151]
	v_add_f64 v[2:3], v[2:3], v[4:5]
	v_mul_f64 v[4:5], v[94:95], v[152:153]
	v_add_f64 v[130:131], v[126:127], v[128:129]
	ds_read_b128 v[126:129], v24 offset:624
	s_waitcnt vmcnt(16) lgkmcnt(1)
	v_mul_f64 v[132:133], v[122:123], v[160:161]
	v_fma_f64 v[4:5], v[92:93], v[154:155], -v[4:5]
	s_waitcnt vmcnt(14)
	v_fmac_f64_e32 v[132:133], v[124:125], v[162:163]
	v_add_f64 v[2:3], v[2:3], v[4:5]
	v_mul_f64 v[4:5], v[98:99], v[148:149]
	v_add_f64 v[176:177], v[130:131], v[132:133]
	ds_read_b128 v[130:133], v24 offset:640
	v_fma_f64 v[4:5], v[96:97], v[150:151], -v[4:5]
	v_add_f64 v[2:3], v[2:3], v[4:5]
	v_mul_f64 v[4:5], v[124:125], v[160:161]
	v_fma_f64 v[4:5], v[122:123], v[162:163], -v[4:5]
	v_add_f64 v[2:3], v[2:3], v[4:5]
	s_waitcnt vmcnt(12) lgkmcnt(1)
	v_mul_f64 v[4:5], v[128:129], v[156:157]
	v_mul_f64 v[178:179], v[126:127], v[156:157]
	v_fma_f64 v[4:5], v[126:127], v[158:159], -v[4:5]
	v_fmac_f64_e32 v[178:179], v[128:129], v[158:159]
	v_add_f64 v[2:3], v[2:3], v[4:5]
	s_waitcnt vmcnt(8) lgkmcnt(0)
	v_mul_f64 v[4:5], v[132:133], v[168:169]
	v_add_f64 v[176:177], v[176:177], v[178:179]
	v_mul_f64 v[178:179], v[130:131], v[168:169]
	s_waitcnt vmcnt(6)
	v_fma_f64 v[4:5], v[130:131], v[170:171], -v[4:5]
	v_fmac_f64_e32 v[178:179], v[132:133], v[170:171]
	v_add_f64 v[2:3], v[2:3], v[4:5]
	s_waitcnt vmcnt(5)
	v_mul_f64 v[4:5], v[136:137], v[164:165]
	v_add_f64 v[176:177], v[176:177], v[178:179]
	v_mul_f64 v[178:179], v[134:135], v[164:165]
	s_waitcnt vmcnt(4)
	v_fma_f64 v[4:5], v[134:135], v[166:167], -v[4:5]
	v_fmac_f64_e32 v[178:179], v[136:137], v[166:167]
	v_add_f64 v[2:3], v[2:3], v[4:5]
	v_add_f64 v[176:177], v[176:177], v[178:179]
	s_waitcnt vmcnt(2)
	v_add_f64 v[2:3], v[172:173], -v[2:3]
	s_waitcnt vmcnt(0)
	v_add_f64 v[4:5], v[174:175], -v[176:177]
	buffer_store_dword v3, off, s[0:3], 0 offset:116
	buffer_store_dword v2, off, s[0:3], 0 offset:112
	;; [unrolled: 1-line block ×4, first 2 shown]
	s_and_saveexec_b64 s[6:7], vcc
	s_cbranch_execz .LBB84_127
; %bb.126:
	buffer_load_dword v2, v114, s[0:3], 0 offen
	buffer_load_dword v3, v114, s[0:3], 0 offen offset:4
	buffer_load_dword v4, v114, s[0:3], 0 offen offset:8
	;; [unrolled: 1-line block ×3, first 2 shown]
	s_nop 0
	buffer_store_dword v24, off, s[0:3], 0 offset:96
	buffer_store_dword v24, off, s[0:3], 0 offset:100
	;; [unrolled: 1-line block ×4, first 2 shown]
	s_waitcnt vmcnt(4)
	ds_write_b128 v120, v[2:5]
.LBB84_127:
	s_or_b64 exec, exec, s[6:7]
	s_waitcnt lgkmcnt(0)
	; wave barrier
	s_waitcnt lgkmcnt(0)
	buffer_load_dword v2, off, s[0:3], 0 offset:112
	buffer_load_dword v3, off, s[0:3], 0 offset:116
	;; [unrolled: 1-line block ×60, first 2 shown]
	ds_read_b128 v[26:29], v24 offset:448
	ds_read_b128 v[30:33], v24 offset:464
	;; [unrolled: 1-line block ×8, first 2 shown]
	v_cmp_lt_u32_e32 vcc, 5, v119
	ds_read_b128 v[142:145], v24 offset:656
	s_waitcnt vmcnt(56) lgkmcnt(8)
	v_mul_f64 v[122:123], v[26:27], v[6:7]
	v_fmac_f64_e32 v[122:123], v[28:29], v[2:3]
	v_add_f64 v[122:123], v[122:123], 0
	v_mul_f64 v[6:7], v[28:29], v[6:7]
	s_waitcnt vmcnt(52) lgkmcnt(7)
	v_mul_f64 v[124:125], v[30:31], v[8:9]
	v_fmac_f64_e32 v[124:125], v[32:33], v[4:5]
	s_waitcnt vmcnt(50) lgkmcnt(6)
	v_mul_f64 v[126:127], v[76:77], v[10:11]
	v_add_f64 v[122:123], v[122:123], v[124:125]
	s_waitcnt vmcnt(48) lgkmcnt(4)
	v_mul_f64 v[130:131], v[84:85], v[12:13]
	v_fma_f64 v[2:3], v[26:27], v[2:3], -v[6:7]
	s_waitcnt vmcnt(46)
	v_fmac_f64_e32 v[130:131], v[86:87], v[14:15]
	v_mul_f64 v[6:7], v[32:33], v[8:9]
	s_waitcnt vmcnt(44)
	v_mul_f64 v[128:129], v[80:81], v[16:17]
	v_add_f64 v[2:3], v[2:3], 0
	v_fma_f64 v[4:5], v[30:31], v[4:5], -v[6:7]
	v_add_f64 v[2:3], v[2:3], v[4:5]
	s_waitcnt vmcnt(40) lgkmcnt(3)
	v_mul_f64 v[132:133], v[88:89], v[22:23]
	v_mul_f64 v[4:5], v[78:79], v[10:11]
	s_waitcnt vmcnt(38)
	v_fmac_f64_e32 v[126:127], v[78:79], v[146:147]
	v_add_f64 v[122:123], v[122:123], v[126:127]
	s_waitcnt vmcnt(36)
	v_fmac_f64_e32 v[128:129], v[82:83], v[148:149]
	v_add_f64 v[122:123], v[122:123], v[128:129]
	;; [unrolled: 3-line block ×3, first 2 shown]
	s_waitcnt vmcnt(32) lgkmcnt(2)
	v_mul_f64 v[124:125], v[92:93], v[18:19]
	v_add_f64 v[122:123], v[122:123], v[132:133]
	v_fmac_f64_e32 v[124:125], v[94:95], v[20:21]
	v_add_f64 v[126:127], v[122:123], v[124:125]
	ds_read_b128 v[122:125], v24 offset:576
	v_fma_f64 v[4:5], v[76:77], v[146:147], -v[4:5]
	v_add_f64 v[2:3], v[2:3], v[4:5]
	v_mul_f64 v[4:5], v[82:83], v[16:17]
	v_fma_f64 v[4:5], v[80:81], v[148:149], -v[4:5]
	s_waitcnt vmcnt(28) lgkmcnt(2)
	v_mul_f64 v[128:129], v[96:97], v[156:157]
	v_add_f64 v[2:3], v[2:3], v[4:5]
	v_mul_f64 v[4:5], v[86:87], v[12:13]
	s_waitcnt vmcnt(26)
	v_fmac_f64_e32 v[128:129], v[98:99], v[158:159]
	v_fma_f64 v[4:5], v[84:85], v[14:15], -v[4:5]
	v_add_f64 v[130:131], v[126:127], v[128:129]
	ds_read_b128 v[126:129], v24 offset:592
	s_waitcnt vmcnt(24) lgkmcnt(1)
	v_mul_f64 v[132:133], v[122:123], v[152:153]
	v_add_f64 v[2:3], v[2:3], v[4:5]
	v_mul_f64 v[4:5], v[90:91], v[22:23]
	v_fmac_f64_e32 v[132:133], v[124:125], v[154:155]
	v_fma_f64 v[4:5], v[88:89], v[150:151], -v[4:5]
	v_add_f64 v[134:135], v[130:131], v[132:133]
	ds_read_b128 v[130:133], v24 offset:608
	v_add_f64 v[2:3], v[2:3], v[4:5]
	v_mul_f64 v[4:5], v[94:95], v[18:19]
	v_fma_f64 v[4:5], v[92:93], v[20:21], -v[4:5]
	v_add_f64 v[2:3], v[2:3], v[4:5]
	v_mul_f64 v[4:5], v[98:99], v[156:157]
	s_waitcnt vmcnt(20) lgkmcnt(1)
	v_mul_f64 v[136:137], v[126:127], v[164:165]
	v_fma_f64 v[4:5], v[96:97], v[158:159], -v[4:5]
	s_waitcnt vmcnt(18)
	v_fmac_f64_e32 v[136:137], v[128:129], v[166:167]
	v_add_f64 v[2:3], v[2:3], v[4:5]
	v_mul_f64 v[4:5], v[124:125], v[152:153]
	v_add_f64 v[138:139], v[134:135], v[136:137]
	ds_read_b128 v[134:137], v24 offset:624
	s_waitcnt vmcnt(16) lgkmcnt(1)
	v_mul_f64 v[140:141], v[130:131], v[160:161]
	v_fma_f64 v[4:5], v[122:123], v[154:155], -v[4:5]
	v_fmac_f64_e32 v[140:141], v[132:133], v[162:163]
	v_add_f64 v[2:3], v[2:3], v[4:5]
	v_mul_f64 v[4:5], v[128:129], v[164:165]
	v_add_f64 v[184:185], v[138:139], v[140:141]
	ds_read_b128 v[138:141], v24 offset:640
	v_fma_f64 v[4:5], v[126:127], v[166:167], -v[4:5]
	v_add_f64 v[2:3], v[2:3], v[4:5]
	v_mul_f64 v[4:5], v[132:133], v[160:161]
	v_fma_f64 v[4:5], v[130:131], v[162:163], -v[4:5]
	v_add_f64 v[2:3], v[2:3], v[4:5]
	s_waitcnt vmcnt(12) lgkmcnt(1)
	v_mul_f64 v[4:5], v[136:137], v[172:173]
	v_mul_f64 v[186:187], v[134:135], v[172:173]
	s_waitcnt vmcnt(10)
	v_fma_f64 v[4:5], v[134:135], v[174:175], -v[4:5]
	v_fmac_f64_e32 v[186:187], v[136:137], v[174:175]
	v_add_f64 v[2:3], v[2:3], v[4:5]
	s_waitcnt vmcnt(8) lgkmcnt(0)
	v_mul_f64 v[4:5], v[140:141], v[168:169]
	v_add_f64 v[24:25], v[184:185], v[186:187]
	v_mul_f64 v[184:185], v[138:139], v[168:169]
	v_fma_f64 v[4:5], v[138:139], v[170:171], -v[4:5]
	v_fmac_f64_e32 v[184:185], v[140:141], v[170:171]
	v_add_f64 v[2:3], v[2:3], v[4:5]
	s_waitcnt vmcnt(6)
	v_mul_f64 v[4:5], v[144:145], v[176:177]
	v_add_f64 v[24:25], v[24:25], v[184:185]
	v_mul_f64 v[184:185], v[142:143], v[176:177]
	s_waitcnt vmcnt(4)
	v_fma_f64 v[4:5], v[142:143], v[178:179], -v[4:5]
	v_fmac_f64_e32 v[184:185], v[144:145], v[178:179]
	v_add_f64 v[2:3], v[2:3], v[4:5]
	v_add_f64 v[24:25], v[24:25], v[184:185]
	s_waitcnt vmcnt(2)
	v_add_f64 v[2:3], v[180:181], -v[2:3]
	s_waitcnt vmcnt(0)
	v_add_f64 v[4:5], v[182:183], -v[24:25]
	buffer_store_dword v3, off, s[0:3], 0 offset:100
	buffer_store_dword v2, off, s[0:3], 0 offset:96
	;; [unrolled: 1-line block ×4, first 2 shown]
	s_and_saveexec_b64 s[6:7], vcc
	s_cbranch_execz .LBB84_129
; %bb.128:
	buffer_load_dword v2, v112, s[0:3], 0 offen
	buffer_load_dword v3, v112, s[0:3], 0 offen offset:4
	buffer_load_dword v4, v112, s[0:3], 0 offen offset:8
	;; [unrolled: 1-line block ×3, first 2 shown]
	v_mov_b32_e32 v6, 0
	buffer_store_dword v6, off, s[0:3], 0 offset:80
	buffer_store_dword v6, off, s[0:3], 0 offset:84
	;; [unrolled: 1-line block ×4, first 2 shown]
	s_waitcnt vmcnt(4)
	ds_write_b128 v120, v[2:5]
.LBB84_129:
	s_or_b64 exec, exec, s[6:7]
	s_waitcnt lgkmcnt(0)
	; wave barrier
	s_waitcnt lgkmcnt(0)
	buffer_load_dword v2, off, s[0:3], 0 offset:96
	buffer_load_dword v3, off, s[0:3], 0 offset:100
	;; [unrolled: 1-line block ×64, first 2 shown]
	v_mov_b32_e32 v80, 0
	ds_read_b128 v[30:33], v80 offset:432
	ds_read_b128 v[76:79], v80 offset:448
	;; [unrolled: 1-line block ×7, first 2 shown]
	v_cmp_lt_u32_e32 vcc, 4, v119
	s_waitcnt vmcnt(60) lgkmcnt(6)
	v_mul_f64 v[122:123], v[30:31], v[6:7]
	v_fmac_f64_e32 v[122:123], v[32:33], v[2:3]
	v_add_f64 v[122:123], v[122:123], 0
	v_mul_f64 v[6:7], v[32:33], v[6:7]
	s_waitcnt vmcnt(56) lgkmcnt(5)
	v_mul_f64 v[124:125], v[76:77], v[8:9]
	v_fmac_f64_e32 v[124:125], v[78:79], v[4:5]
	s_waitcnt vmcnt(54) lgkmcnt(4)
	v_mul_f64 v[126:127], v[82:83], v[10:11]
	v_add_f64 v[122:123], v[122:123], v[124:125]
	v_fma_f64 v[2:3], v[30:31], v[2:3], -v[6:7]
	v_mul_f64 v[6:7], v[78:79], v[8:9]
	s_waitcnt vmcnt(50) lgkmcnt(3)
	v_mul_f64 v[128:129], v[86:87], v[16:17]
	s_waitcnt vmcnt(49) lgkmcnt(2)
	v_mul_f64 v[130:131], v[90:91], v[12:13]
	v_add_f64 v[2:3], v[2:3], 0
	s_waitcnt vmcnt(47)
	v_fmac_f64_e32 v[126:127], v[84:85], v[20:21]
	v_add_f64 v[122:123], v[122:123], v[126:127]
	s_waitcnt vmcnt(45)
	v_fmac_f64_e32 v[128:129], v[88:89], v[18:19]
	;; [unrolled: 3-line block ×3, first 2 shown]
	v_add_f64 v[126:127], v[122:123], v[130:131]
	ds_read_b128 v[122:125], v80 offset:528
	s_waitcnt vmcnt(40) lgkmcnt(2)
	v_mul_f64 v[128:129], v[94:95], v[26:27]
	v_fma_f64 v[4:5], v[76:77], v[4:5], -v[6:7]
	s_waitcnt vmcnt(38)
	v_fmac_f64_e32 v[128:129], v[96:97], v[28:29]
	v_add_f64 v[130:131], v[126:127], v[128:129]
	ds_read_b128 v[126:129], v80 offset:544
	s_waitcnt vmcnt(36) lgkmcnt(1)
	v_mul_f64 v[132:133], v[122:123], v[22:23]
	v_fmac_f64_e32 v[132:133], v[124:125], v[24:25]
	v_add_f64 v[2:3], v[2:3], v[4:5]
	v_mul_f64 v[4:5], v[84:85], v[10:11]
	v_add_f64 v[134:135], v[130:131], v[132:133]
	ds_read_b128 v[130:133], v80 offset:560
	s_waitcnt vmcnt(32) lgkmcnt(1)
	v_mul_f64 v[136:137], v[126:127], v[160:161]
	v_fma_f64 v[4:5], v[82:83], v[20:21], -v[4:5]
	s_waitcnt vmcnt(30)
	v_fmac_f64_e32 v[136:137], v[128:129], v[162:163]
	v_add_f64 v[2:3], v[2:3], v[4:5]
	v_mul_f64 v[4:5], v[88:89], v[16:17]
	v_add_f64 v[138:139], v[134:135], v[136:137]
	ds_read_b128 v[134:137], v80 offset:576
	v_fma_f64 v[4:5], v[86:87], v[18:19], -v[4:5]
	v_add_f64 v[2:3], v[2:3], v[4:5]
	v_mul_f64 v[4:5], v[92:93], v[12:13]
	v_fma_f64 v[4:5], v[90:91], v[14:15], -v[4:5]
	s_waitcnt vmcnt(28) lgkmcnt(1)
	v_mul_f64 v[140:141], v[130:131], v[98:99]
	v_add_f64 v[2:3], v[2:3], v[4:5]
	v_mul_f64 v[4:5], v[96:97], v[26:27]
	v_fmac_f64_e32 v[140:141], v[132:133], v[158:159]
	v_fma_f64 v[4:5], v[94:95], v[28:29], -v[4:5]
	v_add_f64 v[142:143], v[138:139], v[140:141]
	ds_read_b128 v[138:141], v80 offset:592
	s_waitcnt vmcnt(24) lgkmcnt(1)
	v_mul_f64 v[144:145], v[134:135], v[168:169]
	v_add_f64 v[2:3], v[2:3], v[4:5]
	v_mul_f64 v[4:5], v[124:125], v[22:23]
	s_waitcnt vmcnt(22)
	v_fmac_f64_e32 v[144:145], v[136:137], v[170:171]
	v_fma_f64 v[4:5], v[122:123], v[24:25], -v[4:5]
	v_add_f64 v[146:147], v[142:143], v[144:145]
	ds_read_b128 v[142:145], v80 offset:608
	v_add_f64 v[2:3], v[2:3], v[4:5]
	v_mul_f64 v[4:5], v[128:129], v[160:161]
	v_fma_f64 v[4:5], v[126:127], v[162:163], -v[4:5]
	v_add_f64 v[2:3], v[2:3], v[4:5]
	v_mul_f64 v[4:5], v[132:133], v[98:99]
	s_waitcnt vmcnt(20) lgkmcnt(1)
	v_mul_f64 v[148:149], v[138:139], v[164:165]
	v_fma_f64 v[4:5], v[130:131], v[158:159], -v[4:5]
	v_fmac_f64_e32 v[148:149], v[140:141], v[166:167]
	v_add_f64 v[2:3], v[2:3], v[4:5]
	v_mul_f64 v[4:5], v[136:137], v[168:169]
	v_add_f64 v[150:151], v[146:147], v[148:149]
	ds_read_b128 v[146:149], v80 offset:624
	s_waitcnt vmcnt(16) lgkmcnt(1)
	v_mul_f64 v[152:153], v[142:143], v[176:177]
	v_fma_f64 v[4:5], v[134:135], v[170:171], -v[4:5]
	s_waitcnt vmcnt(14)
	v_fmac_f64_e32 v[152:153], v[144:145], v[178:179]
	v_add_f64 v[2:3], v[2:3], v[4:5]
	v_mul_f64 v[4:5], v[140:141], v[164:165]
	v_add_f64 v[192:193], v[150:151], v[152:153]
	ds_read_b128 v[150:153], v80 offset:640
	v_fma_f64 v[4:5], v[138:139], v[166:167], -v[4:5]
	v_add_f64 v[2:3], v[2:3], v[4:5]
	v_mul_f64 v[4:5], v[144:145], v[176:177]
	v_fma_f64 v[4:5], v[142:143], v[178:179], -v[4:5]
	v_add_f64 v[2:3], v[2:3], v[4:5]
	s_waitcnt vmcnt(12) lgkmcnt(1)
	v_mul_f64 v[4:5], v[148:149], v[172:173]
	v_mul_f64 v[194:195], v[146:147], v[172:173]
	v_fma_f64 v[4:5], v[146:147], v[174:175], -v[4:5]
	v_fmac_f64_e32 v[194:195], v[148:149], v[174:175]
	v_add_f64 v[2:3], v[2:3], v[4:5]
	s_waitcnt vmcnt(8) lgkmcnt(0)
	v_mul_f64 v[4:5], v[152:153], v[184:185]
	v_add_f64 v[192:193], v[192:193], v[194:195]
	v_mul_f64 v[194:195], v[150:151], v[184:185]
	s_waitcnt vmcnt(6)
	v_fma_f64 v[4:5], v[150:151], v[186:187], -v[4:5]
	v_fmac_f64_e32 v[194:195], v[152:153], v[186:187]
	v_add_f64 v[2:3], v[2:3], v[4:5]
	s_waitcnt vmcnt(5)
	v_mul_f64 v[4:5], v[156:157], v[180:181]
	v_add_f64 v[192:193], v[192:193], v[194:195]
	v_mul_f64 v[194:195], v[154:155], v[180:181]
	s_waitcnt vmcnt(4)
	v_fma_f64 v[4:5], v[154:155], v[182:183], -v[4:5]
	v_fmac_f64_e32 v[194:195], v[156:157], v[182:183]
	v_add_f64 v[2:3], v[2:3], v[4:5]
	v_add_f64 v[192:193], v[192:193], v[194:195]
	s_waitcnt vmcnt(2)
	v_add_f64 v[2:3], v[188:189], -v[2:3]
	s_waitcnt vmcnt(0)
	v_add_f64 v[4:5], v[190:191], -v[192:193]
	buffer_store_dword v3, off, s[0:3], 0 offset:84
	buffer_store_dword v2, off, s[0:3], 0 offset:80
	;; [unrolled: 1-line block ×4, first 2 shown]
	s_and_saveexec_b64 s[6:7], vcc
	s_cbranch_execz .LBB84_131
; %bb.130:
	buffer_load_dword v2, v113, s[0:3], 0 offen
	buffer_load_dword v3, v113, s[0:3], 0 offen offset:4
	buffer_load_dword v4, v113, s[0:3], 0 offen offset:8
	;; [unrolled: 1-line block ×3, first 2 shown]
	s_nop 0
	buffer_store_dword v80, off, s[0:3], 0 offset:64
	buffer_store_dword v80, off, s[0:3], 0 offset:68
	buffer_store_dword v80, off, s[0:3], 0 offset:72
	buffer_store_dword v80, off, s[0:3], 0 offset:76
	s_waitcnt vmcnt(4)
	ds_write_b128 v120, v[2:5]
.LBB84_131:
	s_or_b64 exec, exec, s[6:7]
	s_waitcnt lgkmcnt(0)
	; wave barrier
	s_waitcnt lgkmcnt(0)
	buffer_load_dword v2, off, s[0:3], 0 offset:80
	buffer_load_dword v3, off, s[0:3], 0 offset:84
	;; [unrolled: 1-line block ×64, first 2 shown]
	ds_read_b128 v[82:85], v80 offset:416
	ds_read_b128 v[86:89], v80 offset:432
	;; [unrolled: 1-line block ×4, first 2 shown]
	buffer_load_dword v196, off, s[0:3], 0 offset:64
	buffer_load_dword v197, off, s[0:3], 0 offset:68
	;; [unrolled: 1-line block ×4, first 2 shown]
	v_cmp_lt_u32_e32 vcc, 3, v119
	ds_read_b128 v[166:169], v80 offset:656
	s_waitcnt vmcnt(62) lgkmcnt(4)
	v_mul_f64 v[122:123], v[82:83], v[4:5]
	v_fmac_f64_e32 v[122:123], v[84:85], v[2:3]
	s_waitcnt lgkmcnt(3)
	v_mul_f64 v[124:125], v[86:87], v[6:7]
	v_add_f64 v[122:123], v[122:123], 0
	s_waitcnt vmcnt(60) lgkmcnt(2)
	v_mul_f64 v[126:127], v[90:91], v[8:9]
	v_mul_f64 v[4:5], v[84:85], v[4:5]
	v_fma_f64 v[2:3], v[82:83], v[2:3], -v[4:5]
	v_mul_f64 v[4:5], v[88:89], v[6:7]
	s_waitcnt vmcnt(56) lgkmcnt(1)
	v_mul_f64 v[128:129], v[94:95], v[14:15]
	v_add_f64 v[2:3], v[2:3], 0
	s_waitcnt vmcnt(54)
	v_fmac_f64_e32 v[124:125], v[88:89], v[20:21]
	v_add_f64 v[130:131], v[122:123], v[124:125]
	ds_read_b128 v[122:125], v80 offset:480
	s_waitcnt vmcnt(52)
	v_fmac_f64_e32 v[126:127], v[92:93], v[18:19]
	v_add_f64 v[126:127], v[130:131], v[126:127]
	s_waitcnt vmcnt(50)
	v_fmac_f64_e32 v[128:129], v[96:97], v[16:17]
	v_add_f64 v[130:131], v[126:127], v[128:129]
	ds_read_b128 v[126:129], v80 offset:496
	s_waitcnt vmcnt(48) lgkmcnt(1)
	v_mul_f64 v[132:133], v[122:123], v[10:11]
	v_fmac_f64_e32 v[132:133], v[124:125], v[12:13]
	v_add_f64 v[134:135], v[130:131], v[132:133]
	ds_read_b128 v[130:133], v80 offset:512
	s_waitcnt vmcnt(44) lgkmcnt(1)
	v_mul_f64 v[136:137], v[126:127], v[26:27]
	s_waitcnt vmcnt(42)
	v_fmac_f64_e32 v[136:137], v[128:129], v[28:29]
	v_add_f64 v[138:139], v[134:135], v[136:137]
	ds_read_b128 v[134:137], v80 offset:528
	s_waitcnt vmcnt(40) lgkmcnt(1)
	v_mul_f64 v[140:141], v[130:131], v[22:23]
	v_fmac_f64_e32 v[140:141], v[132:133], v[24:25]
	v_add_f64 v[142:143], v[138:139], v[140:141]
	ds_read_b128 v[138:141], v80 offset:544
	v_fma_f64 v[4:5], v[86:87], v[20:21], -v[4:5]
	v_add_f64 v[2:3], v[2:3], v[4:5]
	v_mul_f64 v[4:5], v[92:93], v[8:9]
	s_waitcnt vmcnt(36) lgkmcnt(1)
	v_mul_f64 v[144:145], v[134:135], v[76:77]
	v_fma_f64 v[4:5], v[90:91], v[18:19], -v[4:5]
	s_waitcnt vmcnt(34)
	v_fmac_f64_e32 v[144:145], v[136:137], v[78:79]
	v_add_f64 v[2:3], v[2:3], v[4:5]
	v_mul_f64 v[4:5], v[96:97], v[14:15]
	v_add_f64 v[146:147], v[142:143], v[144:145]
	ds_read_b128 v[142:145], v80 offset:560
	s_waitcnt vmcnt(32) lgkmcnt(1)
	v_mul_f64 v[148:149], v[138:139], v[30:31]
	v_fma_f64 v[4:5], v[94:95], v[16:17], -v[4:5]
	v_fmac_f64_e32 v[148:149], v[140:141], v[32:33]
	v_add_f64 v[2:3], v[2:3], v[4:5]
	v_mul_f64 v[4:5], v[124:125], v[10:11]
	v_add_f64 v[150:151], v[146:147], v[148:149]
	ds_read_b128 v[146:149], v80 offset:576
	v_fma_f64 v[4:5], v[122:123], v[12:13], -v[4:5]
	v_add_f64 v[2:3], v[2:3], v[4:5]
	v_mul_f64 v[4:5], v[128:129], v[26:27]
	v_fma_f64 v[4:5], v[126:127], v[28:29], -v[4:5]
	s_waitcnt vmcnt(28) lgkmcnt(1)
	v_mul_f64 v[152:153], v[142:143], v[172:173]
	v_add_f64 v[2:3], v[2:3], v[4:5]
	v_mul_f64 v[4:5], v[132:133], v[22:23]
	s_waitcnt vmcnt(26)
	v_fmac_f64_e32 v[152:153], v[144:145], v[174:175]
	v_fma_f64 v[4:5], v[130:131], v[24:25], -v[4:5]
	v_add_f64 v[154:155], v[150:151], v[152:153]
	ds_read_b128 v[150:153], v80 offset:592
	s_waitcnt vmcnt(24) lgkmcnt(1)
	v_mul_f64 v[156:157], v[146:147], v[98:99]
	v_add_f64 v[2:3], v[2:3], v[4:5]
	v_mul_f64 v[4:5], v[136:137], v[76:77]
	v_fmac_f64_e32 v[156:157], v[148:149], v[170:171]
	v_fma_f64 v[4:5], v[134:135], v[78:79], -v[4:5]
	v_add_f64 v[158:159], v[154:155], v[156:157]
	ds_read_b128 v[154:157], v80 offset:608
	v_add_f64 v[2:3], v[2:3], v[4:5]
	v_mul_f64 v[4:5], v[140:141], v[30:31]
	v_fma_f64 v[4:5], v[138:139], v[32:33], -v[4:5]
	v_add_f64 v[2:3], v[2:3], v[4:5]
	v_mul_f64 v[4:5], v[144:145], v[172:173]
	s_waitcnt vmcnt(20) lgkmcnt(1)
	v_mul_f64 v[160:161], v[150:151], v[180:181]
	v_fma_f64 v[4:5], v[142:143], v[174:175], -v[4:5]
	s_waitcnt vmcnt(18)
	v_fmac_f64_e32 v[160:161], v[152:153], v[182:183]
	v_add_f64 v[2:3], v[2:3], v[4:5]
	v_mul_f64 v[4:5], v[148:149], v[98:99]
	v_add_f64 v[162:163], v[158:159], v[160:161]
	ds_read_b128 v[158:161], v80 offset:624
	s_waitcnt vmcnt(16) lgkmcnt(1)
	v_mul_f64 v[164:165], v[154:155], v[176:177]
	v_fma_f64 v[4:5], v[146:147], v[170:171], -v[4:5]
	v_fmac_f64_e32 v[164:165], v[156:157], v[178:179]
	v_add_f64 v[2:3], v[2:3], v[4:5]
	v_mul_f64 v[4:5], v[152:153], v[180:181]
	v_add_f64 v[200:201], v[162:163], v[164:165]
	ds_read_b128 v[162:165], v80 offset:640
	v_fma_f64 v[4:5], v[150:151], v[182:183], -v[4:5]
	v_add_f64 v[2:3], v[2:3], v[4:5]
	v_mul_f64 v[4:5], v[156:157], v[176:177]
	v_fma_f64 v[4:5], v[154:155], v[178:179], -v[4:5]
	v_add_f64 v[2:3], v[2:3], v[4:5]
	s_waitcnt vmcnt(12) lgkmcnt(1)
	v_mul_f64 v[4:5], v[160:161], v[188:189]
	v_mul_f64 v[202:203], v[158:159], v[188:189]
	s_waitcnt vmcnt(10)
	v_fma_f64 v[4:5], v[158:159], v[190:191], -v[4:5]
	v_fmac_f64_e32 v[202:203], v[160:161], v[190:191]
	v_add_f64 v[2:3], v[2:3], v[4:5]
	s_waitcnt vmcnt(8) lgkmcnt(0)
	v_mul_f64 v[4:5], v[164:165], v[184:185]
	v_add_f64 v[80:81], v[200:201], v[202:203]
	v_mul_f64 v[200:201], v[162:163], v[184:185]
	v_fma_f64 v[4:5], v[162:163], v[186:187], -v[4:5]
	v_fmac_f64_e32 v[200:201], v[164:165], v[186:187]
	v_add_f64 v[2:3], v[2:3], v[4:5]
	s_waitcnt vmcnt(6)
	v_mul_f64 v[4:5], v[168:169], v[192:193]
	v_add_f64 v[80:81], v[80:81], v[200:201]
	v_mul_f64 v[200:201], v[166:167], v[192:193]
	s_waitcnt vmcnt(4)
	v_fma_f64 v[4:5], v[166:167], v[194:195], -v[4:5]
	v_fmac_f64_e32 v[200:201], v[168:169], v[194:195]
	v_add_f64 v[2:3], v[2:3], v[4:5]
	v_add_f64 v[80:81], v[80:81], v[200:201]
	s_waitcnt vmcnt(2)
	v_add_f64 v[2:3], v[196:197], -v[2:3]
	s_waitcnt vmcnt(0)
	v_add_f64 v[4:5], v[198:199], -v[80:81]
	buffer_store_dword v3, off, s[0:3], 0 offset:68
	buffer_store_dword v2, off, s[0:3], 0 offset:64
	;; [unrolled: 1-line block ×4, first 2 shown]
	s_and_saveexec_b64 s[6:7], vcc
	s_cbranch_execz .LBB84_133
; %bb.132:
	buffer_load_dword v2, v117, s[0:3], 0 offen
	buffer_load_dword v3, v117, s[0:3], 0 offen offset:4
	buffer_load_dword v4, v117, s[0:3], 0 offen offset:8
	;; [unrolled: 1-line block ×3, first 2 shown]
	v_mov_b32_e32 v6, 0
	buffer_store_dword v6, off, s[0:3], 0 offset:48
	buffer_store_dword v6, off, s[0:3], 0 offset:52
	;; [unrolled: 1-line block ×4, first 2 shown]
	s_waitcnt vmcnt(4)
	ds_write_b128 v120, v[2:5]
.LBB84_133:
	s_or_b64 exec, exec, s[6:7]
	s_waitcnt lgkmcnt(0)
	; wave barrier
	s_waitcnt lgkmcnt(0)
	buffer_load_dword v2, off, s[0:3], 0 offset:64
	buffer_load_dword v3, off, s[0:3], 0 offset:68
	;; [unrolled: 1-line block ×68, first 2 shown]
	v_mov_b32_e32 v88, 0
	ds_read_b128 v[84:87], v88 offset:400
	ds_read_b128 v[90:93], v88 offset:416
	buffer_load_dword v204, off, s[0:3], 0 offset:48
	buffer_load_dword v205, off, s[0:3], 0 offset:52
	;; [unrolled: 1-line block ×4, first 2 shown]
	ds_read_b128 v[94:97], v88 offset:432
	ds_read_b128 v[122:125], v88 offset:448
	;; [unrolled: 1-line block ×3, first 2 shown]
	v_cmp_lt_u32_e32 vcc, 2, v119
	s_waitcnt vmcnt(62) lgkmcnt(4)
	v_mul_f64 v[126:127], v[84:85], v[8:9]
	v_fmac_f64_e32 v[126:127], v[86:87], v[2:3]
	v_add_f64 v[126:127], v[126:127], 0
	v_mul_f64 v[8:9], v[86:87], v[8:9]
	s_waitcnt lgkmcnt(3)
	v_mul_f64 v[128:129], v[90:91], v[10:11]
	v_fmac_f64_e32 v[128:129], v[92:93], v[4:5]
	v_add_f64 v[126:127], v[126:127], v[128:129]
	v_fma_f64 v[2:3], v[84:85], v[2:3], -v[8:9]
	s_waitcnt vmcnt(60) lgkmcnt(2)
	v_mul_f64 v[128:129], v[94:95], v[12:13]
	v_fmac_f64_e32 v[128:129], v[96:97], v[6:7]
	v_add_f64 v[130:131], v[126:127], v[128:129]
	ds_read_b128 v[126:129], v88 offset:464
	s_waitcnt vmcnt(56) lgkmcnt(2)
	v_mul_f64 v[132:133], v[122:123], v[18:19]
	v_mul_f64 v[8:9], v[92:93], v[10:11]
	s_waitcnt vmcnt(54)
	v_fmac_f64_e32 v[132:133], v[124:125], v[20:21]
	v_add_f64 v[134:135], v[130:131], v[132:133]
	ds_read_b128 v[130:133], v88 offset:480
	s_waitcnt vmcnt(52) lgkmcnt(1)
	v_mul_f64 v[136:137], v[126:127], v[14:15]
	v_fmac_f64_e32 v[136:137], v[128:129], v[16:17]
	v_add_f64 v[138:139], v[134:135], v[136:137]
	ds_read_b128 v[134:137], v88 offset:496
	s_waitcnt vmcnt(48) lgkmcnt(1)
	v_mul_f64 v[140:141], v[130:131], v[26:27]
	s_waitcnt vmcnt(46)
	v_fmac_f64_e32 v[140:141], v[132:133], v[28:29]
	v_add_f64 v[142:143], v[138:139], v[140:141]
	ds_read_b128 v[138:141], v88 offset:512
	s_waitcnt vmcnt(44) lgkmcnt(1)
	v_mul_f64 v[144:145], v[134:135], v[22:23]
	v_fmac_f64_e32 v[144:145], v[136:137], v[24:25]
	v_add_f64 v[146:147], v[142:143], v[144:145]
	ds_read_b128 v[142:145], v88 offset:528
	s_waitcnt vmcnt(40) lgkmcnt(1)
	v_mul_f64 v[148:149], v[138:139], v[76:77]
	s_waitcnt vmcnt(38)
	v_fmac_f64_e32 v[148:149], v[140:141], v[78:79]
	v_add_f64 v[2:3], v[2:3], 0
	v_fma_f64 v[4:5], v[90:91], v[4:5], -v[8:9]
	v_add_f64 v[150:151], v[146:147], v[148:149]
	ds_read_b128 v[146:149], v88 offset:544
	v_add_f64 v[2:3], v[2:3], v[4:5]
	v_mul_f64 v[4:5], v[96:97], v[12:13]
	v_fma_f64 v[4:5], v[94:95], v[6:7], -v[4:5]
	v_add_f64 v[2:3], v[2:3], v[4:5]
	v_mul_f64 v[4:5], v[124:125], v[18:19]
	s_waitcnt vmcnt(36) lgkmcnt(1)
	v_mul_f64 v[152:153], v[142:143], v[30:31]
	v_fma_f64 v[4:5], v[122:123], v[20:21], -v[4:5]
	v_fmac_f64_e32 v[152:153], v[144:145], v[32:33]
	v_add_f64 v[2:3], v[2:3], v[4:5]
	v_mul_f64 v[4:5], v[128:129], v[14:15]
	v_add_f64 v[154:155], v[150:151], v[152:153]
	ds_read_b128 v[150:153], v88 offset:560
	s_waitcnt vmcnt(32) lgkmcnt(1)
	v_mul_f64 v[156:157], v[146:147], v[98:99]
	v_fma_f64 v[4:5], v[126:127], v[16:17], -v[4:5]
	s_waitcnt vmcnt(30)
	v_fmac_f64_e32 v[156:157], v[148:149], v[178:179]
	v_add_f64 v[2:3], v[2:3], v[4:5]
	v_mul_f64 v[4:5], v[132:133], v[26:27]
	v_add_f64 v[158:159], v[154:155], v[156:157]
	ds_read_b128 v[154:157], v88 offset:576
	v_fma_f64 v[4:5], v[130:131], v[28:29], -v[4:5]
	v_add_f64 v[2:3], v[2:3], v[4:5]
	v_mul_f64 v[4:5], v[136:137], v[22:23]
	v_fma_f64 v[4:5], v[134:135], v[24:25], -v[4:5]
	s_waitcnt vmcnt(28) lgkmcnt(1)
	v_mul_f64 v[160:161], v[150:151], v[80:81]
	v_add_f64 v[2:3], v[2:3], v[4:5]
	v_mul_f64 v[4:5], v[140:141], v[76:77]
	v_fmac_f64_e32 v[160:161], v[152:153], v[82:83]
	v_fma_f64 v[4:5], v[138:139], v[78:79], -v[4:5]
	v_add_f64 v[162:163], v[158:159], v[160:161]
	ds_read_b128 v[158:161], v88 offset:592
	s_waitcnt vmcnt(24) lgkmcnt(1)
	v_mul_f64 v[164:165], v[154:155], v[184:185]
	v_add_f64 v[2:3], v[2:3], v[4:5]
	v_mul_f64 v[4:5], v[144:145], v[30:31]
	s_waitcnt vmcnt(22)
	v_fmac_f64_e32 v[164:165], v[156:157], v[186:187]
	v_fma_f64 v[4:5], v[142:143], v[32:33], -v[4:5]
	v_add_f64 v[166:167], v[162:163], v[164:165]
	ds_read_b128 v[162:165], v88 offset:608
	v_add_f64 v[2:3], v[2:3], v[4:5]
	v_mul_f64 v[4:5], v[148:149], v[98:99]
	v_fma_f64 v[4:5], v[146:147], v[178:179], -v[4:5]
	v_add_f64 v[2:3], v[2:3], v[4:5]
	v_mul_f64 v[4:5], v[152:153], v[80:81]
	s_waitcnt vmcnt(20) lgkmcnt(1)
	v_mul_f64 v[168:169], v[158:159], v[180:181]
	v_fma_f64 v[4:5], v[150:151], v[82:83], -v[4:5]
	v_fmac_f64_e32 v[168:169], v[160:161], v[182:183]
	v_add_f64 v[2:3], v[2:3], v[4:5]
	v_mul_f64 v[4:5], v[156:157], v[184:185]
	v_add_f64 v[170:171], v[166:167], v[168:169]
	ds_read_b128 v[166:169], v88 offset:624
	s_waitcnt vmcnt(16) lgkmcnt(1)
	v_mul_f64 v[172:173], v[162:163], v[192:193]
	v_fma_f64 v[4:5], v[154:155], v[186:187], -v[4:5]
	s_waitcnt vmcnt(14)
	v_fmac_f64_e32 v[172:173], v[164:165], v[194:195]
	v_add_f64 v[2:3], v[2:3], v[4:5]
	v_mul_f64 v[4:5], v[160:161], v[180:181]
	v_add_f64 v[208:209], v[170:171], v[172:173]
	ds_read_b128 v[170:173], v88 offset:640
	v_fma_f64 v[4:5], v[158:159], v[182:183], -v[4:5]
	v_add_f64 v[2:3], v[2:3], v[4:5]
	v_mul_f64 v[4:5], v[164:165], v[192:193]
	v_fma_f64 v[4:5], v[162:163], v[194:195], -v[4:5]
	v_add_f64 v[2:3], v[2:3], v[4:5]
	s_waitcnt vmcnt(12) lgkmcnt(1)
	v_mul_f64 v[4:5], v[168:169], v[188:189]
	v_mul_f64 v[210:211], v[166:167], v[188:189]
	v_fma_f64 v[4:5], v[166:167], v[190:191], -v[4:5]
	v_fmac_f64_e32 v[210:211], v[168:169], v[190:191]
	v_add_f64 v[2:3], v[2:3], v[4:5]
	s_waitcnt vmcnt(8) lgkmcnt(0)
	v_mul_f64 v[4:5], v[172:173], v[200:201]
	v_add_f64 v[208:209], v[208:209], v[210:211]
	v_mul_f64 v[210:211], v[170:171], v[200:201]
	s_waitcnt vmcnt(6)
	v_fma_f64 v[4:5], v[170:171], v[202:203], -v[4:5]
	v_fmac_f64_e32 v[210:211], v[172:173], v[202:203]
	v_add_f64 v[2:3], v[2:3], v[4:5]
	s_waitcnt vmcnt(5)
	v_mul_f64 v[4:5], v[176:177], v[196:197]
	v_add_f64 v[208:209], v[208:209], v[210:211]
	v_mul_f64 v[210:211], v[174:175], v[196:197]
	s_waitcnt vmcnt(4)
	v_fma_f64 v[4:5], v[174:175], v[198:199], -v[4:5]
	v_fmac_f64_e32 v[210:211], v[176:177], v[198:199]
	v_add_f64 v[2:3], v[2:3], v[4:5]
	v_add_f64 v[208:209], v[208:209], v[210:211]
	s_waitcnt vmcnt(2)
	v_add_f64 v[2:3], v[204:205], -v[2:3]
	s_waitcnt vmcnt(0)
	v_add_f64 v[4:5], v[206:207], -v[208:209]
	buffer_store_dword v3, off, s[0:3], 0 offset:52
	buffer_store_dword v2, off, s[0:3], 0 offset:48
	;; [unrolled: 1-line block ×4, first 2 shown]
	s_and_saveexec_b64 s[6:7], vcc
	s_cbranch_execz .LBB84_135
; %bb.134:
	buffer_load_dword v2, v118, s[0:3], 0 offen
	buffer_load_dword v3, v118, s[0:3], 0 offen offset:4
	buffer_load_dword v4, v118, s[0:3], 0 offen offset:8
	;; [unrolled: 1-line block ×3, first 2 shown]
	s_nop 0
	buffer_store_dword v88, off, s[0:3], 0 offset:32
	buffer_store_dword v88, off, s[0:3], 0 offset:36
	;; [unrolled: 1-line block ×4, first 2 shown]
	s_waitcnt vmcnt(4)
	ds_write_b128 v120, v[2:5]
.LBB84_135:
	s_or_b64 exec, exec, s[6:7]
	s_waitcnt lgkmcnt(0)
	; wave barrier
	s_waitcnt lgkmcnt(0)
	buffer_load_dword v2, off, s[0:3], 0 offset:48
	buffer_load_dword v3, off, s[0:3], 0 offset:52
	;; [unrolled: 1-line block ×72, first 2 shown]
	ds_read_b128 v[90:93], v88 offset:384
	buffer_load_dword v212, off, s[0:3], 0 offset:32
	buffer_load_dword v213, off, s[0:3], 0 offset:36
	;; [unrolled: 1-line block ×4, first 2 shown]
	ds_read_b128 v[94:97], v88 offset:400
	ds_read_b128 v[122:125], v88 offset:416
	;; [unrolled: 1-line block ×3, first 2 shown]
	v_cmp_lt_u32_e32 vcc, 1, v119
	ds_read_b128 v[182:185], v88 offset:656
	s_waitcnt vmcnt(62) lgkmcnt(4)
	v_mul_f64 v[130:131], v[90:91], v[8:9]
	v_fmac_f64_e32 v[130:131], v[92:93], v[2:3]
	v_add_f64 v[130:131], v[130:131], 0
	v_mul_f64 v[8:9], v[92:93], v[8:9]
	s_waitcnt lgkmcnt(3)
	v_mul_f64 v[132:133], v[94:95], v[10:11]
	v_fmac_f64_e32 v[132:133], v[96:97], v[4:5]
	v_add_f64 v[130:131], v[130:131], v[132:133]
	v_fma_f64 v[2:3], v[90:91], v[2:3], -v[8:9]
	s_waitcnt lgkmcnt(2)
	v_mul_f64 v[132:133], v[122:123], v[12:13]
	v_fmac_f64_e32 v[132:133], v[124:125], v[6:7]
	v_add_f64 v[134:135], v[130:131], v[132:133]
	ds_read_b128 v[130:133], v88 offset:448
	s_waitcnt vmcnt(60) lgkmcnt(2)
	v_mul_f64 v[136:137], v[126:127], v[18:19]
	v_mul_f64 v[8:9], v[96:97], v[10:11]
	s_waitcnt vmcnt(58)
	v_fmac_f64_e32 v[136:137], v[128:129], v[20:21]
	v_add_f64 v[138:139], v[134:135], v[136:137]
	ds_read_b128 v[134:137], v88 offset:464
	s_waitcnt vmcnt(56) lgkmcnt(1)
	v_mul_f64 v[140:141], v[130:131], v[14:15]
	v_fmac_f64_e32 v[140:141], v[132:133], v[16:17]
	v_add_f64 v[142:143], v[138:139], v[140:141]
	ds_read_b128 v[138:141], v88 offset:480
	s_waitcnt vmcnt(52) lgkmcnt(1)
	v_mul_f64 v[144:145], v[134:135], v[26:27]
	s_waitcnt vmcnt(50)
	v_fmac_f64_e32 v[144:145], v[136:137], v[28:29]
	v_add_f64 v[146:147], v[142:143], v[144:145]
	ds_read_b128 v[142:145], v88 offset:496
	s_waitcnt vmcnt(48) lgkmcnt(1)
	v_mul_f64 v[148:149], v[138:139], v[22:23]
	v_fmac_f64_e32 v[148:149], v[140:141], v[24:25]
	v_add_f64 v[150:151], v[146:147], v[148:149]
	ds_read_b128 v[146:149], v88 offset:512
	s_waitcnt vmcnt(44) lgkmcnt(1)
	v_mul_f64 v[152:153], v[142:143], v[76:77]
	s_waitcnt vmcnt(42)
	v_fmac_f64_e32 v[152:153], v[144:145], v[78:79]
	v_add_f64 v[2:3], v[2:3], 0
	v_fma_f64 v[4:5], v[94:95], v[4:5], -v[8:9]
	v_add_f64 v[154:155], v[150:151], v[152:153]
	ds_read_b128 v[150:153], v88 offset:528
	s_waitcnt vmcnt(40) lgkmcnt(1)
	v_mul_f64 v[156:157], v[146:147], v[30:31]
	v_add_f64 v[2:3], v[2:3], v[4:5]
	v_mul_f64 v[4:5], v[124:125], v[12:13]
	v_fmac_f64_e32 v[156:157], v[148:149], v[32:33]
	v_fma_f64 v[4:5], v[122:123], v[6:7], -v[4:5]
	v_add_f64 v[158:159], v[154:155], v[156:157]
	ds_read_b128 v[154:157], v88 offset:544
	v_add_f64 v[2:3], v[2:3], v[4:5]
	v_mul_f64 v[4:5], v[128:129], v[18:19]
	v_fma_f64 v[4:5], v[126:127], v[20:21], -v[4:5]
	v_add_f64 v[2:3], v[2:3], v[4:5]
	v_mul_f64 v[4:5], v[132:133], v[14:15]
	s_waitcnt vmcnt(36) lgkmcnt(1)
	v_mul_f64 v[160:161], v[150:151], v[84:85]
	v_fma_f64 v[4:5], v[130:131], v[16:17], -v[4:5]
	s_waitcnt vmcnt(34)
	v_fmac_f64_e32 v[160:161], v[152:153], v[86:87]
	v_add_f64 v[2:3], v[2:3], v[4:5]
	v_mul_f64 v[4:5], v[136:137], v[26:27]
	v_add_f64 v[162:163], v[158:159], v[160:161]
	ds_read_b128 v[158:161], v88 offset:560
	s_waitcnt vmcnt(32) lgkmcnt(1)
	v_mul_f64 v[164:165], v[154:155], v[80:81]
	v_fma_f64 v[4:5], v[134:135], v[28:29], -v[4:5]
	v_fmac_f64_e32 v[164:165], v[156:157], v[82:83]
	v_add_f64 v[2:3], v[2:3], v[4:5]
	v_mul_f64 v[4:5], v[140:141], v[22:23]
	v_add_f64 v[166:167], v[162:163], v[164:165]
	ds_read_b128 v[162:165], v88 offset:576
	v_fma_f64 v[4:5], v[138:139], v[24:25], -v[4:5]
	v_add_f64 v[2:3], v[2:3], v[4:5]
	v_mul_f64 v[4:5], v[144:145], v[76:77]
	v_fma_f64 v[4:5], v[142:143], v[78:79], -v[4:5]
	s_waitcnt vmcnt(28) lgkmcnt(1)
	v_mul_f64 v[168:169], v[158:159], v[188:189]
	v_add_f64 v[2:3], v[2:3], v[4:5]
	v_mul_f64 v[4:5], v[148:149], v[30:31]
	s_waitcnt vmcnt(26)
	v_fmac_f64_e32 v[168:169], v[160:161], v[190:191]
	v_fma_f64 v[4:5], v[146:147], v[32:33], -v[4:5]
	v_add_f64 v[170:171], v[166:167], v[168:169]
	ds_read_b128 v[166:169], v88 offset:592
	s_waitcnt vmcnt(24) lgkmcnt(1)
	v_mul_f64 v[172:173], v[162:163], v[98:99]
	v_add_f64 v[2:3], v[2:3], v[4:5]
	v_mul_f64 v[4:5], v[152:153], v[84:85]
	v_fmac_f64_e32 v[172:173], v[164:165], v[186:187]
	v_fma_f64 v[4:5], v[150:151], v[86:87], -v[4:5]
	v_add_f64 v[174:175], v[170:171], v[172:173]
	ds_read_b128 v[170:173], v88 offset:608
	v_add_f64 v[2:3], v[2:3], v[4:5]
	v_mul_f64 v[4:5], v[156:157], v[80:81]
	v_fma_f64 v[4:5], v[154:155], v[82:83], -v[4:5]
	v_add_f64 v[2:3], v[2:3], v[4:5]
	v_mul_f64 v[4:5], v[160:161], v[188:189]
	s_waitcnt vmcnt(20) lgkmcnt(1)
	v_mul_f64 v[176:177], v[166:167], v[196:197]
	v_fma_f64 v[4:5], v[158:159], v[190:191], -v[4:5]
	s_waitcnt vmcnt(18)
	v_fmac_f64_e32 v[176:177], v[168:169], v[198:199]
	v_add_f64 v[2:3], v[2:3], v[4:5]
	v_mul_f64 v[4:5], v[164:165], v[98:99]
	v_add_f64 v[178:179], v[174:175], v[176:177]
	ds_read_b128 v[174:177], v88 offset:624
	s_waitcnt vmcnt(16) lgkmcnt(1)
	v_mul_f64 v[180:181], v[170:171], v[192:193]
	v_fma_f64 v[4:5], v[162:163], v[186:187], -v[4:5]
	v_fmac_f64_e32 v[180:181], v[172:173], v[194:195]
	v_add_f64 v[2:3], v[2:3], v[4:5]
	v_mul_f64 v[4:5], v[168:169], v[196:197]
	v_add_f64 v[216:217], v[178:179], v[180:181]
	ds_read_b128 v[178:181], v88 offset:640
	v_fma_f64 v[4:5], v[166:167], v[198:199], -v[4:5]
	v_add_f64 v[2:3], v[2:3], v[4:5]
	v_mul_f64 v[4:5], v[172:173], v[192:193]
	v_fma_f64 v[4:5], v[170:171], v[194:195], -v[4:5]
	v_add_f64 v[2:3], v[2:3], v[4:5]
	s_waitcnt vmcnt(12) lgkmcnt(1)
	v_mul_f64 v[4:5], v[176:177], v[204:205]
	v_mul_f64 v[218:219], v[174:175], v[204:205]
	s_waitcnt vmcnt(10)
	v_fma_f64 v[4:5], v[174:175], v[206:207], -v[4:5]
	v_fmac_f64_e32 v[218:219], v[176:177], v[206:207]
	v_add_f64 v[2:3], v[2:3], v[4:5]
	s_waitcnt vmcnt(8) lgkmcnt(0)
	v_mul_f64 v[4:5], v[180:181], v[200:201]
	v_add_f64 v[88:89], v[216:217], v[218:219]
	v_mul_f64 v[216:217], v[178:179], v[200:201]
	v_fma_f64 v[4:5], v[178:179], v[202:203], -v[4:5]
	v_fmac_f64_e32 v[216:217], v[180:181], v[202:203]
	v_add_f64 v[2:3], v[2:3], v[4:5]
	s_waitcnt vmcnt(6)
	v_mul_f64 v[4:5], v[184:185], v[208:209]
	v_add_f64 v[88:89], v[88:89], v[216:217]
	v_mul_f64 v[216:217], v[182:183], v[208:209]
	s_waitcnt vmcnt(4)
	v_fma_f64 v[4:5], v[182:183], v[210:211], -v[4:5]
	v_fmac_f64_e32 v[216:217], v[184:185], v[210:211]
	v_add_f64 v[2:3], v[2:3], v[4:5]
	v_add_f64 v[88:89], v[88:89], v[216:217]
	s_waitcnt vmcnt(2)
	v_add_f64 v[2:3], v[212:213], -v[2:3]
	s_waitcnt vmcnt(0)
	v_add_f64 v[4:5], v[214:215], -v[88:89]
	buffer_store_dword v3, off, s[0:3], 0 offset:36
	buffer_store_dword v2, off, s[0:3], 0 offset:32
	;; [unrolled: 1-line block ×4, first 2 shown]
	s_and_saveexec_b64 s[6:7], vcc
	s_cbranch_execz .LBB84_137
; %bb.136:
	buffer_load_dword v2, v116, s[0:3], 0 offen
	buffer_load_dword v3, v116, s[0:3], 0 offen offset:4
	buffer_load_dword v4, v116, s[0:3], 0 offen offset:8
	;; [unrolled: 1-line block ×3, first 2 shown]
	v_mov_b32_e32 v6, 0
	buffer_store_dword v6, off, s[0:3], 0 offset:16
	buffer_store_dword v6, off, s[0:3], 0 offset:20
	;; [unrolled: 1-line block ×4, first 2 shown]
	s_waitcnt vmcnt(4)
	ds_write_b128 v120, v[2:5]
.LBB84_137:
	s_or_b64 exec, exec, s[6:7]
	s_waitcnt lgkmcnt(0)
	; wave barrier
	s_waitcnt lgkmcnt(0)
	buffer_load_dword v2, off, s[0:3], 0 offset:32
	buffer_load_dword v3, off, s[0:3], 0 offset:36
	;; [unrolled: 1-line block ×76, first 2 shown]
	v_mov_b32_e32 v96, 0
	ds_read_b128 v[122:125], v96 offset:368
	buffer_load_dword v220, off, s[0:3], 0 offset:16
	buffer_load_dword v221, off, s[0:3], 0 offset:20
	;; [unrolled: 1-line block ×4, first 2 shown]
	ds_read_b128 v[126:129], v96 offset:384
	ds_read_b128 v[130:133], v96 offset:400
	;; [unrolled: 1-line block ×4, first 2 shown]
	v_cmp_ne_u32_e32 vcc, 0, v119
	s_waitcnt vmcnt(62) lgkmcnt(4)
	v_mul_f64 v[138:139], v[122:123], v[8:9]
	v_fmac_f64_e32 v[138:139], v[124:125], v[2:3]
	v_add_f64 v[138:139], v[138:139], 0
	v_mul_f64 v[8:9], v[124:125], v[8:9]
	s_waitcnt lgkmcnt(3)
	v_mul_f64 v[140:141], v[126:127], v[10:11]
	v_fmac_f64_e32 v[140:141], v[128:129], v[4:5]
	v_add_f64 v[138:139], v[138:139], v[140:141]
	v_fma_f64 v[2:3], v[122:123], v[2:3], -v[8:9]
	s_waitcnt lgkmcnt(2)
	v_mul_f64 v[140:141], v[130:131], v[12:13]
	v_fmac_f64_e32 v[140:141], v[132:133], v[6:7]
	v_add_f64 v[142:143], v[138:139], v[140:141]
	ds_read_b128 v[138:141], v96 offset:432
	s_waitcnt lgkmcnt(2)
	v_mul_f64 v[144:145], v[134:135], v[18:19]
	v_mul_f64 v[8:9], v[128:129], v[10:11]
	v_fmac_f64_e32 v[144:145], v[136:137], v[20:21]
	v_add_f64 v[146:147], v[142:143], v[144:145]
	ds_read_b128 v[142:145], v96 offset:448
	s_waitcnt vmcnt(60) lgkmcnt(1)
	v_mul_f64 v[148:149], v[138:139], v[14:15]
	v_fmac_f64_e32 v[148:149], v[140:141], v[16:17]
	v_add_f64 v[150:151], v[146:147], v[148:149]
	ds_read_b128 v[146:149], v96 offset:464
	s_waitcnt vmcnt(56) lgkmcnt(1)
	v_mul_f64 v[152:153], v[142:143], v[26:27]
	s_waitcnt vmcnt(54)
	v_fmac_f64_e32 v[152:153], v[144:145], v[28:29]
	v_add_f64 v[154:155], v[150:151], v[152:153]
	ds_read_b128 v[150:153], v96 offset:480
	s_waitcnt vmcnt(52) lgkmcnt(1)
	v_mul_f64 v[156:157], v[146:147], v[22:23]
	v_fmac_f64_e32 v[156:157], v[148:149], v[24:25]
	v_add_f64 v[158:159], v[154:155], v[156:157]
	ds_read_b128 v[154:157], v96 offset:496
	s_waitcnt vmcnt(48) lgkmcnt(1)
	v_mul_f64 v[160:161], v[150:151], v[76:77]
	s_waitcnt vmcnt(46)
	v_fmac_f64_e32 v[160:161], v[152:153], v[78:79]
	v_add_f64 v[162:163], v[158:159], v[160:161]
	ds_read_b128 v[158:161], v96 offset:512
	v_add_f64 v[2:3], v[2:3], 0
	v_fma_f64 v[4:5], v[126:127], v[4:5], -v[8:9]
	s_waitcnt vmcnt(44) lgkmcnt(1)
	v_mul_f64 v[164:165], v[154:155], v[30:31]
	v_add_f64 v[2:3], v[2:3], v[4:5]
	v_mul_f64 v[4:5], v[132:133], v[12:13]
	v_fmac_f64_e32 v[164:165], v[156:157], v[32:33]
	v_fma_f64 v[4:5], v[130:131], v[6:7], -v[4:5]
	v_add_f64 v[166:167], v[162:163], v[164:165]
	ds_read_b128 v[162:165], v96 offset:528
	s_waitcnt vmcnt(40) lgkmcnt(1)
	v_mul_f64 v[168:169], v[158:159], v[84:85]
	v_add_f64 v[2:3], v[2:3], v[4:5]
	v_mul_f64 v[4:5], v[136:137], v[18:19]
	s_waitcnt vmcnt(38)
	v_fmac_f64_e32 v[168:169], v[160:161], v[86:87]
	v_fma_f64 v[4:5], v[134:135], v[20:21], -v[4:5]
	v_add_f64 v[170:171], v[166:167], v[168:169]
	ds_read_b128 v[166:169], v96 offset:544
	v_add_f64 v[2:3], v[2:3], v[4:5]
	v_mul_f64 v[4:5], v[140:141], v[14:15]
	v_fma_f64 v[4:5], v[138:139], v[16:17], -v[4:5]
	v_add_f64 v[2:3], v[2:3], v[4:5]
	v_mul_f64 v[4:5], v[144:145], v[26:27]
	s_waitcnt vmcnt(36) lgkmcnt(1)
	v_mul_f64 v[172:173], v[162:163], v[80:81]
	v_fma_f64 v[4:5], v[142:143], v[28:29], -v[4:5]
	v_fmac_f64_e32 v[172:173], v[164:165], v[82:83]
	v_add_f64 v[2:3], v[2:3], v[4:5]
	v_mul_f64 v[4:5], v[148:149], v[22:23]
	v_add_f64 v[174:175], v[170:171], v[172:173]
	ds_read_b128 v[170:173], v96 offset:560
	s_waitcnt vmcnt(32) lgkmcnt(1)
	v_mul_f64 v[176:177], v[166:167], v[92:93]
	v_fma_f64 v[4:5], v[146:147], v[24:25], -v[4:5]
	s_waitcnt vmcnt(30)
	v_fmac_f64_e32 v[176:177], v[168:169], v[94:95]
	v_add_f64 v[2:3], v[2:3], v[4:5]
	v_mul_f64 v[4:5], v[152:153], v[76:77]
	v_add_f64 v[178:179], v[174:175], v[176:177]
	ds_read_b128 v[174:177], v96 offset:576
	v_fma_f64 v[4:5], v[150:151], v[78:79], -v[4:5]
	v_add_f64 v[2:3], v[2:3], v[4:5]
	v_mul_f64 v[4:5], v[156:157], v[30:31]
	v_fma_f64 v[4:5], v[154:155], v[32:33], -v[4:5]
	s_waitcnt vmcnt(28) lgkmcnt(1)
	v_mul_f64 v[180:181], v[170:171], v[88:89]
	v_add_f64 v[2:3], v[2:3], v[4:5]
	v_mul_f64 v[4:5], v[160:161], v[84:85]
	v_fmac_f64_e32 v[180:181], v[172:173], v[90:91]
	v_fma_f64 v[4:5], v[158:159], v[86:87], -v[4:5]
	v_add_f64 v[182:183], v[178:179], v[180:181]
	ds_read_b128 v[178:181], v96 offset:592
	s_waitcnt vmcnt(24) lgkmcnt(1)
	v_mul_f64 v[184:185], v[174:175], v[200:201]
	v_add_f64 v[2:3], v[2:3], v[4:5]
	v_mul_f64 v[4:5], v[164:165], v[80:81]
	s_waitcnt vmcnt(22)
	v_fmac_f64_e32 v[184:185], v[176:177], v[202:203]
	v_fma_f64 v[4:5], v[162:163], v[82:83], -v[4:5]
	v_add_f64 v[186:187], v[182:183], v[184:185]
	ds_read_b128 v[182:185], v96 offset:608
	v_add_f64 v[2:3], v[2:3], v[4:5]
	v_mul_f64 v[4:5], v[168:169], v[92:93]
	v_fma_f64 v[4:5], v[166:167], v[94:95], -v[4:5]
	v_add_f64 v[2:3], v[2:3], v[4:5]
	v_mul_f64 v[4:5], v[172:173], v[88:89]
	s_waitcnt vmcnt(20) lgkmcnt(1)
	v_mul_f64 v[188:189], v[178:179], v[98:99]
	v_fma_f64 v[4:5], v[170:171], v[90:91], -v[4:5]
	v_fmac_f64_e32 v[188:189], v[180:181], v[198:199]
	v_add_f64 v[2:3], v[2:3], v[4:5]
	v_mul_f64 v[4:5], v[176:177], v[200:201]
	v_add_f64 v[190:191], v[186:187], v[188:189]
	ds_read_b128 v[186:189], v96 offset:624
	s_waitcnt vmcnt(16) lgkmcnt(1)
	v_mul_f64 v[192:193], v[182:183], v[208:209]
	v_fma_f64 v[4:5], v[174:175], v[202:203], -v[4:5]
	s_waitcnt vmcnt(14)
	v_fmac_f64_e32 v[192:193], v[184:185], v[210:211]
	v_add_f64 v[2:3], v[2:3], v[4:5]
	v_mul_f64 v[4:5], v[180:181], v[98:99]
	v_add_f64 v[224:225], v[190:191], v[192:193]
	ds_read_b128 v[190:193], v96 offset:640
	v_fma_f64 v[4:5], v[178:179], v[198:199], -v[4:5]
	v_add_f64 v[2:3], v[2:3], v[4:5]
	v_mul_f64 v[4:5], v[184:185], v[208:209]
	v_fma_f64 v[4:5], v[182:183], v[210:211], -v[4:5]
	v_add_f64 v[2:3], v[2:3], v[4:5]
	s_waitcnt vmcnt(12) lgkmcnt(1)
	v_mul_f64 v[4:5], v[188:189], v[204:205]
	v_mul_f64 v[226:227], v[186:187], v[204:205]
	v_fma_f64 v[4:5], v[186:187], v[206:207], -v[4:5]
	v_fmac_f64_e32 v[226:227], v[188:189], v[206:207]
	v_add_f64 v[2:3], v[2:3], v[4:5]
	s_waitcnt vmcnt(8) lgkmcnt(0)
	v_mul_f64 v[4:5], v[192:193], v[216:217]
	v_add_f64 v[224:225], v[224:225], v[226:227]
	v_mul_f64 v[226:227], v[190:191], v[216:217]
	s_waitcnt vmcnt(6)
	v_fma_f64 v[4:5], v[190:191], v[218:219], -v[4:5]
	v_fmac_f64_e32 v[226:227], v[192:193], v[218:219]
	v_add_f64 v[2:3], v[2:3], v[4:5]
	s_waitcnt vmcnt(5)
	v_mul_f64 v[4:5], v[196:197], v[212:213]
	v_add_f64 v[224:225], v[224:225], v[226:227]
	v_mul_f64 v[226:227], v[194:195], v[212:213]
	s_waitcnt vmcnt(4)
	v_fma_f64 v[4:5], v[194:195], v[214:215], -v[4:5]
	v_fmac_f64_e32 v[226:227], v[196:197], v[214:215]
	v_add_f64 v[2:3], v[2:3], v[4:5]
	v_add_f64 v[224:225], v[224:225], v[226:227]
	s_waitcnt vmcnt(2)
	v_add_f64 v[2:3], v[220:221], -v[2:3]
	s_waitcnt vmcnt(0)
	v_add_f64 v[4:5], v[222:223], -v[224:225]
	buffer_store_dword v3, off, s[0:3], 0 offset:20
	buffer_store_dword v2, off, s[0:3], 0 offset:16
	;; [unrolled: 1-line block ×4, first 2 shown]
	s_and_saveexec_b64 s[6:7], vcc
	s_cbranch_execz .LBB84_139
; %bb.138:
	buffer_load_dword v2, off, s[0:3], 0
	buffer_load_dword v3, off, s[0:3], 0 offset:4
	buffer_load_dword v4, off, s[0:3], 0 offset:8
	;; [unrolled: 1-line block ×3, first 2 shown]
	s_nop 0
	buffer_store_dword v96, off, s[0:3], 0
	buffer_store_dword v96, off, s[0:3], 0 offset:4
	buffer_store_dword v96, off, s[0:3], 0 offset:8
	;; [unrolled: 1-line block ×3, first 2 shown]
	s_waitcnt vmcnt(4)
	ds_write_b128 v120, v[2:5]
.LBB84_139:
	s_or_b64 exec, exec, s[6:7]
	s_waitcnt lgkmcnt(0)
	; wave barrier
	s_waitcnt lgkmcnt(0)
	buffer_load_dword v2, off, s[0:3], 0 offset:16
	buffer_load_dword v3, off, s[0:3], 0 offset:20
	;; [unrolled: 1-line block ×76, first 2 shown]
	ds_read_b128 v[120:123], v96 offset:352
	buffer_load_dword v221, off, s[0:3], 0 offset:332
	buffer_load_dword v220, off, s[0:3], 0 offset:328
	;; [unrolled: 1-line block ×4, first 2 shown]
	buffer_load_dword v224, off, s[0:3], 0
	buffer_load_dword v225, off, s[0:3], 0 offset:4
	buffer_load_dword v226, off, s[0:3], 0 offset:8
	;; [unrolled: 1-line block ×3, first 2 shown]
	ds_read_b128 v[124:127], v96 offset:368
	ds_read_b128 v[128:131], v96 offset:384
	;; [unrolled: 1-line block ×3, first 2 shown]
	s_and_b64 vcc, exec, s[18:19]
	s_waitcnt vmcnt(62) lgkmcnt(3)
	v_mul_f64 v[98:99], v[120:121], v[8:9]
	v_fmac_f64_e32 v[98:99], v[122:123], v[2:3]
	v_add_f64 v[98:99], v[98:99], 0
	v_mul_f64 v[8:9], v[122:123], v[8:9]
	s_waitcnt lgkmcnt(2)
	v_mul_f64 v[136:137], v[124:125], v[10:11]
	v_fmac_f64_e32 v[136:137], v[126:127], v[4:5]
	v_add_f64 v[98:99], v[98:99], v[136:137]
	v_fma_f64 v[2:3], v[120:121], v[2:3], -v[8:9]
	s_waitcnt lgkmcnt(1)
	v_mul_f64 v[136:137], v[128:129], v[12:13]
	v_fmac_f64_e32 v[136:137], v[130:131], v[6:7]
	v_add_f64 v[98:99], v[98:99], v[136:137]
	ds_read_b128 v[136:139], v96 offset:416
	v_mul_f64 v[8:9], v[126:127], v[10:11]
	v_add_f64 v[2:3], v[2:3], 0
	s_waitcnt lgkmcnt(1)
	v_mul_f64 v[140:141], v[132:133], v[18:19]
	v_fma_f64 v[4:5], v[124:125], v[4:5], -v[8:9]
	v_fmac_f64_e32 v[140:141], v[134:135], v[20:21]
	v_add_f64 v[98:99], v[98:99], v[140:141]
	ds_read_b128 v[140:143], v96 offset:432
	s_waitcnt lgkmcnt(1)
	v_mul_f64 v[144:145], v[136:137], v[14:15]
	v_fmac_f64_e32 v[144:145], v[138:139], v[16:17]
	v_add_f64 v[98:99], v[98:99], v[144:145]
	ds_read_b128 v[144:147], v96 offset:448
	s_waitcnt vmcnt(58) lgkmcnt(1)
	v_mul_f64 v[148:149], v[140:141], v[26:27]
	s_waitcnt vmcnt(56)
	v_fmac_f64_e32 v[148:149], v[142:143], v[28:29]
	v_add_f64 v[98:99], v[98:99], v[148:149]
	ds_read_b128 v[148:151], v96 offset:464
	s_waitcnt lgkmcnt(1)
	v_mul_f64 v[152:153], v[144:145], v[22:23]
	v_fmac_f64_e32 v[152:153], v[146:147], v[24:25]
	v_add_f64 v[98:99], v[98:99], v[152:153]
	ds_read_b128 v[152:155], v96 offset:480
	s_waitcnt vmcnt(50) lgkmcnt(1)
	v_mul_f64 v[156:157], v[148:149], v[76:77]
	s_waitcnt vmcnt(48)
	v_fmac_f64_e32 v[156:157], v[150:151], v[78:79]
	v_add_f64 v[98:99], v[98:99], v[156:157]
	ds_read_b128 v[156:159], v96 offset:496
	s_waitcnt lgkmcnt(1)
	v_mul_f64 v[160:161], v[152:153], v[30:31]
	v_fmac_f64_e32 v[160:161], v[154:155], v[32:33]
	v_add_f64 v[98:99], v[98:99], v[160:161]
	ds_read_b128 v[160:163], v96 offset:512
	v_add_f64 v[2:3], v[2:3], v[4:5]
	v_mul_f64 v[4:5], v[130:131], v[12:13]
	v_fma_f64 v[4:5], v[128:129], v[6:7], -v[4:5]
	s_waitcnt vmcnt(42) lgkmcnt(1)
	v_mul_f64 v[164:165], v[156:157], v[84:85]
	v_add_f64 v[2:3], v[2:3], v[4:5]
	v_mul_f64 v[4:5], v[134:135], v[18:19]
	s_waitcnt vmcnt(40)
	v_fmac_f64_e32 v[164:165], v[158:159], v[86:87]
	v_fma_f64 v[4:5], v[132:133], v[20:21], -v[4:5]
	v_add_f64 v[98:99], v[98:99], v[164:165]
	ds_read_b128 v[164:167], v96 offset:528
	s_waitcnt lgkmcnt(1)
	v_mul_f64 v[168:169], v[160:161], v[80:81]
	v_add_f64 v[2:3], v[2:3], v[4:5]
	v_mul_f64 v[4:5], v[138:139], v[14:15]
	v_fmac_f64_e32 v[168:169], v[162:163], v[82:83]
	v_fma_f64 v[4:5], v[136:137], v[16:17], -v[4:5]
	v_add_f64 v[98:99], v[98:99], v[168:169]
	ds_read_b128 v[168:171], v96 offset:544
	v_add_f64 v[2:3], v[2:3], v[4:5]
	v_mul_f64 v[4:5], v[142:143], v[26:27]
	v_fma_f64 v[4:5], v[140:141], v[28:29], -v[4:5]
	v_add_f64 v[2:3], v[2:3], v[4:5]
	v_mul_f64 v[4:5], v[146:147], v[22:23]
	s_waitcnt vmcnt(34) lgkmcnt(1)
	v_mul_f64 v[172:173], v[164:165], v[92:93]
	v_fma_f64 v[4:5], v[144:145], v[24:25], -v[4:5]
	s_waitcnt vmcnt(32)
	v_fmac_f64_e32 v[172:173], v[166:167], v[94:95]
	v_add_f64 v[2:3], v[2:3], v[4:5]
	v_mul_f64 v[4:5], v[150:151], v[76:77]
	v_add_f64 v[98:99], v[98:99], v[172:173]
	ds_read_b128 v[172:175], v96 offset:560
	s_waitcnt lgkmcnt(1)
	v_mul_f64 v[176:177], v[168:169], v[88:89]
	v_fma_f64 v[4:5], v[148:149], v[78:79], -v[4:5]
	v_fmac_f64_e32 v[176:177], v[170:171], v[90:91]
	v_add_f64 v[2:3], v[2:3], v[4:5]
	v_mul_f64 v[4:5], v[154:155], v[30:31]
	v_add_f64 v[98:99], v[98:99], v[176:177]
	ds_read_b128 v[176:179], v96 offset:576
	v_fma_f64 v[4:5], v[152:153], v[32:33], -v[4:5]
	v_add_f64 v[2:3], v[2:3], v[4:5]
	v_mul_f64 v[4:5], v[158:159], v[84:85]
	v_fma_f64 v[4:5], v[156:157], v[86:87], -v[4:5]
	s_waitcnt vmcnt(26) lgkmcnt(1)
	v_mul_f64 v[180:181], v[172:173], v[200:201]
	v_add_f64 v[2:3], v[2:3], v[4:5]
	v_mul_f64 v[4:5], v[162:163], v[80:81]
	s_waitcnt vmcnt(24)
	v_fmac_f64_e32 v[180:181], v[174:175], v[202:203]
	v_fma_f64 v[4:5], v[160:161], v[82:83], -v[4:5]
	v_add_f64 v[98:99], v[98:99], v[180:181]
	ds_read_b128 v[180:183], v96 offset:592
	s_waitcnt lgkmcnt(1)
	v_mul_f64 v[184:185], v[176:177], v[196:197]
	v_add_f64 v[2:3], v[2:3], v[4:5]
	v_mul_f64 v[4:5], v[166:167], v[92:93]
	v_fmac_f64_e32 v[184:185], v[178:179], v[198:199]
	v_fma_f64 v[4:5], v[164:165], v[94:95], -v[4:5]
	v_add_f64 v[98:99], v[98:99], v[184:185]
	ds_read_b128 v[184:187], v96 offset:608
	v_add_f64 v[2:3], v[2:3], v[4:5]
	v_mul_f64 v[4:5], v[170:171], v[88:89]
	v_fma_f64 v[4:5], v[168:169], v[90:91], -v[4:5]
	v_add_f64 v[2:3], v[2:3], v[4:5]
	v_mul_f64 v[4:5], v[174:175], v[200:201]
	s_waitcnt vmcnt(18) lgkmcnt(1)
	v_mul_f64 v[188:189], v[180:181], v[208:209]
	v_fma_f64 v[4:5], v[172:173], v[202:203], -v[4:5]
	s_waitcnt vmcnt(16)
	v_fmac_f64_e32 v[188:189], v[182:183], v[210:211]
	v_add_f64 v[2:3], v[2:3], v[4:5]
	v_mul_f64 v[4:5], v[178:179], v[196:197]
	v_add_f64 v[98:99], v[98:99], v[188:189]
	ds_read_b128 v[188:191], v96 offset:624
	s_waitcnt lgkmcnt(1)
	v_mul_f64 v[192:193], v[184:185], v[204:205]
	v_fma_f64 v[4:5], v[176:177], v[198:199], -v[4:5]
	v_fmac_f64_e32 v[192:193], v[186:187], v[206:207]
	v_add_f64 v[2:3], v[2:3], v[4:5]
	v_mul_f64 v[4:5], v[182:183], v[208:209]
	v_add_f64 v[228:229], v[98:99], v[192:193]
	ds_read_b128 v[192:195], v96 offset:640
	v_fma_f64 v[4:5], v[180:181], v[210:211], -v[4:5]
	v_add_f64 v[2:3], v[2:3], v[4:5]
	v_mul_f64 v[4:5], v[186:187], v[204:205]
	ds_read_b128 v[96:99], v96 offset:656
	v_fma_f64 v[4:5], v[184:185], v[206:207], -v[4:5]
	v_add_f64 v[2:3], v[2:3], v[4:5]
	s_waitcnt vmcnt(10) lgkmcnt(2)
	v_mul_f64 v[4:5], v[190:191], v[216:217]
	v_mul_f64 v[230:231], v[188:189], v[216:217]
	s_waitcnt vmcnt(8)
	v_fma_f64 v[4:5], v[188:189], v[218:219], -v[4:5]
	v_fmac_f64_e32 v[230:231], v[190:191], v[218:219]
	v_add_f64 v[2:3], v[2:3], v[4:5]
	s_waitcnt lgkmcnt(1)
	v_mul_f64 v[4:5], v[194:195], v[212:213]
	v_add_f64 v[228:229], v[228:229], v[230:231]
	v_mul_f64 v[230:231], v[192:193], v[212:213]
	v_fma_f64 v[4:5], v[192:193], v[214:215], -v[4:5]
	v_fmac_f64_e32 v[230:231], v[194:195], v[214:215]
	v_add_f64 v[2:3], v[2:3], v[4:5]
	s_waitcnt vmcnt(6) lgkmcnt(0)
	v_mul_f64 v[4:5], v[98:99], v[220:221]
	v_add_f64 v[228:229], v[228:229], v[230:231]
	v_mul_f64 v[230:231], v[96:97], v[220:221]
	s_waitcnt vmcnt(4)
	v_fma_f64 v[4:5], v[96:97], v[222:223], -v[4:5]
	v_fmac_f64_e32 v[230:231], v[98:99], v[222:223]
	v_add_f64 v[2:3], v[2:3], v[4:5]
	v_add_f64 v[228:229], v[228:229], v[230:231]
	s_waitcnt vmcnt(2)
	v_add_f64 v[2:3], v[224:225], -v[2:3]
	s_waitcnt vmcnt(0)
	v_add_f64 v[4:5], v[226:227], -v[228:229]
	buffer_store_dword v3, off, s[0:3], 0 offset:4
	buffer_store_dword v2, off, s[0:3], 0
	buffer_store_dword v5, off, s[0:3], 0 offset:12
	buffer_store_dword v4, off, s[0:3], 0 offset:8
	s_cbranch_vccz .LBB84_181
; %bb.140:
	v_pk_mov_b32 v[2:3], s[16:17], s[16:17] op_sel:[0,1]
	flat_load_dword v2, v[2:3] offset:76
	s_load_dwordx2 s[4:5], s[4:5], 0x4
	v_bfe_u32 v4, v0, 10, 10
	v_bfe_u32 v0, v0, 20, 10
	s_waitcnt lgkmcnt(0)
	s_lshr_b32 s4, s4, 16
	s_mul_i32 s4, s4, s5
	v_mul_u32_u24_e32 v3, s4, v119
	v_mul_u32_u24_e32 v4, s5, v4
	v_add3_u32 v0, v3, v4, v0
	v_mov_b32_e32 v3, 0x2a8
	v_lshl_add_u32 v0, v0, 4, v3
	s_waitcnt vmcnt(0)
	v_add_u32_e32 v2, -1, v2
	v_cmp_ne_u32_e32 vcc, 19, v2
	s_and_saveexec_b64 s[4:5], vcc
	s_cbranch_execz .LBB84_142
; %bb.141:
	v_mov_b32_e32 v3, 0
	v_lshl_add_u32 v6, v2, 4, v3
	buffer_load_dword v2, v100, s[0:3], 0 offen
	buffer_load_dword v3, v100, s[0:3], 0 offen offset:4
	buffer_load_dword v4, v100, s[0:3], 0 offen offset:8
	buffer_load_dword v5, v100, s[0:3], 0 offen offset:12
	buffer_load_dword v7, v6, s[0:3], 0 offen
	buffer_load_dword v8, v6, s[0:3], 0 offen offset:4
	buffer_load_dword v9, v6, s[0:3], 0 offen offset:8
	buffer_load_dword v10, v6, s[0:3], 0 offen offset:12
	s_waitcnt vmcnt(4)
	ds_write2_b64 v0, v[2:3], v[4:5] offset1:1
	s_waitcnt vmcnt(3)
	buffer_store_dword v7, v100, s[0:3], 0 offen
	s_waitcnt vmcnt(3)
	buffer_store_dword v8, v100, s[0:3], 0 offen offset:4
	s_waitcnt vmcnt(3)
	buffer_store_dword v9, v100, s[0:3], 0 offen offset:8
	s_waitcnt vmcnt(3)
	buffer_store_dword v10, v100, s[0:3], 0 offen offset:12
	buffer_store_dword v5, v6, s[0:3], 0 offen offset:12
	buffer_store_dword v4, v6, s[0:3], 0 offen offset:8
	buffer_store_dword v3, v6, s[0:3], 0 offen offset:4
	buffer_store_dword v2, v6, s[0:3], 0 offen
.LBB84_142:
	s_or_b64 exec, exec, s[4:5]
	v_pk_mov_b32 v[2:3], s[16:17], s[16:17] op_sel:[0,1]
	flat_load_dword v2, v[2:3] offset:72
	s_waitcnt vmcnt(0) lgkmcnt(0)
	v_add_u32_e32 v2, -1, v2
	v_cmp_ne_u32_e32 vcc, 18, v2
	s_and_saveexec_b64 s[4:5], vcc
	s_cbranch_execz .LBB84_144
; %bb.143:
	v_mov_b32_e32 v3, 0
	v_lshl_add_u32 v6, v2, 4, v3
	buffer_load_dword v2, v103, s[0:3], 0 offen
	buffer_load_dword v3, v103, s[0:3], 0 offen offset:4
	buffer_load_dword v4, v103, s[0:3], 0 offen offset:8
	buffer_load_dword v5, v103, s[0:3], 0 offen offset:12
	buffer_load_dword v7, v6, s[0:3], 0 offen
	buffer_load_dword v8, v6, s[0:3], 0 offen offset:4
	buffer_load_dword v9, v6, s[0:3], 0 offen offset:8
	buffer_load_dword v10, v6, s[0:3], 0 offen offset:12
	s_waitcnt vmcnt(4)
	ds_write2_b64 v0, v[2:3], v[4:5] offset1:1
	s_waitcnt vmcnt(3)
	buffer_store_dword v7, v103, s[0:3], 0 offen
	s_waitcnt vmcnt(3)
	buffer_store_dword v8, v103, s[0:3], 0 offen offset:4
	s_waitcnt vmcnt(3)
	buffer_store_dword v9, v103, s[0:3], 0 offen offset:8
	s_waitcnt vmcnt(3)
	buffer_store_dword v10, v103, s[0:3], 0 offen offset:12
	buffer_store_dword v5, v6, s[0:3], 0 offen offset:12
	buffer_store_dword v4, v6, s[0:3], 0 offen offset:8
	buffer_store_dword v3, v6, s[0:3], 0 offen offset:4
	buffer_store_dword v2, v6, s[0:3], 0 offen
.LBB84_144:
	s_or_b64 exec, exec, s[4:5]
	v_pk_mov_b32 v[2:3], s[16:17], s[16:17] op_sel:[0,1]
	flat_load_dword v2, v[2:3] offset:68
	s_waitcnt vmcnt(0) lgkmcnt(0)
	v_add_u32_e32 v2, -1, v2
	v_cmp_ne_u32_e32 vcc, 17, v2
	s_and_saveexec_b64 s[4:5], vcc
	s_cbranch_execz .LBB84_146
; %bb.145:
	v_mov_b32_e32 v3, 0
	v_lshl_add_u32 v6, v2, 4, v3
	buffer_load_dword v2, v101, s[0:3], 0 offen
	buffer_load_dword v3, v101, s[0:3], 0 offen offset:4
	buffer_load_dword v4, v101, s[0:3], 0 offen offset:8
	buffer_load_dword v5, v101, s[0:3], 0 offen offset:12
	buffer_load_dword v7, v6, s[0:3], 0 offen
	buffer_load_dword v8, v6, s[0:3], 0 offen offset:4
	buffer_load_dword v9, v6, s[0:3], 0 offen offset:8
	buffer_load_dword v10, v6, s[0:3], 0 offen offset:12
	s_waitcnt vmcnt(4)
	ds_write2_b64 v0, v[2:3], v[4:5] offset1:1
	s_waitcnt vmcnt(3)
	buffer_store_dword v7, v101, s[0:3], 0 offen
	s_waitcnt vmcnt(3)
	buffer_store_dword v8, v101, s[0:3], 0 offen offset:4
	s_waitcnt vmcnt(3)
	buffer_store_dword v9, v101, s[0:3], 0 offen offset:8
	s_waitcnt vmcnt(3)
	buffer_store_dword v10, v101, s[0:3], 0 offen offset:12
	buffer_store_dword v5, v6, s[0:3], 0 offen offset:12
	buffer_store_dword v4, v6, s[0:3], 0 offen offset:8
	buffer_store_dword v3, v6, s[0:3], 0 offen offset:4
	buffer_store_dword v2, v6, s[0:3], 0 offen
.LBB84_146:
	s_or_b64 exec, exec, s[4:5]
	v_pk_mov_b32 v[2:3], s[16:17], s[16:17] op_sel:[0,1]
	flat_load_dword v2, v[2:3] offset:64
	s_waitcnt vmcnt(0) lgkmcnt(0)
	v_add_u32_e32 v2, -1, v2
	v_cmp_ne_u32_e32 vcc, 16, v2
	s_and_saveexec_b64 s[4:5], vcc
	s_cbranch_execz .LBB84_148
; %bb.147:
	v_mov_b32_e32 v3, 0
	v_lshl_add_u32 v6, v2, 4, v3
	buffer_load_dword v2, v102, s[0:3], 0 offen
	buffer_load_dword v3, v102, s[0:3], 0 offen offset:4
	buffer_load_dword v4, v102, s[0:3], 0 offen offset:8
	buffer_load_dword v5, v102, s[0:3], 0 offen offset:12
	buffer_load_dword v7, v6, s[0:3], 0 offen
	buffer_load_dword v8, v6, s[0:3], 0 offen offset:4
	buffer_load_dword v9, v6, s[0:3], 0 offen offset:8
	buffer_load_dword v10, v6, s[0:3], 0 offen offset:12
	s_waitcnt vmcnt(4)
	ds_write2_b64 v0, v[2:3], v[4:5] offset1:1
	s_waitcnt vmcnt(3)
	buffer_store_dword v7, v102, s[0:3], 0 offen
	s_waitcnt vmcnt(3)
	buffer_store_dword v8, v102, s[0:3], 0 offen offset:4
	s_waitcnt vmcnt(3)
	buffer_store_dword v9, v102, s[0:3], 0 offen offset:8
	s_waitcnt vmcnt(3)
	buffer_store_dword v10, v102, s[0:3], 0 offen offset:12
	buffer_store_dword v5, v6, s[0:3], 0 offen offset:12
	buffer_store_dword v4, v6, s[0:3], 0 offen offset:8
	buffer_store_dword v3, v6, s[0:3], 0 offen offset:4
	buffer_store_dword v2, v6, s[0:3], 0 offen
.LBB84_148:
	s_or_b64 exec, exec, s[4:5]
	v_pk_mov_b32 v[2:3], s[16:17], s[16:17] op_sel:[0,1]
	flat_load_dword v2, v[2:3] offset:60
	s_waitcnt vmcnt(0) lgkmcnt(0)
	v_add_u32_e32 v2, -1, v2
	v_cmp_ne_u32_e32 vcc, 15, v2
	s_and_saveexec_b64 s[4:5], vcc
	s_cbranch_execz .LBB84_150
; %bb.149:
	v_mov_b32_e32 v3, 0
	v_lshl_add_u32 v6, v2, 4, v3
	buffer_load_dword v2, v106, s[0:3], 0 offen
	buffer_load_dword v3, v106, s[0:3], 0 offen offset:4
	buffer_load_dword v4, v106, s[0:3], 0 offen offset:8
	buffer_load_dword v5, v106, s[0:3], 0 offen offset:12
	buffer_load_dword v7, v6, s[0:3], 0 offen
	buffer_load_dword v8, v6, s[0:3], 0 offen offset:4
	buffer_load_dword v9, v6, s[0:3], 0 offen offset:8
	buffer_load_dword v10, v6, s[0:3], 0 offen offset:12
	s_waitcnt vmcnt(4)
	ds_write2_b64 v0, v[2:3], v[4:5] offset1:1
	s_waitcnt vmcnt(3)
	buffer_store_dword v7, v106, s[0:3], 0 offen
	s_waitcnt vmcnt(3)
	buffer_store_dword v8, v106, s[0:3], 0 offen offset:4
	s_waitcnt vmcnt(3)
	buffer_store_dword v9, v106, s[0:3], 0 offen offset:8
	s_waitcnt vmcnt(3)
	buffer_store_dword v10, v106, s[0:3], 0 offen offset:12
	buffer_store_dword v5, v6, s[0:3], 0 offen offset:12
	buffer_store_dword v4, v6, s[0:3], 0 offen offset:8
	buffer_store_dword v3, v6, s[0:3], 0 offen offset:4
	buffer_store_dword v2, v6, s[0:3], 0 offen
.LBB84_150:
	s_or_b64 exec, exec, s[4:5]
	v_pk_mov_b32 v[2:3], s[16:17], s[16:17] op_sel:[0,1]
	flat_load_dword v2, v[2:3] offset:56
	s_waitcnt vmcnt(0) lgkmcnt(0)
	v_add_u32_e32 v2, -1, v2
	v_cmp_ne_u32_e32 vcc, 14, v2
	s_and_saveexec_b64 s[4:5], vcc
	s_cbranch_execz .LBB84_152
; %bb.151:
	v_mov_b32_e32 v3, 0
	v_lshl_add_u32 v6, v2, 4, v3
	buffer_load_dword v2, v107, s[0:3], 0 offen
	buffer_load_dword v3, v107, s[0:3], 0 offen offset:4
	buffer_load_dword v4, v107, s[0:3], 0 offen offset:8
	buffer_load_dword v5, v107, s[0:3], 0 offen offset:12
	buffer_load_dword v7, v6, s[0:3], 0 offen
	buffer_load_dword v8, v6, s[0:3], 0 offen offset:4
	buffer_load_dword v9, v6, s[0:3], 0 offen offset:8
	buffer_load_dword v10, v6, s[0:3], 0 offen offset:12
	s_waitcnt vmcnt(4)
	ds_write2_b64 v0, v[2:3], v[4:5] offset1:1
	s_waitcnt vmcnt(3)
	buffer_store_dword v7, v107, s[0:3], 0 offen
	s_waitcnt vmcnt(3)
	buffer_store_dword v8, v107, s[0:3], 0 offen offset:4
	s_waitcnt vmcnt(3)
	buffer_store_dword v9, v107, s[0:3], 0 offen offset:8
	s_waitcnt vmcnt(3)
	buffer_store_dword v10, v107, s[0:3], 0 offen offset:12
	buffer_store_dword v5, v6, s[0:3], 0 offen offset:12
	buffer_store_dword v4, v6, s[0:3], 0 offen offset:8
	buffer_store_dword v3, v6, s[0:3], 0 offen offset:4
	buffer_store_dword v2, v6, s[0:3], 0 offen
.LBB84_152:
	s_or_b64 exec, exec, s[4:5]
	v_pk_mov_b32 v[2:3], s[16:17], s[16:17] op_sel:[0,1]
	flat_load_dword v2, v[2:3] offset:52
	s_waitcnt vmcnt(0) lgkmcnt(0)
	v_add_u32_e32 v2, -1, v2
	v_cmp_ne_u32_e32 vcc, 13, v2
	s_and_saveexec_b64 s[4:5], vcc
	s_cbranch_execz .LBB84_154
; %bb.153:
	v_mov_b32_e32 v3, 0
	v_lshl_add_u32 v6, v2, 4, v3
	buffer_load_dword v2, v105, s[0:3], 0 offen
	buffer_load_dword v3, v105, s[0:3], 0 offen offset:4
	buffer_load_dword v4, v105, s[0:3], 0 offen offset:8
	buffer_load_dword v5, v105, s[0:3], 0 offen offset:12
	buffer_load_dword v7, v6, s[0:3], 0 offen
	buffer_load_dword v8, v6, s[0:3], 0 offen offset:4
	buffer_load_dword v9, v6, s[0:3], 0 offen offset:8
	buffer_load_dword v10, v6, s[0:3], 0 offen offset:12
	s_waitcnt vmcnt(4)
	ds_write2_b64 v0, v[2:3], v[4:5] offset1:1
	s_waitcnt vmcnt(3)
	buffer_store_dword v7, v105, s[0:3], 0 offen
	s_waitcnt vmcnt(3)
	buffer_store_dword v8, v105, s[0:3], 0 offen offset:4
	s_waitcnt vmcnt(3)
	buffer_store_dword v9, v105, s[0:3], 0 offen offset:8
	s_waitcnt vmcnt(3)
	buffer_store_dword v10, v105, s[0:3], 0 offen offset:12
	buffer_store_dword v5, v6, s[0:3], 0 offen offset:12
	buffer_store_dword v4, v6, s[0:3], 0 offen offset:8
	buffer_store_dword v3, v6, s[0:3], 0 offen offset:4
	buffer_store_dword v2, v6, s[0:3], 0 offen
.LBB84_154:
	s_or_b64 exec, exec, s[4:5]
	v_pk_mov_b32 v[2:3], s[16:17], s[16:17] op_sel:[0,1]
	flat_load_dword v2, v[2:3] offset:48
	s_waitcnt vmcnt(0) lgkmcnt(0)
	v_add_u32_e32 v2, -1, v2
	v_cmp_ne_u32_e32 vcc, 12, v2
	s_and_saveexec_b64 s[4:5], vcc
	s_cbranch_execz .LBB84_156
; %bb.155:
	v_mov_b32_e32 v3, 0
	v_lshl_add_u32 v6, v2, 4, v3
	buffer_load_dword v2, v104, s[0:3], 0 offen
	buffer_load_dword v3, v104, s[0:3], 0 offen offset:4
	buffer_load_dword v4, v104, s[0:3], 0 offen offset:8
	buffer_load_dword v5, v104, s[0:3], 0 offen offset:12
	buffer_load_dword v7, v6, s[0:3], 0 offen
	buffer_load_dword v8, v6, s[0:3], 0 offen offset:4
	buffer_load_dword v9, v6, s[0:3], 0 offen offset:8
	buffer_load_dword v10, v6, s[0:3], 0 offen offset:12
	s_waitcnt vmcnt(4)
	ds_write2_b64 v0, v[2:3], v[4:5] offset1:1
	s_waitcnt vmcnt(3)
	buffer_store_dword v7, v104, s[0:3], 0 offen
	s_waitcnt vmcnt(3)
	buffer_store_dword v8, v104, s[0:3], 0 offen offset:4
	s_waitcnt vmcnt(3)
	buffer_store_dword v9, v104, s[0:3], 0 offen offset:8
	s_waitcnt vmcnt(3)
	buffer_store_dword v10, v104, s[0:3], 0 offen offset:12
	buffer_store_dword v5, v6, s[0:3], 0 offen offset:12
	buffer_store_dword v4, v6, s[0:3], 0 offen offset:8
	buffer_store_dword v3, v6, s[0:3], 0 offen offset:4
	buffer_store_dword v2, v6, s[0:3], 0 offen
.LBB84_156:
	s_or_b64 exec, exec, s[4:5]
	v_pk_mov_b32 v[2:3], s[16:17], s[16:17] op_sel:[0,1]
	flat_load_dword v2, v[2:3] offset:44
	s_waitcnt vmcnt(0) lgkmcnt(0)
	v_add_u32_e32 v2, -1, v2
	v_cmp_ne_u32_e32 vcc, 11, v2
	s_and_saveexec_b64 s[4:5], vcc
	s_cbranch_execz .LBB84_158
; %bb.157:
	v_mov_b32_e32 v3, 0
	v_lshl_add_u32 v6, v2, 4, v3
	buffer_load_dword v2, v111, s[0:3], 0 offen
	buffer_load_dword v3, v111, s[0:3], 0 offen offset:4
	buffer_load_dword v4, v111, s[0:3], 0 offen offset:8
	buffer_load_dword v5, v111, s[0:3], 0 offen offset:12
	buffer_load_dword v7, v6, s[0:3], 0 offen
	buffer_load_dword v8, v6, s[0:3], 0 offen offset:4
	buffer_load_dword v9, v6, s[0:3], 0 offen offset:8
	buffer_load_dword v10, v6, s[0:3], 0 offen offset:12
	s_waitcnt vmcnt(4)
	ds_write2_b64 v0, v[2:3], v[4:5] offset1:1
	s_waitcnt vmcnt(3)
	buffer_store_dword v7, v111, s[0:3], 0 offen
	s_waitcnt vmcnt(3)
	buffer_store_dword v8, v111, s[0:3], 0 offen offset:4
	s_waitcnt vmcnt(3)
	buffer_store_dword v9, v111, s[0:3], 0 offen offset:8
	s_waitcnt vmcnt(3)
	buffer_store_dword v10, v111, s[0:3], 0 offen offset:12
	buffer_store_dword v5, v6, s[0:3], 0 offen offset:12
	buffer_store_dword v4, v6, s[0:3], 0 offen offset:8
	buffer_store_dword v3, v6, s[0:3], 0 offen offset:4
	buffer_store_dword v2, v6, s[0:3], 0 offen
.LBB84_158:
	s_or_b64 exec, exec, s[4:5]
	v_pk_mov_b32 v[2:3], s[16:17], s[16:17] op_sel:[0,1]
	flat_load_dword v2, v[2:3] offset:40
	s_waitcnt vmcnt(0) lgkmcnt(0)
	v_add_u32_e32 v2, -1, v2
	v_cmp_ne_u32_e32 vcc, 10, v2
	s_and_saveexec_b64 s[4:5], vcc
	s_cbranch_execz .LBB84_160
; %bb.159:
	v_mov_b32_e32 v3, 0
	v_lshl_add_u32 v6, v2, 4, v3
	buffer_load_dword v2, v109, s[0:3], 0 offen
	buffer_load_dword v3, v109, s[0:3], 0 offen offset:4
	buffer_load_dword v4, v109, s[0:3], 0 offen offset:8
	buffer_load_dword v5, v109, s[0:3], 0 offen offset:12
	buffer_load_dword v7, v6, s[0:3], 0 offen
	buffer_load_dword v8, v6, s[0:3], 0 offen offset:4
	buffer_load_dword v9, v6, s[0:3], 0 offen offset:8
	buffer_load_dword v10, v6, s[0:3], 0 offen offset:12
	s_waitcnt vmcnt(4)
	ds_write2_b64 v0, v[2:3], v[4:5] offset1:1
	s_waitcnt vmcnt(3)
	buffer_store_dword v7, v109, s[0:3], 0 offen
	s_waitcnt vmcnt(3)
	buffer_store_dword v8, v109, s[0:3], 0 offen offset:4
	s_waitcnt vmcnt(3)
	buffer_store_dword v9, v109, s[0:3], 0 offen offset:8
	s_waitcnt vmcnt(3)
	buffer_store_dword v10, v109, s[0:3], 0 offen offset:12
	buffer_store_dword v5, v6, s[0:3], 0 offen offset:12
	buffer_store_dword v4, v6, s[0:3], 0 offen offset:8
	buffer_store_dword v3, v6, s[0:3], 0 offen offset:4
	buffer_store_dword v2, v6, s[0:3], 0 offen
.LBB84_160:
	s_or_b64 exec, exec, s[4:5]
	v_pk_mov_b32 v[2:3], s[16:17], s[16:17] op_sel:[0,1]
	flat_load_dword v2, v[2:3] offset:36
	s_waitcnt vmcnt(0) lgkmcnt(0)
	v_add_u32_e32 v2, -1, v2
	v_cmp_ne_u32_e32 vcc, 9, v2
	s_and_saveexec_b64 s[4:5], vcc
	s_cbranch_execz .LBB84_162
; %bb.161:
	v_mov_b32_e32 v3, 0
	v_lshl_add_u32 v6, v2, 4, v3
	buffer_load_dword v2, v110, s[0:3], 0 offen
	buffer_load_dword v3, v110, s[0:3], 0 offen offset:4
	buffer_load_dword v4, v110, s[0:3], 0 offen offset:8
	buffer_load_dword v5, v110, s[0:3], 0 offen offset:12
	buffer_load_dword v7, v6, s[0:3], 0 offen
	buffer_load_dword v8, v6, s[0:3], 0 offen offset:4
	buffer_load_dword v9, v6, s[0:3], 0 offen offset:8
	buffer_load_dword v10, v6, s[0:3], 0 offen offset:12
	s_waitcnt vmcnt(4)
	ds_write2_b64 v0, v[2:3], v[4:5] offset1:1
	s_waitcnt vmcnt(3)
	buffer_store_dword v7, v110, s[0:3], 0 offen
	s_waitcnt vmcnt(3)
	buffer_store_dword v8, v110, s[0:3], 0 offen offset:4
	s_waitcnt vmcnt(3)
	buffer_store_dword v9, v110, s[0:3], 0 offen offset:8
	s_waitcnt vmcnt(3)
	buffer_store_dword v10, v110, s[0:3], 0 offen offset:12
	buffer_store_dword v5, v6, s[0:3], 0 offen offset:12
	buffer_store_dword v4, v6, s[0:3], 0 offen offset:8
	buffer_store_dword v3, v6, s[0:3], 0 offen offset:4
	buffer_store_dword v2, v6, s[0:3], 0 offen
.LBB84_162:
	s_or_b64 exec, exec, s[4:5]
	v_pk_mov_b32 v[2:3], s[16:17], s[16:17] op_sel:[0,1]
	flat_load_dword v2, v[2:3] offset:32
	s_waitcnt vmcnt(0) lgkmcnt(0)
	v_add_u32_e32 v2, -1, v2
	v_cmp_ne_u32_e32 vcc, 8, v2
	s_and_saveexec_b64 s[4:5], vcc
	s_cbranch_execz .LBB84_164
; %bb.163:
	v_mov_b32_e32 v3, 0
	v_lshl_add_u32 v6, v2, 4, v3
	buffer_load_dword v2, v108, s[0:3], 0 offen
	buffer_load_dword v3, v108, s[0:3], 0 offen offset:4
	buffer_load_dword v4, v108, s[0:3], 0 offen offset:8
	buffer_load_dword v5, v108, s[0:3], 0 offen offset:12
	buffer_load_dword v7, v6, s[0:3], 0 offen
	buffer_load_dword v8, v6, s[0:3], 0 offen offset:4
	buffer_load_dword v9, v6, s[0:3], 0 offen offset:8
	buffer_load_dword v10, v6, s[0:3], 0 offen offset:12
	s_waitcnt vmcnt(4)
	ds_write2_b64 v0, v[2:3], v[4:5] offset1:1
	s_waitcnt vmcnt(3)
	buffer_store_dword v7, v108, s[0:3], 0 offen
	s_waitcnt vmcnt(3)
	buffer_store_dword v8, v108, s[0:3], 0 offen offset:4
	s_waitcnt vmcnt(3)
	buffer_store_dword v9, v108, s[0:3], 0 offen offset:8
	s_waitcnt vmcnt(3)
	buffer_store_dword v10, v108, s[0:3], 0 offen offset:12
	buffer_store_dword v5, v6, s[0:3], 0 offen offset:12
	buffer_store_dword v4, v6, s[0:3], 0 offen offset:8
	buffer_store_dword v3, v6, s[0:3], 0 offen offset:4
	buffer_store_dword v2, v6, s[0:3], 0 offen
.LBB84_164:
	s_or_b64 exec, exec, s[4:5]
	v_pk_mov_b32 v[2:3], s[16:17], s[16:17] op_sel:[0,1]
	flat_load_dword v2, v[2:3] offset:28
	s_waitcnt vmcnt(0) lgkmcnt(0)
	v_add_u32_e32 v2, -1, v2
	v_cmp_ne_u32_e32 vcc, 7, v2
	s_and_saveexec_b64 s[4:5], vcc
	s_cbranch_execz .LBB84_166
; %bb.165:
	v_mov_b32_e32 v3, 0
	v_lshl_add_u32 v6, v2, 4, v3
	buffer_load_dword v2, v115, s[0:3], 0 offen
	buffer_load_dword v3, v115, s[0:3], 0 offen offset:4
	buffer_load_dword v4, v115, s[0:3], 0 offen offset:8
	buffer_load_dword v5, v115, s[0:3], 0 offen offset:12
	buffer_load_dword v7, v6, s[0:3], 0 offen
	buffer_load_dword v8, v6, s[0:3], 0 offen offset:4
	buffer_load_dword v9, v6, s[0:3], 0 offen offset:8
	buffer_load_dword v10, v6, s[0:3], 0 offen offset:12
	s_waitcnt vmcnt(4)
	ds_write2_b64 v0, v[2:3], v[4:5] offset1:1
	s_waitcnt vmcnt(3)
	buffer_store_dword v7, v115, s[0:3], 0 offen
	s_waitcnt vmcnt(3)
	buffer_store_dword v8, v115, s[0:3], 0 offen offset:4
	s_waitcnt vmcnt(3)
	buffer_store_dword v9, v115, s[0:3], 0 offen offset:8
	s_waitcnt vmcnt(3)
	buffer_store_dword v10, v115, s[0:3], 0 offen offset:12
	buffer_store_dword v5, v6, s[0:3], 0 offen offset:12
	buffer_store_dword v4, v6, s[0:3], 0 offen offset:8
	buffer_store_dword v3, v6, s[0:3], 0 offen offset:4
	buffer_store_dword v2, v6, s[0:3], 0 offen
.LBB84_166:
	s_or_b64 exec, exec, s[4:5]
	v_pk_mov_b32 v[2:3], s[16:17], s[16:17] op_sel:[0,1]
	flat_load_dword v2, v[2:3] offset:24
	s_waitcnt vmcnt(0) lgkmcnt(0)
	v_add_u32_e32 v2, -1, v2
	v_cmp_ne_u32_e32 vcc, 6, v2
	s_and_saveexec_b64 s[4:5], vcc
	s_cbranch_execz .LBB84_168
; %bb.167:
	v_mov_b32_e32 v3, 0
	v_lshl_add_u32 v6, v2, 4, v3
	buffer_load_dword v2, v114, s[0:3], 0 offen
	buffer_load_dword v3, v114, s[0:3], 0 offen offset:4
	buffer_load_dword v4, v114, s[0:3], 0 offen offset:8
	buffer_load_dword v5, v114, s[0:3], 0 offen offset:12
	buffer_load_dword v7, v6, s[0:3], 0 offen
	buffer_load_dword v8, v6, s[0:3], 0 offen offset:4
	buffer_load_dword v9, v6, s[0:3], 0 offen offset:8
	buffer_load_dword v10, v6, s[0:3], 0 offen offset:12
	s_waitcnt vmcnt(4)
	ds_write2_b64 v0, v[2:3], v[4:5] offset1:1
	s_waitcnt vmcnt(3)
	buffer_store_dword v7, v114, s[0:3], 0 offen
	s_waitcnt vmcnt(3)
	buffer_store_dword v8, v114, s[0:3], 0 offen offset:4
	s_waitcnt vmcnt(3)
	buffer_store_dword v9, v114, s[0:3], 0 offen offset:8
	s_waitcnt vmcnt(3)
	buffer_store_dword v10, v114, s[0:3], 0 offen offset:12
	buffer_store_dword v5, v6, s[0:3], 0 offen offset:12
	buffer_store_dword v4, v6, s[0:3], 0 offen offset:8
	buffer_store_dword v3, v6, s[0:3], 0 offen offset:4
	buffer_store_dword v2, v6, s[0:3], 0 offen
.LBB84_168:
	s_or_b64 exec, exec, s[4:5]
	v_pk_mov_b32 v[2:3], s[16:17], s[16:17] op_sel:[0,1]
	flat_load_dword v2, v[2:3] offset:20
	s_waitcnt vmcnt(0) lgkmcnt(0)
	v_add_u32_e32 v2, -1, v2
	v_cmp_ne_u32_e32 vcc, 5, v2
	s_and_saveexec_b64 s[4:5], vcc
	s_cbranch_execz .LBB84_170
; %bb.169:
	v_mov_b32_e32 v3, 0
	v_lshl_add_u32 v6, v2, 4, v3
	buffer_load_dword v2, v112, s[0:3], 0 offen
	buffer_load_dword v3, v112, s[0:3], 0 offen offset:4
	buffer_load_dword v4, v112, s[0:3], 0 offen offset:8
	buffer_load_dword v5, v112, s[0:3], 0 offen offset:12
	buffer_load_dword v7, v6, s[0:3], 0 offen
	buffer_load_dword v8, v6, s[0:3], 0 offen offset:4
	buffer_load_dword v9, v6, s[0:3], 0 offen offset:8
	buffer_load_dword v10, v6, s[0:3], 0 offen offset:12
	s_waitcnt vmcnt(4)
	ds_write2_b64 v0, v[2:3], v[4:5] offset1:1
	s_waitcnt vmcnt(3)
	buffer_store_dword v7, v112, s[0:3], 0 offen
	s_waitcnt vmcnt(3)
	buffer_store_dword v8, v112, s[0:3], 0 offen offset:4
	s_waitcnt vmcnt(3)
	buffer_store_dword v9, v112, s[0:3], 0 offen offset:8
	s_waitcnt vmcnt(3)
	buffer_store_dword v10, v112, s[0:3], 0 offen offset:12
	buffer_store_dword v5, v6, s[0:3], 0 offen offset:12
	buffer_store_dword v4, v6, s[0:3], 0 offen offset:8
	buffer_store_dword v3, v6, s[0:3], 0 offen offset:4
	buffer_store_dword v2, v6, s[0:3], 0 offen
.LBB84_170:
	s_or_b64 exec, exec, s[4:5]
	v_pk_mov_b32 v[2:3], s[16:17], s[16:17] op_sel:[0,1]
	flat_load_dword v2, v[2:3] offset:16
	s_waitcnt vmcnt(0) lgkmcnt(0)
	v_add_u32_e32 v2, -1, v2
	v_cmp_ne_u32_e32 vcc, 4, v2
	s_and_saveexec_b64 s[4:5], vcc
	s_cbranch_execz .LBB84_172
; %bb.171:
	v_mov_b32_e32 v3, 0
	v_lshl_add_u32 v6, v2, 4, v3
	buffer_load_dword v2, v113, s[0:3], 0 offen
	buffer_load_dword v3, v113, s[0:3], 0 offen offset:4
	buffer_load_dword v4, v113, s[0:3], 0 offen offset:8
	buffer_load_dword v5, v113, s[0:3], 0 offen offset:12
	buffer_load_dword v7, v6, s[0:3], 0 offen
	buffer_load_dword v8, v6, s[0:3], 0 offen offset:4
	buffer_load_dword v9, v6, s[0:3], 0 offen offset:8
	buffer_load_dword v10, v6, s[0:3], 0 offen offset:12
	s_waitcnt vmcnt(4)
	ds_write2_b64 v0, v[2:3], v[4:5] offset1:1
	s_waitcnt vmcnt(3)
	buffer_store_dword v7, v113, s[0:3], 0 offen
	s_waitcnt vmcnt(3)
	buffer_store_dword v8, v113, s[0:3], 0 offen offset:4
	s_waitcnt vmcnt(3)
	buffer_store_dword v9, v113, s[0:3], 0 offen offset:8
	s_waitcnt vmcnt(3)
	buffer_store_dword v10, v113, s[0:3], 0 offen offset:12
	buffer_store_dword v5, v6, s[0:3], 0 offen offset:12
	buffer_store_dword v4, v6, s[0:3], 0 offen offset:8
	buffer_store_dword v3, v6, s[0:3], 0 offen offset:4
	buffer_store_dword v2, v6, s[0:3], 0 offen
.LBB84_172:
	s_or_b64 exec, exec, s[4:5]
	v_pk_mov_b32 v[2:3], s[16:17], s[16:17] op_sel:[0,1]
	flat_load_dword v2, v[2:3] offset:12
	s_waitcnt vmcnt(0) lgkmcnt(0)
	v_add_u32_e32 v2, -1, v2
	v_cmp_ne_u32_e32 vcc, 3, v2
	s_and_saveexec_b64 s[4:5], vcc
	s_cbranch_execz .LBB84_174
; %bb.173:
	v_mov_b32_e32 v3, 0
	v_lshl_add_u32 v6, v2, 4, v3
	buffer_load_dword v2, v117, s[0:3], 0 offen
	buffer_load_dword v3, v117, s[0:3], 0 offen offset:4
	buffer_load_dword v4, v117, s[0:3], 0 offen offset:8
	buffer_load_dword v5, v117, s[0:3], 0 offen offset:12
	buffer_load_dword v7, v6, s[0:3], 0 offen
	buffer_load_dword v8, v6, s[0:3], 0 offen offset:4
	buffer_load_dword v9, v6, s[0:3], 0 offen offset:8
	buffer_load_dword v10, v6, s[0:3], 0 offen offset:12
	s_waitcnt vmcnt(4)
	ds_write2_b64 v0, v[2:3], v[4:5] offset1:1
	s_waitcnt vmcnt(3)
	buffer_store_dword v7, v117, s[0:3], 0 offen
	s_waitcnt vmcnt(3)
	buffer_store_dword v8, v117, s[0:3], 0 offen offset:4
	s_waitcnt vmcnt(3)
	buffer_store_dword v9, v117, s[0:3], 0 offen offset:8
	s_waitcnt vmcnt(3)
	buffer_store_dword v10, v117, s[0:3], 0 offen offset:12
	buffer_store_dword v5, v6, s[0:3], 0 offen offset:12
	buffer_store_dword v4, v6, s[0:3], 0 offen offset:8
	buffer_store_dword v3, v6, s[0:3], 0 offen offset:4
	buffer_store_dword v2, v6, s[0:3], 0 offen
.LBB84_174:
	s_or_b64 exec, exec, s[4:5]
	v_pk_mov_b32 v[2:3], s[16:17], s[16:17] op_sel:[0,1]
	flat_load_dword v2, v[2:3] offset:8
	s_waitcnt vmcnt(0) lgkmcnt(0)
	v_add_u32_e32 v2, -1, v2
	v_cmp_ne_u32_e32 vcc, 2, v2
	s_and_saveexec_b64 s[4:5], vcc
	s_cbranch_execz .LBB84_176
; %bb.175:
	v_mov_b32_e32 v3, 0
	v_lshl_add_u32 v6, v2, 4, v3
	buffer_load_dword v2, v118, s[0:3], 0 offen
	buffer_load_dword v3, v118, s[0:3], 0 offen offset:4
	buffer_load_dword v4, v118, s[0:3], 0 offen offset:8
	buffer_load_dword v5, v118, s[0:3], 0 offen offset:12
	buffer_load_dword v7, v6, s[0:3], 0 offen
	buffer_load_dword v8, v6, s[0:3], 0 offen offset:4
	buffer_load_dword v9, v6, s[0:3], 0 offen offset:8
	buffer_load_dword v10, v6, s[0:3], 0 offen offset:12
	s_waitcnt vmcnt(4)
	ds_write2_b64 v0, v[2:3], v[4:5] offset1:1
	s_waitcnt vmcnt(3)
	buffer_store_dword v7, v118, s[0:3], 0 offen
	s_waitcnt vmcnt(3)
	buffer_store_dword v8, v118, s[0:3], 0 offen offset:4
	s_waitcnt vmcnt(3)
	buffer_store_dword v9, v118, s[0:3], 0 offen offset:8
	s_waitcnt vmcnt(3)
	buffer_store_dword v10, v118, s[0:3], 0 offen offset:12
	buffer_store_dword v5, v6, s[0:3], 0 offen offset:12
	buffer_store_dword v4, v6, s[0:3], 0 offen offset:8
	buffer_store_dword v3, v6, s[0:3], 0 offen offset:4
	buffer_store_dword v2, v6, s[0:3], 0 offen
.LBB84_176:
	s_or_b64 exec, exec, s[4:5]
	v_pk_mov_b32 v[2:3], s[16:17], s[16:17] op_sel:[0,1]
	flat_load_dword v2, v[2:3] offset:4
	s_waitcnt vmcnt(0) lgkmcnt(0)
	v_add_u32_e32 v2, -1, v2
	v_cmp_ne_u32_e32 vcc, 1, v2
	s_and_saveexec_b64 s[4:5], vcc
	s_cbranch_execz .LBB84_178
; %bb.177:
	v_mov_b32_e32 v3, 0
	v_lshl_add_u32 v6, v2, 4, v3
	buffer_load_dword v2, v116, s[0:3], 0 offen
	buffer_load_dword v3, v116, s[0:3], 0 offen offset:4
	buffer_load_dword v4, v116, s[0:3], 0 offen offset:8
	;; [unrolled: 1-line block ×3, first 2 shown]
	buffer_load_dword v7, v6, s[0:3], 0 offen
	buffer_load_dword v8, v6, s[0:3], 0 offen offset:4
	buffer_load_dword v9, v6, s[0:3], 0 offen offset:8
	;; [unrolled: 1-line block ×3, first 2 shown]
	s_waitcnt vmcnt(4)
	ds_write2_b64 v0, v[2:3], v[4:5] offset1:1
	s_waitcnt vmcnt(3)
	buffer_store_dword v7, v116, s[0:3], 0 offen
	s_waitcnt vmcnt(3)
	buffer_store_dword v8, v116, s[0:3], 0 offen offset:4
	s_waitcnt vmcnt(3)
	buffer_store_dword v9, v116, s[0:3], 0 offen offset:8
	;; [unrolled: 2-line block ×3, first 2 shown]
	buffer_store_dword v5, v6, s[0:3], 0 offen offset:12
	buffer_store_dword v4, v6, s[0:3], 0 offen offset:8
	;; [unrolled: 1-line block ×3, first 2 shown]
	buffer_store_dword v2, v6, s[0:3], 0 offen
.LBB84_178:
	s_or_b64 exec, exec, s[4:5]
	v_pk_mov_b32 v[2:3], s[16:17], s[16:17] op_sel:[0,1]
	flat_load_dword v2, v[2:3]
	s_waitcnt vmcnt(0) lgkmcnt(0)
	v_add_u32_e32 v2, -1, v2
	v_cmp_ne_u32_e32 vcc, 0, v2
	s_and_saveexec_b64 s[4:5], vcc
	s_cbranch_execz .LBB84_180
; %bb.179:
	v_mov_b32_e32 v3, 0
	v_lshl_add_u32 v6, v2, 4, v3
	buffer_load_dword v2, off, s[0:3], 0
	buffer_load_dword v3, off, s[0:3], 0 offset:4
	buffer_load_dword v4, off, s[0:3], 0 offset:8
	;; [unrolled: 1-line block ×3, first 2 shown]
	buffer_load_dword v7, v6, s[0:3], 0 offen
	buffer_load_dword v8, v6, s[0:3], 0 offen offset:4
	buffer_load_dword v9, v6, s[0:3], 0 offen offset:8
	;; [unrolled: 1-line block ×3, first 2 shown]
	s_waitcnt vmcnt(4)
	ds_write2_b64 v0, v[2:3], v[4:5] offset1:1
	s_waitcnt vmcnt(3)
	buffer_store_dword v7, off, s[0:3], 0
	s_waitcnt vmcnt(3)
	buffer_store_dword v8, off, s[0:3], 0 offset:4
	s_waitcnt vmcnt(3)
	buffer_store_dword v9, off, s[0:3], 0 offset:8
	;; [unrolled: 2-line block ×3, first 2 shown]
	buffer_store_dword v5, v6, s[0:3], 0 offen offset:12
	buffer_store_dword v4, v6, s[0:3], 0 offen offset:8
	;; [unrolled: 1-line block ×3, first 2 shown]
	buffer_store_dword v2, v6, s[0:3], 0 offen
.LBB84_180:
	s_or_b64 exec, exec, s[4:5]
.LBB84_181:
	buffer_load_dword v2, off, s[0:3], 0
	buffer_load_dword v3, off, s[0:3], 0 offset:4
	buffer_load_dword v4, off, s[0:3], 0 offset:8
	;; [unrolled: 1-line block ×3, first 2 shown]
	buffer_load_dword v6, v116, s[0:3], 0 offen
	buffer_load_dword v7, v116, s[0:3], 0 offen offset:4
	buffer_load_dword v8, v116, s[0:3], 0 offen offset:8
	;; [unrolled: 1-line block ×6, first 2 shown]
	buffer_load_dword v14, v117, s[0:3], 0 offen
	buffer_load_dword v15, v117, s[0:3], 0 offen offset:4
	buffer_load_dword v16, v117, s[0:3], 0 offen offset:8
	buffer_load_dword v10, v118, s[0:3], 0 offen
	buffer_load_dword v17, v117, s[0:3], 0 offen offset:12
	buffer_load_dword v19, v113, s[0:3], 0 offen offset:4
	;; [unrolled: 1-line block ×4, first 2 shown]
                                        ; kill: killed $vgpr118
                                        ; kill: killed $vgpr116
                                        ; kill: killed $vgpr117
	buffer_load_dword v22, v112, s[0:3], 0 offen
	buffer_load_dword v23, v112, s[0:3], 0 offen offset:4
	buffer_load_dword v24, v112, s[0:3], 0 offen offset:8
	buffer_load_dword v18, v113, s[0:3], 0 offen
	buffer_load_dword v25, v112, s[0:3], 0 offen offset:12
	buffer_load_dword v27, v114, s[0:3], 0 offen offset:4
	;; [unrolled: 1-line block ×4, first 2 shown]
	buffer_load_dword v30, v115, s[0:3], 0 offen
	buffer_load_dword v31, v115, s[0:3], 0 offen offset:4
	buffer_load_dword v32, v115, s[0:3], 0 offen offset:8
	buffer_load_dword v26, v114, s[0:3], 0 offen
	buffer_load_dword v33, v115, s[0:3], 0 offen offset:12
	buffer_load_dword v77, v108, s[0:3], 0 offen offset:4
	;; [unrolled: 1-line block ×3, first 2 shown]
                                        ; kill: killed $vgpr115
                                        ; kill: killed $vgpr113
                                        ; kill: killed $vgpr114
                                        ; kill: killed $vgpr112
	buffer_load_dword v79, v108, s[0:3], 0 offen offset:12
	buffer_load_dword v80, v110, s[0:3], 0 offen
	buffer_load_dword v81, v110, s[0:3], 0 offen offset:4
	buffer_load_dword v82, v110, s[0:3], 0 offen offset:8
	buffer_load_dword v76, v108, s[0:3], 0 offen
	buffer_load_dword v83, v110, s[0:3], 0 offen offset:12
	buffer_load_dword v85, v109, s[0:3], 0 offen offset:4
	;; [unrolled: 1-line block ×4, first 2 shown]
	buffer_load_dword v88, v111, s[0:3], 0 offen
	buffer_load_dword v89, v111, s[0:3], 0 offen offset:4
	buffer_load_dword v90, v111, s[0:3], 0 offen offset:8
	buffer_load_dword v84, v109, s[0:3], 0 offen
	buffer_load_dword v91, v111, s[0:3], 0 offen offset:12
	buffer_load_dword v93, v104, s[0:3], 0 offen offset:4
                                        ; kill: killed $vgpr110
                                        ; kill: killed $vgpr111
                                        ; kill: killed $vgpr108
                                        ; kill: killed $vgpr109
	buffer_load_dword v94, v104, s[0:3], 0 offen offset:8
	buffer_load_dword v95, v104, s[0:3], 0 offen offset:12
	buffer_load_dword v96, v105, s[0:3], 0 offen
	buffer_load_dword v97, v105, s[0:3], 0 offen offset:4
	buffer_load_dword v98, v105, s[0:3], 0 offen offset:8
	buffer_load_dword v92, v104, s[0:3], 0 offen
	buffer_load_dword v99, v105, s[0:3], 0 offen offset:12
	buffer_load_dword v109, v107, s[0:3], 0 offen offset:4
	;; [unrolled: 1-line block ×4, first 2 shown]
	buffer_load_dword v112, v106, s[0:3], 0 offen
	buffer_load_dword v113, v106, s[0:3], 0 offen offset:4
	buffer_load_dword v114, v106, s[0:3], 0 offen offset:8
	buffer_load_dword v108, v107, s[0:3], 0 offen
	buffer_load_dword v115, v106, s[0:3], 0 offen offset:12
                                        ; kill: killed $vgpr107
                                        ; kill: killed $vgpr105
                                        ; kill: killed $vgpr106
                                        ; kill: killed $vgpr104
	buffer_load_dword v105, v102, s[0:3], 0 offen offset:4
	s_nop 0
	buffer_load_dword v106, v102, s[0:3], 0 offen offset:8
	buffer_load_dword v107, v102, s[0:3], 0 offen offset:12
	buffer_load_dword v116, v101, s[0:3], 0 offen
	buffer_load_dword v117, v101, s[0:3], 0 offen offset:4
	buffer_load_dword v118, v101, s[0:3], 0 offen offset:8
	buffer_load_dword v104, v102, s[0:3], 0 offen
	buffer_load_dword v119, v101, s[0:3], 0 offen offset:12
	buffer_load_dword v121, v103, s[0:3], 0 offen offset:4
	;; [unrolled: 1-line block ×4, first 2 shown]
	buffer_load_dword v124, v100, s[0:3], 0 offen
	buffer_load_dword v125, v100, s[0:3], 0 offen offset:4
	buffer_load_dword v126, v100, s[0:3], 0 offen offset:8
	buffer_load_dword v120, v103, s[0:3], 0 offen
                                        ; kill: killed $vgpr102
                                        ; kill: killed $vgpr103
                                        ; kill: killed $vgpr101
	buffer_load_dword v127, v100, s[0:3], 0 offen offset:12
	buffer_load_dword v128, v1, s[0:3], 0 offen
	buffer_load_dword v129, v1, s[0:3], 0 offen offset:4
	buffer_load_dword v130, v1, s[0:3], 0 offen offset:8
	;; [unrolled: 1-line block ×3, first 2 shown]
	s_waitcnt vmcnt(62)
	global_store_dwordx4 v[34:35], v[2:5], off
	global_store_dwordx4 v[36:37], v[6:9], off
	;; [unrolled: 1-line block ×4, first 2 shown]
	s_waitcnt vmcnt(62)
	global_store_dwordx4 v[42:43], v[18:21], off
	global_store_dwordx4 v[44:45], v[22:25], off
	s_waitcnt vmcnt(59)
	global_store_dwordx4 v[46:47], v[26:29], off
	s_waitcnt vmcnt(59)
	;; [unrolled: 2-line block ×15, first 2 shown]
	global_store_dwordx4 v[74:75], v[128:131], off
	s_endpgm
	.section	.rodata,"a",@progbits
	.p2align	6, 0x0
	.amdhsa_kernel _ZN9rocsolver6v33100L18getri_kernel_smallILi21E19rocblas_complex_numIdEPKPS3_EEvT1_iilPiilS8_bb
		.amdhsa_group_segment_fixed_size 1704
		.amdhsa_private_segment_fixed_size 352
		.amdhsa_kernarg_size 60
		.amdhsa_user_sgpr_count 10
		.amdhsa_user_sgpr_private_segment_buffer 1
		.amdhsa_user_sgpr_dispatch_ptr 1
		.amdhsa_user_sgpr_queue_ptr 0
		.amdhsa_user_sgpr_kernarg_segment_ptr 1
		.amdhsa_user_sgpr_dispatch_id 0
		.amdhsa_user_sgpr_flat_scratch_init 1
		.amdhsa_user_sgpr_kernarg_preload_length 0
		.amdhsa_user_sgpr_kernarg_preload_offset 0
		.amdhsa_user_sgpr_private_segment_size 0
		.amdhsa_uses_dynamic_stack 0
		.amdhsa_system_sgpr_private_segment_wavefront_offset 1
		.amdhsa_system_sgpr_workgroup_id_x 1
		.amdhsa_system_sgpr_workgroup_id_y 0
		.amdhsa_system_sgpr_workgroup_id_z 0
		.amdhsa_system_sgpr_workgroup_info 0
		.amdhsa_system_vgpr_workitem_id 2
		.amdhsa_next_free_vgpr 232
		.amdhsa_next_free_sgpr 24
		.amdhsa_accum_offset 232
		.amdhsa_reserve_vcc 1
		.amdhsa_reserve_flat_scratch 1
		.amdhsa_float_round_mode_32 0
		.amdhsa_float_round_mode_16_64 0
		.amdhsa_float_denorm_mode_32 3
		.amdhsa_float_denorm_mode_16_64 3
		.amdhsa_dx10_clamp 1
		.amdhsa_ieee_mode 1
		.amdhsa_fp16_overflow 0
		.amdhsa_tg_split 0
		.amdhsa_exception_fp_ieee_invalid_op 0
		.amdhsa_exception_fp_denorm_src 0
		.amdhsa_exception_fp_ieee_div_zero 0
		.amdhsa_exception_fp_ieee_overflow 0
		.amdhsa_exception_fp_ieee_underflow 0
		.amdhsa_exception_fp_ieee_inexact 0
		.amdhsa_exception_int_div_zero 0
	.end_amdhsa_kernel
	.section	.text._ZN9rocsolver6v33100L18getri_kernel_smallILi21E19rocblas_complex_numIdEPKPS3_EEvT1_iilPiilS8_bb,"axG",@progbits,_ZN9rocsolver6v33100L18getri_kernel_smallILi21E19rocblas_complex_numIdEPKPS3_EEvT1_iilPiilS8_bb,comdat
.Lfunc_end84:
	.size	_ZN9rocsolver6v33100L18getri_kernel_smallILi21E19rocblas_complex_numIdEPKPS3_EEvT1_iilPiilS8_bb, .Lfunc_end84-_ZN9rocsolver6v33100L18getri_kernel_smallILi21E19rocblas_complex_numIdEPKPS3_EEvT1_iilPiilS8_bb
                                        ; -- End function
	.section	.AMDGPU.csdata,"",@progbits
; Kernel info:
; codeLenInByte = 36776
; NumSgprs: 30
; NumVgprs: 232
; NumAgprs: 0
; TotalNumVgprs: 232
; ScratchSize: 352
; MemoryBound: 0
; FloatMode: 240
; IeeeMode: 1
; LDSByteSize: 1704 bytes/workgroup (compile time only)
; SGPRBlocks: 3
; VGPRBlocks: 28
; NumSGPRsForWavesPerEU: 30
; NumVGPRsForWavesPerEU: 232
; AccumOffset: 232
; Occupancy: 2
; WaveLimiterHint : 1
; COMPUTE_PGM_RSRC2:SCRATCH_EN: 1
; COMPUTE_PGM_RSRC2:USER_SGPR: 10
; COMPUTE_PGM_RSRC2:TRAP_HANDLER: 0
; COMPUTE_PGM_RSRC2:TGID_X_EN: 1
; COMPUTE_PGM_RSRC2:TGID_Y_EN: 0
; COMPUTE_PGM_RSRC2:TGID_Z_EN: 0
; COMPUTE_PGM_RSRC2:TIDIG_COMP_CNT: 2
; COMPUTE_PGM_RSRC3_GFX90A:ACCUM_OFFSET: 57
; COMPUTE_PGM_RSRC3_GFX90A:TG_SPLIT: 0
	.section	.text._ZN9rocsolver6v33100L18getri_kernel_smallILi22E19rocblas_complex_numIdEPKPS3_EEvT1_iilPiilS8_bb,"axG",@progbits,_ZN9rocsolver6v33100L18getri_kernel_smallILi22E19rocblas_complex_numIdEPKPS3_EEvT1_iilPiilS8_bb,comdat
	.globl	_ZN9rocsolver6v33100L18getri_kernel_smallILi22E19rocblas_complex_numIdEPKPS3_EEvT1_iilPiilS8_bb ; -- Begin function _ZN9rocsolver6v33100L18getri_kernel_smallILi22E19rocblas_complex_numIdEPKPS3_EEvT1_iilPiilS8_bb
	.p2align	8
	.type	_ZN9rocsolver6v33100L18getri_kernel_smallILi22E19rocblas_complex_numIdEPKPS3_EEvT1_iilPiilS8_bb,@function
_ZN9rocsolver6v33100L18getri_kernel_smallILi22E19rocblas_complex_numIdEPKPS3_EEvT1_iilPiilS8_bb: ; @_ZN9rocsolver6v33100L18getri_kernel_smallILi22E19rocblas_complex_numIdEPKPS3_EEvT1_iilPiilS8_bb
; %bb.0:
	s_add_u32 flat_scratch_lo, s8, s11
	s_addc_u32 flat_scratch_hi, s9, 0
	s_add_u32 s0, s0, s11
	v_and_b32_e32 v130, 0x3ff, v0
	s_addc_u32 s1, s1, 0
	v_cmp_gt_u32_e32 vcc, 22, v130
	s_and_saveexec_b64 s[8:9], vcc
	s_cbranch_execz .LBB85_102
; %bb.1:
	s_load_dword s22, s[6:7], 0x38
	s_load_dwordx2 s[8:9], s[6:7], 0x0
	s_load_dwordx4 s[12:15], s[6:7], 0x28
	s_waitcnt lgkmcnt(0)
	s_bitcmp1_b32 s22, 8
	s_cselect_b64 s[18:19], -1, 0
	s_ashr_i32 s11, s10, 31
	s_lshl_b64 s[16:17], s[10:11], 3
	s_add_u32 s8, s8, s16
	s_addc_u32 s9, s9, s17
	s_load_dwordx2 s[20:21], s[8:9], 0x0
	s_bfe_u32 s8, s22, 0x10008
	s_cmp_eq_u32 s8, 0
                                        ; implicit-def: $sgpr16_sgpr17
	s_cbranch_scc1 .LBB85_3
; %bb.2:
	s_load_dword s8, s[6:7], 0x20
	s_load_dwordx2 s[16:17], s[6:7], 0x18
	s_mul_i32 s9, s10, s13
	s_mul_hi_u32 s13, s10, s12
	s_add_i32 s13, s13, s9
	s_mul_i32 s23, s11, s12
	s_add_i32 s13, s13, s23
	s_mul_i32 s12, s10, s12
	s_waitcnt lgkmcnt(0)
	s_ashr_i32 s9, s8, 31
	s_lshl_b64 s[12:13], s[12:13], 2
	s_add_u32 s12, s16, s12
	s_addc_u32 s13, s17, s13
	s_lshl_b64 s[8:9], s[8:9], 2
	s_add_u32 s16, s12, s8
	s_addc_u32 s17, s13, s9
.LBB85_3:
	s_load_dwordx2 s[8:9], s[6:7], 0x8
	v_lshlrev_b32_e32 v12, 4, v130
	s_waitcnt lgkmcnt(0)
	s_ashr_i32 s7, s8, 31
	s_mov_b32 s6, s8
	s_lshl_b64 s[6:7], s[6:7], 4
	s_add_u32 s6, s20, s6
	s_addc_u32 s7, s21, s7
	s_mov_b32 s12, s9
	s_ashr_i32 s13, s9, 31
	global_load_dwordx4 v[2:5], v12, s[6:7]
	v_mov_b32_e32 v1, s7
	v_add_co_u32_e32 v30, vcc, s6, v12
	s_lshl_b64 s[12:13], s[12:13], 4
	v_addc_co_u32_e32 v31, vcc, 0, v1, vcc
	v_mov_b32_e32 v1, s13
	v_add_co_u32_e32 v32, vcc, s12, v30
	v_addc_co_u32_e32 v33, vcc, v31, v1, vcc
	global_load_dwordx4 v[6:9], v[32:33], off
	s_add_i32 s8, s9, s9
	v_add_u32_e32 v10, s8, v130
	v_add_u32_e32 v14, s9, v10
	;; [unrolled: 1-line block ×10, first 2 shown]
	v_ashrrev_i32_e32 v11, 31, v10
	v_add_u32_e32 v56, s9, v54
	v_lshlrev_b64 v[10:11], 4, v[10:11]
	v_add_u32_e32 v58, s9, v56
	v_mov_b32_e32 v1, s7
	v_ashrrev_i32_e32 v15, 31, v14
	v_add_co_u32_e32 v34, vcc, s6, v10
	v_add_u32_e32 v60, s9, v58
	v_addc_co_u32_e32 v35, vcc, v1, v11, vcc
	v_lshlrev_b64 v[10:11], 4, v[14:15]
	v_add_u32_e32 v62, s9, v60
	v_mov_b32_e32 v13, s7
	v_ashrrev_i32_e32 v17, 31, v16
	v_add_co_u32_e32 v36, vcc, s6, v10
	v_add_u32_e32 v64, s9, v62
	v_addc_co_u32_e32 v37, vcc, v13, v11, vcc
	;; [unrolled: 7-line block ×4, first 2 shown]
	v_lshlrev_b64 v[10:11], 4, v[26:27]
	v_add_u32_e32 v26, s9, v72
	v_ashrrev_i32_e32 v27, 31, v26
	v_lshlrev_b64 v[26:27], 4, v[26:27]
	v_mov_b32_e32 v28, s7
	v_add_co_u32_e32 v40, vcc, s6, v26
	v_addc_co_u32_e32 v41, vcc, v28, v27, vcc
	v_mov_b32_e32 v45, s7
	v_add_co_u32_e32 v44, vcc, s6, v10
	v_ashrrev_i32_e32 v47, 31, v46
	v_addc_co_u32_e32 v45, vcc, v45, v11, vcc
	v_lshlrev_b64 v[46:47], 4, v[46:47]
	v_add_co_u32_e32 v46, vcc, s6, v46
	v_ashrrev_i32_e32 v49, 31, v48
	v_addc_co_u32_e32 v47, vcc, v1, v47, vcc
	v_lshlrev_b64 v[48:49], 4, v[48:49]
	;; [unrolled: 4-line block ×14, first 2 shown]
	global_load_dwordx4 v[14:17], v[34:35], off
	global_load_dwordx4 v[18:21], v[36:37], off
	;; [unrolled: 1-line block ×4, first 2 shown]
	s_waitcnt vmcnt(5)
	buffer_store_dword v5, off, s[0:3], 0 offset:12
	buffer_store_dword v4, off, s[0:3], 0 offset:8
	;; [unrolled: 1-line block ×3, first 2 shown]
	buffer_store_dword v2, off, s[0:3], 0
	s_waitcnt vmcnt(8)
	buffer_store_dword v9, off, s[0:3], 0 offset:28
	buffer_store_dword v8, off, s[0:3], 0 offset:24
	;; [unrolled: 1-line block ×3, first 2 shown]
	v_add_co_u32_e32 v72, vcc, s6, v72
	global_load_dwordx4 v[2:5], v[42:43], off
	global_load_dwordx4 v[8:11], v[44:45], off
	;; [unrolled: 1-line block ×13, first 2 shown]
	v_addc_co_u32_e32 v73, vcc, v1, v73, vcc
	global_load_dwordx4 v[132:135], v[72:73], off
	global_load_dwordx4 v[114:117], v[66:67], off
	;; [unrolled: 1-line block ×3, first 2 shown]
	v_mov_b32_e32 v1, 0
	buffer_store_dword v6, off, s[0:3], 0 offset:16
	s_waitcnt vmcnt(27)
	buffer_store_dword v17, off, s[0:3], 0 offset:44
	buffer_store_dword v16, off, s[0:3], 0 offset:40
	buffer_store_dword v15, off, s[0:3], 0 offset:36
	buffer_store_dword v14, off, s[0:3], 0 offset:32
	s_waitcnt vmcnt(30)
	buffer_store_dword v21, off, s[0:3], 0 offset:60
	buffer_store_dword v20, off, s[0:3], 0 offset:56
	buffer_store_dword v19, off, s[0:3], 0 offset:52
	;; [unrolled: 5-line block ×17, first 2 shown]
	buffer_store_dword v118, off, s[0:3], 0 offset:288
	v_add_u32_e32 v127, 16, v1
	buffer_store_dword v125, off, s[0:3], 0 offset:316
	buffer_store_dword v124, off, s[0:3], 0 offset:312
	buffer_store_dword v123, off, s[0:3], 0 offset:308
	buffer_store_dword v122, off, s[0:3], 0 offset:304
	v_add_u32_e32 v128, 32, v1
	v_add_u32_e32 v129, 48, v1
	;; [unrolled: 1-line block ×20, first 2 shown]
	s_bitcmp0_b32 s22, 0
	s_mov_b64 s[8:9], -1
	buffer_store_dword v135, off, s[0:3], 0 offset:332
	buffer_store_dword v134, off, s[0:3], 0 offset:328
	;; [unrolled: 1-line block ×8, first 2 shown]
	s_cbranch_scc1 .LBB85_100
; %bb.4:
	v_cmp_eq_u32_e64 s[6:7], 0, v130
	s_and_saveexec_b64 s[8:9], s[6:7]
	s_cbranch_execz .LBB85_6
; %bb.5:
	v_mov_b32_e32 v2, 0
	ds_write_b32 v2, v2 offset:704
.LBB85_6:
	s_or_b64 exec, exec, s[8:9]
	v_mov_b32_e32 v2, 0
	v_lshl_add_u32 v13, v130, 4, v2
	s_waitcnt lgkmcnt(0)
	; wave barrier
	s_waitcnt lgkmcnt(0)
	buffer_load_dword v2, v13, s[0:3], 0 offen
	buffer_load_dword v3, v13, s[0:3], 0 offen offset:4
	buffer_load_dword v4, v13, s[0:3], 0 offen offset:8
	buffer_load_dword v5, v13, s[0:3], 0 offen offset:12
	s_waitcnt vmcnt(2)
	v_cmp_eq_f64_e32 vcc, 0, v[2:3]
	s_waitcnt vmcnt(0)
	v_cmp_eq_f64_e64 s[8:9], 0, v[4:5]
	s_and_b64 s[8:9], vcc, s[8:9]
	s_and_saveexec_b64 s[12:13], s[8:9]
	s_cbranch_execz .LBB85_10
; %bb.7:
	v_mov_b32_e32 v2, 0
	ds_read_b32 v4, v2 offset:704
	v_add_u32_e32 v3, 1, v130
	s_waitcnt lgkmcnt(0)
	v_readfirstlane_b32 s8, v4
	s_cmp_eq_u32 s8, 0
	s_cselect_b64 s[20:21], -1, 0
	v_cmp_gt_i32_e32 vcc, s8, v3
	s_or_b64 s[20:21], s[20:21], vcc
	s_and_b64 exec, exec, s[20:21]
	s_cbranch_execz .LBB85_10
; %bb.8:
	s_mov_b64 s[20:21], 0
	v_mov_b32_e32 v4, s8
.LBB85_9:                               ; =>This Inner Loop Header: Depth=1
	ds_cmpst_rtn_b32 v4, v2, v4, v3 offset:704
	s_waitcnt lgkmcnt(0)
	v_cmp_ne_u32_e32 vcc, 0, v4
	v_cmp_le_i32_e64 s[8:9], v4, v3
	s_and_b64 s[8:9], vcc, s[8:9]
	s_and_b64 s[8:9], exec, s[8:9]
	s_or_b64 s[20:21], s[8:9], s[20:21]
	s_andn2_b64 exec, exec, s[20:21]
	s_cbranch_execnz .LBB85_9
.LBB85_10:
	s_or_b64 exec, exec, s[12:13]
	v_mov_b32_e32 v3, 0
	s_waitcnt lgkmcnt(0)
	; wave barrier
	ds_read_b32 v2, v3 offset:704
	s_and_saveexec_b64 s[8:9], s[6:7]
	s_cbranch_execz .LBB85_12
; %bb.11:
	s_lshl_b64 s[12:13], s[10:11], 2
	s_add_u32 s12, s14, s12
	s_addc_u32 s13, s15, s13
	s_waitcnt lgkmcnt(0)
	global_store_dword v3, v2, s[12:13]
.LBB85_12:
	s_or_b64 exec, exec, s[8:9]
	s_waitcnt lgkmcnt(0)
	v_cmp_ne_u32_e32 vcc, 0, v2
	s_mov_b64 s[8:9], 0
	s_cbranch_vccnz .LBB85_100
; %bb.13:
	buffer_load_dword v7, v13, s[0:3], 0 offen offset:4
	buffer_load_dword v6, v13, s[0:3], 0 offen
	buffer_load_dword v9, v13, s[0:3], 0 offen offset:12
	buffer_load_dword v8, v13, s[0:3], 0 offen offset:8
                                        ; implicit-def: $vgpr10_vgpr11
	s_waitcnt vmcnt(3)
	v_xor_b32_e32 v3, 0x80000000, v7
	s_waitcnt vmcnt(2)
	v_cmp_gt_f64_e32 vcc, 0, v[6:7]
	s_waitcnt vmcnt(1)
	v_xor_b32_e32 v4, 0x80000000, v9
	v_cndmask_b32_e32 v3, v7, v3, vcc
	s_waitcnt vmcnt(0)
	v_cmp_gt_f64_e32 vcc, 0, v[8:9]
	v_mov_b32_e32 v2, v6
	v_cndmask_b32_e32 v5, v9, v4, vcc
	v_mov_b32_e32 v4, v8
	v_cmp_ngt_f64_e32 vcc, v[2:3], v[4:5]
                                        ; implicit-def: $vgpr4_vgpr5
	s_and_saveexec_b64 s[8:9], vcc
	s_xor_b64 s[8:9], exec, s[8:9]
	s_cbranch_execz .LBB85_15
; %bb.14:
	v_div_scale_f64 v[2:3], s[12:13], v[8:9], v[8:9], v[6:7]
	v_rcp_f64_e32 v[4:5], v[2:3]
	v_div_scale_f64 v[10:11], vcc, v[6:7], v[8:9], v[6:7]
	v_fma_f64 v[14:15], -v[2:3], v[4:5], 1.0
	v_fmac_f64_e32 v[4:5], v[4:5], v[14:15]
	v_fma_f64 v[14:15], -v[2:3], v[4:5], 1.0
	v_fmac_f64_e32 v[4:5], v[4:5], v[14:15]
	v_mul_f64 v[14:15], v[10:11], v[4:5]
	v_fma_f64 v[2:3], -v[2:3], v[14:15], v[10:11]
	v_div_fmas_f64 v[2:3], v[2:3], v[4:5], v[14:15]
	v_div_fixup_f64 v[2:3], v[2:3], v[8:9], v[6:7]
	v_fmac_f64_e32 v[8:9], v[6:7], v[2:3]
	v_div_scale_f64 v[4:5], s[12:13], v[8:9], v[8:9], 1.0
	v_rcp_f64_e32 v[6:7], v[4:5]
	v_fma_f64 v[10:11], -v[4:5], v[6:7], 1.0
	v_fmac_f64_e32 v[6:7], v[6:7], v[10:11]
	v_fma_f64 v[10:11], -v[4:5], v[6:7], 1.0
	v_fmac_f64_e32 v[6:7], v[6:7], v[10:11]
	v_div_scale_f64 v[10:11], vcc, 1.0, v[8:9], 1.0
	v_mul_f64 v[14:15], v[10:11], v[6:7]
	v_fma_f64 v[4:5], -v[4:5], v[14:15], v[10:11]
	s_nop 1
	v_div_fmas_f64 v[4:5], v[4:5], v[6:7], v[14:15]
	v_div_fixup_f64 v[4:5], v[4:5], v[8:9], 1.0
	v_mul_f64 v[10:11], v[2:3], v[4:5]
	v_xor_b32_e32 v5, 0x80000000, v5
	v_xor_b32_e32 v3, 0x80000000, v11
	v_mov_b32_e32 v2, v10
                                        ; implicit-def: $vgpr6_vgpr7
                                        ; implicit-def: $vgpr8_vgpr9
.LBB85_15:
	s_andn2_saveexec_b64 s[8:9], s[8:9]
	s_cbranch_execz .LBB85_17
; %bb.16:
	v_div_scale_f64 v[2:3], s[12:13], v[6:7], v[6:7], v[8:9]
	v_rcp_f64_e32 v[4:5], v[2:3]
	v_div_scale_f64 v[10:11], vcc, v[8:9], v[6:7], v[8:9]
	v_fma_f64 v[14:15], -v[2:3], v[4:5], 1.0
	v_fmac_f64_e32 v[4:5], v[4:5], v[14:15]
	v_fma_f64 v[14:15], -v[2:3], v[4:5], 1.0
	v_fmac_f64_e32 v[4:5], v[4:5], v[14:15]
	v_mul_f64 v[14:15], v[10:11], v[4:5]
	v_fma_f64 v[2:3], -v[2:3], v[14:15], v[10:11]
	v_div_fmas_f64 v[2:3], v[2:3], v[4:5], v[14:15]
	v_div_fixup_f64 v[4:5], v[2:3], v[6:7], v[8:9]
	v_fmac_f64_e32 v[6:7], v[8:9], v[4:5]
	v_div_scale_f64 v[2:3], s[12:13], v[6:7], v[6:7], 1.0
	v_rcp_f64_e32 v[8:9], v[2:3]
	v_fma_f64 v[10:11], -v[2:3], v[8:9], 1.0
	v_fmac_f64_e32 v[8:9], v[8:9], v[10:11]
	v_fma_f64 v[10:11], -v[2:3], v[8:9], 1.0
	v_fmac_f64_e32 v[8:9], v[8:9], v[10:11]
	v_div_scale_f64 v[10:11], vcc, 1.0, v[6:7], 1.0
	v_mul_f64 v[14:15], v[10:11], v[8:9]
	v_fma_f64 v[2:3], -v[2:3], v[14:15], v[10:11]
	s_nop 1
	v_div_fmas_f64 v[2:3], v[2:3], v[8:9], v[14:15]
	v_div_fixup_f64 v[10:11], v[2:3], v[6:7], 1.0
	v_xor_b32_e32 v3, 0x80000000, v11
	v_mov_b32_e32 v2, v10
	v_mul_f64 v[4:5], v[4:5], -v[10:11]
.LBB85_17:
	s_or_b64 exec, exec, s[8:9]
	buffer_store_dword v11, v13, s[0:3], 0 offen offset:4
	buffer_store_dword v10, v13, s[0:3], 0 offen
	buffer_store_dword v5, v13, s[0:3], 0 offen offset:12
	buffer_store_dword v4, v13, s[0:3], 0 offen offset:8
	buffer_load_dword v11, v127, s[0:3], 0 offen offset:12
	s_nop 0
	buffer_load_dword v10, v127, s[0:3], 0 offen offset:8
	buffer_load_dword v9, v127, s[0:3], 0 offen offset:4
	buffer_load_dword v8, v127, s[0:3], 0 offen
	v_xor_b32_e32 v5, 0x80000000, v5
	v_add_u32_e32 v6, 0x160, v12
	ds_write_b128 v12, v[2:5]
	s_waitcnt vmcnt(0)
	ds_write_b128 v12, v[8:11] offset:352
	s_waitcnt lgkmcnt(0)
	; wave barrier
	s_waitcnt lgkmcnt(0)
	s_and_saveexec_b64 s[8:9], s[6:7]
	s_cbranch_execz .LBB85_19
; %bb.18:
	buffer_load_dword v14, v13, s[0:3], 0 offen offset:8
	buffer_load_dword v15, v13, s[0:3], 0 offen offset:12
	buffer_load_dword v16, v13, s[0:3], 0 offen
	buffer_load_dword v17, v13, s[0:3], 0 offen offset:4
	ds_read_b128 v[2:5], v6
	v_mov_b32_e32 v7, 0
	ds_read_b128 v[8:11], v7 offset:16
	s_waitcnt vmcnt(2) lgkmcnt(1)
	v_mul_f64 v[18:19], v[4:5], v[14:15]
	v_mul_f64 v[14:15], v[2:3], v[14:15]
	s_waitcnt vmcnt(0)
	v_fmac_f64_e32 v[14:15], v[4:5], v[16:17]
	v_fma_f64 v[2:3], v[2:3], v[16:17], -v[18:19]
	v_add_f64 v[4:5], v[14:15], 0
	v_add_f64 v[2:3], v[2:3], 0
	s_waitcnt lgkmcnt(0)
	v_mul_f64 v[14:15], v[4:5], v[10:11]
	v_mul_f64 v[10:11], v[2:3], v[10:11]
	v_fma_f64 v[2:3], v[2:3], v[8:9], -v[14:15]
	v_fmac_f64_e32 v[10:11], v[4:5], v[8:9]
	buffer_store_dword v2, off, s[0:3], 0 offset:16
	buffer_store_dword v3, off, s[0:3], 0 offset:20
	;; [unrolled: 1-line block ×4, first 2 shown]
.LBB85_19:
	s_or_b64 exec, exec, s[8:9]
	s_waitcnt lgkmcnt(0)
	; wave barrier
	buffer_load_dword v2, v128, s[0:3], 0 offen
	buffer_load_dword v3, v128, s[0:3], 0 offen offset:4
	buffer_load_dword v4, v128, s[0:3], 0 offen offset:8
	;; [unrolled: 1-line block ×3, first 2 shown]
	v_cmp_gt_u32_e32 vcc, 2, v130
	s_waitcnt vmcnt(0)
	ds_write_b128 v6, v[2:5]
	s_waitcnt lgkmcnt(0)
	; wave barrier
	s_waitcnt lgkmcnt(0)
	s_and_saveexec_b64 s[8:9], vcc
	s_cbranch_execz .LBB85_23
; %bb.20:
	buffer_load_dword v8, v13, s[0:3], 0 offen offset:8
	buffer_load_dword v9, v13, s[0:3], 0 offen offset:12
	buffer_load_dword v10, v13, s[0:3], 0 offen
	buffer_load_dword v11, v13, s[0:3], 0 offen offset:4
	ds_read_b128 v[2:5], v6
	s_waitcnt vmcnt(2) lgkmcnt(0)
	v_mul_f64 v[14:15], v[4:5], v[8:9]
	v_mul_f64 v[8:9], v[2:3], v[8:9]
	s_waitcnt vmcnt(0)
	v_fma_f64 v[2:3], v[2:3], v[10:11], -v[14:15]
	v_fmac_f64_e32 v[8:9], v[4:5], v[10:11]
	v_add_f64 v[4:5], v[2:3], 0
	v_add_f64 v[2:3], v[8:9], 0
	s_and_saveexec_b64 s[12:13], s[6:7]
	s_cbranch_execz .LBB85_22
; %bb.21:
	buffer_load_dword v14, off, s[0:3], 0 offset:24
	buffer_load_dword v15, off, s[0:3], 0 offset:28
	;; [unrolled: 1-line block ×4, first 2 shown]
	v_mov_b32_e32 v7, 0
	ds_read_b128 v[8:11], v7 offset:368
	s_waitcnt vmcnt(2) lgkmcnt(0)
	v_mul_f64 v[18:19], v[8:9], v[14:15]
	v_mul_f64 v[14:15], v[10:11], v[14:15]
	s_waitcnt vmcnt(0)
	v_fmac_f64_e32 v[18:19], v[10:11], v[16:17]
	v_fma_f64 v[8:9], v[8:9], v[16:17], -v[14:15]
	v_add_f64 v[2:3], v[2:3], v[18:19]
	v_add_f64 v[4:5], v[4:5], v[8:9]
.LBB85_22:
	s_or_b64 exec, exec, s[12:13]
	v_mov_b32_e32 v7, 0
	ds_read_b128 v[8:11], v7 offset:32
	s_waitcnt lgkmcnt(0)
	v_mul_f64 v[14:15], v[2:3], v[10:11]
	v_mul_f64 v[10:11], v[4:5], v[10:11]
	v_fma_f64 v[4:5], v[4:5], v[8:9], -v[14:15]
	v_fmac_f64_e32 v[10:11], v[2:3], v[8:9]
	buffer_store_dword v5, off, s[0:3], 0 offset:36
	buffer_store_dword v4, off, s[0:3], 0 offset:32
	;; [unrolled: 1-line block ×4, first 2 shown]
.LBB85_23:
	s_or_b64 exec, exec, s[8:9]
	s_waitcnt lgkmcnt(0)
	; wave barrier
	buffer_load_dword v2, v129, s[0:3], 0 offen
	buffer_load_dword v3, v129, s[0:3], 0 offen offset:4
	buffer_load_dword v4, v129, s[0:3], 0 offen offset:8
	;; [unrolled: 1-line block ×3, first 2 shown]
	v_cmp_gt_u32_e32 vcc, 3, v130
	v_add_u32_e32 v7, -1, v130
	s_waitcnt vmcnt(0)
	ds_write_b128 v6, v[2:5]
	s_waitcnt lgkmcnt(0)
	; wave barrier
	s_waitcnt lgkmcnt(0)
	s_and_saveexec_b64 s[6:7], vcc
	s_cbranch_execz .LBB85_27
; %bb.24:
	v_pk_mov_b32 v[2:3], 0, 0
	v_add_u32_e32 v8, -1, v130
	v_add_u32_e32 v9, 0x160, v12
	v_add_u32_e32 v10, 0, v12
	s_mov_b64 s[8:9], 0
	v_pk_mov_b32 v[4:5], v[2:3], v[2:3] op_sel:[0,1]
.LBB85_25:                              ; =>This Inner Loop Header: Depth=1
	buffer_load_dword v18, v10, s[0:3], 0 offen offset:8
	buffer_load_dword v19, v10, s[0:3], 0 offen offset:12
	buffer_load_dword v20, v10, s[0:3], 0 offen
	buffer_load_dword v21, v10, s[0:3], 0 offen offset:4
	ds_read_b128 v[14:17], v9
	v_add_u32_e32 v8, 1, v8
	v_cmp_lt_u32_e32 vcc, 1, v8
	v_add_u32_e32 v9, 16, v9
	v_add_u32_e32 v10, 16, v10
	s_or_b64 s[8:9], vcc, s[8:9]
	s_waitcnt vmcnt(2) lgkmcnt(0)
	v_mul_f64 v[22:23], v[16:17], v[18:19]
	v_mul_f64 v[18:19], v[14:15], v[18:19]
	s_waitcnt vmcnt(0)
	v_fma_f64 v[14:15], v[14:15], v[20:21], -v[22:23]
	v_fmac_f64_e32 v[18:19], v[16:17], v[20:21]
	v_add_f64 v[4:5], v[4:5], v[14:15]
	v_add_f64 v[2:3], v[2:3], v[18:19]
	s_andn2_b64 exec, exec, s[8:9]
	s_cbranch_execnz .LBB85_25
; %bb.26:
	s_or_b64 exec, exec, s[8:9]
	v_mov_b32_e32 v8, 0
	ds_read_b128 v[8:11], v8 offset:48
	s_waitcnt lgkmcnt(0)
	v_mul_f64 v[14:15], v[2:3], v[10:11]
	v_mul_f64 v[10:11], v[4:5], v[10:11]
	v_fma_f64 v[4:5], v[4:5], v[8:9], -v[14:15]
	v_fmac_f64_e32 v[10:11], v[2:3], v[8:9]
	buffer_store_dword v5, off, s[0:3], 0 offset:52
	buffer_store_dword v4, off, s[0:3], 0 offset:48
	buffer_store_dword v11, off, s[0:3], 0 offset:60
	buffer_store_dword v10, off, s[0:3], 0 offset:56
.LBB85_27:
	s_or_b64 exec, exec, s[6:7]
	s_waitcnt lgkmcnt(0)
	; wave barrier
	buffer_load_dword v2, v124, s[0:3], 0 offen
	buffer_load_dword v3, v124, s[0:3], 0 offen offset:4
	buffer_load_dword v4, v124, s[0:3], 0 offen offset:8
	buffer_load_dword v5, v124, s[0:3], 0 offen offset:12
	v_cmp_gt_u32_e32 vcc, 4, v130
	s_waitcnt vmcnt(0)
	ds_write_b128 v6, v[2:5]
	s_waitcnt lgkmcnt(0)
	; wave barrier
	s_waitcnt lgkmcnt(0)
	s_and_saveexec_b64 s[6:7], vcc
	s_cbranch_execz .LBB85_31
; %bb.28:
	v_pk_mov_b32 v[2:3], 0, 0
	v_add_u32_e32 v8, -1, v130
	v_add_u32_e32 v9, 0x160, v12
	v_add_u32_e32 v10, 0, v12
	s_mov_b64 s[8:9], 0
	v_pk_mov_b32 v[4:5], v[2:3], v[2:3] op_sel:[0,1]
.LBB85_29:                              ; =>This Inner Loop Header: Depth=1
	buffer_load_dword v18, v10, s[0:3], 0 offen offset:8
	buffer_load_dword v19, v10, s[0:3], 0 offen offset:12
	buffer_load_dword v20, v10, s[0:3], 0 offen
	buffer_load_dword v21, v10, s[0:3], 0 offen offset:4
	ds_read_b128 v[14:17], v9
	v_add_u32_e32 v8, 1, v8
	v_cmp_lt_u32_e32 vcc, 2, v8
	v_add_u32_e32 v9, 16, v9
	v_add_u32_e32 v10, 16, v10
	s_or_b64 s[8:9], vcc, s[8:9]
	s_waitcnt vmcnt(2) lgkmcnt(0)
	v_mul_f64 v[22:23], v[16:17], v[18:19]
	v_mul_f64 v[18:19], v[14:15], v[18:19]
	s_waitcnt vmcnt(0)
	v_fma_f64 v[14:15], v[14:15], v[20:21], -v[22:23]
	v_fmac_f64_e32 v[18:19], v[16:17], v[20:21]
	v_add_f64 v[4:5], v[4:5], v[14:15]
	v_add_f64 v[2:3], v[2:3], v[18:19]
	s_andn2_b64 exec, exec, s[8:9]
	s_cbranch_execnz .LBB85_29
; %bb.30:
	s_or_b64 exec, exec, s[8:9]
	v_mov_b32_e32 v8, 0
	ds_read_b128 v[8:11], v8 offset:64
	s_waitcnt lgkmcnt(0)
	v_mul_f64 v[14:15], v[2:3], v[10:11]
	v_mul_f64 v[10:11], v[4:5], v[10:11]
	v_fma_f64 v[4:5], v[4:5], v[8:9], -v[14:15]
	v_fmac_f64_e32 v[10:11], v[2:3], v[8:9]
	buffer_store_dword v5, off, s[0:3], 0 offset:68
	buffer_store_dword v4, off, s[0:3], 0 offset:64
	buffer_store_dword v11, off, s[0:3], 0 offset:76
	buffer_store_dword v10, off, s[0:3], 0 offset:72
.LBB85_31:
	s_or_b64 exec, exec, s[6:7]
	s_waitcnt lgkmcnt(0)
	; wave barrier
	buffer_load_dword v2, v125, s[0:3], 0 offen
	buffer_load_dword v3, v125, s[0:3], 0 offen offset:4
	buffer_load_dword v4, v125, s[0:3], 0 offen offset:8
	buffer_load_dword v5, v125, s[0:3], 0 offen offset:12
	v_cmp_gt_u32_e32 vcc, 5, v130
	;; [unrolled: 57-line block ×17, first 2 shown]
	s_waitcnt vmcnt(0)
	ds_write_b128 v6, v[2:5]
	s_waitcnt lgkmcnt(0)
	; wave barrier
	s_waitcnt lgkmcnt(0)
	s_and_saveexec_b64 s[6:7], vcc
	s_cbranch_execz .LBB85_95
; %bb.92:
	v_pk_mov_b32 v[2:3], 0, 0
	v_add_u32_e32 v8, -1, v130
	v_add_u32_e32 v9, 0x160, v12
	v_add_u32_e32 v10, 0, v12
	s_mov_b64 s[8:9], 0
	v_pk_mov_b32 v[4:5], v[2:3], v[2:3] op_sel:[0,1]
.LBB85_93:                              ; =>This Inner Loop Header: Depth=1
	buffer_load_dword v18, v10, s[0:3], 0 offen offset:8
	buffer_load_dword v19, v10, s[0:3], 0 offen offset:12
	buffer_load_dword v20, v10, s[0:3], 0 offen
	buffer_load_dword v21, v10, s[0:3], 0 offen offset:4
	ds_read_b128 v[14:17], v9
	v_add_u32_e32 v8, 1, v8
	v_cmp_lt_u32_e32 vcc, 18, v8
	v_add_u32_e32 v9, 16, v9
	v_add_u32_e32 v10, 16, v10
	s_or_b64 s[8:9], vcc, s[8:9]
	s_waitcnt vmcnt(2) lgkmcnt(0)
	v_mul_f64 v[22:23], v[16:17], v[18:19]
	v_mul_f64 v[18:19], v[14:15], v[18:19]
	s_waitcnt vmcnt(0)
	v_fma_f64 v[14:15], v[14:15], v[20:21], -v[22:23]
	v_fmac_f64_e32 v[18:19], v[16:17], v[20:21]
	v_add_f64 v[4:5], v[4:5], v[14:15]
	v_add_f64 v[2:3], v[2:3], v[18:19]
	s_andn2_b64 exec, exec, s[8:9]
	s_cbranch_execnz .LBB85_93
; %bb.94:
	s_or_b64 exec, exec, s[8:9]
	v_mov_b32_e32 v8, 0
	ds_read_b128 v[8:11], v8 offset:320
	s_waitcnt lgkmcnt(0)
	v_mul_f64 v[14:15], v[2:3], v[10:11]
	v_mul_f64 v[10:11], v[4:5], v[10:11]
	v_fma_f64 v[4:5], v[4:5], v[8:9], -v[14:15]
	v_fmac_f64_e32 v[10:11], v[2:3], v[8:9]
	buffer_store_dword v5, off, s[0:3], 0 offset:324
	buffer_store_dword v4, off, s[0:3], 0 offset:320
	;; [unrolled: 1-line block ×4, first 2 shown]
.LBB85_95:
	s_or_b64 exec, exec, s[6:7]
	s_waitcnt lgkmcnt(0)
	; wave barrier
	buffer_load_dword v2, v1, s[0:3], 0 offen
	buffer_load_dword v3, v1, s[0:3], 0 offen offset:4
	buffer_load_dword v4, v1, s[0:3], 0 offen offset:8
	;; [unrolled: 1-line block ×3, first 2 shown]
	v_cmp_ne_u32_e32 vcc, 21, v130
	s_waitcnt vmcnt(0)
	ds_write_b128 v6, v[2:5]
	s_waitcnt lgkmcnt(0)
	; wave barrier
	s_waitcnt lgkmcnt(0)
	s_and_saveexec_b64 s[6:7], vcc
	s_cbranch_execz .LBB85_99
; %bb.96:
	v_pk_mov_b32 v[2:3], 0, 0
	v_add_u32_e32 v6, 0x160, v12
	v_add_u32_e32 v8, 0, v12
	s_mov_b64 s[8:9], 0
	v_pk_mov_b32 v[4:5], v[2:3], v[2:3] op_sel:[0,1]
.LBB85_97:                              ; =>This Inner Loop Header: Depth=1
	buffer_load_dword v14, v8, s[0:3], 0 offen offset:8
	buffer_load_dword v15, v8, s[0:3], 0 offen offset:12
	buffer_load_dword v16, v8, s[0:3], 0 offen
	buffer_load_dword v17, v8, s[0:3], 0 offen offset:4
	ds_read_b128 v[10:13], v6
	v_add_u32_e32 v7, 1, v7
	v_cmp_lt_u32_e32 vcc, 19, v7
	v_add_u32_e32 v6, 16, v6
	v_add_u32_e32 v8, 16, v8
	s_or_b64 s[8:9], vcc, s[8:9]
	s_waitcnt vmcnt(2) lgkmcnt(0)
	v_mul_f64 v[18:19], v[12:13], v[14:15]
	v_mul_f64 v[14:15], v[10:11], v[14:15]
	s_waitcnt vmcnt(0)
	v_fma_f64 v[10:11], v[10:11], v[16:17], -v[18:19]
	v_fmac_f64_e32 v[14:15], v[12:13], v[16:17]
	v_add_f64 v[4:5], v[4:5], v[10:11]
	v_add_f64 v[2:3], v[2:3], v[14:15]
	s_andn2_b64 exec, exec, s[8:9]
	s_cbranch_execnz .LBB85_97
; %bb.98:
	s_or_b64 exec, exec, s[8:9]
	v_mov_b32_e32 v6, 0
	ds_read_b128 v[6:9], v6 offset:336
	s_waitcnt lgkmcnt(0)
	v_mul_f64 v[10:11], v[2:3], v[8:9]
	v_mul_f64 v[8:9], v[4:5], v[8:9]
	v_fma_f64 v[4:5], v[4:5], v[6:7], -v[10:11]
	v_fmac_f64_e32 v[8:9], v[2:3], v[6:7]
	buffer_store_dword v5, off, s[0:3], 0 offset:340
	buffer_store_dword v4, off, s[0:3], 0 offset:336
	buffer_store_dword v9, off, s[0:3], 0 offset:348
	buffer_store_dword v8, off, s[0:3], 0 offset:344
.LBB85_99:
	s_or_b64 exec, exec, s[6:7]
	s_mov_b64 s[8:9], -1
	s_waitcnt lgkmcnt(0)
	; wave barrier
.LBB85_100:
	s_and_b64 vcc, exec, s[8:9]
	s_cbranch_vccz .LBB85_102
; %bb.101:
	s_lshl_b64 s[6:7], s[10:11], 2
	s_add_u32 s6, s14, s6
	s_addc_u32 s7, s15, s7
	v_mov_b32_e32 v2, 0
	global_load_dword v2, v2, s[6:7]
	s_waitcnt vmcnt(0)
	v_cmp_ne_u32_e32 vcc, 0, v2
	s_cbranch_vccz .LBB85_103
.LBB85_102:
	s_endpgm
.LBB85_103:
	v_mov_b32_e32 v2, 0x160
	v_lshl_add_u32 v102, v130, 4, v2
	v_cmp_eq_u32_e32 vcc, 21, v130
	s_and_saveexec_b64 s[6:7], vcc
	s_cbranch_execz .LBB85_105
; %bb.104:
	buffer_load_dword v2, v110, s[0:3], 0 offen
	buffer_load_dword v3, v110, s[0:3], 0 offen offset:4
	buffer_load_dword v4, v110, s[0:3], 0 offen offset:8
	;; [unrolled: 1-line block ×3, first 2 shown]
	v_mov_b32_e32 v6, 0
	buffer_store_dword v6, off, s[0:3], 0 offset:320
	buffer_store_dword v6, off, s[0:3], 0 offset:324
	;; [unrolled: 1-line block ×4, first 2 shown]
	s_waitcnt vmcnt(4)
	ds_write_b128 v102, v[2:5]
.LBB85_105:
	s_or_b64 exec, exec, s[6:7]
	s_waitcnt lgkmcnt(0)
	; wave barrier
	s_waitcnt lgkmcnt(0)
	buffer_load_dword v8, off, s[0:3], 0 offset:344
	buffer_load_dword v9, off, s[0:3], 0 offset:348
	;; [unrolled: 1-line block ×8, first 2 shown]
	v_mov_b32_e32 v2, 0
	ds_read_b128 v[4:7], v2 offset:688
	v_cmp_lt_u32_e32 vcc, 19, v130
	s_waitcnt vmcnt(6) lgkmcnt(0)
	v_mul_f64 v[16:17], v[4:5], v[8:9]
	v_mul_f64 v[8:9], v[6:7], v[8:9]
	s_waitcnt vmcnt(4)
	v_fma_f64 v[4:5], v[4:5], v[10:11], -v[8:9]
	v_fmac_f64_e32 v[16:17], v[6:7], v[10:11]
	v_add_f64 v[4:5], v[4:5], 0
	v_add_f64 v[6:7], v[16:17], 0
	s_waitcnt vmcnt(2)
	v_add_f64 v[4:5], v[12:13], -v[4:5]
	s_waitcnt vmcnt(0)
	v_add_f64 v[6:7], v[14:15], -v[6:7]
	buffer_store_dword v4, off, s[0:3], 0 offset:320
	buffer_store_dword v5, off, s[0:3], 0 offset:324
	;; [unrolled: 1-line block ×4, first 2 shown]
	s_and_saveexec_b64 s[6:7], vcc
	s_cbranch_execz .LBB85_107
; %bb.106:
	buffer_load_dword v4, v111, s[0:3], 0 offen
	buffer_load_dword v5, v111, s[0:3], 0 offen offset:4
	buffer_load_dword v6, v111, s[0:3], 0 offen offset:8
	;; [unrolled: 1-line block ×3, first 2 shown]
	s_nop 0
	buffer_store_dword v2, off, s[0:3], 0 offset:304
	buffer_store_dword v2, off, s[0:3], 0 offset:308
	;; [unrolled: 1-line block ×4, first 2 shown]
	s_waitcnt vmcnt(4)
	ds_write_b128 v102, v[4:7]
.LBB85_107:
	s_or_b64 exec, exec, s[6:7]
	s_waitcnt lgkmcnt(0)
	; wave barrier
	s_waitcnt lgkmcnt(0)
	buffer_load_dword v12, off, s[0:3], 0 offset:328
	buffer_load_dword v13, off, s[0:3], 0 offset:332
	;; [unrolled: 1-line block ×12, first 2 shown]
	ds_read_b128 v[4:7], v2 offset:672
	ds_read_b128 v[8:11], v2 offset:688
	v_cmp_lt_u32_e32 vcc, 18, v130
	s_waitcnt vmcnt(10) lgkmcnt(1)
	v_mul_f64 v[2:3], v[4:5], v[12:13]
	v_mul_f64 v[12:13], v[6:7], v[12:13]
	s_waitcnt vmcnt(8) lgkmcnt(0)
	v_mul_f64 v[24:25], v[8:9], v[14:15]
	v_mul_f64 v[14:15], v[10:11], v[14:15]
	s_waitcnt vmcnt(6)
	v_fma_f64 v[4:5], v[4:5], v[16:17], -v[12:13]
	v_fmac_f64_e32 v[2:3], v[6:7], v[16:17]
	s_waitcnt vmcnt(4)
	v_fma_f64 v[6:7], v[8:9], v[18:19], -v[14:15]
	v_add_f64 v[4:5], v[4:5], 0
	v_fmac_f64_e32 v[24:25], v[10:11], v[18:19]
	v_add_f64 v[2:3], v[2:3], 0
	v_add_f64 v[4:5], v[4:5], v[6:7]
	;; [unrolled: 1-line block ×3, first 2 shown]
	s_waitcnt vmcnt(2)
	v_add_f64 v[4:5], v[20:21], -v[4:5]
	s_waitcnt vmcnt(0)
	v_add_f64 v[2:3], v[22:23], -v[2:3]
	buffer_store_dword v4, off, s[0:3], 0 offset:304
	buffer_store_dword v5, off, s[0:3], 0 offset:308
	;; [unrolled: 1-line block ×4, first 2 shown]
	s_and_saveexec_b64 s[6:7], vcc
	s_cbranch_execz .LBB85_109
; %bb.108:
	buffer_load_dword v2, v115, s[0:3], 0 offen
	buffer_load_dword v3, v115, s[0:3], 0 offen offset:4
	buffer_load_dword v4, v115, s[0:3], 0 offen offset:8
	;; [unrolled: 1-line block ×3, first 2 shown]
	v_mov_b32_e32 v6, 0
	buffer_store_dword v6, off, s[0:3], 0 offset:288
	buffer_store_dword v6, off, s[0:3], 0 offset:292
	buffer_store_dword v6, off, s[0:3], 0 offset:296
	buffer_store_dword v6, off, s[0:3], 0 offset:300
	s_waitcnt vmcnt(4)
	ds_write_b128 v102, v[2:5]
.LBB85_109:
	s_or_b64 exec, exec, s[6:7]
	s_waitcnt lgkmcnt(0)
	; wave barrier
	s_waitcnt lgkmcnt(0)
	buffer_load_dword v16, off, s[0:3], 0 offset:312
	buffer_load_dword v17, off, s[0:3], 0 offset:316
	;; [unrolled: 1-line block ×16, first 2 shown]
	v_mov_b32_e32 v2, 0
	ds_read_b128 v[4:7], v2 offset:656
	ds_read_b128 v[8:11], v2 offset:672
	;; [unrolled: 1-line block ×3, first 2 shown]
	v_cmp_lt_u32_e32 vcc, 17, v130
	s_waitcnt vmcnt(14) lgkmcnt(2)
	v_mul_f64 v[76:77], v[4:5], v[16:17]
	v_mul_f64 v[16:17], v[6:7], v[16:17]
	s_waitcnt vmcnt(12) lgkmcnt(1)
	v_mul_f64 v[78:79], v[8:9], v[18:19]
	v_mul_f64 v[18:19], v[10:11], v[18:19]
	;; [unrolled: 3-line block ×3, first 2 shown]
	s_waitcnt vmcnt(8)
	v_fma_f64 v[4:5], v[4:5], v[22:23], -v[16:17]
	v_fmac_f64_e32 v[76:77], v[6:7], v[22:23]
	s_waitcnt vmcnt(6)
	v_fma_f64 v[6:7], v[8:9], v[24:25], -v[18:19]
	v_add_f64 v[4:5], v[4:5], 0
	v_fmac_f64_e32 v[78:79], v[10:11], v[24:25]
	s_waitcnt vmcnt(4)
	v_fma_f64 v[8:9], v[12:13], v[26:27], -v[20:21]
	v_add_f64 v[10:11], v[76:77], 0
	v_add_f64 v[4:5], v[4:5], v[6:7]
	v_fmac_f64_e32 v[80:81], v[14:15], v[26:27]
	v_add_f64 v[10:11], v[10:11], v[78:79]
	v_add_f64 v[4:5], v[4:5], v[8:9]
	;; [unrolled: 1-line block ×3, first 2 shown]
	s_waitcnt vmcnt(2)
	v_add_f64 v[4:5], v[28:29], -v[4:5]
	s_waitcnt vmcnt(0)
	v_add_f64 v[6:7], v[74:75], -v[6:7]
	buffer_store_dword v4, off, s[0:3], 0 offset:288
	buffer_store_dword v5, off, s[0:3], 0 offset:292
	;; [unrolled: 1-line block ×4, first 2 shown]
	s_and_saveexec_b64 s[6:7], vcc
	s_cbranch_execz .LBB85_111
; %bb.110:
	buffer_load_dword v4, v114, s[0:3], 0 offen
	buffer_load_dword v5, v114, s[0:3], 0 offen offset:4
	buffer_load_dword v6, v114, s[0:3], 0 offen offset:8
	;; [unrolled: 1-line block ×3, first 2 shown]
	s_nop 0
	buffer_store_dword v2, off, s[0:3], 0 offset:272
	buffer_store_dword v2, off, s[0:3], 0 offset:276
	buffer_store_dword v2, off, s[0:3], 0 offset:280
	buffer_store_dword v2, off, s[0:3], 0 offset:284
	s_waitcnt vmcnt(4)
	ds_write_b128 v102, v[4:7]
.LBB85_111:
	s_or_b64 exec, exec, s[6:7]
	s_waitcnt lgkmcnt(0)
	; wave barrier
	s_waitcnt lgkmcnt(0)
	buffer_load_dword v20, off, s[0:3], 0 offset:296
	buffer_load_dword v21, off, s[0:3], 0 offset:300
	;; [unrolled: 1-line block ×20, first 2 shown]
	ds_read_b128 v[4:7], v2 offset:640
	ds_read_b128 v[8:11], v2 offset:656
	;; [unrolled: 1-line block ×4, first 2 shown]
	v_cmp_lt_u32_e32 vcc, 16, v130
	s_waitcnt vmcnt(18) lgkmcnt(3)
	v_mul_f64 v[2:3], v[4:5], v[20:21]
	v_mul_f64 v[20:21], v[6:7], v[20:21]
	s_waitcnt vmcnt(16) lgkmcnt(2)
	v_mul_f64 v[84:85], v[8:9], v[22:23]
	v_mul_f64 v[22:23], v[10:11], v[22:23]
	;; [unrolled: 3-line block ×4, first 2 shown]
	s_waitcnt vmcnt(10)
	v_fma_f64 v[4:5], v[4:5], v[28:29], -v[20:21]
	v_fmac_f64_e32 v[2:3], v[6:7], v[28:29]
	s_waitcnt vmcnt(8)
	v_fma_f64 v[6:7], v[8:9], v[74:75], -v[22:23]
	v_add_f64 v[4:5], v[4:5], 0
	v_fmac_f64_e32 v[84:85], v[10:11], v[74:75]
	s_waitcnt vmcnt(6)
	v_fma_f64 v[8:9], v[12:13], v[76:77], -v[24:25]
	v_add_f64 v[2:3], v[2:3], 0
	v_add_f64 v[4:5], v[4:5], v[6:7]
	v_fmac_f64_e32 v[86:87], v[14:15], v[76:77]
	s_waitcnt vmcnt(4)
	v_fma_f64 v[10:11], v[16:17], v[78:79], -v[26:27]
	v_add_f64 v[2:3], v[2:3], v[84:85]
	v_add_f64 v[4:5], v[4:5], v[8:9]
	v_fmac_f64_e32 v[88:89], v[18:19], v[78:79]
	v_add_f64 v[2:3], v[2:3], v[86:87]
	v_add_f64 v[4:5], v[4:5], v[10:11]
	;; [unrolled: 1-line block ×3, first 2 shown]
	s_waitcnt vmcnt(2)
	v_add_f64 v[4:5], v[80:81], -v[4:5]
	s_waitcnt vmcnt(0)
	v_add_f64 v[2:3], v[82:83], -v[2:3]
	buffer_store_dword v4, off, s[0:3], 0 offset:272
	buffer_store_dword v5, off, s[0:3], 0 offset:276
	;; [unrolled: 1-line block ×4, first 2 shown]
	s_and_saveexec_b64 s[6:7], vcc
	s_cbranch_execz .LBB85_113
; %bb.112:
	buffer_load_dword v2, v112, s[0:3], 0 offen
	buffer_load_dword v3, v112, s[0:3], 0 offen offset:4
	buffer_load_dword v4, v112, s[0:3], 0 offen offset:8
	;; [unrolled: 1-line block ×3, first 2 shown]
	v_mov_b32_e32 v6, 0
	buffer_store_dword v6, off, s[0:3], 0 offset:256
	buffer_store_dword v6, off, s[0:3], 0 offset:260
	;; [unrolled: 1-line block ×4, first 2 shown]
	s_waitcnt vmcnt(4)
	ds_write_b128 v102, v[2:5]
.LBB85_113:
	s_or_b64 exec, exec, s[6:7]
	s_waitcnt lgkmcnt(0)
	; wave barrier
	s_waitcnt lgkmcnt(0)
	buffer_load_dword v24, off, s[0:3], 0 offset:280
	buffer_load_dword v25, off, s[0:3], 0 offset:284
	;; [unrolled: 1-line block ×24, first 2 shown]
	v_mov_b32_e32 v2, 0
	ds_read_b128 v[4:7], v2 offset:624
	ds_read_b128 v[8:11], v2 offset:640
	;; [unrolled: 1-line block ×5, first 2 shown]
	v_cmp_lt_u32_e32 vcc, 15, v130
	s_waitcnt vmcnt(22) lgkmcnt(4)
	v_mul_f64 v[92:93], v[4:5], v[24:25]
	v_mul_f64 v[24:25], v[6:7], v[24:25]
	s_waitcnt vmcnt(20) lgkmcnt(3)
	v_mul_f64 v[94:95], v[8:9], v[26:27]
	v_mul_f64 v[26:27], v[10:11], v[26:27]
	;; [unrolled: 3-line block ×4, first 2 shown]
	s_waitcnt vmcnt(13) lgkmcnt(0)
	v_mul_f64 v[100:101], v[20:21], v[74:75]
	s_waitcnt vmcnt(11)
	v_fma_f64 v[4:5], v[4:5], v[80:81], -v[24:25]
	v_fmac_f64_e32 v[92:93], v[6:7], v[80:81]
	s_waitcnt vmcnt(9)
	v_fma_f64 v[6:7], v[8:9], v[82:83], -v[26:27]
	v_add_f64 v[4:5], v[4:5], 0
	v_fmac_f64_e32 v[94:95], v[10:11], v[82:83]
	s_waitcnt vmcnt(7)
	v_fmac_f64_e32 v[96:97], v[14:15], v[84:85]
	v_fma_f64 v[8:9], v[12:13], v[84:85], -v[28:29]
	v_add_f64 v[14:15], v[92:93], 0
	v_add_f64 v[4:5], v[4:5], v[6:7]
	v_mul_f64 v[74:75], v[22:23], v[74:75]
	s_waitcnt vmcnt(5)
	v_fma_f64 v[10:11], v[16:17], v[86:87], -v[78:79]
	v_add_f64 v[14:15], v[14:15], v[94:95]
	v_add_f64 v[4:5], v[4:5], v[8:9]
	v_fmac_f64_e32 v[98:99], v[18:19], v[86:87]
	s_waitcnt vmcnt(4)
	v_fma_f64 v[12:13], v[20:21], v[76:77], -v[74:75]
	v_add_f64 v[6:7], v[14:15], v[96:97]
	v_add_f64 v[4:5], v[4:5], v[10:11]
	v_fmac_f64_e32 v[100:101], v[22:23], v[76:77]
	v_add_f64 v[6:7], v[6:7], v[98:99]
	v_add_f64 v[4:5], v[4:5], v[12:13]
	;; [unrolled: 1-line block ×3, first 2 shown]
	s_waitcnt vmcnt(2)
	v_add_f64 v[4:5], v[88:89], -v[4:5]
	s_waitcnt vmcnt(0)
	v_add_f64 v[6:7], v[90:91], -v[6:7]
	buffer_store_dword v5, off, s[0:3], 0 offset:260
	buffer_store_dword v4, off, s[0:3], 0 offset:256
	;; [unrolled: 1-line block ×4, first 2 shown]
	s_and_saveexec_b64 s[6:7], vcc
	s_cbranch_execz .LBB85_115
; %bb.114:
	buffer_load_dword v4, v113, s[0:3], 0 offen
	buffer_load_dword v5, v113, s[0:3], 0 offen offset:4
	buffer_load_dword v6, v113, s[0:3], 0 offen offset:8
	;; [unrolled: 1-line block ×3, first 2 shown]
	s_nop 0
	buffer_store_dword v2, off, s[0:3], 0 offset:240
	buffer_store_dword v2, off, s[0:3], 0 offset:244
	;; [unrolled: 1-line block ×4, first 2 shown]
	s_waitcnt vmcnt(4)
	ds_write_b128 v102, v[4:7]
.LBB85_115:
	s_or_b64 exec, exec, s[6:7]
	s_waitcnt lgkmcnt(0)
	; wave barrier
	s_waitcnt lgkmcnt(0)
	ds_read_b128 v[4:7], v2 offset:608
	ds_read_b128 v[8:11], v2 offset:624
	;; [unrolled: 1-line block ×4, first 2 shown]
	buffer_load_dword v28, off, s[0:3], 0 offset:240
	buffer_load_dword v29, off, s[0:3], 0 offset:244
	;; [unrolled: 1-line block ×20, first 2 shown]
	v_cmp_lt_u32_e32 vcc, 14, v130
	s_waitcnt vmcnt(12) lgkmcnt(3)
	v_mul_f64 v[20:21], v[4:5], v[78:79]
	v_fmac_f64_e32 v[20:21], v[6:7], v[76:77]
	v_add_f64 v[20:21], v[20:21], 0
	v_mul_f64 v[6:7], v[6:7], v[78:79]
	s_waitcnt vmcnt(8) lgkmcnt(2)
	v_mul_f64 v[22:23], v[8:9], v[82:83]
	v_fmac_f64_e32 v[22:23], v[10:11], v[80:81]
	v_add_f64 v[20:21], v[20:21], v[22:23]
	v_fma_f64 v[4:5], v[4:5], v[76:77], -v[6:7]
	s_waitcnt vmcnt(4) lgkmcnt(1)
	v_mul_f64 v[22:23], v[12:13], v[86:87]
	v_fmac_f64_e32 v[22:23], v[14:15], v[84:85]
	v_add_f64 v[20:21], v[20:21], v[22:23]
	s_waitcnt vmcnt(0) lgkmcnt(0)
	v_mul_f64 v[22:23], v[16:17], v[90:91]
	v_fmac_f64_e32 v[22:23], v[18:19], v[88:89]
	v_add_f64 v[24:25], v[20:21], v[22:23]
	ds_read_b128 v[20:23], v2 offset:672
	buffer_load_dword v93, off, s[0:3], 0 offset:324
	buffer_load_dword v92, off, s[0:3], 0 offset:320
	;; [unrolled: 1-line block ×4, first 2 shown]
	v_mul_f64 v[6:7], v[10:11], v[82:83]
	v_add_f64 v[4:5], v[4:5], 0
	v_fma_f64 v[6:7], v[8:9], v[80:81], -v[6:7]
	v_add_f64 v[4:5], v[4:5], v[6:7]
	v_mul_f64 v[6:7], v[14:15], v[86:87]
	v_fma_f64 v[6:7], v[12:13], v[84:85], -v[6:7]
	v_add_f64 v[4:5], v[4:5], v[6:7]
	v_mul_f64 v[6:7], v[18:19], v[90:91]
	v_fma_f64 v[6:7], v[16:17], v[88:89], -v[6:7]
	v_add_f64 v[4:5], v[4:5], v[6:7]
	s_waitcnt vmcnt(0) lgkmcnt(0)
	v_mul_f64 v[26:27], v[20:21], v[94:95]
	v_fmac_f64_e32 v[26:27], v[22:23], v[92:93]
	v_add_f64 v[96:97], v[24:25], v[26:27]
	ds_read_b128 v[24:27], v2 offset:688
	buffer_load_dword v3, off, s[0:3], 0 offset:340
	buffer_load_dword v2, off, s[0:3], 0 offset:336
	;; [unrolled: 1-line block ×4, first 2 shown]
	v_mul_f64 v[6:7], v[22:23], v[94:95]
	v_fma_f64 v[6:7], v[20:21], v[92:93], -v[6:7]
	v_add_f64 v[4:5], v[4:5], v[6:7]
	s_waitcnt vmcnt(0) lgkmcnt(0)
	v_mul_f64 v[100:101], v[24:25], v[98:99]
	v_mul_f64 v[6:7], v[26:27], v[98:99]
	v_fmac_f64_e32 v[100:101], v[26:27], v[2:3]
	v_fma_f64 v[2:3], v[24:25], v[2:3], -v[6:7]
	v_add_f64 v[2:3], v[4:5], v[2:3]
	v_add_f64 v[96:97], v[96:97], v[100:101]
	v_add_f64 v[2:3], v[28:29], -v[2:3]
	v_add_f64 v[4:5], v[74:75], -v[96:97]
	buffer_store_dword v3, off, s[0:3], 0 offset:244
	buffer_store_dword v2, off, s[0:3], 0 offset:240
	;; [unrolled: 1-line block ×4, first 2 shown]
	s_and_saveexec_b64 s[6:7], vcc
	s_cbranch_execz .LBB85_117
; %bb.116:
	buffer_load_dword v2, v118, s[0:3], 0 offen
	buffer_load_dword v3, v118, s[0:3], 0 offen offset:4
	buffer_load_dword v4, v118, s[0:3], 0 offen offset:8
	;; [unrolled: 1-line block ×3, first 2 shown]
	v_mov_b32_e32 v6, 0
	buffer_store_dword v6, off, s[0:3], 0 offset:224
	buffer_store_dword v6, off, s[0:3], 0 offset:228
	;; [unrolled: 1-line block ×4, first 2 shown]
	s_waitcnt vmcnt(4)
	ds_write_b128 v102, v[2:5]
.LBB85_117:
	s_or_b64 exec, exec, s[6:7]
	s_waitcnt lgkmcnt(0)
	; wave barrier
	s_waitcnt lgkmcnt(0)
	buffer_load_dword v28, off, s[0:3], 0 offset:248
	buffer_load_dword v29, off, s[0:3], 0 offset:252
	buffer_load_dword v78, off, s[0:3], 0 offset:264
	buffer_load_dword v79, off, s[0:3], 0 offset:268
	buffer_load_dword v80, off, s[0:3], 0 offset:280
	buffer_load_dword v81, off, s[0:3], 0 offset:284
	buffer_load_dword v83, off, s[0:3], 0 offset:316
	buffer_load_dword v82, off, s[0:3], 0 offset:312
	buffer_load_dword v84, off, s[0:3], 0 offset:304
	buffer_load_dword v87, off, s[0:3], 0 offset:300
	buffer_load_dword v86, off, s[0:3], 0 offset:296
	buffer_load_dword v88, off, s[0:3], 0 offset:344
	buffer_load_dword v90, off, s[0:3], 0 offset:336
	buffer_load_dword v93, off, s[0:3], 0 offset:332
	buffer_load_dword v92, off, s[0:3], 0 offset:328
	buffer_load_dword v89, off, s[0:3], 0 offset:348
	buffer_load_dword v85, off, s[0:3], 0 offset:308
	buffer_load_dword v94, off, s[0:3], 0 offset:240
	buffer_load_dword v95, off, s[0:3], 0 offset:244
	buffer_load_dword v96, off, s[0:3], 0 offset:256
	buffer_load_dword v97, off, s[0:3], 0 offset:260
	buffer_load_dword v98, off, s[0:3], 0 offset:272
	buffer_load_dword v99, off, s[0:3], 0 offset:276
	buffer_load_dword v101, off, s[0:3], 0 offset:292
	buffer_load_dword v100, off, s[0:3], 0 offset:288
	buffer_load_dword v105, off, s[0:3], 0 offset:324
	buffer_load_dword v104, off, s[0:3], 0 offset:320
	buffer_load_dword v91, off, s[0:3], 0 offset:340
	buffer_load_dword v106, off, s[0:3], 0 offset:224
	buffer_load_dword v107, off, s[0:3], 0 offset:228
	buffer_load_dword v108, off, s[0:3], 0 offset:232
	buffer_load_dword v109, off, s[0:3], 0 offset:236
	v_mov_b32_e32 v2, 0
	ds_read_b128 v[4:7], v2 offset:592
	ds_read_b128 v[8:11], v2 offset:608
	;; [unrolled: 1-line block ×7, first 2 shown]
	v_cmp_lt_u32_e32 vcc, 13, v130
	s_waitcnt vmcnt(30) lgkmcnt(6)
	v_mul_f64 v[132:133], v[4:5], v[28:29]
	v_mul_f64 v[28:29], v[6:7], v[28:29]
	s_waitcnt vmcnt(28) lgkmcnt(5)
	v_mul_f64 v[134:135], v[8:9], v[78:79]
	v_mul_f64 v[78:79], v[10:11], v[78:79]
	;; [unrolled: 3-line block ×4, first 2 shown]
	s_waitcnt vmcnt(21)
	v_mul_f64 v[138:139], v[16:17], v[86:87]
	v_mul_f64 v[86:87], v[18:19], v[86:87]
	s_waitcnt vmcnt(17) lgkmcnt(1)
	v_mul_f64 v[142:143], v[24:25], v[92:93]
	v_mul_f64 v[92:93], v[26:27], v[92:93]
	s_waitcnt vmcnt(16) lgkmcnt(0)
	v_mul_f64 v[144:145], v[74:75], v[88:89]
	v_mul_f64 v[88:89], v[76:77], v[88:89]
	s_waitcnt vmcnt(13)
	v_fma_f64 v[4:5], v[4:5], v[94:95], -v[28:29]
	v_fmac_f64_e32 v[132:133], v[6:7], v[94:95]
	s_waitcnt vmcnt(11)
	v_fma_f64 v[6:7], v[8:9], v[96:97], -v[78:79]
	v_add_f64 v[4:5], v[4:5], 0
	v_fmac_f64_e32 v[134:135], v[10:11], v[96:97]
	s_waitcnt vmcnt(9)
	v_fma_f64 v[8:9], v[12:13], v[98:99], -v[80:81]
	s_waitcnt vmcnt(7)
	v_fmac_f64_e32 v[138:139], v[18:19], v[100:101]
	v_add_f64 v[18:19], v[132:133], 0
	v_add_f64 v[4:5], v[4:5], v[6:7]
	v_fmac_f64_e32 v[136:137], v[14:15], v[98:99]
	v_fma_f64 v[10:11], v[16:17], v[100:101], -v[86:87]
	v_add_f64 v[18:19], v[18:19], v[134:135]
	v_add_f64 v[4:5], v[4:5], v[8:9]
	v_fma_f64 v[12:13], v[20:21], v[84:85], -v[82:83]
	v_add_f64 v[6:7], v[18:19], v[136:137]
	v_add_f64 v[4:5], v[4:5], v[10:11]
	v_fmac_f64_e32 v[140:141], v[22:23], v[84:85]
	s_waitcnt vmcnt(5)
	v_fma_f64 v[14:15], v[24:25], v[104:105], -v[92:93]
	v_add_f64 v[6:7], v[6:7], v[138:139]
	v_add_f64 v[4:5], v[4:5], v[12:13]
	v_fmac_f64_e32 v[142:143], v[26:27], v[104:105]
	s_waitcnt vmcnt(4)
	v_fma_f64 v[16:17], v[74:75], v[90:91], -v[88:89]
	v_add_f64 v[6:7], v[6:7], v[140:141]
	v_add_f64 v[4:5], v[4:5], v[14:15]
	v_fmac_f64_e32 v[144:145], v[76:77], v[90:91]
	v_add_f64 v[6:7], v[6:7], v[142:143]
	v_add_f64 v[4:5], v[4:5], v[16:17]
	;; [unrolled: 1-line block ×3, first 2 shown]
	s_waitcnt vmcnt(2)
	v_add_f64 v[4:5], v[106:107], -v[4:5]
	s_waitcnt vmcnt(0)
	v_add_f64 v[6:7], v[108:109], -v[6:7]
	buffer_store_dword v5, off, s[0:3], 0 offset:228
	buffer_store_dword v4, off, s[0:3], 0 offset:224
	;; [unrolled: 1-line block ×4, first 2 shown]
	s_and_saveexec_b64 s[6:7], vcc
	s_cbranch_execz .LBB85_119
; %bb.118:
	buffer_load_dword v4, v119, s[0:3], 0 offen
	buffer_load_dword v5, v119, s[0:3], 0 offen offset:4
	buffer_load_dword v6, v119, s[0:3], 0 offen offset:8
	;; [unrolled: 1-line block ×3, first 2 shown]
	s_nop 0
	buffer_store_dword v2, off, s[0:3], 0 offset:208
	buffer_store_dword v2, off, s[0:3], 0 offset:212
	;; [unrolled: 1-line block ×4, first 2 shown]
	s_waitcnt vmcnt(4)
	ds_write_b128 v102, v[4:7]
.LBB85_119:
	s_or_b64 exec, exec, s[6:7]
	s_waitcnt lgkmcnt(0)
	; wave barrier
	s_waitcnt lgkmcnt(0)
	buffer_load_dword v28, off, s[0:3], 0 offset:232
	buffer_load_dword v29, off, s[0:3], 0 offset:236
	;; [unrolled: 1-line block ×36, first 2 shown]
	ds_read_b128 v[4:7], v2 offset:576
	ds_read_b128 v[8:11], v2 offset:592
	;; [unrolled: 1-line block ×8, first 2 shown]
	v_cmp_lt_u32_e32 vcc, 12, v130
	s_waitcnt vmcnt(34) lgkmcnt(7)
	v_mul_f64 v[2:3], v[4:5], v[28:29]
	v_mul_f64 v[28:29], v[6:7], v[28:29]
	s_waitcnt vmcnt(32) lgkmcnt(6)
	v_mul_f64 v[140:141], v[8:9], v[82:83]
	v_mul_f64 v[82:83], v[10:11], v[82:83]
	;; [unrolled: 3-line block ×4, first 2 shown]
	s_waitcnt vmcnt(25)
	v_mul_f64 v[144:145], v[16:17], v[90:91]
	v_mul_f64 v[90:91], v[18:19], v[90:91]
	s_waitcnt vmcnt(23) lgkmcnt(1)
	v_mul_f64 v[150:151], v[74:75], v[92:93]
	v_mul_f64 v[92:93], v[76:77], v[92:93]
	s_waitcnt vmcnt(20)
	v_mul_f64 v[148:149], v[24:25], v[96:97]
	v_mul_f64 v[96:97], v[26:27], v[96:97]
	s_waitcnt vmcnt(18) lgkmcnt(0)
	v_mul_f64 v[152:153], v[78:79], v[98:99]
	s_waitcnt vmcnt(17)
	v_fmac_f64_e32 v[146:147], v[22:23], v[88:89]
	s_waitcnt vmcnt(16)
	v_fmac_f64_e32 v[150:151], v[76:77], v[94:95]
	s_waitcnt vmcnt(14)
	v_fma_f64 v[4:5], v[4:5], v[100:101], -v[28:29]
	v_fmac_f64_e32 v[2:3], v[6:7], v[100:101]
	s_waitcnt vmcnt(12)
	v_fma_f64 v[6:7], v[8:9], v[104:105], -v[82:83]
	v_add_f64 v[4:5], v[4:5], 0
	v_fmac_f64_e32 v[140:141], v[10:11], v[104:105]
	s_waitcnt vmcnt(10)
	v_fma_f64 v[8:9], v[12:13], v[106:107], -v[84:85]
	v_add_f64 v[2:3], v[2:3], 0
	v_add_f64 v[4:5], v[4:5], v[6:7]
	v_fmac_f64_e32 v[142:143], v[14:15], v[106:107]
	s_waitcnt vmcnt(8)
	v_fma_f64 v[10:11], v[16:17], v[108:109], -v[90:91]
	v_add_f64 v[2:3], v[2:3], v[140:141]
	v_add_f64 v[4:5], v[4:5], v[8:9]
	v_fmac_f64_e32 v[144:145], v[18:19], v[108:109]
	v_fma_f64 v[12:13], v[20:21], v[88:89], -v[86:87]
	v_add_f64 v[2:3], v[2:3], v[142:143]
	v_add_f64 v[4:5], v[4:5], v[10:11]
	s_waitcnt vmcnt(6)
	v_fma_f64 v[14:15], v[24:25], v[132:133], -v[96:97]
	v_add_f64 v[2:3], v[2:3], v[144:145]
	v_add_f64 v[4:5], v[4:5], v[12:13]
	v_fmac_f64_e32 v[148:149], v[26:27], v[132:133]
	v_fma_f64 v[16:17], v[74:75], v[94:95], -v[92:93]
	v_add_f64 v[2:3], v[2:3], v[146:147]
	v_add_f64 v[4:5], v[4:5], v[14:15]
	v_mul_f64 v[6:7], v[80:81], v[98:99]
	v_add_f64 v[2:3], v[2:3], v[148:149]
	v_add_f64 v[4:5], v[4:5], v[16:17]
	s_waitcnt vmcnt(4)
	v_fma_f64 v[6:7], v[78:79], v[134:135], -v[6:7]
	v_fmac_f64_e32 v[152:153], v[80:81], v[134:135]
	v_add_f64 v[2:3], v[2:3], v[150:151]
	v_add_f64 v[4:5], v[4:5], v[6:7]
	v_add_f64 v[2:3], v[2:3], v[152:153]
	s_waitcnt vmcnt(2)
	v_add_f64 v[4:5], v[136:137], -v[4:5]
	s_waitcnt vmcnt(0)
	v_add_f64 v[2:3], v[138:139], -v[2:3]
	buffer_store_dword v5, off, s[0:3], 0 offset:212
	buffer_store_dword v4, off, s[0:3], 0 offset:208
	;; [unrolled: 1-line block ×4, first 2 shown]
	s_and_saveexec_b64 s[6:7], vcc
	s_cbranch_execz .LBB85_121
; %bb.120:
	buffer_load_dword v2, v117, s[0:3], 0 offen
	buffer_load_dword v3, v117, s[0:3], 0 offen offset:4
	buffer_load_dword v4, v117, s[0:3], 0 offen offset:8
	;; [unrolled: 1-line block ×3, first 2 shown]
	v_mov_b32_e32 v6, 0
	buffer_store_dword v6, off, s[0:3], 0 offset:192
	buffer_store_dword v6, off, s[0:3], 0 offset:196
	;; [unrolled: 1-line block ×4, first 2 shown]
	s_waitcnt vmcnt(4)
	ds_write_b128 v102, v[2:5]
.LBB85_121:
	s_or_b64 exec, exec, s[6:7]
	s_waitcnt lgkmcnt(0)
	; wave barrier
	s_waitcnt lgkmcnt(0)
	buffer_load_dword v82, off, s[0:3], 0 offset:216
	buffer_load_dword v83, off, s[0:3], 0 offset:220
	;; [unrolled: 1-line block ×40, first 2 shown]
	v_mov_b32_e32 v88, 0
	ds_read_b128 v[2:5], v88 offset:560
	ds_read_b128 v[6:9], v88 offset:576
	;; [unrolled: 1-line block ×9, first 2 shown]
	v_cmp_lt_u32_e32 vcc, 11, v130
	s_waitcnt vmcnt(38) lgkmcnt(8)
	v_mul_f64 v[148:149], v[2:3], v[82:83]
	v_mul_f64 v[82:83], v[4:5], v[82:83]
	s_waitcnt vmcnt(36) lgkmcnt(7)
	v_mul_f64 v[150:151], v[6:7], v[84:85]
	v_mul_f64 v[84:85], v[8:9], v[84:85]
	;; [unrolled: 3-line block ×3, first 2 shown]
	s_waitcnt vmcnt(32) lgkmcnt(4)
	v_mul_f64 v[156:157], v[18:19], v[90:91]
	s_waitcnt vmcnt(30)
	v_fmac_f64_e32 v[156:157], v[20:21], v[92:93]
	s_waitcnt vmcnt(28)
	v_mul_f64 v[154:155], v[14:15], v[94:95]
	v_mul_f64 v[94:95], v[16:17], v[94:95]
	s_waitcnt vmcnt(26) lgkmcnt(2)
	v_mul_f64 v[160:161], v[26:27], v[96:97]
	s_waitcnt vmcnt(24)
	v_fmac_f64_e32 v[160:161], v[28:29], v[98:99]
	s_waitcnt vmcnt(22)
	v_mul_f64 v[158:159], v[22:23], v[100:101]
	s_waitcnt vmcnt(18) lgkmcnt(1)
	v_mul_f64 v[162:163], v[74:75], v[108:109]
	s_waitcnt vmcnt(17) lgkmcnt(0)
	v_mul_f64 v[164:165], v[78:79], v[104:105]
	s_waitcnt vmcnt(15)
	v_fma_f64 v[2:3], v[2:3], v[132:133], -v[82:83]
	v_fmac_f64_e32 v[148:149], v[4:5], v[132:133]
	s_waitcnt vmcnt(13)
	v_fma_f64 v[4:5], v[6:7], v[134:135], -v[84:85]
	v_add_f64 v[2:3], v[2:3], 0
	s_waitcnt vmcnt(11)
	v_fma_f64 v[6:7], v[10:11], v[136:137], -v[86:87]
	v_add_f64 v[2:3], v[2:3], v[4:5]
	v_fmac_f64_e32 v[150:151], v[8:9], v[134:135]
	s_waitcnt vmcnt(9)
	v_fma_f64 v[8:9], v[14:15], v[138:139], -v[94:95]
	v_add_f64 v[2:3], v[2:3], v[6:7]
	v_mul_f64 v[6:7], v[20:21], v[90:91]
	v_add_f64 v[2:3], v[2:3], v[8:9]
	v_fma_f64 v[6:7], v[18:19], v[92:93], -v[6:7]
	v_add_f64 v[2:3], v[2:3], v[6:7]
	v_mul_f64 v[6:7], v[24:25], v[100:101]
	v_add_f64 v[10:11], v[148:149], 0
	s_waitcnt vmcnt(7)
	v_fma_f64 v[6:7], v[22:23], v[140:141], -v[6:7]
	v_fmac_f64_e32 v[152:153], v[12:13], v[136:137]
	v_add_f64 v[10:11], v[10:11], v[150:151]
	v_add_f64 v[2:3], v[2:3], v[6:7]
	v_mul_f64 v[6:7], v[28:29], v[96:97]
	v_fmac_f64_e32 v[154:155], v[16:17], v[138:139]
	v_add_f64 v[4:5], v[10:11], v[152:153]
	v_fma_f64 v[6:7], v[26:27], v[98:99], -v[6:7]
	v_add_f64 v[4:5], v[4:5], v[154:155]
	v_add_f64 v[2:3], v[2:3], v[6:7]
	v_mul_f64 v[6:7], v[76:77], v[108:109]
	v_fmac_f64_e32 v[158:159], v[24:25], v[140:141]
	v_add_f64 v[4:5], v[4:5], v[156:157]
	s_waitcnt vmcnt(5)
	v_fma_f64 v[6:7], v[74:75], v[142:143], -v[6:7]
	v_add_f64 v[4:5], v[4:5], v[158:159]
	v_add_f64 v[2:3], v[2:3], v[6:7]
	v_mul_f64 v[6:7], v[80:81], v[104:105]
	v_fmac_f64_e32 v[162:163], v[76:77], v[142:143]
	v_add_f64 v[4:5], v[4:5], v[160:161]
	s_waitcnt vmcnt(4)
	v_fma_f64 v[6:7], v[78:79], v[106:107], -v[6:7]
	v_fmac_f64_e32 v[164:165], v[80:81], v[106:107]
	v_add_f64 v[4:5], v[4:5], v[162:163]
	v_add_f64 v[2:3], v[2:3], v[6:7]
	;; [unrolled: 1-line block ×3, first 2 shown]
	s_waitcnt vmcnt(2)
	v_add_f64 v[2:3], v[144:145], -v[2:3]
	s_waitcnt vmcnt(0)
	v_add_f64 v[4:5], v[146:147], -v[4:5]
	buffer_store_dword v3, off, s[0:3], 0 offset:196
	buffer_store_dword v2, off, s[0:3], 0 offset:192
	;; [unrolled: 1-line block ×4, first 2 shown]
	s_and_saveexec_b64 s[6:7], vcc
	s_cbranch_execz .LBB85_123
; %bb.122:
	buffer_load_dword v2, v116, s[0:3], 0 offen
	buffer_load_dword v3, v116, s[0:3], 0 offen offset:4
	buffer_load_dword v4, v116, s[0:3], 0 offen offset:8
	;; [unrolled: 1-line block ×3, first 2 shown]
	s_nop 0
	buffer_store_dword v88, off, s[0:3], 0 offset:176
	buffer_store_dword v88, off, s[0:3], 0 offset:180
	;; [unrolled: 1-line block ×4, first 2 shown]
	s_waitcnt vmcnt(4)
	ds_write_b128 v102, v[2:5]
.LBB85_123:
	s_or_b64 exec, exec, s[6:7]
	s_waitcnt lgkmcnt(0)
	; wave barrier
	s_waitcnt lgkmcnt(0)
	ds_read_b128 v[14:17], v88 offset:544
	ds_read_b128 v[10:13], v88 offset:560
	;; [unrolled: 1-line block ×4, first 2 shown]
	buffer_load_dword v24, off, s[0:3], 0 offset:176
	buffer_load_dword v25, off, s[0:3], 0 offset:180
	buffer_load_dword v22, off, s[0:3], 0 offset:184
	buffer_load_dword v23, off, s[0:3], 0 offset:188
	buffer_load_dword v82, off, s[0:3], 0 offset:192
	buffer_load_dword v83, off, s[0:3], 0 offset:196
	buffer_load_dword v84, off, s[0:3], 0 offset:200
	buffer_load_dword v85, off, s[0:3], 0 offset:204
	buffer_load_dword v74, off, s[0:3], 0 offset:208
	buffer_load_dword v75, off, s[0:3], 0 offset:212
	buffer_load_dword v86, off, s[0:3], 0 offset:216
	buffer_load_dword v87, off, s[0:3], 0 offset:220
	buffer_load_dword v26, off, s[0:3], 0 offset:224
	buffer_load_dword v27, off, s[0:3], 0 offset:228
	buffer_load_dword v28, off, s[0:3], 0 offset:232
	buffer_load_dword v29, off, s[0:3], 0 offset:236
	buffer_load_dword v77, off, s[0:3], 0 offset:244
	buffer_load_dword v76, off, s[0:3], 0 offset:240
	buffer_load_dword v79, off, s[0:3], 0 offset:252
	buffer_load_dword v78, off, s[0:3], 0 offset:248
	v_cmp_lt_u32_e32 vcc, 10, v130
	s_waitcnt vmcnt(12) lgkmcnt(3)
	v_mul_f64 v[18:19], v[14:15], v[84:85]
	v_fmac_f64_e32 v[18:19], v[16:17], v[82:83]
	v_add_f64 v[18:19], v[18:19], 0
	v_mul_f64 v[16:17], v[16:17], v[84:85]
	s_waitcnt vmcnt(8) lgkmcnt(2)
	v_mul_f64 v[20:21], v[10:11], v[86:87]
	v_fmac_f64_e32 v[20:21], v[12:13], v[74:75]
	v_add_f64 v[18:19], v[18:19], v[20:21]
	v_fma_f64 v[14:15], v[14:15], v[82:83], -v[16:17]
	s_waitcnt vmcnt(4) lgkmcnt(1)
	v_mul_f64 v[20:21], v[6:7], v[28:29]
	v_fmac_f64_e32 v[20:21], v[8:9], v[26:27]
	v_add_f64 v[18:19], v[18:19], v[20:21]
	s_waitcnt vmcnt(0) lgkmcnt(0)
	v_mul_f64 v[20:21], v[2:3], v[78:79]
	v_fmac_f64_e32 v[20:21], v[4:5], v[76:77]
	v_add_f64 v[90:91], v[18:19], v[20:21]
	ds_read_b128 v[18:21], v88 offset:608
	buffer_load_dword v81, off, s[0:3], 0 offset:260
	buffer_load_dword v80, off, s[0:3], 0 offset:256
	;; [unrolled: 1-line block ×4, first 2 shown]
	v_mul_f64 v[12:13], v[12:13], v[86:87]
	v_add_f64 v[14:15], v[14:15], 0
	v_fma_f64 v[10:11], v[10:11], v[74:75], -v[12:13]
	v_mul_f64 v[8:9], v[8:9], v[28:29]
	v_add_f64 v[10:11], v[14:15], v[10:11]
	v_fma_f64 v[6:7], v[6:7], v[26:27], -v[8:9]
	;; [unrolled: 3-line block ×3, first 2 shown]
	v_add_f64 v[2:3], v[6:7], v[2:3]
	s_waitcnt vmcnt(0) lgkmcnt(0)
	v_mul_f64 v[92:93], v[18:19], v[108:109]
	v_fmac_f64_e32 v[92:93], v[20:21], v[80:81]
	v_add_f64 v[94:95], v[90:91], v[92:93]
	ds_read_b128 v[90:93], v88 offset:624
	buffer_load_dword v137, off, s[0:3], 0 offset:276
	buffer_load_dword v136, off, s[0:3], 0 offset:272
	buffer_load_dword v139, off, s[0:3], 0 offset:284
	buffer_load_dword v138, off, s[0:3], 0 offset:280
	v_mul_f64 v[4:5], v[20:21], v[108:109]
	v_fma_f64 v[4:5], v[18:19], v[80:81], -v[4:5]
	v_add_f64 v[2:3], v[2:3], v[4:5]
	s_waitcnt vmcnt(0) lgkmcnt(0)
	v_mul_f64 v[96:97], v[90:91], v[138:139]
	v_fmac_f64_e32 v[96:97], v[92:93], v[136:137]
	v_add_f64 v[98:99], v[94:95], v[96:97]
	ds_read_b128 v[94:97], v88 offset:640
	buffer_load_dword v141, off, s[0:3], 0 offset:292
	buffer_load_dword v140, off, s[0:3], 0 offset:288
	buffer_load_dword v143, off, s[0:3], 0 offset:300
	buffer_load_dword v142, off, s[0:3], 0 offset:296
	v_mul_f64 v[4:5], v[92:93], v[138:139]
	v_fma_f64 v[4:5], v[90:91], v[136:137], -v[4:5]
	;; [unrolled: 12-line block ×5, first 2 shown]
	v_add_f64 v[2:3], v[2:3], v[4:5]
	s_waitcnt vmcnt(0) lgkmcnt(0)
	v_mul_f64 v[4:5], v[134:135], v[154:155]
	v_mul_f64 v[156:157], v[132:133], v[154:155]
	v_fma_f64 v[4:5], v[132:133], v[88:89], -v[4:5]
	v_fmac_f64_e32 v[156:157], v[134:135], v[88:89]
	v_add_f64 v[2:3], v[2:3], v[4:5]
	v_add_f64 v[152:153], v[152:153], v[156:157]
	v_add_f64 v[2:3], v[24:25], -v[2:3]
	v_add_f64 v[4:5], v[22:23], -v[152:153]
	buffer_store_dword v3, off, s[0:3], 0 offset:180
	buffer_store_dword v2, off, s[0:3], 0 offset:176
	;; [unrolled: 1-line block ×4, first 2 shown]
	s_and_saveexec_b64 s[6:7], vcc
	s_cbranch_execz .LBB85_125
; %bb.124:
	buffer_load_dword v2, v123, s[0:3], 0 offen
	buffer_load_dword v3, v123, s[0:3], 0 offen offset:4
	buffer_load_dword v4, v123, s[0:3], 0 offen offset:8
	;; [unrolled: 1-line block ×3, first 2 shown]
	v_mov_b32_e32 v6, 0
	buffer_store_dword v6, off, s[0:3], 0 offset:160
	buffer_store_dword v6, off, s[0:3], 0 offset:164
	buffer_store_dword v6, off, s[0:3], 0 offset:168
	buffer_store_dword v6, off, s[0:3], 0 offset:172
	s_waitcnt vmcnt(4)
	ds_write_b128 v102, v[2:5]
.LBB85_125:
	s_or_b64 exec, exec, s[6:7]
	v_mov_b32_e32 v103, 0
	s_waitcnt lgkmcnt(0)
	; wave barrier
	s_waitcnt lgkmcnt(0)
	ds_read_b128 v[14:17], v103 offset:528
	ds_read_b128 v[10:13], v103 offset:544
	;; [unrolled: 1-line block ×4, first 2 shown]
	buffer_load_dword v76, off, s[0:3], 0 offset:160
	buffer_load_dword v77, off, s[0:3], 0 offset:164
	;; [unrolled: 1-line block ×20, first 2 shown]
	v_cmp_lt_u32_e32 vcc, 9, v130
	s_waitcnt vmcnt(12) lgkmcnt(3)
	v_mul_f64 v[18:19], v[14:15], v[84:85]
	v_fmac_f64_e32 v[18:19], v[16:17], v[78:79]
	v_add_f64 v[18:19], v[18:19], 0
	v_mul_f64 v[16:17], v[16:17], v[84:85]
	s_waitcnt vmcnt(8) lgkmcnt(2)
	v_mul_f64 v[20:21], v[10:11], v[86:87]
	v_fmac_f64_e32 v[20:21], v[12:13], v[80:81]
	v_add_f64 v[18:19], v[18:19], v[20:21]
	v_fma_f64 v[14:15], v[14:15], v[78:79], -v[16:17]
	s_waitcnt vmcnt(4) lgkmcnt(1)
	v_mul_f64 v[20:21], v[6:7], v[88:89]
	v_fmac_f64_e32 v[20:21], v[8:9], v[82:83]
	v_add_f64 v[18:19], v[18:19], v[20:21]
	s_waitcnt vmcnt(0) lgkmcnt(0)
	v_mul_f64 v[20:21], v[2:3], v[92:93]
	v_fmac_f64_e32 v[20:21], v[4:5], v[90:91]
	v_add_f64 v[22:23], v[18:19], v[20:21]
	ds_read_b128 v[18:21], v103 offset:592
	buffer_load_dword v95, off, s[0:3], 0 offset:244
	buffer_load_dword v94, off, s[0:3], 0 offset:240
	;; [unrolled: 1-line block ×4, first 2 shown]
	v_mul_f64 v[12:13], v[12:13], v[86:87]
	v_add_f64 v[14:15], v[14:15], 0
	v_fma_f64 v[10:11], v[10:11], v[80:81], -v[12:13]
	v_mul_f64 v[8:9], v[8:9], v[88:89]
	v_add_f64 v[10:11], v[14:15], v[10:11]
	v_fma_f64 v[6:7], v[6:7], v[82:83], -v[8:9]
	;; [unrolled: 3-line block ×3, first 2 shown]
	v_add_f64 v[2:3], v[6:7], v[2:3]
	s_waitcnt vmcnt(0) lgkmcnt(0)
	v_mul_f64 v[24:25], v[18:19], v[96:97]
	v_fmac_f64_e32 v[24:25], v[20:21], v[94:95]
	v_add_f64 v[26:27], v[22:23], v[24:25]
	ds_read_b128 v[22:25], v103 offset:608
	buffer_load_dword v99, off, s[0:3], 0 offset:260
	buffer_load_dword v98, off, s[0:3], 0 offset:256
	buffer_load_dword v101, off, s[0:3], 0 offset:268
	buffer_load_dword v100, off, s[0:3], 0 offset:264
	v_mul_f64 v[4:5], v[20:21], v[96:97]
	v_fma_f64 v[4:5], v[18:19], v[94:95], -v[4:5]
	v_add_f64 v[2:3], v[2:3], v[4:5]
	s_waitcnt vmcnt(0) lgkmcnt(0)
	v_mul_f64 v[28:29], v[22:23], v[100:101]
	v_fmac_f64_e32 v[28:29], v[24:25], v[98:99]
	v_add_f64 v[104:105], v[26:27], v[28:29]
	ds_read_b128 v[26:29], v103 offset:624
	buffer_load_dword v109, off, s[0:3], 0 offset:276
	buffer_load_dword v108, off, s[0:3], 0 offset:272
	buffer_load_dword v145, off, s[0:3], 0 offset:284
	buffer_load_dword v144, off, s[0:3], 0 offset:280
	v_mul_f64 v[4:5], v[24:25], v[100:101]
	v_fma_f64 v[4:5], v[22:23], v[98:99], -v[4:5]
	;; [unrolled: 12-line block ×6, first 2 shown]
	v_add_f64 v[2:3], v[2:3], v[4:5]
	s_waitcnt vmcnt(0) lgkmcnt(0)
	v_mul_f64 v[4:5], v[142:143], v[162:163]
	v_mul_f64 v[164:165], v[140:141], v[162:163]
	v_fma_f64 v[4:5], v[140:141], v[160:161], -v[4:5]
	v_fmac_f64_e32 v[164:165], v[142:143], v[160:161]
	v_add_f64 v[2:3], v[2:3], v[4:5]
	v_add_f64 v[158:159], v[158:159], v[164:165]
	v_add_f64 v[2:3], v[76:77], -v[2:3]
	v_add_f64 v[4:5], v[74:75], -v[158:159]
	buffer_store_dword v3, off, s[0:3], 0 offset:164
	buffer_store_dword v2, off, s[0:3], 0 offset:160
	;; [unrolled: 1-line block ×4, first 2 shown]
	s_and_saveexec_b64 s[6:7], vcc
	s_cbranch_execz .LBB85_127
; %bb.126:
	buffer_load_dword v2, v121, s[0:3], 0 offen
	buffer_load_dword v3, v121, s[0:3], 0 offen offset:4
	buffer_load_dword v4, v121, s[0:3], 0 offen offset:8
	;; [unrolled: 1-line block ×3, first 2 shown]
	s_nop 0
	buffer_store_dword v103, off, s[0:3], 0 offset:144
	buffer_store_dword v103, off, s[0:3], 0 offset:148
	;; [unrolled: 1-line block ×4, first 2 shown]
	s_waitcnt vmcnt(4)
	ds_write_b128 v102, v[2:5]
.LBB85_127:
	s_or_b64 exec, exec, s[6:7]
	s_waitcnt lgkmcnt(0)
	; wave barrier
	s_waitcnt lgkmcnt(0)
	buffer_load_dword v2, off, s[0:3], 0 offset:160
	buffer_load_dword v3, off, s[0:3], 0 offset:164
	;; [unrolled: 1-line block ×52, first 2 shown]
	ds_read_b128 v[12:15], v103 offset:512
	ds_read_b128 v[16:19], v103 offset:528
	;; [unrolled: 1-line block ×10, first 2 shown]
	v_cmp_lt_u32_e32 vcc, 8, v130
	s_waitcnt vmcnt(48) lgkmcnt(9)
	v_mul_f64 v[98:99], v[12:13], v[6:7]
	v_mul_f64 v[6:7], v[14:15], v[6:7]
	v_fmac_f64_e32 v[98:99], v[14:15], v[2:3]
	v_fma_f64 v[2:3], v[12:13], v[2:3], -v[6:7]
	s_waitcnt vmcnt(44) lgkmcnt(8)
	v_mul_f64 v[100:101], v[16:17], v[8:9]
	v_mul_f64 v[6:7], v[18:19], v[8:9]
	v_fmac_f64_e32 v[100:101], v[18:19], v[4:5]
	v_add_f64 v[2:3], v[2:3], 0
	v_fma_f64 v[4:5], v[16:17], v[4:5], -v[6:7]
	v_add_f64 v[2:3], v[2:3], v[4:5]
	s_waitcnt vmcnt(42) lgkmcnt(7)
	v_mul_f64 v[4:5], v[22:23], v[10:11]
	v_mul_f64 v[104:105], v[20:21], v[10:11]
	v_add_f64 v[98:99], v[98:99], 0
	s_waitcnt vmcnt(36) lgkmcnt(6)
	v_mul_f64 v[106:107], v[24:25], v[132:133]
	v_add_f64 v[98:99], v[98:99], v[100:101]
	s_waitcnt lgkmcnt(5)
	v_mul_f64 v[170:171], v[74:75], v[28:29]
	v_fmac_f64_e32 v[170:171], v[76:77], v[108:109]
	s_waitcnt vmcnt(34) lgkmcnt(3)
	v_mul_f64 v[174:175], v[82:83], v[134:135]
	s_waitcnt vmcnt(30)
	v_mul_f64 v[172:173], v[78:79], v[138:139]
	v_fmac_f64_e32 v[174:175], v[84:85], v[136:137]
	s_waitcnt vmcnt(26) lgkmcnt(2)
	v_mul_f64 v[176:177], v[86:87], v[144:145]
	s_waitcnt vmcnt(25) lgkmcnt(1)
	v_mul_f64 v[178:179], v[90:91], v[140:141]
	s_waitcnt vmcnt(23)
	v_fma_f64 v[4:5], v[20:21], v[146:147], -v[4:5]
	v_add_f64 v[2:3], v[2:3], v[4:5]
	v_mul_f64 v[4:5], v[26:27], v[132:133]
	s_waitcnt vmcnt(21)
	v_fma_f64 v[4:5], v[24:25], v[148:149], -v[4:5]
	v_fmac_f64_e32 v[104:105], v[22:23], v[146:147]
	v_add_f64 v[2:3], v[2:3], v[4:5]
	v_mul_f64 v[4:5], v[76:77], v[28:29]
	v_fmac_f64_e32 v[106:107], v[26:27], v[148:149]
	v_add_f64 v[98:99], v[98:99], v[104:105]
	v_fma_f64 v[4:5], v[74:75], v[108:109], -v[4:5]
	v_add_f64 v[98:99], v[98:99], v[106:107]
	v_add_f64 v[2:3], v[2:3], v[4:5]
	v_mul_f64 v[4:5], v[80:81], v[138:139]
	s_waitcnt vmcnt(19)
	v_fmac_f64_e32 v[172:173], v[80:81], v[150:151]
	v_add_f64 v[98:99], v[98:99], v[170:171]
	v_fma_f64 v[4:5], v[78:79], v[150:151], -v[4:5]
	v_add_f64 v[98:99], v[98:99], v[172:173]
	v_add_f64 v[2:3], v[2:3], v[4:5]
	v_mul_f64 v[4:5], v[84:85], v[134:135]
	s_waitcnt vmcnt(17)
	v_fmac_f64_e32 v[176:177], v[88:89], v[152:153]
	v_add_f64 v[98:99], v[98:99], v[174:175]
	v_fma_f64 v[4:5], v[82:83], v[136:137], -v[4:5]
	s_waitcnt vmcnt(16)
	v_fmac_f64_e32 v[178:179], v[92:93], v[142:143]
	v_add_f64 v[98:99], v[98:99], v[176:177]
	v_add_f64 v[2:3], v[2:3], v[4:5]
	v_mul_f64 v[4:5], v[88:89], v[144:145]
	v_add_f64 v[170:171], v[98:99], v[178:179]
	ds_read_b128 v[98:101], v103 offset:672
	ds_read_b128 v[104:107], v103 offset:688
	v_fma_f64 v[4:5], v[86:87], v[152:153], -v[4:5]
	v_add_f64 v[2:3], v[2:3], v[4:5]
	v_mul_f64 v[4:5], v[92:93], v[140:141]
	v_fma_f64 v[4:5], v[90:91], v[142:143], -v[4:5]
	v_add_f64 v[2:3], v[2:3], v[4:5]
	s_waitcnt vmcnt(13) lgkmcnt(2)
	v_mul_f64 v[4:5], v[96:97], v[156:157]
	v_mul_f64 v[172:173], v[94:95], v[156:157]
	s_waitcnt vmcnt(11)
	v_fma_f64 v[4:5], v[94:95], v[158:159], -v[4:5]
	v_fmac_f64_e32 v[172:173], v[96:97], v[158:159]
	v_add_f64 v[2:3], v[2:3], v[4:5]
	s_waitcnt vmcnt(8) lgkmcnt(1)
	v_mul_f64 v[4:5], v[100:101], v[154:155]
	v_add_f64 v[170:171], v[170:171], v[172:173]
	v_mul_f64 v[172:173], v[98:99], v[154:155]
	v_fma_f64 v[4:5], v[98:99], v[160:161], -v[4:5]
	v_fmac_f64_e32 v[172:173], v[100:101], v[160:161]
	v_add_f64 v[2:3], v[2:3], v[4:5]
	s_waitcnt vmcnt(6) lgkmcnt(0)
	v_mul_f64 v[4:5], v[106:107], v[162:163]
	v_add_f64 v[170:171], v[170:171], v[172:173]
	v_mul_f64 v[172:173], v[104:105], v[162:163]
	s_waitcnt vmcnt(4)
	v_fma_f64 v[4:5], v[104:105], v[164:165], -v[4:5]
	v_fmac_f64_e32 v[172:173], v[106:107], v[164:165]
	v_add_f64 v[2:3], v[2:3], v[4:5]
	v_add_f64 v[170:171], v[170:171], v[172:173]
	s_waitcnt vmcnt(2)
	v_add_f64 v[2:3], v[166:167], -v[2:3]
	s_waitcnt vmcnt(0)
	v_add_f64 v[4:5], v[168:169], -v[170:171]
	buffer_store_dword v3, off, s[0:3], 0 offset:148
	buffer_store_dword v2, off, s[0:3], 0 offset:144
	;; [unrolled: 1-line block ×4, first 2 shown]
	s_and_saveexec_b64 s[6:7], vcc
	s_cbranch_execz .LBB85_129
; %bb.128:
	buffer_load_dword v2, v122, s[0:3], 0 offen
	buffer_load_dword v3, v122, s[0:3], 0 offen offset:4
	buffer_load_dword v4, v122, s[0:3], 0 offen offset:8
	;; [unrolled: 1-line block ×3, first 2 shown]
	v_mov_b32_e32 v6, 0
	buffer_store_dword v6, off, s[0:3], 0 offset:128
	buffer_store_dword v6, off, s[0:3], 0 offset:132
	;; [unrolled: 1-line block ×4, first 2 shown]
	s_waitcnt vmcnt(4)
	ds_write_b128 v102, v[2:5]
.LBB85_129:
	s_or_b64 exec, exec, s[6:7]
	s_waitcnt lgkmcnt(0)
	; wave barrier
	s_waitcnt lgkmcnt(0)
	buffer_load_dword v2, off, s[0:3], 0 offset:144
	buffer_load_dword v3, off, s[0:3], 0 offset:148
	;; [unrolled: 1-line block ×56, first 2 shown]
	v_mov_b32_e32 v24, 0
	ds_read_b128 v[18:21], v24 offset:496
	ds_read_b128 v[26:29], v24 offset:512
	;; [unrolled: 1-line block ×9, first 2 shown]
	v_cmp_lt_u32_e32 vcc, 7, v130
	s_waitcnt vmcnt(52) lgkmcnt(8)
	v_mul_f64 v[98:99], v[18:19], v[6:7]
	v_fmac_f64_e32 v[98:99], v[20:21], v[2:3]
	v_mul_f64 v[6:7], v[20:21], v[6:7]
	v_add_f64 v[98:99], v[98:99], 0
	s_waitcnt vmcnt(48) lgkmcnt(7)
	v_mul_f64 v[100:101], v[26:27], v[8:9]
	v_fmac_f64_e32 v[100:101], v[28:29], v[4:5]
	s_waitcnt vmcnt(46) lgkmcnt(6)
	v_mul_f64 v[104:105], v[74:75], v[10:11]
	v_fma_f64 v[2:3], v[18:19], v[2:3], -v[6:7]
	v_mul_f64 v[6:7], v[28:29], v[8:9]
	v_add_f64 v[98:99], v[98:99], v[100:101]
	v_add_f64 v[2:3], v[2:3], 0
	v_fma_f64 v[4:5], v[26:27], v[4:5], -v[6:7]
	s_waitcnt vmcnt(40) lgkmcnt(5)
	v_mul_f64 v[106:107], v[78:79], v[16:17]
	s_waitcnt lgkmcnt(4)
	v_mul_f64 v[132:133], v[82:83], v[12:13]
	v_add_f64 v[2:3], v[2:3], v[4:5]
	v_mul_f64 v[4:5], v[76:77], v[10:11]
	s_waitcnt vmcnt(36) lgkmcnt(3)
	v_mul_f64 v[134:135], v[86:87], v[144:145]
	v_fmac_f64_e32 v[132:133], v[84:85], v[14:15]
	s_waitcnt vmcnt(35) lgkmcnt(2)
	v_mul_f64 v[136:137], v[90:91], v[22:23]
	s_waitcnt vmcnt(33)
	v_fmac_f64_e32 v[104:105], v[76:77], v[146:147]
	v_add_f64 v[98:99], v[98:99], v[104:105]
	s_waitcnt vmcnt(31)
	v_fmac_f64_e32 v[106:107], v[80:81], v[148:149]
	v_add_f64 v[98:99], v[98:99], v[106:107]
	v_fma_f64 v[4:5], v[74:75], v[146:147], -v[4:5]
	s_waitcnt vmcnt(29)
	v_fmac_f64_e32 v[134:135], v[88:89], v[150:151]
	v_add_f64 v[98:99], v[98:99], v[132:133]
	v_add_f64 v[2:3], v[2:3], v[4:5]
	v_mul_f64 v[4:5], v[80:81], v[16:17]
	s_waitcnt vmcnt(28)
	v_fmac_f64_e32 v[136:137], v[92:93], v[108:109]
	v_add_f64 v[98:99], v[98:99], v[134:135]
	v_fma_f64 v[4:5], v[78:79], v[148:149], -v[4:5]
	v_add_f64 v[104:105], v[98:99], v[136:137]
	ds_read_b128 v[98:101], v24 offset:624
	s_waitcnt vmcnt(24) lgkmcnt(2)
	v_mul_f64 v[106:107], v[94:95], v[156:157]
	v_add_f64 v[2:3], v[2:3], v[4:5]
	v_mul_f64 v[4:5], v[84:85], v[12:13]
	s_waitcnt vmcnt(22)
	v_fmac_f64_e32 v[106:107], v[96:97], v[158:159]
	v_fma_f64 v[4:5], v[82:83], v[14:15], -v[4:5]
	v_add_f64 v[132:133], v[104:105], v[106:107]
	ds_read_b128 v[104:107], v24 offset:640
	v_add_f64 v[2:3], v[2:3], v[4:5]
	v_mul_f64 v[4:5], v[88:89], v[144:145]
	v_fma_f64 v[4:5], v[86:87], v[150:151], -v[4:5]
	v_add_f64 v[2:3], v[2:3], v[4:5]
	v_mul_f64 v[4:5], v[92:93], v[22:23]
	s_waitcnt vmcnt(20) lgkmcnt(1)
	v_mul_f64 v[134:135], v[98:99], v[152:153]
	v_fma_f64 v[4:5], v[90:91], v[108:109], -v[4:5]
	v_fmac_f64_e32 v[134:135], v[100:101], v[154:155]
	v_add_f64 v[2:3], v[2:3], v[4:5]
	v_mul_f64 v[4:5], v[96:97], v[156:157]
	v_add_f64 v[136:137], v[132:133], v[134:135]
	ds_read_b128 v[132:135], v24 offset:656
	s_waitcnt vmcnt(16) lgkmcnt(1)
	v_mul_f64 v[138:139], v[104:105], v[164:165]
	v_fma_f64 v[4:5], v[94:95], v[158:159], -v[4:5]
	s_waitcnt vmcnt(14)
	v_fmac_f64_e32 v[138:139], v[106:107], v[166:167]
	v_add_f64 v[2:3], v[2:3], v[4:5]
	v_mul_f64 v[4:5], v[100:101], v[152:153]
	v_add_f64 v[180:181], v[136:137], v[138:139]
	ds_read_b128 v[136:139], v24 offset:672
	v_fma_f64 v[4:5], v[98:99], v[154:155], -v[4:5]
	v_add_f64 v[2:3], v[2:3], v[4:5]
	v_mul_f64 v[4:5], v[106:107], v[164:165]
	v_fma_f64 v[4:5], v[104:105], v[166:167], -v[4:5]
	v_add_f64 v[2:3], v[2:3], v[4:5]
	s_waitcnt vmcnt(12) lgkmcnt(1)
	v_mul_f64 v[4:5], v[134:135], v[160:161]
	v_mul_f64 v[182:183], v[132:133], v[160:161]
	v_fma_f64 v[4:5], v[132:133], v[162:163], -v[4:5]
	v_fmac_f64_e32 v[182:183], v[134:135], v[162:163]
	v_add_f64 v[2:3], v[2:3], v[4:5]
	s_waitcnt vmcnt(8) lgkmcnt(0)
	v_mul_f64 v[4:5], v[138:139], v[172:173]
	v_add_f64 v[180:181], v[180:181], v[182:183]
	v_mul_f64 v[182:183], v[136:137], v[172:173]
	s_waitcnt vmcnt(6)
	v_fma_f64 v[4:5], v[136:137], v[174:175], -v[4:5]
	v_fmac_f64_e32 v[182:183], v[138:139], v[174:175]
	v_add_f64 v[2:3], v[2:3], v[4:5]
	s_waitcnt vmcnt(5)
	v_mul_f64 v[4:5], v[142:143], v[168:169]
	v_add_f64 v[180:181], v[180:181], v[182:183]
	v_mul_f64 v[182:183], v[140:141], v[168:169]
	s_waitcnt vmcnt(4)
	v_fma_f64 v[4:5], v[140:141], v[170:171], -v[4:5]
	v_fmac_f64_e32 v[182:183], v[142:143], v[170:171]
	v_add_f64 v[2:3], v[2:3], v[4:5]
	v_add_f64 v[180:181], v[180:181], v[182:183]
	s_waitcnt vmcnt(2)
	v_add_f64 v[2:3], v[176:177], -v[2:3]
	s_waitcnt vmcnt(0)
	v_add_f64 v[4:5], v[178:179], -v[180:181]
	buffer_store_dword v3, off, s[0:3], 0 offset:132
	buffer_store_dword v2, off, s[0:3], 0 offset:128
	;; [unrolled: 1-line block ×4, first 2 shown]
	s_and_saveexec_b64 s[6:7], vcc
	s_cbranch_execz .LBB85_131
; %bb.130:
	buffer_load_dword v2, v120, s[0:3], 0 offen
	buffer_load_dword v3, v120, s[0:3], 0 offen offset:4
	buffer_load_dword v4, v120, s[0:3], 0 offen offset:8
	;; [unrolled: 1-line block ×3, first 2 shown]
	s_nop 0
	buffer_store_dword v24, off, s[0:3], 0 offset:112
	buffer_store_dword v24, off, s[0:3], 0 offset:116
	buffer_store_dword v24, off, s[0:3], 0 offset:120
	buffer_store_dword v24, off, s[0:3], 0 offset:124
	s_waitcnt vmcnt(4)
	ds_write_b128 v102, v[2:5]
.LBB85_131:
	s_or_b64 exec, exec, s[6:7]
	s_waitcnt lgkmcnt(0)
	; wave barrier
	s_waitcnt lgkmcnt(0)
	buffer_load_dword v2, off, s[0:3], 0 offset:128
	buffer_load_dword v3, off, s[0:3], 0 offset:132
	;; [unrolled: 1-line block ×60, first 2 shown]
	ds_read_b128 v[26:29], v24 offset:480
	ds_read_b128 v[74:77], v24 offset:496
	ds_read_b128 v[78:81], v24 offset:512
	ds_read_b128 v[82:85], v24 offset:528
	ds_read_b128 v[86:89], v24 offset:544
	ds_read_b128 v[90:93], v24 offset:560
	ds_read_b128 v[94:97], v24 offset:576
	ds_read_b128 v[98:101], v24 offset:592
	v_cmp_lt_u32_e32 vcc, 6, v130
	ds_read_b128 v[148:151], v24 offset:688
	s_waitcnt vmcnt(56) lgkmcnt(8)
	v_mul_f64 v[104:105], v[26:27], v[6:7]
	v_fmac_f64_e32 v[104:105], v[28:29], v[2:3]
	v_add_f64 v[104:105], v[104:105], 0
	v_mul_f64 v[6:7], v[28:29], v[6:7]
	s_waitcnt vmcnt(52) lgkmcnt(7)
	v_mul_f64 v[106:107], v[74:75], v[8:9]
	v_fmac_f64_e32 v[106:107], v[76:77], v[4:5]
	s_waitcnt vmcnt(50) lgkmcnt(6)
	v_mul_f64 v[132:133], v[78:79], v[10:11]
	v_add_f64 v[104:105], v[104:105], v[106:107]
	s_waitcnt vmcnt(48) lgkmcnt(4)
	v_mul_f64 v[136:137], v[86:87], v[12:13]
	v_fma_f64 v[2:3], v[26:27], v[2:3], -v[6:7]
	s_waitcnt vmcnt(46)
	v_fmac_f64_e32 v[136:137], v[88:89], v[14:15]
	v_mul_f64 v[6:7], v[76:77], v[8:9]
	s_waitcnt vmcnt(44)
	v_mul_f64 v[134:135], v[82:83], v[16:17]
	v_add_f64 v[2:3], v[2:3], 0
	v_fma_f64 v[4:5], v[74:75], v[4:5], -v[6:7]
	v_add_f64 v[2:3], v[2:3], v[4:5]
	s_waitcnt vmcnt(40) lgkmcnt(3)
	v_mul_f64 v[138:139], v[90:91], v[22:23]
	v_mul_f64 v[4:5], v[80:81], v[10:11]
	s_waitcnt vmcnt(38)
	v_fmac_f64_e32 v[132:133], v[80:81], v[108:109]
	v_add_f64 v[104:105], v[104:105], v[132:133]
	s_waitcnt vmcnt(36)
	v_fmac_f64_e32 v[134:135], v[84:85], v[152:153]
	v_add_f64 v[104:105], v[104:105], v[134:135]
	;; [unrolled: 3-line block ×3, first 2 shown]
	s_waitcnt vmcnt(32) lgkmcnt(2)
	v_mul_f64 v[106:107], v[94:95], v[18:19]
	v_add_f64 v[104:105], v[104:105], v[138:139]
	v_fmac_f64_e32 v[106:107], v[96:97], v[20:21]
	v_add_f64 v[132:133], v[104:105], v[106:107]
	ds_read_b128 v[104:107], v24 offset:608
	v_fma_f64 v[4:5], v[78:79], v[108:109], -v[4:5]
	v_add_f64 v[2:3], v[2:3], v[4:5]
	v_mul_f64 v[4:5], v[84:85], v[16:17]
	v_fma_f64 v[4:5], v[82:83], v[152:153], -v[4:5]
	s_waitcnt vmcnt(28) lgkmcnt(2)
	v_mul_f64 v[134:135], v[98:99], v[160:161]
	v_add_f64 v[2:3], v[2:3], v[4:5]
	v_mul_f64 v[4:5], v[88:89], v[12:13]
	s_waitcnt vmcnt(26)
	v_fmac_f64_e32 v[134:135], v[100:101], v[162:163]
	v_fma_f64 v[4:5], v[86:87], v[14:15], -v[4:5]
	v_add_f64 v[136:137], v[132:133], v[134:135]
	ds_read_b128 v[132:135], v24 offset:624
	s_waitcnt vmcnt(24) lgkmcnt(1)
	v_mul_f64 v[138:139], v[104:105], v[156:157]
	v_add_f64 v[2:3], v[2:3], v[4:5]
	v_mul_f64 v[4:5], v[92:93], v[22:23]
	v_fmac_f64_e32 v[138:139], v[106:107], v[158:159]
	v_fma_f64 v[4:5], v[90:91], v[154:155], -v[4:5]
	v_add_f64 v[140:141], v[136:137], v[138:139]
	ds_read_b128 v[136:139], v24 offset:640
	v_add_f64 v[2:3], v[2:3], v[4:5]
	v_mul_f64 v[4:5], v[96:97], v[18:19]
	v_fma_f64 v[4:5], v[94:95], v[20:21], -v[4:5]
	v_add_f64 v[2:3], v[2:3], v[4:5]
	v_mul_f64 v[4:5], v[100:101], v[160:161]
	s_waitcnt vmcnt(20) lgkmcnt(1)
	v_mul_f64 v[142:143], v[132:133], v[168:169]
	v_fma_f64 v[4:5], v[98:99], v[162:163], -v[4:5]
	s_waitcnt vmcnt(18)
	v_fmac_f64_e32 v[142:143], v[134:135], v[170:171]
	v_add_f64 v[2:3], v[2:3], v[4:5]
	v_mul_f64 v[4:5], v[106:107], v[156:157]
	v_add_f64 v[144:145], v[140:141], v[142:143]
	ds_read_b128 v[140:143], v24 offset:656
	s_waitcnt vmcnt(16) lgkmcnt(1)
	v_mul_f64 v[146:147], v[136:137], v[164:165]
	v_fma_f64 v[4:5], v[104:105], v[158:159], -v[4:5]
	v_fmac_f64_e32 v[146:147], v[138:139], v[166:167]
	v_add_f64 v[2:3], v[2:3], v[4:5]
	v_mul_f64 v[4:5], v[134:135], v[168:169]
	v_add_f64 v[188:189], v[144:145], v[146:147]
	ds_read_b128 v[144:147], v24 offset:672
	v_fma_f64 v[4:5], v[132:133], v[170:171], -v[4:5]
	v_add_f64 v[2:3], v[2:3], v[4:5]
	v_mul_f64 v[4:5], v[138:139], v[164:165]
	v_fma_f64 v[4:5], v[136:137], v[166:167], -v[4:5]
	v_add_f64 v[2:3], v[2:3], v[4:5]
	s_waitcnt vmcnt(12) lgkmcnt(1)
	v_mul_f64 v[4:5], v[142:143], v[176:177]
	v_mul_f64 v[190:191], v[140:141], v[176:177]
	s_waitcnt vmcnt(10)
	v_fma_f64 v[4:5], v[140:141], v[178:179], -v[4:5]
	v_fmac_f64_e32 v[190:191], v[142:143], v[178:179]
	v_add_f64 v[2:3], v[2:3], v[4:5]
	s_waitcnt vmcnt(8) lgkmcnt(0)
	v_mul_f64 v[4:5], v[146:147], v[172:173]
	v_add_f64 v[24:25], v[188:189], v[190:191]
	v_mul_f64 v[188:189], v[144:145], v[172:173]
	v_fma_f64 v[4:5], v[144:145], v[174:175], -v[4:5]
	v_fmac_f64_e32 v[188:189], v[146:147], v[174:175]
	v_add_f64 v[2:3], v[2:3], v[4:5]
	s_waitcnt vmcnt(6)
	v_mul_f64 v[4:5], v[150:151], v[180:181]
	v_add_f64 v[24:25], v[24:25], v[188:189]
	v_mul_f64 v[188:189], v[148:149], v[180:181]
	s_waitcnt vmcnt(4)
	v_fma_f64 v[4:5], v[148:149], v[182:183], -v[4:5]
	v_fmac_f64_e32 v[188:189], v[150:151], v[182:183]
	v_add_f64 v[2:3], v[2:3], v[4:5]
	v_add_f64 v[24:25], v[24:25], v[188:189]
	s_waitcnt vmcnt(2)
	v_add_f64 v[2:3], v[184:185], -v[2:3]
	s_waitcnt vmcnt(0)
	v_add_f64 v[4:5], v[186:187], -v[24:25]
	buffer_store_dword v3, off, s[0:3], 0 offset:116
	buffer_store_dword v2, off, s[0:3], 0 offset:112
	;; [unrolled: 1-line block ×4, first 2 shown]
	s_and_saveexec_b64 s[6:7], vcc
	s_cbranch_execz .LBB85_133
; %bb.132:
	buffer_load_dword v2, v126, s[0:3], 0 offen
	buffer_load_dword v3, v126, s[0:3], 0 offen offset:4
	buffer_load_dword v4, v126, s[0:3], 0 offen offset:8
	;; [unrolled: 1-line block ×3, first 2 shown]
	v_mov_b32_e32 v6, 0
	buffer_store_dword v6, off, s[0:3], 0 offset:96
	buffer_store_dword v6, off, s[0:3], 0 offset:100
	;; [unrolled: 1-line block ×4, first 2 shown]
	s_waitcnt vmcnt(4)
	ds_write_b128 v102, v[2:5]
.LBB85_133:
	s_or_b64 exec, exec, s[6:7]
	s_waitcnt lgkmcnt(0)
	; wave barrier
	s_waitcnt lgkmcnt(0)
	buffer_load_dword v2, off, s[0:3], 0 offset:112
	buffer_load_dword v3, off, s[0:3], 0 offset:116
	;; [unrolled: 1-line block ×64, first 2 shown]
	v_mov_b32_e32 v82, 0
	ds_read_b128 v[74:77], v82 offset:464
	ds_read_b128 v[78:81], v82 offset:480
	;; [unrolled: 1-line block ×7, first 2 shown]
	v_cmp_lt_u32_e32 vcc, 5, v130
	s_waitcnt vmcnt(60) lgkmcnt(6)
	v_mul_f64 v[104:105], v[74:75], v[6:7]
	v_fmac_f64_e32 v[104:105], v[76:77], v[2:3]
	v_add_f64 v[104:105], v[104:105], 0
	v_mul_f64 v[6:7], v[76:77], v[6:7]
	s_waitcnt vmcnt(56) lgkmcnt(5)
	v_mul_f64 v[106:107], v[78:79], v[8:9]
	v_fmac_f64_e32 v[106:107], v[80:81], v[4:5]
	s_waitcnt vmcnt(54) lgkmcnt(4)
	v_mul_f64 v[132:133], v[84:85], v[10:11]
	v_add_f64 v[104:105], v[104:105], v[106:107]
	v_fma_f64 v[2:3], v[74:75], v[2:3], -v[6:7]
	v_mul_f64 v[6:7], v[80:81], v[8:9]
	s_waitcnt vmcnt(50) lgkmcnt(3)
	v_mul_f64 v[134:135], v[88:89], v[16:17]
	s_waitcnt vmcnt(49) lgkmcnt(2)
	v_mul_f64 v[136:137], v[92:93], v[12:13]
	v_add_f64 v[2:3], v[2:3], 0
	s_waitcnt vmcnt(47)
	v_fmac_f64_e32 v[132:133], v[86:87], v[20:21]
	v_add_f64 v[104:105], v[104:105], v[132:133]
	s_waitcnt vmcnt(45)
	v_fmac_f64_e32 v[134:135], v[90:91], v[18:19]
	;; [unrolled: 3-line block ×3, first 2 shown]
	v_add_f64 v[132:133], v[104:105], v[136:137]
	ds_read_b128 v[104:107], v82 offset:560
	s_waitcnt vmcnt(40) lgkmcnt(2)
	v_mul_f64 v[134:135], v[96:97], v[26:27]
	v_fma_f64 v[4:5], v[78:79], v[4:5], -v[6:7]
	s_waitcnt vmcnt(38)
	v_fmac_f64_e32 v[134:135], v[98:99], v[28:29]
	v_add_f64 v[136:137], v[132:133], v[134:135]
	ds_read_b128 v[132:135], v82 offset:576
	s_waitcnt vmcnt(36) lgkmcnt(1)
	v_mul_f64 v[138:139], v[104:105], v[22:23]
	v_fmac_f64_e32 v[138:139], v[106:107], v[24:25]
	v_add_f64 v[2:3], v[2:3], v[4:5]
	v_mul_f64 v[4:5], v[86:87], v[10:11]
	v_add_f64 v[140:141], v[136:137], v[138:139]
	ds_read_b128 v[136:139], v82 offset:592
	s_waitcnt vmcnt(32) lgkmcnt(1)
	v_mul_f64 v[142:143], v[132:133], v[164:165]
	v_fma_f64 v[4:5], v[84:85], v[20:21], -v[4:5]
	s_waitcnt vmcnt(30)
	v_fmac_f64_e32 v[142:143], v[134:135], v[166:167]
	v_add_f64 v[2:3], v[2:3], v[4:5]
	v_mul_f64 v[4:5], v[90:91], v[16:17]
	v_add_f64 v[144:145], v[140:141], v[142:143]
	ds_read_b128 v[140:143], v82 offset:608
	v_fma_f64 v[4:5], v[88:89], v[18:19], -v[4:5]
	v_add_f64 v[2:3], v[2:3], v[4:5]
	v_mul_f64 v[4:5], v[94:95], v[12:13]
	v_fma_f64 v[4:5], v[92:93], v[14:15], -v[4:5]
	s_waitcnt vmcnt(28) lgkmcnt(1)
	v_mul_f64 v[146:147], v[136:137], v[100:101]
	v_add_f64 v[2:3], v[2:3], v[4:5]
	v_mul_f64 v[4:5], v[98:99], v[26:27]
	v_fmac_f64_e32 v[146:147], v[138:139], v[108:109]
	v_fma_f64 v[4:5], v[96:97], v[28:29], -v[4:5]
	v_add_f64 v[148:149], v[144:145], v[146:147]
	ds_read_b128 v[144:147], v82 offset:624
	s_waitcnt vmcnt(24) lgkmcnt(1)
	v_mul_f64 v[150:151], v[140:141], v[172:173]
	v_add_f64 v[2:3], v[2:3], v[4:5]
	v_mul_f64 v[4:5], v[106:107], v[22:23]
	s_waitcnt vmcnt(22)
	v_fmac_f64_e32 v[150:151], v[142:143], v[174:175]
	v_fma_f64 v[4:5], v[104:105], v[24:25], -v[4:5]
	v_add_f64 v[152:153], v[148:149], v[150:151]
	ds_read_b128 v[148:151], v82 offset:640
	v_add_f64 v[2:3], v[2:3], v[4:5]
	v_mul_f64 v[4:5], v[134:135], v[164:165]
	v_fma_f64 v[4:5], v[132:133], v[166:167], -v[4:5]
	v_add_f64 v[2:3], v[2:3], v[4:5]
	v_mul_f64 v[4:5], v[138:139], v[100:101]
	s_waitcnt vmcnt(20) lgkmcnt(1)
	v_mul_f64 v[154:155], v[144:145], v[168:169]
	v_fma_f64 v[4:5], v[136:137], v[108:109], -v[4:5]
	v_fmac_f64_e32 v[154:155], v[146:147], v[170:171]
	v_add_f64 v[2:3], v[2:3], v[4:5]
	v_mul_f64 v[4:5], v[142:143], v[172:173]
	v_add_f64 v[156:157], v[152:153], v[154:155]
	ds_read_b128 v[152:155], v82 offset:656
	s_waitcnt vmcnt(16) lgkmcnt(1)
	v_mul_f64 v[158:159], v[148:149], v[180:181]
	v_fma_f64 v[4:5], v[140:141], v[174:175], -v[4:5]
	s_waitcnt vmcnt(14)
	v_fmac_f64_e32 v[158:159], v[150:151], v[182:183]
	v_add_f64 v[2:3], v[2:3], v[4:5]
	v_mul_f64 v[4:5], v[146:147], v[168:169]
	v_add_f64 v[196:197], v[156:157], v[158:159]
	ds_read_b128 v[156:159], v82 offset:672
	v_fma_f64 v[4:5], v[144:145], v[170:171], -v[4:5]
	v_add_f64 v[2:3], v[2:3], v[4:5]
	v_mul_f64 v[4:5], v[150:151], v[180:181]
	v_fma_f64 v[4:5], v[148:149], v[182:183], -v[4:5]
	v_add_f64 v[2:3], v[2:3], v[4:5]
	s_waitcnt vmcnt(12) lgkmcnt(1)
	v_mul_f64 v[4:5], v[154:155], v[176:177]
	v_mul_f64 v[198:199], v[152:153], v[176:177]
	v_fma_f64 v[4:5], v[152:153], v[178:179], -v[4:5]
	v_fmac_f64_e32 v[198:199], v[154:155], v[178:179]
	v_add_f64 v[2:3], v[2:3], v[4:5]
	s_waitcnt vmcnt(8) lgkmcnt(0)
	v_mul_f64 v[4:5], v[158:159], v[188:189]
	v_add_f64 v[196:197], v[196:197], v[198:199]
	v_mul_f64 v[198:199], v[156:157], v[188:189]
	s_waitcnt vmcnt(6)
	v_fma_f64 v[4:5], v[156:157], v[190:191], -v[4:5]
	v_fmac_f64_e32 v[198:199], v[158:159], v[190:191]
	v_add_f64 v[2:3], v[2:3], v[4:5]
	s_waitcnt vmcnt(5)
	v_mul_f64 v[4:5], v[162:163], v[184:185]
	v_add_f64 v[196:197], v[196:197], v[198:199]
	v_mul_f64 v[198:199], v[160:161], v[184:185]
	s_waitcnt vmcnt(4)
	v_fma_f64 v[4:5], v[160:161], v[186:187], -v[4:5]
	v_fmac_f64_e32 v[198:199], v[162:163], v[186:187]
	v_add_f64 v[2:3], v[2:3], v[4:5]
	v_add_f64 v[196:197], v[196:197], v[198:199]
	s_waitcnt vmcnt(2)
	v_add_f64 v[2:3], v[192:193], -v[2:3]
	s_waitcnt vmcnt(0)
	v_add_f64 v[4:5], v[194:195], -v[196:197]
	buffer_store_dword v3, off, s[0:3], 0 offset:100
	buffer_store_dword v2, off, s[0:3], 0 offset:96
	;; [unrolled: 1-line block ×4, first 2 shown]
	s_and_saveexec_b64 s[6:7], vcc
	s_cbranch_execz .LBB85_135
; %bb.134:
	buffer_load_dword v2, v125, s[0:3], 0 offen
	buffer_load_dword v3, v125, s[0:3], 0 offen offset:4
	buffer_load_dword v4, v125, s[0:3], 0 offen offset:8
	;; [unrolled: 1-line block ×3, first 2 shown]
	s_nop 0
	buffer_store_dword v82, off, s[0:3], 0 offset:80
	buffer_store_dword v82, off, s[0:3], 0 offset:84
	;; [unrolled: 1-line block ×4, first 2 shown]
	s_waitcnt vmcnt(4)
	ds_write_b128 v102, v[2:5]
.LBB85_135:
	s_or_b64 exec, exec, s[6:7]
	s_waitcnt lgkmcnt(0)
	; wave barrier
	s_waitcnt lgkmcnt(0)
	buffer_load_dword v2, off, s[0:3], 0 offset:96
	buffer_load_dword v3, off, s[0:3], 0 offset:100
	;; [unrolled: 1-line block ×64, first 2 shown]
	ds_read_b128 v[84:87], v82 offset:448
	ds_read_b128 v[88:91], v82 offset:464
	;; [unrolled: 1-line block ×4, first 2 shown]
	buffer_load_dword v200, off, s[0:3], 0 offset:80
	buffer_load_dword v201, off, s[0:3], 0 offset:84
	;; [unrolled: 1-line block ×4, first 2 shown]
	v_cmp_lt_u32_e32 vcc, 4, v130
	ds_read_b128 v[172:175], v82 offset:688
	s_waitcnt vmcnt(62) lgkmcnt(4)
	v_mul_f64 v[104:105], v[84:85], v[4:5]
	v_fmac_f64_e32 v[104:105], v[86:87], v[2:3]
	s_waitcnt lgkmcnt(3)
	v_mul_f64 v[106:107], v[88:89], v[6:7]
	v_add_f64 v[104:105], v[104:105], 0
	s_waitcnt vmcnt(60) lgkmcnt(2)
	v_mul_f64 v[132:133], v[92:93], v[8:9]
	v_mul_f64 v[4:5], v[86:87], v[4:5]
	v_fma_f64 v[2:3], v[84:85], v[2:3], -v[4:5]
	v_mul_f64 v[4:5], v[90:91], v[6:7]
	s_waitcnt vmcnt(56) lgkmcnt(1)
	v_mul_f64 v[134:135], v[96:97], v[14:15]
	v_add_f64 v[2:3], v[2:3], 0
	s_waitcnt vmcnt(54)
	v_fmac_f64_e32 v[106:107], v[90:91], v[20:21]
	v_add_f64 v[136:137], v[104:105], v[106:107]
	ds_read_b128 v[104:107], v82 offset:512
	s_waitcnt vmcnt(52)
	v_fmac_f64_e32 v[132:133], v[94:95], v[18:19]
	v_add_f64 v[132:133], v[136:137], v[132:133]
	s_waitcnt vmcnt(50)
	v_fmac_f64_e32 v[134:135], v[98:99], v[16:17]
	v_add_f64 v[136:137], v[132:133], v[134:135]
	ds_read_b128 v[132:135], v82 offset:528
	s_waitcnt vmcnt(48) lgkmcnt(1)
	v_mul_f64 v[138:139], v[104:105], v[10:11]
	v_fmac_f64_e32 v[138:139], v[106:107], v[12:13]
	v_add_f64 v[140:141], v[136:137], v[138:139]
	ds_read_b128 v[136:139], v82 offset:544
	s_waitcnt vmcnt(44) lgkmcnt(1)
	v_mul_f64 v[142:143], v[132:133], v[26:27]
	s_waitcnt vmcnt(42)
	v_fmac_f64_e32 v[142:143], v[134:135], v[28:29]
	v_add_f64 v[144:145], v[140:141], v[142:143]
	ds_read_b128 v[140:143], v82 offset:560
	s_waitcnt vmcnt(40) lgkmcnt(1)
	v_mul_f64 v[146:147], v[136:137], v[22:23]
	v_fmac_f64_e32 v[146:147], v[138:139], v[24:25]
	v_add_f64 v[148:149], v[144:145], v[146:147]
	ds_read_b128 v[144:147], v82 offset:576
	v_fma_f64 v[4:5], v[88:89], v[20:21], -v[4:5]
	v_add_f64 v[2:3], v[2:3], v[4:5]
	v_mul_f64 v[4:5], v[94:95], v[8:9]
	s_waitcnt vmcnt(36) lgkmcnt(1)
	v_mul_f64 v[150:151], v[140:141], v[78:79]
	v_fma_f64 v[4:5], v[92:93], v[18:19], -v[4:5]
	s_waitcnt vmcnt(34)
	v_fmac_f64_e32 v[150:151], v[142:143], v[80:81]
	v_add_f64 v[2:3], v[2:3], v[4:5]
	v_mul_f64 v[4:5], v[98:99], v[14:15]
	v_add_f64 v[152:153], v[148:149], v[150:151]
	ds_read_b128 v[148:151], v82 offset:592
	s_waitcnt vmcnt(32) lgkmcnt(1)
	v_mul_f64 v[154:155], v[144:145], v[74:75]
	v_fma_f64 v[4:5], v[96:97], v[16:17], -v[4:5]
	v_fmac_f64_e32 v[154:155], v[146:147], v[76:77]
	v_add_f64 v[2:3], v[2:3], v[4:5]
	v_mul_f64 v[4:5], v[106:107], v[10:11]
	v_add_f64 v[156:157], v[152:153], v[154:155]
	ds_read_b128 v[152:155], v82 offset:608
	v_fma_f64 v[4:5], v[104:105], v[12:13], -v[4:5]
	v_add_f64 v[2:3], v[2:3], v[4:5]
	v_mul_f64 v[4:5], v[134:135], v[26:27]
	v_fma_f64 v[4:5], v[132:133], v[28:29], -v[4:5]
	s_waitcnt vmcnt(28) lgkmcnt(1)
	v_mul_f64 v[158:159], v[148:149], v[176:177]
	v_add_f64 v[2:3], v[2:3], v[4:5]
	v_mul_f64 v[4:5], v[138:139], v[22:23]
	s_waitcnt vmcnt(26)
	v_fmac_f64_e32 v[158:159], v[150:151], v[178:179]
	v_fma_f64 v[4:5], v[136:137], v[24:25], -v[4:5]
	v_add_f64 v[160:161], v[156:157], v[158:159]
	ds_read_b128 v[156:159], v82 offset:624
	s_waitcnt vmcnt(24) lgkmcnt(1)
	v_mul_f64 v[162:163], v[152:153], v[100:101]
	v_add_f64 v[2:3], v[2:3], v[4:5]
	v_mul_f64 v[4:5], v[142:143], v[78:79]
	v_fmac_f64_e32 v[162:163], v[154:155], v[108:109]
	v_fma_f64 v[4:5], v[140:141], v[80:81], -v[4:5]
	v_add_f64 v[164:165], v[160:161], v[162:163]
	ds_read_b128 v[160:163], v82 offset:640
	v_add_f64 v[2:3], v[2:3], v[4:5]
	v_mul_f64 v[4:5], v[146:147], v[74:75]
	v_fma_f64 v[4:5], v[144:145], v[76:77], -v[4:5]
	v_add_f64 v[2:3], v[2:3], v[4:5]
	v_mul_f64 v[4:5], v[150:151], v[176:177]
	s_waitcnt vmcnt(20) lgkmcnt(1)
	v_mul_f64 v[166:167], v[156:157], v[184:185]
	v_fma_f64 v[4:5], v[148:149], v[178:179], -v[4:5]
	s_waitcnt vmcnt(18)
	v_fmac_f64_e32 v[166:167], v[158:159], v[186:187]
	v_add_f64 v[2:3], v[2:3], v[4:5]
	v_mul_f64 v[4:5], v[154:155], v[100:101]
	v_add_f64 v[168:169], v[164:165], v[166:167]
	ds_read_b128 v[164:167], v82 offset:656
	s_waitcnt vmcnt(16) lgkmcnt(1)
	v_mul_f64 v[170:171], v[160:161], v[180:181]
	v_fma_f64 v[4:5], v[152:153], v[108:109], -v[4:5]
	v_fmac_f64_e32 v[170:171], v[162:163], v[182:183]
	v_add_f64 v[2:3], v[2:3], v[4:5]
	v_mul_f64 v[4:5], v[158:159], v[184:185]
	v_add_f64 v[204:205], v[168:169], v[170:171]
	ds_read_b128 v[168:171], v82 offset:672
	v_fma_f64 v[4:5], v[156:157], v[186:187], -v[4:5]
	v_add_f64 v[2:3], v[2:3], v[4:5]
	v_mul_f64 v[4:5], v[162:163], v[180:181]
	v_fma_f64 v[4:5], v[160:161], v[182:183], -v[4:5]
	v_add_f64 v[2:3], v[2:3], v[4:5]
	s_waitcnt vmcnt(12) lgkmcnt(1)
	v_mul_f64 v[4:5], v[166:167], v[192:193]
	v_mul_f64 v[206:207], v[164:165], v[192:193]
	s_waitcnt vmcnt(10)
	v_fma_f64 v[4:5], v[164:165], v[194:195], -v[4:5]
	v_fmac_f64_e32 v[206:207], v[166:167], v[194:195]
	v_add_f64 v[2:3], v[2:3], v[4:5]
	s_waitcnt vmcnt(8) lgkmcnt(0)
	v_mul_f64 v[4:5], v[170:171], v[188:189]
	v_add_f64 v[82:83], v[204:205], v[206:207]
	v_mul_f64 v[204:205], v[168:169], v[188:189]
	v_fma_f64 v[4:5], v[168:169], v[190:191], -v[4:5]
	v_fmac_f64_e32 v[204:205], v[170:171], v[190:191]
	v_add_f64 v[2:3], v[2:3], v[4:5]
	s_waitcnt vmcnt(6)
	v_mul_f64 v[4:5], v[174:175], v[196:197]
	v_add_f64 v[82:83], v[82:83], v[204:205]
	v_mul_f64 v[204:205], v[172:173], v[196:197]
	s_waitcnt vmcnt(4)
	v_fma_f64 v[4:5], v[172:173], v[198:199], -v[4:5]
	v_fmac_f64_e32 v[204:205], v[174:175], v[198:199]
	v_add_f64 v[2:3], v[2:3], v[4:5]
	v_add_f64 v[82:83], v[82:83], v[204:205]
	s_waitcnt vmcnt(2)
	v_add_f64 v[2:3], v[200:201], -v[2:3]
	s_waitcnt vmcnt(0)
	v_add_f64 v[4:5], v[202:203], -v[82:83]
	buffer_store_dword v3, off, s[0:3], 0 offset:84
	buffer_store_dword v2, off, s[0:3], 0 offset:80
	;; [unrolled: 1-line block ×4, first 2 shown]
	s_and_saveexec_b64 s[6:7], vcc
	s_cbranch_execz .LBB85_137
; %bb.136:
	buffer_load_dword v2, v124, s[0:3], 0 offen
	buffer_load_dword v3, v124, s[0:3], 0 offen offset:4
	buffer_load_dword v4, v124, s[0:3], 0 offen offset:8
	;; [unrolled: 1-line block ×3, first 2 shown]
	v_mov_b32_e32 v6, 0
	buffer_store_dword v6, off, s[0:3], 0 offset:64
	buffer_store_dword v6, off, s[0:3], 0 offset:68
	;; [unrolled: 1-line block ×4, first 2 shown]
	s_waitcnt vmcnt(4)
	ds_write_b128 v102, v[2:5]
.LBB85_137:
	s_or_b64 exec, exec, s[6:7]
	s_waitcnt lgkmcnt(0)
	; wave barrier
	s_waitcnt lgkmcnt(0)
	buffer_load_dword v2, off, s[0:3], 0 offset:80
	buffer_load_dword v3, off, s[0:3], 0 offset:84
	;; [unrolled: 1-line block ×68, first 2 shown]
	v_mov_b32_e32 v90, 0
	ds_read_b128 v[86:89], v90 offset:432
	ds_read_b128 v[92:95], v90 offset:448
	buffer_load_dword v208, off, s[0:3], 0 offset:64
	buffer_load_dword v209, off, s[0:3], 0 offset:68
	;; [unrolled: 1-line block ×4, first 2 shown]
	ds_read_b128 v[96:99], v90 offset:464
	ds_read_b128 v[104:107], v90 offset:480
	;; [unrolled: 1-line block ×3, first 2 shown]
	v_cmp_lt_u32_e32 vcc, 3, v130
	s_waitcnt vmcnt(62) lgkmcnt(4)
	v_mul_f64 v[132:133], v[86:87], v[8:9]
	v_fmac_f64_e32 v[132:133], v[88:89], v[2:3]
	v_add_f64 v[132:133], v[132:133], 0
	v_mul_f64 v[8:9], v[88:89], v[8:9]
	s_waitcnt lgkmcnt(3)
	v_mul_f64 v[134:135], v[92:93], v[10:11]
	v_fmac_f64_e32 v[134:135], v[94:95], v[4:5]
	v_add_f64 v[132:133], v[132:133], v[134:135]
	v_fma_f64 v[2:3], v[86:87], v[2:3], -v[8:9]
	s_waitcnt vmcnt(60) lgkmcnt(2)
	v_mul_f64 v[134:135], v[96:97], v[12:13]
	v_fmac_f64_e32 v[134:135], v[98:99], v[6:7]
	v_add_f64 v[136:137], v[132:133], v[134:135]
	ds_read_b128 v[132:135], v90 offset:496
	s_waitcnt vmcnt(56) lgkmcnt(2)
	v_mul_f64 v[138:139], v[104:105], v[18:19]
	v_mul_f64 v[8:9], v[94:95], v[10:11]
	s_waitcnt vmcnt(54)
	v_fmac_f64_e32 v[138:139], v[106:107], v[20:21]
	v_add_f64 v[140:141], v[136:137], v[138:139]
	ds_read_b128 v[136:139], v90 offset:512
	s_waitcnt vmcnt(52) lgkmcnt(1)
	v_mul_f64 v[142:143], v[132:133], v[14:15]
	v_fmac_f64_e32 v[142:143], v[134:135], v[16:17]
	v_add_f64 v[144:145], v[140:141], v[142:143]
	ds_read_b128 v[140:143], v90 offset:528
	s_waitcnt vmcnt(48) lgkmcnt(1)
	v_mul_f64 v[146:147], v[136:137], v[26:27]
	s_waitcnt vmcnt(46)
	v_fmac_f64_e32 v[146:147], v[138:139], v[28:29]
	v_add_f64 v[148:149], v[144:145], v[146:147]
	ds_read_b128 v[144:147], v90 offset:544
	s_waitcnt vmcnt(44) lgkmcnt(1)
	v_mul_f64 v[150:151], v[140:141], v[22:23]
	v_fmac_f64_e32 v[150:151], v[142:143], v[24:25]
	v_add_f64 v[152:153], v[148:149], v[150:151]
	ds_read_b128 v[148:151], v90 offset:560
	s_waitcnt vmcnt(40) lgkmcnt(1)
	v_mul_f64 v[154:155], v[144:145], v[78:79]
	s_waitcnt vmcnt(38)
	v_fmac_f64_e32 v[154:155], v[146:147], v[80:81]
	v_add_f64 v[2:3], v[2:3], 0
	v_fma_f64 v[4:5], v[92:93], v[4:5], -v[8:9]
	v_add_f64 v[156:157], v[152:153], v[154:155]
	ds_read_b128 v[152:155], v90 offset:576
	v_add_f64 v[2:3], v[2:3], v[4:5]
	v_mul_f64 v[4:5], v[98:99], v[12:13]
	v_fma_f64 v[4:5], v[96:97], v[6:7], -v[4:5]
	v_add_f64 v[2:3], v[2:3], v[4:5]
	v_mul_f64 v[4:5], v[106:107], v[18:19]
	s_waitcnt vmcnt(36) lgkmcnt(1)
	v_mul_f64 v[158:159], v[148:149], v[74:75]
	v_fma_f64 v[4:5], v[104:105], v[20:21], -v[4:5]
	v_fmac_f64_e32 v[158:159], v[150:151], v[76:77]
	v_add_f64 v[2:3], v[2:3], v[4:5]
	v_mul_f64 v[4:5], v[134:135], v[14:15]
	v_add_f64 v[160:161], v[156:157], v[158:159]
	ds_read_b128 v[156:159], v90 offset:592
	s_waitcnt vmcnt(32) lgkmcnt(1)
	v_mul_f64 v[162:163], v[152:153], v[100:101]
	v_fma_f64 v[4:5], v[132:133], v[16:17], -v[4:5]
	s_waitcnt vmcnt(30)
	v_fmac_f64_e32 v[162:163], v[154:155], v[108:109]
	v_add_f64 v[2:3], v[2:3], v[4:5]
	v_mul_f64 v[4:5], v[138:139], v[26:27]
	v_add_f64 v[164:165], v[160:161], v[162:163]
	ds_read_b128 v[160:163], v90 offset:608
	v_fma_f64 v[4:5], v[136:137], v[28:29], -v[4:5]
	v_add_f64 v[2:3], v[2:3], v[4:5]
	v_mul_f64 v[4:5], v[142:143], v[22:23]
	v_fma_f64 v[4:5], v[140:141], v[24:25], -v[4:5]
	s_waitcnt vmcnt(28) lgkmcnt(1)
	v_mul_f64 v[166:167], v[156:157], v[82:83]
	v_add_f64 v[2:3], v[2:3], v[4:5]
	v_mul_f64 v[4:5], v[146:147], v[78:79]
	v_fmac_f64_e32 v[166:167], v[158:159], v[84:85]
	v_fma_f64 v[4:5], v[144:145], v[80:81], -v[4:5]
	v_add_f64 v[168:169], v[164:165], v[166:167]
	ds_read_b128 v[164:167], v90 offset:624
	s_waitcnt vmcnt(24) lgkmcnt(1)
	v_mul_f64 v[170:171], v[160:161], v[188:189]
	v_add_f64 v[2:3], v[2:3], v[4:5]
	v_mul_f64 v[4:5], v[150:151], v[74:75]
	s_waitcnt vmcnt(22)
	v_fmac_f64_e32 v[170:171], v[162:163], v[190:191]
	v_fma_f64 v[4:5], v[148:149], v[76:77], -v[4:5]
	v_add_f64 v[172:173], v[168:169], v[170:171]
	ds_read_b128 v[168:171], v90 offset:640
	v_add_f64 v[2:3], v[2:3], v[4:5]
	v_mul_f64 v[4:5], v[154:155], v[100:101]
	v_fma_f64 v[4:5], v[152:153], v[108:109], -v[4:5]
	v_add_f64 v[2:3], v[2:3], v[4:5]
	v_mul_f64 v[4:5], v[158:159], v[82:83]
	s_waitcnt vmcnt(20) lgkmcnt(1)
	v_mul_f64 v[174:175], v[164:165], v[184:185]
	v_fma_f64 v[4:5], v[156:157], v[84:85], -v[4:5]
	v_fmac_f64_e32 v[174:175], v[166:167], v[186:187]
	v_add_f64 v[2:3], v[2:3], v[4:5]
	v_mul_f64 v[4:5], v[162:163], v[188:189]
	v_add_f64 v[176:177], v[172:173], v[174:175]
	ds_read_b128 v[172:175], v90 offset:656
	s_waitcnt vmcnt(16) lgkmcnt(1)
	v_mul_f64 v[178:179], v[168:169], v[196:197]
	v_fma_f64 v[4:5], v[160:161], v[190:191], -v[4:5]
	s_waitcnt vmcnt(14)
	v_fmac_f64_e32 v[178:179], v[170:171], v[198:199]
	v_add_f64 v[2:3], v[2:3], v[4:5]
	v_mul_f64 v[4:5], v[166:167], v[184:185]
	v_add_f64 v[212:213], v[176:177], v[178:179]
	ds_read_b128 v[176:179], v90 offset:672
	v_fma_f64 v[4:5], v[164:165], v[186:187], -v[4:5]
	v_add_f64 v[2:3], v[2:3], v[4:5]
	v_mul_f64 v[4:5], v[170:171], v[196:197]
	v_fma_f64 v[4:5], v[168:169], v[198:199], -v[4:5]
	v_add_f64 v[2:3], v[2:3], v[4:5]
	s_waitcnt vmcnt(12) lgkmcnt(1)
	v_mul_f64 v[4:5], v[174:175], v[192:193]
	v_mul_f64 v[214:215], v[172:173], v[192:193]
	v_fma_f64 v[4:5], v[172:173], v[194:195], -v[4:5]
	v_fmac_f64_e32 v[214:215], v[174:175], v[194:195]
	v_add_f64 v[2:3], v[2:3], v[4:5]
	s_waitcnt vmcnt(8) lgkmcnt(0)
	v_mul_f64 v[4:5], v[178:179], v[204:205]
	v_add_f64 v[212:213], v[212:213], v[214:215]
	v_mul_f64 v[214:215], v[176:177], v[204:205]
	s_waitcnt vmcnt(6)
	v_fma_f64 v[4:5], v[176:177], v[206:207], -v[4:5]
	v_fmac_f64_e32 v[214:215], v[178:179], v[206:207]
	v_add_f64 v[2:3], v[2:3], v[4:5]
	s_waitcnt vmcnt(5)
	v_mul_f64 v[4:5], v[182:183], v[200:201]
	v_add_f64 v[212:213], v[212:213], v[214:215]
	v_mul_f64 v[214:215], v[180:181], v[200:201]
	s_waitcnt vmcnt(4)
	v_fma_f64 v[4:5], v[180:181], v[202:203], -v[4:5]
	v_fmac_f64_e32 v[214:215], v[182:183], v[202:203]
	v_add_f64 v[2:3], v[2:3], v[4:5]
	v_add_f64 v[212:213], v[212:213], v[214:215]
	s_waitcnt vmcnt(2)
	v_add_f64 v[2:3], v[208:209], -v[2:3]
	s_waitcnt vmcnt(0)
	v_add_f64 v[4:5], v[210:211], -v[212:213]
	buffer_store_dword v3, off, s[0:3], 0 offset:68
	buffer_store_dword v2, off, s[0:3], 0 offset:64
	;; [unrolled: 1-line block ×4, first 2 shown]
	s_and_saveexec_b64 s[6:7], vcc
	s_cbranch_execz .LBB85_139
; %bb.138:
	buffer_load_dword v2, v129, s[0:3], 0 offen
	buffer_load_dword v3, v129, s[0:3], 0 offen offset:4
	buffer_load_dword v4, v129, s[0:3], 0 offen offset:8
	;; [unrolled: 1-line block ×3, first 2 shown]
	s_nop 0
	buffer_store_dword v90, off, s[0:3], 0 offset:48
	buffer_store_dword v90, off, s[0:3], 0 offset:52
	;; [unrolled: 1-line block ×4, first 2 shown]
	s_waitcnt vmcnt(4)
	ds_write_b128 v102, v[2:5]
.LBB85_139:
	s_or_b64 exec, exec, s[6:7]
	s_waitcnt lgkmcnt(0)
	; wave barrier
	s_waitcnt lgkmcnt(0)
	buffer_load_dword v2, off, s[0:3], 0 offset:64
	buffer_load_dword v3, off, s[0:3], 0 offset:68
	;; [unrolled: 1-line block ×72, first 2 shown]
	ds_read_b128 v[92:95], v90 offset:416
	buffer_load_dword v216, off, s[0:3], 0 offset:48
	buffer_load_dword v217, off, s[0:3], 0 offset:52
	;; [unrolled: 1-line block ×4, first 2 shown]
	ds_read_b128 v[96:99], v90 offset:432
	ds_read_b128 v[104:107], v90 offset:448
	;; [unrolled: 1-line block ×3, first 2 shown]
	v_cmp_lt_u32_e32 vcc, 2, v130
	ds_read_b128 v[188:191], v90 offset:688
	s_waitcnt vmcnt(62) lgkmcnt(4)
	v_mul_f64 v[136:137], v[92:93], v[8:9]
	v_fmac_f64_e32 v[136:137], v[94:95], v[2:3]
	v_add_f64 v[136:137], v[136:137], 0
	v_mul_f64 v[8:9], v[94:95], v[8:9]
	s_waitcnt lgkmcnt(3)
	v_mul_f64 v[138:139], v[96:97], v[10:11]
	v_fmac_f64_e32 v[138:139], v[98:99], v[4:5]
	v_add_f64 v[136:137], v[136:137], v[138:139]
	v_fma_f64 v[2:3], v[92:93], v[2:3], -v[8:9]
	s_waitcnt lgkmcnt(2)
	v_mul_f64 v[138:139], v[104:105], v[12:13]
	v_fmac_f64_e32 v[138:139], v[106:107], v[6:7]
	v_add_f64 v[140:141], v[136:137], v[138:139]
	ds_read_b128 v[136:139], v90 offset:480
	s_waitcnt vmcnt(60) lgkmcnt(2)
	v_mul_f64 v[142:143], v[132:133], v[18:19]
	v_mul_f64 v[8:9], v[98:99], v[10:11]
	s_waitcnt vmcnt(58)
	v_fmac_f64_e32 v[142:143], v[134:135], v[20:21]
	v_add_f64 v[144:145], v[140:141], v[142:143]
	ds_read_b128 v[140:143], v90 offset:496
	s_waitcnt vmcnt(56) lgkmcnt(1)
	v_mul_f64 v[146:147], v[136:137], v[14:15]
	v_fmac_f64_e32 v[146:147], v[138:139], v[16:17]
	v_add_f64 v[148:149], v[144:145], v[146:147]
	ds_read_b128 v[144:147], v90 offset:512
	s_waitcnt vmcnt(52) lgkmcnt(1)
	v_mul_f64 v[150:151], v[140:141], v[26:27]
	s_waitcnt vmcnt(50)
	v_fmac_f64_e32 v[150:151], v[142:143], v[28:29]
	v_add_f64 v[152:153], v[148:149], v[150:151]
	ds_read_b128 v[148:151], v90 offset:528
	s_waitcnt vmcnt(48) lgkmcnt(1)
	v_mul_f64 v[154:155], v[144:145], v[22:23]
	v_fmac_f64_e32 v[154:155], v[146:147], v[24:25]
	v_add_f64 v[156:157], v[152:153], v[154:155]
	ds_read_b128 v[152:155], v90 offset:544
	s_waitcnt vmcnt(44) lgkmcnt(1)
	v_mul_f64 v[158:159], v[148:149], v[78:79]
	s_waitcnt vmcnt(42)
	v_fmac_f64_e32 v[158:159], v[150:151], v[80:81]
	v_add_f64 v[2:3], v[2:3], 0
	v_fma_f64 v[4:5], v[96:97], v[4:5], -v[8:9]
	v_add_f64 v[160:161], v[156:157], v[158:159]
	ds_read_b128 v[156:159], v90 offset:560
	s_waitcnt vmcnt(40) lgkmcnt(1)
	v_mul_f64 v[162:163], v[152:153], v[74:75]
	v_add_f64 v[2:3], v[2:3], v[4:5]
	v_mul_f64 v[4:5], v[106:107], v[12:13]
	v_fmac_f64_e32 v[162:163], v[154:155], v[76:77]
	v_fma_f64 v[4:5], v[104:105], v[6:7], -v[4:5]
	v_add_f64 v[164:165], v[160:161], v[162:163]
	ds_read_b128 v[160:163], v90 offset:576
	v_add_f64 v[2:3], v[2:3], v[4:5]
	v_mul_f64 v[4:5], v[134:135], v[18:19]
	v_fma_f64 v[4:5], v[132:133], v[20:21], -v[4:5]
	v_add_f64 v[2:3], v[2:3], v[4:5]
	v_mul_f64 v[4:5], v[138:139], v[14:15]
	s_waitcnt vmcnt(36) lgkmcnt(1)
	v_mul_f64 v[166:167], v[156:157], v[86:87]
	v_fma_f64 v[4:5], v[136:137], v[16:17], -v[4:5]
	s_waitcnt vmcnt(34)
	v_fmac_f64_e32 v[166:167], v[158:159], v[88:89]
	v_add_f64 v[2:3], v[2:3], v[4:5]
	v_mul_f64 v[4:5], v[142:143], v[26:27]
	v_add_f64 v[168:169], v[164:165], v[166:167]
	ds_read_b128 v[164:167], v90 offset:592
	s_waitcnt vmcnt(32) lgkmcnt(1)
	v_mul_f64 v[170:171], v[160:161], v[82:83]
	v_fma_f64 v[4:5], v[140:141], v[28:29], -v[4:5]
	v_fmac_f64_e32 v[170:171], v[162:163], v[84:85]
	v_add_f64 v[2:3], v[2:3], v[4:5]
	v_mul_f64 v[4:5], v[146:147], v[22:23]
	v_add_f64 v[172:173], v[168:169], v[170:171]
	ds_read_b128 v[168:171], v90 offset:608
	v_fma_f64 v[4:5], v[144:145], v[24:25], -v[4:5]
	v_add_f64 v[2:3], v[2:3], v[4:5]
	v_mul_f64 v[4:5], v[150:151], v[78:79]
	v_fma_f64 v[4:5], v[148:149], v[80:81], -v[4:5]
	s_waitcnt vmcnt(28) lgkmcnt(1)
	v_mul_f64 v[174:175], v[164:165], v[192:193]
	v_add_f64 v[2:3], v[2:3], v[4:5]
	v_mul_f64 v[4:5], v[154:155], v[74:75]
	s_waitcnt vmcnt(26)
	v_fmac_f64_e32 v[174:175], v[166:167], v[194:195]
	v_fma_f64 v[4:5], v[152:153], v[76:77], -v[4:5]
	v_add_f64 v[176:177], v[172:173], v[174:175]
	ds_read_b128 v[172:175], v90 offset:624
	s_waitcnt vmcnt(24) lgkmcnt(1)
	v_mul_f64 v[178:179], v[168:169], v[100:101]
	v_add_f64 v[2:3], v[2:3], v[4:5]
	v_mul_f64 v[4:5], v[158:159], v[86:87]
	v_fmac_f64_e32 v[178:179], v[170:171], v[108:109]
	v_fma_f64 v[4:5], v[156:157], v[88:89], -v[4:5]
	v_add_f64 v[180:181], v[176:177], v[178:179]
	ds_read_b128 v[176:179], v90 offset:640
	v_add_f64 v[2:3], v[2:3], v[4:5]
	v_mul_f64 v[4:5], v[162:163], v[82:83]
	v_fma_f64 v[4:5], v[160:161], v[84:85], -v[4:5]
	v_add_f64 v[2:3], v[2:3], v[4:5]
	v_mul_f64 v[4:5], v[166:167], v[192:193]
	s_waitcnt vmcnt(20) lgkmcnt(1)
	v_mul_f64 v[182:183], v[172:173], v[200:201]
	v_fma_f64 v[4:5], v[164:165], v[194:195], -v[4:5]
	s_waitcnt vmcnt(18)
	v_fmac_f64_e32 v[182:183], v[174:175], v[202:203]
	v_add_f64 v[2:3], v[2:3], v[4:5]
	v_mul_f64 v[4:5], v[170:171], v[100:101]
	v_add_f64 v[184:185], v[180:181], v[182:183]
	ds_read_b128 v[180:183], v90 offset:656
	s_waitcnt vmcnt(16) lgkmcnt(1)
	v_mul_f64 v[186:187], v[176:177], v[196:197]
	v_fma_f64 v[4:5], v[168:169], v[108:109], -v[4:5]
	v_fmac_f64_e32 v[186:187], v[178:179], v[198:199]
	v_add_f64 v[2:3], v[2:3], v[4:5]
	v_mul_f64 v[4:5], v[174:175], v[200:201]
	v_add_f64 v[220:221], v[184:185], v[186:187]
	ds_read_b128 v[184:187], v90 offset:672
	v_fma_f64 v[4:5], v[172:173], v[202:203], -v[4:5]
	v_add_f64 v[2:3], v[2:3], v[4:5]
	v_mul_f64 v[4:5], v[178:179], v[196:197]
	v_fma_f64 v[4:5], v[176:177], v[198:199], -v[4:5]
	v_add_f64 v[2:3], v[2:3], v[4:5]
	s_waitcnt vmcnt(12) lgkmcnt(1)
	v_mul_f64 v[4:5], v[182:183], v[208:209]
	v_mul_f64 v[222:223], v[180:181], v[208:209]
	s_waitcnt vmcnt(10)
	v_fma_f64 v[4:5], v[180:181], v[210:211], -v[4:5]
	v_fmac_f64_e32 v[222:223], v[182:183], v[210:211]
	v_add_f64 v[2:3], v[2:3], v[4:5]
	s_waitcnt vmcnt(8) lgkmcnt(0)
	v_mul_f64 v[4:5], v[186:187], v[204:205]
	v_add_f64 v[90:91], v[220:221], v[222:223]
	v_mul_f64 v[220:221], v[184:185], v[204:205]
	v_fma_f64 v[4:5], v[184:185], v[206:207], -v[4:5]
	v_fmac_f64_e32 v[220:221], v[186:187], v[206:207]
	v_add_f64 v[2:3], v[2:3], v[4:5]
	s_waitcnt vmcnt(6)
	v_mul_f64 v[4:5], v[190:191], v[212:213]
	v_add_f64 v[90:91], v[90:91], v[220:221]
	v_mul_f64 v[220:221], v[188:189], v[212:213]
	s_waitcnt vmcnt(4)
	v_fma_f64 v[4:5], v[188:189], v[214:215], -v[4:5]
	v_fmac_f64_e32 v[220:221], v[190:191], v[214:215]
	v_add_f64 v[2:3], v[2:3], v[4:5]
	v_add_f64 v[90:91], v[90:91], v[220:221]
	s_waitcnt vmcnt(2)
	v_add_f64 v[2:3], v[216:217], -v[2:3]
	s_waitcnt vmcnt(0)
	v_add_f64 v[4:5], v[218:219], -v[90:91]
	buffer_store_dword v3, off, s[0:3], 0 offset:52
	buffer_store_dword v2, off, s[0:3], 0 offset:48
	;; [unrolled: 1-line block ×4, first 2 shown]
	s_and_saveexec_b64 s[6:7], vcc
	s_cbranch_execz .LBB85_141
; %bb.140:
	buffer_load_dword v2, v128, s[0:3], 0 offen
	buffer_load_dword v3, v128, s[0:3], 0 offen offset:4
	buffer_load_dword v4, v128, s[0:3], 0 offen offset:8
	;; [unrolled: 1-line block ×3, first 2 shown]
	v_mov_b32_e32 v6, 0
	buffer_store_dword v6, off, s[0:3], 0 offset:32
	buffer_store_dword v6, off, s[0:3], 0 offset:36
	;; [unrolled: 1-line block ×4, first 2 shown]
	s_waitcnt vmcnt(4)
	ds_write_b128 v102, v[2:5]
.LBB85_141:
	s_or_b64 exec, exec, s[6:7]
	s_waitcnt lgkmcnt(0)
	; wave barrier
	s_waitcnt lgkmcnt(0)
	buffer_load_dword v2, off, s[0:3], 0 offset:48
	buffer_load_dword v3, off, s[0:3], 0 offset:52
	;; [unrolled: 1-line block ×76, first 2 shown]
	v_mov_b32_e32 v98, 0
	ds_read_b128 v[104:107], v98 offset:400
	buffer_load_dword v224, off, s[0:3], 0 offset:32
	buffer_load_dword v225, off, s[0:3], 0 offset:36
	;; [unrolled: 1-line block ×4, first 2 shown]
	ds_read_b128 v[132:135], v98 offset:416
	ds_read_b128 v[136:139], v98 offset:432
	;; [unrolled: 1-line block ×4, first 2 shown]
	v_cmp_lt_u32_e32 vcc, 1, v130
	s_waitcnt vmcnt(62) lgkmcnt(4)
	v_mul_f64 v[144:145], v[104:105], v[8:9]
	v_fmac_f64_e32 v[144:145], v[106:107], v[2:3]
	v_add_f64 v[144:145], v[144:145], 0
	v_mul_f64 v[8:9], v[106:107], v[8:9]
	s_waitcnt lgkmcnt(3)
	v_mul_f64 v[146:147], v[132:133], v[10:11]
	v_fmac_f64_e32 v[146:147], v[134:135], v[4:5]
	v_add_f64 v[144:145], v[144:145], v[146:147]
	v_fma_f64 v[2:3], v[104:105], v[2:3], -v[8:9]
	s_waitcnt lgkmcnt(2)
	v_mul_f64 v[146:147], v[136:137], v[12:13]
	v_fmac_f64_e32 v[146:147], v[138:139], v[6:7]
	v_add_f64 v[148:149], v[144:145], v[146:147]
	ds_read_b128 v[144:147], v98 offset:464
	s_waitcnt lgkmcnt(2)
	v_mul_f64 v[150:151], v[140:141], v[18:19]
	v_mul_f64 v[8:9], v[134:135], v[10:11]
	v_fmac_f64_e32 v[150:151], v[142:143], v[20:21]
	v_add_f64 v[152:153], v[148:149], v[150:151]
	ds_read_b128 v[148:151], v98 offset:480
	s_waitcnt vmcnt(60) lgkmcnt(1)
	v_mul_f64 v[154:155], v[144:145], v[14:15]
	v_fmac_f64_e32 v[154:155], v[146:147], v[16:17]
	v_add_f64 v[156:157], v[152:153], v[154:155]
	ds_read_b128 v[152:155], v98 offset:496
	s_waitcnt vmcnt(56) lgkmcnt(1)
	v_mul_f64 v[158:159], v[148:149], v[26:27]
	s_waitcnt vmcnt(54)
	v_fmac_f64_e32 v[158:159], v[150:151], v[28:29]
	v_add_f64 v[160:161], v[156:157], v[158:159]
	ds_read_b128 v[156:159], v98 offset:512
	s_waitcnt vmcnt(52) lgkmcnt(1)
	v_mul_f64 v[162:163], v[152:153], v[22:23]
	v_fmac_f64_e32 v[162:163], v[154:155], v[24:25]
	v_add_f64 v[164:165], v[160:161], v[162:163]
	ds_read_b128 v[160:163], v98 offset:528
	s_waitcnt vmcnt(48) lgkmcnt(1)
	v_mul_f64 v[166:167], v[156:157], v[78:79]
	s_waitcnt vmcnt(46)
	v_fmac_f64_e32 v[166:167], v[158:159], v[80:81]
	v_add_f64 v[168:169], v[164:165], v[166:167]
	ds_read_b128 v[164:167], v98 offset:544
	v_add_f64 v[2:3], v[2:3], 0
	v_fma_f64 v[4:5], v[132:133], v[4:5], -v[8:9]
	s_waitcnt vmcnt(44) lgkmcnt(1)
	v_mul_f64 v[170:171], v[160:161], v[74:75]
	v_add_f64 v[2:3], v[2:3], v[4:5]
	v_mul_f64 v[4:5], v[138:139], v[12:13]
	v_fmac_f64_e32 v[170:171], v[162:163], v[76:77]
	v_fma_f64 v[4:5], v[136:137], v[6:7], -v[4:5]
	v_add_f64 v[172:173], v[168:169], v[170:171]
	ds_read_b128 v[168:171], v98 offset:560
	s_waitcnt vmcnt(40) lgkmcnt(1)
	v_mul_f64 v[174:175], v[164:165], v[86:87]
	v_add_f64 v[2:3], v[2:3], v[4:5]
	v_mul_f64 v[4:5], v[142:143], v[18:19]
	s_waitcnt vmcnt(38)
	v_fmac_f64_e32 v[174:175], v[166:167], v[88:89]
	v_fma_f64 v[4:5], v[140:141], v[20:21], -v[4:5]
	v_add_f64 v[176:177], v[172:173], v[174:175]
	ds_read_b128 v[172:175], v98 offset:576
	v_add_f64 v[2:3], v[2:3], v[4:5]
	v_mul_f64 v[4:5], v[146:147], v[14:15]
	v_fma_f64 v[4:5], v[144:145], v[16:17], -v[4:5]
	v_add_f64 v[2:3], v[2:3], v[4:5]
	v_mul_f64 v[4:5], v[150:151], v[26:27]
	s_waitcnt vmcnt(36) lgkmcnt(1)
	v_mul_f64 v[178:179], v[168:169], v[82:83]
	v_fma_f64 v[4:5], v[148:149], v[28:29], -v[4:5]
	v_fmac_f64_e32 v[178:179], v[170:171], v[84:85]
	v_add_f64 v[2:3], v[2:3], v[4:5]
	v_mul_f64 v[4:5], v[154:155], v[22:23]
	v_add_f64 v[180:181], v[176:177], v[178:179]
	ds_read_b128 v[176:179], v98 offset:592
	s_waitcnt vmcnt(32) lgkmcnt(1)
	v_mul_f64 v[182:183], v[172:173], v[94:95]
	v_fma_f64 v[4:5], v[152:153], v[24:25], -v[4:5]
	s_waitcnt vmcnt(30)
	v_fmac_f64_e32 v[182:183], v[174:175], v[96:97]
	v_add_f64 v[2:3], v[2:3], v[4:5]
	v_mul_f64 v[4:5], v[158:159], v[78:79]
	v_add_f64 v[184:185], v[180:181], v[182:183]
	ds_read_b128 v[180:183], v98 offset:608
	v_fma_f64 v[4:5], v[156:157], v[80:81], -v[4:5]
	v_add_f64 v[2:3], v[2:3], v[4:5]
	v_mul_f64 v[4:5], v[162:163], v[74:75]
	v_fma_f64 v[4:5], v[160:161], v[76:77], -v[4:5]
	s_waitcnt vmcnt(28) lgkmcnt(1)
	v_mul_f64 v[186:187], v[176:177], v[90:91]
	v_add_f64 v[2:3], v[2:3], v[4:5]
	v_mul_f64 v[4:5], v[166:167], v[86:87]
	v_fmac_f64_e32 v[186:187], v[178:179], v[92:93]
	v_fma_f64 v[4:5], v[164:165], v[88:89], -v[4:5]
	v_add_f64 v[188:189], v[184:185], v[186:187]
	ds_read_b128 v[184:187], v98 offset:624
	s_waitcnt vmcnt(24) lgkmcnt(1)
	v_mul_f64 v[190:191], v[180:181], v[204:205]
	v_add_f64 v[2:3], v[2:3], v[4:5]
	v_mul_f64 v[4:5], v[170:171], v[82:83]
	s_waitcnt vmcnt(22)
	v_fmac_f64_e32 v[190:191], v[182:183], v[206:207]
	v_fma_f64 v[4:5], v[168:169], v[84:85], -v[4:5]
	v_add_f64 v[192:193], v[188:189], v[190:191]
	ds_read_b128 v[188:191], v98 offset:640
	v_add_f64 v[2:3], v[2:3], v[4:5]
	v_mul_f64 v[4:5], v[174:175], v[94:95]
	v_fma_f64 v[4:5], v[172:173], v[96:97], -v[4:5]
	v_add_f64 v[2:3], v[2:3], v[4:5]
	v_mul_f64 v[4:5], v[178:179], v[90:91]
	s_waitcnt vmcnt(20) lgkmcnt(1)
	v_mul_f64 v[194:195], v[184:185], v[100:101]
	v_fma_f64 v[4:5], v[176:177], v[92:93], -v[4:5]
	v_fmac_f64_e32 v[194:195], v[186:187], v[108:109]
	v_add_f64 v[2:3], v[2:3], v[4:5]
	v_mul_f64 v[4:5], v[182:183], v[204:205]
	v_add_f64 v[196:197], v[192:193], v[194:195]
	ds_read_b128 v[192:195], v98 offset:656
	s_waitcnt vmcnt(16) lgkmcnt(1)
	v_mul_f64 v[198:199], v[188:189], v[212:213]
	v_fma_f64 v[4:5], v[180:181], v[206:207], -v[4:5]
	s_waitcnt vmcnt(14)
	v_fmac_f64_e32 v[198:199], v[190:191], v[214:215]
	v_add_f64 v[2:3], v[2:3], v[4:5]
	v_mul_f64 v[4:5], v[186:187], v[100:101]
	v_add_f64 v[228:229], v[196:197], v[198:199]
	ds_read_b128 v[196:199], v98 offset:672
	v_fma_f64 v[4:5], v[184:185], v[108:109], -v[4:5]
	v_add_f64 v[2:3], v[2:3], v[4:5]
	v_mul_f64 v[4:5], v[190:191], v[212:213]
	v_fma_f64 v[4:5], v[188:189], v[214:215], -v[4:5]
	v_add_f64 v[2:3], v[2:3], v[4:5]
	s_waitcnt vmcnt(12) lgkmcnt(1)
	v_mul_f64 v[4:5], v[194:195], v[208:209]
	v_mul_f64 v[230:231], v[192:193], v[208:209]
	v_fma_f64 v[4:5], v[192:193], v[210:211], -v[4:5]
	v_fmac_f64_e32 v[230:231], v[194:195], v[210:211]
	v_add_f64 v[2:3], v[2:3], v[4:5]
	s_waitcnt vmcnt(8) lgkmcnt(0)
	v_mul_f64 v[4:5], v[198:199], v[220:221]
	v_add_f64 v[228:229], v[228:229], v[230:231]
	v_mul_f64 v[230:231], v[196:197], v[220:221]
	s_waitcnt vmcnt(6)
	v_fma_f64 v[4:5], v[196:197], v[222:223], -v[4:5]
	v_fmac_f64_e32 v[230:231], v[198:199], v[222:223]
	v_add_f64 v[2:3], v[2:3], v[4:5]
	s_waitcnt vmcnt(5)
	v_mul_f64 v[4:5], v[202:203], v[216:217]
	v_add_f64 v[228:229], v[228:229], v[230:231]
	v_mul_f64 v[230:231], v[200:201], v[216:217]
	s_waitcnt vmcnt(4)
	v_fma_f64 v[4:5], v[200:201], v[218:219], -v[4:5]
	v_fmac_f64_e32 v[230:231], v[202:203], v[218:219]
	v_add_f64 v[2:3], v[2:3], v[4:5]
	v_add_f64 v[228:229], v[228:229], v[230:231]
	s_waitcnt vmcnt(2)
	v_add_f64 v[2:3], v[224:225], -v[2:3]
	s_waitcnt vmcnt(0)
	v_add_f64 v[4:5], v[226:227], -v[228:229]
	buffer_store_dword v3, off, s[0:3], 0 offset:36
	buffer_store_dword v2, off, s[0:3], 0 offset:32
	;; [unrolled: 1-line block ×4, first 2 shown]
	s_and_saveexec_b64 s[6:7], vcc
	s_cbranch_execz .LBB85_143
; %bb.142:
	buffer_load_dword v2, v127, s[0:3], 0 offen
	buffer_load_dword v3, v127, s[0:3], 0 offen offset:4
	buffer_load_dword v4, v127, s[0:3], 0 offen offset:8
	;; [unrolled: 1-line block ×3, first 2 shown]
	s_nop 0
	buffer_store_dword v98, off, s[0:3], 0 offset:16
	buffer_store_dword v98, off, s[0:3], 0 offset:20
	;; [unrolled: 1-line block ×4, first 2 shown]
	s_waitcnt vmcnt(4)
	ds_write_b128 v102, v[2:5]
.LBB85_143:
	s_or_b64 exec, exec, s[6:7]
	s_waitcnt lgkmcnt(0)
	; wave barrier
	s_waitcnt lgkmcnt(0)
	buffer_load_dword v2, off, s[0:3], 0 offset:32
	buffer_load_dword v3, off, s[0:3], 0 offset:36
	;; [unrolled: 1-line block ×76, first 2 shown]
	ds_read_b128 v[104:107], v98 offset:384
	buffer_load_dword v227, off, s[0:3], 0 offset:348
	buffer_load_dword v226, off, s[0:3], 0 offset:344
	;; [unrolled: 1-line block ×8, first 2 shown]
	ds_read_b128 v[132:135], v98 offset:400
	ds_read_b128 v[136:139], v98 offset:416
	ds_read_b128 v[140:143], v98 offset:432
	v_cmp_ne_u32_e32 vcc, 0, v130
	s_waitcnt vmcnt(62) lgkmcnt(3)
	v_mul_f64 v[100:101], v[104:105], v[8:9]
	v_fmac_f64_e32 v[100:101], v[106:107], v[2:3]
	v_add_f64 v[100:101], v[100:101], 0
	v_mul_f64 v[8:9], v[106:107], v[8:9]
	s_waitcnt lgkmcnt(2)
	v_mul_f64 v[144:145], v[132:133], v[10:11]
	v_fmac_f64_e32 v[144:145], v[134:135], v[4:5]
	v_add_f64 v[100:101], v[100:101], v[144:145]
	v_fma_f64 v[2:3], v[104:105], v[2:3], -v[8:9]
	s_waitcnt lgkmcnt(1)
	v_mul_f64 v[144:145], v[136:137], v[12:13]
	v_fmac_f64_e32 v[144:145], v[138:139], v[6:7]
	v_add_f64 v[100:101], v[100:101], v[144:145]
	ds_read_b128 v[144:147], v98 offset:448
	v_mul_f64 v[8:9], v[134:135], v[10:11]
	v_add_f64 v[2:3], v[2:3], 0
	s_waitcnt lgkmcnt(1)
	v_mul_f64 v[148:149], v[140:141], v[18:19]
	v_fma_f64 v[4:5], v[132:133], v[4:5], -v[8:9]
	v_fmac_f64_e32 v[148:149], v[142:143], v[20:21]
	v_add_f64 v[100:101], v[100:101], v[148:149]
	ds_read_b128 v[148:151], v98 offset:464
	s_waitcnt lgkmcnt(1)
	v_mul_f64 v[152:153], v[144:145], v[14:15]
	v_fmac_f64_e32 v[152:153], v[146:147], v[16:17]
	v_add_f64 v[100:101], v[100:101], v[152:153]
	ds_read_b128 v[152:155], v98 offset:480
	s_waitcnt vmcnt(58) lgkmcnt(1)
	v_mul_f64 v[156:157], v[148:149], v[26:27]
	s_waitcnt vmcnt(56)
	v_fmac_f64_e32 v[156:157], v[150:151], v[28:29]
	v_add_f64 v[100:101], v[100:101], v[156:157]
	ds_read_b128 v[156:159], v98 offset:496
	s_waitcnt lgkmcnt(1)
	v_mul_f64 v[160:161], v[152:153], v[22:23]
	v_fmac_f64_e32 v[160:161], v[154:155], v[24:25]
	v_add_f64 v[100:101], v[100:101], v[160:161]
	ds_read_b128 v[160:163], v98 offset:512
	s_waitcnt vmcnt(50) lgkmcnt(1)
	v_mul_f64 v[164:165], v[156:157], v[78:79]
	s_waitcnt vmcnt(48)
	v_fmac_f64_e32 v[164:165], v[158:159], v[80:81]
	v_add_f64 v[100:101], v[100:101], v[164:165]
	ds_read_b128 v[164:167], v98 offset:528
	s_waitcnt lgkmcnt(1)
	v_mul_f64 v[168:169], v[160:161], v[74:75]
	v_fmac_f64_e32 v[168:169], v[162:163], v[76:77]
	v_add_f64 v[100:101], v[100:101], v[168:169]
	ds_read_b128 v[168:171], v98 offset:544
	v_add_f64 v[2:3], v[2:3], v[4:5]
	v_mul_f64 v[4:5], v[138:139], v[12:13]
	v_fma_f64 v[4:5], v[136:137], v[6:7], -v[4:5]
	s_waitcnt vmcnt(42) lgkmcnt(1)
	v_mul_f64 v[172:173], v[164:165], v[86:87]
	v_add_f64 v[2:3], v[2:3], v[4:5]
	v_mul_f64 v[4:5], v[142:143], v[18:19]
	s_waitcnt vmcnt(40)
	v_fmac_f64_e32 v[172:173], v[166:167], v[88:89]
	v_fma_f64 v[4:5], v[140:141], v[20:21], -v[4:5]
	v_add_f64 v[100:101], v[100:101], v[172:173]
	ds_read_b128 v[172:175], v98 offset:560
	s_waitcnt lgkmcnt(1)
	v_mul_f64 v[176:177], v[168:169], v[82:83]
	v_add_f64 v[2:3], v[2:3], v[4:5]
	v_mul_f64 v[4:5], v[146:147], v[14:15]
	v_fmac_f64_e32 v[176:177], v[170:171], v[84:85]
	v_fma_f64 v[4:5], v[144:145], v[16:17], -v[4:5]
	v_add_f64 v[100:101], v[100:101], v[176:177]
	ds_read_b128 v[176:179], v98 offset:576
	v_add_f64 v[2:3], v[2:3], v[4:5]
	v_mul_f64 v[4:5], v[150:151], v[26:27]
	v_fma_f64 v[4:5], v[148:149], v[28:29], -v[4:5]
	v_add_f64 v[2:3], v[2:3], v[4:5]
	v_mul_f64 v[4:5], v[154:155], v[22:23]
	s_waitcnt vmcnt(34) lgkmcnt(1)
	v_mul_f64 v[180:181], v[172:173], v[94:95]
	v_fma_f64 v[4:5], v[152:153], v[24:25], -v[4:5]
	s_waitcnt vmcnt(32)
	v_fmac_f64_e32 v[180:181], v[174:175], v[96:97]
	v_add_f64 v[2:3], v[2:3], v[4:5]
	v_mul_f64 v[4:5], v[158:159], v[78:79]
	v_add_f64 v[100:101], v[100:101], v[180:181]
	ds_read_b128 v[180:183], v98 offset:592
	s_waitcnt lgkmcnt(1)
	v_mul_f64 v[184:185], v[176:177], v[90:91]
	v_fma_f64 v[4:5], v[156:157], v[80:81], -v[4:5]
	v_fmac_f64_e32 v[184:185], v[178:179], v[92:93]
	v_add_f64 v[2:3], v[2:3], v[4:5]
	v_mul_f64 v[4:5], v[162:163], v[74:75]
	v_add_f64 v[100:101], v[100:101], v[184:185]
	ds_read_b128 v[184:187], v98 offset:608
	v_fma_f64 v[4:5], v[160:161], v[76:77], -v[4:5]
	v_add_f64 v[2:3], v[2:3], v[4:5]
	v_mul_f64 v[4:5], v[166:167], v[86:87]
	v_fma_f64 v[4:5], v[164:165], v[88:89], -v[4:5]
	s_waitcnt vmcnt(26) lgkmcnt(1)
	v_mul_f64 v[188:189], v[180:181], v[206:207]
	v_add_f64 v[2:3], v[2:3], v[4:5]
	v_mul_f64 v[4:5], v[170:171], v[82:83]
	s_waitcnt vmcnt(24)
	v_fmac_f64_e32 v[188:189], v[182:183], v[208:209]
	v_fma_f64 v[4:5], v[168:169], v[84:85], -v[4:5]
	v_add_f64 v[100:101], v[100:101], v[188:189]
	ds_read_b128 v[188:191], v98 offset:624
	s_waitcnt lgkmcnt(1)
	v_mul_f64 v[192:193], v[184:185], v[108:109]
	v_add_f64 v[2:3], v[2:3], v[4:5]
	v_mul_f64 v[4:5], v[174:175], v[94:95]
	v_fmac_f64_e32 v[192:193], v[186:187], v[204:205]
	v_fma_f64 v[4:5], v[172:173], v[96:97], -v[4:5]
	v_add_f64 v[100:101], v[100:101], v[192:193]
	ds_read_b128 v[192:195], v98 offset:640
	v_add_f64 v[2:3], v[2:3], v[4:5]
	v_mul_f64 v[4:5], v[178:179], v[90:91]
	v_fma_f64 v[4:5], v[176:177], v[92:93], -v[4:5]
	v_add_f64 v[2:3], v[2:3], v[4:5]
	v_mul_f64 v[4:5], v[182:183], v[206:207]
	s_waitcnt vmcnt(18) lgkmcnt(1)
	v_mul_f64 v[196:197], v[188:189], v[214:215]
	v_fma_f64 v[4:5], v[180:181], v[208:209], -v[4:5]
	s_waitcnt vmcnt(16)
	v_fmac_f64_e32 v[196:197], v[190:191], v[216:217]
	v_add_f64 v[2:3], v[2:3], v[4:5]
	v_mul_f64 v[4:5], v[186:187], v[108:109]
	v_add_f64 v[100:101], v[100:101], v[196:197]
	ds_read_b128 v[196:199], v98 offset:656
	s_waitcnt lgkmcnt(1)
	v_mul_f64 v[200:201], v[192:193], v[210:211]
	v_fma_f64 v[4:5], v[184:185], v[204:205], -v[4:5]
	v_fmac_f64_e32 v[200:201], v[194:195], v[212:213]
	v_add_f64 v[2:3], v[2:3], v[4:5]
	v_mul_f64 v[4:5], v[190:191], v[214:215]
	v_add_f64 v[234:235], v[100:101], v[200:201]
	ds_read_b128 v[200:203], v98 offset:672
	v_fma_f64 v[4:5], v[188:189], v[216:217], -v[4:5]
	v_add_f64 v[2:3], v[2:3], v[4:5]
	v_mul_f64 v[4:5], v[194:195], v[210:211]
	ds_read_b128 v[98:101], v98 offset:688
	v_fma_f64 v[4:5], v[192:193], v[212:213], -v[4:5]
	v_add_f64 v[2:3], v[2:3], v[4:5]
	s_waitcnt vmcnt(10) lgkmcnt(2)
	v_mul_f64 v[4:5], v[198:199], v[222:223]
	v_mul_f64 v[236:237], v[196:197], v[222:223]
	s_waitcnt vmcnt(8)
	v_fma_f64 v[4:5], v[196:197], v[224:225], -v[4:5]
	v_fmac_f64_e32 v[236:237], v[198:199], v[224:225]
	v_add_f64 v[2:3], v[2:3], v[4:5]
	s_waitcnt lgkmcnt(1)
	v_mul_f64 v[4:5], v[202:203], v[218:219]
	v_add_f64 v[234:235], v[234:235], v[236:237]
	v_mul_f64 v[236:237], v[200:201], v[218:219]
	v_fma_f64 v[4:5], v[200:201], v[220:221], -v[4:5]
	v_fmac_f64_e32 v[236:237], v[202:203], v[220:221]
	v_add_f64 v[2:3], v[2:3], v[4:5]
	s_waitcnt vmcnt(6) lgkmcnt(0)
	v_mul_f64 v[4:5], v[100:101], v[226:227]
	v_add_f64 v[234:235], v[234:235], v[236:237]
	v_mul_f64 v[236:237], v[98:99], v[226:227]
	s_waitcnt vmcnt(4)
	v_fma_f64 v[4:5], v[98:99], v[228:229], -v[4:5]
	v_fmac_f64_e32 v[236:237], v[100:101], v[228:229]
	v_add_f64 v[2:3], v[2:3], v[4:5]
	v_add_f64 v[234:235], v[234:235], v[236:237]
	s_waitcnt vmcnt(2)
	v_add_f64 v[2:3], v[230:231], -v[2:3]
	s_waitcnt vmcnt(0)
	v_add_f64 v[4:5], v[232:233], -v[234:235]
	buffer_store_dword v3, off, s[0:3], 0 offset:20
	buffer_store_dword v2, off, s[0:3], 0 offset:16
	;; [unrolled: 1-line block ×4, first 2 shown]
	s_and_saveexec_b64 s[6:7], vcc
	s_cbranch_execz .LBB85_145
; %bb.144:
	buffer_load_dword v2, off, s[0:3], 0
	buffer_load_dword v3, off, s[0:3], 0 offset:4
	buffer_load_dword v4, off, s[0:3], 0 offset:8
	buffer_load_dword v5, off, s[0:3], 0 offset:12
	v_mov_b32_e32 v6, 0
	buffer_store_dword v6, off, s[0:3], 0
	buffer_store_dword v6, off, s[0:3], 0 offset:4
	buffer_store_dword v6, off, s[0:3], 0 offset:8
	;; [unrolled: 1-line block ×3, first 2 shown]
	s_waitcnt vmcnt(4)
	ds_write_b128 v102, v[2:5]
.LBB85_145:
	s_or_b64 exec, exec, s[6:7]
	s_waitcnt lgkmcnt(0)
	; wave barrier
	s_waitcnt lgkmcnt(0)
	buffer_load_dword v4, off, s[0:3], 0
	buffer_load_dword v5, off, s[0:3], 0 offset:4
	buffer_load_dword v2, off, s[0:3], 0 offset:8
	;; [unrolled: 1-line block ×87, first 2 shown]
	v_mov_b32_e32 v131, 0
	ds_read_b128 v[132:135], v131 offset:368
	ds_read_b128 v[136:139], v131 offset:384
	;; [unrolled: 1-line block ×5, first 2 shown]
	s_and_b64 vcc, exec, s[18:19]
	s_waitcnt vmcnt(62) lgkmcnt(3)
	v_mul_f64 v[150:151], v[136:137], v[14:15]
	v_mul_f64 v[148:149], v[132:133], v[12:13]
	v_fmac_f64_e32 v[148:149], v[134:135], v[6:7]
	v_add_f64 v[148:149], v[148:149], 0
	v_fmac_f64_e32 v[150:151], v[138:139], v[8:9]
	v_add_f64 v[148:149], v[148:149], v[150:151]
	s_waitcnt lgkmcnt(2)
	v_mul_f64 v[150:151], v[140:141], v[16:17]
	v_fmac_f64_e32 v[150:151], v[142:143], v[10:11]
	v_add_f64 v[152:153], v[148:149], v[150:151]
	ds_read_b128 v[148:151], v131 offset:432
	s_waitcnt lgkmcnt(2)
	v_mul_f64 v[154:155], v[144:145], v[22:23]
	v_fmac_f64_e32 v[154:155], v[146:147], v[24:25]
	v_add_f64 v[156:157], v[152:153], v[154:155]
	ds_read_b128 v[152:155], v131 offset:448
	;; [unrolled: 5-line block ×3, first 2 shown]
	s_waitcnt vmcnt(58) lgkmcnt(1)
	v_mul_f64 v[162:163], v[152:153], v[74:75]
	s_waitcnt vmcnt(56)
	v_fmac_f64_e32 v[162:163], v[154:155], v[76:77]
	v_add_f64 v[164:165], v[160:161], v[162:163]
	ds_read_b128 v[160:163], v131 offset:480
	s_waitcnt lgkmcnt(1)
	v_mul_f64 v[166:167], v[156:157], v[26:27]
	v_fmac_f64_e32 v[166:167], v[158:159], v[28:29]
	v_add_f64 v[168:169], v[164:165], v[166:167]
	ds_read_b128 v[164:167], v131 offset:496
	s_waitcnt vmcnt(50) lgkmcnt(1)
	v_mul_f64 v[170:171], v[160:161], v[82:83]
	s_waitcnt vmcnt(48)
	v_fmac_f64_e32 v[170:171], v[162:163], v[84:85]
	v_add_f64 v[172:173], v[168:169], v[170:171]
	ds_read_b128 v[168:171], v131 offset:512
	s_waitcnt lgkmcnt(1)
	v_mul_f64 v[174:175], v[164:165], v[78:79]
	v_mul_f64 v[12:13], v[134:135], v[12:13]
	v_fmac_f64_e32 v[174:175], v[166:167], v[80:81]
	v_fma_f64 v[6:7], v[132:133], v[6:7], -v[12:13]
	v_mul_f64 v[12:13], v[138:139], v[14:15]
	v_add_f64 v[176:177], v[172:173], v[174:175]
	ds_read_b128 v[172:175], v131 offset:528
	s_waitcnt vmcnt(42) lgkmcnt(1)
	v_mul_f64 v[178:179], v[168:169], v[90:91]
	v_add_f64 v[6:7], v[6:7], 0
	v_fma_f64 v[8:9], v[136:137], v[8:9], -v[12:13]
	s_waitcnt vmcnt(40)
	v_fmac_f64_e32 v[178:179], v[170:171], v[92:93]
	v_add_f64 v[6:7], v[6:7], v[8:9]
	v_mul_f64 v[8:9], v[142:143], v[16:17]
	v_add_f64 v[180:181], v[176:177], v[178:179]
	ds_read_b128 v[176:179], v131 offset:544
	v_fma_f64 v[8:9], v[140:141], v[10:11], -v[8:9]
	v_add_f64 v[6:7], v[6:7], v[8:9]
	v_mul_f64 v[8:9], v[146:147], v[22:23]
	v_fma_f64 v[8:9], v[144:145], v[24:25], -v[8:9]
	s_waitcnt lgkmcnt(1)
	v_mul_f64 v[182:183], v[172:173], v[86:87]
	v_add_f64 v[6:7], v[6:7], v[8:9]
	v_mul_f64 v[8:9], v[150:151], v[18:19]
	v_fmac_f64_e32 v[182:183], v[174:175], v[88:89]
	v_fma_f64 v[8:9], v[148:149], v[20:21], -v[8:9]
	v_add_f64 v[184:185], v[180:181], v[182:183]
	ds_read_b128 v[180:183], v131 offset:560
	s_waitcnt vmcnt(34) lgkmcnt(1)
	v_mul_f64 v[186:187], v[176:177], v[98:99]
	v_add_f64 v[6:7], v[6:7], v[8:9]
	v_mul_f64 v[8:9], v[154:155], v[74:75]
	s_waitcnt vmcnt(32)
	v_fmac_f64_e32 v[186:187], v[178:179], v[100:101]
	v_fma_f64 v[8:9], v[152:153], v[76:77], -v[8:9]
	v_add_f64 v[188:189], v[184:185], v[186:187]
	ds_read_b128 v[184:187], v131 offset:576
	v_add_f64 v[6:7], v[6:7], v[8:9]
	v_mul_f64 v[8:9], v[158:159], v[26:27]
	v_fma_f64 v[8:9], v[156:157], v[28:29], -v[8:9]
	v_add_f64 v[6:7], v[6:7], v[8:9]
	v_mul_f64 v[8:9], v[162:163], v[82:83]
	s_waitcnt lgkmcnt(1)
	v_mul_f64 v[190:191], v[180:181], v[94:95]
	v_fma_f64 v[8:9], v[160:161], v[84:85], -v[8:9]
	v_fmac_f64_e32 v[190:191], v[182:183], v[96:97]
	v_add_f64 v[6:7], v[6:7], v[8:9]
	v_mul_f64 v[8:9], v[166:167], v[78:79]
	v_add_f64 v[192:193], v[188:189], v[190:191]
	ds_read_b128 v[188:191], v131 offset:592
	s_waitcnt vmcnt(26) lgkmcnt(1)
	v_mul_f64 v[194:195], v[184:185], v[106:107]
	v_fma_f64 v[8:9], v[164:165], v[80:81], -v[8:9]
	s_waitcnt vmcnt(24)
	v_fmac_f64_e32 v[194:195], v[186:187], v[108:109]
	v_add_f64 v[6:7], v[6:7], v[8:9]
	v_mul_f64 v[8:9], v[170:171], v[90:91]
	v_add_f64 v[196:197], v[192:193], v[194:195]
	ds_read_b128 v[192:195], v131 offset:608
	v_fma_f64 v[8:9], v[168:169], v[92:93], -v[8:9]
	v_add_f64 v[6:7], v[6:7], v[8:9]
	v_mul_f64 v[8:9], v[174:175], v[86:87]
	v_fma_f64 v[8:9], v[172:173], v[88:89], -v[8:9]
	s_waitcnt lgkmcnt(1)
	v_mul_f64 v[198:199], v[188:189], v[102:103]
	v_add_f64 v[6:7], v[6:7], v[8:9]
	v_mul_f64 v[8:9], v[178:179], v[98:99]
	v_fmac_f64_e32 v[198:199], v[190:191], v[104:105]
	v_fma_f64 v[8:9], v[176:177], v[100:101], -v[8:9]
	v_add_f64 v[200:201], v[196:197], v[198:199]
	ds_read_b128 v[196:199], v131 offset:624
	s_waitcnt vmcnt(18) lgkmcnt(1)
	v_mul_f64 v[202:203], v[192:193], v[220:221]
	v_add_f64 v[6:7], v[6:7], v[8:9]
	v_mul_f64 v[8:9], v[182:183], v[94:95]
	s_waitcnt vmcnt(16)
	v_fmac_f64_e32 v[202:203], v[194:195], v[222:223]
	v_fma_f64 v[8:9], v[180:181], v[96:97], -v[8:9]
	v_add_f64 v[204:205], v[200:201], v[202:203]
	ds_read_b128 v[200:203], v131 offset:640
	v_add_f64 v[6:7], v[6:7], v[8:9]
	v_mul_f64 v[8:9], v[186:187], v[106:107]
	v_fma_f64 v[8:9], v[184:185], v[108:109], -v[8:9]
	v_add_f64 v[6:7], v[6:7], v[8:9]
	v_mul_f64 v[8:9], v[190:191], v[102:103]
	s_waitcnt lgkmcnt(1)
	v_mul_f64 v[206:207], v[196:197], v[216:217]
	v_fma_f64 v[8:9], v[188:189], v[104:105], -v[8:9]
	v_fmac_f64_e32 v[206:207], v[198:199], v[218:219]
	v_add_f64 v[6:7], v[6:7], v[8:9]
	v_mul_f64 v[8:9], v[194:195], v[220:221]
	v_add_f64 v[208:209], v[204:205], v[206:207]
	ds_read_b128 v[204:207], v131 offset:656
	s_waitcnt vmcnt(10) lgkmcnt(1)
	v_mul_f64 v[210:211], v[200:201], v[228:229]
	v_fma_f64 v[8:9], v[192:193], v[222:223], -v[8:9]
	s_waitcnt vmcnt(8)
	v_fmac_f64_e32 v[210:211], v[202:203], v[230:231]
	v_add_f64 v[6:7], v[6:7], v[8:9]
	v_mul_f64 v[8:9], v[198:199], v[216:217]
	v_add_f64 v[240:241], v[208:209], v[210:211]
	ds_read_b128 v[208:211], v131 offset:672
	v_fma_f64 v[8:9], v[196:197], v[218:219], -v[8:9]
	v_add_f64 v[6:7], v[6:7], v[8:9]
	v_mul_f64 v[8:9], v[202:203], v[228:229]
	v_fma_f64 v[8:9], v[200:201], v[230:231], -v[8:9]
	v_add_f64 v[6:7], v[6:7], v[8:9]
	s_waitcnt lgkmcnt(1)
	v_mul_f64 v[8:9], v[206:207], v[224:225]
	v_mul_f64 v[242:243], v[204:205], v[224:225]
	v_fma_f64 v[8:9], v[204:205], v[226:227], -v[8:9]
	v_fmac_f64_e32 v[242:243], v[206:207], v[226:227]
	v_add_f64 v[6:7], v[6:7], v[8:9]
	s_waitcnt vmcnt(3) lgkmcnt(0)
	v_mul_f64 v[8:9], v[210:211], v[236:237]
	v_add_f64 v[240:241], v[240:241], v[242:243]
	v_mul_f64 v[242:243], v[208:209], v[236:237]
	s_waitcnt vmcnt(1)
	v_fma_f64 v[8:9], v[208:209], v[238:239], -v[8:9]
	v_fmac_f64_e32 v[242:243], v[210:211], v[238:239]
	v_add_f64 v[6:7], v[6:7], v[8:9]
	s_waitcnt vmcnt(0)
	v_mul_f64 v[8:9], v[214:215], v[232:233]
	v_add_f64 v[240:241], v[240:241], v[242:243]
	v_mul_f64 v[242:243], v[212:213], v[232:233]
	v_fma_f64 v[8:9], v[212:213], v[234:235], -v[8:9]
	v_fmac_f64_e32 v[242:243], v[214:215], v[234:235]
	v_add_f64 v[6:7], v[6:7], v[8:9]
	v_add_f64 v[240:241], v[240:241], v[242:243]
	v_add_f64 v[4:5], v[4:5], -v[6:7]
	v_add_f64 v[2:3], v[2:3], -v[240:241]
	buffer_store_dword v5, off, s[0:3], 0 offset:4
	buffer_store_dword v4, off, s[0:3], 0
	buffer_store_dword v3, off, s[0:3], 0 offset:12
	buffer_store_dword v2, off, s[0:3], 0 offset:8
	s_cbranch_vccz .LBB85_189
; %bb.146:
	v_pk_mov_b32 v[2:3], s[16:17], s[16:17] op_sel:[0,1]
	flat_load_dword v2, v[2:3] offset:80
	s_load_dwordx2 s[4:5], s[4:5], 0x4
	v_bfe_u32 v4, v0, 10, 10
	v_bfe_u32 v0, v0, 20, 10
	s_waitcnt lgkmcnt(0)
	s_lshr_b32 s4, s4, 16
	s_mul_i32 s4, s4, s5
	v_mul_u32_u24_e32 v3, s4, v130
	v_mul_u32_u24_e32 v4, s5, v4
	v_add3_u32 v0, v3, v4, v0
	v_mov_b32_e32 v3, 0x2c8
	v_lshl_add_u32 v0, v0, 4, v3
	s_waitcnt vmcnt(0)
	v_add_u32_e32 v2, -1, v2
	v_cmp_ne_u32_e32 vcc, 20, v2
	s_and_saveexec_b64 s[4:5], vcc
	s_cbranch_execz .LBB85_148
; %bb.147:
	v_mov_b32_e32 v3, 0
	v_lshl_add_u32 v6, v2, 4, v3
	buffer_load_dword v2, v110, s[0:3], 0 offen
	buffer_load_dword v3, v110, s[0:3], 0 offen offset:4
	buffer_load_dword v4, v110, s[0:3], 0 offen offset:8
	buffer_load_dword v5, v110, s[0:3], 0 offen offset:12
	buffer_load_dword v7, v6, s[0:3], 0 offen
	buffer_load_dword v8, v6, s[0:3], 0 offen offset:4
	buffer_load_dword v9, v6, s[0:3], 0 offen offset:8
	buffer_load_dword v10, v6, s[0:3], 0 offen offset:12
	s_waitcnt vmcnt(4)
	ds_write2_b64 v0, v[2:3], v[4:5] offset1:1
	s_waitcnt vmcnt(3)
	buffer_store_dword v7, v110, s[0:3], 0 offen
	s_waitcnt vmcnt(3)
	buffer_store_dword v8, v110, s[0:3], 0 offen offset:4
	s_waitcnt vmcnt(3)
	buffer_store_dword v9, v110, s[0:3], 0 offen offset:8
	s_waitcnt vmcnt(3)
	buffer_store_dword v10, v110, s[0:3], 0 offen offset:12
	buffer_store_dword v5, v6, s[0:3], 0 offen offset:12
	buffer_store_dword v4, v6, s[0:3], 0 offen offset:8
	buffer_store_dword v3, v6, s[0:3], 0 offen offset:4
	buffer_store_dword v2, v6, s[0:3], 0 offen
.LBB85_148:
	s_or_b64 exec, exec, s[4:5]
	v_pk_mov_b32 v[2:3], s[16:17], s[16:17] op_sel:[0,1]
	flat_load_dword v2, v[2:3] offset:76
	s_waitcnt vmcnt(0) lgkmcnt(0)
	v_add_u32_e32 v2, -1, v2
	v_cmp_ne_u32_e32 vcc, 19, v2
	s_and_saveexec_b64 s[4:5], vcc
	s_cbranch_execz .LBB85_150
; %bb.149:
	v_mov_b32_e32 v3, 0
	v_lshl_add_u32 v6, v2, 4, v3
	buffer_load_dword v2, v111, s[0:3], 0 offen
	buffer_load_dword v3, v111, s[0:3], 0 offen offset:4
	buffer_load_dword v4, v111, s[0:3], 0 offen offset:8
	buffer_load_dword v5, v111, s[0:3], 0 offen offset:12
	buffer_load_dword v7, v6, s[0:3], 0 offen
	buffer_load_dword v8, v6, s[0:3], 0 offen offset:4
	buffer_load_dword v9, v6, s[0:3], 0 offen offset:8
	buffer_load_dword v10, v6, s[0:3], 0 offen offset:12
	s_waitcnt vmcnt(4)
	ds_write2_b64 v0, v[2:3], v[4:5] offset1:1
	s_waitcnt vmcnt(3)
	buffer_store_dword v7, v111, s[0:3], 0 offen
	s_waitcnt vmcnt(3)
	buffer_store_dword v8, v111, s[0:3], 0 offen offset:4
	s_waitcnt vmcnt(3)
	buffer_store_dword v9, v111, s[0:3], 0 offen offset:8
	s_waitcnt vmcnt(3)
	buffer_store_dword v10, v111, s[0:3], 0 offen offset:12
	buffer_store_dword v5, v6, s[0:3], 0 offen offset:12
	buffer_store_dword v4, v6, s[0:3], 0 offen offset:8
	buffer_store_dword v3, v6, s[0:3], 0 offen offset:4
	buffer_store_dword v2, v6, s[0:3], 0 offen
.LBB85_150:
	s_or_b64 exec, exec, s[4:5]
	v_pk_mov_b32 v[2:3], s[16:17], s[16:17] op_sel:[0,1]
	flat_load_dword v2, v[2:3] offset:72
	s_waitcnt vmcnt(0) lgkmcnt(0)
	;; [unrolled: 34-line block ×19, first 2 shown]
	v_add_u32_e32 v2, -1, v2
	v_cmp_ne_u32_e32 vcc, 1, v2
	s_and_saveexec_b64 s[4:5], vcc
	s_cbranch_execz .LBB85_186
; %bb.185:
	v_mov_b32_e32 v3, 0
	v_lshl_add_u32 v6, v2, 4, v3
	buffer_load_dword v2, v127, s[0:3], 0 offen
	buffer_load_dword v3, v127, s[0:3], 0 offen offset:4
	buffer_load_dword v4, v127, s[0:3], 0 offen offset:8
	;; [unrolled: 1-line block ×3, first 2 shown]
	buffer_load_dword v7, v6, s[0:3], 0 offen
	buffer_load_dword v8, v6, s[0:3], 0 offen offset:4
	buffer_load_dword v9, v6, s[0:3], 0 offen offset:8
	;; [unrolled: 1-line block ×3, first 2 shown]
	s_waitcnt vmcnt(4)
	ds_write2_b64 v0, v[2:3], v[4:5] offset1:1
	s_waitcnt vmcnt(3)
	buffer_store_dword v7, v127, s[0:3], 0 offen
	s_waitcnt vmcnt(3)
	buffer_store_dword v8, v127, s[0:3], 0 offen offset:4
	s_waitcnt vmcnt(3)
	buffer_store_dword v9, v127, s[0:3], 0 offen offset:8
	;; [unrolled: 2-line block ×3, first 2 shown]
	buffer_store_dword v5, v6, s[0:3], 0 offen offset:12
	buffer_store_dword v4, v6, s[0:3], 0 offen offset:8
	;; [unrolled: 1-line block ×3, first 2 shown]
	buffer_store_dword v2, v6, s[0:3], 0 offen
.LBB85_186:
	s_or_b64 exec, exec, s[4:5]
	v_pk_mov_b32 v[2:3], s[16:17], s[16:17] op_sel:[0,1]
	flat_load_dword v2, v[2:3]
	s_waitcnt vmcnt(0) lgkmcnt(0)
	v_add_u32_e32 v2, -1, v2
	v_cmp_ne_u32_e32 vcc, 0, v2
	s_and_saveexec_b64 s[4:5], vcc
	s_cbranch_execz .LBB85_188
; %bb.187:
	v_mov_b32_e32 v3, 0
	v_lshl_add_u32 v6, v2, 4, v3
	buffer_load_dword v2, off, s[0:3], 0
	buffer_load_dword v3, off, s[0:3], 0 offset:4
	buffer_load_dword v4, off, s[0:3], 0 offset:8
	buffer_load_dword v5, off, s[0:3], 0 offset:12
	buffer_load_dword v7, v6, s[0:3], 0 offen
	buffer_load_dword v8, v6, s[0:3], 0 offen offset:4
	buffer_load_dword v9, v6, s[0:3], 0 offen offset:8
	;; [unrolled: 1-line block ×3, first 2 shown]
	s_waitcnt vmcnt(4)
	ds_write2_b64 v0, v[2:3], v[4:5] offset1:1
	s_waitcnt vmcnt(3)
	buffer_store_dword v7, off, s[0:3], 0
	s_waitcnt vmcnt(3)
	buffer_store_dword v8, off, s[0:3], 0 offset:4
	s_waitcnt vmcnt(3)
	buffer_store_dword v9, off, s[0:3], 0 offset:8
	;; [unrolled: 2-line block ×3, first 2 shown]
	buffer_store_dword v5, v6, s[0:3], 0 offen offset:12
	buffer_store_dword v4, v6, s[0:3], 0 offen offset:8
	;; [unrolled: 1-line block ×3, first 2 shown]
	buffer_store_dword v2, v6, s[0:3], 0 offen
.LBB85_188:
	s_or_b64 exec, exec, s[4:5]
.LBB85_189:
	buffer_load_dword v2, off, s[0:3], 0
	buffer_load_dword v3, off, s[0:3], 0 offset:4
	buffer_load_dword v4, off, s[0:3], 0 offset:8
	buffer_load_dword v5, off, s[0:3], 0 offset:12
	buffer_load_dword v7, v127, s[0:3], 0 offen offset:4
	buffer_load_dword v8, v127, s[0:3], 0 offen offset:8
	;; [unrolled: 1-line block ×3, first 2 shown]
	buffer_load_dword v10, v128, s[0:3], 0 offen
	buffer_load_dword v11, v128, s[0:3], 0 offen offset:4
	buffer_load_dword v12, v128, s[0:3], 0 offen offset:8
	buffer_load_dword v6, v127, s[0:3], 0 offen
	buffer_load_dword v13, v128, s[0:3], 0 offen offset:12
	buffer_load_dword v15, v129, s[0:3], 0 offen offset:4
	;; [unrolled: 1-line block ×4, first 2 shown]
	buffer_load_dword v18, v124, s[0:3], 0 offen
	buffer_load_dword v19, v124, s[0:3], 0 offen offset:4
	buffer_load_dword v20, v124, s[0:3], 0 offen offset:8
	buffer_load_dword v14, v129, s[0:3], 0 offen
                                        ; kill: killed $vgpr127
                                        ; kill: killed $vgpr129
                                        ; kill: killed $vgpr128
	buffer_load_dword v21, v124, s[0:3], 0 offen offset:12
	buffer_load_dword v23, v125, s[0:3], 0 offen offset:4
	buffer_load_dword v24, v125, s[0:3], 0 offen offset:8
	buffer_load_dword v25, v125, s[0:3], 0 offen offset:12
	buffer_load_dword v26, v126, s[0:3], 0 offen
	buffer_load_dword v27, v126, s[0:3], 0 offen offset:4
	buffer_load_dword v28, v126, s[0:3], 0 offen offset:8
	buffer_load_dword v22, v125, s[0:3], 0 offen
	buffer_load_dword v29, v126, s[0:3], 0 offen offset:12
	buffer_load_dword v75, v120, s[0:3], 0 offen offset:4
	;; [unrolled: 1-line block ×4, first 2 shown]
	buffer_load_dword v78, v122, s[0:3], 0 offen
	buffer_load_dword v79, v122, s[0:3], 0 offen offset:4
	buffer_load_dword v80, v122, s[0:3], 0 offen offset:8
                                        ; kill: killed $vgpr126
                                        ; kill: killed $vgpr125
                                        ; kill: killed $vgpr124
	buffer_load_dword v74, v120, s[0:3], 0 offen
	buffer_load_dword v81, v122, s[0:3], 0 offen offset:12
	buffer_load_dword v83, v121, s[0:3], 0 offen offset:4
	;; [unrolled: 1-line block ×4, first 2 shown]
	buffer_load_dword v86, v123, s[0:3], 0 offen
	buffer_load_dword v87, v123, s[0:3], 0 offen offset:4
	buffer_load_dword v88, v123, s[0:3], 0 offen offset:8
	buffer_load_dword v82, v121, s[0:3], 0 offen
	buffer_load_dword v89, v123, s[0:3], 0 offen offset:12
	buffer_load_dword v91, v116, s[0:3], 0 offen offset:4
	;; [unrolled: 1-line block ×4, first 2 shown]
	buffer_load_dword v94, v117, s[0:3], 0 offen
	buffer_load_dword v95, v117, s[0:3], 0 offen offset:4
                                        ; kill: killed $vgpr122
                                        ; kill: killed $vgpr123
                                        ; kill: killed $vgpr120
                                        ; kill: killed $vgpr121
	buffer_load_dword v96, v117, s[0:3], 0 offen offset:8
	buffer_load_dword v90, v116, s[0:3], 0 offen
	buffer_load_dword v97, v117, s[0:3], 0 offen offset:12
	buffer_load_dword v99, v119, s[0:3], 0 offen offset:4
	;; [unrolled: 1-line block ×4, first 2 shown]
	buffer_load_dword v102, v118, s[0:3], 0 offen
	buffer_load_dword v103, v118, s[0:3], 0 offen offset:4
	buffer_load_dword v104, v118, s[0:3], 0 offen offset:8
	buffer_load_dword v98, v119, s[0:3], 0 offen
	buffer_load_dword v105, v118, s[0:3], 0 offen offset:12
	buffer_load_dword v107, v113, s[0:3], 0 offen offset:4
	;; [unrolled: 1-line block ×4, first 2 shown]
	buffer_load_dword v120, v112, s[0:3], 0 offen
                                        ; kill: killed $vgpr119
                                        ; kill: killed $vgpr117
                                        ; kill: killed $vgpr118
                                        ; kill: killed $vgpr116
	buffer_load_dword v121, v112, s[0:3], 0 offen offset:4
	buffer_load_dword v122, v112, s[0:3], 0 offen offset:8
	buffer_load_dword v106, v113, s[0:3], 0 offen
	buffer_load_dword v123, v112, s[0:3], 0 offen offset:12
	buffer_load_dword v117, v114, s[0:3], 0 offen offset:4
	;; [unrolled: 1-line block ×4, first 2 shown]
	buffer_load_dword v124, v115, s[0:3], 0 offen
	buffer_load_dword v125, v115, s[0:3], 0 offen offset:4
	buffer_load_dword v126, v115, s[0:3], 0 offen offset:8
	buffer_load_dword v116, v114, s[0:3], 0 offen
	buffer_load_dword v127, v115, s[0:3], 0 offen offset:12
	buffer_load_dword v129, v111, s[0:3], 0 offen offset:4
                                        ; kill: killed $vgpr115
                                        ; kill: killed $vgpr113
                                        ; kill: killed $vgpr114
                                        ; kill: killed $vgpr112
	buffer_load_dword v130, v111, s[0:3], 0 offen offset:8
	buffer_load_dword v131, v111, s[0:3], 0 offen offset:12
	buffer_load_dword v112, v110, s[0:3], 0 offen
	buffer_load_dword v113, v110, s[0:3], 0 offen offset:4
	buffer_load_dword v114, v110, s[0:3], 0 offen offset:8
	buffer_load_dword v128, v111, s[0:3], 0 offen
	buffer_load_dword v115, v110, s[0:3], 0 offen offset:12
	buffer_load_dword v132, v1, s[0:3], 0 offen
	buffer_load_dword v133, v1, s[0:3], 0 offen offset:4
	buffer_load_dword v134, v1, s[0:3], 0 offen offset:8
	;; [unrolled: 1-line block ×3, first 2 shown]
	s_waitcnt vmcnt(62)
	global_store_dwordx4 v[30:31], v[2:5], off
	global_store_dwordx4 v[32:33], v[6:9], off
	global_store_dwordx4 v[34:35], v[10:13], off
	global_store_dwordx4 v[36:37], v[14:17], off
	global_store_dwordx4 v[38:39], v[18:21], off
	s_waitcnt vmcnt(62)
	global_store_dwordx4 v[42:43], v[22:25], off
	global_store_dwordx4 v[44:45], v[26:29], off
	s_waitcnt vmcnt(60)
	global_store_dwordx4 v[46:47], v[74:77], off
	s_waitcnt vmcnt(60)
	;; [unrolled: 2-line block ×15, first 2 shown]
	global_store_dwordx4 v[40:41], v[132:135], off
	s_endpgm
	.section	.rodata,"a",@progbits
	.p2align	6, 0x0
	.amdhsa_kernel _ZN9rocsolver6v33100L18getri_kernel_smallILi22E19rocblas_complex_numIdEPKPS3_EEvT1_iilPiilS8_bb
		.amdhsa_group_segment_fixed_size 1736
		.amdhsa_private_segment_fixed_size 368
		.amdhsa_kernarg_size 60
		.amdhsa_user_sgpr_count 10
		.amdhsa_user_sgpr_private_segment_buffer 1
		.amdhsa_user_sgpr_dispatch_ptr 1
		.amdhsa_user_sgpr_queue_ptr 0
		.amdhsa_user_sgpr_kernarg_segment_ptr 1
		.amdhsa_user_sgpr_dispatch_id 0
		.amdhsa_user_sgpr_flat_scratch_init 1
		.amdhsa_user_sgpr_kernarg_preload_length 0
		.amdhsa_user_sgpr_kernarg_preload_offset 0
		.amdhsa_user_sgpr_private_segment_size 0
		.amdhsa_uses_dynamic_stack 0
		.amdhsa_system_sgpr_private_segment_wavefront_offset 1
		.amdhsa_system_sgpr_workgroup_id_x 1
		.amdhsa_system_sgpr_workgroup_id_y 0
		.amdhsa_system_sgpr_workgroup_id_z 0
		.amdhsa_system_sgpr_workgroup_info 0
		.amdhsa_system_vgpr_workitem_id 2
		.amdhsa_next_free_vgpr 244
		.amdhsa_next_free_sgpr 24
		.amdhsa_accum_offset 244
		.amdhsa_reserve_vcc 1
		.amdhsa_reserve_flat_scratch 1
		.amdhsa_float_round_mode_32 0
		.amdhsa_float_round_mode_16_64 0
		.amdhsa_float_denorm_mode_32 3
		.amdhsa_float_denorm_mode_16_64 3
		.amdhsa_dx10_clamp 1
		.amdhsa_ieee_mode 1
		.amdhsa_fp16_overflow 0
		.amdhsa_tg_split 0
		.amdhsa_exception_fp_ieee_invalid_op 0
		.amdhsa_exception_fp_denorm_src 0
		.amdhsa_exception_fp_ieee_div_zero 0
		.amdhsa_exception_fp_ieee_overflow 0
		.amdhsa_exception_fp_ieee_underflow 0
		.amdhsa_exception_fp_ieee_inexact 0
		.amdhsa_exception_int_div_zero 0
	.end_amdhsa_kernel
	.section	.text._ZN9rocsolver6v33100L18getri_kernel_smallILi22E19rocblas_complex_numIdEPKPS3_EEvT1_iilPiilS8_bb,"axG",@progbits,_ZN9rocsolver6v33100L18getri_kernel_smallILi22E19rocblas_complex_numIdEPKPS3_EEvT1_iilPiilS8_bb,comdat
.Lfunc_end85:
	.size	_ZN9rocsolver6v33100L18getri_kernel_smallILi22E19rocblas_complex_numIdEPKPS3_EEvT1_iilPiilS8_bb, .Lfunc_end85-_ZN9rocsolver6v33100L18getri_kernel_smallILi22E19rocblas_complex_numIdEPKPS3_EEvT1_iilPiilS8_bb
                                        ; -- End function
	.section	.AMDGPU.csdata,"",@progbits
; Kernel info:
; codeLenInByte = 39464
; NumSgprs: 30
; NumVgprs: 244
; NumAgprs: 0
; TotalNumVgprs: 244
; ScratchSize: 368
; MemoryBound: 0
; FloatMode: 240
; IeeeMode: 1
; LDSByteSize: 1736 bytes/workgroup (compile time only)
; SGPRBlocks: 3
; VGPRBlocks: 30
; NumSGPRsForWavesPerEU: 30
; NumVGPRsForWavesPerEU: 244
; AccumOffset: 244
; Occupancy: 2
; WaveLimiterHint : 1
; COMPUTE_PGM_RSRC2:SCRATCH_EN: 1
; COMPUTE_PGM_RSRC2:USER_SGPR: 10
; COMPUTE_PGM_RSRC2:TRAP_HANDLER: 0
; COMPUTE_PGM_RSRC2:TGID_X_EN: 1
; COMPUTE_PGM_RSRC2:TGID_Y_EN: 0
; COMPUTE_PGM_RSRC2:TGID_Z_EN: 0
; COMPUTE_PGM_RSRC2:TIDIG_COMP_CNT: 2
; COMPUTE_PGM_RSRC3_GFX90A:ACCUM_OFFSET: 60
; COMPUTE_PGM_RSRC3_GFX90A:TG_SPLIT: 0
	.section	.text._ZN9rocsolver6v33100L18getri_kernel_smallILi23E19rocblas_complex_numIdEPKPS3_EEvT1_iilPiilS8_bb,"axG",@progbits,_ZN9rocsolver6v33100L18getri_kernel_smallILi23E19rocblas_complex_numIdEPKPS3_EEvT1_iilPiilS8_bb,comdat
	.globl	_ZN9rocsolver6v33100L18getri_kernel_smallILi23E19rocblas_complex_numIdEPKPS3_EEvT1_iilPiilS8_bb ; -- Begin function _ZN9rocsolver6v33100L18getri_kernel_smallILi23E19rocblas_complex_numIdEPKPS3_EEvT1_iilPiilS8_bb
	.p2align	8
	.type	_ZN9rocsolver6v33100L18getri_kernel_smallILi23E19rocblas_complex_numIdEPKPS3_EEvT1_iilPiilS8_bb,@function
_ZN9rocsolver6v33100L18getri_kernel_smallILi23E19rocblas_complex_numIdEPKPS3_EEvT1_iilPiilS8_bb: ; @_ZN9rocsolver6v33100L18getri_kernel_smallILi23E19rocblas_complex_numIdEPKPS3_EEvT1_iilPiilS8_bb
; %bb.0:
	s_add_u32 flat_scratch_lo, s8, s11
	s_addc_u32 flat_scratch_hi, s9, 0
	s_add_u32 s0, s0, s11
	v_and_b32_e32 v153, 0x3ff, v0
	s_addc_u32 s1, s1, 0
	v_cmp_gt_u32_e32 vcc, 23, v153
	s_and_saveexec_b64 s[8:9], vcc
	s_cbranch_execz .LBB86_106
; %bb.1:
	s_load_dword s20, s[6:7], 0x38
	s_load_dwordx2 s[8:9], s[6:7], 0x0
	s_load_dwordx4 s[12:15], s[6:7], 0x28
	s_waitcnt lgkmcnt(0)
	s_bitcmp1_b32 s20, 8
	s_cselect_b64 s[18:19], -1, 0
	s_ashr_i32 s11, s10, 31
	s_lshl_b64 s[16:17], s[10:11], 3
	s_add_u32 s8, s8, s16
	s_addc_u32 s9, s9, s17
	s_load_dwordx2 s[8:9], s[8:9], 0x0
	s_bfe_u32 s16, s20, 0x10008
	s_cmp_eq_u32 s16, 0
                                        ; implicit-def: $sgpr16_sgpr17
	s_cbranch_scc1 .LBB86_3
; %bb.2:
	s_load_dword s16, s[6:7], 0x20
	s_load_dwordx2 s[22:23], s[6:7], 0x18
	s_mul_i32 s13, s10, s13
	s_mul_hi_u32 s17, s10, s12
	s_add_i32 s13, s17, s13
	s_mul_i32 s21, s11, s12
	s_add_i32 s13, s13, s21
	s_mul_i32 s12, s10, s12
	s_waitcnt lgkmcnt(0)
	s_ashr_i32 s17, s16, 31
	s_lshl_b64 s[12:13], s[12:13], 2
	s_add_u32 s21, s22, s12
	s_addc_u32 s22, s23, s13
	s_lshl_b64 s[12:13], s[16:17], 2
	s_add_u32 s16, s21, s12
	s_addc_u32 s17, s22, s13
.LBB86_3:
	s_load_dwordx2 s[6:7], s[6:7], 0x8
	v_lshlrev_b32_e32 v76, 4, v153
	s_waitcnt lgkmcnt(0)
	s_ashr_i32 s13, s6, 31
	s_mov_b32 s12, s6
	s_lshl_b64 s[12:13], s[12:13], 4
	s_add_u32 s8, s8, s12
	s_addc_u32 s9, s9, s13
	v_mov_b32_e32 v1, s9
	v_add_co_u32_e32 v30, vcc, s8, v76
	s_ashr_i32 s13, s7, 31
	s_mov_b32 s12, s7
	s_add_i32 s6, s7, s7
	v_addc_co_u32_e32 v31, vcc, 0, v1, vcc
	s_lshl_b64 s[12:13], s[12:13], 4
	v_add_u32_e32 v2, s6, v153
	v_mov_b32_e32 v1, s13
	v_add_co_u32_e32 v32, vcc, s12, v30
	v_ashrrev_i32_e32 v3, 31, v2
	v_addc_co_u32_e32 v33, vcc, v31, v1, vcc
	v_lshlrev_b64 v[4:5], 4, v[2:3]
	v_mov_b32_e32 v1, s9
	v_add_co_u32_e32 v34, vcc, s8, v4
	global_load_dwordx4 v[22:25], v76, s[8:9]
	v_addc_co_u32_e32 v35, vcc, v1, v5, vcc
	global_load_dwordx4 v[26:29], v[32:33], off
	global_load_dwordx4 v[48:51], v[34:35], off
	v_add_u32_e32 v2, s7, v2
	v_ashrrev_i32_e32 v3, 31, v2
	v_lshlrev_b64 v[4:5], 4, v[2:3]
	v_add_co_u32_e32 v36, vcc, s8, v4
	v_addc_co_u32_e32 v37, vcc, v1, v5, vcc
	v_add_u32_e32 v6, s7, v2
	v_ashrrev_i32_e32 v7, 31, v6
	global_load_dwordx4 v[52:55], v[36:37], off
	v_lshlrev_b64 v[2:3], 4, v[6:7]
	v_add_co_u32_e32 v38, vcc, s8, v2
	v_addc_co_u32_e32 v39, vcc, v1, v3, vcc
	global_load_dwordx4 v[2:5], v[38:39], off
	v_add_u32_e32 v6, s7, v6
	v_ashrrev_i32_e32 v7, 31, v6
	v_add_u32_e32 v8, s7, v6
	v_lshlrev_b64 v[6:7], 4, v[6:7]
	v_ashrrev_i32_e32 v9, 31, v8
	v_add_co_u32_e32 v40, vcc, s8, v6
	v_add_u32_e32 v10, s7, v8
	v_addc_co_u32_e32 v41, vcc, v1, v7, vcc
	v_lshlrev_b64 v[6:7], 4, v[8:9]
	v_mov_b32_e32 v12, s9
	v_ashrrev_i32_e32 v11, 31, v10
	v_add_co_u32_e32 v42, vcc, s8, v6
	v_add_u32_e32 v56, s7, v10
	v_addc_co_u32_e32 v43, vcc, v12, v7, vcc
	v_lshlrev_b64 v[10:11], 4, v[10:11]
	v_mov_b32_e32 v13, s9
	v_ashrrev_i32_e32 v57, 31, v56
	v_add_co_u32_e32 v44, vcc, s8, v10
	v_addc_co_u32_e32 v45, vcc, v13, v11, vcc
	v_lshlrev_b64 v[10:11], 4, v[56:57]
	v_mov_b32_e32 v14, s9
	v_add_co_u32_e32 v46, vcc, s8, v10
	global_load_dwordx4 v[18:21], v[40:41], off
	global_load_dwordx4 v[6:9], v[42:43], off
	v_addc_co_u32_e32 v47, vcc, v14, v11, vcc
	global_load_dwordx4 v[10:13], v[44:45], off
	global_load_dwordx4 v[14:17], v[46:47], off
	s_bitcmp0_b32 s20, 0
	s_waitcnt vmcnt(8)
	buffer_store_dword v25, off, s[0:3], 0 offset:12
	buffer_store_dword v24, off, s[0:3], 0 offset:8
	;; [unrolled: 1-line block ×3, first 2 shown]
	buffer_store_dword v22, off, s[0:3], 0
	s_waitcnt vmcnt(11)
	buffer_store_dword v29, off, s[0:3], 0 offset:28
	buffer_store_dword v28, off, s[0:3], 0 offset:24
	buffer_store_dword v27, off, s[0:3], 0 offset:20
	buffer_store_dword v26, off, s[0:3], 0 offset:16
	s_waitcnt vmcnt(14)
	buffer_store_dword v51, off, s[0:3], 0 offset:44
	buffer_store_dword v50, off, s[0:3], 0 offset:40
	buffer_store_dword v49, off, s[0:3], 0 offset:36
	buffer_store_dword v48, off, s[0:3], 0 offset:32
	;; [unrolled: 5-line block ×3, first 2 shown]
	s_waitcnt vmcnt(20)
	buffer_store_dword v5, off, s[0:3], 0 offset:76
	v_add_u32_e32 v22, s7, v56
	v_ashrrev_i32_e32 v23, 31, v22
	v_lshlrev_b64 v[24:25], 4, v[22:23]
	v_add_u32_e32 v52, s7, v22
	v_add_co_u32_e32 v48, vcc, s8, v24
	v_ashrrev_i32_e32 v53, 31, v52
	v_addc_co_u32_e32 v49, vcc, v1, v25, vcc
	v_lshlrev_b64 v[22:23], 4, v[52:53]
	v_add_u32_e32 v54, s7, v52
	v_add_co_u32_e32 v50, vcc, s8, v22
	v_ashrrev_i32_e32 v55, 31, v54
	v_addc_co_u32_e32 v51, vcc, v1, v23, vcc
	;; [unrolled: 5-line block ×13, first 2 shown]
	v_lshlrev_b64 v[74:75], 4, v[74:75]
	v_add_co_u32_e32 v74, vcc, s8, v74
	v_addc_co_u32_e32 v75, vcc, v1, v75, vcc
	global_load_dwordx4 v[22:25], v[48:49], off
	global_load_dwordx4 v[26:29], v[50:51], off
	;; [unrolled: 1-line block ×14, first 2 shown]
	v_mov_b32_e32 v1, 0
	v_add_u32_e32 v150, 16, v1
	v_add_u32_e32 v152, 32, v1
	;; [unrolled: 1-line block ×22, first 2 shown]
	s_mov_b64 s[8:9], -1
	buffer_store_dword v4, off, s[0:3], 0 offset:72
	buffer_store_dword v3, off, s[0:3], 0 offset:68
	buffer_store_dword v2, off, s[0:3], 0 offset:64
	s_waitcnt vmcnt(37)
	buffer_store_dword v21, off, s[0:3], 0 offset:92
	buffer_store_dword v20, off, s[0:3], 0 offset:88
	buffer_store_dword v19, off, s[0:3], 0 offset:84
	buffer_store_dword v18, off, s[0:3], 0 offset:80
	s_waitcnt vmcnt(40)
	buffer_store_dword v9, off, s[0:3], 0 offset:108
	;; [unrolled: 5-line block ×16, first 2 shown]
	buffer_store_dword v116, off, s[0:3], 0 offset:328
	buffer_store_dword v115, off, s[0:3], 0 offset:324
	;; [unrolled: 1-line block ×11, first 2 shown]
	s_cbranch_scc1 .LBB86_104
; %bb.4:
	v_cmp_eq_u32_e64 s[6:7], 0, v153
	s_and_saveexec_b64 s[8:9], s[6:7]
	s_cbranch_execz .LBB86_6
; %bb.5:
	v_mov_b32_e32 v2, 0
	ds_write_b32 v2, v2 offset:736
.LBB86_6:
	s_or_b64 exec, exec, s[8:9]
	v_mov_b32_e32 v2, 0
	v_lshl_add_u32 v12, v153, 4, v2
	s_waitcnt lgkmcnt(0)
	; wave barrier
	s_waitcnt lgkmcnt(0)
	buffer_load_dword v2, v12, s[0:3], 0 offen
	buffer_load_dword v3, v12, s[0:3], 0 offen offset:4
	buffer_load_dword v4, v12, s[0:3], 0 offen offset:8
	;; [unrolled: 1-line block ×3, first 2 shown]
	s_waitcnt vmcnt(2)
	v_cmp_eq_f64_e32 vcc, 0, v[2:3]
	s_waitcnt vmcnt(0)
	v_cmp_eq_f64_e64 s[8:9], 0, v[4:5]
	s_and_b64 s[8:9], vcc, s[8:9]
	s_and_saveexec_b64 s[12:13], s[8:9]
	s_cbranch_execz .LBB86_10
; %bb.7:
	v_mov_b32_e32 v2, 0
	ds_read_b32 v4, v2 offset:736
	v_add_u32_e32 v3, 1, v153
	s_waitcnt lgkmcnt(0)
	v_readfirstlane_b32 s8, v4
	s_cmp_eq_u32 s8, 0
	s_cselect_b64 s[20:21], -1, 0
	v_cmp_gt_i32_e32 vcc, s8, v3
	s_or_b64 s[20:21], s[20:21], vcc
	s_and_b64 exec, exec, s[20:21]
	s_cbranch_execz .LBB86_10
; %bb.8:
	s_mov_b64 s[20:21], 0
	v_mov_b32_e32 v4, s8
.LBB86_9:                               ; =>This Inner Loop Header: Depth=1
	ds_cmpst_rtn_b32 v4, v2, v4, v3 offset:736
	s_waitcnt lgkmcnt(0)
	v_cmp_ne_u32_e32 vcc, 0, v4
	v_cmp_le_i32_e64 s[8:9], v4, v3
	s_and_b64 s[8:9], vcc, s[8:9]
	s_and_b64 s[8:9], exec, s[8:9]
	s_or_b64 s[20:21], s[8:9], s[20:21]
	s_andn2_b64 exec, exec, s[20:21]
	s_cbranch_execnz .LBB86_9
.LBB86_10:
	s_or_b64 exec, exec, s[12:13]
	v_mov_b32_e32 v3, 0
	s_waitcnt lgkmcnt(0)
	; wave barrier
	ds_read_b32 v2, v3 offset:736
	s_and_saveexec_b64 s[8:9], s[6:7]
	s_cbranch_execz .LBB86_12
; %bb.11:
	s_lshl_b64 s[12:13], s[10:11], 2
	s_add_u32 s12, s14, s12
	s_addc_u32 s13, s15, s13
	s_waitcnt lgkmcnt(0)
	global_store_dword v3, v2, s[12:13]
.LBB86_12:
	s_or_b64 exec, exec, s[8:9]
	s_waitcnt lgkmcnt(0)
	v_cmp_ne_u32_e32 vcc, 0, v2
	s_mov_b64 s[8:9], 0
	s_cbranch_vccnz .LBB86_104
; %bb.13:
	buffer_load_dword v7, v12, s[0:3], 0 offen offset:4
	buffer_load_dword v6, v12, s[0:3], 0 offen
	buffer_load_dword v9, v12, s[0:3], 0 offen offset:12
	buffer_load_dword v8, v12, s[0:3], 0 offen offset:8
                                        ; implicit-def: $vgpr10_vgpr11
	s_waitcnt vmcnt(3)
	v_xor_b32_e32 v3, 0x80000000, v7
	s_waitcnt vmcnt(2)
	v_cmp_gt_f64_e32 vcc, 0, v[6:7]
	s_waitcnt vmcnt(1)
	v_xor_b32_e32 v4, 0x80000000, v9
	v_cndmask_b32_e32 v3, v7, v3, vcc
	s_waitcnt vmcnt(0)
	v_cmp_gt_f64_e32 vcc, 0, v[8:9]
	v_mov_b32_e32 v2, v6
	v_cndmask_b32_e32 v5, v9, v4, vcc
	v_mov_b32_e32 v4, v8
	v_cmp_ngt_f64_e32 vcc, v[2:3], v[4:5]
                                        ; implicit-def: $vgpr4_vgpr5
	s_and_saveexec_b64 s[8:9], vcc
	s_xor_b64 s[8:9], exec, s[8:9]
	s_cbranch_execz .LBB86_15
; %bb.14:
	v_div_scale_f64 v[2:3], s[12:13], v[8:9], v[8:9], v[6:7]
	v_rcp_f64_e32 v[4:5], v[2:3]
	v_div_scale_f64 v[10:11], vcc, v[6:7], v[8:9], v[6:7]
	v_fma_f64 v[14:15], -v[2:3], v[4:5], 1.0
	v_fmac_f64_e32 v[4:5], v[4:5], v[14:15]
	v_fma_f64 v[14:15], -v[2:3], v[4:5], 1.0
	v_fmac_f64_e32 v[4:5], v[4:5], v[14:15]
	v_mul_f64 v[14:15], v[10:11], v[4:5]
	v_fma_f64 v[2:3], -v[2:3], v[14:15], v[10:11]
	v_div_fmas_f64 v[2:3], v[2:3], v[4:5], v[14:15]
	v_div_fixup_f64 v[2:3], v[2:3], v[8:9], v[6:7]
	v_fmac_f64_e32 v[8:9], v[6:7], v[2:3]
	v_div_scale_f64 v[4:5], s[12:13], v[8:9], v[8:9], 1.0
	v_rcp_f64_e32 v[6:7], v[4:5]
	v_fma_f64 v[10:11], -v[4:5], v[6:7], 1.0
	v_fmac_f64_e32 v[6:7], v[6:7], v[10:11]
	v_fma_f64 v[10:11], -v[4:5], v[6:7], 1.0
	v_fmac_f64_e32 v[6:7], v[6:7], v[10:11]
	v_div_scale_f64 v[10:11], vcc, 1.0, v[8:9], 1.0
	v_mul_f64 v[14:15], v[10:11], v[6:7]
	v_fma_f64 v[4:5], -v[4:5], v[14:15], v[10:11]
	s_nop 1
	v_div_fmas_f64 v[4:5], v[4:5], v[6:7], v[14:15]
	v_div_fixup_f64 v[4:5], v[4:5], v[8:9], 1.0
	v_mul_f64 v[10:11], v[2:3], v[4:5]
	v_xor_b32_e32 v5, 0x80000000, v5
	v_xor_b32_e32 v3, 0x80000000, v11
	v_mov_b32_e32 v2, v10
                                        ; implicit-def: $vgpr6_vgpr7
                                        ; implicit-def: $vgpr8_vgpr9
.LBB86_15:
	s_andn2_saveexec_b64 s[8:9], s[8:9]
	s_cbranch_execz .LBB86_17
; %bb.16:
	v_div_scale_f64 v[2:3], s[12:13], v[6:7], v[6:7], v[8:9]
	v_rcp_f64_e32 v[4:5], v[2:3]
	v_div_scale_f64 v[10:11], vcc, v[8:9], v[6:7], v[8:9]
	v_fma_f64 v[14:15], -v[2:3], v[4:5], 1.0
	v_fmac_f64_e32 v[4:5], v[4:5], v[14:15]
	v_fma_f64 v[14:15], -v[2:3], v[4:5], 1.0
	v_fmac_f64_e32 v[4:5], v[4:5], v[14:15]
	v_mul_f64 v[14:15], v[10:11], v[4:5]
	v_fma_f64 v[2:3], -v[2:3], v[14:15], v[10:11]
	v_div_fmas_f64 v[2:3], v[2:3], v[4:5], v[14:15]
	v_div_fixup_f64 v[4:5], v[2:3], v[6:7], v[8:9]
	v_fmac_f64_e32 v[6:7], v[8:9], v[4:5]
	v_div_scale_f64 v[2:3], s[12:13], v[6:7], v[6:7], 1.0
	v_rcp_f64_e32 v[8:9], v[2:3]
	v_fma_f64 v[10:11], -v[2:3], v[8:9], 1.0
	v_fmac_f64_e32 v[8:9], v[8:9], v[10:11]
	v_fma_f64 v[10:11], -v[2:3], v[8:9], 1.0
	v_fmac_f64_e32 v[8:9], v[8:9], v[10:11]
	v_div_scale_f64 v[10:11], vcc, 1.0, v[6:7], 1.0
	v_mul_f64 v[14:15], v[10:11], v[8:9]
	v_fma_f64 v[2:3], -v[2:3], v[14:15], v[10:11]
	s_nop 1
	v_div_fmas_f64 v[2:3], v[2:3], v[8:9], v[14:15]
	v_div_fixup_f64 v[10:11], v[2:3], v[6:7], 1.0
	v_xor_b32_e32 v3, 0x80000000, v11
	v_mov_b32_e32 v2, v10
	v_mul_f64 v[4:5], v[4:5], -v[10:11]
.LBB86_17:
	s_or_b64 exec, exec, s[8:9]
	buffer_store_dword v11, v12, s[0:3], 0 offen offset:4
	buffer_store_dword v10, v12, s[0:3], 0 offen
	buffer_store_dword v5, v12, s[0:3], 0 offen offset:12
	buffer_store_dword v4, v12, s[0:3], 0 offen offset:8
	buffer_load_dword v11, v150, s[0:3], 0 offen offset:12
	s_nop 0
	buffer_load_dword v10, v150, s[0:3], 0 offen offset:8
	buffer_load_dword v9, v150, s[0:3], 0 offen offset:4
	buffer_load_dword v8, v150, s[0:3], 0 offen
	v_xor_b32_e32 v5, 0x80000000, v5
	v_add_u32_e32 v6, 0x170, v76
	ds_write_b128 v76, v[2:5]
	s_waitcnt vmcnt(0)
	ds_write_b128 v76, v[8:11] offset:368
	s_waitcnt lgkmcnt(0)
	; wave barrier
	s_waitcnt lgkmcnt(0)
	s_and_saveexec_b64 s[8:9], s[6:7]
	s_cbranch_execz .LBB86_19
; %bb.18:
	buffer_load_dword v14, v12, s[0:3], 0 offen offset:8
	buffer_load_dword v15, v12, s[0:3], 0 offen offset:12
	buffer_load_dword v16, v12, s[0:3], 0 offen
	buffer_load_dword v17, v12, s[0:3], 0 offen offset:4
	ds_read_b128 v[2:5], v6
	v_mov_b32_e32 v7, 0
	ds_read_b128 v[8:11], v7 offset:16
	s_waitcnt vmcnt(2) lgkmcnt(1)
	v_mul_f64 v[18:19], v[4:5], v[14:15]
	v_mul_f64 v[14:15], v[2:3], v[14:15]
	s_waitcnt vmcnt(0)
	v_fmac_f64_e32 v[14:15], v[4:5], v[16:17]
	v_fma_f64 v[2:3], v[2:3], v[16:17], -v[18:19]
	v_add_f64 v[4:5], v[14:15], 0
	v_add_f64 v[2:3], v[2:3], 0
	s_waitcnt lgkmcnt(0)
	v_mul_f64 v[14:15], v[4:5], v[10:11]
	v_mul_f64 v[10:11], v[2:3], v[10:11]
	v_fma_f64 v[2:3], v[2:3], v[8:9], -v[14:15]
	v_fmac_f64_e32 v[10:11], v[4:5], v[8:9]
	buffer_store_dword v2, off, s[0:3], 0 offset:16
	buffer_store_dword v3, off, s[0:3], 0 offset:20
	;; [unrolled: 1-line block ×4, first 2 shown]
.LBB86_19:
	s_or_b64 exec, exec, s[8:9]
	s_waitcnt lgkmcnt(0)
	; wave barrier
	buffer_load_dword v2, v152, s[0:3], 0 offen
	buffer_load_dword v3, v152, s[0:3], 0 offen offset:4
	buffer_load_dword v4, v152, s[0:3], 0 offen offset:8
	;; [unrolled: 1-line block ×3, first 2 shown]
	v_cmp_gt_u32_e32 vcc, 2, v153
	s_waitcnt vmcnt(0)
	ds_write_b128 v6, v[2:5]
	s_waitcnt lgkmcnt(0)
	; wave barrier
	s_waitcnt lgkmcnt(0)
	s_and_saveexec_b64 s[8:9], vcc
	s_cbranch_execz .LBB86_23
; %bb.20:
	buffer_load_dword v8, v12, s[0:3], 0 offen offset:8
	buffer_load_dword v9, v12, s[0:3], 0 offen offset:12
	buffer_load_dword v10, v12, s[0:3], 0 offen
	buffer_load_dword v11, v12, s[0:3], 0 offen offset:4
	ds_read_b128 v[2:5], v6
	s_waitcnt vmcnt(2) lgkmcnt(0)
	v_mul_f64 v[12:13], v[4:5], v[8:9]
	v_mul_f64 v[8:9], v[2:3], v[8:9]
	s_waitcnt vmcnt(0)
	v_fma_f64 v[2:3], v[2:3], v[10:11], -v[12:13]
	v_fmac_f64_e32 v[8:9], v[4:5], v[10:11]
	v_add_f64 v[4:5], v[2:3], 0
	v_add_f64 v[2:3], v[8:9], 0
	s_and_saveexec_b64 s[12:13], s[6:7]
	s_cbranch_execz .LBB86_22
; %bb.21:
	buffer_load_dword v12, off, s[0:3], 0 offset:24
	buffer_load_dword v13, off, s[0:3], 0 offset:28
	;; [unrolled: 1-line block ×4, first 2 shown]
	v_mov_b32_e32 v7, 0
	ds_read_b128 v[8:11], v7 offset:384
	s_waitcnt vmcnt(2) lgkmcnt(0)
	v_mul_f64 v[16:17], v[8:9], v[12:13]
	v_mul_f64 v[12:13], v[10:11], v[12:13]
	s_waitcnt vmcnt(0)
	v_fmac_f64_e32 v[16:17], v[10:11], v[14:15]
	v_fma_f64 v[8:9], v[8:9], v[14:15], -v[12:13]
	v_add_f64 v[2:3], v[2:3], v[16:17]
	v_add_f64 v[4:5], v[4:5], v[8:9]
.LBB86_22:
	s_or_b64 exec, exec, s[12:13]
	v_mov_b32_e32 v7, 0
	ds_read_b128 v[8:11], v7 offset:32
	s_waitcnt lgkmcnt(0)
	v_mul_f64 v[12:13], v[2:3], v[10:11]
	v_mul_f64 v[10:11], v[4:5], v[10:11]
	v_fma_f64 v[4:5], v[4:5], v[8:9], -v[12:13]
	v_fmac_f64_e32 v[10:11], v[2:3], v[8:9]
	buffer_store_dword v5, off, s[0:3], 0 offset:36
	buffer_store_dword v4, off, s[0:3], 0 offset:32
	;; [unrolled: 1-line block ×4, first 2 shown]
.LBB86_23:
	s_or_b64 exec, exec, s[8:9]
	s_waitcnt lgkmcnt(0)
	; wave barrier
	buffer_load_dword v2, v151, s[0:3], 0 offen
	buffer_load_dword v3, v151, s[0:3], 0 offen offset:4
	buffer_load_dword v4, v151, s[0:3], 0 offen offset:8
	;; [unrolled: 1-line block ×3, first 2 shown]
	v_cmp_gt_u32_e32 vcc, 3, v153
	v_add_u32_e32 v7, -1, v153
	s_waitcnt vmcnt(0)
	ds_write_b128 v6, v[2:5]
	s_waitcnt lgkmcnt(0)
	; wave barrier
	s_waitcnt lgkmcnt(0)
	s_and_saveexec_b64 s[6:7], vcc
	s_cbranch_execz .LBB86_27
; %bb.24:
	v_pk_mov_b32 v[2:3], 0, 0
	v_add_u32_e32 v8, -1, v153
	v_add_u32_e32 v9, 0x170, v76
	v_add_u32_e32 v10, 0, v76
	s_mov_b64 s[8:9], 0
	v_pk_mov_b32 v[4:5], v[2:3], v[2:3] op_sel:[0,1]
.LBB86_25:                              ; =>This Inner Loop Header: Depth=1
	buffer_load_dword v16, v10, s[0:3], 0 offen offset:8
	buffer_load_dword v17, v10, s[0:3], 0 offen offset:12
	buffer_load_dword v18, v10, s[0:3], 0 offen
	buffer_load_dword v19, v10, s[0:3], 0 offen offset:4
	ds_read_b128 v[12:15], v9
	v_add_u32_e32 v8, 1, v8
	v_cmp_lt_u32_e32 vcc, 1, v8
	v_add_u32_e32 v9, 16, v9
	v_add_u32_e32 v10, 16, v10
	s_or_b64 s[8:9], vcc, s[8:9]
	s_waitcnt vmcnt(2) lgkmcnt(0)
	v_mul_f64 v[20:21], v[14:15], v[16:17]
	v_mul_f64 v[16:17], v[12:13], v[16:17]
	s_waitcnt vmcnt(0)
	v_fma_f64 v[12:13], v[12:13], v[18:19], -v[20:21]
	v_fmac_f64_e32 v[16:17], v[14:15], v[18:19]
	v_add_f64 v[4:5], v[4:5], v[12:13]
	v_add_f64 v[2:3], v[2:3], v[16:17]
	s_andn2_b64 exec, exec, s[8:9]
	s_cbranch_execnz .LBB86_25
; %bb.26:
	s_or_b64 exec, exec, s[8:9]
	v_mov_b32_e32 v8, 0
	ds_read_b128 v[8:11], v8 offset:48
	s_waitcnt lgkmcnt(0)
	v_mul_f64 v[12:13], v[2:3], v[10:11]
	v_mul_f64 v[10:11], v[4:5], v[10:11]
	v_fma_f64 v[4:5], v[4:5], v[8:9], -v[12:13]
	v_fmac_f64_e32 v[10:11], v[2:3], v[8:9]
	buffer_store_dword v5, off, s[0:3], 0 offset:52
	buffer_store_dword v4, off, s[0:3], 0 offset:48
	buffer_store_dword v11, off, s[0:3], 0 offset:60
	buffer_store_dword v10, off, s[0:3], 0 offset:56
.LBB86_27:
	s_or_b64 exec, exec, s[6:7]
	s_waitcnt lgkmcnt(0)
	; wave barrier
	buffer_load_dword v2, v148, s[0:3], 0 offen
	buffer_load_dword v3, v148, s[0:3], 0 offen offset:4
	buffer_load_dword v4, v148, s[0:3], 0 offen offset:8
	buffer_load_dword v5, v148, s[0:3], 0 offen offset:12
	v_cmp_gt_u32_e32 vcc, 4, v153
	s_waitcnt vmcnt(0)
	ds_write_b128 v6, v[2:5]
	s_waitcnt lgkmcnt(0)
	; wave barrier
	s_waitcnt lgkmcnt(0)
	s_and_saveexec_b64 s[6:7], vcc
	s_cbranch_execz .LBB86_31
; %bb.28:
	v_pk_mov_b32 v[2:3], 0, 0
	v_add_u32_e32 v8, -1, v153
	v_add_u32_e32 v9, 0x170, v76
	v_add_u32_e32 v10, 0, v76
	s_mov_b64 s[8:9], 0
	v_pk_mov_b32 v[4:5], v[2:3], v[2:3] op_sel:[0,1]
.LBB86_29:                              ; =>This Inner Loop Header: Depth=1
	buffer_load_dword v16, v10, s[0:3], 0 offen offset:8
	buffer_load_dword v17, v10, s[0:3], 0 offen offset:12
	buffer_load_dword v18, v10, s[0:3], 0 offen
	buffer_load_dword v19, v10, s[0:3], 0 offen offset:4
	ds_read_b128 v[12:15], v9
	v_add_u32_e32 v8, 1, v8
	v_cmp_lt_u32_e32 vcc, 2, v8
	v_add_u32_e32 v9, 16, v9
	v_add_u32_e32 v10, 16, v10
	s_or_b64 s[8:9], vcc, s[8:9]
	s_waitcnt vmcnt(2) lgkmcnt(0)
	v_mul_f64 v[20:21], v[14:15], v[16:17]
	v_mul_f64 v[16:17], v[12:13], v[16:17]
	s_waitcnt vmcnt(0)
	v_fma_f64 v[12:13], v[12:13], v[18:19], -v[20:21]
	v_fmac_f64_e32 v[16:17], v[14:15], v[18:19]
	v_add_f64 v[4:5], v[4:5], v[12:13]
	v_add_f64 v[2:3], v[2:3], v[16:17]
	s_andn2_b64 exec, exec, s[8:9]
	s_cbranch_execnz .LBB86_29
; %bb.30:
	s_or_b64 exec, exec, s[8:9]
	v_mov_b32_e32 v8, 0
	ds_read_b128 v[8:11], v8 offset:64
	s_waitcnt lgkmcnt(0)
	v_mul_f64 v[12:13], v[2:3], v[10:11]
	v_mul_f64 v[10:11], v[4:5], v[10:11]
	v_fma_f64 v[4:5], v[4:5], v[8:9], -v[12:13]
	v_fmac_f64_e32 v[10:11], v[2:3], v[8:9]
	buffer_store_dword v5, off, s[0:3], 0 offset:68
	buffer_store_dword v4, off, s[0:3], 0 offset:64
	buffer_store_dword v11, off, s[0:3], 0 offset:76
	buffer_store_dword v10, off, s[0:3], 0 offset:72
.LBB86_31:
	s_or_b64 exec, exec, s[6:7]
	s_waitcnt lgkmcnt(0)
	; wave barrier
	buffer_load_dword v2, v146, s[0:3], 0 offen
	buffer_load_dword v3, v146, s[0:3], 0 offen offset:4
	buffer_load_dword v4, v146, s[0:3], 0 offen offset:8
	buffer_load_dword v5, v146, s[0:3], 0 offen offset:12
	v_cmp_gt_u32_e32 vcc, 5, v153
	;; [unrolled: 57-line block ×18, first 2 shown]
	s_waitcnt vmcnt(0)
	ds_write_b128 v6, v[2:5]
	s_waitcnt lgkmcnt(0)
	; wave barrier
	s_waitcnt lgkmcnt(0)
	s_and_saveexec_b64 s[6:7], vcc
	s_cbranch_execz .LBB86_99
; %bb.96:
	v_pk_mov_b32 v[2:3], 0, 0
	v_add_u32_e32 v8, -1, v153
	v_add_u32_e32 v9, 0x170, v76
	v_add_u32_e32 v10, 0, v76
	s_mov_b64 s[8:9], 0
	v_pk_mov_b32 v[4:5], v[2:3], v[2:3] op_sel:[0,1]
.LBB86_97:                              ; =>This Inner Loop Header: Depth=1
	buffer_load_dword v16, v10, s[0:3], 0 offen offset:8
	buffer_load_dword v17, v10, s[0:3], 0 offen offset:12
	buffer_load_dword v18, v10, s[0:3], 0 offen
	buffer_load_dword v19, v10, s[0:3], 0 offen offset:4
	ds_read_b128 v[12:15], v9
	v_add_u32_e32 v8, 1, v8
	v_cmp_lt_u32_e32 vcc, 19, v8
	v_add_u32_e32 v9, 16, v9
	v_add_u32_e32 v10, 16, v10
	s_or_b64 s[8:9], vcc, s[8:9]
	s_waitcnt vmcnt(2) lgkmcnt(0)
	v_mul_f64 v[20:21], v[14:15], v[16:17]
	v_mul_f64 v[16:17], v[12:13], v[16:17]
	s_waitcnt vmcnt(0)
	v_fma_f64 v[12:13], v[12:13], v[18:19], -v[20:21]
	v_fmac_f64_e32 v[16:17], v[14:15], v[18:19]
	v_add_f64 v[4:5], v[4:5], v[12:13]
	v_add_f64 v[2:3], v[2:3], v[16:17]
	s_andn2_b64 exec, exec, s[8:9]
	s_cbranch_execnz .LBB86_97
; %bb.98:
	s_or_b64 exec, exec, s[8:9]
	v_mov_b32_e32 v8, 0
	ds_read_b128 v[8:11], v8 offset:336
	s_waitcnt lgkmcnt(0)
	v_mul_f64 v[12:13], v[2:3], v[10:11]
	v_mul_f64 v[10:11], v[4:5], v[10:11]
	v_fma_f64 v[4:5], v[4:5], v[8:9], -v[12:13]
	v_fmac_f64_e32 v[10:11], v[2:3], v[8:9]
	buffer_store_dword v5, off, s[0:3], 0 offset:340
	buffer_store_dword v4, off, s[0:3], 0 offset:336
	;; [unrolled: 1-line block ×4, first 2 shown]
.LBB86_99:
	s_or_b64 exec, exec, s[6:7]
	s_waitcnt lgkmcnt(0)
	; wave barrier
	buffer_load_dword v2, v1, s[0:3], 0 offen
	buffer_load_dword v3, v1, s[0:3], 0 offen offset:4
	buffer_load_dword v4, v1, s[0:3], 0 offen offset:8
	;; [unrolled: 1-line block ×3, first 2 shown]
	v_cmp_ne_u32_e32 vcc, 22, v153
	s_waitcnt vmcnt(0)
	ds_write_b128 v6, v[2:5]
	s_waitcnt lgkmcnt(0)
	; wave barrier
	s_waitcnt lgkmcnt(0)
	s_and_saveexec_b64 s[6:7], vcc
	s_cbranch_execz .LBB86_103
; %bb.100:
	v_pk_mov_b32 v[2:3], 0, 0
	v_add_u32_e32 v6, 0x170, v76
	v_add_u32_e32 v8, 0, v76
	s_mov_b64 s[8:9], 0
	v_pk_mov_b32 v[4:5], v[2:3], v[2:3] op_sel:[0,1]
.LBB86_101:                             ; =>This Inner Loop Header: Depth=1
	buffer_load_dword v14, v8, s[0:3], 0 offen offset:8
	buffer_load_dword v15, v8, s[0:3], 0 offen offset:12
	buffer_load_dword v16, v8, s[0:3], 0 offen
	buffer_load_dword v17, v8, s[0:3], 0 offen offset:4
	ds_read_b128 v[10:13], v6
	v_add_u32_e32 v7, 1, v7
	v_cmp_lt_u32_e32 vcc, 20, v7
	v_add_u32_e32 v6, 16, v6
	v_add_u32_e32 v8, 16, v8
	s_or_b64 s[8:9], vcc, s[8:9]
	s_waitcnt vmcnt(2) lgkmcnt(0)
	v_mul_f64 v[18:19], v[12:13], v[14:15]
	v_mul_f64 v[14:15], v[10:11], v[14:15]
	s_waitcnt vmcnt(0)
	v_fma_f64 v[10:11], v[10:11], v[16:17], -v[18:19]
	v_fmac_f64_e32 v[14:15], v[12:13], v[16:17]
	v_add_f64 v[4:5], v[4:5], v[10:11]
	v_add_f64 v[2:3], v[2:3], v[14:15]
	s_andn2_b64 exec, exec, s[8:9]
	s_cbranch_execnz .LBB86_101
; %bb.102:
	s_or_b64 exec, exec, s[8:9]
	v_mov_b32_e32 v6, 0
	ds_read_b128 v[6:9], v6 offset:352
	s_waitcnt lgkmcnt(0)
	v_mul_f64 v[10:11], v[2:3], v[8:9]
	v_mul_f64 v[8:9], v[4:5], v[8:9]
	v_fma_f64 v[4:5], v[4:5], v[6:7], -v[10:11]
	v_fmac_f64_e32 v[8:9], v[2:3], v[6:7]
	buffer_store_dword v5, off, s[0:3], 0 offset:356
	buffer_store_dword v4, off, s[0:3], 0 offset:352
	;; [unrolled: 1-line block ×4, first 2 shown]
.LBB86_103:
	s_or_b64 exec, exec, s[6:7]
	s_mov_b64 s[8:9], -1
	s_waitcnt lgkmcnt(0)
	; wave barrier
.LBB86_104:
	s_and_b64 vcc, exec, s[8:9]
	s_cbranch_vccz .LBB86_106
; %bb.105:
	s_lshl_b64 s[6:7], s[10:11], 2
	s_add_u32 s6, s14, s6
	s_addc_u32 s7, s15, s7
	v_mov_b32_e32 v2, 0
	global_load_dword v2, v2, s[6:7]
	s_waitcnt vmcnt(0)
	v_cmp_ne_u32_e32 vcc, 0, v2
	s_cbranch_vccz .LBB86_107
.LBB86_106:
	s_endpgm
.LBB86_107:
	v_mov_b32_e32 v2, 0x170
	v_lshl_add_u32 v112, v153, 4, v2
	v_cmp_eq_u32_e32 vcc, 22, v153
	s_and_saveexec_b64 s[6:7], vcc
	s_cbranch_execz .LBB86_109
; %bb.108:
	buffer_load_dword v2, v132, s[0:3], 0 offen
	buffer_load_dword v3, v132, s[0:3], 0 offen offset:4
	buffer_load_dword v4, v132, s[0:3], 0 offen offset:8
	;; [unrolled: 1-line block ×3, first 2 shown]
	v_mov_b32_e32 v6, 0
	buffer_store_dword v6, off, s[0:3], 0 offset:336
	buffer_store_dword v6, off, s[0:3], 0 offset:340
	;; [unrolled: 1-line block ×4, first 2 shown]
	s_waitcnt vmcnt(4)
	ds_write_b128 v112, v[2:5]
.LBB86_109:
	s_or_b64 exec, exec, s[6:7]
	s_waitcnt lgkmcnt(0)
	; wave barrier
	s_waitcnt lgkmcnt(0)
	buffer_load_dword v8, off, s[0:3], 0 offset:360
	buffer_load_dword v9, off, s[0:3], 0 offset:364
	;; [unrolled: 1-line block ×8, first 2 shown]
	v_mov_b32_e32 v2, 0
	ds_read_b128 v[4:7], v2 offset:720
	v_cmp_lt_u32_e32 vcc, 20, v153
	s_waitcnt vmcnt(6) lgkmcnt(0)
	v_mul_f64 v[16:17], v[4:5], v[8:9]
	v_mul_f64 v[8:9], v[6:7], v[8:9]
	s_waitcnt vmcnt(4)
	v_fma_f64 v[4:5], v[4:5], v[10:11], -v[8:9]
	v_fmac_f64_e32 v[16:17], v[6:7], v[10:11]
	v_add_f64 v[4:5], v[4:5], 0
	v_add_f64 v[6:7], v[16:17], 0
	s_waitcnt vmcnt(2)
	v_add_f64 v[4:5], v[12:13], -v[4:5]
	s_waitcnt vmcnt(0)
	v_add_f64 v[6:7], v[14:15], -v[6:7]
	buffer_store_dword v4, off, s[0:3], 0 offset:336
	buffer_store_dword v5, off, s[0:3], 0 offset:340
	;; [unrolled: 1-line block ×4, first 2 shown]
	s_and_saveexec_b64 s[6:7], vcc
	s_cbranch_execz .LBB86_111
; %bb.110:
	buffer_load_dword v4, v133, s[0:3], 0 offen
	buffer_load_dword v5, v133, s[0:3], 0 offen offset:4
	buffer_load_dword v6, v133, s[0:3], 0 offen offset:8
	;; [unrolled: 1-line block ×3, first 2 shown]
	s_nop 0
	buffer_store_dword v2, off, s[0:3], 0 offset:320
	buffer_store_dword v2, off, s[0:3], 0 offset:324
	;; [unrolled: 1-line block ×4, first 2 shown]
	s_waitcnt vmcnt(4)
	ds_write_b128 v112, v[4:7]
.LBB86_111:
	s_or_b64 exec, exec, s[6:7]
	s_waitcnt lgkmcnt(0)
	; wave barrier
	s_waitcnt lgkmcnt(0)
	buffer_load_dword v12, off, s[0:3], 0 offset:344
	buffer_load_dword v13, off, s[0:3], 0 offset:348
	;; [unrolled: 1-line block ×12, first 2 shown]
	ds_read_b128 v[4:7], v2 offset:704
	ds_read_b128 v[8:11], v2 offset:720
	v_cmp_lt_u32_e32 vcc, 19, v153
	s_waitcnt vmcnt(10) lgkmcnt(1)
	v_mul_f64 v[2:3], v[4:5], v[12:13]
	v_mul_f64 v[12:13], v[6:7], v[12:13]
	s_waitcnt vmcnt(8) lgkmcnt(0)
	v_mul_f64 v[24:25], v[8:9], v[14:15]
	v_mul_f64 v[14:15], v[10:11], v[14:15]
	s_waitcnt vmcnt(6)
	v_fma_f64 v[4:5], v[4:5], v[16:17], -v[12:13]
	v_fmac_f64_e32 v[2:3], v[6:7], v[16:17]
	s_waitcnt vmcnt(4)
	v_fma_f64 v[6:7], v[8:9], v[18:19], -v[14:15]
	v_add_f64 v[4:5], v[4:5], 0
	v_fmac_f64_e32 v[24:25], v[10:11], v[18:19]
	v_add_f64 v[2:3], v[2:3], 0
	v_add_f64 v[4:5], v[4:5], v[6:7]
	;; [unrolled: 1-line block ×3, first 2 shown]
	s_waitcnt vmcnt(2)
	v_add_f64 v[4:5], v[20:21], -v[4:5]
	s_waitcnt vmcnt(0)
	v_add_f64 v[2:3], v[22:23], -v[2:3]
	buffer_store_dword v4, off, s[0:3], 0 offset:320
	buffer_store_dword v5, off, s[0:3], 0 offset:324
	;; [unrolled: 1-line block ×4, first 2 shown]
	s_and_saveexec_b64 s[6:7], vcc
	s_cbranch_execz .LBB86_113
; %bb.112:
	buffer_load_dword v2, v134, s[0:3], 0 offen
	buffer_load_dword v3, v134, s[0:3], 0 offen offset:4
	buffer_load_dword v4, v134, s[0:3], 0 offen offset:8
	;; [unrolled: 1-line block ×3, first 2 shown]
	v_mov_b32_e32 v6, 0
	buffer_store_dword v6, off, s[0:3], 0 offset:304
	buffer_store_dword v6, off, s[0:3], 0 offset:308
	;; [unrolled: 1-line block ×4, first 2 shown]
	s_waitcnt vmcnt(4)
	ds_write_b128 v112, v[2:5]
.LBB86_113:
	s_or_b64 exec, exec, s[6:7]
	s_waitcnt lgkmcnt(0)
	; wave barrier
	s_waitcnt lgkmcnt(0)
	buffer_load_dword v16, off, s[0:3], 0 offset:328
	buffer_load_dword v17, off, s[0:3], 0 offset:332
	;; [unrolled: 1-line block ×16, first 2 shown]
	v_mov_b32_e32 v2, 0
	ds_read_b128 v[4:7], v2 offset:688
	ds_read_b128 v[8:11], v2 offset:704
	;; [unrolled: 1-line block ×3, first 2 shown]
	v_cmp_lt_u32_e32 vcc, 18, v153
	s_waitcnt vmcnt(14) lgkmcnt(2)
	v_mul_f64 v[78:79], v[4:5], v[16:17]
	v_mul_f64 v[16:17], v[6:7], v[16:17]
	s_waitcnt vmcnt(12) lgkmcnt(1)
	v_mul_f64 v[80:81], v[8:9], v[18:19]
	v_mul_f64 v[18:19], v[10:11], v[18:19]
	s_waitcnt vmcnt(10) lgkmcnt(0)
	v_mul_f64 v[82:83], v[12:13], v[20:21]
	v_mul_f64 v[20:21], v[14:15], v[20:21]
	s_waitcnt vmcnt(8)
	v_fma_f64 v[4:5], v[4:5], v[22:23], -v[16:17]
	v_fmac_f64_e32 v[78:79], v[6:7], v[22:23]
	s_waitcnt vmcnt(6)
	v_fma_f64 v[6:7], v[8:9], v[24:25], -v[18:19]
	v_add_f64 v[4:5], v[4:5], 0
	v_fmac_f64_e32 v[80:81], v[10:11], v[24:25]
	s_waitcnt vmcnt(4)
	v_fma_f64 v[8:9], v[12:13], v[26:27], -v[20:21]
	v_add_f64 v[10:11], v[78:79], 0
	v_add_f64 v[4:5], v[4:5], v[6:7]
	v_fmac_f64_e32 v[82:83], v[14:15], v[26:27]
	v_add_f64 v[10:11], v[10:11], v[80:81]
	v_add_f64 v[4:5], v[4:5], v[8:9]
	;; [unrolled: 1-line block ×3, first 2 shown]
	s_waitcnt vmcnt(2)
	v_add_f64 v[4:5], v[28:29], -v[4:5]
	s_waitcnt vmcnt(0)
	v_add_f64 v[6:7], v[76:77], -v[6:7]
	buffer_store_dword v4, off, s[0:3], 0 offset:304
	buffer_store_dword v5, off, s[0:3], 0 offset:308
	;; [unrolled: 1-line block ×4, first 2 shown]
	s_and_saveexec_b64 s[6:7], vcc
	s_cbranch_execz .LBB86_115
; %bb.114:
	buffer_load_dword v4, v135, s[0:3], 0 offen
	buffer_load_dword v5, v135, s[0:3], 0 offen offset:4
	buffer_load_dword v6, v135, s[0:3], 0 offen offset:8
	;; [unrolled: 1-line block ×3, first 2 shown]
	s_nop 0
	buffer_store_dword v2, off, s[0:3], 0 offset:288
	buffer_store_dword v2, off, s[0:3], 0 offset:292
	;; [unrolled: 1-line block ×4, first 2 shown]
	s_waitcnt vmcnt(4)
	ds_write_b128 v112, v[4:7]
.LBB86_115:
	s_or_b64 exec, exec, s[6:7]
	s_waitcnt lgkmcnt(0)
	; wave barrier
	s_waitcnt lgkmcnt(0)
	buffer_load_dword v20, off, s[0:3], 0 offset:312
	buffer_load_dword v21, off, s[0:3], 0 offset:316
	;; [unrolled: 1-line block ×20, first 2 shown]
	ds_read_b128 v[4:7], v2 offset:672
	ds_read_b128 v[8:11], v2 offset:688
	;; [unrolled: 1-line block ×4, first 2 shown]
	v_cmp_lt_u32_e32 vcc, 17, v153
	s_waitcnt vmcnt(18) lgkmcnt(3)
	v_mul_f64 v[2:3], v[4:5], v[20:21]
	v_mul_f64 v[20:21], v[6:7], v[20:21]
	s_waitcnt vmcnt(16) lgkmcnt(2)
	v_mul_f64 v[86:87], v[8:9], v[22:23]
	v_mul_f64 v[22:23], v[10:11], v[22:23]
	;; [unrolled: 3-line block ×4, first 2 shown]
	s_waitcnt vmcnt(10)
	v_fma_f64 v[4:5], v[4:5], v[28:29], -v[20:21]
	v_fmac_f64_e32 v[2:3], v[6:7], v[28:29]
	s_waitcnt vmcnt(8)
	v_fma_f64 v[6:7], v[8:9], v[76:77], -v[22:23]
	v_add_f64 v[4:5], v[4:5], 0
	v_fmac_f64_e32 v[86:87], v[10:11], v[76:77]
	s_waitcnt vmcnt(6)
	v_fma_f64 v[8:9], v[12:13], v[78:79], -v[24:25]
	v_add_f64 v[2:3], v[2:3], 0
	v_add_f64 v[4:5], v[4:5], v[6:7]
	v_fmac_f64_e32 v[88:89], v[14:15], v[78:79]
	s_waitcnt vmcnt(4)
	v_fma_f64 v[10:11], v[16:17], v[80:81], -v[26:27]
	v_add_f64 v[2:3], v[2:3], v[86:87]
	v_add_f64 v[4:5], v[4:5], v[8:9]
	v_fmac_f64_e32 v[90:91], v[18:19], v[80:81]
	v_add_f64 v[2:3], v[2:3], v[88:89]
	v_add_f64 v[4:5], v[4:5], v[10:11]
	;; [unrolled: 1-line block ×3, first 2 shown]
	s_waitcnt vmcnt(2)
	v_add_f64 v[4:5], v[82:83], -v[4:5]
	s_waitcnt vmcnt(0)
	v_add_f64 v[2:3], v[84:85], -v[2:3]
	buffer_store_dword v4, off, s[0:3], 0 offset:288
	buffer_store_dword v5, off, s[0:3], 0 offset:292
	;; [unrolled: 1-line block ×4, first 2 shown]
	s_and_saveexec_b64 s[6:7], vcc
	s_cbranch_execz .LBB86_117
; %bb.116:
	buffer_load_dword v2, v136, s[0:3], 0 offen
	buffer_load_dword v3, v136, s[0:3], 0 offen offset:4
	buffer_load_dword v4, v136, s[0:3], 0 offen offset:8
	;; [unrolled: 1-line block ×3, first 2 shown]
	v_mov_b32_e32 v6, 0
	buffer_store_dword v6, off, s[0:3], 0 offset:272
	buffer_store_dword v6, off, s[0:3], 0 offset:276
	;; [unrolled: 1-line block ×4, first 2 shown]
	s_waitcnt vmcnt(4)
	ds_write_b128 v112, v[2:5]
.LBB86_117:
	s_or_b64 exec, exec, s[6:7]
	s_waitcnt lgkmcnt(0)
	; wave barrier
	s_waitcnt lgkmcnt(0)
	buffer_load_dword v24, off, s[0:3], 0 offset:296
	buffer_load_dword v25, off, s[0:3], 0 offset:300
	;; [unrolled: 1-line block ×24, first 2 shown]
	v_mov_b32_e32 v2, 0
	ds_read_b128 v[4:7], v2 offset:656
	ds_read_b128 v[8:11], v2 offset:672
	;; [unrolled: 1-line block ×5, first 2 shown]
	v_cmp_lt_u32_e32 vcc, 16, v153
	s_waitcnt vmcnt(22) lgkmcnt(4)
	v_mul_f64 v[94:95], v[4:5], v[24:25]
	v_mul_f64 v[24:25], v[6:7], v[24:25]
	s_waitcnt vmcnt(20) lgkmcnt(3)
	v_mul_f64 v[96:97], v[8:9], v[26:27]
	v_mul_f64 v[26:27], v[10:11], v[26:27]
	;; [unrolled: 3-line block ×4, first 2 shown]
	s_waitcnt vmcnt(13) lgkmcnt(0)
	v_mul_f64 v[102:103], v[20:21], v[76:77]
	s_waitcnt vmcnt(11)
	v_fma_f64 v[4:5], v[4:5], v[82:83], -v[24:25]
	v_fmac_f64_e32 v[94:95], v[6:7], v[82:83]
	s_waitcnt vmcnt(9)
	v_fma_f64 v[6:7], v[8:9], v[84:85], -v[26:27]
	v_add_f64 v[4:5], v[4:5], 0
	v_fmac_f64_e32 v[96:97], v[10:11], v[84:85]
	s_waitcnt vmcnt(7)
	v_fmac_f64_e32 v[98:99], v[14:15], v[86:87]
	v_fma_f64 v[8:9], v[12:13], v[86:87], -v[28:29]
	v_add_f64 v[14:15], v[94:95], 0
	v_add_f64 v[4:5], v[4:5], v[6:7]
	v_mul_f64 v[76:77], v[22:23], v[76:77]
	s_waitcnt vmcnt(5)
	v_fma_f64 v[10:11], v[16:17], v[88:89], -v[80:81]
	v_add_f64 v[14:15], v[14:15], v[96:97]
	v_add_f64 v[4:5], v[4:5], v[8:9]
	v_fmac_f64_e32 v[100:101], v[18:19], v[88:89]
	s_waitcnt vmcnt(4)
	v_fma_f64 v[12:13], v[20:21], v[78:79], -v[76:77]
	v_add_f64 v[6:7], v[14:15], v[98:99]
	v_add_f64 v[4:5], v[4:5], v[10:11]
	v_fmac_f64_e32 v[102:103], v[22:23], v[78:79]
	v_add_f64 v[6:7], v[6:7], v[100:101]
	v_add_f64 v[4:5], v[4:5], v[12:13]
	;; [unrolled: 1-line block ×3, first 2 shown]
	s_waitcnt vmcnt(2)
	v_add_f64 v[4:5], v[90:91], -v[4:5]
	s_waitcnt vmcnt(0)
	v_add_f64 v[6:7], v[92:93], -v[6:7]
	buffer_store_dword v5, off, s[0:3], 0 offset:276
	buffer_store_dword v4, off, s[0:3], 0 offset:272
	;; [unrolled: 1-line block ×4, first 2 shown]
	s_and_saveexec_b64 s[6:7], vcc
	s_cbranch_execz .LBB86_119
; %bb.118:
	buffer_load_dword v4, v137, s[0:3], 0 offen
	buffer_load_dword v5, v137, s[0:3], 0 offen offset:4
	buffer_load_dword v6, v137, s[0:3], 0 offen offset:8
	;; [unrolled: 1-line block ×3, first 2 shown]
	s_nop 0
	buffer_store_dword v2, off, s[0:3], 0 offset:256
	buffer_store_dword v2, off, s[0:3], 0 offset:260
	;; [unrolled: 1-line block ×4, first 2 shown]
	s_waitcnt vmcnt(4)
	ds_write_b128 v112, v[4:7]
.LBB86_119:
	s_or_b64 exec, exec, s[6:7]
	s_waitcnt lgkmcnt(0)
	; wave barrier
	s_waitcnt lgkmcnt(0)
	buffer_load_dword v28, off, s[0:3], 0 offset:280
	buffer_load_dword v29, off, s[0:3], 0 offset:284
	buffer_load_dword v76, off, s[0:3], 0 offset:296
	buffer_load_dword v77, off, s[0:3], 0 offset:300
	buffer_load_dword v78, off, s[0:3], 0 offset:312
	buffer_load_dword v79, off, s[0:3], 0 offset:316
	buffer_load_dword v81, off, s[0:3], 0 offset:348
	buffer_load_dword v80, off, s[0:3], 0 offset:344
	buffer_load_dword v82, off, s[0:3], 0 offset:336
	buffer_load_dword v85, off, s[0:3], 0 offset:332
	buffer_load_dword v84, off, s[0:3], 0 offset:328
	buffer_load_dword v87, off, s[0:3], 0 offset:364
	buffer_load_dword v86, off, s[0:3], 0 offset:360
	buffer_load_dword v83, off, s[0:3], 0 offset:340
	buffer_load_dword v88, off, s[0:3], 0 offset:272
	buffer_load_dword v89, off, s[0:3], 0 offset:276
	buffer_load_dword v90, off, s[0:3], 0 offset:288
	buffer_load_dword v91, off, s[0:3], 0 offset:292
	buffer_load_dword v92, off, s[0:3], 0 offset:304
	buffer_load_dword v93, off, s[0:3], 0 offset:308
	buffer_load_dword v95, off, s[0:3], 0 offset:324
	buffer_load_dword v94, off, s[0:3], 0 offset:320
	buffer_load_dword v97, off, s[0:3], 0 offset:356
	buffer_load_dword v96, off, s[0:3], 0 offset:352
	buffer_load_dword v98, off, s[0:3], 0 offset:256
	buffer_load_dword v99, off, s[0:3], 0 offset:260
	buffer_load_dword v100, off, s[0:3], 0 offset:264
	buffer_load_dword v101, off, s[0:3], 0 offset:268
	ds_read_b128 v[4:7], v2 offset:640
	ds_read_b128 v[8:11], v2 offset:656
	;; [unrolled: 1-line block ×6, first 2 shown]
	v_cmp_lt_u32_e32 vcc, 15, v153
	s_waitcnt vmcnt(26) lgkmcnt(5)
	v_mul_f64 v[2:3], v[4:5], v[28:29]
	v_mul_f64 v[28:29], v[6:7], v[28:29]
	s_waitcnt vmcnt(24) lgkmcnt(4)
	v_mul_f64 v[102:103], v[8:9], v[76:77]
	v_mul_f64 v[76:77], v[10:11], v[76:77]
	;; [unrolled: 3-line block ×4, first 2 shown]
	s_waitcnt vmcnt(17)
	v_mul_f64 v[106:107], v[16:17], v[84:85]
	v_mul_f64 v[84:85], v[18:19], v[84:85]
	s_waitcnt vmcnt(15) lgkmcnt(0)
	v_mul_f64 v[110:111], v[24:25], v[86:87]
	v_mul_f64 v[86:87], v[26:27], v[86:87]
	s_waitcnt vmcnt(14)
	v_fmac_f64_e32 v[108:109], v[22:23], v[82:83]
	s_waitcnt vmcnt(12)
	v_fma_f64 v[4:5], v[4:5], v[88:89], -v[28:29]
	v_fmac_f64_e32 v[2:3], v[6:7], v[88:89]
	s_waitcnt vmcnt(10)
	v_fma_f64 v[6:7], v[8:9], v[90:91], -v[76:77]
	v_add_f64 v[4:5], v[4:5], 0
	v_fmac_f64_e32 v[102:103], v[10:11], v[90:91]
	s_waitcnt vmcnt(8)
	v_fma_f64 v[8:9], v[12:13], v[92:93], -v[78:79]
	v_add_f64 v[2:3], v[2:3], 0
	v_add_f64 v[4:5], v[4:5], v[6:7]
	v_fmac_f64_e32 v[104:105], v[14:15], v[92:93]
	s_waitcnt vmcnt(6)
	v_fma_f64 v[10:11], v[16:17], v[94:95], -v[84:85]
	v_add_f64 v[2:3], v[2:3], v[102:103]
	v_add_f64 v[4:5], v[4:5], v[8:9]
	v_fmac_f64_e32 v[106:107], v[18:19], v[94:95]
	v_fma_f64 v[12:13], v[20:21], v[82:83], -v[80:81]
	v_add_f64 v[2:3], v[2:3], v[104:105]
	v_add_f64 v[4:5], v[4:5], v[10:11]
	s_waitcnt vmcnt(4)
	v_fma_f64 v[14:15], v[24:25], v[96:97], -v[86:87]
	v_add_f64 v[2:3], v[2:3], v[106:107]
	v_add_f64 v[4:5], v[4:5], v[12:13]
	v_fmac_f64_e32 v[110:111], v[26:27], v[96:97]
	v_add_f64 v[2:3], v[2:3], v[108:109]
	v_add_f64 v[4:5], v[4:5], v[14:15]
	;; [unrolled: 1-line block ×3, first 2 shown]
	s_waitcnt vmcnt(2)
	v_add_f64 v[4:5], v[98:99], -v[4:5]
	s_waitcnt vmcnt(0)
	v_add_f64 v[2:3], v[100:101], -v[2:3]
	buffer_store_dword v5, off, s[0:3], 0 offset:260
	buffer_store_dword v4, off, s[0:3], 0 offset:256
	buffer_store_dword v3, off, s[0:3], 0 offset:268
	buffer_store_dword v2, off, s[0:3], 0 offset:264
	s_and_saveexec_b64 s[6:7], vcc
	s_cbranch_execz .LBB86_121
; %bb.120:
	buffer_load_dword v2, v140, s[0:3], 0 offen
	buffer_load_dword v3, v140, s[0:3], 0 offen offset:4
	buffer_load_dword v4, v140, s[0:3], 0 offen offset:8
	;; [unrolled: 1-line block ×3, first 2 shown]
	v_mov_b32_e32 v6, 0
	buffer_store_dword v6, off, s[0:3], 0 offset:240
	buffer_store_dword v6, off, s[0:3], 0 offset:244
	;; [unrolled: 1-line block ×4, first 2 shown]
	s_waitcnt vmcnt(4)
	ds_write_b128 v112, v[2:5]
.LBB86_121:
	s_or_b64 exec, exec, s[6:7]
	s_waitcnt lgkmcnt(0)
	; wave barrier
	s_waitcnt lgkmcnt(0)
	buffer_load_dword v28, off, s[0:3], 0 offset:264
	buffer_load_dword v29, off, s[0:3], 0 offset:268
	;; [unrolled: 1-line block ×32, first 2 shown]
	v_mov_b32_e32 v2, 0
	ds_read_b128 v[4:7], v2 offset:624
	ds_read_b128 v[8:11], v2 offset:640
	;; [unrolled: 1-line block ×7, first 2 shown]
	v_cmp_lt_u32_e32 vcc, 14, v153
	s_waitcnt vmcnt(30) lgkmcnt(6)
	v_mul_f64 v[110:111], v[4:5], v[28:29]
	v_mul_f64 v[28:29], v[6:7], v[28:29]
	s_waitcnt vmcnt(28) lgkmcnt(5)
	v_mul_f64 v[114:115], v[8:9], v[80:81]
	v_mul_f64 v[80:81], v[10:11], v[80:81]
	;; [unrolled: 3-line block ×4, first 2 shown]
	s_waitcnt vmcnt(21)
	v_mul_f64 v[118:119], v[16:17], v[88:89]
	v_mul_f64 v[88:89], v[18:19], v[88:89]
	s_waitcnt vmcnt(17) lgkmcnt(1)
	v_mul_f64 v[122:123], v[24:25], v[94:95]
	v_mul_f64 v[94:95], v[26:27], v[94:95]
	s_waitcnt vmcnt(16) lgkmcnt(0)
	v_mul_f64 v[124:125], v[76:77], v[90:91]
	v_mul_f64 v[90:91], v[78:79], v[90:91]
	s_waitcnt vmcnt(13)
	v_fma_f64 v[4:5], v[4:5], v[96:97], -v[28:29]
	v_fmac_f64_e32 v[110:111], v[6:7], v[96:97]
	s_waitcnt vmcnt(11)
	v_fma_f64 v[6:7], v[8:9], v[98:99], -v[80:81]
	v_add_f64 v[4:5], v[4:5], 0
	v_fmac_f64_e32 v[114:115], v[10:11], v[98:99]
	s_waitcnt vmcnt(9)
	v_fma_f64 v[8:9], v[12:13], v[100:101], -v[82:83]
	s_waitcnt vmcnt(7)
	v_fmac_f64_e32 v[118:119], v[18:19], v[102:103]
	v_add_f64 v[18:19], v[110:111], 0
	v_add_f64 v[4:5], v[4:5], v[6:7]
	v_fmac_f64_e32 v[116:117], v[14:15], v[100:101]
	v_fma_f64 v[10:11], v[16:17], v[102:103], -v[88:89]
	v_add_f64 v[18:19], v[18:19], v[114:115]
	v_add_f64 v[4:5], v[4:5], v[8:9]
	v_fma_f64 v[12:13], v[20:21], v[86:87], -v[84:85]
	v_add_f64 v[6:7], v[18:19], v[116:117]
	v_add_f64 v[4:5], v[4:5], v[10:11]
	v_fmac_f64_e32 v[120:121], v[22:23], v[86:87]
	s_waitcnt vmcnt(5)
	v_fma_f64 v[14:15], v[24:25], v[104:105], -v[94:95]
	v_add_f64 v[6:7], v[6:7], v[118:119]
	v_add_f64 v[4:5], v[4:5], v[12:13]
	v_fmac_f64_e32 v[122:123], v[26:27], v[104:105]
	s_waitcnt vmcnt(4)
	v_fma_f64 v[16:17], v[76:77], v[92:93], -v[90:91]
	v_add_f64 v[6:7], v[6:7], v[120:121]
	v_add_f64 v[4:5], v[4:5], v[14:15]
	v_fmac_f64_e32 v[124:125], v[78:79], v[92:93]
	v_add_f64 v[6:7], v[6:7], v[122:123]
	v_add_f64 v[4:5], v[4:5], v[16:17]
	;; [unrolled: 1-line block ×3, first 2 shown]
	s_waitcnt vmcnt(2)
	v_add_f64 v[4:5], v[106:107], -v[4:5]
	s_waitcnt vmcnt(0)
	v_add_f64 v[6:7], v[108:109], -v[6:7]
	buffer_store_dword v5, off, s[0:3], 0 offset:244
	buffer_store_dword v4, off, s[0:3], 0 offset:240
	;; [unrolled: 1-line block ×4, first 2 shown]
	s_and_saveexec_b64 s[6:7], vcc
	s_cbranch_execz .LBB86_123
; %bb.122:
	buffer_load_dword v4, v141, s[0:3], 0 offen
	buffer_load_dword v5, v141, s[0:3], 0 offen offset:4
	buffer_load_dword v6, v141, s[0:3], 0 offen offset:8
	;; [unrolled: 1-line block ×3, first 2 shown]
	s_nop 0
	buffer_store_dword v2, off, s[0:3], 0 offset:224
	buffer_store_dword v2, off, s[0:3], 0 offset:228
	;; [unrolled: 1-line block ×4, first 2 shown]
	s_waitcnt vmcnt(4)
	ds_write_b128 v112, v[4:7]
.LBB86_123:
	s_or_b64 exec, exec, s[6:7]
	s_waitcnt lgkmcnt(0)
	; wave barrier
	s_waitcnt lgkmcnt(0)
	buffer_load_dword v28, off, s[0:3], 0 offset:248
	buffer_load_dword v29, off, s[0:3], 0 offset:252
	;; [unrolled: 1-line block ×36, first 2 shown]
	ds_read_b128 v[4:7], v2 offset:608
	ds_read_b128 v[8:11], v2 offset:624
	;; [unrolled: 1-line block ×8, first 2 shown]
	v_cmp_lt_u32_e32 vcc, 13, v153
	s_waitcnt vmcnt(34) lgkmcnt(7)
	v_mul_f64 v[2:3], v[4:5], v[28:29]
	v_mul_f64 v[28:29], v[6:7], v[28:29]
	s_waitcnt vmcnt(32) lgkmcnt(6)
	v_mul_f64 v[120:121], v[8:9], v[84:85]
	v_mul_f64 v[84:85], v[10:11], v[84:85]
	;; [unrolled: 3-line block ×4, first 2 shown]
	s_waitcnt vmcnt(25)
	v_mul_f64 v[124:125], v[16:17], v[92:93]
	v_mul_f64 v[92:93], v[18:19], v[92:93]
	s_waitcnt vmcnt(23) lgkmcnt(1)
	v_mul_f64 v[130:131], v[76:77], v[94:95]
	v_mul_f64 v[94:95], v[78:79], v[94:95]
	s_waitcnt vmcnt(20)
	v_mul_f64 v[128:129], v[24:25], v[98:99]
	v_mul_f64 v[98:99], v[26:27], v[98:99]
	s_waitcnt vmcnt(18) lgkmcnt(0)
	v_mul_f64 v[154:155], v[80:81], v[100:101]
	s_waitcnt vmcnt(17)
	v_fmac_f64_e32 v[126:127], v[22:23], v[90:91]
	s_waitcnt vmcnt(16)
	v_fmac_f64_e32 v[130:131], v[78:79], v[96:97]
	s_waitcnt vmcnt(14)
	v_fma_f64 v[4:5], v[4:5], v[102:103], -v[28:29]
	v_fmac_f64_e32 v[2:3], v[6:7], v[102:103]
	s_waitcnt vmcnt(12)
	v_fma_f64 v[6:7], v[8:9], v[104:105], -v[84:85]
	v_add_f64 v[4:5], v[4:5], 0
	v_fmac_f64_e32 v[120:121], v[10:11], v[104:105]
	s_waitcnt vmcnt(10)
	v_fma_f64 v[8:9], v[12:13], v[106:107], -v[86:87]
	v_add_f64 v[2:3], v[2:3], 0
	v_add_f64 v[4:5], v[4:5], v[6:7]
	v_fmac_f64_e32 v[122:123], v[14:15], v[106:107]
	s_waitcnt vmcnt(8)
	v_fma_f64 v[10:11], v[16:17], v[108:109], -v[92:93]
	v_add_f64 v[2:3], v[2:3], v[120:121]
	v_add_f64 v[4:5], v[4:5], v[8:9]
	v_fmac_f64_e32 v[124:125], v[18:19], v[108:109]
	v_fma_f64 v[12:13], v[20:21], v[90:91], -v[88:89]
	v_add_f64 v[2:3], v[2:3], v[122:123]
	v_add_f64 v[4:5], v[4:5], v[10:11]
	s_waitcnt vmcnt(6)
	v_fma_f64 v[14:15], v[24:25], v[110:111], -v[98:99]
	v_add_f64 v[2:3], v[2:3], v[124:125]
	v_add_f64 v[4:5], v[4:5], v[12:13]
	v_fmac_f64_e32 v[128:129], v[26:27], v[110:111]
	v_fma_f64 v[16:17], v[76:77], v[96:97], -v[94:95]
	v_add_f64 v[2:3], v[2:3], v[126:127]
	v_add_f64 v[4:5], v[4:5], v[14:15]
	v_mul_f64 v[6:7], v[82:83], v[100:101]
	v_add_f64 v[2:3], v[2:3], v[128:129]
	v_add_f64 v[4:5], v[4:5], v[16:17]
	s_waitcnt vmcnt(4)
	v_fma_f64 v[6:7], v[80:81], v[114:115], -v[6:7]
	v_fmac_f64_e32 v[154:155], v[82:83], v[114:115]
	v_add_f64 v[2:3], v[2:3], v[130:131]
	v_add_f64 v[4:5], v[4:5], v[6:7]
	;; [unrolled: 1-line block ×3, first 2 shown]
	s_waitcnt vmcnt(2)
	v_add_f64 v[4:5], v[116:117], -v[4:5]
	s_waitcnt vmcnt(0)
	v_add_f64 v[2:3], v[118:119], -v[2:3]
	buffer_store_dword v5, off, s[0:3], 0 offset:228
	buffer_store_dword v4, off, s[0:3], 0 offset:224
	;; [unrolled: 1-line block ×4, first 2 shown]
	s_and_saveexec_b64 s[6:7], vcc
	s_cbranch_execz .LBB86_125
; %bb.124:
	buffer_load_dword v2, v139, s[0:3], 0 offen
	buffer_load_dword v3, v139, s[0:3], 0 offen offset:4
	buffer_load_dword v4, v139, s[0:3], 0 offen offset:8
	;; [unrolled: 1-line block ×3, first 2 shown]
	v_mov_b32_e32 v6, 0
	buffer_store_dword v6, off, s[0:3], 0 offset:208
	buffer_store_dword v6, off, s[0:3], 0 offset:212
	buffer_store_dword v6, off, s[0:3], 0 offset:216
	buffer_store_dword v6, off, s[0:3], 0 offset:220
	s_waitcnt vmcnt(4)
	ds_write_b128 v112, v[2:5]
.LBB86_125:
	s_or_b64 exec, exec, s[6:7]
	s_waitcnt lgkmcnt(0)
	; wave barrier
	s_waitcnt lgkmcnt(0)
	buffer_load_dword v84, off, s[0:3], 0 offset:232
	buffer_load_dword v85, off, s[0:3], 0 offset:236
	buffer_load_dword v86, off, s[0:3], 0 offset:248
	buffer_load_dword v87, off, s[0:3], 0 offset:252
	buffer_load_dword v88, off, s[0:3], 0 offset:264
	buffer_load_dword v89, off, s[0:3], 0 offset:268
	buffer_load_dword v93, off, s[0:3], 0 offset:300
	buffer_load_dword v92, off, s[0:3], 0 offset:296
	buffer_load_dword v95, off, s[0:3], 0 offset:292
	buffer_load_dword v94, off, s[0:3], 0 offset:288
	buffer_load_dword v97, off, s[0:3], 0 offset:284
	buffer_load_dword v96, off, s[0:3], 0 offset:280
	buffer_load_dword v99, off, s[0:3], 0 offset:332
	buffer_load_dword v98, off, s[0:3], 0 offset:328
	buffer_load_dword v101, off, s[0:3], 0 offset:324
	buffer_load_dword v100, off, s[0:3], 0 offset:320
	buffer_load_dword v103, off, s[0:3], 0 offset:316
	buffer_load_dword v102, off, s[0:3], 0 offset:312
	buffer_load_dword v104, off, s[0:3], 0 offset:360
	buffer_load_dword v106, off, s[0:3], 0 offset:352
	buffer_load_dword v109, off, s[0:3], 0 offset:348
	buffer_load_dword v108, off, s[0:3], 0 offset:344
	buffer_load_dword v105, off, s[0:3], 0 offset:364
	buffer_load_dword v110, off, s[0:3], 0 offset:224
	buffer_load_dword v111, off, s[0:3], 0 offset:228
	buffer_load_dword v114, off, s[0:3], 0 offset:240
	buffer_load_dword v115, off, s[0:3], 0 offset:244
	buffer_load_dword v116, off, s[0:3], 0 offset:256
	buffer_load_dword v117, off, s[0:3], 0 offset:260
	buffer_load_dword v119, off, s[0:3], 0 offset:276
	buffer_load_dword v118, off, s[0:3], 0 offset:272
	buffer_load_dword v121, off, s[0:3], 0 offset:308
	buffer_load_dword v120, off, s[0:3], 0 offset:304
	buffer_load_dword v123, off, s[0:3], 0 offset:340
	buffer_load_dword v122, off, s[0:3], 0 offset:336
	buffer_load_dword v107, off, s[0:3], 0 offset:356
	buffer_load_dword v124, off, s[0:3], 0 offset:208
	buffer_load_dword v125, off, s[0:3], 0 offset:212
	buffer_load_dword v126, off, s[0:3], 0 offset:216
	buffer_load_dword v127, off, s[0:3], 0 offset:220
	v_mov_b32_e32 v90, 0
	ds_read_b128 v[2:5], v90 offset:592
	ds_read_b128 v[6:9], v90 offset:608
	;; [unrolled: 1-line block ×9, first 2 shown]
	v_cmp_lt_u32_e32 vcc, 12, v153
	s_waitcnt vmcnt(38) lgkmcnt(8)
	v_mul_f64 v[128:129], v[2:3], v[84:85]
	v_mul_f64 v[84:85], v[4:5], v[84:85]
	s_waitcnt vmcnt(36) lgkmcnt(7)
	v_mul_f64 v[130:131], v[6:7], v[86:87]
	v_mul_f64 v[86:87], v[8:9], v[86:87]
	;; [unrolled: 3-line block ×3, first 2 shown]
	s_waitcnt vmcnt(32) lgkmcnt(4)
	v_mul_f64 v[158:159], v[18:19], v[92:93]
	s_waitcnt vmcnt(30)
	v_fmac_f64_e32 v[158:159], v[20:21], v[94:95]
	s_waitcnt vmcnt(28)
	v_mul_f64 v[156:157], v[14:15], v[96:97]
	v_mul_f64 v[96:97], v[16:17], v[96:97]
	s_waitcnt vmcnt(26) lgkmcnt(2)
	v_mul_f64 v[162:163], v[26:27], v[98:99]
	s_waitcnt vmcnt(24)
	v_fmac_f64_e32 v[162:163], v[28:29], v[100:101]
	s_waitcnt vmcnt(22)
	v_mul_f64 v[160:161], v[22:23], v[102:103]
	s_waitcnt vmcnt(18) lgkmcnt(1)
	v_mul_f64 v[164:165], v[76:77], v[108:109]
	s_waitcnt vmcnt(17) lgkmcnt(0)
	v_mul_f64 v[166:167], v[80:81], v[104:105]
	s_waitcnt vmcnt(15)
	v_fma_f64 v[2:3], v[2:3], v[110:111], -v[84:85]
	v_fmac_f64_e32 v[128:129], v[4:5], v[110:111]
	s_waitcnt vmcnt(13)
	v_fma_f64 v[4:5], v[6:7], v[114:115], -v[86:87]
	v_add_f64 v[2:3], v[2:3], 0
	s_waitcnt vmcnt(11)
	v_fma_f64 v[6:7], v[10:11], v[116:117], -v[88:89]
	v_add_f64 v[2:3], v[2:3], v[4:5]
	v_fmac_f64_e32 v[130:131], v[8:9], v[114:115]
	s_waitcnt vmcnt(9)
	v_fma_f64 v[8:9], v[14:15], v[118:119], -v[96:97]
	v_add_f64 v[2:3], v[2:3], v[6:7]
	v_mul_f64 v[6:7], v[20:21], v[92:93]
	v_add_f64 v[2:3], v[2:3], v[8:9]
	v_fma_f64 v[6:7], v[18:19], v[94:95], -v[6:7]
	v_add_f64 v[2:3], v[2:3], v[6:7]
	v_mul_f64 v[6:7], v[24:25], v[102:103]
	v_add_f64 v[10:11], v[128:129], 0
	s_waitcnt vmcnt(7)
	v_fma_f64 v[6:7], v[22:23], v[120:121], -v[6:7]
	v_fmac_f64_e32 v[154:155], v[12:13], v[116:117]
	v_add_f64 v[10:11], v[10:11], v[130:131]
	v_add_f64 v[2:3], v[2:3], v[6:7]
	v_mul_f64 v[6:7], v[28:29], v[98:99]
	v_fmac_f64_e32 v[156:157], v[16:17], v[118:119]
	v_add_f64 v[4:5], v[10:11], v[154:155]
	v_fma_f64 v[6:7], v[26:27], v[100:101], -v[6:7]
	v_add_f64 v[4:5], v[4:5], v[156:157]
	v_add_f64 v[2:3], v[2:3], v[6:7]
	v_mul_f64 v[6:7], v[78:79], v[108:109]
	v_fmac_f64_e32 v[160:161], v[24:25], v[120:121]
	v_add_f64 v[4:5], v[4:5], v[158:159]
	s_waitcnt vmcnt(5)
	v_fma_f64 v[6:7], v[76:77], v[122:123], -v[6:7]
	v_add_f64 v[4:5], v[4:5], v[160:161]
	v_add_f64 v[2:3], v[2:3], v[6:7]
	v_mul_f64 v[6:7], v[82:83], v[104:105]
	v_fmac_f64_e32 v[164:165], v[78:79], v[122:123]
	v_add_f64 v[4:5], v[4:5], v[162:163]
	s_waitcnt vmcnt(4)
	v_fma_f64 v[6:7], v[80:81], v[106:107], -v[6:7]
	v_fmac_f64_e32 v[166:167], v[82:83], v[106:107]
	v_add_f64 v[4:5], v[4:5], v[164:165]
	v_add_f64 v[2:3], v[2:3], v[6:7]
	;; [unrolled: 1-line block ×3, first 2 shown]
	s_waitcnt vmcnt(2)
	v_add_f64 v[2:3], v[124:125], -v[2:3]
	s_waitcnt vmcnt(0)
	v_add_f64 v[4:5], v[126:127], -v[4:5]
	buffer_store_dword v3, off, s[0:3], 0 offset:212
	buffer_store_dword v2, off, s[0:3], 0 offset:208
	;; [unrolled: 1-line block ×4, first 2 shown]
	s_and_saveexec_b64 s[6:7], vcc
	s_cbranch_execz .LBB86_127
; %bb.126:
	buffer_load_dword v2, v138, s[0:3], 0 offen
	buffer_load_dword v3, v138, s[0:3], 0 offen offset:4
	buffer_load_dword v4, v138, s[0:3], 0 offen offset:8
	;; [unrolled: 1-line block ×3, first 2 shown]
	s_nop 0
	buffer_store_dword v90, off, s[0:3], 0 offset:192
	buffer_store_dword v90, off, s[0:3], 0 offset:196
	;; [unrolled: 1-line block ×4, first 2 shown]
	s_waitcnt vmcnt(4)
	ds_write_b128 v112, v[2:5]
.LBB86_127:
	s_or_b64 exec, exec, s[6:7]
	s_waitcnt lgkmcnt(0)
	; wave barrier
	s_waitcnt lgkmcnt(0)
	ds_read_b128 v[14:17], v90 offset:576
	ds_read_b128 v[10:13], v90 offset:592
	;; [unrolled: 1-line block ×4, first 2 shown]
	buffer_load_dword v24, off, s[0:3], 0 offset:192
	buffer_load_dword v25, off, s[0:3], 0 offset:196
	;; [unrolled: 1-line block ×20, first 2 shown]
	v_cmp_lt_u32_e32 vcc, 11, v153
	s_waitcnt vmcnt(12) lgkmcnt(3)
	v_mul_f64 v[18:19], v[14:15], v[86:87]
	v_fmac_f64_e32 v[18:19], v[16:17], v[84:85]
	v_add_f64 v[18:19], v[18:19], 0
	v_mul_f64 v[16:17], v[16:17], v[86:87]
	s_waitcnt vmcnt(8) lgkmcnt(2)
	v_mul_f64 v[20:21], v[10:11], v[88:89]
	v_fmac_f64_e32 v[20:21], v[12:13], v[76:77]
	v_add_f64 v[18:19], v[18:19], v[20:21]
	v_fma_f64 v[14:15], v[14:15], v[84:85], -v[16:17]
	s_waitcnt vmcnt(4) lgkmcnt(1)
	v_mul_f64 v[20:21], v[6:7], v[28:29]
	v_fmac_f64_e32 v[20:21], v[8:9], v[26:27]
	v_add_f64 v[18:19], v[18:19], v[20:21]
	s_waitcnt vmcnt(0) lgkmcnt(0)
	v_mul_f64 v[20:21], v[2:3], v[80:81]
	v_fmac_f64_e32 v[20:21], v[4:5], v[78:79]
	v_add_f64 v[92:93], v[18:19], v[20:21]
	ds_read_b128 v[18:21], v90 offset:640
	buffer_load_dword v83, off, s[0:3], 0 offset:276
	buffer_load_dword v82, off, s[0:3], 0 offset:272
	buffer_load_dword v115, off, s[0:3], 0 offset:284
	buffer_load_dword v114, off, s[0:3], 0 offset:280
	v_mul_f64 v[12:13], v[12:13], v[88:89]
	v_add_f64 v[14:15], v[14:15], 0
	v_fma_f64 v[10:11], v[10:11], v[76:77], -v[12:13]
	v_mul_f64 v[8:9], v[8:9], v[28:29]
	v_add_f64 v[10:11], v[14:15], v[10:11]
	v_fma_f64 v[6:7], v[6:7], v[26:27], -v[8:9]
	;; [unrolled: 3-line block ×3, first 2 shown]
	v_add_f64 v[2:3], v[6:7], v[2:3]
	s_waitcnt vmcnt(0) lgkmcnt(0)
	v_mul_f64 v[94:95], v[18:19], v[114:115]
	v_fmac_f64_e32 v[94:95], v[20:21], v[82:83]
	v_add_f64 v[96:97], v[92:93], v[94:95]
	ds_read_b128 v[92:95], v90 offset:656
	buffer_load_dword v117, off, s[0:3], 0 offset:292
	buffer_load_dword v116, off, s[0:3], 0 offset:288
	buffer_load_dword v119, off, s[0:3], 0 offset:300
	buffer_load_dword v118, off, s[0:3], 0 offset:296
	v_mul_f64 v[4:5], v[20:21], v[114:115]
	v_fma_f64 v[4:5], v[18:19], v[82:83], -v[4:5]
	v_add_f64 v[2:3], v[2:3], v[4:5]
	s_waitcnt vmcnt(0) lgkmcnt(0)
	v_mul_f64 v[98:99], v[92:93], v[118:119]
	v_fmac_f64_e32 v[98:99], v[94:95], v[116:117]
	v_add_f64 v[100:101], v[96:97], v[98:99]
	ds_read_b128 v[96:99], v90 offset:672
	buffer_load_dword v121, off, s[0:3], 0 offset:308
	buffer_load_dword v120, off, s[0:3], 0 offset:304
	buffer_load_dword v123, off, s[0:3], 0 offset:316
	buffer_load_dword v122, off, s[0:3], 0 offset:312
	v_mul_f64 v[4:5], v[94:95], v[118:119]
	v_fma_f64 v[4:5], v[92:93], v[116:117], -v[4:5]
	;; [unrolled: 12-line block ×5, first 2 shown]
	v_add_f64 v[2:3], v[2:3], v[4:5]
	s_waitcnt vmcnt(0) lgkmcnt(0)
	v_mul_f64 v[4:5], v[110:111], v[156:157]
	v_mul_f64 v[158:159], v[108:109], v[156:157]
	v_fma_f64 v[4:5], v[108:109], v[90:91], -v[4:5]
	v_fmac_f64_e32 v[158:159], v[110:111], v[90:91]
	v_add_f64 v[2:3], v[2:3], v[4:5]
	v_add_f64 v[154:155], v[154:155], v[158:159]
	v_add_f64 v[2:3], v[24:25], -v[2:3]
	v_add_f64 v[4:5], v[22:23], -v[154:155]
	buffer_store_dword v3, off, s[0:3], 0 offset:196
	buffer_store_dword v2, off, s[0:3], 0 offset:192
	;; [unrolled: 1-line block ×4, first 2 shown]
	s_and_saveexec_b64 s[6:7], vcc
	s_cbranch_execz .LBB86_129
; %bb.128:
	buffer_load_dword v2, v145, s[0:3], 0 offen
	buffer_load_dword v3, v145, s[0:3], 0 offen offset:4
	buffer_load_dword v4, v145, s[0:3], 0 offen offset:8
	buffer_load_dword v5, v145, s[0:3], 0 offen offset:12
	v_mov_b32_e32 v6, 0
	buffer_store_dword v6, off, s[0:3], 0 offset:176
	buffer_store_dword v6, off, s[0:3], 0 offset:180
	;; [unrolled: 1-line block ×4, first 2 shown]
	s_waitcnt vmcnt(4)
	ds_write_b128 v112, v[2:5]
.LBB86_129:
	s_or_b64 exec, exec, s[6:7]
	s_waitcnt lgkmcnt(0)
	; wave barrier
	s_waitcnt lgkmcnt(0)
	buffer_load_dword v2, off, s[0:3], 0 offset:192
	buffer_load_dword v3, off, s[0:3], 0 offset:196
	;; [unrolled: 1-line block ×48, first 2 shown]
	v_mov_b32_e32 v12, 0
	ds_read_b128 v[14:17], v12 offset:560
	ds_read_b128 v[18:21], v12 offset:576
	;; [unrolled: 1-line block ×11, first 2 shown]
	v_cmp_lt_u32_e32 vcc, 10, v153
	s_waitcnt vmcnt(44) lgkmcnt(10)
	v_mul_f64 v[166:167], v[14:15], v[6:7]
	v_mul_f64 v[6:7], v[16:17], v[6:7]
	v_fmac_f64_e32 v[166:167], v[16:17], v[2:3]
	v_fma_f64 v[2:3], v[14:15], v[2:3], -v[6:7]
	s_waitcnt vmcnt(40) lgkmcnt(9)
	v_mul_f64 v[168:169], v[18:19], v[8:9]
	v_mul_f64 v[6:7], v[20:21], v[8:9]
	v_fmac_f64_e32 v[168:169], v[20:21], v[4:5]
	v_add_f64 v[2:3], v[2:3], 0
	v_fma_f64 v[4:5], v[18:19], v[4:5], -v[6:7]
	v_add_f64 v[2:3], v[2:3], v[4:5]
	s_waitcnt vmcnt(38) lgkmcnt(8)
	v_mul_f64 v[4:5], v[24:25], v[10:11]
	v_mul_f64 v[170:171], v[22:23], v[10:11]
	v_add_f64 v[166:167], v[166:167], 0
	s_waitcnt vmcnt(32) lgkmcnt(7)
	v_mul_f64 v[172:173], v[26:27], v[108:109]
	v_add_f64 v[166:167], v[166:167], v[168:169]
	s_waitcnt lgkmcnt(6)
	v_mul_f64 v[174:175], v[76:77], v[104:105]
	v_fmac_f64_e32 v[174:175], v[78:79], v[106:107]
	s_waitcnt vmcnt(30) lgkmcnt(4)
	v_mul_f64 v[178:179], v[84:85], v[110:111]
	s_waitcnt vmcnt(26)
	v_mul_f64 v[176:177], v[80:81], v[116:117]
	v_fmac_f64_e32 v[178:179], v[86:87], v[114:115]
	s_waitcnt vmcnt(24) lgkmcnt(2)
	v_mul_f64 v[182:183], v[92:93], v[118:119]
	s_waitcnt vmcnt(22)
	v_fmac_f64_e32 v[182:183], v[94:95], v[120:121]
	s_waitcnt vmcnt(20)
	v_mul_f64 v[180:181], v[88:89], v[122:123]
	s_waitcnt vmcnt(18) lgkmcnt(1)
	v_mul_f64 v[184:185], v[96:97], v[124:125]
	s_waitcnt vmcnt(16)
	v_fma_f64 v[4:5], v[22:23], v[126:127], -v[4:5]
	v_add_f64 v[2:3], v[2:3], v[4:5]
	v_mul_f64 v[4:5], v[28:29], v[108:109]
	s_waitcnt vmcnt(14)
	v_fma_f64 v[4:5], v[26:27], v[128:129], -v[4:5]
	v_add_f64 v[2:3], v[2:3], v[4:5]
	v_mul_f64 v[4:5], v[78:79], v[104:105]
	v_fma_f64 v[4:5], v[76:77], v[106:107], -v[4:5]
	v_add_f64 v[2:3], v[2:3], v[4:5]
	v_mul_f64 v[4:5], v[82:83], v[116:117]
	s_waitcnt vmcnt(12)
	v_fma_f64 v[4:5], v[80:81], v[130:131], -v[4:5]
	v_add_f64 v[2:3], v[2:3], v[4:5]
	v_mul_f64 v[4:5], v[86:87], v[110:111]
	v_fma_f64 v[4:5], v[84:85], v[114:115], -v[4:5]
	v_fmac_f64_e32 v[170:171], v[24:25], v[126:127]
	v_add_f64 v[2:3], v[2:3], v[4:5]
	v_mul_f64 v[4:5], v[90:91], v[122:123]
	v_fmac_f64_e32 v[172:173], v[28:29], v[128:129]
	v_add_f64 v[166:167], v[166:167], v[170:171]
	s_waitcnt vmcnt(10)
	v_fma_f64 v[4:5], v[88:89], v[154:155], -v[4:5]
	v_add_f64 v[166:167], v[166:167], v[172:173]
	v_add_f64 v[2:3], v[2:3], v[4:5]
	v_mul_f64 v[4:5], v[94:95], v[118:119]
	v_fmac_f64_e32 v[176:177], v[82:83], v[130:131]
	v_add_f64 v[166:167], v[166:167], v[174:175]
	v_fma_f64 v[4:5], v[92:93], v[120:121], -v[4:5]
	v_add_f64 v[166:167], v[166:167], v[176:177]
	v_add_f64 v[2:3], v[2:3], v[4:5]
	v_mul_f64 v[4:5], v[98:99], v[124:125]
	v_fmac_f64_e32 v[180:181], v[90:91], v[154:155]
	v_add_f64 v[166:167], v[166:167], v[178:179]
	s_waitcnt vmcnt(8)
	v_fma_f64 v[4:5], v[96:97], v[156:157], -v[4:5]
	v_add_f64 v[166:167], v[166:167], v[180:181]
	v_add_f64 v[2:3], v[2:3], v[4:5]
	s_waitcnt vmcnt(5) lgkmcnt(0)
	v_mul_f64 v[4:5], v[102:103], v[158:159]
	v_fmac_f64_e32 v[184:185], v[98:99], v[156:157]
	v_add_f64 v[166:167], v[166:167], v[182:183]
	v_mul_f64 v[168:169], v[100:101], v[158:159]
	s_waitcnt vmcnt(4)
	v_fma_f64 v[4:5], v[100:101], v[160:161], -v[4:5]
	v_add_f64 v[166:167], v[166:167], v[184:185]
	v_fmac_f64_e32 v[168:169], v[102:103], v[160:161]
	v_add_f64 v[2:3], v[2:3], v[4:5]
	v_add_f64 v[166:167], v[166:167], v[168:169]
	s_waitcnt vmcnt(2)
	v_add_f64 v[2:3], v[162:163], -v[2:3]
	s_waitcnt vmcnt(0)
	v_add_f64 v[4:5], v[164:165], -v[166:167]
	buffer_store_dword v3, off, s[0:3], 0 offset:180
	buffer_store_dword v2, off, s[0:3], 0 offset:176
	;; [unrolled: 1-line block ×4, first 2 shown]
	s_and_saveexec_b64 s[6:7], vcc
	s_cbranch_execz .LBB86_131
; %bb.130:
	buffer_load_dword v2, v143, s[0:3], 0 offen
	buffer_load_dword v3, v143, s[0:3], 0 offen offset:4
	buffer_load_dword v4, v143, s[0:3], 0 offen offset:8
	buffer_load_dword v5, v143, s[0:3], 0 offen offset:12
	s_nop 0
	buffer_store_dword v12, off, s[0:3], 0 offset:160
	buffer_store_dword v12, off, s[0:3], 0 offset:164
	;; [unrolled: 1-line block ×4, first 2 shown]
	s_waitcnt vmcnt(4)
	ds_write_b128 v112, v[2:5]
.LBB86_131:
	s_or_b64 exec, exec, s[6:7]
	s_waitcnt lgkmcnt(0)
	; wave barrier
	s_waitcnt lgkmcnt(0)
	buffer_load_dword v2, off, s[0:3], 0 offset:176
	buffer_load_dword v3, off, s[0:3], 0 offset:180
	;; [unrolled: 1-line block ×52, first 2 shown]
	ds_read_b128 v[14:17], v12 offset:544
	ds_read_b128 v[18:21], v12 offset:560
	;; [unrolled: 1-line block ×10, first 2 shown]
	v_cmp_lt_u32_e32 vcc, 9, v153
	s_waitcnt vmcnt(48) lgkmcnt(9)
	v_mul_f64 v[100:101], v[14:15], v[6:7]
	v_mul_f64 v[6:7], v[16:17], v[6:7]
	v_fmac_f64_e32 v[100:101], v[16:17], v[2:3]
	v_fma_f64 v[2:3], v[14:15], v[2:3], -v[6:7]
	s_waitcnt vmcnt(44) lgkmcnt(8)
	v_mul_f64 v[102:103], v[18:19], v[8:9]
	v_mul_f64 v[6:7], v[20:21], v[8:9]
	v_fmac_f64_e32 v[102:103], v[20:21], v[4:5]
	v_add_f64 v[2:3], v[2:3], 0
	v_fma_f64 v[4:5], v[18:19], v[4:5], -v[6:7]
	v_add_f64 v[2:3], v[2:3], v[4:5]
	s_waitcnt vmcnt(42) lgkmcnt(7)
	v_mul_f64 v[4:5], v[24:25], v[10:11]
	v_mul_f64 v[104:105], v[22:23], v[10:11]
	v_add_f64 v[100:101], v[100:101], 0
	s_waitcnt vmcnt(36) lgkmcnt(6)
	v_mul_f64 v[106:107], v[26:27], v[114:115]
	v_add_f64 v[100:101], v[100:101], v[102:103]
	s_waitcnt lgkmcnt(5)
	v_mul_f64 v[174:175], v[76:77], v[108:109]
	v_fmac_f64_e32 v[174:175], v[78:79], v[110:111]
	s_waitcnt vmcnt(34) lgkmcnt(3)
	v_mul_f64 v[178:179], v[84:85], v[116:117]
	s_waitcnt vmcnt(30)
	v_mul_f64 v[176:177], v[80:81], v[120:121]
	v_fmac_f64_e32 v[178:179], v[86:87], v[118:119]
	s_waitcnt vmcnt(26) lgkmcnt(2)
	v_mul_f64 v[180:181], v[88:89], v[126:127]
	s_waitcnt vmcnt(25) lgkmcnt(1)
	v_mul_f64 v[182:183], v[92:93], v[122:123]
	s_waitcnt vmcnt(23)
	v_fma_f64 v[4:5], v[22:23], v[128:129], -v[4:5]
	v_add_f64 v[2:3], v[2:3], v[4:5]
	v_mul_f64 v[4:5], v[28:29], v[114:115]
	s_waitcnt vmcnt(21)
	v_fma_f64 v[4:5], v[26:27], v[130:131], -v[4:5]
	v_fmac_f64_e32 v[104:105], v[24:25], v[128:129]
	v_add_f64 v[2:3], v[2:3], v[4:5]
	v_mul_f64 v[4:5], v[78:79], v[108:109]
	v_fmac_f64_e32 v[106:107], v[28:29], v[130:131]
	v_add_f64 v[100:101], v[100:101], v[104:105]
	v_fma_f64 v[4:5], v[76:77], v[110:111], -v[4:5]
	v_add_f64 v[100:101], v[100:101], v[106:107]
	v_add_f64 v[2:3], v[2:3], v[4:5]
	v_mul_f64 v[4:5], v[82:83], v[120:121]
	s_waitcnt vmcnt(19)
	v_fmac_f64_e32 v[176:177], v[82:83], v[154:155]
	v_add_f64 v[100:101], v[100:101], v[174:175]
	v_fma_f64 v[4:5], v[80:81], v[154:155], -v[4:5]
	v_add_f64 v[100:101], v[100:101], v[176:177]
	v_add_f64 v[2:3], v[2:3], v[4:5]
	v_mul_f64 v[4:5], v[86:87], v[116:117]
	s_waitcnt vmcnt(17)
	v_fmac_f64_e32 v[180:181], v[90:91], v[156:157]
	v_add_f64 v[100:101], v[100:101], v[178:179]
	v_fma_f64 v[4:5], v[84:85], v[118:119], -v[4:5]
	s_waitcnt vmcnt(16)
	v_fmac_f64_e32 v[182:183], v[94:95], v[124:125]
	v_add_f64 v[100:101], v[100:101], v[180:181]
	v_add_f64 v[2:3], v[2:3], v[4:5]
	v_mul_f64 v[4:5], v[90:91], v[126:127]
	v_add_f64 v[174:175], v[100:101], v[182:183]
	ds_read_b128 v[100:103], v12 offset:704
	ds_read_b128 v[104:107], v12 offset:720
	v_fma_f64 v[4:5], v[88:89], v[156:157], -v[4:5]
	v_add_f64 v[2:3], v[2:3], v[4:5]
	v_mul_f64 v[4:5], v[94:95], v[122:123]
	v_fma_f64 v[4:5], v[92:93], v[124:125], -v[4:5]
	v_add_f64 v[2:3], v[2:3], v[4:5]
	s_waitcnt vmcnt(12) lgkmcnt(2)
	v_mul_f64 v[4:5], v[98:99], v[162:163]
	v_mul_f64 v[176:177], v[96:97], v[162:163]
	s_waitcnt vmcnt(10)
	v_fma_f64 v[4:5], v[96:97], v[164:165], -v[4:5]
	v_fmac_f64_e32 v[176:177], v[98:99], v[164:165]
	v_add_f64 v[2:3], v[2:3], v[4:5]
	s_waitcnt vmcnt(8) lgkmcnt(1)
	v_mul_f64 v[4:5], v[102:103], v[158:159]
	v_add_f64 v[12:13], v[174:175], v[176:177]
	v_mul_f64 v[174:175], v[100:101], v[158:159]
	v_fma_f64 v[4:5], v[100:101], v[160:161], -v[4:5]
	v_fmac_f64_e32 v[174:175], v[102:103], v[160:161]
	v_add_f64 v[2:3], v[2:3], v[4:5]
	s_waitcnt vmcnt(6) lgkmcnt(0)
	v_mul_f64 v[4:5], v[106:107], v[166:167]
	v_add_f64 v[12:13], v[12:13], v[174:175]
	v_mul_f64 v[174:175], v[104:105], v[166:167]
	s_waitcnt vmcnt(4)
	v_fma_f64 v[4:5], v[104:105], v[168:169], -v[4:5]
	v_fmac_f64_e32 v[174:175], v[106:107], v[168:169]
	v_add_f64 v[2:3], v[2:3], v[4:5]
	v_add_f64 v[12:13], v[12:13], v[174:175]
	s_waitcnt vmcnt(2)
	v_add_f64 v[2:3], v[170:171], -v[2:3]
	s_waitcnt vmcnt(0)
	v_add_f64 v[4:5], v[172:173], -v[12:13]
	buffer_store_dword v3, off, s[0:3], 0 offset:164
	buffer_store_dword v2, off, s[0:3], 0 offset:160
	;; [unrolled: 1-line block ×4, first 2 shown]
	s_and_saveexec_b64 s[6:7], vcc
	s_cbranch_execz .LBB86_133
; %bb.132:
	buffer_load_dword v2, v144, s[0:3], 0 offen
	buffer_load_dword v3, v144, s[0:3], 0 offen offset:4
	buffer_load_dword v4, v144, s[0:3], 0 offen offset:8
	;; [unrolled: 1-line block ×3, first 2 shown]
	v_mov_b32_e32 v6, 0
	buffer_store_dword v6, off, s[0:3], 0 offset:144
	buffer_store_dword v6, off, s[0:3], 0 offset:148
	;; [unrolled: 1-line block ×4, first 2 shown]
	s_waitcnt vmcnt(4)
	ds_write_b128 v112, v[2:5]
.LBB86_133:
	s_or_b64 exec, exec, s[6:7]
	s_waitcnt lgkmcnt(0)
	; wave barrier
	s_waitcnt lgkmcnt(0)
	buffer_load_dword v2, off, s[0:3], 0 offset:160
	buffer_load_dword v3, off, s[0:3], 0 offset:164
	;; [unrolled: 1-line block ×56, first 2 shown]
	v_mov_b32_e32 v24, 0
	ds_read_b128 v[18:21], v24 offset:528
	ds_read_b128 v[26:29], v24 offset:544
	;; [unrolled: 1-line block ×9, first 2 shown]
	v_cmp_lt_u32_e32 vcc, 8, v153
	s_waitcnt vmcnt(52) lgkmcnt(8)
	v_mul_f64 v[100:101], v[18:19], v[6:7]
	v_fmac_f64_e32 v[100:101], v[20:21], v[2:3]
	v_mul_f64 v[6:7], v[20:21], v[6:7]
	v_add_f64 v[100:101], v[100:101], 0
	s_waitcnt vmcnt(48) lgkmcnt(7)
	v_mul_f64 v[102:103], v[26:27], v[8:9]
	v_fmac_f64_e32 v[102:103], v[28:29], v[4:5]
	s_waitcnt vmcnt(46) lgkmcnt(6)
	v_mul_f64 v[104:105], v[76:77], v[10:11]
	v_fma_f64 v[2:3], v[18:19], v[2:3], -v[6:7]
	v_mul_f64 v[6:7], v[28:29], v[8:9]
	v_add_f64 v[100:101], v[100:101], v[102:103]
	v_add_f64 v[2:3], v[2:3], 0
	v_fma_f64 v[4:5], v[26:27], v[4:5], -v[6:7]
	s_waitcnt vmcnt(40) lgkmcnt(5)
	v_mul_f64 v[106:107], v[80:81], v[16:17]
	s_waitcnt lgkmcnt(4)
	v_mul_f64 v[108:109], v[84:85], v[12:13]
	v_add_f64 v[2:3], v[2:3], v[4:5]
	v_mul_f64 v[4:5], v[78:79], v[10:11]
	s_waitcnt vmcnt(36) lgkmcnt(3)
	v_mul_f64 v[110:111], v[88:89], v[124:125]
	v_fmac_f64_e32 v[108:109], v[86:87], v[14:15]
	s_waitcnt vmcnt(35) lgkmcnt(2)
	v_mul_f64 v[114:115], v[92:93], v[22:23]
	s_waitcnt vmcnt(33)
	v_fmac_f64_e32 v[104:105], v[78:79], v[126:127]
	v_add_f64 v[100:101], v[100:101], v[104:105]
	s_waitcnt vmcnt(31)
	v_fmac_f64_e32 v[106:107], v[82:83], v[128:129]
	v_add_f64 v[100:101], v[100:101], v[106:107]
	v_fma_f64 v[4:5], v[76:77], v[126:127], -v[4:5]
	s_waitcnt vmcnt(29)
	v_fmac_f64_e32 v[110:111], v[90:91], v[130:131]
	v_add_f64 v[100:101], v[100:101], v[108:109]
	v_add_f64 v[2:3], v[2:3], v[4:5]
	v_mul_f64 v[4:5], v[82:83], v[16:17]
	s_waitcnt vmcnt(28)
	v_fmac_f64_e32 v[114:115], v[94:95], v[122:123]
	v_add_f64 v[100:101], v[100:101], v[110:111]
	v_fma_f64 v[4:5], v[80:81], v[128:129], -v[4:5]
	v_add_f64 v[104:105], v[100:101], v[114:115]
	ds_read_b128 v[100:103], v24 offset:656
	s_waitcnt vmcnt(24) lgkmcnt(2)
	v_mul_f64 v[106:107], v[96:97], v[158:159]
	v_add_f64 v[2:3], v[2:3], v[4:5]
	v_mul_f64 v[4:5], v[86:87], v[12:13]
	s_waitcnt vmcnt(22)
	v_fmac_f64_e32 v[106:107], v[98:99], v[160:161]
	v_fma_f64 v[4:5], v[84:85], v[14:15], -v[4:5]
	v_add_f64 v[108:109], v[104:105], v[106:107]
	ds_read_b128 v[104:107], v24 offset:672
	v_add_f64 v[2:3], v[2:3], v[4:5]
	v_mul_f64 v[4:5], v[90:91], v[124:125]
	v_fma_f64 v[4:5], v[88:89], v[130:131], -v[4:5]
	v_add_f64 v[2:3], v[2:3], v[4:5]
	v_mul_f64 v[4:5], v[94:95], v[22:23]
	s_waitcnt vmcnt(20) lgkmcnt(1)
	v_mul_f64 v[110:111], v[100:101], v[154:155]
	v_fma_f64 v[4:5], v[92:93], v[122:123], -v[4:5]
	v_fmac_f64_e32 v[110:111], v[102:103], v[156:157]
	v_add_f64 v[2:3], v[2:3], v[4:5]
	v_mul_f64 v[4:5], v[98:99], v[158:159]
	v_add_f64 v[114:115], v[108:109], v[110:111]
	ds_read_b128 v[108:111], v24 offset:688
	s_waitcnt vmcnt(16) lgkmcnt(1)
	v_mul_f64 v[116:117], v[104:105], v[166:167]
	v_fma_f64 v[4:5], v[96:97], v[160:161], -v[4:5]
	s_waitcnt vmcnt(14)
	v_fmac_f64_e32 v[116:117], v[106:107], v[168:169]
	v_add_f64 v[2:3], v[2:3], v[4:5]
	v_mul_f64 v[4:5], v[102:103], v[154:155]
	v_add_f64 v[182:183], v[114:115], v[116:117]
	ds_read_b128 v[114:117], v24 offset:704
	v_fma_f64 v[4:5], v[100:101], v[156:157], -v[4:5]
	v_add_f64 v[2:3], v[2:3], v[4:5]
	v_mul_f64 v[4:5], v[106:107], v[166:167]
	v_fma_f64 v[4:5], v[104:105], v[168:169], -v[4:5]
	v_add_f64 v[2:3], v[2:3], v[4:5]
	s_waitcnt vmcnt(12) lgkmcnt(1)
	v_mul_f64 v[4:5], v[110:111], v[162:163]
	v_mul_f64 v[184:185], v[108:109], v[162:163]
	v_fma_f64 v[4:5], v[108:109], v[164:165], -v[4:5]
	v_fmac_f64_e32 v[184:185], v[110:111], v[164:165]
	v_add_f64 v[2:3], v[2:3], v[4:5]
	s_waitcnt vmcnt(8) lgkmcnt(0)
	v_mul_f64 v[4:5], v[116:117], v[174:175]
	v_add_f64 v[182:183], v[182:183], v[184:185]
	v_mul_f64 v[184:185], v[114:115], v[174:175]
	s_waitcnt vmcnt(6)
	v_fma_f64 v[4:5], v[114:115], v[176:177], -v[4:5]
	v_fmac_f64_e32 v[184:185], v[116:117], v[176:177]
	v_add_f64 v[2:3], v[2:3], v[4:5]
	s_waitcnt vmcnt(5)
	v_mul_f64 v[4:5], v[120:121], v[170:171]
	v_add_f64 v[182:183], v[182:183], v[184:185]
	v_mul_f64 v[184:185], v[118:119], v[170:171]
	s_waitcnt vmcnt(4)
	v_fma_f64 v[4:5], v[118:119], v[172:173], -v[4:5]
	v_fmac_f64_e32 v[184:185], v[120:121], v[172:173]
	v_add_f64 v[2:3], v[2:3], v[4:5]
	v_add_f64 v[182:183], v[182:183], v[184:185]
	s_waitcnt vmcnt(2)
	v_add_f64 v[2:3], v[178:179], -v[2:3]
	s_waitcnt vmcnt(0)
	v_add_f64 v[4:5], v[180:181], -v[182:183]
	buffer_store_dword v3, off, s[0:3], 0 offset:148
	buffer_store_dword v2, off, s[0:3], 0 offset:144
	;; [unrolled: 1-line block ×4, first 2 shown]
	s_and_saveexec_b64 s[6:7], vcc
	s_cbranch_execz .LBB86_135
; %bb.134:
	buffer_load_dword v2, v142, s[0:3], 0 offen
	buffer_load_dword v3, v142, s[0:3], 0 offen offset:4
	buffer_load_dword v4, v142, s[0:3], 0 offen offset:8
	;; [unrolled: 1-line block ×3, first 2 shown]
	s_nop 0
	buffer_store_dword v24, off, s[0:3], 0 offset:128
	buffer_store_dword v24, off, s[0:3], 0 offset:132
	;; [unrolled: 1-line block ×4, first 2 shown]
	s_waitcnt vmcnt(4)
	ds_write_b128 v112, v[2:5]
.LBB86_135:
	s_or_b64 exec, exec, s[6:7]
	s_waitcnt lgkmcnt(0)
	; wave barrier
	s_waitcnt lgkmcnt(0)
	buffer_load_dword v2, off, s[0:3], 0 offset:144
	buffer_load_dword v3, off, s[0:3], 0 offset:148
	buffer_load_dword v6, off, s[0:3], 0 offset:152
	buffer_load_dword v7, off, s[0:3], 0 offset:156
	buffer_load_dword v4, off, s[0:3], 0 offset:160
	buffer_load_dword v5, off, s[0:3], 0 offset:164
	buffer_load_dword v8, off, s[0:3], 0 offset:168
	buffer_load_dword v9, off, s[0:3], 0 offset:172
	buffer_load_dword v10, off, s[0:3], 0 offset:184
	buffer_load_dword v11, off, s[0:3], 0 offset:188
	buffer_load_dword v13, off, s[0:3], 0 offset:220
	buffer_load_dword v12, off, s[0:3], 0 offset:216
	buffer_load_dword v15, off, s[0:3], 0 offset:212
	buffer_load_dword v14, off, s[0:3], 0 offset:208
	buffer_load_dword v17, off, s[0:3], 0 offset:204
	buffer_load_dword v16, off, s[0:3], 0 offset:200
	buffer_load_dword v18, off, s[0:3], 0 offset:248
	buffer_load_dword v20, off, s[0:3], 0 offset:240
	buffer_load_dword v23, off, s[0:3], 0 offset:236
	buffer_load_dword v22, off, s[0:3], 0 offset:232
	buffer_load_dword v130, off, s[0:3], 0 offset:176
	buffer_load_dword v131, off, s[0:3], 0 offset:180
	buffer_load_dword v155, off, s[0:3], 0 offset:196
	buffer_load_dword v154, off, s[0:3], 0 offset:192
	buffer_load_dword v157, off, s[0:3], 0 offset:228
	buffer_load_dword v156, off, s[0:3], 0 offset:224
	buffer_load_dword v21, off, s[0:3], 0 offset:244
	buffer_load_dword v19, off, s[0:3], 0 offset:252
	buffer_load_dword v158, off, s[0:3], 0 offset:280
	buffer_load_dword v160, off, s[0:3], 0 offset:272
	buffer_load_dword v163, off, s[0:3], 0 offset:268
	buffer_load_dword v162, off, s[0:3], 0 offset:264
	buffer_load_dword v165, off, s[0:3], 0 offset:260
	buffer_load_dword v164, off, s[0:3], 0 offset:256
	buffer_load_dword v161, off, s[0:3], 0 offset:276
	buffer_load_dword v159, off, s[0:3], 0 offset:284
	buffer_load_dword v166, off, s[0:3], 0 offset:312
	buffer_load_dword v168, off, s[0:3], 0 offset:304
	buffer_load_dword v171, off, s[0:3], 0 offset:300
	buffer_load_dword v170, off, s[0:3], 0 offset:296
	buffer_load_dword v173, off, s[0:3], 0 offset:292
	buffer_load_dword v172, off, s[0:3], 0 offset:288
	buffer_load_dword v169, off, s[0:3], 0 offset:308
	buffer_load_dword v167, off, s[0:3], 0 offset:316
	buffer_load_dword v174, off, s[0:3], 0 offset:344
	buffer_load_dword v176, off, s[0:3], 0 offset:336
	buffer_load_dword v179, off, s[0:3], 0 offset:332
	buffer_load_dword v178, off, s[0:3], 0 offset:328
	buffer_load_dword v181, off, s[0:3], 0 offset:324
	buffer_load_dword v180, off, s[0:3], 0 offset:320
	buffer_load_dword v177, off, s[0:3], 0 offset:340
	buffer_load_dword v175, off, s[0:3], 0 offset:348
	buffer_load_dword v183, off, s[0:3], 0 offset:364
	buffer_load_dword v182, off, s[0:3], 0 offset:360
	buffer_load_dword v185, off, s[0:3], 0 offset:356
	buffer_load_dword v184, off, s[0:3], 0 offset:352
	buffer_load_dword v186, off, s[0:3], 0 offset:128
	buffer_load_dword v187, off, s[0:3], 0 offset:132
	buffer_load_dword v188, off, s[0:3], 0 offset:136
	buffer_load_dword v189, off, s[0:3], 0 offset:140
	ds_read_b128 v[26:29], v24 offset:512
	ds_read_b128 v[76:79], v24 offset:528
	;; [unrolled: 1-line block ×8, first 2 shown]
	v_cmp_lt_u32_e32 vcc, 7, v153
	ds_read_b128 v[126:129], v24 offset:720
	s_waitcnt vmcnt(56) lgkmcnt(8)
	v_mul_f64 v[104:105], v[26:27], v[6:7]
	v_fmac_f64_e32 v[104:105], v[28:29], v[2:3]
	v_add_f64 v[104:105], v[104:105], 0
	v_mul_f64 v[6:7], v[28:29], v[6:7]
	s_waitcnt vmcnt(52) lgkmcnt(7)
	v_mul_f64 v[106:107], v[76:77], v[8:9]
	v_fmac_f64_e32 v[106:107], v[78:79], v[4:5]
	s_waitcnt vmcnt(50) lgkmcnt(6)
	v_mul_f64 v[108:109], v[80:81], v[10:11]
	v_add_f64 v[104:105], v[104:105], v[106:107]
	s_waitcnt vmcnt(48) lgkmcnt(4)
	v_mul_f64 v[114:115], v[88:89], v[12:13]
	v_fma_f64 v[2:3], v[26:27], v[2:3], -v[6:7]
	s_waitcnt vmcnt(46)
	v_fmac_f64_e32 v[114:115], v[90:91], v[14:15]
	v_mul_f64 v[6:7], v[78:79], v[8:9]
	s_waitcnt vmcnt(44)
	v_mul_f64 v[110:111], v[84:85], v[16:17]
	v_add_f64 v[2:3], v[2:3], 0
	v_fma_f64 v[4:5], v[76:77], v[4:5], -v[6:7]
	v_add_f64 v[2:3], v[2:3], v[4:5]
	s_waitcnt vmcnt(40) lgkmcnt(3)
	v_mul_f64 v[116:117], v[92:93], v[22:23]
	v_mul_f64 v[4:5], v[82:83], v[10:11]
	s_waitcnt vmcnt(38)
	v_fmac_f64_e32 v[108:109], v[82:83], v[130:131]
	v_add_f64 v[104:105], v[104:105], v[108:109]
	s_waitcnt vmcnt(36)
	v_fmac_f64_e32 v[110:111], v[86:87], v[154:155]
	v_add_f64 v[104:105], v[104:105], v[110:111]
	;; [unrolled: 3-line block ×3, first 2 shown]
	s_waitcnt vmcnt(32) lgkmcnt(2)
	v_mul_f64 v[106:107], v[96:97], v[18:19]
	v_add_f64 v[104:105], v[104:105], v[116:117]
	v_fmac_f64_e32 v[106:107], v[98:99], v[20:21]
	v_add_f64 v[108:109], v[104:105], v[106:107]
	ds_read_b128 v[104:107], v24 offset:640
	v_fma_f64 v[4:5], v[80:81], v[130:131], -v[4:5]
	v_add_f64 v[2:3], v[2:3], v[4:5]
	v_mul_f64 v[4:5], v[86:87], v[16:17]
	v_fma_f64 v[4:5], v[84:85], v[154:155], -v[4:5]
	s_waitcnt vmcnt(28) lgkmcnt(2)
	v_mul_f64 v[110:111], v[100:101], v[162:163]
	v_add_f64 v[2:3], v[2:3], v[4:5]
	v_mul_f64 v[4:5], v[90:91], v[12:13]
	s_waitcnt vmcnt(26)
	v_fmac_f64_e32 v[110:111], v[102:103], v[164:165]
	v_fma_f64 v[4:5], v[88:89], v[14:15], -v[4:5]
	v_add_f64 v[114:115], v[108:109], v[110:111]
	ds_read_b128 v[108:111], v24 offset:656
	s_waitcnt vmcnt(24) lgkmcnt(1)
	v_mul_f64 v[116:117], v[104:105], v[158:159]
	v_add_f64 v[2:3], v[2:3], v[4:5]
	v_mul_f64 v[4:5], v[94:95], v[22:23]
	v_fmac_f64_e32 v[116:117], v[106:107], v[160:161]
	v_fma_f64 v[4:5], v[92:93], v[156:157], -v[4:5]
	v_add_f64 v[118:119], v[114:115], v[116:117]
	ds_read_b128 v[114:117], v24 offset:672
	v_add_f64 v[2:3], v[2:3], v[4:5]
	v_mul_f64 v[4:5], v[98:99], v[18:19]
	v_fma_f64 v[4:5], v[96:97], v[20:21], -v[4:5]
	v_add_f64 v[2:3], v[2:3], v[4:5]
	v_mul_f64 v[4:5], v[102:103], v[162:163]
	s_waitcnt vmcnt(20) lgkmcnt(1)
	v_mul_f64 v[120:121], v[108:109], v[170:171]
	v_fma_f64 v[4:5], v[100:101], v[164:165], -v[4:5]
	s_waitcnt vmcnt(18)
	v_fmac_f64_e32 v[120:121], v[110:111], v[172:173]
	v_add_f64 v[2:3], v[2:3], v[4:5]
	v_mul_f64 v[4:5], v[106:107], v[158:159]
	v_add_f64 v[122:123], v[118:119], v[120:121]
	ds_read_b128 v[118:121], v24 offset:688
	s_waitcnt vmcnt(16) lgkmcnt(1)
	v_mul_f64 v[124:125], v[114:115], v[166:167]
	v_fma_f64 v[4:5], v[104:105], v[160:161], -v[4:5]
	v_fmac_f64_e32 v[124:125], v[116:117], v[168:169]
	v_add_f64 v[2:3], v[2:3], v[4:5]
	v_mul_f64 v[4:5], v[110:111], v[170:171]
	v_add_f64 v[190:191], v[122:123], v[124:125]
	ds_read_b128 v[122:125], v24 offset:704
	v_fma_f64 v[4:5], v[108:109], v[172:173], -v[4:5]
	v_add_f64 v[2:3], v[2:3], v[4:5]
	v_mul_f64 v[4:5], v[116:117], v[166:167]
	v_fma_f64 v[4:5], v[114:115], v[168:169], -v[4:5]
	v_add_f64 v[2:3], v[2:3], v[4:5]
	s_waitcnt vmcnt(12) lgkmcnt(1)
	v_mul_f64 v[4:5], v[120:121], v[178:179]
	v_mul_f64 v[192:193], v[118:119], v[178:179]
	s_waitcnt vmcnt(10)
	v_fma_f64 v[4:5], v[118:119], v[180:181], -v[4:5]
	v_fmac_f64_e32 v[192:193], v[120:121], v[180:181]
	v_add_f64 v[2:3], v[2:3], v[4:5]
	s_waitcnt vmcnt(8) lgkmcnt(0)
	v_mul_f64 v[4:5], v[124:125], v[174:175]
	v_add_f64 v[24:25], v[190:191], v[192:193]
	v_mul_f64 v[190:191], v[122:123], v[174:175]
	v_fma_f64 v[4:5], v[122:123], v[176:177], -v[4:5]
	v_fmac_f64_e32 v[190:191], v[124:125], v[176:177]
	v_add_f64 v[2:3], v[2:3], v[4:5]
	s_waitcnt vmcnt(6)
	v_mul_f64 v[4:5], v[128:129], v[182:183]
	v_add_f64 v[24:25], v[24:25], v[190:191]
	v_mul_f64 v[190:191], v[126:127], v[182:183]
	s_waitcnt vmcnt(4)
	v_fma_f64 v[4:5], v[126:127], v[184:185], -v[4:5]
	v_fmac_f64_e32 v[190:191], v[128:129], v[184:185]
	v_add_f64 v[2:3], v[2:3], v[4:5]
	v_add_f64 v[24:25], v[24:25], v[190:191]
	s_waitcnt vmcnt(2)
	v_add_f64 v[2:3], v[186:187], -v[2:3]
	s_waitcnt vmcnt(0)
	v_add_f64 v[4:5], v[188:189], -v[24:25]
	buffer_store_dword v3, off, s[0:3], 0 offset:132
	buffer_store_dword v2, off, s[0:3], 0 offset:128
	;; [unrolled: 1-line block ×4, first 2 shown]
	s_and_saveexec_b64 s[6:7], vcc
	s_cbranch_execz .LBB86_137
; %bb.136:
	buffer_load_dword v2, v147, s[0:3], 0 offen
	buffer_load_dword v3, v147, s[0:3], 0 offen offset:4
	buffer_load_dword v4, v147, s[0:3], 0 offen offset:8
	buffer_load_dword v5, v147, s[0:3], 0 offen offset:12
	v_mov_b32_e32 v6, 0
	buffer_store_dword v6, off, s[0:3], 0 offset:112
	buffer_store_dword v6, off, s[0:3], 0 offset:116
	;; [unrolled: 1-line block ×4, first 2 shown]
	s_waitcnt vmcnt(4)
	ds_write_b128 v112, v[2:5]
.LBB86_137:
	s_or_b64 exec, exec, s[6:7]
	s_waitcnt lgkmcnt(0)
	; wave barrier
	s_waitcnt lgkmcnt(0)
	buffer_load_dword v2, off, s[0:3], 0 offset:128
	buffer_load_dword v3, off, s[0:3], 0 offset:132
	;; [unrolled: 1-line block ×64, first 2 shown]
	v_mov_b32_e32 v84, 0
	ds_read_b128 v[76:79], v84 offset:496
	ds_read_b128 v[80:83], v84 offset:512
	ds_read_b128 v[86:89], v84 offset:528
	ds_read_b128 v[90:93], v84 offset:544
	ds_read_b128 v[94:97], v84 offset:560
	ds_read_b128 v[98:101], v84 offset:576
	ds_read_b128 v[162:165], v84 offset:720
	v_cmp_lt_u32_e32 vcc, 6, v153
	s_waitcnt vmcnt(60) lgkmcnt(6)
	v_mul_f64 v[102:103], v[76:77], v[6:7]
	v_fmac_f64_e32 v[102:103], v[78:79], v[2:3]
	v_add_f64 v[102:103], v[102:103], 0
	v_mul_f64 v[6:7], v[78:79], v[6:7]
	s_waitcnt vmcnt(56) lgkmcnt(5)
	v_mul_f64 v[104:105], v[80:81], v[8:9]
	v_fmac_f64_e32 v[104:105], v[82:83], v[4:5]
	s_waitcnt vmcnt(54) lgkmcnt(4)
	v_mul_f64 v[106:107], v[86:87], v[10:11]
	v_add_f64 v[102:103], v[102:103], v[104:105]
	v_fma_f64 v[2:3], v[76:77], v[2:3], -v[6:7]
	v_mul_f64 v[6:7], v[82:83], v[8:9]
	s_waitcnt vmcnt(50) lgkmcnt(3)
	v_mul_f64 v[108:109], v[90:91], v[16:17]
	s_waitcnt vmcnt(49) lgkmcnt(2)
	v_mul_f64 v[114:115], v[94:95], v[12:13]
	v_add_f64 v[2:3], v[2:3], 0
	s_waitcnt vmcnt(47)
	v_fmac_f64_e32 v[106:107], v[88:89], v[20:21]
	v_add_f64 v[102:103], v[102:103], v[106:107]
	s_waitcnt vmcnt(45)
	v_fmac_f64_e32 v[108:109], v[92:93], v[18:19]
	;; [unrolled: 3-line block ×3, first 2 shown]
	v_add_f64 v[106:107], v[102:103], v[114:115]
	ds_read_b128 v[102:105], v84 offset:592
	s_waitcnt vmcnt(40) lgkmcnt(2)
	v_mul_f64 v[108:109], v[98:99], v[26:27]
	v_fma_f64 v[4:5], v[80:81], v[4:5], -v[6:7]
	s_waitcnt vmcnt(38)
	v_fmac_f64_e32 v[108:109], v[100:101], v[28:29]
	v_add_f64 v[114:115], v[106:107], v[108:109]
	ds_read_b128 v[106:109], v84 offset:608
	s_waitcnt vmcnt(36) lgkmcnt(1)
	v_mul_f64 v[116:117], v[102:103], v[22:23]
	v_fmac_f64_e32 v[116:117], v[104:105], v[24:25]
	v_add_f64 v[2:3], v[2:3], v[4:5]
	v_mul_f64 v[4:5], v[88:89], v[10:11]
	v_add_f64 v[118:119], v[114:115], v[116:117]
	ds_read_b128 v[114:117], v84 offset:624
	s_waitcnt vmcnt(32) lgkmcnt(1)
	v_mul_f64 v[120:121], v[106:107], v[166:167]
	v_fma_f64 v[4:5], v[86:87], v[20:21], -v[4:5]
	s_waitcnt vmcnt(30)
	v_fmac_f64_e32 v[120:121], v[108:109], v[168:169]
	v_add_f64 v[2:3], v[2:3], v[4:5]
	v_mul_f64 v[4:5], v[92:93], v[16:17]
	v_add_f64 v[122:123], v[118:119], v[120:121]
	ds_read_b128 v[118:121], v84 offset:640
	v_fma_f64 v[4:5], v[90:91], v[18:19], -v[4:5]
	v_add_f64 v[2:3], v[2:3], v[4:5]
	v_mul_f64 v[4:5], v[96:97], v[12:13]
	v_fma_f64 v[4:5], v[94:95], v[14:15], -v[4:5]
	s_waitcnt vmcnt(28) lgkmcnt(1)
	v_mul_f64 v[124:125], v[114:115], v[110:111]
	v_add_f64 v[2:3], v[2:3], v[4:5]
	v_mul_f64 v[4:5], v[100:101], v[26:27]
	v_fmac_f64_e32 v[124:125], v[116:117], v[130:131]
	v_fma_f64 v[4:5], v[98:99], v[28:29], -v[4:5]
	v_add_f64 v[126:127], v[122:123], v[124:125]
	ds_read_b128 v[122:125], v84 offset:656
	s_waitcnt vmcnt(24) lgkmcnt(1)
	v_mul_f64 v[128:129], v[118:119], v[174:175]
	v_add_f64 v[2:3], v[2:3], v[4:5]
	v_mul_f64 v[4:5], v[104:105], v[22:23]
	s_waitcnt vmcnt(22)
	v_fmac_f64_e32 v[128:129], v[120:121], v[176:177]
	v_fma_f64 v[4:5], v[102:103], v[24:25], -v[4:5]
	v_add_f64 v[154:155], v[126:127], v[128:129]
	ds_read_b128 v[126:129], v84 offset:672
	v_add_f64 v[2:3], v[2:3], v[4:5]
	v_mul_f64 v[4:5], v[108:109], v[166:167]
	v_fma_f64 v[4:5], v[106:107], v[168:169], -v[4:5]
	v_add_f64 v[2:3], v[2:3], v[4:5]
	v_mul_f64 v[4:5], v[116:117], v[110:111]
	s_waitcnt vmcnt(20) lgkmcnt(1)
	v_mul_f64 v[156:157], v[122:123], v[170:171]
	v_fma_f64 v[4:5], v[114:115], v[130:131], -v[4:5]
	v_fmac_f64_e32 v[156:157], v[124:125], v[172:173]
	v_add_f64 v[2:3], v[2:3], v[4:5]
	v_mul_f64 v[4:5], v[120:121], v[174:175]
	v_add_f64 v[158:159], v[154:155], v[156:157]
	ds_read_b128 v[154:157], v84 offset:688
	s_waitcnt vmcnt(16) lgkmcnt(1)
	v_mul_f64 v[160:161], v[126:127], v[182:183]
	v_fma_f64 v[4:5], v[118:119], v[176:177], -v[4:5]
	s_waitcnt vmcnt(14)
	v_fmac_f64_e32 v[160:161], v[128:129], v[184:185]
	v_add_f64 v[2:3], v[2:3], v[4:5]
	v_mul_f64 v[4:5], v[124:125], v[170:171]
	v_add_f64 v[198:199], v[158:159], v[160:161]
	ds_read_b128 v[158:161], v84 offset:704
	v_fma_f64 v[4:5], v[122:123], v[172:173], -v[4:5]
	v_add_f64 v[2:3], v[2:3], v[4:5]
	v_mul_f64 v[4:5], v[128:129], v[182:183]
	v_fma_f64 v[4:5], v[126:127], v[184:185], -v[4:5]
	v_add_f64 v[2:3], v[2:3], v[4:5]
	s_waitcnt vmcnt(12) lgkmcnt(1)
	v_mul_f64 v[4:5], v[156:157], v[178:179]
	v_mul_f64 v[200:201], v[154:155], v[178:179]
	v_fma_f64 v[4:5], v[154:155], v[180:181], -v[4:5]
	v_fmac_f64_e32 v[200:201], v[156:157], v[180:181]
	v_add_f64 v[2:3], v[2:3], v[4:5]
	s_waitcnt vmcnt(8) lgkmcnt(0)
	v_mul_f64 v[4:5], v[160:161], v[190:191]
	v_add_f64 v[198:199], v[198:199], v[200:201]
	v_mul_f64 v[200:201], v[158:159], v[190:191]
	s_waitcnt vmcnt(6)
	v_fma_f64 v[4:5], v[158:159], v[192:193], -v[4:5]
	v_fmac_f64_e32 v[200:201], v[160:161], v[192:193]
	v_add_f64 v[2:3], v[2:3], v[4:5]
	s_waitcnt vmcnt(5)
	v_mul_f64 v[4:5], v[164:165], v[186:187]
	v_add_f64 v[198:199], v[198:199], v[200:201]
	v_mul_f64 v[200:201], v[162:163], v[186:187]
	s_waitcnt vmcnt(4)
	v_fma_f64 v[4:5], v[162:163], v[188:189], -v[4:5]
	v_fmac_f64_e32 v[200:201], v[164:165], v[188:189]
	v_add_f64 v[2:3], v[2:3], v[4:5]
	v_add_f64 v[198:199], v[198:199], v[200:201]
	s_waitcnt vmcnt(2)
	v_add_f64 v[2:3], v[194:195], -v[2:3]
	s_waitcnt vmcnt(0)
	v_add_f64 v[4:5], v[196:197], -v[198:199]
	buffer_store_dword v3, off, s[0:3], 0 offset:116
	buffer_store_dword v2, off, s[0:3], 0 offset:112
	;; [unrolled: 1-line block ×4, first 2 shown]
	s_and_saveexec_b64 s[6:7], vcc
	s_cbranch_execz .LBB86_139
; %bb.138:
	buffer_load_dword v2, v149, s[0:3], 0 offen
	buffer_load_dword v3, v149, s[0:3], 0 offen offset:4
	buffer_load_dword v4, v149, s[0:3], 0 offen offset:8
	;; [unrolled: 1-line block ×3, first 2 shown]
	s_nop 0
	buffer_store_dword v84, off, s[0:3], 0 offset:96
	buffer_store_dword v84, off, s[0:3], 0 offset:100
	;; [unrolled: 1-line block ×4, first 2 shown]
	s_waitcnt vmcnt(4)
	ds_write_b128 v112, v[2:5]
.LBB86_139:
	s_or_b64 exec, exec, s[6:7]
	s_waitcnt lgkmcnt(0)
	; wave barrier
	s_waitcnt lgkmcnt(0)
	buffer_load_dword v2, off, s[0:3], 0 offset:112
	buffer_load_dword v3, off, s[0:3], 0 offset:116
	;; [unrolled: 1-line block ×64, first 2 shown]
	ds_read_b128 v[86:89], v84 offset:480
	ds_read_b128 v[90:93], v84 offset:496
	;; [unrolled: 1-line block ×4, first 2 shown]
	buffer_load_dword v202, off, s[0:3], 0 offset:96
	buffer_load_dword v203, off, s[0:3], 0 offset:100
	;; [unrolled: 1-line block ×4, first 2 shown]
	v_cmp_lt_u32_e32 vcc, 5, v153
	ds_read_b128 v[174:177], v84 offset:720
	s_waitcnt vmcnt(62) lgkmcnt(4)
	v_mul_f64 v[102:103], v[86:87], v[4:5]
	v_fmac_f64_e32 v[102:103], v[88:89], v[2:3]
	s_waitcnt lgkmcnt(3)
	v_mul_f64 v[104:105], v[90:91], v[6:7]
	v_add_f64 v[102:103], v[102:103], 0
	s_waitcnt vmcnt(60) lgkmcnt(2)
	v_mul_f64 v[106:107], v[94:95], v[8:9]
	v_mul_f64 v[4:5], v[88:89], v[4:5]
	v_fma_f64 v[2:3], v[86:87], v[2:3], -v[4:5]
	v_mul_f64 v[4:5], v[92:93], v[6:7]
	s_waitcnt vmcnt(56) lgkmcnt(1)
	v_mul_f64 v[108:109], v[98:99], v[14:15]
	v_add_f64 v[2:3], v[2:3], 0
	s_waitcnt vmcnt(54)
	v_fmac_f64_e32 v[104:105], v[92:93], v[20:21]
	v_add_f64 v[114:115], v[102:103], v[104:105]
	ds_read_b128 v[102:105], v84 offset:544
	s_waitcnt vmcnt(52)
	v_fmac_f64_e32 v[106:107], v[96:97], v[18:19]
	v_add_f64 v[106:107], v[114:115], v[106:107]
	s_waitcnt vmcnt(50)
	v_fmac_f64_e32 v[108:109], v[100:101], v[16:17]
	v_add_f64 v[114:115], v[106:107], v[108:109]
	ds_read_b128 v[106:109], v84 offset:560
	s_waitcnt vmcnt(48) lgkmcnt(1)
	v_mul_f64 v[116:117], v[102:103], v[10:11]
	v_fmac_f64_e32 v[116:117], v[104:105], v[12:13]
	v_add_f64 v[118:119], v[114:115], v[116:117]
	ds_read_b128 v[114:117], v84 offset:576
	s_waitcnt vmcnt(44) lgkmcnt(1)
	v_mul_f64 v[120:121], v[106:107], v[26:27]
	s_waitcnt vmcnt(42)
	v_fmac_f64_e32 v[120:121], v[108:109], v[28:29]
	v_add_f64 v[122:123], v[118:119], v[120:121]
	ds_read_b128 v[118:121], v84 offset:592
	s_waitcnt vmcnt(40) lgkmcnt(1)
	v_mul_f64 v[124:125], v[114:115], v[22:23]
	v_fmac_f64_e32 v[124:125], v[116:117], v[24:25]
	v_add_f64 v[126:127], v[122:123], v[124:125]
	ds_read_b128 v[122:125], v84 offset:608
	v_fma_f64 v[4:5], v[90:91], v[20:21], -v[4:5]
	v_add_f64 v[2:3], v[2:3], v[4:5]
	v_mul_f64 v[4:5], v[96:97], v[8:9]
	s_waitcnt vmcnt(36) lgkmcnt(1)
	v_mul_f64 v[128:129], v[118:119], v[80:81]
	v_fma_f64 v[4:5], v[94:95], v[18:19], -v[4:5]
	s_waitcnt vmcnt(34)
	v_fmac_f64_e32 v[128:129], v[120:121], v[82:83]
	v_add_f64 v[2:3], v[2:3], v[4:5]
	v_mul_f64 v[4:5], v[100:101], v[14:15]
	v_add_f64 v[154:155], v[126:127], v[128:129]
	ds_read_b128 v[126:129], v84 offset:624
	s_waitcnt vmcnt(32) lgkmcnt(1)
	v_mul_f64 v[156:157], v[122:123], v[76:77]
	v_fma_f64 v[4:5], v[98:99], v[16:17], -v[4:5]
	v_fmac_f64_e32 v[156:157], v[124:125], v[78:79]
	v_add_f64 v[2:3], v[2:3], v[4:5]
	v_mul_f64 v[4:5], v[104:105], v[10:11]
	v_add_f64 v[158:159], v[154:155], v[156:157]
	ds_read_b128 v[154:157], v84 offset:640
	v_fma_f64 v[4:5], v[102:103], v[12:13], -v[4:5]
	v_add_f64 v[2:3], v[2:3], v[4:5]
	v_mul_f64 v[4:5], v[108:109], v[26:27]
	v_fma_f64 v[4:5], v[106:107], v[28:29], -v[4:5]
	s_waitcnt vmcnt(28) lgkmcnt(1)
	v_mul_f64 v[160:161], v[126:127], v[178:179]
	v_add_f64 v[2:3], v[2:3], v[4:5]
	v_mul_f64 v[4:5], v[116:117], v[22:23]
	s_waitcnt vmcnt(26)
	v_fmac_f64_e32 v[160:161], v[128:129], v[180:181]
	v_fma_f64 v[4:5], v[114:115], v[24:25], -v[4:5]
	v_add_f64 v[162:163], v[158:159], v[160:161]
	ds_read_b128 v[158:161], v84 offset:656
	s_waitcnt vmcnt(24) lgkmcnt(1)
	v_mul_f64 v[164:165], v[154:155], v[110:111]
	v_add_f64 v[2:3], v[2:3], v[4:5]
	v_mul_f64 v[4:5], v[120:121], v[80:81]
	v_fmac_f64_e32 v[164:165], v[156:157], v[130:131]
	v_fma_f64 v[4:5], v[118:119], v[82:83], -v[4:5]
	v_add_f64 v[166:167], v[162:163], v[164:165]
	ds_read_b128 v[162:165], v84 offset:672
	v_add_f64 v[2:3], v[2:3], v[4:5]
	v_mul_f64 v[4:5], v[124:125], v[76:77]
	v_fma_f64 v[4:5], v[122:123], v[78:79], -v[4:5]
	v_add_f64 v[2:3], v[2:3], v[4:5]
	v_mul_f64 v[4:5], v[128:129], v[178:179]
	s_waitcnt vmcnt(20) lgkmcnt(1)
	v_mul_f64 v[168:169], v[158:159], v[186:187]
	v_fma_f64 v[4:5], v[126:127], v[180:181], -v[4:5]
	s_waitcnt vmcnt(18)
	v_fmac_f64_e32 v[168:169], v[160:161], v[188:189]
	v_add_f64 v[2:3], v[2:3], v[4:5]
	v_mul_f64 v[4:5], v[156:157], v[110:111]
	v_add_f64 v[170:171], v[166:167], v[168:169]
	ds_read_b128 v[166:169], v84 offset:688
	s_waitcnt vmcnt(16) lgkmcnt(1)
	v_mul_f64 v[172:173], v[162:163], v[182:183]
	v_fma_f64 v[4:5], v[154:155], v[130:131], -v[4:5]
	v_fmac_f64_e32 v[172:173], v[164:165], v[184:185]
	v_add_f64 v[2:3], v[2:3], v[4:5]
	v_mul_f64 v[4:5], v[160:161], v[186:187]
	v_add_f64 v[206:207], v[170:171], v[172:173]
	ds_read_b128 v[170:173], v84 offset:704
	v_fma_f64 v[4:5], v[158:159], v[188:189], -v[4:5]
	v_add_f64 v[2:3], v[2:3], v[4:5]
	v_mul_f64 v[4:5], v[164:165], v[182:183]
	v_fma_f64 v[4:5], v[162:163], v[184:185], -v[4:5]
	v_add_f64 v[2:3], v[2:3], v[4:5]
	s_waitcnt vmcnt(12) lgkmcnt(1)
	v_mul_f64 v[4:5], v[168:169], v[194:195]
	v_mul_f64 v[208:209], v[166:167], v[194:195]
	s_waitcnt vmcnt(10)
	v_fma_f64 v[4:5], v[166:167], v[196:197], -v[4:5]
	v_fmac_f64_e32 v[208:209], v[168:169], v[196:197]
	v_add_f64 v[2:3], v[2:3], v[4:5]
	s_waitcnt vmcnt(8) lgkmcnt(0)
	v_mul_f64 v[4:5], v[172:173], v[190:191]
	v_add_f64 v[84:85], v[206:207], v[208:209]
	v_mul_f64 v[206:207], v[170:171], v[190:191]
	v_fma_f64 v[4:5], v[170:171], v[192:193], -v[4:5]
	v_fmac_f64_e32 v[206:207], v[172:173], v[192:193]
	v_add_f64 v[2:3], v[2:3], v[4:5]
	s_waitcnt vmcnt(6)
	v_mul_f64 v[4:5], v[176:177], v[198:199]
	v_add_f64 v[84:85], v[84:85], v[206:207]
	v_mul_f64 v[206:207], v[174:175], v[198:199]
	s_waitcnt vmcnt(4)
	v_fma_f64 v[4:5], v[174:175], v[200:201], -v[4:5]
	v_fmac_f64_e32 v[206:207], v[176:177], v[200:201]
	v_add_f64 v[2:3], v[2:3], v[4:5]
	v_add_f64 v[84:85], v[84:85], v[206:207]
	s_waitcnt vmcnt(2)
	v_add_f64 v[2:3], v[202:203], -v[2:3]
	s_waitcnt vmcnt(0)
	v_add_f64 v[4:5], v[204:205], -v[84:85]
	buffer_store_dword v3, off, s[0:3], 0 offset:100
	buffer_store_dword v2, off, s[0:3], 0 offset:96
	;; [unrolled: 1-line block ×4, first 2 shown]
	s_and_saveexec_b64 s[6:7], vcc
	s_cbranch_execz .LBB86_141
; %bb.140:
	buffer_load_dword v2, v146, s[0:3], 0 offen
	buffer_load_dword v3, v146, s[0:3], 0 offen offset:4
	buffer_load_dword v4, v146, s[0:3], 0 offen offset:8
	;; [unrolled: 1-line block ×3, first 2 shown]
	v_mov_b32_e32 v6, 0
	buffer_store_dword v6, off, s[0:3], 0 offset:80
	buffer_store_dword v6, off, s[0:3], 0 offset:84
	;; [unrolled: 1-line block ×4, first 2 shown]
	s_waitcnt vmcnt(4)
	ds_write_b128 v112, v[2:5]
.LBB86_141:
	s_or_b64 exec, exec, s[6:7]
	s_waitcnt lgkmcnt(0)
	; wave barrier
	s_waitcnt lgkmcnt(0)
	buffer_load_dword v2, off, s[0:3], 0 offset:96
	buffer_load_dword v3, off, s[0:3], 0 offset:100
	;; [unrolled: 1-line block ×68, first 2 shown]
	v_mov_b32_e32 v92, 0
	ds_read_b128 v[88:91], v92 offset:464
	ds_read_b128 v[94:97], v92 offset:480
	buffer_load_dword v210, off, s[0:3], 0 offset:80
	buffer_load_dword v211, off, s[0:3], 0 offset:84
	;; [unrolled: 1-line block ×4, first 2 shown]
	ds_read_b128 v[98:101], v92 offset:496
	ds_read_b128 v[102:105], v92 offset:512
	;; [unrolled: 1-line block ×3, first 2 shown]
	v_cmp_lt_u32_e32 vcc, 4, v153
	s_waitcnt vmcnt(62) lgkmcnt(4)
	v_mul_f64 v[106:107], v[88:89], v[8:9]
	v_fmac_f64_e32 v[106:107], v[90:91], v[2:3]
	v_add_f64 v[106:107], v[106:107], 0
	v_mul_f64 v[8:9], v[90:91], v[8:9]
	s_waitcnt lgkmcnt(3)
	v_mul_f64 v[108:109], v[94:95], v[10:11]
	v_fmac_f64_e32 v[108:109], v[96:97], v[4:5]
	v_add_f64 v[106:107], v[106:107], v[108:109]
	v_fma_f64 v[2:3], v[88:89], v[2:3], -v[8:9]
	s_waitcnt vmcnt(60) lgkmcnt(2)
	v_mul_f64 v[108:109], v[98:99], v[12:13]
	v_fmac_f64_e32 v[108:109], v[100:101], v[6:7]
	v_add_f64 v[114:115], v[106:107], v[108:109]
	ds_read_b128 v[106:109], v92 offset:528
	s_waitcnt vmcnt(56) lgkmcnt(2)
	v_mul_f64 v[116:117], v[102:103], v[18:19]
	v_mul_f64 v[8:9], v[96:97], v[10:11]
	s_waitcnt vmcnt(54)
	v_fmac_f64_e32 v[116:117], v[104:105], v[20:21]
	v_add_f64 v[118:119], v[114:115], v[116:117]
	ds_read_b128 v[114:117], v92 offset:544
	s_waitcnt vmcnt(52) lgkmcnt(1)
	v_mul_f64 v[120:121], v[106:107], v[14:15]
	v_fmac_f64_e32 v[120:121], v[108:109], v[16:17]
	v_add_f64 v[122:123], v[118:119], v[120:121]
	ds_read_b128 v[118:121], v92 offset:560
	s_waitcnt vmcnt(48) lgkmcnt(1)
	v_mul_f64 v[124:125], v[114:115], v[26:27]
	s_waitcnt vmcnt(46)
	v_fmac_f64_e32 v[124:125], v[116:117], v[28:29]
	v_add_f64 v[126:127], v[122:123], v[124:125]
	ds_read_b128 v[122:125], v92 offset:576
	s_waitcnt vmcnt(44) lgkmcnt(1)
	v_mul_f64 v[128:129], v[118:119], v[22:23]
	v_fmac_f64_e32 v[128:129], v[120:121], v[24:25]
	v_add_f64 v[154:155], v[126:127], v[128:129]
	ds_read_b128 v[126:129], v92 offset:592
	s_waitcnt vmcnt(40) lgkmcnt(1)
	v_mul_f64 v[156:157], v[122:123], v[80:81]
	s_waitcnt vmcnt(38)
	v_fmac_f64_e32 v[156:157], v[124:125], v[82:83]
	v_add_f64 v[2:3], v[2:3], 0
	v_fma_f64 v[4:5], v[94:95], v[4:5], -v[8:9]
	v_add_f64 v[158:159], v[154:155], v[156:157]
	ds_read_b128 v[154:157], v92 offset:608
	v_add_f64 v[2:3], v[2:3], v[4:5]
	v_mul_f64 v[4:5], v[100:101], v[12:13]
	v_fma_f64 v[4:5], v[98:99], v[6:7], -v[4:5]
	v_add_f64 v[2:3], v[2:3], v[4:5]
	v_mul_f64 v[4:5], v[104:105], v[18:19]
	s_waitcnt vmcnt(36) lgkmcnt(1)
	v_mul_f64 v[160:161], v[126:127], v[76:77]
	v_fma_f64 v[4:5], v[102:103], v[20:21], -v[4:5]
	v_fmac_f64_e32 v[160:161], v[128:129], v[78:79]
	v_add_f64 v[2:3], v[2:3], v[4:5]
	v_mul_f64 v[4:5], v[108:109], v[14:15]
	v_add_f64 v[162:163], v[158:159], v[160:161]
	ds_read_b128 v[158:161], v92 offset:624
	s_waitcnt vmcnt(32) lgkmcnt(1)
	v_mul_f64 v[164:165], v[154:155], v[110:111]
	v_fma_f64 v[4:5], v[106:107], v[16:17], -v[4:5]
	s_waitcnt vmcnt(30)
	v_fmac_f64_e32 v[164:165], v[156:157], v[130:131]
	v_add_f64 v[2:3], v[2:3], v[4:5]
	v_mul_f64 v[4:5], v[116:117], v[26:27]
	v_add_f64 v[166:167], v[162:163], v[164:165]
	ds_read_b128 v[162:165], v92 offset:640
	v_fma_f64 v[4:5], v[114:115], v[28:29], -v[4:5]
	v_add_f64 v[2:3], v[2:3], v[4:5]
	v_mul_f64 v[4:5], v[120:121], v[22:23]
	v_fma_f64 v[4:5], v[118:119], v[24:25], -v[4:5]
	s_waitcnt vmcnt(28) lgkmcnt(1)
	v_mul_f64 v[168:169], v[158:159], v[84:85]
	v_add_f64 v[2:3], v[2:3], v[4:5]
	v_mul_f64 v[4:5], v[124:125], v[80:81]
	v_fmac_f64_e32 v[168:169], v[160:161], v[86:87]
	v_fma_f64 v[4:5], v[122:123], v[82:83], -v[4:5]
	v_add_f64 v[170:171], v[166:167], v[168:169]
	ds_read_b128 v[166:169], v92 offset:656
	s_waitcnt vmcnt(24) lgkmcnt(1)
	v_mul_f64 v[172:173], v[162:163], v[190:191]
	v_add_f64 v[2:3], v[2:3], v[4:5]
	v_mul_f64 v[4:5], v[128:129], v[76:77]
	s_waitcnt vmcnt(22)
	v_fmac_f64_e32 v[172:173], v[164:165], v[192:193]
	v_fma_f64 v[4:5], v[126:127], v[78:79], -v[4:5]
	v_add_f64 v[174:175], v[170:171], v[172:173]
	ds_read_b128 v[170:173], v92 offset:672
	v_add_f64 v[2:3], v[2:3], v[4:5]
	v_mul_f64 v[4:5], v[156:157], v[110:111]
	v_fma_f64 v[4:5], v[154:155], v[130:131], -v[4:5]
	v_add_f64 v[2:3], v[2:3], v[4:5]
	v_mul_f64 v[4:5], v[160:161], v[84:85]
	s_waitcnt vmcnt(20) lgkmcnt(1)
	v_mul_f64 v[176:177], v[166:167], v[186:187]
	v_fma_f64 v[4:5], v[158:159], v[86:87], -v[4:5]
	v_fmac_f64_e32 v[176:177], v[168:169], v[188:189]
	v_add_f64 v[2:3], v[2:3], v[4:5]
	v_mul_f64 v[4:5], v[164:165], v[190:191]
	v_add_f64 v[178:179], v[174:175], v[176:177]
	ds_read_b128 v[174:177], v92 offset:688
	s_waitcnt vmcnt(16) lgkmcnt(1)
	v_mul_f64 v[180:181], v[170:171], v[198:199]
	v_fma_f64 v[4:5], v[162:163], v[192:193], -v[4:5]
	s_waitcnt vmcnt(14)
	v_fmac_f64_e32 v[180:181], v[172:173], v[200:201]
	v_add_f64 v[2:3], v[2:3], v[4:5]
	v_mul_f64 v[4:5], v[168:169], v[186:187]
	v_add_f64 v[214:215], v[178:179], v[180:181]
	ds_read_b128 v[178:181], v92 offset:704
	v_fma_f64 v[4:5], v[166:167], v[188:189], -v[4:5]
	v_add_f64 v[2:3], v[2:3], v[4:5]
	v_mul_f64 v[4:5], v[172:173], v[198:199]
	v_fma_f64 v[4:5], v[170:171], v[200:201], -v[4:5]
	v_add_f64 v[2:3], v[2:3], v[4:5]
	s_waitcnt vmcnt(12) lgkmcnt(1)
	v_mul_f64 v[4:5], v[176:177], v[194:195]
	v_mul_f64 v[216:217], v[174:175], v[194:195]
	v_fma_f64 v[4:5], v[174:175], v[196:197], -v[4:5]
	v_fmac_f64_e32 v[216:217], v[176:177], v[196:197]
	v_add_f64 v[2:3], v[2:3], v[4:5]
	s_waitcnt vmcnt(8) lgkmcnt(0)
	v_mul_f64 v[4:5], v[180:181], v[206:207]
	v_add_f64 v[214:215], v[214:215], v[216:217]
	v_mul_f64 v[216:217], v[178:179], v[206:207]
	s_waitcnt vmcnt(6)
	v_fma_f64 v[4:5], v[178:179], v[208:209], -v[4:5]
	v_fmac_f64_e32 v[216:217], v[180:181], v[208:209]
	v_add_f64 v[2:3], v[2:3], v[4:5]
	s_waitcnt vmcnt(5)
	v_mul_f64 v[4:5], v[184:185], v[202:203]
	v_add_f64 v[214:215], v[214:215], v[216:217]
	v_mul_f64 v[216:217], v[182:183], v[202:203]
	s_waitcnt vmcnt(4)
	v_fma_f64 v[4:5], v[182:183], v[204:205], -v[4:5]
	v_fmac_f64_e32 v[216:217], v[184:185], v[204:205]
	v_add_f64 v[2:3], v[2:3], v[4:5]
	v_add_f64 v[214:215], v[214:215], v[216:217]
	s_waitcnt vmcnt(2)
	v_add_f64 v[2:3], v[210:211], -v[2:3]
	s_waitcnt vmcnt(0)
	v_add_f64 v[4:5], v[212:213], -v[214:215]
	buffer_store_dword v3, off, s[0:3], 0 offset:84
	buffer_store_dword v2, off, s[0:3], 0 offset:80
	buffer_store_dword v5, off, s[0:3], 0 offset:92
	buffer_store_dword v4, off, s[0:3], 0 offset:88
	s_and_saveexec_b64 s[6:7], vcc
	s_cbranch_execz .LBB86_143
; %bb.142:
	buffer_load_dword v2, v148, s[0:3], 0 offen
	buffer_load_dword v3, v148, s[0:3], 0 offen offset:4
	buffer_load_dword v4, v148, s[0:3], 0 offen offset:8
	;; [unrolled: 1-line block ×3, first 2 shown]
	s_nop 0
	buffer_store_dword v92, off, s[0:3], 0 offset:64
	buffer_store_dword v92, off, s[0:3], 0 offset:68
	;; [unrolled: 1-line block ×4, first 2 shown]
	s_waitcnt vmcnt(4)
	ds_write_b128 v112, v[2:5]
.LBB86_143:
	s_or_b64 exec, exec, s[6:7]
	s_waitcnt lgkmcnt(0)
	; wave barrier
	s_waitcnt lgkmcnt(0)
	buffer_load_dword v2, off, s[0:3], 0 offset:80
	buffer_load_dword v3, off, s[0:3], 0 offset:84
	;; [unrolled: 1-line block ×72, first 2 shown]
	ds_read_b128 v[94:97], v92 offset:448
	buffer_load_dword v218, off, s[0:3], 0 offset:64
	buffer_load_dword v219, off, s[0:3], 0 offset:68
	buffer_load_dword v220, off, s[0:3], 0 offset:72
	buffer_load_dword v221, off, s[0:3], 0 offset:76
	ds_read_b128 v[98:101], v92 offset:464
	ds_read_b128 v[102:105], v92 offset:480
	;; [unrolled: 1-line block ×3, first 2 shown]
	v_cmp_lt_u32_e32 vcc, 3, v153
	ds_read_b128 v[190:193], v92 offset:720
	s_waitcnt vmcnt(62) lgkmcnt(4)
	v_mul_f64 v[114:115], v[94:95], v[8:9]
	v_fmac_f64_e32 v[114:115], v[96:97], v[2:3]
	v_add_f64 v[114:115], v[114:115], 0
	v_mul_f64 v[8:9], v[96:97], v[8:9]
	s_waitcnt lgkmcnt(3)
	v_mul_f64 v[116:117], v[98:99], v[10:11]
	v_fmac_f64_e32 v[116:117], v[100:101], v[4:5]
	v_add_f64 v[114:115], v[114:115], v[116:117]
	v_fma_f64 v[2:3], v[94:95], v[2:3], -v[8:9]
	s_waitcnt lgkmcnt(2)
	v_mul_f64 v[116:117], v[102:103], v[12:13]
	v_fmac_f64_e32 v[116:117], v[104:105], v[6:7]
	v_add_f64 v[118:119], v[114:115], v[116:117]
	ds_read_b128 v[114:117], v92 offset:512
	s_waitcnt vmcnt(60) lgkmcnt(2)
	v_mul_f64 v[120:121], v[106:107], v[18:19]
	v_mul_f64 v[8:9], v[100:101], v[10:11]
	s_waitcnt vmcnt(58)
	v_fmac_f64_e32 v[120:121], v[108:109], v[20:21]
	v_add_f64 v[122:123], v[118:119], v[120:121]
	ds_read_b128 v[118:121], v92 offset:528
	s_waitcnt vmcnt(56) lgkmcnt(1)
	v_mul_f64 v[124:125], v[114:115], v[14:15]
	v_fmac_f64_e32 v[124:125], v[116:117], v[16:17]
	v_add_f64 v[126:127], v[122:123], v[124:125]
	ds_read_b128 v[122:125], v92 offset:544
	s_waitcnt vmcnt(52) lgkmcnt(1)
	v_mul_f64 v[128:129], v[118:119], v[26:27]
	s_waitcnt vmcnt(50)
	v_fmac_f64_e32 v[128:129], v[120:121], v[28:29]
	v_add_f64 v[154:155], v[126:127], v[128:129]
	ds_read_b128 v[126:129], v92 offset:560
	s_waitcnt vmcnt(48) lgkmcnt(1)
	v_mul_f64 v[156:157], v[122:123], v[22:23]
	v_fmac_f64_e32 v[156:157], v[124:125], v[24:25]
	v_add_f64 v[158:159], v[154:155], v[156:157]
	ds_read_b128 v[154:157], v92 offset:576
	s_waitcnt vmcnt(44) lgkmcnt(1)
	v_mul_f64 v[160:161], v[126:127], v[80:81]
	s_waitcnt vmcnt(42)
	v_fmac_f64_e32 v[160:161], v[128:129], v[82:83]
	v_add_f64 v[2:3], v[2:3], 0
	v_fma_f64 v[4:5], v[98:99], v[4:5], -v[8:9]
	v_add_f64 v[162:163], v[158:159], v[160:161]
	ds_read_b128 v[158:161], v92 offset:592
	s_waitcnt vmcnt(40) lgkmcnt(1)
	v_mul_f64 v[164:165], v[154:155], v[76:77]
	v_add_f64 v[2:3], v[2:3], v[4:5]
	v_mul_f64 v[4:5], v[104:105], v[12:13]
	v_fmac_f64_e32 v[164:165], v[156:157], v[78:79]
	v_fma_f64 v[4:5], v[102:103], v[6:7], -v[4:5]
	v_add_f64 v[166:167], v[162:163], v[164:165]
	ds_read_b128 v[162:165], v92 offset:608
	v_add_f64 v[2:3], v[2:3], v[4:5]
	v_mul_f64 v[4:5], v[108:109], v[18:19]
	v_fma_f64 v[4:5], v[106:107], v[20:21], -v[4:5]
	v_add_f64 v[2:3], v[2:3], v[4:5]
	v_mul_f64 v[4:5], v[116:117], v[14:15]
	s_waitcnt vmcnt(36) lgkmcnt(1)
	v_mul_f64 v[168:169], v[158:159], v[88:89]
	v_fma_f64 v[4:5], v[114:115], v[16:17], -v[4:5]
	s_waitcnt vmcnt(34)
	v_fmac_f64_e32 v[168:169], v[160:161], v[90:91]
	v_add_f64 v[2:3], v[2:3], v[4:5]
	v_mul_f64 v[4:5], v[120:121], v[26:27]
	v_add_f64 v[170:171], v[166:167], v[168:169]
	ds_read_b128 v[166:169], v92 offset:624
	s_waitcnt vmcnt(32) lgkmcnt(1)
	v_mul_f64 v[172:173], v[162:163], v[84:85]
	v_fma_f64 v[4:5], v[118:119], v[28:29], -v[4:5]
	v_fmac_f64_e32 v[172:173], v[164:165], v[86:87]
	v_add_f64 v[2:3], v[2:3], v[4:5]
	v_mul_f64 v[4:5], v[124:125], v[22:23]
	v_add_f64 v[174:175], v[170:171], v[172:173]
	ds_read_b128 v[170:173], v92 offset:640
	v_fma_f64 v[4:5], v[122:123], v[24:25], -v[4:5]
	v_add_f64 v[2:3], v[2:3], v[4:5]
	v_mul_f64 v[4:5], v[128:129], v[80:81]
	v_fma_f64 v[4:5], v[126:127], v[82:83], -v[4:5]
	s_waitcnt vmcnt(28) lgkmcnt(1)
	v_mul_f64 v[176:177], v[166:167], v[194:195]
	v_add_f64 v[2:3], v[2:3], v[4:5]
	v_mul_f64 v[4:5], v[156:157], v[76:77]
	s_waitcnt vmcnt(26)
	v_fmac_f64_e32 v[176:177], v[168:169], v[196:197]
	v_fma_f64 v[4:5], v[154:155], v[78:79], -v[4:5]
	v_add_f64 v[178:179], v[174:175], v[176:177]
	ds_read_b128 v[174:177], v92 offset:656
	s_waitcnt vmcnt(24) lgkmcnt(1)
	v_mul_f64 v[180:181], v[170:171], v[110:111]
	v_add_f64 v[2:3], v[2:3], v[4:5]
	v_mul_f64 v[4:5], v[160:161], v[88:89]
	v_fmac_f64_e32 v[180:181], v[172:173], v[130:131]
	v_fma_f64 v[4:5], v[158:159], v[90:91], -v[4:5]
	v_add_f64 v[182:183], v[178:179], v[180:181]
	ds_read_b128 v[178:181], v92 offset:672
	v_add_f64 v[2:3], v[2:3], v[4:5]
	v_mul_f64 v[4:5], v[164:165], v[84:85]
	v_fma_f64 v[4:5], v[162:163], v[86:87], -v[4:5]
	v_add_f64 v[2:3], v[2:3], v[4:5]
	v_mul_f64 v[4:5], v[168:169], v[194:195]
	s_waitcnt vmcnt(20) lgkmcnt(1)
	v_mul_f64 v[184:185], v[174:175], v[202:203]
	v_fma_f64 v[4:5], v[166:167], v[196:197], -v[4:5]
	s_waitcnt vmcnt(18)
	v_fmac_f64_e32 v[184:185], v[176:177], v[204:205]
	v_add_f64 v[2:3], v[2:3], v[4:5]
	v_mul_f64 v[4:5], v[172:173], v[110:111]
	v_add_f64 v[186:187], v[182:183], v[184:185]
	ds_read_b128 v[182:185], v92 offset:688
	s_waitcnt vmcnt(16) lgkmcnt(1)
	v_mul_f64 v[188:189], v[178:179], v[198:199]
	v_fma_f64 v[4:5], v[170:171], v[130:131], -v[4:5]
	v_fmac_f64_e32 v[188:189], v[180:181], v[200:201]
	v_add_f64 v[2:3], v[2:3], v[4:5]
	v_mul_f64 v[4:5], v[176:177], v[202:203]
	v_add_f64 v[222:223], v[186:187], v[188:189]
	ds_read_b128 v[186:189], v92 offset:704
	v_fma_f64 v[4:5], v[174:175], v[204:205], -v[4:5]
	v_add_f64 v[2:3], v[2:3], v[4:5]
	v_mul_f64 v[4:5], v[180:181], v[198:199]
	v_fma_f64 v[4:5], v[178:179], v[200:201], -v[4:5]
	v_add_f64 v[2:3], v[2:3], v[4:5]
	s_waitcnt vmcnt(12) lgkmcnt(1)
	v_mul_f64 v[4:5], v[184:185], v[210:211]
	v_mul_f64 v[224:225], v[182:183], v[210:211]
	s_waitcnt vmcnt(10)
	v_fma_f64 v[4:5], v[182:183], v[212:213], -v[4:5]
	v_fmac_f64_e32 v[224:225], v[184:185], v[212:213]
	v_add_f64 v[2:3], v[2:3], v[4:5]
	s_waitcnt vmcnt(8) lgkmcnt(0)
	v_mul_f64 v[4:5], v[188:189], v[206:207]
	v_add_f64 v[92:93], v[222:223], v[224:225]
	v_mul_f64 v[222:223], v[186:187], v[206:207]
	v_fma_f64 v[4:5], v[186:187], v[208:209], -v[4:5]
	v_fmac_f64_e32 v[222:223], v[188:189], v[208:209]
	v_add_f64 v[2:3], v[2:3], v[4:5]
	s_waitcnt vmcnt(6)
	v_mul_f64 v[4:5], v[192:193], v[214:215]
	v_add_f64 v[92:93], v[92:93], v[222:223]
	v_mul_f64 v[222:223], v[190:191], v[214:215]
	s_waitcnt vmcnt(4)
	v_fma_f64 v[4:5], v[190:191], v[216:217], -v[4:5]
	v_fmac_f64_e32 v[222:223], v[192:193], v[216:217]
	v_add_f64 v[2:3], v[2:3], v[4:5]
	v_add_f64 v[92:93], v[92:93], v[222:223]
	s_waitcnt vmcnt(2)
	v_add_f64 v[2:3], v[218:219], -v[2:3]
	s_waitcnt vmcnt(0)
	v_add_f64 v[4:5], v[220:221], -v[92:93]
	buffer_store_dword v3, off, s[0:3], 0 offset:68
	buffer_store_dword v2, off, s[0:3], 0 offset:64
	;; [unrolled: 1-line block ×4, first 2 shown]
	s_and_saveexec_b64 s[6:7], vcc
	s_cbranch_execz .LBB86_145
; %bb.144:
	buffer_load_dword v2, v151, s[0:3], 0 offen
	buffer_load_dword v3, v151, s[0:3], 0 offen offset:4
	buffer_load_dword v4, v151, s[0:3], 0 offen offset:8
	;; [unrolled: 1-line block ×3, first 2 shown]
	v_mov_b32_e32 v6, 0
	buffer_store_dword v6, off, s[0:3], 0 offset:48
	buffer_store_dword v6, off, s[0:3], 0 offset:52
	;; [unrolled: 1-line block ×4, first 2 shown]
	s_waitcnt vmcnt(4)
	ds_write_b128 v112, v[2:5]
.LBB86_145:
	s_or_b64 exec, exec, s[6:7]
	s_waitcnt lgkmcnt(0)
	; wave barrier
	s_waitcnt lgkmcnt(0)
	buffer_load_dword v2, off, s[0:3], 0 offset:64
	buffer_load_dword v3, off, s[0:3], 0 offset:68
	buffer_load_dword v8, off, s[0:3], 0 offset:72
	buffer_load_dword v9, off, s[0:3], 0 offset:76
	buffer_load_dword v4, off, s[0:3], 0 offset:80
	buffer_load_dword v5, off, s[0:3], 0 offset:84
	buffer_load_dword v10, off, s[0:3], 0 offset:88
	buffer_load_dword v11, off, s[0:3], 0 offset:92
	buffer_load_dword v6, off, s[0:3], 0 offset:96
	buffer_load_dword v7, off, s[0:3], 0 offset:100
	buffer_load_dword v12, off, s[0:3], 0 offset:104
	buffer_load_dword v13, off, s[0:3], 0 offset:108
	buffer_load_dword v14, off, s[0:3], 0 offset:136
	buffer_load_dword v16, off, s[0:3], 0 offset:128
	buffer_load_dword v19, off, s[0:3], 0 offset:124
	buffer_load_dword v18, off, s[0:3], 0 offset:120
	buffer_load_dword v21, off, s[0:3], 0 offset:116
	buffer_load_dword v20, off, s[0:3], 0 offset:112
	buffer_load_dword v17, off, s[0:3], 0 offset:132
	buffer_load_dword v15, off, s[0:3], 0 offset:140
	buffer_load_dword v22, off, s[0:3], 0 offset:168
	buffer_load_dword v24, off, s[0:3], 0 offset:160
	buffer_load_dword v27, off, s[0:3], 0 offset:156
	buffer_load_dword v26, off, s[0:3], 0 offset:152
	buffer_load_dword v29, off, s[0:3], 0 offset:148
	buffer_load_dword v28, off, s[0:3], 0 offset:144
	buffer_load_dword v25, off, s[0:3], 0 offset:164
	buffer_load_dword v23, off, s[0:3], 0 offset:172
	buffer_load_dword v76, off, s[0:3], 0 offset:200
	buffer_load_dword v78, off, s[0:3], 0 offset:192
	buffer_load_dword v81, off, s[0:3], 0 offset:188
	buffer_load_dword v80, off, s[0:3], 0 offset:184
	buffer_load_dword v83, off, s[0:3], 0 offset:180
	buffer_load_dword v82, off, s[0:3], 0 offset:176
	buffer_load_dword v79, off, s[0:3], 0 offset:196
	buffer_load_dword v77, off, s[0:3], 0 offset:204
	buffer_load_dword v84, off, s[0:3], 0 offset:232
	buffer_load_dword v86, off, s[0:3], 0 offset:224
	buffer_load_dword v89, off, s[0:3], 0 offset:220
	buffer_load_dword v88, off, s[0:3], 0 offset:216
	buffer_load_dword v91, off, s[0:3], 0 offset:212
	buffer_load_dword v90, off, s[0:3], 0 offset:208
	buffer_load_dword v87, off, s[0:3], 0 offset:228
	buffer_load_dword v85, off, s[0:3], 0 offset:236
	buffer_load_dword v92, off, s[0:3], 0 offset:264
	buffer_load_dword v94, off, s[0:3], 0 offset:256
	buffer_load_dword v97, off, s[0:3], 0 offset:252
	buffer_load_dword v96, off, s[0:3], 0 offset:248
	buffer_load_dword v99, off, s[0:3], 0 offset:244
	buffer_load_dword v98, off, s[0:3], 0 offset:240
	buffer_load_dword v95, off, s[0:3], 0 offset:260
	buffer_load_dword v93, off, s[0:3], 0 offset:268
	buffer_load_dword v110, off, s[0:3], 0 offset:296
	buffer_load_dword v130, off, s[0:3], 0 offset:288
	buffer_load_dword v207, off, s[0:3], 0 offset:284
	buffer_load_dword v206, off, s[0:3], 0 offset:280
	buffer_load_dword v209, off, s[0:3], 0 offset:276
	buffer_load_dword v208, off, s[0:3], 0 offset:272
	buffer_load_dword v131, off, s[0:3], 0 offset:292
	buffer_load_dword v111, off, s[0:3], 0 offset:300
	buffer_load_dword v210, off, s[0:3], 0 offset:328
	buffer_load_dword v212, off, s[0:3], 0 offset:320
	buffer_load_dword v215, off, s[0:3], 0 offset:316
	buffer_load_dword v214, off, s[0:3], 0 offset:312
	buffer_load_dword v217, off, s[0:3], 0 offset:308
	buffer_load_dword v216, off, s[0:3], 0 offset:304
	buffer_load_dword v213, off, s[0:3], 0 offset:324
	buffer_load_dword v211, off, s[0:3], 0 offset:332
	buffer_load_dword v218, off, s[0:3], 0 offset:360
	buffer_load_dword v220, off, s[0:3], 0 offset:352
	buffer_load_dword v223, off, s[0:3], 0 offset:348
	buffer_load_dword v222, off, s[0:3], 0 offset:344
	buffer_load_dword v225, off, s[0:3], 0 offset:340
	buffer_load_dword v224, off, s[0:3], 0 offset:336
	buffer_load_dword v219, off, s[0:3], 0 offset:364
	buffer_load_dword v221, off, s[0:3], 0 offset:356
	v_mov_b32_e32 v100, 0
	ds_read_b128 v[102:105], v100 offset:432
	buffer_load_dword v226, off, s[0:3], 0 offset:48
	buffer_load_dword v227, off, s[0:3], 0 offset:52
	;; [unrolled: 1-line block ×4, first 2 shown]
	ds_read_b128 v[106:109], v100 offset:448
	ds_read_b128 v[114:117], v100 offset:464
	;; [unrolled: 1-line block ×4, first 2 shown]
	v_cmp_lt_u32_e32 vcc, 2, v153
	s_waitcnt vmcnt(62) lgkmcnt(4)
	v_mul_f64 v[122:123], v[102:103], v[8:9]
	v_fmac_f64_e32 v[122:123], v[104:105], v[2:3]
	v_add_f64 v[122:123], v[122:123], 0
	v_mul_f64 v[8:9], v[104:105], v[8:9]
	s_waitcnt lgkmcnt(3)
	v_mul_f64 v[124:125], v[106:107], v[10:11]
	v_fmac_f64_e32 v[124:125], v[108:109], v[4:5]
	v_add_f64 v[122:123], v[122:123], v[124:125]
	v_fma_f64 v[2:3], v[102:103], v[2:3], -v[8:9]
	s_waitcnt lgkmcnt(2)
	v_mul_f64 v[124:125], v[114:115], v[12:13]
	v_fmac_f64_e32 v[124:125], v[116:117], v[6:7]
	v_add_f64 v[126:127], v[122:123], v[124:125]
	ds_read_b128 v[122:125], v100 offset:496
	s_waitcnt lgkmcnt(2)
	v_mul_f64 v[128:129], v[118:119], v[18:19]
	v_mul_f64 v[8:9], v[108:109], v[10:11]
	v_fmac_f64_e32 v[128:129], v[120:121], v[20:21]
	v_add_f64 v[154:155], v[126:127], v[128:129]
	ds_read_b128 v[126:129], v100 offset:512
	s_waitcnt vmcnt(60) lgkmcnt(1)
	v_mul_f64 v[156:157], v[122:123], v[14:15]
	v_fmac_f64_e32 v[156:157], v[124:125], v[16:17]
	v_add_f64 v[158:159], v[154:155], v[156:157]
	ds_read_b128 v[154:157], v100 offset:528
	s_waitcnt vmcnt(56) lgkmcnt(1)
	v_mul_f64 v[160:161], v[126:127], v[26:27]
	s_waitcnt vmcnt(54)
	v_fmac_f64_e32 v[160:161], v[128:129], v[28:29]
	v_add_f64 v[162:163], v[158:159], v[160:161]
	ds_read_b128 v[158:161], v100 offset:544
	s_waitcnt vmcnt(52) lgkmcnt(1)
	v_mul_f64 v[164:165], v[154:155], v[22:23]
	v_fmac_f64_e32 v[164:165], v[156:157], v[24:25]
	v_add_f64 v[166:167], v[162:163], v[164:165]
	ds_read_b128 v[162:165], v100 offset:560
	s_waitcnt vmcnt(48) lgkmcnt(1)
	v_mul_f64 v[168:169], v[158:159], v[80:81]
	s_waitcnt vmcnt(46)
	v_fmac_f64_e32 v[168:169], v[160:161], v[82:83]
	v_add_f64 v[170:171], v[166:167], v[168:169]
	ds_read_b128 v[166:169], v100 offset:576
	v_add_f64 v[2:3], v[2:3], 0
	v_fma_f64 v[4:5], v[106:107], v[4:5], -v[8:9]
	s_waitcnt vmcnt(44) lgkmcnt(1)
	v_mul_f64 v[172:173], v[162:163], v[76:77]
	v_add_f64 v[2:3], v[2:3], v[4:5]
	v_mul_f64 v[4:5], v[116:117], v[12:13]
	v_fmac_f64_e32 v[172:173], v[164:165], v[78:79]
	v_fma_f64 v[4:5], v[114:115], v[6:7], -v[4:5]
	v_add_f64 v[174:175], v[170:171], v[172:173]
	ds_read_b128 v[170:173], v100 offset:592
	s_waitcnt vmcnt(40) lgkmcnt(1)
	v_mul_f64 v[176:177], v[166:167], v[88:89]
	v_add_f64 v[2:3], v[2:3], v[4:5]
	v_mul_f64 v[4:5], v[120:121], v[18:19]
	s_waitcnt vmcnt(38)
	v_fmac_f64_e32 v[176:177], v[168:169], v[90:91]
	v_fma_f64 v[4:5], v[118:119], v[20:21], -v[4:5]
	v_add_f64 v[178:179], v[174:175], v[176:177]
	ds_read_b128 v[174:177], v100 offset:608
	v_add_f64 v[2:3], v[2:3], v[4:5]
	v_mul_f64 v[4:5], v[124:125], v[14:15]
	v_fma_f64 v[4:5], v[122:123], v[16:17], -v[4:5]
	v_add_f64 v[2:3], v[2:3], v[4:5]
	v_mul_f64 v[4:5], v[128:129], v[26:27]
	s_waitcnt vmcnt(36) lgkmcnt(1)
	v_mul_f64 v[180:181], v[170:171], v[84:85]
	v_fma_f64 v[4:5], v[126:127], v[28:29], -v[4:5]
	v_fmac_f64_e32 v[180:181], v[172:173], v[86:87]
	v_add_f64 v[2:3], v[2:3], v[4:5]
	v_mul_f64 v[4:5], v[156:157], v[22:23]
	v_add_f64 v[182:183], v[178:179], v[180:181]
	ds_read_b128 v[178:181], v100 offset:624
	s_waitcnt vmcnt(32) lgkmcnt(1)
	v_mul_f64 v[184:185], v[174:175], v[96:97]
	v_fma_f64 v[4:5], v[154:155], v[24:25], -v[4:5]
	s_waitcnt vmcnt(30)
	v_fmac_f64_e32 v[184:185], v[176:177], v[98:99]
	v_add_f64 v[2:3], v[2:3], v[4:5]
	v_mul_f64 v[4:5], v[160:161], v[80:81]
	v_add_f64 v[186:187], v[182:183], v[184:185]
	ds_read_b128 v[182:185], v100 offset:640
	v_fma_f64 v[4:5], v[158:159], v[82:83], -v[4:5]
	v_add_f64 v[2:3], v[2:3], v[4:5]
	v_mul_f64 v[4:5], v[164:165], v[76:77]
	v_fma_f64 v[4:5], v[162:163], v[78:79], -v[4:5]
	s_waitcnt vmcnt(28) lgkmcnt(1)
	v_mul_f64 v[188:189], v[178:179], v[92:93]
	v_add_f64 v[2:3], v[2:3], v[4:5]
	v_mul_f64 v[4:5], v[168:169], v[88:89]
	v_fmac_f64_e32 v[188:189], v[180:181], v[94:95]
	v_fma_f64 v[4:5], v[166:167], v[90:91], -v[4:5]
	v_add_f64 v[190:191], v[186:187], v[188:189]
	ds_read_b128 v[186:189], v100 offset:656
	s_waitcnt vmcnt(24) lgkmcnt(1)
	v_mul_f64 v[192:193], v[182:183], v[206:207]
	v_add_f64 v[2:3], v[2:3], v[4:5]
	v_mul_f64 v[4:5], v[172:173], v[84:85]
	s_waitcnt vmcnt(22)
	v_fmac_f64_e32 v[192:193], v[184:185], v[208:209]
	v_fma_f64 v[4:5], v[170:171], v[86:87], -v[4:5]
	v_add_f64 v[194:195], v[190:191], v[192:193]
	ds_read_b128 v[190:193], v100 offset:672
	v_add_f64 v[2:3], v[2:3], v[4:5]
	v_mul_f64 v[4:5], v[176:177], v[96:97]
	v_fma_f64 v[4:5], v[174:175], v[98:99], -v[4:5]
	v_add_f64 v[2:3], v[2:3], v[4:5]
	v_mul_f64 v[4:5], v[180:181], v[92:93]
	s_waitcnt vmcnt(20) lgkmcnt(1)
	v_mul_f64 v[196:197], v[186:187], v[110:111]
	v_fma_f64 v[4:5], v[178:179], v[94:95], -v[4:5]
	v_fmac_f64_e32 v[196:197], v[188:189], v[130:131]
	v_add_f64 v[2:3], v[2:3], v[4:5]
	v_mul_f64 v[4:5], v[184:185], v[206:207]
	v_add_f64 v[198:199], v[194:195], v[196:197]
	ds_read_b128 v[194:197], v100 offset:688
	s_waitcnt vmcnt(16) lgkmcnt(1)
	v_mul_f64 v[200:201], v[190:191], v[214:215]
	v_fma_f64 v[4:5], v[182:183], v[208:209], -v[4:5]
	s_waitcnt vmcnt(14)
	v_fmac_f64_e32 v[200:201], v[192:193], v[216:217]
	v_add_f64 v[2:3], v[2:3], v[4:5]
	v_mul_f64 v[4:5], v[188:189], v[110:111]
	v_add_f64 v[230:231], v[198:199], v[200:201]
	ds_read_b128 v[198:201], v100 offset:704
	v_fma_f64 v[4:5], v[186:187], v[130:131], -v[4:5]
	v_add_f64 v[2:3], v[2:3], v[4:5]
	v_mul_f64 v[4:5], v[192:193], v[214:215]
	v_fma_f64 v[4:5], v[190:191], v[216:217], -v[4:5]
	v_add_f64 v[2:3], v[2:3], v[4:5]
	s_waitcnt vmcnt(12) lgkmcnt(1)
	v_mul_f64 v[4:5], v[196:197], v[210:211]
	v_mul_f64 v[232:233], v[194:195], v[210:211]
	v_fma_f64 v[4:5], v[194:195], v[212:213], -v[4:5]
	v_fmac_f64_e32 v[232:233], v[196:197], v[212:213]
	v_add_f64 v[2:3], v[2:3], v[4:5]
	s_waitcnt vmcnt(8) lgkmcnt(0)
	v_mul_f64 v[4:5], v[200:201], v[222:223]
	v_add_f64 v[230:231], v[230:231], v[232:233]
	v_mul_f64 v[232:233], v[198:199], v[222:223]
	s_waitcnt vmcnt(6)
	v_fma_f64 v[4:5], v[198:199], v[224:225], -v[4:5]
	v_fmac_f64_e32 v[232:233], v[200:201], v[224:225]
	v_add_f64 v[2:3], v[2:3], v[4:5]
	s_waitcnt vmcnt(5)
	v_mul_f64 v[4:5], v[204:205], v[218:219]
	v_add_f64 v[230:231], v[230:231], v[232:233]
	v_mul_f64 v[232:233], v[202:203], v[218:219]
	s_waitcnt vmcnt(4)
	v_fma_f64 v[4:5], v[202:203], v[220:221], -v[4:5]
	v_fmac_f64_e32 v[232:233], v[204:205], v[220:221]
	v_add_f64 v[2:3], v[2:3], v[4:5]
	v_add_f64 v[230:231], v[230:231], v[232:233]
	s_waitcnt vmcnt(2)
	v_add_f64 v[2:3], v[226:227], -v[2:3]
	s_waitcnt vmcnt(0)
	v_add_f64 v[4:5], v[228:229], -v[230:231]
	buffer_store_dword v3, off, s[0:3], 0 offset:52
	buffer_store_dword v2, off, s[0:3], 0 offset:48
	;; [unrolled: 1-line block ×4, first 2 shown]
	s_and_saveexec_b64 s[6:7], vcc
	s_cbranch_execz .LBB86_147
; %bb.146:
	buffer_load_dword v2, v152, s[0:3], 0 offen
	buffer_load_dword v3, v152, s[0:3], 0 offen offset:4
	buffer_load_dword v4, v152, s[0:3], 0 offen offset:8
	;; [unrolled: 1-line block ×3, first 2 shown]
	s_nop 0
	buffer_store_dword v100, off, s[0:3], 0 offset:32
	buffer_store_dword v100, off, s[0:3], 0 offset:36
	buffer_store_dword v100, off, s[0:3], 0 offset:40
	buffer_store_dword v100, off, s[0:3], 0 offset:44
	s_waitcnt vmcnt(4)
	ds_write_b128 v112, v[2:5]
.LBB86_147:
	s_or_b64 exec, exec, s[6:7]
	s_waitcnt lgkmcnt(0)
	; wave barrier
	s_waitcnt lgkmcnt(0)
	buffer_load_dword v2, off, s[0:3], 0 offset:48
	buffer_load_dword v3, off, s[0:3], 0 offset:52
	;; [unrolled: 1-line block ×76, first 2 shown]
	ds_read_b128 v[102:105], v100 offset:416
	buffer_load_dword v231, off, s[0:3], 0 offset:364
	buffer_load_dword v230, off, s[0:3], 0 offset:360
	;; [unrolled: 1-line block ×8, first 2 shown]
	ds_read_b128 v[106:109], v100 offset:432
	ds_read_b128 v[114:117], v100 offset:448
	;; [unrolled: 1-line block ×3, first 2 shown]
	v_cmp_lt_u32_e32 vcc, 1, v153
	ds_read_b128 v[206:209], v100 offset:720
	s_waitcnt vmcnt(62) lgkmcnt(4)
	v_mul_f64 v[122:123], v[102:103], v[8:9]
	v_fmac_f64_e32 v[122:123], v[104:105], v[2:3]
	v_add_f64 v[122:123], v[122:123], 0
	v_mul_f64 v[8:9], v[104:105], v[8:9]
	s_waitcnt lgkmcnt(3)
	v_mul_f64 v[124:125], v[106:107], v[10:11]
	v_fmac_f64_e32 v[124:125], v[108:109], v[4:5]
	v_add_f64 v[122:123], v[122:123], v[124:125]
	v_fma_f64 v[2:3], v[102:103], v[2:3], -v[8:9]
	s_waitcnt lgkmcnt(2)
	v_mul_f64 v[124:125], v[114:115], v[12:13]
	v_fmac_f64_e32 v[124:125], v[116:117], v[6:7]
	v_add_f64 v[126:127], v[122:123], v[124:125]
	ds_read_b128 v[122:125], v100 offset:480
	v_mul_f64 v[8:9], v[108:109], v[10:11]
	v_add_f64 v[2:3], v[2:3], 0
	s_waitcnt lgkmcnt(2)
	v_mul_f64 v[128:129], v[118:119], v[18:19]
	v_fma_f64 v[4:5], v[106:107], v[4:5], -v[8:9]
	v_fmac_f64_e32 v[128:129], v[120:121], v[20:21]
	v_add_f64 v[154:155], v[126:127], v[128:129]
	ds_read_b128 v[126:129], v100 offset:496
	s_waitcnt lgkmcnt(1)
	v_mul_f64 v[156:157], v[122:123], v[14:15]
	v_fmac_f64_e32 v[156:157], v[124:125], v[16:17]
	v_add_f64 v[158:159], v[154:155], v[156:157]
	ds_read_b128 v[154:157], v100 offset:512
	s_waitcnt vmcnt(58) lgkmcnt(1)
	v_mul_f64 v[160:161], v[126:127], v[26:27]
	s_waitcnt vmcnt(56)
	v_fmac_f64_e32 v[160:161], v[128:129], v[28:29]
	v_add_f64 v[162:163], v[158:159], v[160:161]
	ds_read_b128 v[158:161], v100 offset:528
	s_waitcnt lgkmcnt(1)
	v_mul_f64 v[164:165], v[154:155], v[22:23]
	v_fmac_f64_e32 v[164:165], v[156:157], v[24:25]
	v_add_f64 v[166:167], v[162:163], v[164:165]
	ds_read_b128 v[162:165], v100 offset:544
	s_waitcnt vmcnt(50) lgkmcnt(1)
	v_mul_f64 v[168:169], v[158:159], v[80:81]
	s_waitcnt vmcnt(48)
	v_fmac_f64_e32 v[168:169], v[160:161], v[82:83]
	v_add_f64 v[170:171], v[166:167], v[168:169]
	ds_read_b128 v[166:169], v100 offset:560
	s_waitcnt lgkmcnt(1)
	v_mul_f64 v[172:173], v[162:163], v[76:77]
	v_fmac_f64_e32 v[172:173], v[164:165], v[78:79]
	v_add_f64 v[174:175], v[170:171], v[172:173]
	ds_read_b128 v[170:173], v100 offset:576
	v_add_f64 v[2:3], v[2:3], v[4:5]
	v_mul_f64 v[4:5], v[116:117], v[12:13]
	v_fma_f64 v[4:5], v[114:115], v[6:7], -v[4:5]
	s_waitcnt vmcnt(42) lgkmcnt(1)
	v_mul_f64 v[176:177], v[166:167], v[88:89]
	v_add_f64 v[2:3], v[2:3], v[4:5]
	v_mul_f64 v[4:5], v[120:121], v[18:19]
	s_waitcnt vmcnt(40)
	v_fmac_f64_e32 v[176:177], v[168:169], v[90:91]
	v_fma_f64 v[4:5], v[118:119], v[20:21], -v[4:5]
	v_add_f64 v[178:179], v[174:175], v[176:177]
	ds_read_b128 v[174:177], v100 offset:592
	s_waitcnt lgkmcnt(1)
	v_mul_f64 v[180:181], v[170:171], v[84:85]
	v_add_f64 v[2:3], v[2:3], v[4:5]
	v_mul_f64 v[4:5], v[124:125], v[14:15]
	v_fmac_f64_e32 v[180:181], v[172:173], v[86:87]
	v_fma_f64 v[4:5], v[122:123], v[16:17], -v[4:5]
	v_add_f64 v[182:183], v[178:179], v[180:181]
	ds_read_b128 v[178:181], v100 offset:608
	v_add_f64 v[2:3], v[2:3], v[4:5]
	v_mul_f64 v[4:5], v[128:129], v[26:27]
	v_fma_f64 v[4:5], v[126:127], v[28:29], -v[4:5]
	v_add_f64 v[2:3], v[2:3], v[4:5]
	v_mul_f64 v[4:5], v[156:157], v[22:23]
	s_waitcnt vmcnt(34) lgkmcnt(1)
	v_mul_f64 v[184:185], v[174:175], v[96:97]
	v_fma_f64 v[4:5], v[154:155], v[24:25], -v[4:5]
	s_waitcnt vmcnt(32)
	v_fmac_f64_e32 v[184:185], v[176:177], v[98:99]
	v_add_f64 v[2:3], v[2:3], v[4:5]
	v_mul_f64 v[4:5], v[160:161], v[80:81]
	v_add_f64 v[186:187], v[182:183], v[184:185]
	ds_read_b128 v[182:185], v100 offset:624
	s_waitcnt lgkmcnt(1)
	v_mul_f64 v[188:189], v[178:179], v[92:93]
	v_fma_f64 v[4:5], v[158:159], v[82:83], -v[4:5]
	v_fmac_f64_e32 v[188:189], v[180:181], v[94:95]
	v_add_f64 v[2:3], v[2:3], v[4:5]
	v_mul_f64 v[4:5], v[164:165], v[76:77]
	v_add_f64 v[190:191], v[186:187], v[188:189]
	ds_read_b128 v[186:189], v100 offset:640
	v_fma_f64 v[4:5], v[162:163], v[78:79], -v[4:5]
	v_add_f64 v[2:3], v[2:3], v[4:5]
	v_mul_f64 v[4:5], v[168:169], v[88:89]
	v_fma_f64 v[4:5], v[166:167], v[90:91], -v[4:5]
	s_waitcnt vmcnt(26) lgkmcnt(1)
	v_mul_f64 v[192:193], v[182:183], v[210:211]
	v_add_f64 v[2:3], v[2:3], v[4:5]
	v_mul_f64 v[4:5], v[172:173], v[84:85]
	s_waitcnt vmcnt(24)
	v_fmac_f64_e32 v[192:193], v[184:185], v[212:213]
	v_fma_f64 v[4:5], v[170:171], v[86:87], -v[4:5]
	v_add_f64 v[194:195], v[190:191], v[192:193]
	ds_read_b128 v[190:193], v100 offset:656
	s_waitcnt lgkmcnt(1)
	v_mul_f64 v[196:197], v[186:187], v[110:111]
	v_add_f64 v[2:3], v[2:3], v[4:5]
	v_mul_f64 v[4:5], v[176:177], v[96:97]
	v_fmac_f64_e32 v[196:197], v[188:189], v[130:131]
	v_fma_f64 v[4:5], v[174:175], v[98:99], -v[4:5]
	v_add_f64 v[198:199], v[194:195], v[196:197]
	ds_read_b128 v[194:197], v100 offset:672
	v_add_f64 v[2:3], v[2:3], v[4:5]
	v_mul_f64 v[4:5], v[180:181], v[92:93]
	v_fma_f64 v[4:5], v[178:179], v[94:95], -v[4:5]
	v_add_f64 v[2:3], v[2:3], v[4:5]
	v_mul_f64 v[4:5], v[184:185], v[210:211]
	s_waitcnt vmcnt(18) lgkmcnt(1)
	v_mul_f64 v[200:201], v[190:191], v[218:219]
	v_fma_f64 v[4:5], v[182:183], v[212:213], -v[4:5]
	s_waitcnt vmcnt(16)
	v_fmac_f64_e32 v[200:201], v[192:193], v[220:221]
	v_add_f64 v[2:3], v[2:3], v[4:5]
	v_mul_f64 v[4:5], v[188:189], v[110:111]
	v_add_f64 v[202:203], v[198:199], v[200:201]
	ds_read_b128 v[198:201], v100 offset:688
	s_waitcnt lgkmcnt(1)
	v_mul_f64 v[204:205], v[194:195], v[214:215]
	v_fma_f64 v[4:5], v[186:187], v[130:131], -v[4:5]
	v_fmac_f64_e32 v[204:205], v[196:197], v[216:217]
	v_add_f64 v[2:3], v[2:3], v[4:5]
	v_mul_f64 v[4:5], v[192:193], v[218:219]
	v_add_f64 v[238:239], v[202:203], v[204:205]
	ds_read_b128 v[202:205], v100 offset:704
	v_fma_f64 v[4:5], v[190:191], v[220:221], -v[4:5]
	v_add_f64 v[2:3], v[2:3], v[4:5]
	v_mul_f64 v[4:5], v[196:197], v[214:215]
	v_fma_f64 v[4:5], v[194:195], v[216:217], -v[4:5]
	v_add_f64 v[2:3], v[2:3], v[4:5]
	s_waitcnt vmcnt(10) lgkmcnt(1)
	v_mul_f64 v[4:5], v[200:201], v[226:227]
	v_mul_f64 v[240:241], v[198:199], v[226:227]
	s_waitcnt vmcnt(8)
	v_fma_f64 v[4:5], v[198:199], v[228:229], -v[4:5]
	v_fmac_f64_e32 v[240:241], v[200:201], v[228:229]
	v_add_f64 v[2:3], v[2:3], v[4:5]
	s_waitcnt lgkmcnt(0)
	v_mul_f64 v[4:5], v[204:205], v[222:223]
	v_add_f64 v[100:101], v[238:239], v[240:241]
	v_mul_f64 v[238:239], v[202:203], v[222:223]
	v_fma_f64 v[4:5], v[202:203], v[224:225], -v[4:5]
	v_fmac_f64_e32 v[238:239], v[204:205], v[224:225]
	v_add_f64 v[2:3], v[2:3], v[4:5]
	s_waitcnt vmcnt(6)
	v_mul_f64 v[4:5], v[208:209], v[230:231]
	v_add_f64 v[100:101], v[100:101], v[238:239]
	v_mul_f64 v[238:239], v[206:207], v[230:231]
	s_waitcnt vmcnt(4)
	v_fma_f64 v[4:5], v[206:207], v[232:233], -v[4:5]
	v_fmac_f64_e32 v[238:239], v[208:209], v[232:233]
	v_add_f64 v[2:3], v[2:3], v[4:5]
	v_add_f64 v[100:101], v[100:101], v[238:239]
	s_waitcnt vmcnt(2)
	v_add_f64 v[2:3], v[234:235], -v[2:3]
	s_waitcnt vmcnt(0)
	v_add_f64 v[4:5], v[236:237], -v[100:101]
	buffer_store_dword v3, off, s[0:3], 0 offset:36
	buffer_store_dword v2, off, s[0:3], 0 offset:32
	;; [unrolled: 1-line block ×4, first 2 shown]
	s_and_saveexec_b64 s[6:7], vcc
	s_cbranch_execz .LBB86_149
; %bb.148:
	buffer_load_dword v2, v150, s[0:3], 0 offen
	buffer_load_dword v3, v150, s[0:3], 0 offen offset:4
	buffer_load_dword v4, v150, s[0:3], 0 offen offset:8
	;; [unrolled: 1-line block ×3, first 2 shown]
	v_mov_b32_e32 v6, 0
	buffer_store_dword v6, off, s[0:3], 0 offset:16
	buffer_store_dword v6, off, s[0:3], 0 offset:20
	;; [unrolled: 1-line block ×4, first 2 shown]
	s_waitcnt vmcnt(4)
	ds_write_b128 v112, v[2:5]
.LBB86_149:
	s_or_b64 exec, exec, s[6:7]
	s_waitcnt lgkmcnt(0)
	; wave barrier
	s_waitcnt lgkmcnt(0)
	buffer_load_dword v4, off, s[0:3], 0 offset:16
	buffer_load_dword v5, off, s[0:3], 0 offset:20
	;; [unrolled: 1-line block ×88, first 2 shown]
	v_mov_b32_e32 v154, 0
	ds_read_b128 v[114:117], v154 offset:400
	ds_read_b128 v[118:121], v154 offset:416
	;; [unrolled: 1-line block ×5, first 2 shown]
	v_cmp_ne_u32_e32 vcc, 0, v153
	s_waitcnt vmcnt(62) lgkmcnt(3)
	v_mul_f64 v[158:159], v[118:119], v[14:15]
	v_mul_f64 v[156:157], v[114:115], v[12:13]
	v_fmac_f64_e32 v[156:157], v[116:117], v[6:7]
	v_add_f64 v[156:157], v[156:157], 0
	v_fmac_f64_e32 v[158:159], v[120:121], v[8:9]
	v_add_f64 v[156:157], v[156:157], v[158:159]
	s_waitcnt lgkmcnt(2)
	v_mul_f64 v[158:159], v[122:123], v[16:17]
	v_fmac_f64_e32 v[158:159], v[124:125], v[10:11]
	v_add_f64 v[160:161], v[156:157], v[158:159]
	ds_read_b128 v[156:159], v154 offset:464
	s_waitcnt lgkmcnt(2)
	v_mul_f64 v[162:163], v[126:127], v[22:23]
	v_fmac_f64_e32 v[162:163], v[128:129], v[24:25]
	v_add_f64 v[164:165], v[160:161], v[162:163]
	ds_read_b128 v[160:163], v154 offset:480
	;; [unrolled: 5-line block ×3, first 2 shown]
	s_waitcnt vmcnt(58) lgkmcnt(1)
	v_mul_f64 v[170:171], v[160:161], v[76:77]
	s_waitcnt vmcnt(56)
	v_fmac_f64_e32 v[170:171], v[162:163], v[78:79]
	v_add_f64 v[172:173], v[168:169], v[170:171]
	ds_read_b128 v[168:171], v154 offset:512
	s_waitcnt lgkmcnt(1)
	v_mul_f64 v[174:175], v[164:165], v[26:27]
	v_fmac_f64_e32 v[174:175], v[166:167], v[28:29]
	v_add_f64 v[176:177], v[172:173], v[174:175]
	ds_read_b128 v[172:175], v154 offset:528
	s_waitcnt vmcnt(50) lgkmcnt(1)
	v_mul_f64 v[178:179], v[168:169], v[84:85]
	s_waitcnt vmcnt(48)
	v_fmac_f64_e32 v[178:179], v[170:171], v[86:87]
	v_add_f64 v[180:181], v[176:177], v[178:179]
	ds_read_b128 v[176:179], v154 offset:544
	s_waitcnt lgkmcnt(1)
	v_mul_f64 v[182:183], v[172:173], v[80:81]
	v_mul_f64 v[12:13], v[116:117], v[12:13]
	v_fmac_f64_e32 v[182:183], v[174:175], v[82:83]
	v_fma_f64 v[6:7], v[114:115], v[6:7], -v[12:13]
	v_mul_f64 v[12:13], v[120:121], v[14:15]
	v_add_f64 v[184:185], v[180:181], v[182:183]
	ds_read_b128 v[180:183], v154 offset:560
	s_waitcnt vmcnt(42) lgkmcnt(1)
	v_mul_f64 v[186:187], v[176:177], v[92:93]
	v_add_f64 v[6:7], v[6:7], 0
	v_fma_f64 v[8:9], v[118:119], v[8:9], -v[12:13]
	s_waitcnt vmcnt(40)
	v_fmac_f64_e32 v[186:187], v[178:179], v[94:95]
	v_add_f64 v[6:7], v[6:7], v[8:9]
	v_mul_f64 v[8:9], v[124:125], v[16:17]
	v_add_f64 v[188:189], v[184:185], v[186:187]
	ds_read_b128 v[184:187], v154 offset:576
	v_fma_f64 v[8:9], v[122:123], v[10:11], -v[8:9]
	v_add_f64 v[6:7], v[6:7], v[8:9]
	v_mul_f64 v[8:9], v[128:129], v[22:23]
	v_fma_f64 v[8:9], v[126:127], v[24:25], -v[8:9]
	s_waitcnt lgkmcnt(1)
	v_mul_f64 v[190:191], v[180:181], v[88:89]
	v_add_f64 v[6:7], v[6:7], v[8:9]
	v_mul_f64 v[8:9], v[158:159], v[18:19]
	v_fmac_f64_e32 v[190:191], v[182:183], v[90:91]
	v_fma_f64 v[8:9], v[156:157], v[20:21], -v[8:9]
	v_add_f64 v[192:193], v[188:189], v[190:191]
	ds_read_b128 v[188:191], v154 offset:592
	s_waitcnt vmcnt(34) lgkmcnt(1)
	v_mul_f64 v[194:195], v[184:185], v[100:101]
	v_add_f64 v[6:7], v[6:7], v[8:9]
	v_mul_f64 v[8:9], v[162:163], v[76:77]
	s_waitcnt vmcnt(32)
	v_fmac_f64_e32 v[194:195], v[186:187], v[102:103]
	v_fma_f64 v[8:9], v[160:161], v[78:79], -v[8:9]
	v_add_f64 v[196:197], v[192:193], v[194:195]
	ds_read_b128 v[192:195], v154 offset:608
	v_add_f64 v[6:7], v[6:7], v[8:9]
	v_mul_f64 v[8:9], v[166:167], v[26:27]
	v_fma_f64 v[8:9], v[164:165], v[28:29], -v[8:9]
	v_add_f64 v[6:7], v[6:7], v[8:9]
	v_mul_f64 v[8:9], v[170:171], v[84:85]
	s_waitcnt lgkmcnt(1)
	v_mul_f64 v[198:199], v[188:189], v[96:97]
	v_fma_f64 v[8:9], v[168:169], v[86:87], -v[8:9]
	v_fmac_f64_e32 v[198:199], v[190:191], v[98:99]
	v_add_f64 v[6:7], v[6:7], v[8:9]
	v_mul_f64 v[8:9], v[174:175], v[80:81]
	v_add_f64 v[200:201], v[196:197], v[198:199]
	ds_read_b128 v[196:199], v154 offset:624
	s_waitcnt vmcnt(26) lgkmcnt(1)
	v_mul_f64 v[202:203], v[192:193], v[108:109]
	v_fma_f64 v[8:9], v[172:173], v[82:83], -v[8:9]
	s_waitcnt vmcnt(24)
	v_fmac_f64_e32 v[202:203], v[194:195], v[110:111]
	v_add_f64 v[6:7], v[6:7], v[8:9]
	v_mul_f64 v[8:9], v[178:179], v[92:93]
	v_add_f64 v[204:205], v[200:201], v[202:203]
	ds_read_b128 v[200:203], v154 offset:640
	v_fma_f64 v[8:9], v[176:177], v[94:95], -v[8:9]
	v_add_f64 v[6:7], v[6:7], v[8:9]
	v_mul_f64 v[8:9], v[182:183], v[88:89]
	v_fma_f64 v[8:9], v[180:181], v[90:91], -v[8:9]
	s_waitcnt lgkmcnt(1)
	v_mul_f64 v[206:207], v[196:197], v[104:105]
	v_add_f64 v[6:7], v[6:7], v[8:9]
	v_mul_f64 v[8:9], v[186:187], v[100:101]
	v_fmac_f64_e32 v[206:207], v[198:199], v[106:107]
	v_fma_f64 v[8:9], v[184:185], v[102:103], -v[8:9]
	v_add_f64 v[208:209], v[204:205], v[206:207]
	ds_read_b128 v[204:207], v154 offset:656
	s_waitcnt vmcnt(18) lgkmcnt(1)
	v_mul_f64 v[210:211], v[200:201], v[226:227]
	v_add_f64 v[6:7], v[6:7], v[8:9]
	v_mul_f64 v[8:9], v[190:191], v[96:97]
	s_waitcnt vmcnt(16)
	v_fmac_f64_e32 v[210:211], v[202:203], v[228:229]
	v_fma_f64 v[8:9], v[188:189], v[98:99], -v[8:9]
	v_add_f64 v[212:213], v[208:209], v[210:211]
	ds_read_b128 v[208:211], v154 offset:672
	v_add_f64 v[6:7], v[6:7], v[8:9]
	v_mul_f64 v[8:9], v[194:195], v[108:109]
	v_fma_f64 v[8:9], v[192:193], v[110:111], -v[8:9]
	v_add_f64 v[6:7], v[6:7], v[8:9]
	v_mul_f64 v[8:9], v[198:199], v[104:105]
	s_waitcnt lgkmcnt(1)
	v_mul_f64 v[214:215], v[204:205], v[130:131]
	v_fma_f64 v[8:9], v[196:197], v[106:107], -v[8:9]
	v_fmac_f64_e32 v[214:215], v[206:207], v[224:225]
	v_add_f64 v[6:7], v[6:7], v[8:9]
	v_mul_f64 v[8:9], v[202:203], v[226:227]
	v_add_f64 v[216:217], v[212:213], v[214:215]
	ds_read_b128 v[212:215], v154 offset:688
	s_waitcnt vmcnt(10) lgkmcnt(1)
	v_mul_f64 v[218:219], v[208:209], v[234:235]
	v_fma_f64 v[8:9], v[200:201], v[228:229], -v[8:9]
	s_waitcnt vmcnt(8)
	v_fmac_f64_e32 v[218:219], v[210:211], v[236:237]
	v_add_f64 v[6:7], v[6:7], v[8:9]
	v_mul_f64 v[8:9], v[206:207], v[130:131]
	v_add_f64 v[246:247], v[216:217], v[218:219]
	ds_read_b128 v[216:219], v154 offset:704
	v_fma_f64 v[8:9], v[204:205], v[224:225], -v[8:9]
	v_add_f64 v[6:7], v[6:7], v[8:9]
	v_mul_f64 v[8:9], v[210:211], v[234:235]
	v_fma_f64 v[8:9], v[208:209], v[236:237], -v[8:9]
	v_add_f64 v[6:7], v[6:7], v[8:9]
	s_waitcnt lgkmcnt(1)
	v_mul_f64 v[8:9], v[214:215], v[230:231]
	v_mul_f64 v[248:249], v[212:213], v[230:231]
	v_fma_f64 v[8:9], v[212:213], v[232:233], -v[8:9]
	v_fmac_f64_e32 v[248:249], v[214:215], v[232:233]
	v_add_f64 v[6:7], v[6:7], v[8:9]
	s_waitcnt vmcnt(3) lgkmcnt(0)
	v_mul_f64 v[8:9], v[218:219], v[242:243]
	v_add_f64 v[246:247], v[246:247], v[248:249]
	v_mul_f64 v[248:249], v[216:217], v[242:243]
	s_waitcnt vmcnt(1)
	v_fma_f64 v[8:9], v[216:217], v[244:245], -v[8:9]
	v_fmac_f64_e32 v[248:249], v[218:219], v[244:245]
	v_add_f64 v[6:7], v[6:7], v[8:9]
	s_waitcnt vmcnt(0)
	v_mul_f64 v[8:9], v[222:223], v[238:239]
	v_add_f64 v[246:247], v[246:247], v[248:249]
	v_mul_f64 v[248:249], v[220:221], v[238:239]
	v_fma_f64 v[8:9], v[220:221], v[240:241], -v[8:9]
	v_fmac_f64_e32 v[248:249], v[222:223], v[240:241]
	v_add_f64 v[6:7], v[6:7], v[8:9]
	v_add_f64 v[246:247], v[246:247], v[248:249]
	v_add_f64 v[4:5], v[4:5], -v[6:7]
	v_add_f64 v[2:3], v[2:3], -v[246:247]
	buffer_store_dword v5, off, s[0:3], 0 offset:20
	buffer_store_dword v4, off, s[0:3], 0 offset:16
	buffer_store_dword v3, off, s[0:3], 0 offset:28
	buffer_store_dword v2, off, s[0:3], 0 offset:24
	s_and_saveexec_b64 s[6:7], vcc
	s_cbranch_execz .LBB86_151
; %bb.150:
	buffer_load_dword v2, off, s[0:3], 0
	buffer_load_dword v3, off, s[0:3], 0 offset:4
	buffer_load_dword v4, off, s[0:3], 0 offset:8
	;; [unrolled: 1-line block ×3, first 2 shown]
	s_nop 0
	buffer_store_dword v154, off, s[0:3], 0
	buffer_store_dword v154, off, s[0:3], 0 offset:4
	buffer_store_dword v154, off, s[0:3], 0 offset:8
	;; [unrolled: 1-line block ×3, first 2 shown]
	s_waitcnt vmcnt(4)
	ds_write_b128 v112, v[2:5]
.LBB86_151:
	s_or_b64 exec, exec, s[6:7]
	s_waitcnt lgkmcnt(0)
	; wave barrier
	s_waitcnt lgkmcnt(0)
	ds_read_b128 v[14:17], v154 offset:384
	ds_read_b128 v[10:13], v154 offset:400
	;; [unrolled: 1-line block ×4, first 2 shown]
	buffer_load_dword v20, off, s[0:3], 0
	buffer_load_dword v21, off, s[0:3], 0 offset:4
	buffer_load_dword v18, off, s[0:3], 0 offset:8
	buffer_load_dword v19, off, s[0:3], 0 offset:12
	buffer_load_dword v22, off, s[0:3], 0 offset:16
	buffer_load_dword v23, off, s[0:3], 0 offset:20
	buffer_load_dword v28, off, s[0:3], 0 offset:24
	buffer_load_dword v29, off, s[0:3], 0 offset:28
	buffer_load_dword v24, off, s[0:3], 0 offset:32
	buffer_load_dword v25, off, s[0:3], 0 offset:36
	buffer_load_dword v76, off, s[0:3], 0 offset:40
	buffer_load_dword v77, off, s[0:3], 0 offset:44
	buffer_load_dword v26, off, s[0:3], 0 offset:48
	buffer_load_dword v27, off, s[0:3], 0 offset:52
	buffer_load_dword v78, off, s[0:3], 0 offset:56
	buffer_load_dword v79, off, s[0:3], 0 offset:60
	buffer_load_dword v81, off, s[0:3], 0 offset:92
	buffer_load_dword v80, off, s[0:3], 0 offset:88
	buffer_load_dword v83, off, s[0:3], 0 offset:84
	buffer_load_dword v82, off, s[0:3], 0 offset:80
	buffer_load_dword v85, off, s[0:3], 0 offset:76
	buffer_load_dword v84, off, s[0:3], 0 offset:72
	buffer_load_dword v87, off, s[0:3], 0 offset:68
	buffer_load_dword v86, off, s[0:3], 0 offset:64
	buffer_load_dword v89, off, s[0:3], 0 offset:124
	buffer_load_dword v88, off, s[0:3], 0 offset:120
	buffer_load_dword v91, off, s[0:3], 0 offset:116
	buffer_load_dword v90, off, s[0:3], 0 offset:112
	buffer_load_dword v93, off, s[0:3], 0 offset:108
	buffer_load_dword v92, off, s[0:3], 0 offset:104
	buffer_load_dword v95, off, s[0:3], 0 offset:100
	buffer_load_dword v94, off, s[0:3], 0 offset:96
	buffer_load_dword v97, off, s[0:3], 0 offset:156
	buffer_load_dword v96, off, s[0:3], 0 offset:152
	buffer_load_dword v99, off, s[0:3], 0 offset:148
	buffer_load_dword v98, off, s[0:3], 0 offset:144
	buffer_load_dword v101, off, s[0:3], 0 offset:140
	buffer_load_dword v100, off, s[0:3], 0 offset:136
	buffer_load_dword v103, off, s[0:3], 0 offset:132
	buffer_load_dword v102, off, s[0:3], 0 offset:128
	buffer_load_dword v105, off, s[0:3], 0 offset:188
	buffer_load_dword v104, off, s[0:3], 0 offset:184
	buffer_load_dword v107, off, s[0:3], 0 offset:180
	buffer_load_dword v106, off, s[0:3], 0 offset:176
	buffer_load_dword v109, off, s[0:3], 0 offset:172
	buffer_load_dword v108, off, s[0:3], 0 offset:168
	buffer_load_dword v111, off, s[0:3], 0 offset:164
	buffer_load_dword v110, off, s[0:3], 0 offset:160
	buffer_load_dword v113, off, s[0:3], 0 offset:220
	buffer_load_dword v112, off, s[0:3], 0 offset:216
	buffer_load_dword v115, off, s[0:3], 0 offset:212
	buffer_load_dword v114, off, s[0:3], 0 offset:208
	buffer_load_dword v117, off, s[0:3], 0 offset:204
	buffer_load_dword v116, off, s[0:3], 0 offset:200
	buffer_load_dword v119, off, s[0:3], 0 offset:196
	buffer_load_dword v118, off, s[0:3], 0 offset:192
	buffer_load_dword v121, off, s[0:3], 0 offset:252
	buffer_load_dword v120, off, s[0:3], 0 offset:248
	buffer_load_dword v123, off, s[0:3], 0 offset:244
	buffer_load_dword v122, off, s[0:3], 0 offset:240
	buffer_load_dword v125, off, s[0:3], 0 offset:236
	buffer_load_dword v124, off, s[0:3], 0 offset:232
	buffer_load_dword v127, off, s[0:3], 0 offset:228
	buffer_load_dword v126, off, s[0:3], 0 offset:224
	buffer_load_dword v129, off, s[0:3], 0 offset:284
	buffer_load_dword v128, off, s[0:3], 0 offset:280
	buffer_load_dword v131, off, s[0:3], 0 offset:276
	buffer_load_dword v130, off, s[0:3], 0 offset:272
	buffer_load_dword v229, off, s[0:3], 0 offset:268
	buffer_load_dword v228, off, s[0:3], 0 offset:264
	buffer_load_dword v231, off, s[0:3], 0 offset:260
	buffer_load_dword v230, off, s[0:3], 0 offset:256
	buffer_load_dword v233, off, s[0:3], 0 offset:316
	buffer_load_dword v232, off, s[0:3], 0 offset:312
	buffer_load_dword v235, off, s[0:3], 0 offset:308
	buffer_load_dword v234, off, s[0:3], 0 offset:304
	buffer_load_dword v237, off, s[0:3], 0 offset:300
	buffer_load_dword v236, off, s[0:3], 0 offset:296
	buffer_load_dword v239, off, s[0:3], 0 offset:292
	buffer_load_dword v238, off, s[0:3], 0 offset:288
	buffer_load_dword v241, off, s[0:3], 0 offset:348
	buffer_load_dword v240, off, s[0:3], 0 offset:344
	buffer_load_dword v243, off, s[0:3], 0 offset:340
	buffer_load_dword v242, off, s[0:3], 0 offset:336
	buffer_load_dword v245, off, s[0:3], 0 offset:332
	buffer_load_dword v244, off, s[0:3], 0 offset:328
	buffer_load_dword v247, off, s[0:3], 0 offset:324
	buffer_load_dword v246, off, s[0:3], 0 offset:320
	buffer_load_dword v249, off, s[0:3], 0 offset:364
	buffer_load_dword v248, off, s[0:3], 0 offset:360
	buffer_load_dword v251, off, s[0:3], 0 offset:356
	buffer_load_dword v250, off, s[0:3], 0 offset:352
	s_waitcnt vmcnt(62) lgkmcnt(3)
	v_mul_f64 v[156:157], v[14:15], v[28:29]
	v_fmac_f64_e32 v[156:157], v[16:17], v[22:23]
	s_waitcnt lgkmcnt(2)
	v_mul_f64 v[158:159], v[10:11], v[76:77]
	v_add_f64 v[156:157], v[156:157], 0
	v_fmac_f64_e32 v[158:159], v[12:13], v[24:25]
	v_add_f64 v[156:157], v[156:157], v[158:159]
	s_waitcnt lgkmcnt(1)
	v_mul_f64 v[158:159], v[6:7], v[78:79]
	v_fmac_f64_e32 v[158:159], v[8:9], v[26:27]
	v_add_f64 v[160:161], v[156:157], v[158:159]
	ds_read_b128 v[156:159], v154 offset:448
	v_mul_f64 v[16:17], v[16:17], v[28:29]
	v_fma_f64 v[14:15], v[14:15], v[22:23], -v[16:17]
	s_waitcnt lgkmcnt(1)
	v_mul_f64 v[162:163], v[2:3], v[84:85]
	v_mul_f64 v[12:13], v[12:13], v[76:77]
	v_fmac_f64_e32 v[162:163], v[4:5], v[86:87]
	v_add_f64 v[164:165], v[160:161], v[162:163]
	ds_read_b128 v[160:163], v154 offset:464
	s_waitcnt lgkmcnt(1)
	v_mul_f64 v[166:167], v[156:157], v[80:81]
	v_fmac_f64_e32 v[166:167], v[158:159], v[82:83]
	v_add_f64 v[168:169], v[164:165], v[166:167]
	ds_read_b128 v[164:167], v154 offset:480
	s_waitcnt lgkmcnt(1)
	v_mul_f64 v[170:171], v[160:161], v[92:93]
	s_waitcnt vmcnt(60)
	v_fmac_f64_e32 v[170:171], v[162:163], v[94:95]
	v_add_f64 v[172:173], v[168:169], v[170:171]
	ds_read_b128 v[168:171], v154 offset:496
	s_waitcnt lgkmcnt(1)
	v_mul_f64 v[174:175], v[164:165], v[88:89]
	v_fmac_f64_e32 v[174:175], v[166:167], v[90:91]
	v_add_f64 v[176:177], v[172:173], v[174:175]
	ds_read_b128 v[172:175], v154 offset:512
	s_waitcnt vmcnt(54) lgkmcnt(1)
	v_mul_f64 v[178:179], v[168:169], v[100:101]
	s_waitcnt vmcnt(52)
	v_fmac_f64_e32 v[178:179], v[170:171], v[102:103]
	v_add_f64 v[180:181], v[176:177], v[178:179]
	ds_read_b128 v[176:179], v154 offset:528
	s_waitcnt lgkmcnt(1)
	v_mul_f64 v[182:183], v[172:173], v[96:97]
	v_fmac_f64_e32 v[182:183], v[174:175], v[98:99]
	v_add_f64 v[184:185], v[180:181], v[182:183]
	ds_read_b128 v[180:183], v154 offset:544
	s_waitcnt vmcnt(46) lgkmcnt(1)
	v_mul_f64 v[186:187], v[176:177], v[108:109]
	s_waitcnt vmcnt(44)
	v_fmac_f64_e32 v[186:187], v[178:179], v[110:111]
	v_add_f64 v[188:189], v[184:185], v[186:187]
	ds_read_b128 v[184:187], v154 offset:560
	s_waitcnt lgkmcnt(1)
	v_mul_f64 v[190:191], v[180:181], v[104:105]
	v_fmac_f64_e32 v[190:191], v[182:183], v[106:107]
	v_add_f64 v[14:15], v[14:15], 0
	v_fma_f64 v[10:11], v[10:11], v[24:25], -v[12:13]
	v_mul_f64 v[8:9], v[8:9], v[78:79]
	v_add_f64 v[192:193], v[188:189], v[190:191]
	ds_read_b128 v[188:191], v154 offset:576
	v_add_f64 v[10:11], v[14:15], v[10:11]
	v_fma_f64 v[6:7], v[6:7], v[26:27], -v[8:9]
	v_mul_f64 v[4:5], v[4:5], v[84:85]
	v_add_f64 v[6:7], v[10:11], v[6:7]
	v_fma_f64 v[2:3], v[2:3], v[86:87], -v[4:5]
	v_mul_f64 v[4:5], v[158:159], v[80:81]
	v_add_f64 v[2:3], v[6:7], v[2:3]
	v_fma_f64 v[4:5], v[156:157], v[82:83], -v[4:5]
	s_waitcnt vmcnt(38) lgkmcnt(1)
	v_mul_f64 v[194:195], v[184:185], v[116:117]
	v_add_f64 v[2:3], v[2:3], v[4:5]
	v_mul_f64 v[4:5], v[162:163], v[92:93]
	s_waitcnt vmcnt(36)
	v_fmac_f64_e32 v[194:195], v[186:187], v[118:119]
	v_fma_f64 v[4:5], v[160:161], v[94:95], -v[4:5]
	v_add_f64 v[196:197], v[192:193], v[194:195]
	ds_read_b128 v[192:195], v154 offset:592
	s_waitcnt lgkmcnt(1)
	v_mul_f64 v[198:199], v[188:189], v[112:113]
	v_add_f64 v[2:3], v[2:3], v[4:5]
	v_mul_f64 v[4:5], v[166:167], v[88:89]
	v_fmac_f64_e32 v[198:199], v[190:191], v[114:115]
	v_fma_f64 v[4:5], v[164:165], v[90:91], -v[4:5]
	v_add_f64 v[200:201], v[196:197], v[198:199]
	ds_read_b128 v[196:199], v154 offset:608
	v_add_f64 v[2:3], v[2:3], v[4:5]
	v_mul_f64 v[4:5], v[170:171], v[100:101]
	v_fma_f64 v[4:5], v[168:169], v[102:103], -v[4:5]
	v_add_f64 v[2:3], v[2:3], v[4:5]
	v_mul_f64 v[4:5], v[174:175], v[96:97]
	s_waitcnt vmcnt(30) lgkmcnt(1)
	v_mul_f64 v[202:203], v[192:193], v[124:125]
	v_fma_f64 v[4:5], v[172:173], v[98:99], -v[4:5]
	s_waitcnt vmcnt(28)
	v_fmac_f64_e32 v[202:203], v[194:195], v[126:127]
	v_add_f64 v[2:3], v[2:3], v[4:5]
	v_mul_f64 v[4:5], v[178:179], v[108:109]
	v_add_f64 v[204:205], v[200:201], v[202:203]
	ds_read_b128 v[200:203], v154 offset:624
	s_waitcnt lgkmcnt(1)
	v_mul_f64 v[206:207], v[196:197], v[120:121]
	v_fma_f64 v[4:5], v[176:177], v[110:111], -v[4:5]
	v_fmac_f64_e32 v[206:207], v[198:199], v[122:123]
	v_add_f64 v[2:3], v[2:3], v[4:5]
	v_mul_f64 v[4:5], v[182:183], v[104:105]
	v_add_f64 v[208:209], v[204:205], v[206:207]
	ds_read_b128 v[204:207], v154 offset:640
	v_fma_f64 v[4:5], v[180:181], v[106:107], -v[4:5]
	v_add_f64 v[2:3], v[2:3], v[4:5]
	v_mul_f64 v[4:5], v[186:187], v[116:117]
	v_fma_f64 v[4:5], v[184:185], v[118:119], -v[4:5]
	s_waitcnt vmcnt(22) lgkmcnt(1)
	v_mul_f64 v[210:211], v[200:201], v[228:229]
	v_add_f64 v[2:3], v[2:3], v[4:5]
	v_mul_f64 v[4:5], v[190:191], v[112:113]
	s_waitcnt vmcnt(20)
	v_fmac_f64_e32 v[210:211], v[202:203], v[230:231]
	v_fma_f64 v[4:5], v[188:189], v[114:115], -v[4:5]
	v_add_f64 v[212:213], v[208:209], v[210:211]
	ds_read_b128 v[208:211], v154 offset:656
	s_waitcnt lgkmcnt(1)
	v_mul_f64 v[214:215], v[204:205], v[128:129]
	v_add_f64 v[2:3], v[2:3], v[4:5]
	v_mul_f64 v[4:5], v[194:195], v[124:125]
	v_fmac_f64_e32 v[214:215], v[206:207], v[130:131]
	v_fma_f64 v[4:5], v[192:193], v[126:127], -v[4:5]
	v_add_f64 v[216:217], v[212:213], v[214:215]
	ds_read_b128 v[212:215], v154 offset:672
	v_add_f64 v[2:3], v[2:3], v[4:5]
	v_mul_f64 v[4:5], v[198:199], v[120:121]
	v_fma_f64 v[4:5], v[196:197], v[122:123], -v[4:5]
	v_add_f64 v[2:3], v[2:3], v[4:5]
	v_mul_f64 v[4:5], v[202:203], v[228:229]
	s_waitcnt vmcnt(14) lgkmcnt(1)
	v_mul_f64 v[218:219], v[208:209], v[236:237]
	v_fma_f64 v[4:5], v[200:201], v[230:231], -v[4:5]
	s_waitcnt vmcnt(12)
	v_fmac_f64_e32 v[218:219], v[210:211], v[238:239]
	v_add_f64 v[2:3], v[2:3], v[4:5]
	v_mul_f64 v[4:5], v[206:207], v[128:129]
	v_add_f64 v[220:221], v[216:217], v[218:219]
	ds_read_b128 v[216:219], v154 offset:688
	s_waitcnt lgkmcnt(1)
	v_mul_f64 v[222:223], v[212:213], v[232:233]
	v_fma_f64 v[4:5], v[204:205], v[130:131], -v[4:5]
	v_fmac_f64_e32 v[222:223], v[214:215], v[234:235]
	v_add_f64 v[2:3], v[2:3], v[4:5]
	v_mul_f64 v[4:5], v[210:211], v[236:237]
	v_add_f64 v[252:253], v[220:221], v[222:223]
	ds_read_b128 v[220:223], v154 offset:704
	ds_read_b128 v[224:227], v154 offset:720
	v_fma_f64 v[4:5], v[208:209], v[238:239], -v[4:5]
	v_add_f64 v[2:3], v[2:3], v[4:5]
	v_mul_f64 v[4:5], v[214:215], v[232:233]
	v_fma_f64 v[4:5], v[212:213], v[234:235], -v[4:5]
	v_add_f64 v[2:3], v[2:3], v[4:5]
	s_waitcnt vmcnt(6) lgkmcnt(2)
	v_mul_f64 v[4:5], v[218:219], v[244:245]
	v_mul_f64 v[254:255], v[216:217], v[244:245]
	s_waitcnt vmcnt(4)
	v_fma_f64 v[4:5], v[216:217], v[246:247], -v[4:5]
	v_fmac_f64_e32 v[254:255], v[218:219], v[246:247]
	v_add_f64 v[2:3], v[2:3], v[4:5]
	s_waitcnt lgkmcnt(1)
	v_mul_f64 v[4:5], v[222:223], v[240:241]
	v_add_f64 v[154:155], v[252:253], v[254:255]
	v_mul_f64 v[252:253], v[220:221], v[240:241]
	v_fma_f64 v[4:5], v[220:221], v[242:243], -v[4:5]
	v_fmac_f64_e32 v[252:253], v[222:223], v[242:243]
	v_add_f64 v[2:3], v[2:3], v[4:5]
	s_waitcnt vmcnt(2) lgkmcnt(0)
	v_mul_f64 v[4:5], v[226:227], v[248:249]
	v_add_f64 v[154:155], v[154:155], v[252:253]
	v_mul_f64 v[252:253], v[224:225], v[248:249]
	s_waitcnt vmcnt(0)
	v_fma_f64 v[4:5], v[224:225], v[250:251], -v[4:5]
	v_fmac_f64_e32 v[252:253], v[226:227], v[250:251]
	v_add_f64 v[2:3], v[2:3], v[4:5]
	v_add_f64 v[154:155], v[154:155], v[252:253]
	v_add_f64 v[2:3], v[20:21], -v[2:3]
	s_and_b64 vcc, exec, s[18:19]
	v_add_f64 v[4:5], v[18:19], -v[154:155]
	buffer_store_dword v3, off, s[0:3], 0 offset:4
	buffer_store_dword v2, off, s[0:3], 0
	buffer_store_dword v5, off, s[0:3], 0 offset:12
	buffer_store_dword v4, off, s[0:3], 0 offset:8
	s_cbranch_vccz .LBB86_197
; %bb.152:
	v_pk_mov_b32 v[2:3], s[16:17], s[16:17] op_sel:[0,1]
	flat_load_dword v2, v[2:3] offset:84
	s_load_dwordx2 s[4:5], s[4:5], 0x4
	v_bfe_u32 v4, v0, 10, 10
	v_bfe_u32 v0, v0, 20, 10
	s_waitcnt lgkmcnt(0)
	s_lshr_b32 s4, s4, 16
	s_mul_i32 s4, s4, s5
	v_mul_u32_u24_e32 v3, s4, v153
	v_mul_u32_u24_e32 v4, s5, v4
	v_add3_u32 v0, v3, v4, v0
	v_mov_b32_e32 v3, 0x2e8
	v_lshl_add_u32 v0, v0, 4, v3
	s_waitcnt vmcnt(0)
	v_add_u32_e32 v2, -1, v2
	v_cmp_ne_u32_e32 vcc, 21, v2
	s_and_saveexec_b64 s[4:5], vcc
	s_cbranch_execz .LBB86_154
; %bb.153:
	v_mov_b32_e32 v3, 0
	v_lshl_add_u32 v6, v2, 4, v3
	buffer_load_dword v2, v132, s[0:3], 0 offen
	buffer_load_dword v3, v132, s[0:3], 0 offen offset:4
	buffer_load_dword v4, v132, s[0:3], 0 offen offset:8
	buffer_load_dword v5, v132, s[0:3], 0 offen offset:12
	buffer_load_dword v7, v6, s[0:3], 0 offen
	buffer_load_dword v8, v6, s[0:3], 0 offen offset:4
	buffer_load_dword v9, v6, s[0:3], 0 offen offset:8
	buffer_load_dword v10, v6, s[0:3], 0 offen offset:12
	s_waitcnt vmcnt(4)
	ds_write2_b64 v0, v[2:3], v[4:5] offset1:1
	s_waitcnt vmcnt(3)
	buffer_store_dword v7, v132, s[0:3], 0 offen
	s_waitcnt vmcnt(3)
	buffer_store_dword v8, v132, s[0:3], 0 offen offset:4
	s_waitcnt vmcnt(3)
	buffer_store_dword v9, v132, s[0:3], 0 offen offset:8
	s_waitcnt vmcnt(3)
	buffer_store_dword v10, v132, s[0:3], 0 offen offset:12
	buffer_store_dword v5, v6, s[0:3], 0 offen offset:12
	buffer_store_dword v4, v6, s[0:3], 0 offen offset:8
	buffer_store_dword v3, v6, s[0:3], 0 offen offset:4
	buffer_store_dword v2, v6, s[0:3], 0 offen
.LBB86_154:
	s_or_b64 exec, exec, s[4:5]
	v_pk_mov_b32 v[2:3], s[16:17], s[16:17] op_sel:[0,1]
	flat_load_dword v2, v[2:3] offset:80
	s_waitcnt vmcnt(0) lgkmcnt(0)
	v_add_u32_e32 v2, -1, v2
	v_cmp_ne_u32_e32 vcc, 20, v2
	s_and_saveexec_b64 s[4:5], vcc
	s_cbranch_execz .LBB86_156
; %bb.155:
	v_mov_b32_e32 v3, 0
	v_lshl_add_u32 v6, v2, 4, v3
	buffer_load_dword v2, v133, s[0:3], 0 offen
	buffer_load_dword v3, v133, s[0:3], 0 offen offset:4
	buffer_load_dword v4, v133, s[0:3], 0 offen offset:8
	buffer_load_dword v5, v133, s[0:3], 0 offen offset:12
	buffer_load_dword v7, v6, s[0:3], 0 offen
	buffer_load_dword v8, v6, s[0:3], 0 offen offset:4
	buffer_load_dword v9, v6, s[0:3], 0 offen offset:8
	buffer_load_dword v10, v6, s[0:3], 0 offen offset:12
	s_waitcnt vmcnt(4)
	ds_write2_b64 v0, v[2:3], v[4:5] offset1:1
	s_waitcnt vmcnt(3)
	buffer_store_dword v7, v133, s[0:3], 0 offen
	s_waitcnt vmcnt(3)
	buffer_store_dword v8, v133, s[0:3], 0 offen offset:4
	s_waitcnt vmcnt(3)
	buffer_store_dword v9, v133, s[0:3], 0 offen offset:8
	s_waitcnt vmcnt(3)
	buffer_store_dword v10, v133, s[0:3], 0 offen offset:12
	buffer_store_dword v5, v6, s[0:3], 0 offen offset:12
	buffer_store_dword v4, v6, s[0:3], 0 offen offset:8
	buffer_store_dword v3, v6, s[0:3], 0 offen offset:4
	buffer_store_dword v2, v6, s[0:3], 0 offen
.LBB86_156:
	s_or_b64 exec, exec, s[4:5]
	v_pk_mov_b32 v[2:3], s[16:17], s[16:17] op_sel:[0,1]
	flat_load_dword v2, v[2:3] offset:76
	s_waitcnt vmcnt(0) lgkmcnt(0)
	;; [unrolled: 34-line block ×20, first 2 shown]
	v_add_u32_e32 v2, -1, v2
	v_cmp_ne_u32_e32 vcc, 1, v2
	s_and_saveexec_b64 s[4:5], vcc
	s_cbranch_execz .LBB86_194
; %bb.193:
	v_mov_b32_e32 v3, 0
	v_lshl_add_u32 v6, v2, 4, v3
	buffer_load_dword v2, v150, s[0:3], 0 offen
	buffer_load_dword v3, v150, s[0:3], 0 offen offset:4
	buffer_load_dword v4, v150, s[0:3], 0 offen offset:8
	;; [unrolled: 1-line block ×3, first 2 shown]
	buffer_load_dword v7, v6, s[0:3], 0 offen
	buffer_load_dword v8, v6, s[0:3], 0 offen offset:4
	buffer_load_dword v9, v6, s[0:3], 0 offen offset:8
	;; [unrolled: 1-line block ×3, first 2 shown]
	s_waitcnt vmcnt(4)
	ds_write2_b64 v0, v[2:3], v[4:5] offset1:1
	s_waitcnt vmcnt(3)
	buffer_store_dword v7, v150, s[0:3], 0 offen
	s_waitcnt vmcnt(3)
	buffer_store_dword v8, v150, s[0:3], 0 offen offset:4
	s_waitcnt vmcnt(3)
	buffer_store_dword v9, v150, s[0:3], 0 offen offset:8
	;; [unrolled: 2-line block ×3, first 2 shown]
	buffer_store_dword v5, v6, s[0:3], 0 offen offset:12
	buffer_store_dword v4, v6, s[0:3], 0 offen offset:8
	;; [unrolled: 1-line block ×3, first 2 shown]
	buffer_store_dword v2, v6, s[0:3], 0 offen
.LBB86_194:
	s_or_b64 exec, exec, s[4:5]
	v_pk_mov_b32 v[2:3], s[16:17], s[16:17] op_sel:[0,1]
	flat_load_dword v2, v[2:3]
	s_waitcnt vmcnt(0) lgkmcnt(0)
	v_add_u32_e32 v2, -1, v2
	v_cmp_ne_u32_e32 vcc, 0, v2
	s_and_saveexec_b64 s[4:5], vcc
	s_cbranch_execz .LBB86_196
; %bb.195:
	v_mov_b32_e32 v3, 0
	v_lshl_add_u32 v6, v2, 4, v3
	buffer_load_dword v2, off, s[0:3], 0
	buffer_load_dword v3, off, s[0:3], 0 offset:4
	buffer_load_dword v4, off, s[0:3], 0 offset:8
	;; [unrolled: 1-line block ×3, first 2 shown]
	buffer_load_dword v7, v6, s[0:3], 0 offen
	buffer_load_dword v8, v6, s[0:3], 0 offen offset:4
	buffer_load_dword v9, v6, s[0:3], 0 offen offset:8
	;; [unrolled: 1-line block ×3, first 2 shown]
	s_waitcnt vmcnt(4)
	ds_write2_b64 v0, v[2:3], v[4:5] offset1:1
	s_waitcnt vmcnt(3)
	buffer_store_dword v7, off, s[0:3], 0
	s_waitcnt vmcnt(3)
	buffer_store_dword v8, off, s[0:3], 0 offset:4
	s_waitcnt vmcnt(3)
	buffer_store_dword v9, off, s[0:3], 0 offset:8
	;; [unrolled: 2-line block ×3, first 2 shown]
	buffer_store_dword v5, v6, s[0:3], 0 offen offset:12
	buffer_store_dword v4, v6, s[0:3], 0 offen offset:8
	;; [unrolled: 1-line block ×3, first 2 shown]
	buffer_store_dword v2, v6, s[0:3], 0 offen
.LBB86_196:
	s_or_b64 exec, exec, s[4:5]
.LBB86_197:
	buffer_load_dword v2, off, s[0:3], 0
	buffer_load_dword v3, off, s[0:3], 0 offset:4
	buffer_load_dword v4, off, s[0:3], 0 offset:8
	;; [unrolled: 1-line block ×3, first 2 shown]
	buffer_load_dword v6, v150, s[0:3], 0 offen
	buffer_load_dword v7, v150, s[0:3], 0 offen offset:4
	buffer_load_dword v8, v150, s[0:3], 0 offen offset:8
	;; [unrolled: 1-line block ×6, first 2 shown]
	buffer_load_dword v14, v151, s[0:3], 0 offen
	buffer_load_dword v15, v151, s[0:3], 0 offen offset:4
	buffer_load_dword v16, v151, s[0:3], 0 offen offset:8
	buffer_load_dword v10, v152, s[0:3], 0 offen
	buffer_load_dword v17, v151, s[0:3], 0 offen offset:12
	buffer_load_dword v19, v148, s[0:3], 0 offen offset:4
	;; [unrolled: 1-line block ×4, first 2 shown]
                                        ; kill: killed $vgpr152
                                        ; kill: killed $vgpr150
                                        ; kill: killed $vgpr151
	buffer_load_dword v22, v146, s[0:3], 0 offen
	buffer_load_dword v23, v146, s[0:3], 0 offen offset:4
	buffer_load_dword v24, v146, s[0:3], 0 offen offset:8
	buffer_load_dword v18, v148, s[0:3], 0 offen
	buffer_load_dword v25, v146, s[0:3], 0 offen offset:12
	buffer_load_dword v27, v149, s[0:3], 0 offen offset:4
	;; [unrolled: 1-line block ×4, first 2 shown]
	buffer_load_dword v76, v147, s[0:3], 0 offen
	buffer_load_dword v77, v147, s[0:3], 0 offen offset:4
	buffer_load_dword v78, v147, s[0:3], 0 offen offset:8
	buffer_load_dword v26, v149, s[0:3], 0 offen
	buffer_load_dword v79, v147, s[0:3], 0 offen offset:12
	buffer_load_dword v81, v142, s[0:3], 0 offen offset:4
	;; [unrolled: 1-line block ×3, first 2 shown]
                                        ; kill: killed $vgpr148
                                        ; kill: killed $vgpr149
                                        ; kill: killed $vgpr146
                                        ; kill: killed $vgpr147
	buffer_load_dword v83, v142, s[0:3], 0 offen offset:12
	buffer_load_dword v84, v144, s[0:3], 0 offen
	buffer_load_dword v85, v144, s[0:3], 0 offen offset:4
	buffer_load_dword v86, v144, s[0:3], 0 offen offset:8
	buffer_load_dword v80, v142, s[0:3], 0 offen
	buffer_load_dword v87, v144, s[0:3], 0 offen offset:12
	buffer_load_dword v89, v143, s[0:3], 0 offen offset:4
	buffer_load_dword v90, v143, s[0:3], 0 offen offset:8
	buffer_load_dword v91, v143, s[0:3], 0 offen offset:12
	buffer_load_dword v92, v145, s[0:3], 0 offen
	buffer_load_dword v93, v145, s[0:3], 0 offen offset:4
	buffer_load_dword v94, v145, s[0:3], 0 offen offset:8
	buffer_load_dword v88, v143, s[0:3], 0 offen
	buffer_load_dword v95, v145, s[0:3], 0 offen offset:12
	buffer_load_dword v97, v138, s[0:3], 0 offen offset:4
                                        ; kill: killed $vgpr144
                                        ; kill: killed $vgpr145
                                        ; kill: killed $vgpr142
                                        ; kill: killed $vgpr143
	buffer_load_dword v98, v138, s[0:3], 0 offen offset:8
	buffer_load_dword v99, v138, s[0:3], 0 offen offset:12
	buffer_load_dword v100, v139, s[0:3], 0 offen
	buffer_load_dword v101, v139, s[0:3], 0 offen offset:4
	buffer_load_dword v102, v139, s[0:3], 0 offen offset:8
	buffer_load_dword v96, v138, s[0:3], 0 offen
	buffer_load_dword v103, v139, s[0:3], 0 offen offset:12
	buffer_load_dword v105, v141, s[0:3], 0 offen offset:4
	buffer_load_dword v106, v141, s[0:3], 0 offen offset:8
	buffer_load_dword v107, v141, s[0:3], 0 offen offset:12
	buffer_load_dword v108, v140, s[0:3], 0 offen
	buffer_load_dword v109, v140, s[0:3], 0 offen offset:4
	buffer_load_dword v110, v140, s[0:3], 0 offen offset:8
	buffer_load_dword v104, v141, s[0:3], 0 offen
	buffer_load_dword v111, v140, s[0:3], 0 offen offset:12
                                        ; kill: killed $vgpr141
                                        ; kill: killed $vgpr139
                                        ; kill: killed $vgpr140
                                        ; kill: killed $vgpr138
	buffer_load_dword v113, v137, s[0:3], 0 offen offset:4
	buffer_load_dword v114, v137, s[0:3], 0 offen offset:8
	;; [unrolled: 1-line block ×3, first 2 shown]
	buffer_load_dword v116, v136, s[0:3], 0 offen
	buffer_load_dword v117, v136, s[0:3], 0 offen offset:4
	buffer_load_dword v118, v136, s[0:3], 0 offen offset:8
	buffer_load_dword v112, v137, s[0:3], 0 offen
	buffer_load_dword v119, v136, s[0:3], 0 offen offset:12
	buffer_load_dword v121, v135, s[0:3], 0 offen offset:4
	;; [unrolled: 1-line block ×4, first 2 shown]
                                        ; kill: killed $vgpr137
                                        ; kill: killed $vgpr136
	buffer_load_dword v124, v134, s[0:3], 0 offen
	buffer_load_dword v125, v134, s[0:3], 0 offen offset:4
	buffer_load_dword v126, v134, s[0:3], 0 offen offset:8
	buffer_load_dword v120, v135, s[0:3], 0 offen
	buffer_load_dword v127, v134, s[0:3], 0 offen offset:12
	buffer_load_dword v129, v133, s[0:3], 0 offen offset:4
	;; [unrolled: 1-line block ×4, first 2 shown]
	s_nop 0
	buffer_load_dword v134, v132, s[0:3], 0 offen
	buffer_load_dword v135, v132, s[0:3], 0 offen offset:4
	buffer_load_dword v136, v132, s[0:3], 0 offen offset:8
	buffer_load_dword v128, v133, s[0:3], 0 offen
	buffer_load_dword v137, v132, s[0:3], 0 offen offset:12
	buffer_load_dword v138, v1, s[0:3], 0 offen
	buffer_load_dword v139, v1, s[0:3], 0 offen offset:4
	buffer_load_dword v140, v1, s[0:3], 0 offen offset:8
	;; [unrolled: 1-line block ×3, first 2 shown]
	s_waitcnt vmcnt(62)
	global_store_dwordx4 v[30:31], v[2:5], off
	global_store_dwordx4 v[32:33], v[6:9], off
	;; [unrolled: 1-line block ×6, first 2 shown]
	s_waitcnt vmcnt(62)
	global_store_dwordx4 v[42:43], v[26:29], off
	global_store_dwordx4 v[44:45], v[76:79], off
	s_waitcnt vmcnt(61)
	global_store_dwordx4 v[46:47], v[80:83], off
	s_waitcnt vmcnt(61)
	;; [unrolled: 2-line block ×15, first 2 shown]
	global_store_dwordx4 v[74:75], v[138:141], off
	s_endpgm
	.section	.rodata,"a",@progbits
	.p2align	6, 0x0
	.amdhsa_kernel _ZN9rocsolver6v33100L18getri_kernel_smallILi23E19rocblas_complex_numIdEPKPS3_EEvT1_iilPiilS8_bb
		.amdhsa_group_segment_fixed_size 1768
		.amdhsa_private_segment_fixed_size 384
		.amdhsa_kernarg_size 60
		.amdhsa_user_sgpr_count 10
		.amdhsa_user_sgpr_private_segment_buffer 1
		.amdhsa_user_sgpr_dispatch_ptr 1
		.amdhsa_user_sgpr_queue_ptr 0
		.amdhsa_user_sgpr_kernarg_segment_ptr 1
		.amdhsa_user_sgpr_dispatch_id 0
		.amdhsa_user_sgpr_flat_scratch_init 1
		.amdhsa_user_sgpr_kernarg_preload_length 0
		.amdhsa_user_sgpr_kernarg_preload_offset 0
		.amdhsa_user_sgpr_private_segment_size 0
		.amdhsa_uses_dynamic_stack 0
		.amdhsa_system_sgpr_private_segment_wavefront_offset 1
		.amdhsa_system_sgpr_workgroup_id_x 1
		.amdhsa_system_sgpr_workgroup_id_y 0
		.amdhsa_system_sgpr_workgroup_id_z 0
		.amdhsa_system_sgpr_workgroup_info 0
		.amdhsa_system_vgpr_workitem_id 2
		.amdhsa_next_free_vgpr 256
		.amdhsa_next_free_sgpr 24
		.amdhsa_accum_offset 256
		.amdhsa_reserve_vcc 1
		.amdhsa_reserve_flat_scratch 1
		.amdhsa_float_round_mode_32 0
		.amdhsa_float_round_mode_16_64 0
		.amdhsa_float_denorm_mode_32 3
		.amdhsa_float_denorm_mode_16_64 3
		.amdhsa_dx10_clamp 1
		.amdhsa_ieee_mode 1
		.amdhsa_fp16_overflow 0
		.amdhsa_tg_split 0
		.amdhsa_exception_fp_ieee_invalid_op 0
		.amdhsa_exception_fp_denorm_src 0
		.amdhsa_exception_fp_ieee_div_zero 0
		.amdhsa_exception_fp_ieee_overflow 0
		.amdhsa_exception_fp_ieee_underflow 0
		.amdhsa_exception_fp_ieee_inexact 0
		.amdhsa_exception_int_div_zero 0
	.end_amdhsa_kernel
	.section	.text._ZN9rocsolver6v33100L18getri_kernel_smallILi23E19rocblas_complex_numIdEPKPS3_EEvT1_iilPiilS8_bb,"axG",@progbits,_ZN9rocsolver6v33100L18getri_kernel_smallILi23E19rocblas_complex_numIdEPKPS3_EEvT1_iilPiilS8_bb,comdat
.Lfunc_end86:
	.size	_ZN9rocsolver6v33100L18getri_kernel_smallILi23E19rocblas_complex_numIdEPKPS3_EEvT1_iilPiilS8_bb, .Lfunc_end86-_ZN9rocsolver6v33100L18getri_kernel_smallILi23E19rocblas_complex_numIdEPKPS3_EEvT1_iilPiilS8_bb
                                        ; -- End function
	.section	.AMDGPU.csdata,"",@progbits
; Kernel info:
; codeLenInByte = 42320
; NumSgprs: 30
; NumVgprs: 256
; NumAgprs: 0
; TotalNumVgprs: 256
; ScratchSize: 384
; MemoryBound: 0
; FloatMode: 240
; IeeeMode: 1
; LDSByteSize: 1768 bytes/workgroup (compile time only)
; SGPRBlocks: 3
; VGPRBlocks: 31
; NumSGPRsForWavesPerEU: 30
; NumVGPRsForWavesPerEU: 256
; AccumOffset: 256
; Occupancy: 2
; WaveLimiterHint : 1
; COMPUTE_PGM_RSRC2:SCRATCH_EN: 1
; COMPUTE_PGM_RSRC2:USER_SGPR: 10
; COMPUTE_PGM_RSRC2:TRAP_HANDLER: 0
; COMPUTE_PGM_RSRC2:TGID_X_EN: 1
; COMPUTE_PGM_RSRC2:TGID_Y_EN: 0
; COMPUTE_PGM_RSRC2:TGID_Z_EN: 0
; COMPUTE_PGM_RSRC2:TIDIG_COMP_CNT: 2
; COMPUTE_PGM_RSRC3_GFX90A:ACCUM_OFFSET: 63
; COMPUTE_PGM_RSRC3_GFX90A:TG_SPLIT: 0
	.section	.text._ZN9rocsolver6v33100L18getri_kernel_smallILi24E19rocblas_complex_numIdEPKPS3_EEvT1_iilPiilS8_bb,"axG",@progbits,_ZN9rocsolver6v33100L18getri_kernel_smallILi24E19rocblas_complex_numIdEPKPS3_EEvT1_iilPiilS8_bb,comdat
	.globl	_ZN9rocsolver6v33100L18getri_kernel_smallILi24E19rocblas_complex_numIdEPKPS3_EEvT1_iilPiilS8_bb ; -- Begin function _ZN9rocsolver6v33100L18getri_kernel_smallILi24E19rocblas_complex_numIdEPKPS3_EEvT1_iilPiilS8_bb
	.p2align	8
	.type	_ZN9rocsolver6v33100L18getri_kernel_smallILi24E19rocblas_complex_numIdEPKPS3_EEvT1_iilPiilS8_bb,@function
_ZN9rocsolver6v33100L18getri_kernel_smallILi24E19rocblas_complex_numIdEPKPS3_EEvT1_iilPiilS8_bb: ; @_ZN9rocsolver6v33100L18getri_kernel_smallILi24E19rocblas_complex_numIdEPKPS3_EEvT1_iilPiilS8_bb
; %bb.0:
	s_add_u32 flat_scratch_lo, s8, s11
	s_addc_u32 flat_scratch_hi, s9, 0
	s_add_u32 s0, s0, s11
	v_and_b32_e32 v156, 0x3ff, v0
	s_addc_u32 s1, s1, 0
	v_cmp_gt_u32_e32 vcc, 24, v156
	s_and_saveexec_b64 s[8:9], vcc
	s_cbranch_execz .LBB87_110
; %bb.1:
	s_load_dword s22, s[6:7], 0x38
	s_load_dwordx2 s[8:9], s[6:7], 0x0
	s_load_dwordx4 s[12:15], s[6:7], 0x28
	s_waitcnt lgkmcnt(0)
	s_bitcmp1_b32 s22, 8
	s_cselect_b64 s[18:19], -1, 0
	s_ashr_i32 s11, s10, 31
	s_lshl_b64 s[16:17], s[10:11], 3
	s_add_u32 s8, s8, s16
	s_addc_u32 s9, s9, s17
	s_load_dwordx2 s[20:21], s[8:9], 0x0
	s_bfe_u32 s8, s22, 0x10008
	s_cmp_eq_u32 s8, 0
                                        ; implicit-def: $sgpr16_sgpr17
	s_cbranch_scc1 .LBB87_3
; %bb.2:
	s_load_dword s8, s[6:7], 0x20
	s_load_dwordx2 s[16:17], s[6:7], 0x18
	s_mul_i32 s9, s10, s13
	s_mul_hi_u32 s13, s10, s12
	s_add_i32 s13, s13, s9
	s_mul_i32 s23, s11, s12
	s_add_i32 s13, s13, s23
	s_mul_i32 s12, s10, s12
	s_waitcnt lgkmcnt(0)
	s_ashr_i32 s9, s8, 31
	s_lshl_b64 s[12:13], s[12:13], 2
	s_add_u32 s12, s16, s12
	s_addc_u32 s13, s17, s13
	s_lshl_b64 s[8:9], s[8:9], 2
	s_add_u32 s16, s12, s8
	s_addc_u32 s17, s13, s9
.LBB87_3:
	s_load_dwordx2 s[8:9], s[6:7], 0x8
	v_lshlrev_b32_e32 v12, 4, v156
	s_waitcnt lgkmcnt(0)
	s_ashr_i32 s7, s8, 31
	s_mov_b32 s6, s8
	s_lshl_b64 s[6:7], s[6:7], 4
	s_add_u32 s6, s20, s6
	s_addc_u32 s7, s21, s7
	s_mov_b32 s12, s9
	s_ashr_i32 s13, s9, 31
	global_load_dwordx4 v[2:5], v12, s[6:7]
	v_mov_b32_e32 v1, s7
	v_add_co_u32_e32 v22, vcc, s6, v12
	s_lshl_b64 s[12:13], s[12:13], 4
	v_addc_co_u32_e32 v23, vcc, 0, v1, vcc
	s_add_i32 s8, s9, s9
	v_mov_b32_e32 v1, s13
	v_add_co_u32_e32 v24, vcc, s12, v22
	v_add_u32_e32 v6, s8, v156
	v_addc_co_u32_e32 v25, vcc, v23, v1, vcc
	global_load_dwordx4 v[14:17], v[24:25], off
	v_ashrrev_i32_e32 v7, 31, v6
	v_lshlrev_b64 v[8:9], 4, v[6:7]
	v_mov_b32_e32 v10, s7
	v_add_co_u32_e32 v26, vcc, s6, v8
	v_addc_co_u32_e32 v27, vcc, v10, v9, vcc
	global_load_dwordx4 v[18:21], v[26:27], off
	v_add_u32_e32 v6, s9, v6
	v_add_u32_e32 v8, s9, v6
	;; [unrolled: 1-line block ×16, first 2 shown]
	v_ashrrev_i32_e32 v7, 31, v6
	v_add_u32_e32 v62, s9, v60
	v_lshlrev_b64 v[6:7], 4, v[6:7]
	v_add_u32_e32 v64, s9, v62
	v_mov_b32_e32 v11, s7
	v_ashrrev_i32_e32 v9, 31, v8
	v_add_co_u32_e32 v28, vcc, s6, v6
	v_add_u32_e32 v66, s9, v64
	v_addc_co_u32_e32 v29, vcc, v11, v7, vcc
	v_lshlrev_b64 v[6:7], 4, v[8:9]
	v_add_u32_e32 v68, s9, v66
	v_mov_b32_e32 v13, s7
	v_add_co_u32_e32 v30, vcc, s6, v6
	v_add_u32_e32 v6, s9, v68
	v_addc_co_u32_e32 v31, vcc, v13, v7, vcc
	v_ashrrev_i32_e32 v7, 31, v6
	v_lshlrev_b64 v[6:7], 4, v[6:7]
	v_mov_b32_e32 v1, s7
	v_ashrrev_i32_e32 v11, 31, v10
	v_add_co_u32_e32 v32, vcc, s6, v6
	v_lshlrev_b64 v[10:11], 4, v[10:11]
	v_addc_co_u32_e32 v33, vcc, v1, v7, vcc
	v_mov_b32_e32 v35, s7
	v_add_co_u32_e32 v34, vcc, s6, v10
	v_ashrrev_i32_e32 v37, 31, v36
	global_load_dwordx4 v[70:73], v[28:29], off
	global_load_dwordx4 v[74:77], v[30:31], off
	;; [unrolled: 1-line block ×3, first 2 shown]
	v_addc_co_u32_e32 v35, vcc, v35, v11, vcc
	v_ashrrev_i32_e32 v39, 31, v38
	v_lshlrev_b64 v[10:11], 4, v[38:39]
	s_waitcnt vmcnt(5)
	buffer_store_dword v5, off, s[0:3], 0 offset:12
	buffer_store_dword v4, off, s[0:3], 0 offset:8
	;; [unrolled: 1-line block ×3, first 2 shown]
	buffer_store_dword v2, off, s[0:3], 0
	s_waitcnt vmcnt(8)
	buffer_store_dword v17, off, s[0:3], 0 offset:28
	buffer_store_dword v16, off, s[0:3], 0 offset:24
	;; [unrolled: 1-line block ×4, first 2 shown]
	s_waitcnt vmcnt(11)
	buffer_store_dword v21, off, s[0:3], 0 offset:44
	buffer_store_dword v20, off, s[0:3], 0 offset:40
	;; [unrolled: 1-line block ×3, first 2 shown]
	v_lshlrev_b64 v[2:3], 4, v[36:37]
	v_add_co_u32_e32 v36, vcc, s6, v2
	v_addc_co_u32_e32 v37, vcc, v1, v3, vcc
	v_add_co_u32_e32 v38, vcc, s6, v10
	v_ashrrev_i32_e32 v41, 31, v40
	v_addc_co_u32_e32 v39, vcc, v1, v11, vcc
	v_lshlrev_b64 v[10:11], 4, v[40:41]
	v_add_co_u32_e32 v40, vcc, s6, v10
	v_ashrrev_i32_e32 v43, 31, v42
	v_addc_co_u32_e32 v41, vcc, v1, v11, vcc
	v_lshlrev_b64 v[10:11], 4, v[42:43]
	;; [unrolled: 4-line block ×13, first 2 shown]
	v_add_co_u32_e32 v64, vcc, s6, v10
	global_load_dwordx4 v[2:5], v[34:35], off
	global_load_dwordx4 v[14:17], v[36:37], off
	;; [unrolled: 1-line block ×14, first 2 shown]
	v_addc_co_u32_e32 v65, vcc, v1, v11, vcc
	global_load_dwordx4 v[126:129], v[62:63], off
	global_load_dwordx4 v[130:133], v[64:65], off
	v_ashrrev_i32_e32 v67, 31, v66
	v_lshlrev_b64 v[10:11], 4, v[66:67]
	v_add_co_u32_e32 v66, vcc, s6, v10
	v_ashrrev_i32_e32 v69, 31, v68
	v_addc_co_u32_e32 v67, vcc, v1, v11, vcc
	v_lshlrev_b64 v[10:11], 4, v[68:69]
	v_add_co_u32_e32 v68, vcc, s6, v10
	v_addc_co_u32_e32 v69, vcc, v1, v11, vcc
	global_load_dwordx4 v[134:137], v[66:67], off
	global_load_dwordx4 v[138:141], v[68:69], off
	s_nop 0
	buffer_store_dword v18, off, s[0:3], 0 offset:32
	s_waitcnt vmcnt(32)
	buffer_store_dword v73, off, s[0:3], 0 offset:60
	buffer_store_dword v72, off, s[0:3], 0 offset:56
	buffer_store_dword v71, off, s[0:3], 0 offset:52
	buffer_store_dword v70, off, s[0:3], 0 offset:48
	s_waitcnt vmcnt(35)
	buffer_store_dword v77, off, s[0:3], 0 offset:76
	buffer_store_dword v76, off, s[0:3], 0 offset:72
	buffer_store_dword v75, off, s[0:3], 0 offset:68
	;; [unrolled: 5-line block ×16, first 2 shown]
	buffer_store_dword v122, off, s[0:3], 0 offset:288
	buffer_store_dword v129, off, s[0:3], 0 offset:316
	;; [unrolled: 1-line block ×13, first 2 shown]
	v_mov_b32_e32 v2, 0
	v_add_u32_e32 v3, 0xe0, v2
	v_accvgpr_write_b32 a11, v3
	v_add_u32_e32 v3, 0xf0, v2
	v_accvgpr_write_b32 a7, v3
	;; [unrolled: 2-line block ×5, first 2 shown]
	v_add_u32_e32 v3, 0x130, v2
	v_add_u32_e32 v1, 0xb0, v2
	v_accvgpr_write_b32 a4, v3
	v_add_u32_e32 v3, 0x140, v2
	v_accvgpr_write_b32 a10, v1
	;; [unrolled: 2-line block ×3, first 2 shown]
	v_add_u32_e32 v3, 0x150, v2
	v_add_u32_e32 v153, 16, v2
	;; [unrolled: 1-line block ×11, first 2 shown]
	v_accvgpr_write_b32 a9, v1
	v_add_u32_e32 v1, 0xd0, v2
	v_accvgpr_write_b32 a2, v3
	v_add_u32_e32 v3, 0x160, v2
	v_add_u32_e32 v2, 0x170, v2
	v_accvgpr_write_b32 a1, v3
	v_accvgpr_write_b32 a0, v2
	s_bitcmp0_b32 s22, 0
	s_mov_b64 s[8:9], -1
	s_waitcnt vmcnt(62)
	buffer_store_dword v141, off, s[0:3], 0 offset:364
	buffer_store_dword v140, off, s[0:3], 0 offset:360
	;; [unrolled: 1-line block ×8, first 2 shown]
	s_cbranch_scc1 .LBB87_108
; %bb.4:
	v_cmp_eq_u32_e64 s[6:7], 0, v156
	s_and_saveexec_b64 s[8:9], s[6:7]
	s_cbranch_execz .LBB87_6
; %bb.5:
	v_mov_b32_e32 v2, 0
	ds_write_b32 v2, v2 offset:768
.LBB87_6:
	s_or_b64 exec, exec, s[8:9]
	v_mov_b32_e32 v2, 0
	v_lshl_add_u32 v13, v156, 4, v2
	s_waitcnt lgkmcnt(0)
	; wave barrier
	s_waitcnt lgkmcnt(0)
	buffer_load_dword v2, v13, s[0:3], 0 offen
	buffer_load_dword v3, v13, s[0:3], 0 offen offset:4
	buffer_load_dword v4, v13, s[0:3], 0 offen offset:8
	;; [unrolled: 1-line block ×3, first 2 shown]
	s_waitcnt vmcnt(2)
	v_cmp_eq_f64_e32 vcc, 0, v[2:3]
	s_waitcnt vmcnt(0)
	v_cmp_eq_f64_e64 s[8:9], 0, v[4:5]
	s_and_b64 s[8:9], vcc, s[8:9]
	s_and_saveexec_b64 s[12:13], s[8:9]
	s_cbranch_execz .LBB87_10
; %bb.7:
	v_mov_b32_e32 v2, 0
	ds_read_b32 v4, v2 offset:768
	v_add_u32_e32 v3, 1, v156
	s_waitcnt lgkmcnt(0)
	v_readfirstlane_b32 s8, v4
	s_cmp_eq_u32 s8, 0
	s_cselect_b64 s[20:21], -1, 0
	v_cmp_gt_i32_e32 vcc, s8, v3
	s_or_b64 s[20:21], s[20:21], vcc
	s_and_b64 exec, exec, s[20:21]
	s_cbranch_execz .LBB87_10
; %bb.8:
	s_mov_b64 s[20:21], 0
	v_mov_b32_e32 v4, s8
.LBB87_9:                               ; =>This Inner Loop Header: Depth=1
	ds_cmpst_rtn_b32 v4, v2, v4, v3 offset:768
	s_waitcnt lgkmcnt(0)
	v_cmp_ne_u32_e32 vcc, 0, v4
	v_cmp_le_i32_e64 s[8:9], v4, v3
	s_and_b64 s[8:9], vcc, s[8:9]
	s_and_b64 s[8:9], exec, s[8:9]
	s_or_b64 s[20:21], s[8:9], s[20:21]
	s_andn2_b64 exec, exec, s[20:21]
	s_cbranch_execnz .LBB87_9
.LBB87_10:
	s_or_b64 exec, exec, s[12:13]
	v_mov_b32_e32 v3, 0
	s_waitcnt lgkmcnt(0)
	; wave barrier
	ds_read_b32 v2, v3 offset:768
	s_and_saveexec_b64 s[8:9], s[6:7]
	s_cbranch_execz .LBB87_12
; %bb.11:
	s_lshl_b64 s[12:13], s[10:11], 2
	s_add_u32 s12, s14, s12
	s_addc_u32 s13, s15, s13
	s_waitcnt lgkmcnt(0)
	global_store_dword v3, v2, s[12:13]
.LBB87_12:
	s_or_b64 exec, exec, s[8:9]
	s_waitcnt lgkmcnt(0)
	v_cmp_ne_u32_e32 vcc, 0, v2
	s_mov_b64 s[8:9], 0
	s_cbranch_vccnz .LBB87_108
; %bb.13:
	buffer_load_dword v7, v13, s[0:3], 0 offen offset:4
	buffer_load_dword v6, v13, s[0:3], 0 offen
	buffer_load_dword v9, v13, s[0:3], 0 offen offset:12
	buffer_load_dword v8, v13, s[0:3], 0 offen offset:8
                                        ; implicit-def: $vgpr10_vgpr11
	s_waitcnt vmcnt(3)
	v_xor_b32_e32 v3, 0x80000000, v7
	s_waitcnt vmcnt(2)
	v_cmp_gt_f64_e32 vcc, 0, v[6:7]
	s_waitcnt vmcnt(1)
	v_xor_b32_e32 v4, 0x80000000, v9
	v_cndmask_b32_e32 v3, v7, v3, vcc
	s_waitcnt vmcnt(0)
	v_cmp_gt_f64_e32 vcc, 0, v[8:9]
	v_mov_b32_e32 v2, v6
	v_cndmask_b32_e32 v5, v9, v4, vcc
	v_mov_b32_e32 v4, v8
	v_cmp_ngt_f64_e32 vcc, v[2:3], v[4:5]
                                        ; implicit-def: $vgpr4_vgpr5
	s_and_saveexec_b64 s[8:9], vcc
	s_xor_b64 s[8:9], exec, s[8:9]
	s_cbranch_execz .LBB87_15
; %bb.14:
	v_div_scale_f64 v[2:3], s[12:13], v[8:9], v[8:9], v[6:7]
	v_rcp_f64_e32 v[4:5], v[2:3]
	v_div_scale_f64 v[10:11], vcc, v[6:7], v[8:9], v[6:7]
	v_fma_f64 v[14:15], -v[2:3], v[4:5], 1.0
	v_fmac_f64_e32 v[4:5], v[4:5], v[14:15]
	v_fma_f64 v[14:15], -v[2:3], v[4:5], 1.0
	v_fmac_f64_e32 v[4:5], v[4:5], v[14:15]
	v_mul_f64 v[14:15], v[10:11], v[4:5]
	v_fma_f64 v[2:3], -v[2:3], v[14:15], v[10:11]
	v_div_fmas_f64 v[2:3], v[2:3], v[4:5], v[14:15]
	v_div_fixup_f64 v[2:3], v[2:3], v[8:9], v[6:7]
	v_fmac_f64_e32 v[8:9], v[6:7], v[2:3]
	v_div_scale_f64 v[4:5], s[12:13], v[8:9], v[8:9], 1.0
	v_rcp_f64_e32 v[6:7], v[4:5]
	v_fma_f64 v[10:11], -v[4:5], v[6:7], 1.0
	v_fmac_f64_e32 v[6:7], v[6:7], v[10:11]
	v_fma_f64 v[10:11], -v[4:5], v[6:7], 1.0
	v_fmac_f64_e32 v[6:7], v[6:7], v[10:11]
	v_div_scale_f64 v[10:11], vcc, 1.0, v[8:9], 1.0
	v_mul_f64 v[14:15], v[10:11], v[6:7]
	v_fma_f64 v[4:5], -v[4:5], v[14:15], v[10:11]
	s_nop 1
	v_div_fmas_f64 v[4:5], v[4:5], v[6:7], v[14:15]
	v_div_fixup_f64 v[4:5], v[4:5], v[8:9], 1.0
	v_mul_f64 v[10:11], v[2:3], v[4:5]
	v_xor_b32_e32 v5, 0x80000000, v5
	v_xor_b32_e32 v3, 0x80000000, v11
	v_mov_b32_e32 v2, v10
                                        ; implicit-def: $vgpr6_vgpr7
                                        ; implicit-def: $vgpr8_vgpr9
.LBB87_15:
	s_andn2_saveexec_b64 s[8:9], s[8:9]
	s_cbranch_execz .LBB87_17
; %bb.16:
	v_div_scale_f64 v[2:3], s[12:13], v[6:7], v[6:7], v[8:9]
	v_rcp_f64_e32 v[4:5], v[2:3]
	v_div_scale_f64 v[10:11], vcc, v[8:9], v[6:7], v[8:9]
	v_fma_f64 v[14:15], -v[2:3], v[4:5], 1.0
	v_fmac_f64_e32 v[4:5], v[4:5], v[14:15]
	v_fma_f64 v[14:15], -v[2:3], v[4:5], 1.0
	v_fmac_f64_e32 v[4:5], v[4:5], v[14:15]
	v_mul_f64 v[14:15], v[10:11], v[4:5]
	v_fma_f64 v[2:3], -v[2:3], v[14:15], v[10:11]
	v_div_fmas_f64 v[2:3], v[2:3], v[4:5], v[14:15]
	v_div_fixup_f64 v[4:5], v[2:3], v[6:7], v[8:9]
	v_fmac_f64_e32 v[6:7], v[8:9], v[4:5]
	v_div_scale_f64 v[2:3], s[12:13], v[6:7], v[6:7], 1.0
	v_rcp_f64_e32 v[8:9], v[2:3]
	v_fma_f64 v[10:11], -v[2:3], v[8:9], 1.0
	v_fmac_f64_e32 v[8:9], v[8:9], v[10:11]
	v_fma_f64 v[10:11], -v[2:3], v[8:9], 1.0
	v_fmac_f64_e32 v[8:9], v[8:9], v[10:11]
	v_div_scale_f64 v[10:11], vcc, 1.0, v[6:7], 1.0
	v_mul_f64 v[14:15], v[10:11], v[8:9]
	v_fma_f64 v[2:3], -v[2:3], v[14:15], v[10:11]
	s_nop 1
	v_div_fmas_f64 v[2:3], v[2:3], v[8:9], v[14:15]
	v_div_fixup_f64 v[10:11], v[2:3], v[6:7], 1.0
	v_xor_b32_e32 v3, 0x80000000, v11
	v_mov_b32_e32 v2, v10
	v_mul_f64 v[4:5], v[4:5], -v[10:11]
.LBB87_17:
	s_or_b64 exec, exec, s[8:9]
	buffer_store_dword v11, v13, s[0:3], 0 offen offset:4
	buffer_store_dword v10, v13, s[0:3], 0 offen
	buffer_store_dword v5, v13, s[0:3], 0 offen offset:12
	buffer_store_dword v4, v13, s[0:3], 0 offen offset:8
	buffer_load_dword v11, v153, s[0:3], 0 offen offset:12
	s_nop 0
	buffer_load_dword v10, v153, s[0:3], 0 offen offset:8
	buffer_load_dword v9, v153, s[0:3], 0 offen offset:4
	buffer_load_dword v8, v153, s[0:3], 0 offen
	v_xor_b32_e32 v5, 0x80000000, v5
	v_add_u32_e32 v6, 0x180, v12
	ds_write_b128 v12, v[2:5]
	s_waitcnt vmcnt(0)
	ds_write_b128 v12, v[8:11] offset:384
	s_waitcnt lgkmcnt(0)
	; wave barrier
	s_waitcnt lgkmcnt(0)
	s_and_saveexec_b64 s[8:9], s[6:7]
	s_cbranch_execz .LBB87_19
; %bb.18:
	buffer_load_dword v14, v13, s[0:3], 0 offen offset:8
	buffer_load_dword v15, v13, s[0:3], 0 offen offset:12
	buffer_load_dword v16, v13, s[0:3], 0 offen
	buffer_load_dword v17, v13, s[0:3], 0 offen offset:4
	ds_read_b128 v[2:5], v6
	v_mov_b32_e32 v7, 0
	ds_read_b128 v[8:11], v7 offset:16
	s_waitcnt vmcnt(2) lgkmcnt(1)
	v_mul_f64 v[18:19], v[4:5], v[14:15]
	v_mul_f64 v[14:15], v[2:3], v[14:15]
	s_waitcnt vmcnt(0)
	v_fmac_f64_e32 v[14:15], v[4:5], v[16:17]
	v_fma_f64 v[2:3], v[2:3], v[16:17], -v[18:19]
	v_add_f64 v[4:5], v[14:15], 0
	v_add_f64 v[2:3], v[2:3], 0
	s_waitcnt lgkmcnt(0)
	v_mul_f64 v[14:15], v[4:5], v[10:11]
	v_mul_f64 v[10:11], v[2:3], v[10:11]
	v_fma_f64 v[2:3], v[2:3], v[8:9], -v[14:15]
	v_fmac_f64_e32 v[10:11], v[4:5], v[8:9]
	buffer_store_dword v2, off, s[0:3], 0 offset:16
	buffer_store_dword v3, off, s[0:3], 0 offset:20
	;; [unrolled: 1-line block ×4, first 2 shown]
.LBB87_19:
	s_or_b64 exec, exec, s[8:9]
	s_waitcnt lgkmcnt(0)
	; wave barrier
	buffer_load_dword v2, v155, s[0:3], 0 offen
	buffer_load_dword v3, v155, s[0:3], 0 offen offset:4
	buffer_load_dword v4, v155, s[0:3], 0 offen offset:8
	buffer_load_dword v5, v155, s[0:3], 0 offen offset:12
	v_cmp_gt_u32_e32 vcc, 2, v156
	s_waitcnt vmcnt(0)
	ds_write_b128 v6, v[2:5]
	s_waitcnt lgkmcnt(0)
	; wave barrier
	s_waitcnt lgkmcnt(0)
	s_and_saveexec_b64 s[8:9], vcc
	s_cbranch_execz .LBB87_23
; %bb.20:
	buffer_load_dword v8, v13, s[0:3], 0 offen offset:8
	buffer_load_dword v9, v13, s[0:3], 0 offen offset:12
	buffer_load_dword v10, v13, s[0:3], 0 offen
	buffer_load_dword v11, v13, s[0:3], 0 offen offset:4
	ds_read_b128 v[2:5], v6
	s_waitcnt vmcnt(2) lgkmcnt(0)
	v_mul_f64 v[14:15], v[4:5], v[8:9]
	v_mul_f64 v[8:9], v[2:3], v[8:9]
	s_waitcnt vmcnt(0)
	v_fma_f64 v[2:3], v[2:3], v[10:11], -v[14:15]
	v_fmac_f64_e32 v[8:9], v[4:5], v[10:11]
	v_add_f64 v[4:5], v[2:3], 0
	v_add_f64 v[2:3], v[8:9], 0
	s_and_saveexec_b64 s[12:13], s[6:7]
	s_cbranch_execz .LBB87_22
; %bb.21:
	buffer_load_dword v14, off, s[0:3], 0 offset:24
	buffer_load_dword v15, off, s[0:3], 0 offset:28
	;; [unrolled: 1-line block ×4, first 2 shown]
	v_mov_b32_e32 v7, 0
	ds_read_b128 v[8:11], v7 offset:400
	s_waitcnt vmcnt(2) lgkmcnt(0)
	v_mul_f64 v[18:19], v[8:9], v[14:15]
	v_mul_f64 v[14:15], v[10:11], v[14:15]
	s_waitcnt vmcnt(0)
	v_fmac_f64_e32 v[18:19], v[10:11], v[16:17]
	v_fma_f64 v[8:9], v[8:9], v[16:17], -v[14:15]
	v_add_f64 v[2:3], v[2:3], v[18:19]
	v_add_f64 v[4:5], v[4:5], v[8:9]
.LBB87_22:
	s_or_b64 exec, exec, s[12:13]
	v_mov_b32_e32 v7, 0
	ds_read_b128 v[8:11], v7 offset:32
	s_waitcnt lgkmcnt(0)
	v_mul_f64 v[14:15], v[2:3], v[10:11]
	v_mul_f64 v[10:11], v[4:5], v[10:11]
	v_fma_f64 v[4:5], v[4:5], v[8:9], -v[14:15]
	v_fmac_f64_e32 v[10:11], v[2:3], v[8:9]
	buffer_store_dword v5, off, s[0:3], 0 offset:36
	buffer_store_dword v4, off, s[0:3], 0 offset:32
	;; [unrolled: 1-line block ×4, first 2 shown]
.LBB87_23:
	s_or_b64 exec, exec, s[8:9]
	s_waitcnt lgkmcnt(0)
	; wave barrier
	buffer_load_dword v2, v154, s[0:3], 0 offen
	buffer_load_dword v3, v154, s[0:3], 0 offen offset:4
	buffer_load_dword v4, v154, s[0:3], 0 offen offset:8
	;; [unrolled: 1-line block ×3, first 2 shown]
	v_cmp_gt_u32_e32 vcc, 3, v156
	v_add_u32_e32 v7, -1, v156
	s_waitcnt vmcnt(0)
	ds_write_b128 v6, v[2:5]
	s_waitcnt lgkmcnt(0)
	; wave barrier
	s_waitcnt lgkmcnt(0)
	s_and_saveexec_b64 s[6:7], vcc
	s_cbranch_execz .LBB87_27
; %bb.24:
	v_pk_mov_b32 v[2:3], 0, 0
	v_add_u32_e32 v8, -1, v156
	v_add_u32_e32 v9, 0x180, v12
	v_add_u32_e32 v10, 0, v12
	s_mov_b64 s[8:9], 0
	v_pk_mov_b32 v[4:5], v[2:3], v[2:3] op_sel:[0,1]
.LBB87_25:                              ; =>This Inner Loop Header: Depth=1
	buffer_load_dword v18, v10, s[0:3], 0 offen offset:8
	buffer_load_dword v19, v10, s[0:3], 0 offen offset:12
	buffer_load_dword v20, v10, s[0:3], 0 offen
	buffer_load_dword v21, v10, s[0:3], 0 offen offset:4
	ds_read_b128 v[14:17], v9
	v_add_u32_e32 v8, 1, v8
	v_cmp_lt_u32_e32 vcc, 1, v8
	v_add_u32_e32 v9, 16, v9
	v_add_u32_e32 v10, 16, v10
	s_or_b64 s[8:9], vcc, s[8:9]
	s_waitcnt vmcnt(2) lgkmcnt(0)
	v_mul_f64 v[70:71], v[16:17], v[18:19]
	v_mul_f64 v[18:19], v[14:15], v[18:19]
	s_waitcnt vmcnt(0)
	v_fma_f64 v[14:15], v[14:15], v[20:21], -v[70:71]
	v_fmac_f64_e32 v[18:19], v[16:17], v[20:21]
	v_add_f64 v[4:5], v[4:5], v[14:15]
	v_add_f64 v[2:3], v[2:3], v[18:19]
	s_andn2_b64 exec, exec, s[8:9]
	s_cbranch_execnz .LBB87_25
; %bb.26:
	s_or_b64 exec, exec, s[8:9]
	v_mov_b32_e32 v8, 0
	ds_read_b128 v[8:11], v8 offset:48
	s_waitcnt lgkmcnt(0)
	v_mul_f64 v[14:15], v[2:3], v[10:11]
	v_mul_f64 v[10:11], v[4:5], v[10:11]
	v_fma_f64 v[4:5], v[4:5], v[8:9], -v[14:15]
	v_fmac_f64_e32 v[10:11], v[2:3], v[8:9]
	buffer_store_dword v5, off, s[0:3], 0 offset:52
	buffer_store_dword v4, off, s[0:3], 0 offset:48
	buffer_store_dword v11, off, s[0:3], 0 offset:60
	buffer_store_dword v10, off, s[0:3], 0 offset:56
.LBB87_27:
	s_or_b64 exec, exec, s[6:7]
	s_waitcnt lgkmcnt(0)
	; wave barrier
	buffer_load_dword v2, v151, s[0:3], 0 offen
	buffer_load_dword v3, v151, s[0:3], 0 offen offset:4
	buffer_load_dword v4, v151, s[0:3], 0 offen offset:8
	buffer_load_dword v5, v151, s[0:3], 0 offen offset:12
	v_cmp_gt_u32_e32 vcc, 4, v156
	s_waitcnt vmcnt(0)
	ds_write_b128 v6, v[2:5]
	s_waitcnt lgkmcnt(0)
	; wave barrier
	s_waitcnt lgkmcnt(0)
	s_and_saveexec_b64 s[6:7], vcc
	s_cbranch_execz .LBB87_31
; %bb.28:
	v_pk_mov_b32 v[2:3], 0, 0
	v_add_u32_e32 v8, -1, v156
	v_add_u32_e32 v9, 0x180, v12
	v_add_u32_e32 v10, 0, v12
	s_mov_b64 s[8:9], 0
	v_pk_mov_b32 v[4:5], v[2:3], v[2:3] op_sel:[0,1]
.LBB87_29:                              ; =>This Inner Loop Header: Depth=1
	buffer_load_dword v18, v10, s[0:3], 0 offen offset:8
	buffer_load_dword v19, v10, s[0:3], 0 offen offset:12
	buffer_load_dword v20, v10, s[0:3], 0 offen
	buffer_load_dword v21, v10, s[0:3], 0 offen offset:4
	ds_read_b128 v[14:17], v9
	v_add_u32_e32 v8, 1, v8
	v_cmp_lt_u32_e32 vcc, 2, v8
	v_add_u32_e32 v9, 16, v9
	v_add_u32_e32 v10, 16, v10
	s_or_b64 s[8:9], vcc, s[8:9]
	s_waitcnt vmcnt(2) lgkmcnt(0)
	v_mul_f64 v[70:71], v[16:17], v[18:19]
	v_mul_f64 v[18:19], v[14:15], v[18:19]
	s_waitcnt vmcnt(0)
	v_fma_f64 v[14:15], v[14:15], v[20:21], -v[70:71]
	v_fmac_f64_e32 v[18:19], v[16:17], v[20:21]
	v_add_f64 v[4:5], v[4:5], v[14:15]
	v_add_f64 v[2:3], v[2:3], v[18:19]
	s_andn2_b64 exec, exec, s[8:9]
	s_cbranch_execnz .LBB87_29
; %bb.30:
	s_or_b64 exec, exec, s[8:9]
	v_mov_b32_e32 v8, 0
	ds_read_b128 v[8:11], v8 offset:64
	s_waitcnt lgkmcnt(0)
	v_mul_f64 v[14:15], v[2:3], v[10:11]
	v_mul_f64 v[10:11], v[4:5], v[10:11]
	v_fma_f64 v[4:5], v[4:5], v[8:9], -v[14:15]
	v_fmac_f64_e32 v[10:11], v[2:3], v[8:9]
	buffer_store_dword v5, off, s[0:3], 0 offset:68
	buffer_store_dword v4, off, s[0:3], 0 offset:64
	buffer_store_dword v11, off, s[0:3], 0 offset:76
	buffer_store_dword v10, off, s[0:3], 0 offset:72
.LBB87_31:
	s_or_b64 exec, exec, s[6:7]
	s_waitcnt lgkmcnt(0)
	; wave barrier
	buffer_load_dword v2, v150, s[0:3], 0 offen
	buffer_load_dword v3, v150, s[0:3], 0 offen offset:4
	buffer_load_dword v4, v150, s[0:3], 0 offen offset:8
	buffer_load_dword v5, v150, s[0:3], 0 offen offset:12
	v_cmp_gt_u32_e32 vcc, 5, v156
	s_waitcnt vmcnt(0)
	ds_write_b128 v6, v[2:5]
	s_waitcnt lgkmcnt(0)
	; wave barrier
	s_waitcnt lgkmcnt(0)
	s_and_saveexec_b64 s[6:7], vcc
	s_cbranch_execz .LBB87_35
; %bb.32:
	v_pk_mov_b32 v[2:3], 0, 0
	v_add_u32_e32 v8, -1, v156
	v_add_u32_e32 v9, 0x180, v12
	v_add_u32_e32 v10, 0, v12
	s_mov_b64 s[8:9], 0
	v_pk_mov_b32 v[4:5], v[2:3], v[2:3] op_sel:[0,1]
.LBB87_33:                              ; =>This Inner Loop Header: Depth=1
	buffer_load_dword v18, v10, s[0:3], 0 offen offset:8
	buffer_load_dword v19, v10, s[0:3], 0 offen offset:12
	buffer_load_dword v20, v10, s[0:3], 0 offen
	buffer_load_dword v21, v10, s[0:3], 0 offen offset:4
	ds_read_b128 v[14:17], v9
	v_add_u32_e32 v8, 1, v8
	v_cmp_lt_u32_e32 vcc, 3, v8
	v_add_u32_e32 v9, 16, v9
	v_add_u32_e32 v10, 16, v10
	s_or_b64 s[8:9], vcc, s[8:9]
	s_waitcnt vmcnt(2) lgkmcnt(0)
	v_mul_f64 v[70:71], v[16:17], v[18:19]
	v_mul_f64 v[18:19], v[14:15], v[18:19]
	s_waitcnt vmcnt(0)
	v_fma_f64 v[14:15], v[14:15], v[20:21], -v[70:71]
	v_fmac_f64_e32 v[18:19], v[16:17], v[20:21]
	v_add_f64 v[4:5], v[4:5], v[14:15]
	v_add_f64 v[2:3], v[2:3], v[18:19]
	s_andn2_b64 exec, exec, s[8:9]
	s_cbranch_execnz .LBB87_33
; %bb.34:
	s_or_b64 exec, exec, s[8:9]
	v_mov_b32_e32 v8, 0
	ds_read_b128 v[8:11], v8 offset:80
	s_waitcnt lgkmcnt(0)
	v_mul_f64 v[14:15], v[2:3], v[10:11]
	v_mul_f64 v[10:11], v[4:5], v[10:11]
	v_fma_f64 v[4:5], v[4:5], v[8:9], -v[14:15]
	v_fmac_f64_e32 v[10:11], v[2:3], v[8:9]
	buffer_store_dword v5, off, s[0:3], 0 offset:84
	buffer_store_dword v4, off, s[0:3], 0 offset:80
	buffer_store_dword v11, off, s[0:3], 0 offset:92
	buffer_store_dword v10, off, s[0:3], 0 offset:88
.LBB87_35:
	s_or_b64 exec, exec, s[6:7]
	s_waitcnt lgkmcnt(0)
	; wave barrier
	buffer_load_dword v2, v152, s[0:3], 0 offen
	buffer_load_dword v3, v152, s[0:3], 0 offen offset:4
	buffer_load_dword v4, v152, s[0:3], 0 offen offset:8
	buffer_load_dword v5, v152, s[0:3], 0 offen offset:12
	v_cmp_gt_u32_e32 vcc, 6, v156
	s_waitcnt vmcnt(0)
	ds_write_b128 v6, v[2:5]
	s_waitcnt lgkmcnt(0)
	; wave barrier
	s_waitcnt lgkmcnt(0)
	s_and_saveexec_b64 s[6:7], vcc
	s_cbranch_execz .LBB87_39
; %bb.36:
	v_pk_mov_b32 v[2:3], 0, 0
	v_add_u32_e32 v8, -1, v156
	v_add_u32_e32 v9, 0x180, v12
	v_add_u32_e32 v10, 0, v12
	s_mov_b64 s[8:9], 0
	v_pk_mov_b32 v[4:5], v[2:3], v[2:3] op_sel:[0,1]
.LBB87_37:                              ; =>This Inner Loop Header: Depth=1
	buffer_load_dword v18, v10, s[0:3], 0 offen offset:8
	buffer_load_dword v19, v10, s[0:3], 0 offen offset:12
	buffer_load_dword v20, v10, s[0:3], 0 offen
	buffer_load_dword v21, v10, s[0:3], 0 offen offset:4
	ds_read_b128 v[14:17], v9
	v_add_u32_e32 v8, 1, v8
	v_cmp_lt_u32_e32 vcc, 4, v8
	v_add_u32_e32 v9, 16, v9
	v_add_u32_e32 v10, 16, v10
	s_or_b64 s[8:9], vcc, s[8:9]
	s_waitcnt vmcnt(2) lgkmcnt(0)
	v_mul_f64 v[70:71], v[16:17], v[18:19]
	v_mul_f64 v[18:19], v[14:15], v[18:19]
	s_waitcnt vmcnt(0)
	v_fma_f64 v[14:15], v[14:15], v[20:21], -v[70:71]
	v_fmac_f64_e32 v[18:19], v[16:17], v[20:21]
	v_add_f64 v[4:5], v[4:5], v[14:15]
	v_add_f64 v[2:3], v[2:3], v[18:19]
	s_andn2_b64 exec, exec, s[8:9]
	s_cbranch_execnz .LBB87_37
; %bb.38:
	s_or_b64 exec, exec, s[8:9]
	v_mov_b32_e32 v8, 0
	ds_read_b128 v[8:11], v8 offset:96
	s_waitcnt lgkmcnt(0)
	v_mul_f64 v[14:15], v[2:3], v[10:11]
	v_mul_f64 v[10:11], v[4:5], v[10:11]
	v_fma_f64 v[4:5], v[4:5], v[8:9], -v[14:15]
	v_fmac_f64_e32 v[10:11], v[2:3], v[8:9]
	buffer_store_dword v5, off, s[0:3], 0 offset:100
	buffer_store_dword v4, off, s[0:3], 0 offset:96
	buffer_store_dword v11, off, s[0:3], 0 offset:108
	buffer_store_dword v10, off, s[0:3], 0 offset:104
.LBB87_39:
	s_or_b64 exec, exec, s[6:7]
	s_waitcnt lgkmcnt(0)
	; wave barrier
	buffer_load_dword v2, v148, s[0:3], 0 offen
	buffer_load_dword v3, v148, s[0:3], 0 offen offset:4
	buffer_load_dword v4, v148, s[0:3], 0 offen offset:8
	buffer_load_dword v5, v148, s[0:3], 0 offen offset:12
	v_cmp_gt_u32_e32 vcc, 7, v156
	s_waitcnt vmcnt(0)
	ds_write_b128 v6, v[2:5]
	s_waitcnt lgkmcnt(0)
	; wave barrier
	s_waitcnt lgkmcnt(0)
	s_and_saveexec_b64 s[6:7], vcc
	s_cbranch_execz .LBB87_43
; %bb.40:
	v_pk_mov_b32 v[2:3], 0, 0
	v_add_u32_e32 v8, -1, v156
	v_add_u32_e32 v9, 0x180, v12
	v_add_u32_e32 v10, 0, v12
	s_mov_b64 s[8:9], 0
	v_pk_mov_b32 v[4:5], v[2:3], v[2:3] op_sel:[0,1]
.LBB87_41:                              ; =>This Inner Loop Header: Depth=1
	buffer_load_dword v18, v10, s[0:3], 0 offen offset:8
	buffer_load_dword v19, v10, s[0:3], 0 offen offset:12
	buffer_load_dword v20, v10, s[0:3], 0 offen
	buffer_load_dword v21, v10, s[0:3], 0 offen offset:4
	ds_read_b128 v[14:17], v9
	v_add_u32_e32 v8, 1, v8
	v_cmp_lt_u32_e32 vcc, 5, v8
	v_add_u32_e32 v9, 16, v9
	v_add_u32_e32 v10, 16, v10
	s_or_b64 s[8:9], vcc, s[8:9]
	s_waitcnt vmcnt(2) lgkmcnt(0)
	v_mul_f64 v[70:71], v[16:17], v[18:19]
	v_mul_f64 v[18:19], v[14:15], v[18:19]
	s_waitcnt vmcnt(0)
	v_fma_f64 v[14:15], v[14:15], v[20:21], -v[70:71]
	v_fmac_f64_e32 v[18:19], v[16:17], v[20:21]
	v_add_f64 v[4:5], v[4:5], v[14:15]
	v_add_f64 v[2:3], v[2:3], v[18:19]
	s_andn2_b64 exec, exec, s[8:9]
	s_cbranch_execnz .LBB87_41
; %bb.42:
	s_or_b64 exec, exec, s[8:9]
	v_mov_b32_e32 v8, 0
	ds_read_b128 v[8:11], v8 offset:112
	s_waitcnt lgkmcnt(0)
	v_mul_f64 v[14:15], v[2:3], v[10:11]
	v_mul_f64 v[10:11], v[4:5], v[10:11]
	v_fma_f64 v[4:5], v[4:5], v[8:9], -v[14:15]
	v_fmac_f64_e32 v[10:11], v[2:3], v[8:9]
	buffer_store_dword v5, off, s[0:3], 0 offset:116
	buffer_store_dword v4, off, s[0:3], 0 offset:112
	buffer_store_dword v11, off, s[0:3], 0 offset:124
	buffer_store_dword v10, off, s[0:3], 0 offset:120
.LBB87_43:
	s_or_b64 exec, exec, s[6:7]
	s_waitcnt lgkmcnt(0)
	; wave barrier
	buffer_load_dword v2, v146, s[0:3], 0 offen
	buffer_load_dword v3, v146, s[0:3], 0 offen offset:4
	buffer_load_dword v4, v146, s[0:3], 0 offen offset:8
	buffer_load_dword v5, v146, s[0:3], 0 offen offset:12
	v_cmp_gt_u32_e32 vcc, 8, v156
	s_waitcnt vmcnt(0)
	ds_write_b128 v6, v[2:5]
	s_waitcnt lgkmcnt(0)
	; wave barrier
	s_waitcnt lgkmcnt(0)
	s_and_saveexec_b64 s[6:7], vcc
	s_cbranch_execz .LBB87_47
; %bb.44:
	v_pk_mov_b32 v[2:3], 0, 0
	v_add_u32_e32 v8, -1, v156
	v_add_u32_e32 v9, 0x180, v12
	v_add_u32_e32 v10, 0, v12
	s_mov_b64 s[8:9], 0
	v_pk_mov_b32 v[4:5], v[2:3], v[2:3] op_sel:[0,1]
.LBB87_45:                              ; =>This Inner Loop Header: Depth=1
	buffer_load_dword v18, v10, s[0:3], 0 offen offset:8
	buffer_load_dword v19, v10, s[0:3], 0 offen offset:12
	buffer_load_dword v20, v10, s[0:3], 0 offen
	buffer_load_dword v21, v10, s[0:3], 0 offen offset:4
	ds_read_b128 v[14:17], v9
	v_add_u32_e32 v8, 1, v8
	v_cmp_lt_u32_e32 vcc, 6, v8
	v_add_u32_e32 v9, 16, v9
	v_add_u32_e32 v10, 16, v10
	s_or_b64 s[8:9], vcc, s[8:9]
	s_waitcnt vmcnt(2) lgkmcnt(0)
	v_mul_f64 v[70:71], v[16:17], v[18:19]
	v_mul_f64 v[18:19], v[14:15], v[18:19]
	s_waitcnt vmcnt(0)
	v_fma_f64 v[14:15], v[14:15], v[20:21], -v[70:71]
	v_fmac_f64_e32 v[18:19], v[16:17], v[20:21]
	v_add_f64 v[4:5], v[4:5], v[14:15]
	v_add_f64 v[2:3], v[2:3], v[18:19]
	s_andn2_b64 exec, exec, s[8:9]
	s_cbranch_execnz .LBB87_45
; %bb.46:
	s_or_b64 exec, exec, s[8:9]
	v_mov_b32_e32 v8, 0
	ds_read_b128 v[8:11], v8 offset:128
	s_waitcnt lgkmcnt(0)
	v_mul_f64 v[14:15], v[2:3], v[10:11]
	v_mul_f64 v[10:11], v[4:5], v[10:11]
	v_fma_f64 v[4:5], v[4:5], v[8:9], -v[14:15]
	v_fmac_f64_e32 v[10:11], v[2:3], v[8:9]
	buffer_store_dword v5, off, s[0:3], 0 offset:132
	buffer_store_dword v4, off, s[0:3], 0 offset:128
	buffer_store_dword v11, off, s[0:3], 0 offset:140
	buffer_store_dword v10, off, s[0:3], 0 offset:136
.LBB87_47:
	s_or_b64 exec, exec, s[6:7]
	s_waitcnt lgkmcnt(0)
	; wave barrier
	buffer_load_dword v2, v149, s[0:3], 0 offen
	buffer_load_dword v3, v149, s[0:3], 0 offen offset:4
	buffer_load_dword v4, v149, s[0:3], 0 offen offset:8
	buffer_load_dword v5, v149, s[0:3], 0 offen offset:12
	v_cmp_gt_u32_e32 vcc, 9, v156
	s_waitcnt vmcnt(0)
	ds_write_b128 v6, v[2:5]
	s_waitcnt lgkmcnt(0)
	; wave barrier
	s_waitcnt lgkmcnt(0)
	s_and_saveexec_b64 s[6:7], vcc
	s_cbranch_execz .LBB87_51
; %bb.48:
	v_pk_mov_b32 v[2:3], 0, 0
	v_add_u32_e32 v8, -1, v156
	v_add_u32_e32 v9, 0x180, v12
	v_add_u32_e32 v10, 0, v12
	s_mov_b64 s[8:9], 0
	v_pk_mov_b32 v[4:5], v[2:3], v[2:3] op_sel:[0,1]
.LBB87_49:                              ; =>This Inner Loop Header: Depth=1
	buffer_load_dword v18, v10, s[0:3], 0 offen offset:8
	buffer_load_dword v19, v10, s[0:3], 0 offen offset:12
	buffer_load_dword v20, v10, s[0:3], 0 offen
	buffer_load_dword v21, v10, s[0:3], 0 offen offset:4
	ds_read_b128 v[14:17], v9
	v_add_u32_e32 v8, 1, v8
	v_cmp_lt_u32_e32 vcc, 7, v8
	v_add_u32_e32 v9, 16, v9
	v_add_u32_e32 v10, 16, v10
	s_or_b64 s[8:9], vcc, s[8:9]
	s_waitcnt vmcnt(2) lgkmcnt(0)
	v_mul_f64 v[70:71], v[16:17], v[18:19]
	v_mul_f64 v[18:19], v[14:15], v[18:19]
	s_waitcnt vmcnt(0)
	v_fma_f64 v[14:15], v[14:15], v[20:21], -v[70:71]
	v_fmac_f64_e32 v[18:19], v[16:17], v[20:21]
	v_add_f64 v[4:5], v[4:5], v[14:15]
	v_add_f64 v[2:3], v[2:3], v[18:19]
	s_andn2_b64 exec, exec, s[8:9]
	s_cbranch_execnz .LBB87_49
; %bb.50:
	s_or_b64 exec, exec, s[8:9]
	v_mov_b32_e32 v8, 0
	ds_read_b128 v[8:11], v8 offset:144
	s_waitcnt lgkmcnt(0)
	v_mul_f64 v[14:15], v[2:3], v[10:11]
	v_mul_f64 v[10:11], v[4:5], v[10:11]
	v_fma_f64 v[4:5], v[4:5], v[8:9], -v[14:15]
	v_fmac_f64_e32 v[10:11], v[2:3], v[8:9]
	buffer_store_dword v5, off, s[0:3], 0 offset:148
	buffer_store_dword v4, off, s[0:3], 0 offset:144
	buffer_store_dword v11, off, s[0:3], 0 offset:156
	buffer_store_dword v10, off, s[0:3], 0 offset:152
.LBB87_51:
	s_or_b64 exec, exec, s[6:7]
	s_waitcnt lgkmcnt(0)
	; wave barrier
	buffer_load_dword v2, v147, s[0:3], 0 offen
	buffer_load_dword v3, v147, s[0:3], 0 offen offset:4
	buffer_load_dword v4, v147, s[0:3], 0 offen offset:8
	buffer_load_dword v5, v147, s[0:3], 0 offen offset:12
	v_cmp_gt_u32_e32 vcc, 10, v156
	s_waitcnt vmcnt(0)
	ds_write_b128 v6, v[2:5]
	s_waitcnt lgkmcnt(0)
	; wave barrier
	s_waitcnt lgkmcnt(0)
	s_and_saveexec_b64 s[6:7], vcc
	s_cbranch_execz .LBB87_55
; %bb.52:
	v_pk_mov_b32 v[2:3], 0, 0
	v_add_u32_e32 v8, -1, v156
	v_add_u32_e32 v9, 0x180, v12
	v_add_u32_e32 v10, 0, v12
	s_mov_b64 s[8:9], 0
	v_pk_mov_b32 v[4:5], v[2:3], v[2:3] op_sel:[0,1]
.LBB87_53:                              ; =>This Inner Loop Header: Depth=1
	buffer_load_dword v18, v10, s[0:3], 0 offen offset:8
	buffer_load_dword v19, v10, s[0:3], 0 offen offset:12
	buffer_load_dword v20, v10, s[0:3], 0 offen
	buffer_load_dword v21, v10, s[0:3], 0 offen offset:4
	ds_read_b128 v[14:17], v9
	v_add_u32_e32 v8, 1, v8
	v_cmp_lt_u32_e32 vcc, 8, v8
	v_add_u32_e32 v9, 16, v9
	v_add_u32_e32 v10, 16, v10
	s_or_b64 s[8:9], vcc, s[8:9]
	s_waitcnt vmcnt(2) lgkmcnt(0)
	v_mul_f64 v[70:71], v[16:17], v[18:19]
	v_mul_f64 v[18:19], v[14:15], v[18:19]
	s_waitcnt vmcnt(0)
	v_fma_f64 v[14:15], v[14:15], v[20:21], -v[70:71]
	v_fmac_f64_e32 v[18:19], v[16:17], v[20:21]
	v_add_f64 v[4:5], v[4:5], v[14:15]
	v_add_f64 v[2:3], v[2:3], v[18:19]
	s_andn2_b64 exec, exec, s[8:9]
	s_cbranch_execnz .LBB87_53
; %bb.54:
	s_or_b64 exec, exec, s[8:9]
	v_mov_b32_e32 v8, 0
	ds_read_b128 v[8:11], v8 offset:160
	s_waitcnt lgkmcnt(0)
	v_mul_f64 v[14:15], v[2:3], v[10:11]
	v_mul_f64 v[10:11], v[4:5], v[10:11]
	v_fma_f64 v[4:5], v[4:5], v[8:9], -v[14:15]
	v_fmac_f64_e32 v[10:11], v[2:3], v[8:9]
	buffer_store_dword v5, off, s[0:3], 0 offset:164
	buffer_store_dword v4, off, s[0:3], 0 offset:160
	;; [unrolled: 1-line block ×4, first 2 shown]
.LBB87_55:
	s_or_b64 exec, exec, s[6:7]
	v_accvgpr_read_b32 v5, a10
	s_waitcnt lgkmcnt(0)
	; wave barrier
	buffer_load_dword v2, v5, s[0:3], 0 offen
	buffer_load_dword v3, v5, s[0:3], 0 offen offset:4
	buffer_load_dword v4, v5, s[0:3], 0 offen offset:8
	s_nop 0
	buffer_load_dword v5, v5, s[0:3], 0 offen offset:12
	v_cmp_gt_u32_e32 vcc, 11, v156
	s_waitcnt vmcnt(0)
	ds_write_b128 v6, v[2:5]
	s_waitcnt lgkmcnt(0)
	; wave barrier
	s_waitcnt lgkmcnt(0)
	s_and_saveexec_b64 s[6:7], vcc
	s_cbranch_execz .LBB87_59
; %bb.56:
	v_pk_mov_b32 v[2:3], 0, 0
	v_add_u32_e32 v8, -1, v156
	v_add_u32_e32 v9, 0x180, v12
	v_add_u32_e32 v10, 0, v12
	s_mov_b64 s[8:9], 0
	v_pk_mov_b32 v[4:5], v[2:3], v[2:3] op_sel:[0,1]
.LBB87_57:                              ; =>This Inner Loop Header: Depth=1
	buffer_load_dword v18, v10, s[0:3], 0 offen offset:8
	buffer_load_dword v19, v10, s[0:3], 0 offen offset:12
	buffer_load_dword v20, v10, s[0:3], 0 offen
	buffer_load_dword v21, v10, s[0:3], 0 offen offset:4
	ds_read_b128 v[14:17], v9
	v_add_u32_e32 v8, 1, v8
	v_cmp_lt_u32_e32 vcc, 9, v8
	v_add_u32_e32 v9, 16, v9
	v_add_u32_e32 v10, 16, v10
	s_or_b64 s[8:9], vcc, s[8:9]
	s_waitcnt vmcnt(2) lgkmcnt(0)
	v_mul_f64 v[70:71], v[16:17], v[18:19]
	v_mul_f64 v[18:19], v[14:15], v[18:19]
	s_waitcnt vmcnt(0)
	v_fma_f64 v[14:15], v[14:15], v[20:21], -v[70:71]
	v_fmac_f64_e32 v[18:19], v[16:17], v[20:21]
	v_add_f64 v[4:5], v[4:5], v[14:15]
	v_add_f64 v[2:3], v[2:3], v[18:19]
	s_andn2_b64 exec, exec, s[8:9]
	s_cbranch_execnz .LBB87_57
; %bb.58:
	s_or_b64 exec, exec, s[8:9]
	v_mov_b32_e32 v8, 0
	ds_read_b128 v[8:11], v8 offset:176
	s_waitcnt lgkmcnt(0)
	v_mul_f64 v[14:15], v[2:3], v[10:11]
	v_mul_f64 v[10:11], v[4:5], v[10:11]
	v_fma_f64 v[4:5], v[4:5], v[8:9], -v[14:15]
	v_fmac_f64_e32 v[10:11], v[2:3], v[8:9]
	buffer_store_dword v5, off, s[0:3], 0 offset:180
	buffer_store_dword v4, off, s[0:3], 0 offset:176
	;; [unrolled: 1-line block ×4, first 2 shown]
.LBB87_59:
	s_or_b64 exec, exec, s[6:7]
	v_accvgpr_read_b32 v5, a9
	s_waitcnt lgkmcnt(0)
	; wave barrier
	buffer_load_dword v2, v5, s[0:3], 0 offen
	buffer_load_dword v3, v5, s[0:3], 0 offen offset:4
	buffer_load_dword v4, v5, s[0:3], 0 offen offset:8
	s_nop 0
	buffer_load_dword v5, v5, s[0:3], 0 offen offset:12
	v_cmp_gt_u32_e32 vcc, 12, v156
	s_waitcnt vmcnt(0)
	ds_write_b128 v6, v[2:5]
	s_waitcnt lgkmcnt(0)
	; wave barrier
	s_waitcnt lgkmcnt(0)
	s_and_saveexec_b64 s[6:7], vcc
	s_cbranch_execz .LBB87_63
; %bb.60:
	v_pk_mov_b32 v[2:3], 0, 0
	v_add_u32_e32 v8, -1, v156
	v_add_u32_e32 v9, 0x180, v12
	v_add_u32_e32 v10, 0, v12
	s_mov_b64 s[8:9], 0
	v_pk_mov_b32 v[4:5], v[2:3], v[2:3] op_sel:[0,1]
.LBB87_61:                              ; =>This Inner Loop Header: Depth=1
	buffer_load_dword v18, v10, s[0:3], 0 offen offset:8
	buffer_load_dword v19, v10, s[0:3], 0 offen offset:12
	buffer_load_dword v20, v10, s[0:3], 0 offen
	buffer_load_dword v21, v10, s[0:3], 0 offen offset:4
	ds_read_b128 v[14:17], v9
	v_add_u32_e32 v8, 1, v8
	v_cmp_lt_u32_e32 vcc, 10, v8
	v_add_u32_e32 v9, 16, v9
	v_add_u32_e32 v10, 16, v10
	s_or_b64 s[8:9], vcc, s[8:9]
	s_waitcnt vmcnt(2) lgkmcnt(0)
	v_mul_f64 v[70:71], v[16:17], v[18:19]
	v_mul_f64 v[18:19], v[14:15], v[18:19]
	s_waitcnt vmcnt(0)
	v_fma_f64 v[14:15], v[14:15], v[20:21], -v[70:71]
	v_fmac_f64_e32 v[18:19], v[16:17], v[20:21]
	v_add_f64 v[4:5], v[4:5], v[14:15]
	v_add_f64 v[2:3], v[2:3], v[18:19]
	s_andn2_b64 exec, exec, s[8:9]
	s_cbranch_execnz .LBB87_61
; %bb.62:
	s_or_b64 exec, exec, s[8:9]
	v_mov_b32_e32 v8, 0
	ds_read_b128 v[8:11], v8 offset:192
	s_waitcnt lgkmcnt(0)
	v_mul_f64 v[14:15], v[2:3], v[10:11]
	v_mul_f64 v[10:11], v[4:5], v[10:11]
	v_fma_f64 v[4:5], v[4:5], v[8:9], -v[14:15]
	v_fmac_f64_e32 v[10:11], v[2:3], v[8:9]
	buffer_store_dword v5, off, s[0:3], 0 offset:196
	buffer_store_dword v4, off, s[0:3], 0 offset:192
	;; [unrolled: 1-line block ×4, first 2 shown]
.LBB87_63:
	s_or_b64 exec, exec, s[6:7]
	s_waitcnt lgkmcnt(0)
	; wave barrier
	buffer_load_dword v2, v1, s[0:3], 0 offen
	buffer_load_dword v3, v1, s[0:3], 0 offen offset:4
	buffer_load_dword v4, v1, s[0:3], 0 offen offset:8
	;; [unrolled: 1-line block ×3, first 2 shown]
	v_cmp_gt_u32_e32 vcc, 13, v156
	s_waitcnt vmcnt(0)
	ds_write_b128 v6, v[2:5]
	s_waitcnt lgkmcnt(0)
	; wave barrier
	s_waitcnt lgkmcnt(0)
	s_and_saveexec_b64 s[6:7], vcc
	s_cbranch_execz .LBB87_67
; %bb.64:
	v_pk_mov_b32 v[2:3], 0, 0
	v_add_u32_e32 v8, -1, v156
	v_add_u32_e32 v9, 0x180, v12
	v_add_u32_e32 v10, 0, v12
	s_mov_b64 s[8:9], 0
	v_pk_mov_b32 v[4:5], v[2:3], v[2:3] op_sel:[0,1]
.LBB87_65:                              ; =>This Inner Loop Header: Depth=1
	buffer_load_dword v18, v10, s[0:3], 0 offen offset:8
	buffer_load_dword v19, v10, s[0:3], 0 offen offset:12
	buffer_load_dword v20, v10, s[0:3], 0 offen
	buffer_load_dword v21, v10, s[0:3], 0 offen offset:4
	ds_read_b128 v[14:17], v9
	v_add_u32_e32 v8, 1, v8
	v_cmp_lt_u32_e32 vcc, 11, v8
	v_add_u32_e32 v9, 16, v9
	v_add_u32_e32 v10, 16, v10
	s_or_b64 s[8:9], vcc, s[8:9]
	s_waitcnt vmcnt(2) lgkmcnt(0)
	v_mul_f64 v[70:71], v[16:17], v[18:19]
	v_mul_f64 v[18:19], v[14:15], v[18:19]
	s_waitcnt vmcnt(0)
	v_fma_f64 v[14:15], v[14:15], v[20:21], -v[70:71]
	v_fmac_f64_e32 v[18:19], v[16:17], v[20:21]
	v_add_f64 v[4:5], v[4:5], v[14:15]
	v_add_f64 v[2:3], v[2:3], v[18:19]
	s_andn2_b64 exec, exec, s[8:9]
	s_cbranch_execnz .LBB87_65
; %bb.66:
	s_or_b64 exec, exec, s[8:9]
	v_mov_b32_e32 v8, 0
	ds_read_b128 v[8:11], v8 offset:208
	s_waitcnt lgkmcnt(0)
	v_mul_f64 v[14:15], v[2:3], v[10:11]
	v_mul_f64 v[10:11], v[4:5], v[10:11]
	v_fma_f64 v[4:5], v[4:5], v[8:9], -v[14:15]
	v_fmac_f64_e32 v[10:11], v[2:3], v[8:9]
	buffer_store_dword v5, off, s[0:3], 0 offset:212
	buffer_store_dword v4, off, s[0:3], 0 offset:208
	buffer_store_dword v11, off, s[0:3], 0 offset:220
	buffer_store_dword v10, off, s[0:3], 0 offset:216
.LBB87_67:
	s_or_b64 exec, exec, s[6:7]
	v_accvgpr_read_b32 v5, a11
	s_waitcnt lgkmcnt(0)
	; wave barrier
	buffer_load_dword v2, v5, s[0:3], 0 offen
	buffer_load_dword v3, v5, s[0:3], 0 offen offset:4
	buffer_load_dword v4, v5, s[0:3], 0 offen offset:8
	s_nop 0
	buffer_load_dword v5, v5, s[0:3], 0 offen offset:12
	v_cmp_gt_u32_e32 vcc, 14, v156
	s_waitcnt vmcnt(0)
	ds_write_b128 v6, v[2:5]
	s_waitcnt lgkmcnt(0)
	; wave barrier
	s_waitcnt lgkmcnt(0)
	s_and_saveexec_b64 s[6:7], vcc
	s_cbranch_execz .LBB87_71
; %bb.68:
	v_pk_mov_b32 v[2:3], 0, 0
	v_add_u32_e32 v8, -1, v156
	v_add_u32_e32 v9, 0x180, v12
	v_add_u32_e32 v10, 0, v12
	s_mov_b64 s[8:9], 0
	v_pk_mov_b32 v[4:5], v[2:3], v[2:3] op_sel:[0,1]
.LBB87_69:                              ; =>This Inner Loop Header: Depth=1
	buffer_load_dword v18, v10, s[0:3], 0 offen offset:8
	buffer_load_dword v19, v10, s[0:3], 0 offen offset:12
	buffer_load_dword v20, v10, s[0:3], 0 offen
	buffer_load_dword v21, v10, s[0:3], 0 offen offset:4
	ds_read_b128 v[14:17], v9
	v_add_u32_e32 v8, 1, v8
	v_cmp_lt_u32_e32 vcc, 12, v8
	v_add_u32_e32 v9, 16, v9
	v_add_u32_e32 v10, 16, v10
	s_or_b64 s[8:9], vcc, s[8:9]
	s_waitcnt vmcnt(2) lgkmcnt(0)
	v_mul_f64 v[70:71], v[16:17], v[18:19]
	v_mul_f64 v[18:19], v[14:15], v[18:19]
	s_waitcnt vmcnt(0)
	v_fma_f64 v[14:15], v[14:15], v[20:21], -v[70:71]
	v_fmac_f64_e32 v[18:19], v[16:17], v[20:21]
	v_add_f64 v[4:5], v[4:5], v[14:15]
	v_add_f64 v[2:3], v[2:3], v[18:19]
	s_andn2_b64 exec, exec, s[8:9]
	s_cbranch_execnz .LBB87_69
; %bb.70:
	s_or_b64 exec, exec, s[8:9]
	v_mov_b32_e32 v8, 0
	ds_read_b128 v[8:11], v8 offset:224
	s_waitcnt lgkmcnt(0)
	v_mul_f64 v[14:15], v[2:3], v[10:11]
	v_mul_f64 v[10:11], v[4:5], v[10:11]
	v_fma_f64 v[4:5], v[4:5], v[8:9], -v[14:15]
	v_fmac_f64_e32 v[10:11], v[2:3], v[8:9]
	buffer_store_dword v5, off, s[0:3], 0 offset:228
	buffer_store_dword v4, off, s[0:3], 0 offset:224
	buffer_store_dword v11, off, s[0:3], 0 offset:236
	buffer_store_dword v10, off, s[0:3], 0 offset:232
.LBB87_71:
	s_or_b64 exec, exec, s[6:7]
	v_accvgpr_read_b32 v5, a7
	s_waitcnt lgkmcnt(0)
	; wave barrier
	buffer_load_dword v2, v5, s[0:3], 0 offen
	buffer_load_dword v3, v5, s[0:3], 0 offen offset:4
	buffer_load_dword v4, v5, s[0:3], 0 offen offset:8
	s_nop 0
	buffer_load_dword v5, v5, s[0:3], 0 offen offset:12
	;; [unrolled: 59-line block ×9, first 2 shown]
	v_cmp_gt_u32_e32 vcc, 22, v156
	s_waitcnt vmcnt(0)
	ds_write_b128 v6, v[2:5]
	s_waitcnt lgkmcnt(0)
	; wave barrier
	s_waitcnt lgkmcnt(0)
	s_and_saveexec_b64 s[6:7], vcc
	s_cbranch_execz .LBB87_103
; %bb.100:
	v_pk_mov_b32 v[2:3], 0, 0
	v_add_u32_e32 v8, -1, v156
	v_add_u32_e32 v9, 0x180, v12
	v_add_u32_e32 v10, 0, v12
	s_mov_b64 s[8:9], 0
	v_pk_mov_b32 v[4:5], v[2:3], v[2:3] op_sel:[0,1]
.LBB87_101:                             ; =>This Inner Loop Header: Depth=1
	buffer_load_dword v18, v10, s[0:3], 0 offen offset:8
	buffer_load_dword v19, v10, s[0:3], 0 offen offset:12
	buffer_load_dword v20, v10, s[0:3], 0 offen
	buffer_load_dword v21, v10, s[0:3], 0 offen offset:4
	ds_read_b128 v[14:17], v9
	v_add_u32_e32 v8, 1, v8
	v_cmp_lt_u32_e32 vcc, 20, v8
	v_add_u32_e32 v9, 16, v9
	v_add_u32_e32 v10, 16, v10
	s_or_b64 s[8:9], vcc, s[8:9]
	s_waitcnt vmcnt(2) lgkmcnt(0)
	v_mul_f64 v[70:71], v[16:17], v[18:19]
	v_mul_f64 v[18:19], v[14:15], v[18:19]
	s_waitcnt vmcnt(0)
	v_fma_f64 v[14:15], v[14:15], v[20:21], -v[70:71]
	v_fmac_f64_e32 v[18:19], v[16:17], v[20:21]
	v_add_f64 v[4:5], v[4:5], v[14:15]
	v_add_f64 v[2:3], v[2:3], v[18:19]
	s_andn2_b64 exec, exec, s[8:9]
	s_cbranch_execnz .LBB87_101
; %bb.102:
	s_or_b64 exec, exec, s[8:9]
	v_mov_b32_e32 v8, 0
	ds_read_b128 v[8:11], v8 offset:352
	s_waitcnt lgkmcnt(0)
	v_mul_f64 v[14:15], v[2:3], v[10:11]
	v_mul_f64 v[10:11], v[4:5], v[10:11]
	v_fma_f64 v[4:5], v[4:5], v[8:9], -v[14:15]
	v_fmac_f64_e32 v[10:11], v[2:3], v[8:9]
	buffer_store_dword v5, off, s[0:3], 0 offset:356
	buffer_store_dword v4, off, s[0:3], 0 offset:352
	;; [unrolled: 1-line block ×4, first 2 shown]
.LBB87_103:
	s_or_b64 exec, exec, s[6:7]
	v_accvgpr_read_b32 v5, a0
	s_waitcnt lgkmcnt(0)
	; wave barrier
	buffer_load_dword v2, v5, s[0:3], 0 offen
	buffer_load_dword v3, v5, s[0:3], 0 offen offset:4
	buffer_load_dword v4, v5, s[0:3], 0 offen offset:8
	s_nop 0
	buffer_load_dword v5, v5, s[0:3], 0 offen offset:12
	v_cmp_ne_u32_e32 vcc, 23, v156
	s_waitcnt vmcnt(0)
	ds_write_b128 v6, v[2:5]
	s_waitcnt lgkmcnt(0)
	; wave barrier
	s_waitcnt lgkmcnt(0)
	s_and_saveexec_b64 s[6:7], vcc
	s_cbranch_execz .LBB87_107
; %bb.104:
	v_pk_mov_b32 v[2:3], 0, 0
	v_add_u32_e32 v6, 0x180, v12
	v_add_u32_e32 v8, 0, v12
	s_mov_b64 s[8:9], 0
	v_pk_mov_b32 v[4:5], v[2:3], v[2:3] op_sel:[0,1]
.LBB87_105:                             ; =>This Inner Loop Header: Depth=1
	buffer_load_dword v14, v8, s[0:3], 0 offen offset:8
	buffer_load_dword v15, v8, s[0:3], 0 offen offset:12
	buffer_load_dword v16, v8, s[0:3], 0 offen
	buffer_load_dword v17, v8, s[0:3], 0 offen offset:4
	ds_read_b128 v[10:13], v6
	v_add_u32_e32 v7, 1, v7
	v_cmp_lt_u32_e32 vcc, 21, v7
	v_add_u32_e32 v6, 16, v6
	v_add_u32_e32 v8, 16, v8
	s_or_b64 s[8:9], vcc, s[8:9]
	s_waitcnt vmcnt(2) lgkmcnt(0)
	v_mul_f64 v[18:19], v[12:13], v[14:15]
	v_mul_f64 v[14:15], v[10:11], v[14:15]
	s_waitcnt vmcnt(0)
	v_fma_f64 v[10:11], v[10:11], v[16:17], -v[18:19]
	v_fmac_f64_e32 v[14:15], v[12:13], v[16:17]
	v_add_f64 v[4:5], v[4:5], v[10:11]
	v_add_f64 v[2:3], v[2:3], v[14:15]
	s_andn2_b64 exec, exec, s[8:9]
	s_cbranch_execnz .LBB87_105
; %bb.106:
	s_or_b64 exec, exec, s[8:9]
	v_mov_b32_e32 v6, 0
	ds_read_b128 v[6:9], v6 offset:368
	s_waitcnt lgkmcnt(0)
	v_mul_f64 v[10:11], v[2:3], v[8:9]
	v_mul_f64 v[8:9], v[4:5], v[8:9]
	v_fma_f64 v[4:5], v[4:5], v[6:7], -v[10:11]
	v_fmac_f64_e32 v[8:9], v[2:3], v[6:7]
	buffer_store_dword v5, off, s[0:3], 0 offset:372
	buffer_store_dword v4, off, s[0:3], 0 offset:368
	;; [unrolled: 1-line block ×4, first 2 shown]
.LBB87_107:
	s_or_b64 exec, exec, s[6:7]
	s_mov_b64 s[8:9], -1
	s_waitcnt lgkmcnt(0)
	; wave barrier
.LBB87_108:
	s_and_b64 vcc, exec, s[8:9]
	s_cbranch_vccz .LBB87_110
; %bb.109:
	s_lshl_b64 s[6:7], s[10:11], 2
	s_add_u32 s6, s14, s6
	s_addc_u32 s7, s15, s7
	v_mov_b32_e32 v2, 0
	global_load_dword v2, v2, s[6:7]
	s_waitcnt vmcnt(0)
	v_cmp_ne_u32_e32 vcc, 0, v2
	s_cbranch_vccz .LBB87_111
.LBB87_110:
	s_endpgm
.LBB87_111:
	v_mov_b32_e32 v2, 0x180
	v_lshl_add_u32 v157, v156, 4, v2
	v_cmp_eq_u32_e32 vcc, 23, v156
	s_and_saveexec_b64 s[6:7], vcc
	s_cbranch_execz .LBB87_113
; %bb.112:
	v_accvgpr_read_b32 v5, a1
	buffer_load_dword v2, v5, s[0:3], 0 offen
	buffer_load_dword v3, v5, s[0:3], 0 offen offset:4
	buffer_load_dword v4, v5, s[0:3], 0 offen offset:8
	s_nop 0
	buffer_load_dword v5, v5, s[0:3], 0 offen offset:12
	v_mov_b32_e32 v6, 0
	buffer_store_dword v6, off, s[0:3], 0 offset:352
	buffer_store_dword v6, off, s[0:3], 0 offset:356
	buffer_store_dword v6, off, s[0:3], 0 offset:360
	buffer_store_dword v6, off, s[0:3], 0 offset:364
	s_waitcnt vmcnt(4)
	ds_write_b128 v157, v[2:5]
.LBB87_113:
	s_or_b64 exec, exec, s[6:7]
	s_waitcnt lgkmcnt(0)
	; wave barrier
	s_waitcnt lgkmcnt(0)
	buffer_load_dword v8, off, s[0:3], 0 offset:376
	buffer_load_dword v9, off, s[0:3], 0 offset:380
	;; [unrolled: 1-line block ×8, first 2 shown]
	v_mov_b32_e32 v2, 0
	ds_read_b128 v[4:7], v2 offset:752
	v_cmp_lt_u32_e32 vcc, 21, v156
	s_waitcnt vmcnt(6) lgkmcnt(0)
	v_mul_f64 v[16:17], v[4:5], v[8:9]
	v_mul_f64 v[8:9], v[6:7], v[8:9]
	s_waitcnt vmcnt(4)
	v_fma_f64 v[4:5], v[4:5], v[10:11], -v[8:9]
	v_fmac_f64_e32 v[16:17], v[6:7], v[10:11]
	v_add_f64 v[4:5], v[4:5], 0
	v_add_f64 v[6:7], v[16:17], 0
	s_waitcnt vmcnt(2)
	v_add_f64 v[4:5], v[12:13], -v[4:5]
	s_waitcnt vmcnt(0)
	v_add_f64 v[6:7], v[14:15], -v[6:7]
	buffer_store_dword v4, off, s[0:3], 0 offset:352
	buffer_store_dword v5, off, s[0:3], 0 offset:356
	buffer_store_dword v6, off, s[0:3], 0 offset:360
	buffer_store_dword v7, off, s[0:3], 0 offset:364
	s_and_saveexec_b64 s[6:7], vcc
	s_cbranch_execz .LBB87_115
; %bb.114:
	v_accvgpr_read_b32 v3, a2
	buffer_load_dword v4, v3, s[0:3], 0 offen
	buffer_load_dword v5, v3, s[0:3], 0 offen offset:4
	buffer_load_dword v6, v3, s[0:3], 0 offen offset:8
	;; [unrolled: 1-line block ×3, first 2 shown]
	s_nop 0
	buffer_store_dword v2, off, s[0:3], 0 offset:336
	buffer_store_dword v2, off, s[0:3], 0 offset:340
	;; [unrolled: 1-line block ×4, first 2 shown]
	s_waitcnt vmcnt(4)
	ds_write_b128 v157, v[4:7]
.LBB87_115:
	s_or_b64 exec, exec, s[6:7]
	s_waitcnt lgkmcnt(0)
	; wave barrier
	s_waitcnt lgkmcnt(0)
	buffer_load_dword v12, off, s[0:3], 0 offset:360
	buffer_load_dword v13, off, s[0:3], 0 offset:364
	;; [unrolled: 1-line block ×12, first 2 shown]
	ds_read_b128 v[4:7], v2 offset:736
	ds_read_b128 v[8:11], v2 offset:752
	v_cmp_lt_u32_e32 vcc, 20, v156
	s_waitcnt vmcnt(10) lgkmcnt(1)
	v_mul_f64 v[2:3], v[4:5], v[12:13]
	v_mul_f64 v[12:13], v[6:7], v[12:13]
	s_waitcnt vmcnt(8) lgkmcnt(0)
	v_mul_f64 v[72:73], v[8:9], v[14:15]
	v_mul_f64 v[14:15], v[10:11], v[14:15]
	s_waitcnt vmcnt(6)
	v_fma_f64 v[4:5], v[4:5], v[16:17], -v[12:13]
	v_fmac_f64_e32 v[2:3], v[6:7], v[16:17]
	s_waitcnt vmcnt(4)
	v_fma_f64 v[6:7], v[8:9], v[18:19], -v[14:15]
	v_add_f64 v[4:5], v[4:5], 0
	v_fmac_f64_e32 v[72:73], v[10:11], v[18:19]
	v_add_f64 v[2:3], v[2:3], 0
	v_add_f64 v[4:5], v[4:5], v[6:7]
	;; [unrolled: 1-line block ×3, first 2 shown]
	s_waitcnt vmcnt(2)
	v_add_f64 v[4:5], v[20:21], -v[4:5]
	s_waitcnt vmcnt(0)
	v_add_f64 v[2:3], v[70:71], -v[2:3]
	buffer_store_dword v4, off, s[0:3], 0 offset:336
	buffer_store_dword v5, off, s[0:3], 0 offset:340
	;; [unrolled: 1-line block ×4, first 2 shown]
	s_and_saveexec_b64 s[6:7], vcc
	s_cbranch_execz .LBB87_117
; %bb.116:
	v_accvgpr_read_b32 v5, a3
	buffer_load_dword v2, v5, s[0:3], 0 offen
	buffer_load_dword v3, v5, s[0:3], 0 offen offset:4
	buffer_load_dword v4, v5, s[0:3], 0 offen offset:8
	s_nop 0
	buffer_load_dword v5, v5, s[0:3], 0 offen offset:12
	v_mov_b32_e32 v6, 0
	buffer_store_dword v6, off, s[0:3], 0 offset:320
	buffer_store_dword v6, off, s[0:3], 0 offset:324
	;; [unrolled: 1-line block ×4, first 2 shown]
	s_waitcnt vmcnt(4)
	ds_write_b128 v157, v[2:5]
.LBB87_117:
	s_or_b64 exec, exec, s[6:7]
	s_waitcnt lgkmcnt(0)
	; wave barrier
	s_waitcnt lgkmcnt(0)
	buffer_load_dword v16, off, s[0:3], 0 offset:344
	buffer_load_dword v17, off, s[0:3], 0 offset:348
	;; [unrolled: 1-line block ×16, first 2 shown]
	v_mov_b32_e32 v2, 0
	ds_read_b128 v[4:7], v2 offset:720
	ds_read_b128 v[8:11], v2 offset:736
	;; [unrolled: 1-line block ×3, first 2 shown]
	v_cmp_lt_u32_e32 vcc, 19, v156
	s_waitcnt vmcnt(14) lgkmcnt(2)
	v_mul_f64 v[80:81], v[4:5], v[16:17]
	v_mul_f64 v[16:17], v[6:7], v[16:17]
	s_waitcnt vmcnt(12) lgkmcnt(1)
	v_mul_f64 v[82:83], v[8:9], v[18:19]
	v_mul_f64 v[18:19], v[10:11], v[18:19]
	;; [unrolled: 3-line block ×3, first 2 shown]
	s_waitcnt vmcnt(8)
	v_fma_f64 v[4:5], v[4:5], v[70:71], -v[16:17]
	v_fmac_f64_e32 v[80:81], v[6:7], v[70:71]
	s_waitcnt vmcnt(6)
	v_fma_f64 v[6:7], v[8:9], v[72:73], -v[18:19]
	v_add_f64 v[4:5], v[4:5], 0
	v_fmac_f64_e32 v[82:83], v[10:11], v[72:73]
	s_waitcnt vmcnt(4)
	v_fma_f64 v[8:9], v[12:13], v[74:75], -v[20:21]
	v_add_f64 v[10:11], v[80:81], 0
	v_add_f64 v[4:5], v[4:5], v[6:7]
	v_fmac_f64_e32 v[84:85], v[14:15], v[74:75]
	v_add_f64 v[10:11], v[10:11], v[82:83]
	v_add_f64 v[4:5], v[4:5], v[8:9]
	;; [unrolled: 1-line block ×3, first 2 shown]
	s_waitcnt vmcnt(2)
	v_add_f64 v[4:5], v[76:77], -v[4:5]
	s_waitcnt vmcnt(0)
	v_add_f64 v[6:7], v[78:79], -v[6:7]
	buffer_store_dword v4, off, s[0:3], 0 offset:320
	buffer_store_dword v5, off, s[0:3], 0 offset:324
	;; [unrolled: 1-line block ×4, first 2 shown]
	s_and_saveexec_b64 s[6:7], vcc
	s_cbranch_execz .LBB87_119
; %bb.118:
	v_accvgpr_read_b32 v3, a4
	buffer_load_dword v4, v3, s[0:3], 0 offen
	buffer_load_dword v5, v3, s[0:3], 0 offen offset:4
	buffer_load_dword v6, v3, s[0:3], 0 offen offset:8
	;; [unrolled: 1-line block ×3, first 2 shown]
	s_nop 0
	buffer_store_dword v2, off, s[0:3], 0 offset:304
	buffer_store_dword v2, off, s[0:3], 0 offset:308
	;; [unrolled: 1-line block ×4, first 2 shown]
	s_waitcnt vmcnt(4)
	ds_write_b128 v157, v[4:7]
.LBB87_119:
	s_or_b64 exec, exec, s[6:7]
	s_waitcnt lgkmcnt(0)
	; wave barrier
	s_waitcnt lgkmcnt(0)
	buffer_load_dword v20, off, s[0:3], 0 offset:328
	buffer_load_dword v21, off, s[0:3], 0 offset:332
	;; [unrolled: 1-line block ×20, first 2 shown]
	ds_read_b128 v[4:7], v2 offset:704
	ds_read_b128 v[8:11], v2 offset:720
	;; [unrolled: 1-line block ×4, first 2 shown]
	v_cmp_lt_u32_e32 vcc, 18, v156
	s_waitcnt vmcnt(18) lgkmcnt(3)
	v_mul_f64 v[2:3], v[4:5], v[20:21]
	v_mul_f64 v[20:21], v[6:7], v[20:21]
	s_waitcnt vmcnt(16) lgkmcnt(2)
	v_mul_f64 v[88:89], v[8:9], v[70:71]
	v_mul_f64 v[70:71], v[10:11], v[70:71]
	;; [unrolled: 3-line block ×4, first 2 shown]
	s_waitcnt vmcnt(10)
	v_fma_f64 v[4:5], v[4:5], v[76:77], -v[20:21]
	v_fmac_f64_e32 v[2:3], v[6:7], v[76:77]
	s_waitcnt vmcnt(8)
	v_fma_f64 v[6:7], v[8:9], v[78:79], -v[70:71]
	v_add_f64 v[4:5], v[4:5], 0
	v_fmac_f64_e32 v[88:89], v[10:11], v[78:79]
	s_waitcnt vmcnt(6)
	v_fma_f64 v[8:9], v[12:13], v[80:81], -v[72:73]
	v_add_f64 v[2:3], v[2:3], 0
	v_add_f64 v[4:5], v[4:5], v[6:7]
	v_fmac_f64_e32 v[90:91], v[14:15], v[80:81]
	s_waitcnt vmcnt(4)
	v_fma_f64 v[10:11], v[16:17], v[82:83], -v[74:75]
	v_add_f64 v[2:3], v[2:3], v[88:89]
	v_add_f64 v[4:5], v[4:5], v[8:9]
	v_fmac_f64_e32 v[92:93], v[18:19], v[82:83]
	v_add_f64 v[2:3], v[2:3], v[90:91]
	v_add_f64 v[4:5], v[4:5], v[10:11]
	;; [unrolled: 1-line block ×3, first 2 shown]
	s_waitcnt vmcnt(2)
	v_add_f64 v[4:5], v[84:85], -v[4:5]
	s_waitcnt vmcnt(0)
	v_add_f64 v[2:3], v[86:87], -v[2:3]
	buffer_store_dword v4, off, s[0:3], 0 offset:304
	buffer_store_dword v5, off, s[0:3], 0 offset:308
	buffer_store_dword v2, off, s[0:3], 0 offset:312
	buffer_store_dword v3, off, s[0:3], 0 offset:316
	s_and_saveexec_b64 s[6:7], vcc
	s_cbranch_execz .LBB87_121
; %bb.120:
	v_accvgpr_read_b32 v5, a5
	buffer_load_dword v2, v5, s[0:3], 0 offen
	buffer_load_dword v3, v5, s[0:3], 0 offen offset:4
	buffer_load_dword v4, v5, s[0:3], 0 offen offset:8
	s_nop 0
	buffer_load_dword v5, v5, s[0:3], 0 offen offset:12
	v_mov_b32_e32 v6, 0
	buffer_store_dword v6, off, s[0:3], 0 offset:288
	buffer_store_dword v6, off, s[0:3], 0 offset:292
	;; [unrolled: 1-line block ×4, first 2 shown]
	s_waitcnt vmcnt(4)
	ds_write_b128 v157, v[2:5]
.LBB87_121:
	s_or_b64 exec, exec, s[6:7]
	v_mov_b32_e32 v2, 0
	s_waitcnt lgkmcnt(0)
	; wave barrier
	s_waitcnt lgkmcnt(0)
	ds_read_b128 v[4:7], v2 offset:688
	ds_read_b128 v[8:11], v2 offset:704
	;; [unrolled: 1-line block ×4, first 2 shown]
	buffer_load_dword v20, off, s[0:3], 0 offset:288
	buffer_load_dword v21, off, s[0:3], 0 offset:292
	;; [unrolled: 1-line block ×20, first 2 shown]
	v_cmp_lt_u32_e32 vcc, 17, v156
	s_waitcnt vmcnt(12) lgkmcnt(3)
	v_mul_f64 v[70:71], v[4:5], v[78:79]
	v_fmac_f64_e32 v[70:71], v[6:7], v[76:77]
	v_add_f64 v[70:71], v[70:71], 0
	v_mul_f64 v[6:7], v[6:7], v[78:79]
	s_waitcnt vmcnt(8) lgkmcnt(2)
	v_mul_f64 v[72:73], v[8:9], v[82:83]
	v_fmac_f64_e32 v[72:73], v[10:11], v[80:81]
	v_add_f64 v[70:71], v[70:71], v[72:73]
	v_fma_f64 v[4:5], v[4:5], v[76:77], -v[6:7]
	s_waitcnt vmcnt(4) lgkmcnt(1)
	v_mul_f64 v[72:73], v[12:13], v[86:87]
	v_fmac_f64_e32 v[72:73], v[14:15], v[84:85]
	v_add_f64 v[70:71], v[70:71], v[72:73]
	s_waitcnt vmcnt(0) lgkmcnt(0)
	v_mul_f64 v[72:73], v[16:17], v[90:91]
	v_fmac_f64_e32 v[72:73], v[18:19], v[88:89]
	v_add_f64 v[92:93], v[70:71], v[72:73]
	ds_read_b128 v[70:73], v2 offset:752
	buffer_load_dword v95, off, s[0:3], 0 offset:372
	buffer_load_dword v94, off, s[0:3], 0 offset:368
	buffer_load_dword v97, off, s[0:3], 0 offset:380
	buffer_load_dword v96, off, s[0:3], 0 offset:376
	v_mul_f64 v[6:7], v[10:11], v[82:83]
	v_add_f64 v[4:5], v[4:5], 0
	v_fma_f64 v[6:7], v[8:9], v[80:81], -v[6:7]
	v_add_f64 v[4:5], v[4:5], v[6:7]
	v_mul_f64 v[6:7], v[14:15], v[86:87]
	v_fma_f64 v[6:7], v[12:13], v[84:85], -v[6:7]
	v_add_f64 v[4:5], v[4:5], v[6:7]
	v_mul_f64 v[6:7], v[18:19], v[90:91]
	v_fma_f64 v[6:7], v[16:17], v[88:89], -v[6:7]
	v_add_f64 v[4:5], v[4:5], v[6:7]
	s_waitcnt vmcnt(0) lgkmcnt(0)
	v_mul_f64 v[6:7], v[72:73], v[96:97]
	v_mul_f64 v[98:99], v[70:71], v[96:97]
	v_fma_f64 v[6:7], v[70:71], v[94:95], -v[6:7]
	v_fmac_f64_e32 v[98:99], v[72:73], v[94:95]
	v_add_f64 v[4:5], v[4:5], v[6:7]
	v_add_f64 v[92:93], v[92:93], v[98:99]
	v_add_f64 v[4:5], v[20:21], -v[4:5]
	v_add_f64 v[6:7], v[74:75], -v[92:93]
	buffer_store_dword v5, off, s[0:3], 0 offset:292
	buffer_store_dword v4, off, s[0:3], 0 offset:288
	buffer_store_dword v7, off, s[0:3], 0 offset:300
	buffer_store_dword v6, off, s[0:3], 0 offset:296
	s_and_saveexec_b64 s[6:7], vcc
	s_cbranch_execz .LBB87_123
; %bb.122:
	v_accvgpr_read_b32 v3, a6
	buffer_load_dword v4, v3, s[0:3], 0 offen
	buffer_load_dword v5, v3, s[0:3], 0 offen offset:4
	buffer_load_dword v6, v3, s[0:3], 0 offen offset:8
	;; [unrolled: 1-line block ×3, first 2 shown]
	s_nop 0
	buffer_store_dword v2, off, s[0:3], 0 offset:272
	buffer_store_dword v2, off, s[0:3], 0 offset:276
	;; [unrolled: 1-line block ×4, first 2 shown]
	s_waitcnt vmcnt(4)
	ds_write_b128 v157, v[4:7]
.LBB87_123:
	s_or_b64 exec, exec, s[6:7]
	s_waitcnt lgkmcnt(0)
	; wave barrier
	s_waitcnt lgkmcnt(0)
	buffer_load_dword v20, off, s[0:3], 0 offset:296
	buffer_load_dword v21, off, s[0:3], 0 offset:300
	;; [unrolled: 1-line block ×28, first 2 shown]
	ds_read_b128 v[4:7], v2 offset:672
	ds_read_b128 v[8:11], v2 offset:688
	;; [unrolled: 1-line block ×6, first 2 shown]
	v_cmp_lt_u32_e32 vcc, 16, v156
	s_waitcnt vmcnt(26) lgkmcnt(5)
	v_mul_f64 v[2:3], v[4:5], v[20:21]
	v_mul_f64 v[20:21], v[6:7], v[20:21]
	s_waitcnt vmcnt(24) lgkmcnt(4)
	v_mul_f64 v[104:105], v[8:9], v[78:79]
	v_mul_f64 v[78:79], v[10:11], v[78:79]
	;; [unrolled: 3-line block ×4, first 2 shown]
	s_waitcnt vmcnt(17)
	v_mul_f64 v[108:109], v[16:17], v[86:87]
	v_mul_f64 v[86:87], v[18:19], v[86:87]
	s_waitcnt vmcnt(15) lgkmcnt(0)
	v_mul_f64 v[112:113], v[74:75], v[88:89]
	v_mul_f64 v[88:89], v[76:77], v[88:89]
	s_waitcnt vmcnt(14)
	v_fmac_f64_e32 v[110:111], v[72:73], v[84:85]
	s_waitcnt vmcnt(12)
	v_fma_f64 v[4:5], v[4:5], v[90:91], -v[20:21]
	v_fmac_f64_e32 v[2:3], v[6:7], v[90:91]
	s_waitcnt vmcnt(10)
	v_fma_f64 v[6:7], v[8:9], v[92:93], -v[78:79]
	v_add_f64 v[4:5], v[4:5], 0
	v_fmac_f64_e32 v[104:105], v[10:11], v[92:93]
	s_waitcnt vmcnt(8)
	v_fma_f64 v[8:9], v[12:13], v[94:95], -v[80:81]
	v_add_f64 v[2:3], v[2:3], 0
	v_add_f64 v[4:5], v[4:5], v[6:7]
	v_fmac_f64_e32 v[106:107], v[14:15], v[94:95]
	s_waitcnt vmcnt(6)
	v_fma_f64 v[10:11], v[16:17], v[96:97], -v[86:87]
	v_add_f64 v[2:3], v[2:3], v[104:105]
	v_add_f64 v[4:5], v[4:5], v[8:9]
	v_fmac_f64_e32 v[108:109], v[18:19], v[96:97]
	v_fma_f64 v[12:13], v[70:71], v[84:85], -v[82:83]
	v_add_f64 v[2:3], v[2:3], v[106:107]
	v_add_f64 v[4:5], v[4:5], v[10:11]
	s_waitcnt vmcnt(4)
	v_fma_f64 v[14:15], v[74:75], v[98:99], -v[88:89]
	v_add_f64 v[2:3], v[2:3], v[108:109]
	v_add_f64 v[4:5], v[4:5], v[12:13]
	v_fmac_f64_e32 v[112:113], v[76:77], v[98:99]
	v_add_f64 v[2:3], v[2:3], v[110:111]
	v_add_f64 v[4:5], v[4:5], v[14:15]
	;; [unrolled: 1-line block ×3, first 2 shown]
	s_waitcnt vmcnt(2)
	v_add_f64 v[4:5], v[100:101], -v[4:5]
	s_waitcnt vmcnt(0)
	v_add_f64 v[2:3], v[102:103], -v[2:3]
	buffer_store_dword v5, off, s[0:3], 0 offset:276
	buffer_store_dword v4, off, s[0:3], 0 offset:272
	;; [unrolled: 1-line block ×4, first 2 shown]
	s_and_saveexec_b64 s[6:7], vcc
	s_cbranch_execz .LBB87_125
; %bb.124:
	v_accvgpr_read_b32 v5, a8
	buffer_load_dword v2, v5, s[0:3], 0 offen
	buffer_load_dword v3, v5, s[0:3], 0 offen offset:4
	buffer_load_dword v4, v5, s[0:3], 0 offen offset:8
	s_nop 0
	buffer_load_dword v5, v5, s[0:3], 0 offen offset:12
	v_mov_b32_e32 v6, 0
	buffer_store_dword v6, off, s[0:3], 0 offset:256
	buffer_store_dword v6, off, s[0:3], 0 offset:260
	buffer_store_dword v6, off, s[0:3], 0 offset:264
	buffer_store_dword v6, off, s[0:3], 0 offset:268
	s_waitcnt vmcnt(4)
	ds_write_b128 v157, v[2:5]
.LBB87_125:
	s_or_b64 exec, exec, s[6:7]
	s_waitcnt lgkmcnt(0)
	; wave barrier
	s_waitcnt lgkmcnt(0)
	buffer_load_dword v20, off, s[0:3], 0 offset:280
	buffer_load_dword v21, off, s[0:3], 0 offset:284
	;; [unrolled: 1-line block ×32, first 2 shown]
	v_mov_b32_e32 v2, 0
	ds_read_b128 v[4:7], v2 offset:656
	ds_read_b128 v[8:11], v2 offset:672
	;; [unrolled: 1-line block ×7, first 2 shown]
	v_cmp_lt_u32_e32 vcc, 15, v156
	s_waitcnt vmcnt(30) lgkmcnt(6)
	v_mul_f64 v[112:113], v[4:5], v[20:21]
	v_mul_f64 v[20:21], v[6:7], v[20:21]
	s_waitcnt vmcnt(28) lgkmcnt(5)
	v_mul_f64 v[114:115], v[8:9], v[82:83]
	v_mul_f64 v[82:83], v[10:11], v[82:83]
	;; [unrolled: 3-line block ×4, first 2 shown]
	s_waitcnt vmcnt(21)
	v_mul_f64 v[118:119], v[16:17], v[90:91]
	v_mul_f64 v[90:91], v[18:19], v[90:91]
	s_waitcnt vmcnt(17) lgkmcnt(1)
	v_mul_f64 v[122:123], v[74:75], v[96:97]
	v_mul_f64 v[96:97], v[76:77], v[96:97]
	s_waitcnt vmcnt(16) lgkmcnt(0)
	v_mul_f64 v[124:125], v[78:79], v[92:93]
	v_mul_f64 v[92:93], v[80:81], v[92:93]
	s_waitcnt vmcnt(13)
	v_fma_f64 v[4:5], v[4:5], v[98:99], -v[20:21]
	v_fmac_f64_e32 v[112:113], v[6:7], v[98:99]
	s_waitcnt vmcnt(11)
	v_fma_f64 v[6:7], v[8:9], v[100:101], -v[82:83]
	v_add_f64 v[4:5], v[4:5], 0
	v_fmac_f64_e32 v[114:115], v[10:11], v[100:101]
	s_waitcnt vmcnt(9)
	v_fma_f64 v[8:9], v[12:13], v[102:103], -v[84:85]
	s_waitcnt vmcnt(7)
	v_fmac_f64_e32 v[118:119], v[18:19], v[104:105]
	v_add_f64 v[18:19], v[112:113], 0
	v_add_f64 v[4:5], v[4:5], v[6:7]
	v_fmac_f64_e32 v[116:117], v[14:15], v[102:103]
	v_fma_f64 v[10:11], v[16:17], v[104:105], -v[90:91]
	v_add_f64 v[18:19], v[18:19], v[114:115]
	v_add_f64 v[4:5], v[4:5], v[8:9]
	v_fma_f64 v[12:13], v[70:71], v[88:89], -v[86:87]
	v_add_f64 v[6:7], v[18:19], v[116:117]
	v_add_f64 v[4:5], v[4:5], v[10:11]
	v_fmac_f64_e32 v[120:121], v[72:73], v[88:89]
	s_waitcnt vmcnt(5)
	v_fma_f64 v[14:15], v[74:75], v[106:107], -v[96:97]
	v_add_f64 v[6:7], v[6:7], v[118:119]
	v_add_f64 v[4:5], v[4:5], v[12:13]
	v_fmac_f64_e32 v[122:123], v[76:77], v[106:107]
	s_waitcnt vmcnt(4)
	v_fma_f64 v[16:17], v[78:79], v[94:95], -v[92:93]
	v_add_f64 v[6:7], v[6:7], v[120:121]
	v_add_f64 v[4:5], v[4:5], v[14:15]
	v_fmac_f64_e32 v[124:125], v[80:81], v[94:95]
	v_add_f64 v[6:7], v[6:7], v[122:123]
	v_add_f64 v[4:5], v[4:5], v[16:17]
	;; [unrolled: 1-line block ×3, first 2 shown]
	s_waitcnt vmcnt(2)
	v_add_f64 v[4:5], v[108:109], -v[4:5]
	s_waitcnt vmcnt(0)
	v_add_f64 v[6:7], v[110:111], -v[6:7]
	buffer_store_dword v5, off, s[0:3], 0 offset:260
	buffer_store_dword v4, off, s[0:3], 0 offset:256
	;; [unrolled: 1-line block ×4, first 2 shown]
	s_and_saveexec_b64 s[6:7], vcc
	s_cbranch_execz .LBB87_127
; %bb.126:
	v_accvgpr_read_b32 v3, a7
	buffer_load_dword v4, v3, s[0:3], 0 offen
	buffer_load_dword v5, v3, s[0:3], 0 offen offset:4
	buffer_load_dword v6, v3, s[0:3], 0 offen offset:8
	;; [unrolled: 1-line block ×3, first 2 shown]
	s_nop 0
	buffer_store_dword v2, off, s[0:3], 0 offset:240
	buffer_store_dword v2, off, s[0:3], 0 offset:244
	;; [unrolled: 1-line block ×4, first 2 shown]
	s_waitcnt vmcnt(4)
	ds_write_b128 v157, v[4:7]
.LBB87_127:
	s_or_b64 exec, exec, s[6:7]
	s_waitcnt lgkmcnt(0)
	; wave barrier
	s_waitcnt lgkmcnt(0)
	buffer_load_dword v20, off, s[0:3], 0 offset:264
	buffer_load_dword v21, off, s[0:3], 0 offset:268
	;; [unrolled: 1-line block ×36, first 2 shown]
	ds_read_b128 v[4:7], v2 offset:640
	ds_read_b128 v[8:11], v2 offset:656
	ds_read_b128 v[12:15], v2 offset:672
	ds_read_b128 v[16:19], v2 offset:688
	ds_read_b128 v[70:73], v2 offset:704
	ds_read_b128 v[74:77], v2 offset:720
	ds_read_b128 v[78:81], v2 offset:736
	ds_read_b128 v[82:85], v2 offset:752
	v_cmp_lt_u32_e32 vcc, 14, v156
	s_waitcnt vmcnt(34) lgkmcnt(7)
	v_mul_f64 v[2:3], v[4:5], v[20:21]
	v_mul_f64 v[20:21], v[6:7], v[20:21]
	s_waitcnt vmcnt(32) lgkmcnt(6)
	v_mul_f64 v[120:121], v[8:9], v[86:87]
	v_mul_f64 v[86:87], v[10:11], v[86:87]
	;; [unrolled: 3-line block ×4, first 2 shown]
	s_waitcnt vmcnt(25)
	v_mul_f64 v[124:125], v[16:17], v[94:95]
	v_mul_f64 v[94:95], v[18:19], v[94:95]
	s_waitcnt vmcnt(23) lgkmcnt(1)
	v_mul_f64 v[130:131], v[78:79], v[96:97]
	v_mul_f64 v[96:97], v[80:81], v[96:97]
	s_waitcnt vmcnt(20)
	v_mul_f64 v[128:129], v[74:75], v[100:101]
	v_mul_f64 v[100:101], v[76:77], v[100:101]
	s_waitcnt vmcnt(18) lgkmcnt(0)
	v_mul_f64 v[132:133], v[82:83], v[102:103]
	s_waitcnt vmcnt(17)
	v_fmac_f64_e32 v[126:127], v[72:73], v[92:93]
	s_waitcnt vmcnt(16)
	v_fmac_f64_e32 v[130:131], v[80:81], v[98:99]
	s_waitcnt vmcnt(14)
	v_fma_f64 v[4:5], v[4:5], v[104:105], -v[20:21]
	v_fmac_f64_e32 v[2:3], v[6:7], v[104:105]
	s_waitcnt vmcnt(12)
	v_fma_f64 v[6:7], v[8:9], v[106:107], -v[86:87]
	v_add_f64 v[4:5], v[4:5], 0
	v_fmac_f64_e32 v[120:121], v[10:11], v[106:107]
	s_waitcnt vmcnt(10)
	v_fma_f64 v[8:9], v[12:13], v[108:109], -v[88:89]
	v_add_f64 v[2:3], v[2:3], 0
	v_add_f64 v[4:5], v[4:5], v[6:7]
	v_fmac_f64_e32 v[122:123], v[14:15], v[108:109]
	s_waitcnt vmcnt(8)
	v_fma_f64 v[10:11], v[16:17], v[110:111], -v[94:95]
	v_add_f64 v[2:3], v[2:3], v[120:121]
	v_add_f64 v[4:5], v[4:5], v[8:9]
	v_fmac_f64_e32 v[124:125], v[18:19], v[110:111]
	v_fma_f64 v[12:13], v[70:71], v[92:93], -v[90:91]
	v_add_f64 v[2:3], v[2:3], v[122:123]
	v_add_f64 v[4:5], v[4:5], v[10:11]
	s_waitcnt vmcnt(6)
	v_fma_f64 v[14:15], v[74:75], v[112:113], -v[100:101]
	v_add_f64 v[2:3], v[2:3], v[124:125]
	v_add_f64 v[4:5], v[4:5], v[12:13]
	v_fmac_f64_e32 v[128:129], v[76:77], v[112:113]
	v_fma_f64 v[16:17], v[78:79], v[98:99], -v[96:97]
	v_add_f64 v[2:3], v[2:3], v[126:127]
	v_add_f64 v[4:5], v[4:5], v[14:15]
	v_mul_f64 v[6:7], v[84:85], v[102:103]
	v_add_f64 v[2:3], v[2:3], v[128:129]
	v_add_f64 v[4:5], v[4:5], v[16:17]
	s_waitcnt vmcnt(4)
	v_fma_f64 v[6:7], v[82:83], v[114:115], -v[6:7]
	v_fmac_f64_e32 v[132:133], v[84:85], v[114:115]
	v_add_f64 v[2:3], v[2:3], v[130:131]
	v_add_f64 v[4:5], v[4:5], v[6:7]
	v_add_f64 v[2:3], v[2:3], v[132:133]
	s_waitcnt vmcnt(2)
	v_add_f64 v[4:5], v[116:117], -v[4:5]
	s_waitcnt vmcnt(0)
	v_add_f64 v[2:3], v[118:119], -v[2:3]
	buffer_store_dword v5, off, s[0:3], 0 offset:244
	buffer_store_dword v4, off, s[0:3], 0 offset:240
	;; [unrolled: 1-line block ×4, first 2 shown]
	s_and_saveexec_b64 s[6:7], vcc
	s_cbranch_execz .LBB87_129
; %bb.128:
	v_accvgpr_read_b32 v5, a11
	buffer_load_dword v2, v5, s[0:3], 0 offen
	buffer_load_dword v3, v5, s[0:3], 0 offen offset:4
	buffer_load_dword v4, v5, s[0:3], 0 offen offset:8
	s_nop 0
	buffer_load_dword v5, v5, s[0:3], 0 offen offset:12
	v_mov_b32_e32 v6, 0
	buffer_store_dword v6, off, s[0:3], 0 offset:224
	buffer_store_dword v6, off, s[0:3], 0 offset:228
	;; [unrolled: 1-line block ×4, first 2 shown]
	s_waitcnt vmcnt(4)
	ds_write_b128 v157, v[2:5]
.LBB87_129:
	s_or_b64 exec, exec, s[6:7]
	v_mov_b32_e32 v92, 0
	s_waitcnt lgkmcnt(0)
	; wave barrier
	s_waitcnt lgkmcnt(0)
	ds_read_b128 v[14:17], v92 offset:624
	ds_read_b128 v[10:13], v92 offset:640
	;; [unrolled: 1-line block ×4, first 2 shown]
	buffer_load_dword v72, off, s[0:3], 0 offset:224
	buffer_load_dword v73, off, s[0:3], 0 offset:228
	;; [unrolled: 1-line block ×20, first 2 shown]
	v_cmp_lt_u32_e32 vcc, 13, v156
	s_waitcnt vmcnt(12) lgkmcnt(3)
	v_mul_f64 v[18:19], v[14:15], v[84:85]
	v_fmac_f64_e32 v[18:19], v[16:17], v[74:75]
	v_add_f64 v[18:19], v[18:19], 0
	v_mul_f64 v[16:17], v[16:17], v[84:85]
	s_waitcnt vmcnt(8) lgkmcnt(2)
	v_mul_f64 v[20:21], v[10:11], v[86:87]
	v_fmac_f64_e32 v[20:21], v[12:13], v[80:81]
	v_add_f64 v[18:19], v[18:19], v[20:21]
	v_fma_f64 v[14:15], v[14:15], v[74:75], -v[16:17]
	s_waitcnt vmcnt(4) lgkmcnt(1)
	v_mul_f64 v[20:21], v[6:7], v[88:89]
	v_fmac_f64_e32 v[20:21], v[8:9], v[82:83]
	v_add_f64 v[18:19], v[18:19], v[20:21]
	s_waitcnt vmcnt(0) lgkmcnt(0)
	v_mul_f64 v[20:21], v[2:3], v[90:91]
	v_fmac_f64_e32 v[20:21], v[4:5], v[78:79]
	v_add_f64 v[94:95], v[18:19], v[20:21]
	ds_read_b128 v[18:21], v92 offset:688
	buffer_load_dword v77, off, s[0:3], 0 offset:308
	buffer_load_dword v76, off, s[0:3], 0 offset:304
	;; [unrolled: 1-line block ×4, first 2 shown]
	v_mul_f64 v[12:13], v[12:13], v[86:87]
	v_add_f64 v[14:15], v[14:15], 0
	v_fma_f64 v[10:11], v[10:11], v[80:81], -v[12:13]
	v_mul_f64 v[8:9], v[8:9], v[88:89]
	v_add_f64 v[10:11], v[14:15], v[10:11]
	v_fma_f64 v[6:7], v[6:7], v[82:83], -v[8:9]
	;; [unrolled: 3-line block ×3, first 2 shown]
	v_add_f64 v[2:3], v[6:7], v[2:3]
	s_waitcnt vmcnt(0) lgkmcnt(0)
	v_mul_f64 v[96:97], v[18:19], v[110:111]
	v_fmac_f64_e32 v[96:97], v[20:21], v[76:77]
	v_add_f64 v[98:99], v[94:95], v[96:97]
	ds_read_b128 v[94:97], v92 offset:704
	buffer_load_dword v113, off, s[0:3], 0 offset:324
	buffer_load_dword v112, off, s[0:3], 0 offset:320
	buffer_load_dword v115, off, s[0:3], 0 offset:332
	buffer_load_dword v114, off, s[0:3], 0 offset:328
	v_mul_f64 v[4:5], v[20:21], v[110:111]
	v_fma_f64 v[4:5], v[18:19], v[76:77], -v[4:5]
	v_add_f64 v[2:3], v[2:3], v[4:5]
	s_waitcnt vmcnt(0) lgkmcnt(0)
	v_mul_f64 v[100:101], v[94:95], v[114:115]
	v_fmac_f64_e32 v[100:101], v[96:97], v[112:113]
	v_add_f64 v[102:103], v[98:99], v[100:101]
	ds_read_b128 v[98:101], v92 offset:720
	buffer_load_dword v117, off, s[0:3], 0 offset:340
	buffer_load_dword v116, off, s[0:3], 0 offset:336
	buffer_load_dword v119, off, s[0:3], 0 offset:348
	buffer_load_dword v118, off, s[0:3], 0 offset:344
	v_mul_f64 v[4:5], v[96:97], v[114:115]
	v_fma_f64 v[4:5], v[94:95], v[112:113], -v[4:5]
	;; [unrolled: 12-line block ×4, first 2 shown]
	v_add_f64 v[2:3], v[2:3], v[4:5]
	s_waitcnt vmcnt(0) lgkmcnt(0)
	v_mul_f64 v[4:5], v[108:109], v[128:129]
	v_mul_f64 v[130:131], v[106:107], v[128:129]
	v_fma_f64 v[4:5], v[106:107], v[126:127], -v[4:5]
	v_fmac_f64_e32 v[130:131], v[108:109], v[126:127]
	v_add_f64 v[2:3], v[2:3], v[4:5]
	v_add_f64 v[124:125], v[124:125], v[130:131]
	v_add_f64 v[2:3], v[72:73], -v[2:3]
	v_add_f64 v[4:5], v[70:71], -v[124:125]
	buffer_store_dword v3, off, s[0:3], 0 offset:228
	buffer_store_dword v2, off, s[0:3], 0 offset:224
	;; [unrolled: 1-line block ×4, first 2 shown]
	s_and_saveexec_b64 s[6:7], vcc
	s_cbranch_execz .LBB87_131
; %bb.130:
	buffer_load_dword v2, v1, s[0:3], 0 offen
	buffer_load_dword v3, v1, s[0:3], 0 offen offset:4
	buffer_load_dword v4, v1, s[0:3], 0 offen offset:8
	;; [unrolled: 1-line block ×3, first 2 shown]
	s_nop 0
	buffer_store_dword v92, off, s[0:3], 0 offset:208
	buffer_store_dword v92, off, s[0:3], 0 offset:212
	;; [unrolled: 1-line block ×4, first 2 shown]
	s_waitcnt vmcnt(4)
	ds_write_b128 v157, v[2:5]
.LBB87_131:
	s_or_b64 exec, exec, s[6:7]
	s_waitcnt lgkmcnt(0)
	; wave barrier
	s_waitcnt lgkmcnt(0)
	ds_read_b128 v[14:17], v92 offset:608
	ds_read_b128 v[10:13], v92 offset:624
	;; [unrolled: 1-line block ×4, first 2 shown]
	buffer_load_dword v72, off, s[0:3], 0 offset:208
	buffer_load_dword v73, off, s[0:3], 0 offset:212
	;; [unrolled: 1-line block ×20, first 2 shown]
	v_cmp_lt_u32_e32 vcc, 12, v156
	s_waitcnt vmcnt(12) lgkmcnt(3)
	v_mul_f64 v[18:19], v[14:15], v[88:89]
	v_fmac_f64_e32 v[18:19], v[16:17], v[86:87]
	v_add_f64 v[18:19], v[18:19], 0
	v_mul_f64 v[16:17], v[16:17], v[88:89]
	s_waitcnt vmcnt(8) lgkmcnt(2)
	v_mul_f64 v[20:21], v[10:11], v[90:91]
	v_fmac_f64_e32 v[20:21], v[12:13], v[78:79]
	v_add_f64 v[18:19], v[18:19], v[20:21]
	v_fma_f64 v[14:15], v[14:15], v[86:87], -v[16:17]
	s_waitcnt vmcnt(4) lgkmcnt(1)
	v_mul_f64 v[20:21], v[6:7], v[76:77]
	v_fmac_f64_e32 v[20:21], v[8:9], v[74:75]
	v_add_f64 v[18:19], v[18:19], v[20:21]
	s_waitcnt vmcnt(0) lgkmcnt(0)
	v_mul_f64 v[20:21], v[2:3], v[82:83]
	v_fmac_f64_e32 v[20:21], v[4:5], v[80:81]
	v_add_f64 v[94:95], v[18:19], v[20:21]
	ds_read_b128 v[18:21], v92 offset:672
	buffer_load_dword v85, off, s[0:3], 0 offset:292
	buffer_load_dword v84, off, s[0:3], 0 offset:288
	;; [unrolled: 1-line block ×4, first 2 shown]
	v_mul_f64 v[12:13], v[12:13], v[90:91]
	v_add_f64 v[14:15], v[14:15], 0
	v_fma_f64 v[10:11], v[10:11], v[78:79], -v[12:13]
	v_mul_f64 v[8:9], v[8:9], v[76:77]
	v_add_f64 v[10:11], v[14:15], v[10:11]
	v_fma_f64 v[6:7], v[6:7], v[74:75], -v[8:9]
	v_mul_f64 v[4:5], v[4:5], v[82:83]
	v_add_f64 v[6:7], v[10:11], v[6:7]
	v_fma_f64 v[2:3], v[2:3], v[80:81], -v[4:5]
	v_add_f64 v[2:3], v[6:7], v[2:3]
	s_waitcnt vmcnt(0) lgkmcnt(0)
	v_mul_f64 v[96:97], v[18:19], v[114:115]
	v_fmac_f64_e32 v[96:97], v[20:21], v[84:85]
	v_add_f64 v[98:99], v[94:95], v[96:97]
	ds_read_b128 v[94:97], v92 offset:688
	buffer_load_dword v117, off, s[0:3], 0 offset:308
	buffer_load_dword v116, off, s[0:3], 0 offset:304
	buffer_load_dword v119, off, s[0:3], 0 offset:316
	buffer_load_dword v118, off, s[0:3], 0 offset:312
	v_mul_f64 v[4:5], v[20:21], v[114:115]
	v_fma_f64 v[4:5], v[18:19], v[84:85], -v[4:5]
	v_add_f64 v[2:3], v[2:3], v[4:5]
	s_waitcnt vmcnt(0) lgkmcnt(0)
	v_mul_f64 v[100:101], v[94:95], v[118:119]
	v_fmac_f64_e32 v[100:101], v[96:97], v[116:117]
	v_add_f64 v[102:103], v[98:99], v[100:101]
	ds_read_b128 v[98:101], v92 offset:704
	buffer_load_dword v121, off, s[0:3], 0 offset:324
	buffer_load_dword v120, off, s[0:3], 0 offset:320
	buffer_load_dword v123, off, s[0:3], 0 offset:332
	buffer_load_dword v122, off, s[0:3], 0 offset:328
	v_mul_f64 v[4:5], v[96:97], v[118:119]
	v_fma_f64 v[4:5], v[94:95], v[116:117], -v[4:5]
	;; [unrolled: 12-line block ×5, first 2 shown]
	v_add_f64 v[2:3], v[2:3], v[4:5]
	s_waitcnt vmcnt(0) lgkmcnt(0)
	v_mul_f64 v[4:5], v[112:113], v[158:159]
	v_mul_f64 v[160:161], v[110:111], v[158:159]
	v_fma_f64 v[4:5], v[110:111], v[92:93], -v[4:5]
	v_fmac_f64_e32 v[160:161], v[112:113], v[92:93]
	v_add_f64 v[2:3], v[2:3], v[4:5]
	v_add_f64 v[132:133], v[132:133], v[160:161]
	v_add_f64 v[2:3], v[72:73], -v[2:3]
	v_add_f64 v[4:5], v[70:71], -v[132:133]
	buffer_store_dword v3, off, s[0:3], 0 offset:212
	buffer_store_dword v2, off, s[0:3], 0 offset:208
	;; [unrolled: 1-line block ×4, first 2 shown]
	s_and_saveexec_b64 s[6:7], vcc
	s_cbranch_execz .LBB87_133
; %bb.132:
	v_accvgpr_read_b32 v5, a9
	buffer_load_dword v2, v5, s[0:3], 0 offen
	buffer_load_dword v3, v5, s[0:3], 0 offen offset:4
	buffer_load_dword v4, v5, s[0:3], 0 offen offset:8
	s_nop 0
	buffer_load_dword v5, v5, s[0:3], 0 offen offset:12
	v_mov_b32_e32 v6, 0
	buffer_store_dword v6, off, s[0:3], 0 offset:192
	buffer_store_dword v6, off, s[0:3], 0 offset:196
	;; [unrolled: 1-line block ×4, first 2 shown]
	s_waitcnt vmcnt(4)
	ds_write_b128 v157, v[2:5]
.LBB87_133:
	s_or_b64 exec, exec, s[6:7]
	s_waitcnt lgkmcnt(0)
	; wave barrier
	s_waitcnt lgkmcnt(0)
	buffer_load_dword v2, off, s[0:3], 0 offset:208
	buffer_load_dword v3, off, s[0:3], 0 offset:212
	;; [unrolled: 1-line block ×48, first 2 shown]
	v_mov_b32_e32 v12, 0
	ds_read_b128 v[14:17], v12 offset:592
	ds_read_b128 v[18:21], v12 offset:608
	;; [unrolled: 1-line block ×11, first 2 shown]
	v_cmp_lt_u32_e32 vcc, 11, v156
	s_waitcnt vmcnt(44) lgkmcnt(10)
	v_mul_f64 v[168:169], v[14:15], v[6:7]
	v_mul_f64 v[6:7], v[16:17], v[6:7]
	v_fmac_f64_e32 v[168:169], v[16:17], v[2:3]
	v_fma_f64 v[2:3], v[14:15], v[2:3], -v[6:7]
	s_waitcnt vmcnt(40) lgkmcnt(9)
	v_mul_f64 v[170:171], v[18:19], v[8:9]
	v_mul_f64 v[6:7], v[20:21], v[8:9]
	v_fmac_f64_e32 v[170:171], v[20:21], v[4:5]
	v_add_f64 v[2:3], v[2:3], 0
	v_fma_f64 v[4:5], v[18:19], v[4:5], -v[6:7]
	v_add_f64 v[2:3], v[2:3], v[4:5]
	s_waitcnt vmcnt(38) lgkmcnt(8)
	v_mul_f64 v[4:5], v[72:73], v[10:11]
	v_mul_f64 v[172:173], v[70:71], v[10:11]
	v_add_f64 v[168:169], v[168:169], 0
	s_waitcnt vmcnt(32) lgkmcnt(7)
	v_mul_f64 v[174:175], v[74:75], v[110:111]
	v_add_f64 v[168:169], v[168:169], v[170:171]
	s_waitcnt lgkmcnt(6)
	v_mul_f64 v[176:177], v[78:79], v[106:107]
	v_fmac_f64_e32 v[176:177], v[80:81], v[108:109]
	s_waitcnt vmcnt(30) lgkmcnt(4)
	v_mul_f64 v[180:181], v[86:87], v[112:113]
	s_waitcnt vmcnt(26)
	v_mul_f64 v[178:179], v[82:83], v[116:117]
	v_fmac_f64_e32 v[180:181], v[88:89], v[114:115]
	s_waitcnt vmcnt(24) lgkmcnt(2)
	v_mul_f64 v[184:185], v[94:95], v[118:119]
	s_waitcnt vmcnt(22)
	v_fmac_f64_e32 v[184:185], v[96:97], v[120:121]
	s_waitcnt vmcnt(20)
	v_mul_f64 v[182:183], v[90:91], v[122:123]
	s_waitcnt vmcnt(16) lgkmcnt(1)
	v_mul_f64 v[186:187], v[98:99], v[128:129]
	s_waitcnt vmcnt(14)
	v_fma_f64 v[4:5], v[70:71], v[130:131], -v[4:5]
	v_add_f64 v[2:3], v[2:3], v[4:5]
	v_mul_f64 v[4:5], v[76:77], v[110:111]
	s_waitcnt vmcnt(12)
	v_fma_f64 v[4:5], v[74:75], v[132:133], -v[4:5]
	v_add_f64 v[2:3], v[2:3], v[4:5]
	v_mul_f64 v[4:5], v[80:81], v[106:107]
	v_fma_f64 v[4:5], v[78:79], v[108:109], -v[4:5]
	v_add_f64 v[2:3], v[2:3], v[4:5]
	v_mul_f64 v[4:5], v[84:85], v[116:117]
	s_waitcnt vmcnt(10)
	v_fma_f64 v[4:5], v[82:83], v[158:159], -v[4:5]
	v_add_f64 v[2:3], v[2:3], v[4:5]
	v_mul_f64 v[4:5], v[88:89], v[112:113]
	v_fma_f64 v[4:5], v[86:87], v[114:115], -v[4:5]
	v_fmac_f64_e32 v[172:173], v[72:73], v[130:131]
	v_add_f64 v[2:3], v[2:3], v[4:5]
	v_mul_f64 v[4:5], v[92:93], v[122:123]
	v_fmac_f64_e32 v[174:175], v[76:77], v[132:133]
	v_add_f64 v[168:169], v[168:169], v[172:173]
	s_waitcnt vmcnt(8)
	v_fma_f64 v[4:5], v[90:91], v[160:161], -v[4:5]
	v_add_f64 v[168:169], v[168:169], v[174:175]
	v_add_f64 v[2:3], v[2:3], v[4:5]
	v_mul_f64 v[4:5], v[96:97], v[118:119]
	v_fmac_f64_e32 v[178:179], v[84:85], v[158:159]
	v_add_f64 v[168:169], v[168:169], v[176:177]
	v_fma_f64 v[4:5], v[94:95], v[120:121], -v[4:5]
	v_add_f64 v[168:169], v[168:169], v[178:179]
	v_add_f64 v[2:3], v[2:3], v[4:5]
	v_mul_f64 v[4:5], v[100:101], v[128:129]
	v_fmac_f64_e32 v[182:183], v[92:93], v[160:161]
	v_add_f64 v[168:169], v[168:169], v[180:181]
	s_waitcnt vmcnt(6)
	v_fma_f64 v[4:5], v[98:99], v[162:163], -v[4:5]
	v_add_f64 v[168:169], v[168:169], v[182:183]
	v_add_f64 v[2:3], v[2:3], v[4:5]
	s_waitcnt vmcnt(5) lgkmcnt(0)
	v_mul_f64 v[4:5], v[104:105], v[124:125]
	v_fmac_f64_e32 v[186:187], v[100:101], v[162:163]
	v_add_f64 v[168:169], v[168:169], v[184:185]
	v_mul_f64 v[170:171], v[102:103], v[124:125]
	s_waitcnt vmcnt(4)
	v_fma_f64 v[4:5], v[102:103], v[126:127], -v[4:5]
	v_add_f64 v[168:169], v[168:169], v[186:187]
	v_fmac_f64_e32 v[170:171], v[104:105], v[126:127]
	v_add_f64 v[2:3], v[2:3], v[4:5]
	v_add_f64 v[168:169], v[168:169], v[170:171]
	s_waitcnt vmcnt(2)
	v_add_f64 v[2:3], v[164:165], -v[2:3]
	s_waitcnt vmcnt(0)
	v_add_f64 v[4:5], v[166:167], -v[168:169]
	buffer_store_dword v3, off, s[0:3], 0 offset:196
	buffer_store_dword v2, off, s[0:3], 0 offset:192
	;; [unrolled: 1-line block ×4, first 2 shown]
	s_and_saveexec_b64 s[6:7], vcc
	s_cbranch_execz .LBB87_135
; %bb.134:
	v_accvgpr_read_b32 v5, a10
	buffer_load_dword v2, v5, s[0:3], 0 offen
	buffer_load_dword v3, v5, s[0:3], 0 offen offset:4
	buffer_load_dword v4, v5, s[0:3], 0 offen offset:8
	s_nop 0
	buffer_load_dword v5, v5, s[0:3], 0 offen offset:12
	s_nop 0
	buffer_store_dword v12, off, s[0:3], 0 offset:176
	buffer_store_dword v12, off, s[0:3], 0 offset:180
	;; [unrolled: 1-line block ×4, first 2 shown]
	s_waitcnt vmcnt(4)
	ds_write_b128 v157, v[2:5]
.LBB87_135:
	s_or_b64 exec, exec, s[6:7]
	s_waitcnt lgkmcnt(0)
	; wave barrier
	s_waitcnt lgkmcnt(0)
	buffer_load_dword v2, off, s[0:3], 0 offset:192
	buffer_load_dword v3, off, s[0:3], 0 offset:196
	;; [unrolled: 1-line block ×52, first 2 shown]
	ds_read_b128 v[14:17], v12 offset:576
	ds_read_b128 v[18:21], v12 offset:592
	;; [unrolled: 1-line block ×10, first 2 shown]
	v_cmp_lt_u32_e32 vcc, 10, v156
	s_waitcnt vmcnt(48) lgkmcnt(9)
	v_mul_f64 v[102:103], v[14:15], v[6:7]
	v_mul_f64 v[6:7], v[16:17], v[6:7]
	v_fmac_f64_e32 v[102:103], v[16:17], v[2:3]
	v_fma_f64 v[2:3], v[14:15], v[2:3], -v[6:7]
	s_waitcnt vmcnt(44) lgkmcnt(8)
	v_mul_f64 v[104:105], v[18:19], v[8:9]
	v_mul_f64 v[6:7], v[20:21], v[8:9]
	v_fmac_f64_e32 v[104:105], v[20:21], v[4:5]
	v_add_f64 v[2:3], v[2:3], 0
	v_fma_f64 v[4:5], v[18:19], v[4:5], -v[6:7]
	v_add_f64 v[2:3], v[2:3], v[4:5]
	s_waitcnt vmcnt(42) lgkmcnt(7)
	v_mul_f64 v[4:5], v[72:73], v[10:11]
	v_mul_f64 v[106:107], v[70:71], v[10:11]
	v_add_f64 v[102:103], v[102:103], 0
	s_waitcnt vmcnt(36) lgkmcnt(6)
	v_mul_f64 v[108:109], v[74:75], v[114:115]
	v_add_f64 v[102:103], v[102:103], v[104:105]
	s_waitcnt lgkmcnt(5)
	v_mul_f64 v[176:177], v[78:79], v[110:111]
	v_fmac_f64_e32 v[176:177], v[80:81], v[112:113]
	s_waitcnt vmcnt(34) lgkmcnt(3)
	v_mul_f64 v[180:181], v[86:87], v[116:117]
	s_waitcnt vmcnt(30)
	v_mul_f64 v[178:179], v[82:83], v[120:121]
	v_fmac_f64_e32 v[180:181], v[88:89], v[118:119]
	s_waitcnt vmcnt(26) lgkmcnt(2)
	v_mul_f64 v[182:183], v[90:91], v[126:127]
	s_waitcnt vmcnt(25) lgkmcnt(1)
	v_mul_f64 v[184:185], v[94:95], v[122:123]
	s_waitcnt vmcnt(23)
	v_fma_f64 v[4:5], v[70:71], v[128:129], -v[4:5]
	v_add_f64 v[2:3], v[2:3], v[4:5]
	v_mul_f64 v[4:5], v[76:77], v[114:115]
	s_waitcnt vmcnt(21)
	v_fma_f64 v[4:5], v[74:75], v[130:131], -v[4:5]
	v_fmac_f64_e32 v[106:107], v[72:73], v[128:129]
	v_add_f64 v[2:3], v[2:3], v[4:5]
	v_mul_f64 v[4:5], v[80:81], v[110:111]
	v_fmac_f64_e32 v[108:109], v[76:77], v[130:131]
	v_add_f64 v[102:103], v[102:103], v[106:107]
	v_fma_f64 v[4:5], v[78:79], v[112:113], -v[4:5]
	v_add_f64 v[102:103], v[102:103], v[108:109]
	v_add_f64 v[2:3], v[2:3], v[4:5]
	v_mul_f64 v[4:5], v[84:85], v[120:121]
	s_waitcnt vmcnt(19)
	v_fmac_f64_e32 v[178:179], v[84:85], v[132:133]
	v_add_f64 v[102:103], v[102:103], v[176:177]
	v_fma_f64 v[4:5], v[82:83], v[132:133], -v[4:5]
	v_add_f64 v[102:103], v[102:103], v[178:179]
	v_add_f64 v[2:3], v[2:3], v[4:5]
	v_mul_f64 v[4:5], v[88:89], v[116:117]
	s_waitcnt vmcnt(17)
	v_fmac_f64_e32 v[182:183], v[92:93], v[158:159]
	v_add_f64 v[102:103], v[102:103], v[180:181]
	v_fma_f64 v[4:5], v[86:87], v[118:119], -v[4:5]
	s_waitcnt vmcnt(16)
	v_fmac_f64_e32 v[184:185], v[96:97], v[124:125]
	v_add_f64 v[102:103], v[102:103], v[182:183]
	v_add_f64 v[2:3], v[2:3], v[4:5]
	v_mul_f64 v[4:5], v[92:93], v[126:127]
	v_add_f64 v[176:177], v[102:103], v[184:185]
	ds_read_b128 v[102:105], v12 offset:736
	ds_read_b128 v[106:109], v12 offset:752
	v_fma_f64 v[4:5], v[90:91], v[158:159], -v[4:5]
	v_add_f64 v[2:3], v[2:3], v[4:5]
	v_mul_f64 v[4:5], v[96:97], v[122:123]
	v_fma_f64 v[4:5], v[94:95], v[124:125], -v[4:5]
	v_add_f64 v[2:3], v[2:3], v[4:5]
	s_waitcnt vmcnt(12) lgkmcnt(2)
	v_mul_f64 v[4:5], v[100:101], v[164:165]
	v_mul_f64 v[178:179], v[98:99], v[164:165]
	s_waitcnt vmcnt(10)
	v_fma_f64 v[4:5], v[98:99], v[166:167], -v[4:5]
	v_fmac_f64_e32 v[178:179], v[100:101], v[166:167]
	v_add_f64 v[2:3], v[2:3], v[4:5]
	s_waitcnt vmcnt(8) lgkmcnt(1)
	v_mul_f64 v[4:5], v[104:105], v[160:161]
	v_add_f64 v[12:13], v[176:177], v[178:179]
	v_mul_f64 v[176:177], v[102:103], v[160:161]
	v_fma_f64 v[4:5], v[102:103], v[162:163], -v[4:5]
	v_fmac_f64_e32 v[176:177], v[104:105], v[162:163]
	v_add_f64 v[2:3], v[2:3], v[4:5]
	s_waitcnt vmcnt(6) lgkmcnt(0)
	v_mul_f64 v[4:5], v[108:109], v[168:169]
	v_add_f64 v[12:13], v[12:13], v[176:177]
	v_mul_f64 v[176:177], v[106:107], v[168:169]
	s_waitcnt vmcnt(4)
	v_fma_f64 v[4:5], v[106:107], v[170:171], -v[4:5]
	v_fmac_f64_e32 v[176:177], v[108:109], v[170:171]
	v_add_f64 v[2:3], v[2:3], v[4:5]
	v_add_f64 v[12:13], v[12:13], v[176:177]
	s_waitcnt vmcnt(2)
	v_add_f64 v[2:3], v[172:173], -v[2:3]
	s_waitcnt vmcnt(0)
	v_add_f64 v[4:5], v[174:175], -v[12:13]
	buffer_store_dword v3, off, s[0:3], 0 offset:180
	buffer_store_dword v2, off, s[0:3], 0 offset:176
	;; [unrolled: 1-line block ×4, first 2 shown]
	s_and_saveexec_b64 s[6:7], vcc
	s_cbranch_execz .LBB87_137
; %bb.136:
	buffer_load_dword v2, v147, s[0:3], 0 offen
	buffer_load_dword v3, v147, s[0:3], 0 offen offset:4
	buffer_load_dword v4, v147, s[0:3], 0 offen offset:8
	;; [unrolled: 1-line block ×3, first 2 shown]
	v_mov_b32_e32 v6, 0
	buffer_store_dword v6, off, s[0:3], 0 offset:160
	buffer_store_dword v6, off, s[0:3], 0 offset:164
	;; [unrolled: 1-line block ×4, first 2 shown]
	s_waitcnt vmcnt(4)
	ds_write_b128 v157, v[2:5]
.LBB87_137:
	s_or_b64 exec, exec, s[6:7]
	s_waitcnt lgkmcnt(0)
	; wave barrier
	s_waitcnt lgkmcnt(0)
	buffer_load_dword v2, off, s[0:3], 0 offset:176
	buffer_load_dword v3, off, s[0:3], 0 offset:180
	buffer_load_dword v6, off, s[0:3], 0 offset:184
	buffer_load_dword v7, off, s[0:3], 0 offset:188
	buffer_load_dword v4, off, s[0:3], 0 offset:192
	buffer_load_dword v5, off, s[0:3], 0 offset:196
	buffer_load_dword v8, off, s[0:3], 0 offset:200
	buffer_load_dword v9, off, s[0:3], 0 offset:204
	buffer_load_dword v10, off, s[0:3], 0 offset:216
	buffer_load_dword v11, off, s[0:3], 0 offset:220
	buffer_load_dword v13, off, s[0:3], 0 offset:252
	buffer_load_dword v12, off, s[0:3], 0 offset:248
	buffer_load_dword v15, off, s[0:3], 0 offset:244
	buffer_load_dword v14, off, s[0:3], 0 offset:240
	buffer_load_dword v17, off, s[0:3], 0 offset:236
	buffer_load_dword v16, off, s[0:3], 0 offset:232
	buffer_load_dword v70, off, s[0:3], 0 offset:280
	buffer_load_dword v122, off, s[0:3], 0 offset:272
	buffer_load_dword v125, off, s[0:3], 0 offset:268
	buffer_load_dword v124, off, s[0:3], 0 offset:264
	buffer_load_dword v71, off, s[0:3], 0 offset:284
	buffer_load_dword v126, off, s[0:3], 0 offset:208
	buffer_load_dword v127, off, s[0:3], 0 offset:212
	buffer_load_dword v129, off, s[0:3], 0 offset:228
	buffer_load_dword v128, off, s[0:3], 0 offset:224
	buffer_load_dword v131, off, s[0:3], 0 offset:260
	buffer_load_dword v130, off, s[0:3], 0 offset:256
	buffer_load_dword v123, off, s[0:3], 0 offset:276
	buffer_load_dword v132, off, s[0:3], 0 offset:312
	buffer_load_dword v158, off, s[0:3], 0 offset:304
	buffer_load_dword v161, off, s[0:3], 0 offset:300
	buffer_load_dword v160, off, s[0:3], 0 offset:296
	buffer_load_dword v163, off, s[0:3], 0 offset:292
	buffer_load_dword v162, off, s[0:3], 0 offset:288
	buffer_load_dword v159, off, s[0:3], 0 offset:308
	buffer_load_dword v133, off, s[0:3], 0 offset:316
	buffer_load_dword v164, off, s[0:3], 0 offset:344
	buffer_load_dword v166, off, s[0:3], 0 offset:336
	buffer_load_dword v169, off, s[0:3], 0 offset:332
	buffer_load_dword v168, off, s[0:3], 0 offset:328
	buffer_load_dword v171, off, s[0:3], 0 offset:324
	buffer_load_dword v170, off, s[0:3], 0 offset:320
	buffer_load_dword v167, off, s[0:3], 0 offset:340
	buffer_load_dword v165, off, s[0:3], 0 offset:348
	buffer_load_dword v172, off, s[0:3], 0 offset:376
	buffer_load_dword v174, off, s[0:3], 0 offset:368
	buffer_load_dword v177, off, s[0:3], 0 offset:364
	buffer_load_dword v176, off, s[0:3], 0 offset:360
	buffer_load_dword v179, off, s[0:3], 0 offset:356
	buffer_load_dword v178, off, s[0:3], 0 offset:352
	buffer_load_dword v173, off, s[0:3], 0 offset:380
	buffer_load_dword v175, off, s[0:3], 0 offset:372
	buffer_load_dword v180, off, s[0:3], 0 offset:160
	buffer_load_dword v181, off, s[0:3], 0 offset:164
	buffer_load_dword v182, off, s[0:3], 0 offset:168
	buffer_load_dword v183, off, s[0:3], 0 offset:172
	v_mov_b32_e32 v72, 0
	ds_read_b128 v[18:21], v72 offset:560
	ds_read_b128 v[74:77], v72 offset:576
	;; [unrolled: 1-line block ×9, first 2 shown]
	v_cmp_lt_u32_e32 vcc, 9, v156
	s_waitcnt vmcnt(52) lgkmcnt(8)
	v_mul_f64 v[102:103], v[18:19], v[6:7]
	v_fmac_f64_e32 v[102:103], v[20:21], v[2:3]
	v_mul_f64 v[6:7], v[20:21], v[6:7]
	v_add_f64 v[102:103], v[102:103], 0
	s_waitcnt vmcnt(48) lgkmcnt(7)
	v_mul_f64 v[104:105], v[74:75], v[8:9]
	v_fmac_f64_e32 v[104:105], v[76:77], v[4:5]
	s_waitcnt vmcnt(46) lgkmcnt(6)
	v_mul_f64 v[106:107], v[78:79], v[10:11]
	v_fma_f64 v[2:3], v[18:19], v[2:3], -v[6:7]
	v_mul_f64 v[6:7], v[76:77], v[8:9]
	v_add_f64 v[102:103], v[102:103], v[104:105]
	v_add_f64 v[2:3], v[2:3], 0
	v_fma_f64 v[4:5], v[74:75], v[4:5], -v[6:7]
	s_waitcnt vmcnt(40) lgkmcnt(5)
	v_mul_f64 v[108:109], v[82:83], v[16:17]
	s_waitcnt lgkmcnt(4)
	v_mul_f64 v[110:111], v[86:87], v[12:13]
	v_add_f64 v[2:3], v[2:3], v[4:5]
	v_mul_f64 v[4:5], v[80:81], v[10:11]
	s_waitcnt vmcnt(36) lgkmcnt(3)
	v_mul_f64 v[112:113], v[90:91], v[124:125]
	v_fmac_f64_e32 v[110:111], v[88:89], v[14:15]
	s_waitcnt vmcnt(35) lgkmcnt(2)
	v_mul_f64 v[114:115], v[94:95], v[70:71]
	s_waitcnt vmcnt(33)
	v_fmac_f64_e32 v[106:107], v[80:81], v[126:127]
	v_add_f64 v[102:103], v[102:103], v[106:107]
	s_waitcnt vmcnt(31)
	v_fmac_f64_e32 v[108:109], v[84:85], v[128:129]
	v_add_f64 v[102:103], v[102:103], v[108:109]
	v_fma_f64 v[4:5], v[78:79], v[126:127], -v[4:5]
	s_waitcnt vmcnt(29)
	v_fmac_f64_e32 v[112:113], v[92:93], v[130:131]
	v_add_f64 v[102:103], v[102:103], v[110:111]
	v_add_f64 v[2:3], v[2:3], v[4:5]
	v_mul_f64 v[4:5], v[84:85], v[16:17]
	s_waitcnt vmcnt(28)
	v_fmac_f64_e32 v[114:115], v[96:97], v[122:123]
	v_add_f64 v[102:103], v[102:103], v[112:113]
	v_fma_f64 v[4:5], v[82:83], v[128:129], -v[4:5]
	v_add_f64 v[106:107], v[102:103], v[114:115]
	ds_read_b128 v[102:105], v72 offset:688
	s_waitcnt vmcnt(24) lgkmcnt(2)
	v_mul_f64 v[108:109], v[98:99], v[160:161]
	v_add_f64 v[2:3], v[2:3], v[4:5]
	v_mul_f64 v[4:5], v[88:89], v[12:13]
	s_waitcnt vmcnt(22)
	v_fmac_f64_e32 v[108:109], v[100:101], v[162:163]
	v_fma_f64 v[4:5], v[86:87], v[14:15], -v[4:5]
	v_add_f64 v[110:111], v[106:107], v[108:109]
	ds_read_b128 v[106:109], v72 offset:704
	v_add_f64 v[2:3], v[2:3], v[4:5]
	v_mul_f64 v[4:5], v[92:93], v[124:125]
	v_fma_f64 v[4:5], v[90:91], v[130:131], -v[4:5]
	v_add_f64 v[2:3], v[2:3], v[4:5]
	v_mul_f64 v[4:5], v[96:97], v[70:71]
	s_waitcnt vmcnt(20) lgkmcnt(1)
	v_mul_f64 v[112:113], v[102:103], v[132:133]
	v_fma_f64 v[4:5], v[94:95], v[122:123], -v[4:5]
	v_fmac_f64_e32 v[112:113], v[104:105], v[158:159]
	v_add_f64 v[2:3], v[2:3], v[4:5]
	v_mul_f64 v[4:5], v[100:101], v[160:161]
	v_add_f64 v[114:115], v[110:111], v[112:113]
	ds_read_b128 v[110:113], v72 offset:720
	s_waitcnt vmcnt(16) lgkmcnt(1)
	v_mul_f64 v[116:117], v[106:107], v[168:169]
	v_fma_f64 v[4:5], v[98:99], v[162:163], -v[4:5]
	s_waitcnt vmcnt(14)
	v_fmac_f64_e32 v[116:117], v[108:109], v[170:171]
	v_add_f64 v[2:3], v[2:3], v[4:5]
	v_mul_f64 v[4:5], v[104:105], v[132:133]
	v_add_f64 v[184:185], v[114:115], v[116:117]
	ds_read_b128 v[114:117], v72 offset:736
	v_fma_f64 v[4:5], v[102:103], v[158:159], -v[4:5]
	v_add_f64 v[2:3], v[2:3], v[4:5]
	v_mul_f64 v[4:5], v[108:109], v[168:169]
	v_fma_f64 v[4:5], v[106:107], v[170:171], -v[4:5]
	v_add_f64 v[2:3], v[2:3], v[4:5]
	s_waitcnt vmcnt(12) lgkmcnt(1)
	v_mul_f64 v[4:5], v[112:113], v[164:165]
	v_mul_f64 v[186:187], v[110:111], v[164:165]
	v_fma_f64 v[4:5], v[110:111], v[166:167], -v[4:5]
	v_fmac_f64_e32 v[186:187], v[112:113], v[166:167]
	v_add_f64 v[2:3], v[2:3], v[4:5]
	s_waitcnt vmcnt(8) lgkmcnt(0)
	v_mul_f64 v[4:5], v[116:117], v[176:177]
	v_add_f64 v[184:185], v[184:185], v[186:187]
	v_mul_f64 v[186:187], v[114:115], v[176:177]
	s_waitcnt vmcnt(6)
	v_fma_f64 v[4:5], v[114:115], v[178:179], -v[4:5]
	v_fmac_f64_e32 v[186:187], v[116:117], v[178:179]
	v_add_f64 v[2:3], v[2:3], v[4:5]
	s_waitcnt vmcnt(5)
	v_mul_f64 v[4:5], v[120:121], v[172:173]
	v_add_f64 v[184:185], v[184:185], v[186:187]
	v_mul_f64 v[186:187], v[118:119], v[172:173]
	s_waitcnt vmcnt(4)
	v_fma_f64 v[4:5], v[118:119], v[174:175], -v[4:5]
	v_fmac_f64_e32 v[186:187], v[120:121], v[174:175]
	v_add_f64 v[2:3], v[2:3], v[4:5]
	v_add_f64 v[184:185], v[184:185], v[186:187]
	s_waitcnt vmcnt(2)
	v_add_f64 v[2:3], v[180:181], -v[2:3]
	s_waitcnt vmcnt(0)
	v_add_f64 v[4:5], v[182:183], -v[184:185]
	buffer_store_dword v3, off, s[0:3], 0 offset:164
	buffer_store_dword v2, off, s[0:3], 0 offset:160
	;; [unrolled: 1-line block ×4, first 2 shown]
	s_and_saveexec_b64 s[6:7], vcc
	s_cbranch_execz .LBB87_139
; %bb.138:
	buffer_load_dword v2, v149, s[0:3], 0 offen
	buffer_load_dword v3, v149, s[0:3], 0 offen offset:4
	buffer_load_dword v4, v149, s[0:3], 0 offen offset:8
	;; [unrolled: 1-line block ×3, first 2 shown]
	s_nop 0
	buffer_store_dword v72, off, s[0:3], 0 offset:144
	buffer_store_dword v72, off, s[0:3], 0 offset:148
	;; [unrolled: 1-line block ×4, first 2 shown]
	s_waitcnt vmcnt(4)
	ds_write_b128 v157, v[2:5]
.LBB87_139:
	s_or_b64 exec, exec, s[6:7]
	s_waitcnt lgkmcnt(0)
	; wave barrier
	s_waitcnt lgkmcnt(0)
	buffer_load_dword v2, off, s[0:3], 0 offset:160
	buffer_load_dword v3, off, s[0:3], 0 offset:164
	;; [unrolled: 1-line block ×60, first 2 shown]
	ds_read_b128 v[74:77], v72 offset:544
	ds_read_b128 v[78:81], v72 offset:560
	;; [unrolled: 1-line block ×8, first 2 shown]
	v_cmp_lt_u32_e32 vcc, 8, v156
	ds_read_b128 v[126:129], v72 offset:752
	s_waitcnt vmcnt(56) lgkmcnt(8)
	v_mul_f64 v[106:107], v[74:75], v[6:7]
	v_fmac_f64_e32 v[106:107], v[76:77], v[2:3]
	v_add_f64 v[106:107], v[106:107], 0
	v_mul_f64 v[6:7], v[76:77], v[6:7]
	s_waitcnt vmcnt(52) lgkmcnt(7)
	v_mul_f64 v[108:109], v[78:79], v[8:9]
	v_fmac_f64_e32 v[108:109], v[80:81], v[4:5]
	s_waitcnt vmcnt(50) lgkmcnt(6)
	v_mul_f64 v[110:111], v[82:83], v[10:11]
	v_add_f64 v[106:107], v[106:107], v[108:109]
	s_waitcnt vmcnt(48) lgkmcnt(4)
	v_mul_f64 v[114:115], v[90:91], v[12:13]
	v_fma_f64 v[2:3], v[74:75], v[2:3], -v[6:7]
	s_waitcnt vmcnt(46)
	v_fmac_f64_e32 v[114:115], v[92:93], v[14:15]
	v_mul_f64 v[6:7], v[80:81], v[8:9]
	s_waitcnt vmcnt(44)
	v_mul_f64 v[112:113], v[86:87], v[16:17]
	v_add_f64 v[2:3], v[2:3], 0
	v_fma_f64 v[4:5], v[78:79], v[4:5], -v[6:7]
	v_add_f64 v[2:3], v[2:3], v[4:5]
	s_waitcnt vmcnt(40) lgkmcnt(3)
	v_mul_f64 v[116:117], v[94:95], v[70:71]
	v_mul_f64 v[4:5], v[84:85], v[10:11]
	s_waitcnt vmcnt(38)
	v_fmac_f64_e32 v[110:111], v[84:85], v[130:131]
	v_add_f64 v[106:107], v[106:107], v[110:111]
	s_waitcnt vmcnt(36)
	v_fmac_f64_e32 v[112:113], v[88:89], v[132:133]
	v_add_f64 v[106:107], v[106:107], v[112:113]
	;; [unrolled: 3-line block ×3, first 2 shown]
	s_waitcnt vmcnt(32) lgkmcnt(2)
	v_mul_f64 v[108:109], v[98:99], v[18:19]
	v_add_f64 v[106:107], v[106:107], v[116:117]
	v_fmac_f64_e32 v[108:109], v[100:101], v[20:21]
	v_add_f64 v[110:111], v[106:107], v[108:109]
	ds_read_b128 v[106:109], v72 offset:672
	v_fma_f64 v[4:5], v[82:83], v[130:131], -v[4:5]
	v_add_f64 v[2:3], v[2:3], v[4:5]
	v_mul_f64 v[4:5], v[88:89], v[16:17]
	v_fma_f64 v[4:5], v[86:87], v[132:133], -v[4:5]
	s_waitcnt vmcnt(28) lgkmcnt(2)
	v_mul_f64 v[112:113], v[102:103], v[164:165]
	v_add_f64 v[2:3], v[2:3], v[4:5]
	v_mul_f64 v[4:5], v[92:93], v[12:13]
	s_waitcnt vmcnt(26)
	v_fmac_f64_e32 v[112:113], v[104:105], v[166:167]
	v_fma_f64 v[4:5], v[90:91], v[14:15], -v[4:5]
	v_add_f64 v[114:115], v[110:111], v[112:113]
	ds_read_b128 v[110:113], v72 offset:688
	s_waitcnt vmcnt(24) lgkmcnt(1)
	v_mul_f64 v[116:117], v[106:107], v[160:161]
	v_add_f64 v[2:3], v[2:3], v[4:5]
	v_mul_f64 v[4:5], v[96:97], v[70:71]
	v_fmac_f64_e32 v[116:117], v[108:109], v[162:163]
	v_fma_f64 v[4:5], v[94:95], v[158:159], -v[4:5]
	v_add_f64 v[118:119], v[114:115], v[116:117]
	ds_read_b128 v[114:117], v72 offset:704
	v_add_f64 v[2:3], v[2:3], v[4:5]
	v_mul_f64 v[4:5], v[100:101], v[18:19]
	v_fma_f64 v[4:5], v[98:99], v[20:21], -v[4:5]
	v_add_f64 v[2:3], v[2:3], v[4:5]
	v_mul_f64 v[4:5], v[104:105], v[164:165]
	s_waitcnt vmcnt(20) lgkmcnt(1)
	v_mul_f64 v[120:121], v[110:111], v[172:173]
	v_fma_f64 v[4:5], v[102:103], v[166:167], -v[4:5]
	s_waitcnt vmcnt(18)
	v_fmac_f64_e32 v[120:121], v[112:113], v[174:175]
	v_add_f64 v[2:3], v[2:3], v[4:5]
	v_mul_f64 v[4:5], v[108:109], v[160:161]
	v_add_f64 v[122:123], v[118:119], v[120:121]
	ds_read_b128 v[118:121], v72 offset:720
	s_waitcnt vmcnt(16) lgkmcnt(1)
	v_mul_f64 v[124:125], v[114:115], v[168:169]
	v_fma_f64 v[4:5], v[106:107], v[162:163], -v[4:5]
	v_fmac_f64_e32 v[124:125], v[116:117], v[170:171]
	v_add_f64 v[2:3], v[2:3], v[4:5]
	v_mul_f64 v[4:5], v[112:113], v[172:173]
	v_add_f64 v[192:193], v[122:123], v[124:125]
	ds_read_b128 v[122:125], v72 offset:736
	v_fma_f64 v[4:5], v[110:111], v[174:175], -v[4:5]
	v_add_f64 v[2:3], v[2:3], v[4:5]
	v_mul_f64 v[4:5], v[116:117], v[168:169]
	v_fma_f64 v[4:5], v[114:115], v[170:171], -v[4:5]
	v_add_f64 v[2:3], v[2:3], v[4:5]
	s_waitcnt vmcnt(12) lgkmcnt(1)
	v_mul_f64 v[4:5], v[120:121], v[180:181]
	v_mul_f64 v[194:195], v[118:119], v[180:181]
	s_waitcnt vmcnt(10)
	v_fma_f64 v[4:5], v[118:119], v[182:183], -v[4:5]
	v_fmac_f64_e32 v[194:195], v[120:121], v[182:183]
	v_add_f64 v[2:3], v[2:3], v[4:5]
	s_waitcnt vmcnt(8) lgkmcnt(0)
	v_mul_f64 v[4:5], v[124:125], v[176:177]
	v_add_f64 v[72:73], v[192:193], v[194:195]
	v_mul_f64 v[192:193], v[122:123], v[176:177]
	v_fma_f64 v[4:5], v[122:123], v[178:179], -v[4:5]
	v_fmac_f64_e32 v[192:193], v[124:125], v[178:179]
	v_add_f64 v[2:3], v[2:3], v[4:5]
	s_waitcnt vmcnt(6)
	v_mul_f64 v[4:5], v[128:129], v[184:185]
	v_add_f64 v[72:73], v[72:73], v[192:193]
	v_mul_f64 v[192:193], v[126:127], v[184:185]
	s_waitcnt vmcnt(4)
	v_fma_f64 v[4:5], v[126:127], v[186:187], -v[4:5]
	v_fmac_f64_e32 v[192:193], v[128:129], v[186:187]
	v_add_f64 v[2:3], v[2:3], v[4:5]
	v_add_f64 v[72:73], v[72:73], v[192:193]
	s_waitcnt vmcnt(2)
	v_add_f64 v[2:3], v[188:189], -v[2:3]
	s_waitcnt vmcnt(0)
	v_add_f64 v[4:5], v[190:191], -v[72:73]
	buffer_store_dword v3, off, s[0:3], 0 offset:148
	buffer_store_dword v2, off, s[0:3], 0 offset:144
	;; [unrolled: 1-line block ×4, first 2 shown]
	s_and_saveexec_b64 s[6:7], vcc
	s_cbranch_execz .LBB87_141
; %bb.140:
	buffer_load_dword v2, v146, s[0:3], 0 offen
	buffer_load_dword v3, v146, s[0:3], 0 offen offset:4
	buffer_load_dword v4, v146, s[0:3], 0 offen offset:8
	;; [unrolled: 1-line block ×3, first 2 shown]
	v_mov_b32_e32 v6, 0
	buffer_store_dword v6, off, s[0:3], 0 offset:128
	buffer_store_dword v6, off, s[0:3], 0 offset:132
	;; [unrolled: 1-line block ×4, first 2 shown]
	s_waitcnt vmcnt(4)
	ds_write_b128 v157, v[2:5]
.LBB87_141:
	s_or_b64 exec, exec, s[6:7]
	s_waitcnt lgkmcnt(0)
	; wave barrier
	s_waitcnt lgkmcnt(0)
	buffer_load_dword v2, off, s[0:3], 0 offset:144
	buffer_load_dword v3, off, s[0:3], 0 offset:148
	;; [unrolled: 1-line block ×64, first 2 shown]
	v_mov_b32_e32 v86, 0
	ds_read_b128 v[78:81], v86 offset:528
	ds_read_b128 v[82:85], v86 offset:544
	;; [unrolled: 1-line block ×7, first 2 shown]
	v_cmp_lt_u32_e32 vcc, 7, v156
	s_waitcnt vmcnt(60) lgkmcnt(6)
	v_mul_f64 v[104:105], v[78:79], v[6:7]
	v_fmac_f64_e32 v[104:105], v[80:81], v[2:3]
	v_add_f64 v[104:105], v[104:105], 0
	v_mul_f64 v[6:7], v[80:81], v[6:7]
	s_waitcnt vmcnt(56) lgkmcnt(5)
	v_mul_f64 v[106:107], v[82:83], v[8:9]
	v_fmac_f64_e32 v[106:107], v[84:85], v[4:5]
	s_waitcnt vmcnt(54) lgkmcnt(4)
	v_mul_f64 v[108:109], v[88:89], v[10:11]
	v_add_f64 v[104:105], v[104:105], v[106:107]
	v_fma_f64 v[2:3], v[78:79], v[2:3], -v[6:7]
	v_mul_f64 v[6:7], v[84:85], v[8:9]
	s_waitcnt vmcnt(50) lgkmcnt(3)
	v_mul_f64 v[110:111], v[92:93], v[16:17]
	s_waitcnt vmcnt(49) lgkmcnt(2)
	v_mul_f64 v[112:113], v[96:97], v[12:13]
	v_add_f64 v[2:3], v[2:3], 0
	s_waitcnt vmcnt(47)
	v_fmac_f64_e32 v[108:109], v[90:91], v[20:21]
	v_add_f64 v[104:105], v[104:105], v[108:109]
	s_waitcnt vmcnt(45)
	v_fmac_f64_e32 v[110:111], v[94:95], v[18:19]
	;; [unrolled: 3-line block ×3, first 2 shown]
	v_add_f64 v[108:109], v[104:105], v[112:113]
	ds_read_b128 v[104:107], v86 offset:624
	s_waitcnt vmcnt(40) lgkmcnt(2)
	v_mul_f64 v[110:111], v[100:101], v[74:75]
	v_fma_f64 v[4:5], v[82:83], v[4:5], -v[6:7]
	s_waitcnt vmcnt(38)
	v_fmac_f64_e32 v[110:111], v[102:103], v[76:77]
	v_add_f64 v[112:113], v[108:109], v[110:111]
	ds_read_b128 v[108:111], v86 offset:640
	s_waitcnt vmcnt(36) lgkmcnt(1)
	v_mul_f64 v[114:115], v[104:105], v[70:71]
	v_fmac_f64_e32 v[114:115], v[106:107], v[72:73]
	v_add_f64 v[2:3], v[2:3], v[4:5]
	v_mul_f64 v[4:5], v[90:91], v[10:11]
	v_add_f64 v[116:117], v[112:113], v[114:115]
	ds_read_b128 v[112:115], v86 offset:656
	s_waitcnt vmcnt(32) lgkmcnt(1)
	v_mul_f64 v[118:119], v[108:109], v[168:169]
	v_fma_f64 v[4:5], v[88:89], v[20:21], -v[4:5]
	s_waitcnt vmcnt(30)
	v_fmac_f64_e32 v[118:119], v[110:111], v[170:171]
	v_add_f64 v[2:3], v[2:3], v[4:5]
	v_mul_f64 v[4:5], v[94:95], v[16:17]
	v_add_f64 v[120:121], v[116:117], v[118:119]
	ds_read_b128 v[116:119], v86 offset:672
	v_fma_f64 v[4:5], v[92:93], v[18:19], -v[4:5]
	v_add_f64 v[2:3], v[2:3], v[4:5]
	v_mul_f64 v[4:5], v[98:99], v[12:13]
	v_fma_f64 v[4:5], v[96:97], v[14:15], -v[4:5]
	s_waitcnt vmcnt(28) lgkmcnt(1)
	v_mul_f64 v[122:123], v[112:113], v[132:133]
	v_add_f64 v[2:3], v[2:3], v[4:5]
	v_mul_f64 v[4:5], v[102:103], v[74:75]
	v_fmac_f64_e32 v[122:123], v[114:115], v[166:167]
	v_fma_f64 v[4:5], v[100:101], v[76:77], -v[4:5]
	v_add_f64 v[124:125], v[120:121], v[122:123]
	ds_read_b128 v[120:123], v86 offset:688
	s_waitcnt vmcnt(24) lgkmcnt(1)
	v_mul_f64 v[126:127], v[116:117], v[176:177]
	v_add_f64 v[2:3], v[2:3], v[4:5]
	v_mul_f64 v[4:5], v[106:107], v[70:71]
	s_waitcnt vmcnt(22)
	v_fmac_f64_e32 v[126:127], v[118:119], v[178:179]
	v_fma_f64 v[4:5], v[104:105], v[72:73], -v[4:5]
	v_add_f64 v[128:129], v[124:125], v[126:127]
	ds_read_b128 v[124:127], v86 offset:704
	v_add_f64 v[2:3], v[2:3], v[4:5]
	v_mul_f64 v[4:5], v[110:111], v[168:169]
	v_fma_f64 v[4:5], v[108:109], v[170:171], -v[4:5]
	v_add_f64 v[2:3], v[2:3], v[4:5]
	v_mul_f64 v[4:5], v[114:115], v[132:133]
	s_waitcnt vmcnt(20) lgkmcnt(1)
	v_mul_f64 v[130:131], v[120:121], v[172:173]
	v_fma_f64 v[4:5], v[112:113], v[166:167], -v[4:5]
	v_fmac_f64_e32 v[130:131], v[122:123], v[174:175]
	v_add_f64 v[2:3], v[2:3], v[4:5]
	v_mul_f64 v[4:5], v[118:119], v[176:177]
	v_add_f64 v[158:159], v[128:129], v[130:131]
	ds_read_b128 v[128:131], v86 offset:720
	s_waitcnt vmcnt(16) lgkmcnt(1)
	v_mul_f64 v[160:161], v[124:125], v[184:185]
	v_fma_f64 v[4:5], v[116:117], v[178:179], -v[4:5]
	s_waitcnt vmcnt(14)
	v_fmac_f64_e32 v[160:161], v[126:127], v[186:187]
	v_add_f64 v[2:3], v[2:3], v[4:5]
	v_mul_f64 v[4:5], v[122:123], v[172:173]
	v_add_f64 v[200:201], v[158:159], v[160:161]
	ds_read_b128 v[158:161], v86 offset:736
	v_fma_f64 v[4:5], v[120:121], v[174:175], -v[4:5]
	v_add_f64 v[2:3], v[2:3], v[4:5]
	v_mul_f64 v[4:5], v[126:127], v[184:185]
	v_fma_f64 v[4:5], v[124:125], v[186:187], -v[4:5]
	v_add_f64 v[2:3], v[2:3], v[4:5]
	s_waitcnt vmcnt(12) lgkmcnt(1)
	v_mul_f64 v[4:5], v[130:131], v[180:181]
	v_mul_f64 v[202:203], v[128:129], v[180:181]
	v_fma_f64 v[4:5], v[128:129], v[182:183], -v[4:5]
	v_fmac_f64_e32 v[202:203], v[130:131], v[182:183]
	v_add_f64 v[2:3], v[2:3], v[4:5]
	s_waitcnt vmcnt(8) lgkmcnt(0)
	v_mul_f64 v[4:5], v[160:161], v[192:193]
	v_add_f64 v[200:201], v[200:201], v[202:203]
	v_mul_f64 v[202:203], v[158:159], v[192:193]
	s_waitcnt vmcnt(6)
	v_fma_f64 v[4:5], v[158:159], v[194:195], -v[4:5]
	v_fmac_f64_e32 v[202:203], v[160:161], v[194:195]
	v_add_f64 v[2:3], v[2:3], v[4:5]
	s_waitcnt vmcnt(5)
	v_mul_f64 v[4:5], v[164:165], v[188:189]
	v_add_f64 v[200:201], v[200:201], v[202:203]
	v_mul_f64 v[202:203], v[162:163], v[188:189]
	s_waitcnt vmcnt(4)
	v_fma_f64 v[4:5], v[162:163], v[190:191], -v[4:5]
	v_fmac_f64_e32 v[202:203], v[164:165], v[190:191]
	v_add_f64 v[2:3], v[2:3], v[4:5]
	v_add_f64 v[200:201], v[200:201], v[202:203]
	s_waitcnt vmcnt(2)
	v_add_f64 v[2:3], v[196:197], -v[2:3]
	s_waitcnt vmcnt(0)
	v_add_f64 v[4:5], v[198:199], -v[200:201]
	buffer_store_dword v3, off, s[0:3], 0 offset:132
	buffer_store_dword v2, off, s[0:3], 0 offset:128
	;; [unrolled: 1-line block ×4, first 2 shown]
	s_and_saveexec_b64 s[6:7], vcc
	s_cbranch_execz .LBB87_143
; %bb.142:
	buffer_load_dword v2, v148, s[0:3], 0 offen
	buffer_load_dword v3, v148, s[0:3], 0 offen offset:4
	buffer_load_dword v4, v148, s[0:3], 0 offen offset:8
	;; [unrolled: 1-line block ×3, first 2 shown]
	s_nop 0
	buffer_store_dword v86, off, s[0:3], 0 offset:112
	buffer_store_dword v86, off, s[0:3], 0 offset:116
	;; [unrolled: 1-line block ×4, first 2 shown]
	s_waitcnt vmcnt(4)
	ds_write_b128 v157, v[2:5]
.LBB87_143:
	s_or_b64 exec, exec, s[6:7]
	s_waitcnt lgkmcnt(0)
	; wave barrier
	s_waitcnt lgkmcnt(0)
	buffer_load_dword v2, off, s[0:3], 0 offset:128
	buffer_load_dword v3, off, s[0:3], 0 offset:132
	;; [unrolled: 1-line block ×64, first 2 shown]
	ds_read_b128 v[88:91], v86 offset:512
	ds_read_b128 v[92:95], v86 offset:528
	;; [unrolled: 1-line block ×4, first 2 shown]
	buffer_load_dword v204, off, s[0:3], 0 offset:112
	buffer_load_dword v205, off, s[0:3], 0 offset:116
	;; [unrolled: 1-line block ×4, first 2 shown]
	v_cmp_lt_u32_e32 vcc, 6, v156
	ds_read_b128 v[174:177], v86 offset:752
	s_waitcnt vmcnt(62) lgkmcnt(4)
	v_mul_f64 v[104:105], v[88:89], v[4:5]
	v_fmac_f64_e32 v[104:105], v[90:91], v[2:3]
	s_waitcnt lgkmcnt(3)
	v_mul_f64 v[106:107], v[92:93], v[6:7]
	v_add_f64 v[104:105], v[104:105], 0
	s_waitcnt vmcnt(60) lgkmcnt(2)
	v_mul_f64 v[108:109], v[96:97], v[8:9]
	v_mul_f64 v[4:5], v[90:91], v[4:5]
	v_fma_f64 v[2:3], v[88:89], v[2:3], -v[4:5]
	v_mul_f64 v[4:5], v[94:95], v[6:7]
	s_waitcnt vmcnt(56) lgkmcnt(1)
	v_mul_f64 v[110:111], v[100:101], v[14:15]
	v_add_f64 v[2:3], v[2:3], 0
	s_waitcnt vmcnt(54)
	v_fmac_f64_e32 v[106:107], v[94:95], v[20:21]
	v_add_f64 v[112:113], v[104:105], v[106:107]
	ds_read_b128 v[104:107], v86 offset:576
	s_waitcnt vmcnt(52)
	v_fmac_f64_e32 v[108:109], v[98:99], v[18:19]
	v_add_f64 v[108:109], v[112:113], v[108:109]
	s_waitcnt vmcnt(50)
	v_fmac_f64_e32 v[110:111], v[102:103], v[16:17]
	v_add_f64 v[112:113], v[108:109], v[110:111]
	ds_read_b128 v[108:111], v86 offset:592
	s_waitcnt vmcnt(48) lgkmcnt(1)
	v_mul_f64 v[114:115], v[104:105], v[10:11]
	v_fmac_f64_e32 v[114:115], v[106:107], v[12:13]
	v_add_f64 v[116:117], v[112:113], v[114:115]
	ds_read_b128 v[112:115], v86 offset:608
	s_waitcnt vmcnt(44) lgkmcnt(1)
	v_mul_f64 v[118:119], v[108:109], v[74:75]
	s_waitcnt vmcnt(42)
	v_fmac_f64_e32 v[118:119], v[110:111], v[76:77]
	v_add_f64 v[120:121], v[116:117], v[118:119]
	ds_read_b128 v[116:119], v86 offset:624
	s_waitcnt vmcnt(40) lgkmcnt(1)
	v_mul_f64 v[122:123], v[112:113], v[70:71]
	v_fmac_f64_e32 v[122:123], v[114:115], v[72:73]
	v_add_f64 v[124:125], v[120:121], v[122:123]
	ds_read_b128 v[120:123], v86 offset:640
	v_fma_f64 v[4:5], v[92:93], v[20:21], -v[4:5]
	v_add_f64 v[2:3], v[2:3], v[4:5]
	v_mul_f64 v[4:5], v[98:99], v[8:9]
	s_waitcnt vmcnt(36) lgkmcnt(1)
	v_mul_f64 v[126:127], v[116:117], v[82:83]
	v_fma_f64 v[4:5], v[96:97], v[18:19], -v[4:5]
	s_waitcnt vmcnt(34)
	v_fmac_f64_e32 v[126:127], v[118:119], v[84:85]
	v_add_f64 v[2:3], v[2:3], v[4:5]
	v_mul_f64 v[4:5], v[102:103], v[14:15]
	v_add_f64 v[128:129], v[124:125], v[126:127]
	ds_read_b128 v[124:127], v86 offset:656
	s_waitcnt vmcnt(32) lgkmcnt(1)
	v_mul_f64 v[130:131], v[120:121], v[78:79]
	v_fma_f64 v[4:5], v[100:101], v[16:17], -v[4:5]
	v_fmac_f64_e32 v[130:131], v[122:123], v[80:81]
	v_add_f64 v[2:3], v[2:3], v[4:5]
	v_mul_f64 v[4:5], v[106:107], v[10:11]
	v_add_f64 v[158:159], v[128:129], v[130:131]
	ds_read_b128 v[128:131], v86 offset:672
	v_fma_f64 v[4:5], v[104:105], v[12:13], -v[4:5]
	v_add_f64 v[2:3], v[2:3], v[4:5]
	v_mul_f64 v[4:5], v[110:111], v[74:75]
	v_fma_f64 v[4:5], v[108:109], v[76:77], -v[4:5]
	s_waitcnt vmcnt(28) lgkmcnt(1)
	v_mul_f64 v[160:161], v[124:125], v[180:181]
	v_add_f64 v[2:3], v[2:3], v[4:5]
	v_mul_f64 v[4:5], v[114:115], v[70:71]
	s_waitcnt vmcnt(26)
	v_fmac_f64_e32 v[160:161], v[126:127], v[182:183]
	v_fma_f64 v[4:5], v[112:113], v[72:73], -v[4:5]
	v_add_f64 v[162:163], v[158:159], v[160:161]
	ds_read_b128 v[158:161], v86 offset:688
	s_waitcnt vmcnt(24) lgkmcnt(1)
	v_mul_f64 v[164:165], v[128:129], v[132:133]
	v_add_f64 v[2:3], v[2:3], v[4:5]
	v_mul_f64 v[4:5], v[118:119], v[82:83]
	v_fmac_f64_e32 v[164:165], v[130:131], v[178:179]
	v_fma_f64 v[4:5], v[116:117], v[84:85], -v[4:5]
	v_add_f64 v[166:167], v[162:163], v[164:165]
	ds_read_b128 v[162:165], v86 offset:704
	v_add_f64 v[2:3], v[2:3], v[4:5]
	v_mul_f64 v[4:5], v[122:123], v[78:79]
	v_fma_f64 v[4:5], v[120:121], v[80:81], -v[4:5]
	v_add_f64 v[2:3], v[2:3], v[4:5]
	v_mul_f64 v[4:5], v[126:127], v[180:181]
	s_waitcnt vmcnt(20) lgkmcnt(1)
	v_mul_f64 v[168:169], v[158:159], v[188:189]
	v_fma_f64 v[4:5], v[124:125], v[182:183], -v[4:5]
	s_waitcnt vmcnt(18)
	v_fmac_f64_e32 v[168:169], v[160:161], v[190:191]
	v_add_f64 v[2:3], v[2:3], v[4:5]
	v_mul_f64 v[4:5], v[130:131], v[132:133]
	v_add_f64 v[170:171], v[166:167], v[168:169]
	ds_read_b128 v[166:169], v86 offset:720
	s_waitcnt vmcnt(16) lgkmcnt(1)
	v_mul_f64 v[172:173], v[162:163], v[184:185]
	v_fma_f64 v[4:5], v[128:129], v[178:179], -v[4:5]
	v_fmac_f64_e32 v[172:173], v[164:165], v[186:187]
	v_add_f64 v[2:3], v[2:3], v[4:5]
	v_mul_f64 v[4:5], v[160:161], v[188:189]
	v_add_f64 v[208:209], v[170:171], v[172:173]
	ds_read_b128 v[170:173], v86 offset:736
	v_fma_f64 v[4:5], v[158:159], v[190:191], -v[4:5]
	v_add_f64 v[2:3], v[2:3], v[4:5]
	v_mul_f64 v[4:5], v[164:165], v[184:185]
	v_fma_f64 v[4:5], v[162:163], v[186:187], -v[4:5]
	v_add_f64 v[2:3], v[2:3], v[4:5]
	s_waitcnt vmcnt(12) lgkmcnt(1)
	v_mul_f64 v[4:5], v[168:169], v[196:197]
	v_mul_f64 v[210:211], v[166:167], v[196:197]
	s_waitcnt vmcnt(10)
	v_fma_f64 v[4:5], v[166:167], v[198:199], -v[4:5]
	v_fmac_f64_e32 v[210:211], v[168:169], v[198:199]
	v_add_f64 v[2:3], v[2:3], v[4:5]
	s_waitcnt vmcnt(8) lgkmcnt(0)
	v_mul_f64 v[4:5], v[172:173], v[192:193]
	v_add_f64 v[86:87], v[208:209], v[210:211]
	v_mul_f64 v[208:209], v[170:171], v[192:193]
	v_fma_f64 v[4:5], v[170:171], v[194:195], -v[4:5]
	v_fmac_f64_e32 v[208:209], v[172:173], v[194:195]
	v_add_f64 v[2:3], v[2:3], v[4:5]
	s_waitcnt vmcnt(6)
	v_mul_f64 v[4:5], v[176:177], v[200:201]
	v_add_f64 v[86:87], v[86:87], v[208:209]
	v_mul_f64 v[208:209], v[174:175], v[200:201]
	s_waitcnt vmcnt(4)
	v_fma_f64 v[4:5], v[174:175], v[202:203], -v[4:5]
	v_fmac_f64_e32 v[208:209], v[176:177], v[202:203]
	v_add_f64 v[2:3], v[2:3], v[4:5]
	v_add_f64 v[86:87], v[86:87], v[208:209]
	s_waitcnt vmcnt(2)
	v_add_f64 v[2:3], v[204:205], -v[2:3]
	s_waitcnt vmcnt(0)
	v_add_f64 v[4:5], v[206:207], -v[86:87]
	buffer_store_dword v3, off, s[0:3], 0 offset:116
	buffer_store_dword v2, off, s[0:3], 0 offset:112
	;; [unrolled: 1-line block ×4, first 2 shown]
	s_and_saveexec_b64 s[6:7], vcc
	s_cbranch_execz .LBB87_145
; %bb.144:
	buffer_load_dword v2, v152, s[0:3], 0 offen
	buffer_load_dword v3, v152, s[0:3], 0 offen offset:4
	buffer_load_dword v4, v152, s[0:3], 0 offen offset:8
	;; [unrolled: 1-line block ×3, first 2 shown]
	v_mov_b32_e32 v6, 0
	buffer_store_dword v6, off, s[0:3], 0 offset:96
	buffer_store_dword v6, off, s[0:3], 0 offset:100
	;; [unrolled: 1-line block ×4, first 2 shown]
	s_waitcnt vmcnt(4)
	ds_write_b128 v157, v[2:5]
.LBB87_145:
	s_or_b64 exec, exec, s[6:7]
	s_waitcnt lgkmcnt(0)
	; wave barrier
	s_waitcnt lgkmcnt(0)
	buffer_load_dword v2, off, s[0:3], 0 offset:112
	buffer_load_dword v3, off, s[0:3], 0 offset:116
	;; [unrolled: 1-line block ×68, first 2 shown]
	v_mov_b32_e32 v94, 0
	ds_read_b128 v[90:93], v94 offset:496
	ds_read_b128 v[96:99], v94 offset:512
	buffer_load_dword v212, off, s[0:3], 0 offset:96
	buffer_load_dword v213, off, s[0:3], 0 offset:100
	;; [unrolled: 1-line block ×4, first 2 shown]
	ds_read_b128 v[100:103], v94 offset:528
	ds_read_b128 v[104:107], v94 offset:544
	;; [unrolled: 1-line block ×3, first 2 shown]
	v_cmp_lt_u32_e32 vcc, 5, v156
	s_waitcnt vmcnt(62) lgkmcnt(4)
	v_mul_f64 v[108:109], v[90:91], v[8:9]
	v_fmac_f64_e32 v[108:109], v[92:93], v[2:3]
	v_add_f64 v[108:109], v[108:109], 0
	v_mul_f64 v[8:9], v[92:93], v[8:9]
	s_waitcnt lgkmcnt(3)
	v_mul_f64 v[110:111], v[96:97], v[10:11]
	v_fmac_f64_e32 v[110:111], v[98:99], v[4:5]
	v_add_f64 v[108:109], v[108:109], v[110:111]
	v_fma_f64 v[2:3], v[90:91], v[2:3], -v[8:9]
	s_waitcnt vmcnt(60) lgkmcnt(2)
	v_mul_f64 v[110:111], v[100:101], v[12:13]
	v_fmac_f64_e32 v[110:111], v[102:103], v[6:7]
	v_add_f64 v[112:113], v[108:109], v[110:111]
	ds_read_b128 v[108:111], v94 offset:560
	s_waitcnt vmcnt(56) lgkmcnt(2)
	v_mul_f64 v[114:115], v[104:105], v[18:19]
	v_mul_f64 v[8:9], v[98:99], v[10:11]
	s_waitcnt vmcnt(54)
	v_fmac_f64_e32 v[114:115], v[106:107], v[20:21]
	v_add_f64 v[116:117], v[112:113], v[114:115]
	ds_read_b128 v[112:115], v94 offset:576
	s_waitcnt vmcnt(52) lgkmcnt(1)
	v_mul_f64 v[118:119], v[108:109], v[14:15]
	v_fmac_f64_e32 v[118:119], v[110:111], v[16:17]
	v_add_f64 v[120:121], v[116:117], v[118:119]
	ds_read_b128 v[116:119], v94 offset:592
	s_waitcnt vmcnt(48) lgkmcnt(1)
	v_mul_f64 v[122:123], v[112:113], v[74:75]
	s_waitcnt vmcnt(46)
	v_fmac_f64_e32 v[122:123], v[114:115], v[76:77]
	v_add_f64 v[124:125], v[120:121], v[122:123]
	ds_read_b128 v[120:123], v94 offset:608
	s_waitcnt vmcnt(44) lgkmcnt(1)
	v_mul_f64 v[126:127], v[116:117], v[70:71]
	v_fmac_f64_e32 v[126:127], v[118:119], v[72:73]
	v_add_f64 v[128:129], v[124:125], v[126:127]
	ds_read_b128 v[124:127], v94 offset:624
	s_waitcnt vmcnt(40) lgkmcnt(1)
	v_mul_f64 v[130:131], v[120:121], v[82:83]
	s_waitcnt vmcnt(38)
	v_fmac_f64_e32 v[130:131], v[122:123], v[84:85]
	v_add_f64 v[2:3], v[2:3], 0
	v_fma_f64 v[4:5], v[96:97], v[4:5], -v[8:9]
	v_add_f64 v[158:159], v[128:129], v[130:131]
	ds_read_b128 v[128:131], v94 offset:640
	v_add_f64 v[2:3], v[2:3], v[4:5]
	v_mul_f64 v[4:5], v[102:103], v[12:13]
	v_fma_f64 v[4:5], v[100:101], v[6:7], -v[4:5]
	v_add_f64 v[2:3], v[2:3], v[4:5]
	v_mul_f64 v[4:5], v[106:107], v[18:19]
	s_waitcnt vmcnt(36) lgkmcnt(1)
	v_mul_f64 v[160:161], v[124:125], v[78:79]
	v_fma_f64 v[4:5], v[104:105], v[20:21], -v[4:5]
	v_fmac_f64_e32 v[160:161], v[126:127], v[80:81]
	v_add_f64 v[2:3], v[2:3], v[4:5]
	v_mul_f64 v[4:5], v[110:111], v[14:15]
	v_add_f64 v[162:163], v[158:159], v[160:161]
	ds_read_b128 v[158:161], v94 offset:656
	s_waitcnt vmcnt(32) lgkmcnt(1)
	v_mul_f64 v[164:165], v[128:129], v[132:133]
	v_fma_f64 v[4:5], v[108:109], v[16:17], -v[4:5]
	s_waitcnt vmcnt(30)
	v_fmac_f64_e32 v[164:165], v[130:131], v[186:187]
	v_add_f64 v[2:3], v[2:3], v[4:5]
	v_mul_f64 v[4:5], v[114:115], v[74:75]
	v_add_f64 v[166:167], v[162:163], v[164:165]
	ds_read_b128 v[162:165], v94 offset:672
	v_fma_f64 v[4:5], v[112:113], v[76:77], -v[4:5]
	v_add_f64 v[2:3], v[2:3], v[4:5]
	v_mul_f64 v[4:5], v[118:119], v[70:71]
	v_fma_f64 v[4:5], v[116:117], v[72:73], -v[4:5]
	s_waitcnt vmcnt(28) lgkmcnt(1)
	v_mul_f64 v[168:169], v[158:159], v[86:87]
	v_add_f64 v[2:3], v[2:3], v[4:5]
	v_mul_f64 v[4:5], v[122:123], v[82:83]
	v_fmac_f64_e32 v[168:169], v[160:161], v[88:89]
	v_fma_f64 v[4:5], v[120:121], v[84:85], -v[4:5]
	v_add_f64 v[170:171], v[166:167], v[168:169]
	ds_read_b128 v[166:169], v94 offset:688
	s_waitcnt vmcnt(24) lgkmcnt(1)
	v_mul_f64 v[172:173], v[162:163], v[192:193]
	v_add_f64 v[2:3], v[2:3], v[4:5]
	v_mul_f64 v[4:5], v[126:127], v[78:79]
	s_waitcnt vmcnt(22)
	v_fmac_f64_e32 v[172:173], v[164:165], v[194:195]
	v_fma_f64 v[4:5], v[124:125], v[80:81], -v[4:5]
	v_add_f64 v[174:175], v[170:171], v[172:173]
	ds_read_b128 v[170:173], v94 offset:704
	v_add_f64 v[2:3], v[2:3], v[4:5]
	v_mul_f64 v[4:5], v[130:131], v[132:133]
	v_fma_f64 v[4:5], v[128:129], v[186:187], -v[4:5]
	v_add_f64 v[2:3], v[2:3], v[4:5]
	v_mul_f64 v[4:5], v[160:161], v[86:87]
	s_waitcnt vmcnt(20) lgkmcnt(1)
	v_mul_f64 v[176:177], v[166:167], v[188:189]
	v_fma_f64 v[4:5], v[158:159], v[88:89], -v[4:5]
	v_fmac_f64_e32 v[176:177], v[168:169], v[190:191]
	v_add_f64 v[2:3], v[2:3], v[4:5]
	v_mul_f64 v[4:5], v[164:165], v[192:193]
	v_add_f64 v[178:179], v[174:175], v[176:177]
	ds_read_b128 v[174:177], v94 offset:720
	s_waitcnt vmcnt(16) lgkmcnt(1)
	v_mul_f64 v[180:181], v[170:171], v[200:201]
	v_fma_f64 v[4:5], v[162:163], v[194:195], -v[4:5]
	s_waitcnt vmcnt(14)
	v_fmac_f64_e32 v[180:181], v[172:173], v[202:203]
	v_add_f64 v[2:3], v[2:3], v[4:5]
	v_mul_f64 v[4:5], v[168:169], v[188:189]
	v_add_f64 v[216:217], v[178:179], v[180:181]
	ds_read_b128 v[178:181], v94 offset:736
	v_fma_f64 v[4:5], v[166:167], v[190:191], -v[4:5]
	v_add_f64 v[2:3], v[2:3], v[4:5]
	v_mul_f64 v[4:5], v[172:173], v[200:201]
	v_fma_f64 v[4:5], v[170:171], v[202:203], -v[4:5]
	v_add_f64 v[2:3], v[2:3], v[4:5]
	s_waitcnt vmcnt(12) lgkmcnt(1)
	v_mul_f64 v[4:5], v[176:177], v[196:197]
	v_mul_f64 v[218:219], v[174:175], v[196:197]
	v_fma_f64 v[4:5], v[174:175], v[198:199], -v[4:5]
	v_fmac_f64_e32 v[218:219], v[176:177], v[198:199]
	v_add_f64 v[2:3], v[2:3], v[4:5]
	s_waitcnt vmcnt(8) lgkmcnt(0)
	v_mul_f64 v[4:5], v[180:181], v[208:209]
	v_add_f64 v[216:217], v[216:217], v[218:219]
	v_mul_f64 v[218:219], v[178:179], v[208:209]
	s_waitcnt vmcnt(6)
	v_fma_f64 v[4:5], v[178:179], v[210:211], -v[4:5]
	v_fmac_f64_e32 v[218:219], v[180:181], v[210:211]
	v_add_f64 v[2:3], v[2:3], v[4:5]
	s_waitcnt vmcnt(5)
	v_mul_f64 v[4:5], v[184:185], v[204:205]
	v_add_f64 v[216:217], v[216:217], v[218:219]
	v_mul_f64 v[218:219], v[182:183], v[204:205]
	s_waitcnt vmcnt(4)
	v_fma_f64 v[4:5], v[182:183], v[206:207], -v[4:5]
	v_fmac_f64_e32 v[218:219], v[184:185], v[206:207]
	v_add_f64 v[2:3], v[2:3], v[4:5]
	v_add_f64 v[216:217], v[216:217], v[218:219]
	s_waitcnt vmcnt(2)
	v_add_f64 v[2:3], v[212:213], -v[2:3]
	s_waitcnt vmcnt(0)
	v_add_f64 v[4:5], v[214:215], -v[216:217]
	buffer_store_dword v3, off, s[0:3], 0 offset:100
	buffer_store_dword v2, off, s[0:3], 0 offset:96
	;; [unrolled: 1-line block ×4, first 2 shown]
	s_and_saveexec_b64 s[6:7], vcc
	s_cbranch_execz .LBB87_147
; %bb.146:
	buffer_load_dword v2, v150, s[0:3], 0 offen
	buffer_load_dword v3, v150, s[0:3], 0 offen offset:4
	buffer_load_dword v4, v150, s[0:3], 0 offen offset:8
	;; [unrolled: 1-line block ×3, first 2 shown]
	s_nop 0
	buffer_store_dword v94, off, s[0:3], 0 offset:80
	buffer_store_dword v94, off, s[0:3], 0 offset:84
	;; [unrolled: 1-line block ×4, first 2 shown]
	s_waitcnt vmcnt(4)
	ds_write_b128 v157, v[2:5]
.LBB87_147:
	s_or_b64 exec, exec, s[6:7]
	s_waitcnt lgkmcnt(0)
	; wave barrier
	s_waitcnt lgkmcnt(0)
	buffer_load_dword v2, off, s[0:3], 0 offset:96
	buffer_load_dword v3, off, s[0:3], 0 offset:100
	;; [unrolled: 1-line block ×72, first 2 shown]
	ds_read_b128 v[96:99], v94 offset:480
	buffer_load_dword v220, off, s[0:3], 0 offset:80
	buffer_load_dword v221, off, s[0:3], 0 offset:84
	;; [unrolled: 1-line block ×4, first 2 shown]
	ds_read_b128 v[100:103], v94 offset:496
	ds_read_b128 v[104:107], v94 offset:512
	;; [unrolled: 1-line block ×3, first 2 shown]
	v_cmp_lt_u32_e32 vcc, 4, v156
	ds_read_b128 v[190:193], v94 offset:752
	s_waitcnt vmcnt(62) lgkmcnt(4)
	v_mul_f64 v[112:113], v[96:97], v[8:9]
	v_fmac_f64_e32 v[112:113], v[98:99], v[2:3]
	v_add_f64 v[112:113], v[112:113], 0
	v_mul_f64 v[8:9], v[98:99], v[8:9]
	s_waitcnt lgkmcnt(3)
	v_mul_f64 v[114:115], v[100:101], v[10:11]
	v_fmac_f64_e32 v[114:115], v[102:103], v[4:5]
	v_add_f64 v[112:113], v[112:113], v[114:115]
	v_fma_f64 v[2:3], v[96:97], v[2:3], -v[8:9]
	s_waitcnt lgkmcnt(2)
	v_mul_f64 v[114:115], v[104:105], v[12:13]
	v_fmac_f64_e32 v[114:115], v[106:107], v[6:7]
	v_add_f64 v[116:117], v[112:113], v[114:115]
	ds_read_b128 v[112:115], v94 offset:544
	s_waitcnt vmcnt(60) lgkmcnt(2)
	v_mul_f64 v[118:119], v[108:109], v[18:19]
	v_mul_f64 v[8:9], v[102:103], v[10:11]
	s_waitcnt vmcnt(58)
	v_fmac_f64_e32 v[118:119], v[110:111], v[20:21]
	v_add_f64 v[120:121], v[116:117], v[118:119]
	ds_read_b128 v[116:119], v94 offset:560
	s_waitcnt vmcnt(56) lgkmcnt(1)
	v_mul_f64 v[122:123], v[112:113], v[14:15]
	v_fmac_f64_e32 v[122:123], v[114:115], v[16:17]
	v_add_f64 v[124:125], v[120:121], v[122:123]
	ds_read_b128 v[120:123], v94 offset:576
	s_waitcnt vmcnt(52) lgkmcnt(1)
	v_mul_f64 v[126:127], v[116:117], v[74:75]
	s_waitcnt vmcnt(50)
	v_fmac_f64_e32 v[126:127], v[118:119], v[76:77]
	v_add_f64 v[128:129], v[124:125], v[126:127]
	ds_read_b128 v[124:127], v94 offset:592
	s_waitcnt vmcnt(48) lgkmcnt(1)
	v_mul_f64 v[130:131], v[120:121], v[70:71]
	v_fmac_f64_e32 v[130:131], v[122:123], v[72:73]
	v_add_f64 v[158:159], v[128:129], v[130:131]
	ds_read_b128 v[128:131], v94 offset:608
	s_waitcnt vmcnt(44) lgkmcnt(1)
	v_mul_f64 v[160:161], v[124:125], v[82:83]
	s_waitcnt vmcnt(42)
	v_fmac_f64_e32 v[160:161], v[126:127], v[84:85]
	v_add_f64 v[2:3], v[2:3], 0
	v_fma_f64 v[4:5], v[100:101], v[4:5], -v[8:9]
	v_add_f64 v[162:163], v[158:159], v[160:161]
	ds_read_b128 v[158:161], v94 offset:624
	s_waitcnt vmcnt(40) lgkmcnt(1)
	v_mul_f64 v[164:165], v[128:129], v[78:79]
	v_add_f64 v[2:3], v[2:3], v[4:5]
	v_mul_f64 v[4:5], v[106:107], v[12:13]
	v_fmac_f64_e32 v[164:165], v[130:131], v[80:81]
	v_fma_f64 v[4:5], v[104:105], v[6:7], -v[4:5]
	v_add_f64 v[166:167], v[162:163], v[164:165]
	ds_read_b128 v[162:165], v94 offset:640
	v_add_f64 v[2:3], v[2:3], v[4:5]
	v_mul_f64 v[4:5], v[110:111], v[18:19]
	v_fma_f64 v[4:5], v[108:109], v[20:21], -v[4:5]
	v_add_f64 v[2:3], v[2:3], v[4:5]
	v_mul_f64 v[4:5], v[114:115], v[14:15]
	s_waitcnt vmcnt(36) lgkmcnt(1)
	v_mul_f64 v[168:169], v[158:159], v[90:91]
	v_fma_f64 v[4:5], v[112:113], v[16:17], -v[4:5]
	s_waitcnt vmcnt(34)
	v_fmac_f64_e32 v[168:169], v[160:161], v[92:93]
	v_add_f64 v[2:3], v[2:3], v[4:5]
	v_mul_f64 v[4:5], v[118:119], v[74:75]
	v_add_f64 v[170:171], v[166:167], v[168:169]
	ds_read_b128 v[166:169], v94 offset:656
	s_waitcnt vmcnt(32) lgkmcnt(1)
	v_mul_f64 v[172:173], v[162:163], v[86:87]
	v_fma_f64 v[4:5], v[116:117], v[76:77], -v[4:5]
	v_fmac_f64_e32 v[172:173], v[164:165], v[88:89]
	v_add_f64 v[2:3], v[2:3], v[4:5]
	v_mul_f64 v[4:5], v[122:123], v[70:71]
	v_add_f64 v[174:175], v[170:171], v[172:173]
	ds_read_b128 v[170:173], v94 offset:672
	v_fma_f64 v[4:5], v[120:121], v[72:73], -v[4:5]
	v_add_f64 v[2:3], v[2:3], v[4:5]
	v_mul_f64 v[4:5], v[126:127], v[82:83]
	v_fma_f64 v[4:5], v[124:125], v[84:85], -v[4:5]
	s_waitcnt vmcnt(28) lgkmcnt(1)
	v_mul_f64 v[176:177], v[166:167], v[196:197]
	v_add_f64 v[2:3], v[2:3], v[4:5]
	v_mul_f64 v[4:5], v[130:131], v[78:79]
	s_waitcnt vmcnt(26)
	v_fmac_f64_e32 v[176:177], v[168:169], v[198:199]
	v_fma_f64 v[4:5], v[128:129], v[80:81], -v[4:5]
	v_add_f64 v[178:179], v[174:175], v[176:177]
	ds_read_b128 v[174:177], v94 offset:688
	s_waitcnt vmcnt(24) lgkmcnt(1)
	v_mul_f64 v[180:181], v[170:171], v[132:133]
	v_add_f64 v[2:3], v[2:3], v[4:5]
	v_mul_f64 v[4:5], v[160:161], v[90:91]
	v_fmac_f64_e32 v[180:181], v[172:173], v[194:195]
	v_fma_f64 v[4:5], v[158:159], v[92:93], -v[4:5]
	v_add_f64 v[182:183], v[178:179], v[180:181]
	ds_read_b128 v[178:181], v94 offset:704
	v_add_f64 v[2:3], v[2:3], v[4:5]
	v_mul_f64 v[4:5], v[164:165], v[86:87]
	v_fma_f64 v[4:5], v[162:163], v[88:89], -v[4:5]
	v_add_f64 v[2:3], v[2:3], v[4:5]
	v_mul_f64 v[4:5], v[168:169], v[196:197]
	s_waitcnt vmcnt(20) lgkmcnt(1)
	v_mul_f64 v[184:185], v[174:175], v[204:205]
	v_fma_f64 v[4:5], v[166:167], v[198:199], -v[4:5]
	s_waitcnt vmcnt(18)
	v_fmac_f64_e32 v[184:185], v[176:177], v[206:207]
	v_add_f64 v[2:3], v[2:3], v[4:5]
	v_mul_f64 v[4:5], v[172:173], v[132:133]
	v_add_f64 v[186:187], v[182:183], v[184:185]
	ds_read_b128 v[182:185], v94 offset:720
	s_waitcnt vmcnt(16) lgkmcnt(1)
	v_mul_f64 v[188:189], v[178:179], v[200:201]
	v_fma_f64 v[4:5], v[170:171], v[194:195], -v[4:5]
	v_fmac_f64_e32 v[188:189], v[180:181], v[202:203]
	v_add_f64 v[2:3], v[2:3], v[4:5]
	v_mul_f64 v[4:5], v[176:177], v[204:205]
	v_add_f64 v[224:225], v[186:187], v[188:189]
	ds_read_b128 v[186:189], v94 offset:736
	v_fma_f64 v[4:5], v[174:175], v[206:207], -v[4:5]
	v_add_f64 v[2:3], v[2:3], v[4:5]
	v_mul_f64 v[4:5], v[180:181], v[200:201]
	v_fma_f64 v[4:5], v[178:179], v[202:203], -v[4:5]
	v_add_f64 v[2:3], v[2:3], v[4:5]
	s_waitcnt vmcnt(12) lgkmcnt(1)
	v_mul_f64 v[4:5], v[184:185], v[212:213]
	v_mul_f64 v[226:227], v[182:183], v[212:213]
	s_waitcnt vmcnt(10)
	v_fma_f64 v[4:5], v[182:183], v[214:215], -v[4:5]
	v_fmac_f64_e32 v[226:227], v[184:185], v[214:215]
	v_add_f64 v[2:3], v[2:3], v[4:5]
	s_waitcnt vmcnt(8) lgkmcnt(0)
	v_mul_f64 v[4:5], v[188:189], v[208:209]
	v_add_f64 v[94:95], v[224:225], v[226:227]
	v_mul_f64 v[224:225], v[186:187], v[208:209]
	v_fma_f64 v[4:5], v[186:187], v[210:211], -v[4:5]
	v_fmac_f64_e32 v[224:225], v[188:189], v[210:211]
	v_add_f64 v[2:3], v[2:3], v[4:5]
	s_waitcnt vmcnt(6)
	v_mul_f64 v[4:5], v[192:193], v[216:217]
	v_add_f64 v[94:95], v[94:95], v[224:225]
	v_mul_f64 v[224:225], v[190:191], v[216:217]
	s_waitcnt vmcnt(4)
	v_fma_f64 v[4:5], v[190:191], v[218:219], -v[4:5]
	v_fmac_f64_e32 v[224:225], v[192:193], v[218:219]
	v_add_f64 v[2:3], v[2:3], v[4:5]
	v_add_f64 v[94:95], v[94:95], v[224:225]
	s_waitcnt vmcnt(2)
	v_add_f64 v[2:3], v[220:221], -v[2:3]
	s_waitcnt vmcnt(0)
	v_add_f64 v[4:5], v[222:223], -v[94:95]
	buffer_store_dword v3, off, s[0:3], 0 offset:84
	buffer_store_dword v2, off, s[0:3], 0 offset:80
	;; [unrolled: 1-line block ×4, first 2 shown]
	s_and_saveexec_b64 s[6:7], vcc
	s_cbranch_execz .LBB87_149
; %bb.148:
	buffer_load_dword v2, v151, s[0:3], 0 offen
	buffer_load_dword v3, v151, s[0:3], 0 offen offset:4
	buffer_load_dword v4, v151, s[0:3], 0 offen offset:8
	;; [unrolled: 1-line block ×3, first 2 shown]
	v_mov_b32_e32 v6, 0
	buffer_store_dword v6, off, s[0:3], 0 offset:64
	buffer_store_dword v6, off, s[0:3], 0 offset:68
	buffer_store_dword v6, off, s[0:3], 0 offset:72
	buffer_store_dword v6, off, s[0:3], 0 offset:76
	s_waitcnt vmcnt(4)
	ds_write_b128 v157, v[2:5]
.LBB87_149:
	s_or_b64 exec, exec, s[6:7]
	s_waitcnt lgkmcnt(0)
	; wave barrier
	s_waitcnt lgkmcnt(0)
	buffer_load_dword v2, off, s[0:3], 0 offset:80
	buffer_load_dword v3, off, s[0:3], 0 offset:84
	;; [unrolled: 1-line block ×76, first 2 shown]
	v_mov_b32_e32 v102, 0
	ds_read_b128 v[104:107], v102 offset:464
	buffer_load_dword v228, off, s[0:3], 0 offset:64
	buffer_load_dword v229, off, s[0:3], 0 offset:68
	;; [unrolled: 1-line block ×4, first 2 shown]
	ds_read_b128 v[108:111], v102 offset:480
	ds_read_b128 v[112:115], v102 offset:496
	;; [unrolled: 1-line block ×4, first 2 shown]
	v_cmp_lt_u32_e32 vcc, 3, v156
	s_waitcnt vmcnt(62) lgkmcnt(4)
	v_mul_f64 v[120:121], v[104:105], v[8:9]
	v_fmac_f64_e32 v[120:121], v[106:107], v[2:3]
	v_add_f64 v[120:121], v[120:121], 0
	v_mul_f64 v[8:9], v[106:107], v[8:9]
	s_waitcnt lgkmcnt(3)
	v_mul_f64 v[122:123], v[108:109], v[10:11]
	v_fmac_f64_e32 v[122:123], v[110:111], v[4:5]
	v_add_f64 v[120:121], v[120:121], v[122:123]
	v_fma_f64 v[2:3], v[104:105], v[2:3], -v[8:9]
	s_waitcnt lgkmcnt(2)
	v_mul_f64 v[122:123], v[112:113], v[12:13]
	v_fmac_f64_e32 v[122:123], v[114:115], v[6:7]
	v_add_f64 v[124:125], v[120:121], v[122:123]
	ds_read_b128 v[120:123], v102 offset:528
	s_waitcnt lgkmcnt(2)
	v_mul_f64 v[126:127], v[116:117], v[18:19]
	v_mul_f64 v[8:9], v[110:111], v[10:11]
	v_fmac_f64_e32 v[126:127], v[118:119], v[20:21]
	v_add_f64 v[128:129], v[124:125], v[126:127]
	ds_read_b128 v[124:127], v102 offset:544
	s_waitcnt vmcnt(60) lgkmcnt(1)
	v_mul_f64 v[130:131], v[120:121], v[14:15]
	v_fmac_f64_e32 v[130:131], v[122:123], v[16:17]
	v_add_f64 v[158:159], v[128:129], v[130:131]
	ds_read_b128 v[128:131], v102 offset:560
	s_waitcnt vmcnt(56) lgkmcnt(1)
	v_mul_f64 v[160:161], v[124:125], v[74:75]
	s_waitcnt vmcnt(54)
	v_fmac_f64_e32 v[160:161], v[126:127], v[76:77]
	v_add_f64 v[162:163], v[158:159], v[160:161]
	ds_read_b128 v[158:161], v102 offset:576
	s_waitcnt vmcnt(52) lgkmcnt(1)
	v_mul_f64 v[164:165], v[128:129], v[70:71]
	v_fmac_f64_e32 v[164:165], v[130:131], v[72:73]
	v_add_f64 v[166:167], v[162:163], v[164:165]
	ds_read_b128 v[162:165], v102 offset:592
	s_waitcnt vmcnt(48) lgkmcnt(1)
	v_mul_f64 v[168:169], v[158:159], v[82:83]
	s_waitcnt vmcnt(46)
	v_fmac_f64_e32 v[168:169], v[160:161], v[84:85]
	v_add_f64 v[170:171], v[166:167], v[168:169]
	ds_read_b128 v[166:169], v102 offset:608
	v_add_f64 v[2:3], v[2:3], 0
	v_fma_f64 v[4:5], v[108:109], v[4:5], -v[8:9]
	s_waitcnt vmcnt(44) lgkmcnt(1)
	v_mul_f64 v[172:173], v[162:163], v[78:79]
	v_add_f64 v[2:3], v[2:3], v[4:5]
	v_mul_f64 v[4:5], v[114:115], v[12:13]
	v_fmac_f64_e32 v[172:173], v[164:165], v[80:81]
	v_fma_f64 v[4:5], v[112:113], v[6:7], -v[4:5]
	v_add_f64 v[174:175], v[170:171], v[172:173]
	ds_read_b128 v[170:173], v102 offset:624
	s_waitcnt vmcnt(40) lgkmcnt(1)
	v_mul_f64 v[176:177], v[166:167], v[90:91]
	v_add_f64 v[2:3], v[2:3], v[4:5]
	v_mul_f64 v[4:5], v[118:119], v[18:19]
	s_waitcnt vmcnt(38)
	v_fmac_f64_e32 v[176:177], v[168:169], v[92:93]
	v_fma_f64 v[4:5], v[116:117], v[20:21], -v[4:5]
	v_add_f64 v[178:179], v[174:175], v[176:177]
	ds_read_b128 v[174:177], v102 offset:640
	v_add_f64 v[2:3], v[2:3], v[4:5]
	v_mul_f64 v[4:5], v[122:123], v[14:15]
	v_fma_f64 v[4:5], v[120:121], v[16:17], -v[4:5]
	v_add_f64 v[2:3], v[2:3], v[4:5]
	v_mul_f64 v[4:5], v[126:127], v[74:75]
	s_waitcnt vmcnt(36) lgkmcnt(1)
	v_mul_f64 v[180:181], v[170:171], v[86:87]
	v_fma_f64 v[4:5], v[124:125], v[76:77], -v[4:5]
	v_fmac_f64_e32 v[180:181], v[172:173], v[88:89]
	v_add_f64 v[2:3], v[2:3], v[4:5]
	v_mul_f64 v[4:5], v[130:131], v[70:71]
	v_add_f64 v[182:183], v[178:179], v[180:181]
	ds_read_b128 v[178:181], v102 offset:656
	s_waitcnt vmcnt(32) lgkmcnt(1)
	v_mul_f64 v[184:185], v[174:175], v[98:99]
	v_fma_f64 v[4:5], v[128:129], v[72:73], -v[4:5]
	s_waitcnt vmcnt(30)
	v_fmac_f64_e32 v[184:185], v[176:177], v[100:101]
	v_add_f64 v[2:3], v[2:3], v[4:5]
	v_mul_f64 v[4:5], v[160:161], v[82:83]
	v_add_f64 v[186:187], v[182:183], v[184:185]
	ds_read_b128 v[182:185], v102 offset:672
	v_fma_f64 v[4:5], v[158:159], v[84:85], -v[4:5]
	v_add_f64 v[2:3], v[2:3], v[4:5]
	v_mul_f64 v[4:5], v[164:165], v[78:79]
	v_fma_f64 v[4:5], v[162:163], v[80:81], -v[4:5]
	s_waitcnt vmcnt(28) lgkmcnt(1)
	v_mul_f64 v[188:189], v[178:179], v[94:95]
	v_add_f64 v[2:3], v[2:3], v[4:5]
	v_mul_f64 v[4:5], v[168:169], v[90:91]
	v_fmac_f64_e32 v[188:189], v[180:181], v[96:97]
	v_fma_f64 v[4:5], v[166:167], v[92:93], -v[4:5]
	v_add_f64 v[190:191], v[186:187], v[188:189]
	ds_read_b128 v[186:189], v102 offset:688
	s_waitcnt vmcnt(24) lgkmcnt(1)
	v_mul_f64 v[192:193], v[182:183], v[208:209]
	v_add_f64 v[2:3], v[2:3], v[4:5]
	v_mul_f64 v[4:5], v[172:173], v[86:87]
	s_waitcnt vmcnt(22)
	v_fmac_f64_e32 v[192:193], v[184:185], v[210:211]
	v_fma_f64 v[4:5], v[170:171], v[88:89], -v[4:5]
	v_add_f64 v[194:195], v[190:191], v[192:193]
	ds_read_b128 v[190:193], v102 offset:704
	v_add_f64 v[2:3], v[2:3], v[4:5]
	v_mul_f64 v[4:5], v[176:177], v[98:99]
	v_fma_f64 v[4:5], v[174:175], v[100:101], -v[4:5]
	v_add_f64 v[2:3], v[2:3], v[4:5]
	v_mul_f64 v[4:5], v[180:181], v[94:95]
	s_waitcnt vmcnt(20) lgkmcnt(1)
	v_mul_f64 v[196:197], v[186:187], v[132:133]
	v_fma_f64 v[4:5], v[178:179], v[96:97], -v[4:5]
	v_fmac_f64_e32 v[196:197], v[188:189], v[206:207]
	v_add_f64 v[2:3], v[2:3], v[4:5]
	v_mul_f64 v[4:5], v[184:185], v[208:209]
	v_add_f64 v[198:199], v[194:195], v[196:197]
	ds_read_b128 v[194:197], v102 offset:720
	s_waitcnt vmcnt(16) lgkmcnt(1)
	v_mul_f64 v[200:201], v[190:191], v[216:217]
	v_fma_f64 v[4:5], v[182:183], v[210:211], -v[4:5]
	s_waitcnt vmcnt(14)
	v_fmac_f64_e32 v[200:201], v[192:193], v[218:219]
	v_add_f64 v[2:3], v[2:3], v[4:5]
	v_mul_f64 v[4:5], v[188:189], v[132:133]
	v_add_f64 v[232:233], v[198:199], v[200:201]
	ds_read_b128 v[198:201], v102 offset:736
	v_fma_f64 v[4:5], v[186:187], v[206:207], -v[4:5]
	v_add_f64 v[2:3], v[2:3], v[4:5]
	v_mul_f64 v[4:5], v[192:193], v[216:217]
	v_fma_f64 v[4:5], v[190:191], v[218:219], -v[4:5]
	v_add_f64 v[2:3], v[2:3], v[4:5]
	s_waitcnt vmcnt(12) lgkmcnt(1)
	v_mul_f64 v[4:5], v[196:197], v[212:213]
	v_mul_f64 v[234:235], v[194:195], v[212:213]
	v_fma_f64 v[4:5], v[194:195], v[214:215], -v[4:5]
	v_fmac_f64_e32 v[234:235], v[196:197], v[214:215]
	v_add_f64 v[2:3], v[2:3], v[4:5]
	s_waitcnt vmcnt(8) lgkmcnt(0)
	v_mul_f64 v[4:5], v[200:201], v[224:225]
	v_add_f64 v[232:233], v[232:233], v[234:235]
	v_mul_f64 v[234:235], v[198:199], v[224:225]
	s_waitcnt vmcnt(6)
	v_fma_f64 v[4:5], v[198:199], v[226:227], -v[4:5]
	v_fmac_f64_e32 v[234:235], v[200:201], v[226:227]
	v_add_f64 v[2:3], v[2:3], v[4:5]
	s_waitcnt vmcnt(5)
	v_mul_f64 v[4:5], v[204:205], v[220:221]
	v_add_f64 v[232:233], v[232:233], v[234:235]
	v_mul_f64 v[234:235], v[202:203], v[220:221]
	s_waitcnt vmcnt(4)
	v_fma_f64 v[4:5], v[202:203], v[222:223], -v[4:5]
	v_fmac_f64_e32 v[234:235], v[204:205], v[222:223]
	v_add_f64 v[2:3], v[2:3], v[4:5]
	v_add_f64 v[232:233], v[232:233], v[234:235]
	s_waitcnt vmcnt(2)
	v_add_f64 v[2:3], v[228:229], -v[2:3]
	s_waitcnt vmcnt(0)
	v_add_f64 v[4:5], v[230:231], -v[232:233]
	buffer_store_dword v3, off, s[0:3], 0 offset:68
	buffer_store_dword v2, off, s[0:3], 0 offset:64
	;; [unrolled: 1-line block ×4, first 2 shown]
	s_and_saveexec_b64 s[6:7], vcc
	s_cbranch_execz .LBB87_151
; %bb.150:
	buffer_load_dword v2, v154, s[0:3], 0 offen
	buffer_load_dword v3, v154, s[0:3], 0 offen offset:4
	buffer_load_dword v4, v154, s[0:3], 0 offen offset:8
	buffer_load_dword v5, v154, s[0:3], 0 offen offset:12
	s_nop 0
	buffer_store_dword v102, off, s[0:3], 0 offset:48
	buffer_store_dword v102, off, s[0:3], 0 offset:52
	;; [unrolled: 1-line block ×4, first 2 shown]
	s_waitcnt vmcnt(4)
	ds_write_b128 v157, v[2:5]
.LBB87_151:
	s_or_b64 exec, exec, s[6:7]
	s_waitcnt lgkmcnt(0)
	; wave barrier
	s_waitcnt lgkmcnt(0)
	buffer_load_dword v2, off, s[0:3], 0 offset:64
	buffer_load_dword v3, off, s[0:3], 0 offset:68
	;; [unrolled: 1-line block ×76, first 2 shown]
	ds_read_b128 v[104:107], v102 offset:448
	buffer_load_dword v233, off, s[0:3], 0 offset:380
	buffer_load_dword v232, off, s[0:3], 0 offset:376
	;; [unrolled: 1-line block ×8, first 2 shown]
	ds_read_b128 v[108:111], v102 offset:464
	ds_read_b128 v[112:115], v102 offset:480
	;; [unrolled: 1-line block ×3, first 2 shown]
	v_cmp_lt_u32_e32 vcc, 2, v156
	ds_read_b128 v[206:209], v102 offset:752
	s_waitcnt vmcnt(62) lgkmcnt(4)
	v_mul_f64 v[120:121], v[104:105], v[8:9]
	v_fmac_f64_e32 v[120:121], v[106:107], v[2:3]
	v_add_f64 v[120:121], v[120:121], 0
	v_mul_f64 v[8:9], v[106:107], v[8:9]
	s_waitcnt lgkmcnt(3)
	v_mul_f64 v[122:123], v[108:109], v[10:11]
	v_fmac_f64_e32 v[122:123], v[110:111], v[4:5]
	v_add_f64 v[120:121], v[120:121], v[122:123]
	v_fma_f64 v[2:3], v[104:105], v[2:3], -v[8:9]
	s_waitcnt lgkmcnt(2)
	v_mul_f64 v[122:123], v[112:113], v[12:13]
	v_fmac_f64_e32 v[122:123], v[114:115], v[6:7]
	v_add_f64 v[124:125], v[120:121], v[122:123]
	ds_read_b128 v[120:123], v102 offset:512
	v_mul_f64 v[8:9], v[110:111], v[10:11]
	v_add_f64 v[2:3], v[2:3], 0
	s_waitcnt lgkmcnt(2)
	v_mul_f64 v[126:127], v[116:117], v[18:19]
	v_fma_f64 v[4:5], v[108:109], v[4:5], -v[8:9]
	v_fmac_f64_e32 v[126:127], v[118:119], v[20:21]
	v_add_f64 v[128:129], v[124:125], v[126:127]
	ds_read_b128 v[124:127], v102 offset:528
	s_waitcnt lgkmcnt(1)
	v_mul_f64 v[130:131], v[120:121], v[14:15]
	v_fmac_f64_e32 v[130:131], v[122:123], v[16:17]
	v_add_f64 v[158:159], v[128:129], v[130:131]
	ds_read_b128 v[128:131], v102 offset:544
	s_waitcnt vmcnt(58) lgkmcnt(1)
	v_mul_f64 v[160:161], v[124:125], v[74:75]
	s_waitcnt vmcnt(56)
	v_fmac_f64_e32 v[160:161], v[126:127], v[76:77]
	v_add_f64 v[162:163], v[158:159], v[160:161]
	ds_read_b128 v[158:161], v102 offset:560
	s_waitcnt lgkmcnt(1)
	v_mul_f64 v[164:165], v[128:129], v[70:71]
	v_fmac_f64_e32 v[164:165], v[130:131], v[72:73]
	v_add_f64 v[166:167], v[162:163], v[164:165]
	ds_read_b128 v[162:165], v102 offset:576
	s_waitcnt vmcnt(50) lgkmcnt(1)
	v_mul_f64 v[168:169], v[158:159], v[82:83]
	s_waitcnt vmcnt(48)
	v_fmac_f64_e32 v[168:169], v[160:161], v[84:85]
	v_add_f64 v[170:171], v[166:167], v[168:169]
	ds_read_b128 v[166:169], v102 offset:592
	s_waitcnt lgkmcnt(1)
	v_mul_f64 v[172:173], v[162:163], v[78:79]
	v_fmac_f64_e32 v[172:173], v[164:165], v[80:81]
	v_add_f64 v[174:175], v[170:171], v[172:173]
	ds_read_b128 v[170:173], v102 offset:608
	v_add_f64 v[2:3], v[2:3], v[4:5]
	v_mul_f64 v[4:5], v[114:115], v[12:13]
	v_fma_f64 v[4:5], v[112:113], v[6:7], -v[4:5]
	s_waitcnt vmcnt(42) lgkmcnt(1)
	v_mul_f64 v[176:177], v[166:167], v[90:91]
	v_add_f64 v[2:3], v[2:3], v[4:5]
	v_mul_f64 v[4:5], v[118:119], v[18:19]
	s_waitcnt vmcnt(40)
	v_fmac_f64_e32 v[176:177], v[168:169], v[92:93]
	v_fma_f64 v[4:5], v[116:117], v[20:21], -v[4:5]
	v_add_f64 v[178:179], v[174:175], v[176:177]
	ds_read_b128 v[174:177], v102 offset:624
	s_waitcnt lgkmcnt(1)
	v_mul_f64 v[180:181], v[170:171], v[86:87]
	v_add_f64 v[2:3], v[2:3], v[4:5]
	v_mul_f64 v[4:5], v[122:123], v[14:15]
	v_fmac_f64_e32 v[180:181], v[172:173], v[88:89]
	v_fma_f64 v[4:5], v[120:121], v[16:17], -v[4:5]
	v_add_f64 v[182:183], v[178:179], v[180:181]
	ds_read_b128 v[178:181], v102 offset:640
	v_add_f64 v[2:3], v[2:3], v[4:5]
	v_mul_f64 v[4:5], v[126:127], v[74:75]
	v_fma_f64 v[4:5], v[124:125], v[76:77], -v[4:5]
	v_add_f64 v[2:3], v[2:3], v[4:5]
	v_mul_f64 v[4:5], v[130:131], v[70:71]
	s_waitcnt vmcnt(34) lgkmcnt(1)
	v_mul_f64 v[184:185], v[174:175], v[98:99]
	v_fma_f64 v[4:5], v[128:129], v[72:73], -v[4:5]
	s_waitcnt vmcnt(32)
	v_fmac_f64_e32 v[184:185], v[176:177], v[100:101]
	v_add_f64 v[2:3], v[2:3], v[4:5]
	v_mul_f64 v[4:5], v[160:161], v[82:83]
	v_add_f64 v[186:187], v[182:183], v[184:185]
	ds_read_b128 v[182:185], v102 offset:656
	s_waitcnt lgkmcnt(1)
	v_mul_f64 v[188:189], v[178:179], v[94:95]
	v_fma_f64 v[4:5], v[158:159], v[84:85], -v[4:5]
	v_fmac_f64_e32 v[188:189], v[180:181], v[96:97]
	v_add_f64 v[2:3], v[2:3], v[4:5]
	v_mul_f64 v[4:5], v[164:165], v[78:79]
	v_add_f64 v[190:191], v[186:187], v[188:189]
	ds_read_b128 v[186:189], v102 offset:672
	v_fma_f64 v[4:5], v[162:163], v[80:81], -v[4:5]
	v_add_f64 v[2:3], v[2:3], v[4:5]
	v_mul_f64 v[4:5], v[168:169], v[90:91]
	v_fma_f64 v[4:5], v[166:167], v[92:93], -v[4:5]
	s_waitcnt vmcnt(26) lgkmcnt(1)
	v_mul_f64 v[192:193], v[182:183], v[212:213]
	v_add_f64 v[2:3], v[2:3], v[4:5]
	v_mul_f64 v[4:5], v[172:173], v[86:87]
	s_waitcnt vmcnt(24)
	v_fmac_f64_e32 v[192:193], v[184:185], v[214:215]
	v_fma_f64 v[4:5], v[170:171], v[88:89], -v[4:5]
	v_add_f64 v[194:195], v[190:191], v[192:193]
	ds_read_b128 v[190:193], v102 offset:688
	s_waitcnt lgkmcnt(1)
	v_mul_f64 v[196:197], v[186:187], v[132:133]
	v_add_f64 v[2:3], v[2:3], v[4:5]
	v_mul_f64 v[4:5], v[176:177], v[98:99]
	v_fmac_f64_e32 v[196:197], v[188:189], v[210:211]
	v_fma_f64 v[4:5], v[174:175], v[100:101], -v[4:5]
	v_add_f64 v[198:199], v[194:195], v[196:197]
	ds_read_b128 v[194:197], v102 offset:704
	v_add_f64 v[2:3], v[2:3], v[4:5]
	v_mul_f64 v[4:5], v[180:181], v[94:95]
	v_fma_f64 v[4:5], v[178:179], v[96:97], -v[4:5]
	v_add_f64 v[2:3], v[2:3], v[4:5]
	v_mul_f64 v[4:5], v[184:185], v[212:213]
	s_waitcnt vmcnt(18) lgkmcnt(1)
	v_mul_f64 v[200:201], v[190:191], v[220:221]
	v_fma_f64 v[4:5], v[182:183], v[214:215], -v[4:5]
	s_waitcnt vmcnt(16)
	v_fmac_f64_e32 v[200:201], v[192:193], v[222:223]
	v_add_f64 v[2:3], v[2:3], v[4:5]
	v_mul_f64 v[4:5], v[188:189], v[132:133]
	v_add_f64 v[202:203], v[198:199], v[200:201]
	ds_read_b128 v[198:201], v102 offset:720
	s_waitcnt lgkmcnt(1)
	v_mul_f64 v[204:205], v[194:195], v[216:217]
	v_fma_f64 v[4:5], v[186:187], v[210:211], -v[4:5]
	v_fmac_f64_e32 v[204:205], v[196:197], v[218:219]
	v_add_f64 v[2:3], v[2:3], v[4:5]
	v_mul_f64 v[4:5], v[192:193], v[220:221]
	v_add_f64 v[240:241], v[202:203], v[204:205]
	ds_read_b128 v[202:205], v102 offset:736
	v_fma_f64 v[4:5], v[190:191], v[222:223], -v[4:5]
	v_add_f64 v[2:3], v[2:3], v[4:5]
	v_mul_f64 v[4:5], v[196:197], v[216:217]
	v_fma_f64 v[4:5], v[194:195], v[218:219], -v[4:5]
	v_add_f64 v[2:3], v[2:3], v[4:5]
	s_waitcnt vmcnt(10) lgkmcnt(1)
	v_mul_f64 v[4:5], v[200:201], v[228:229]
	v_mul_f64 v[242:243], v[198:199], v[228:229]
	s_waitcnt vmcnt(8)
	v_fma_f64 v[4:5], v[198:199], v[230:231], -v[4:5]
	v_fmac_f64_e32 v[242:243], v[200:201], v[230:231]
	v_add_f64 v[2:3], v[2:3], v[4:5]
	s_waitcnt lgkmcnt(0)
	v_mul_f64 v[4:5], v[204:205], v[224:225]
	v_add_f64 v[102:103], v[240:241], v[242:243]
	v_mul_f64 v[240:241], v[202:203], v[224:225]
	v_fma_f64 v[4:5], v[202:203], v[226:227], -v[4:5]
	v_fmac_f64_e32 v[240:241], v[204:205], v[226:227]
	v_add_f64 v[2:3], v[2:3], v[4:5]
	s_waitcnt vmcnt(6)
	v_mul_f64 v[4:5], v[208:209], v[232:233]
	v_add_f64 v[102:103], v[102:103], v[240:241]
	v_mul_f64 v[240:241], v[206:207], v[232:233]
	s_waitcnt vmcnt(4)
	v_fma_f64 v[4:5], v[206:207], v[234:235], -v[4:5]
	v_fmac_f64_e32 v[240:241], v[208:209], v[234:235]
	v_add_f64 v[2:3], v[2:3], v[4:5]
	v_add_f64 v[102:103], v[102:103], v[240:241]
	s_waitcnt vmcnt(2)
	v_add_f64 v[2:3], v[236:237], -v[2:3]
	s_waitcnt vmcnt(0)
	v_add_f64 v[4:5], v[238:239], -v[102:103]
	buffer_store_dword v3, off, s[0:3], 0 offset:52
	buffer_store_dword v2, off, s[0:3], 0 offset:48
	;; [unrolled: 1-line block ×4, first 2 shown]
	s_and_saveexec_b64 s[6:7], vcc
	s_cbranch_execz .LBB87_153
; %bb.152:
	buffer_load_dword v2, v155, s[0:3], 0 offen
	buffer_load_dword v3, v155, s[0:3], 0 offen offset:4
	buffer_load_dword v4, v155, s[0:3], 0 offen offset:8
	;; [unrolled: 1-line block ×3, first 2 shown]
	v_mov_b32_e32 v6, 0
	buffer_store_dword v6, off, s[0:3], 0 offset:32
	buffer_store_dword v6, off, s[0:3], 0 offset:36
	;; [unrolled: 1-line block ×4, first 2 shown]
	s_waitcnt vmcnt(4)
	ds_write_b128 v157, v[2:5]
.LBB87_153:
	s_or_b64 exec, exec, s[6:7]
	s_waitcnt lgkmcnt(0)
	; wave barrier
	s_waitcnt lgkmcnt(0)
	buffer_load_dword v4, off, s[0:3], 0 offset:32
	buffer_load_dword v5, off, s[0:3], 0 offset:36
	;; [unrolled: 1-line block ×88, first 2 shown]
	v_mov_b32_e32 v158, 0
	ds_read_b128 v[114:117], v158 offset:432
	ds_read_b128 v[118:121], v158 offset:448
	;; [unrolled: 1-line block ×5, first 2 shown]
	v_cmp_lt_u32_e32 vcc, 1, v156
	s_waitcnt vmcnt(62) lgkmcnt(3)
	v_mul_f64 v[132:133], v[118:119], v[14:15]
	v_mul_f64 v[130:131], v[114:115], v[12:13]
	v_fmac_f64_e32 v[130:131], v[116:117], v[6:7]
	v_add_f64 v[130:131], v[130:131], 0
	v_fmac_f64_e32 v[132:133], v[120:121], v[8:9]
	v_add_f64 v[130:131], v[130:131], v[132:133]
	s_waitcnt lgkmcnt(2)
	v_mul_f64 v[132:133], v[122:123], v[16:17]
	v_fmac_f64_e32 v[132:133], v[124:125], v[10:11]
	v_add_f64 v[160:161], v[130:131], v[132:133]
	ds_read_b128 v[130:133], v158 offset:496
	s_waitcnt lgkmcnt(2)
	v_mul_f64 v[162:163], v[126:127], v[70:71]
	v_fmac_f64_e32 v[162:163], v[128:129], v[72:73]
	v_add_f64 v[164:165], v[160:161], v[162:163]
	ds_read_b128 v[160:163], v158 offset:512
	;; [unrolled: 5-line block ×3, first 2 shown]
	s_waitcnt vmcnt(58) lgkmcnt(1)
	v_mul_f64 v[170:171], v[160:161], v[78:79]
	s_waitcnt vmcnt(56)
	v_fmac_f64_e32 v[170:171], v[162:163], v[80:81]
	v_add_f64 v[172:173], v[168:169], v[170:171]
	ds_read_b128 v[168:171], v158 offset:544
	s_waitcnt lgkmcnt(1)
	v_mul_f64 v[174:175], v[164:165], v[74:75]
	v_fmac_f64_e32 v[174:175], v[166:167], v[76:77]
	v_add_f64 v[176:177], v[172:173], v[174:175]
	ds_read_b128 v[172:175], v158 offset:560
	s_waitcnt vmcnt(50) lgkmcnt(1)
	v_mul_f64 v[178:179], v[168:169], v[86:87]
	s_waitcnt vmcnt(48)
	v_fmac_f64_e32 v[178:179], v[170:171], v[88:89]
	v_add_f64 v[180:181], v[176:177], v[178:179]
	ds_read_b128 v[176:179], v158 offset:576
	s_waitcnt lgkmcnt(1)
	v_mul_f64 v[182:183], v[172:173], v[82:83]
	v_mul_f64 v[12:13], v[116:117], v[12:13]
	v_fmac_f64_e32 v[182:183], v[174:175], v[84:85]
	v_fma_f64 v[6:7], v[114:115], v[6:7], -v[12:13]
	v_mul_f64 v[12:13], v[120:121], v[14:15]
	v_add_f64 v[184:185], v[180:181], v[182:183]
	ds_read_b128 v[180:183], v158 offset:592
	s_waitcnt vmcnt(42) lgkmcnt(1)
	v_mul_f64 v[186:187], v[176:177], v[94:95]
	v_add_f64 v[6:7], v[6:7], 0
	v_fma_f64 v[8:9], v[118:119], v[8:9], -v[12:13]
	s_waitcnt vmcnt(40)
	v_fmac_f64_e32 v[186:187], v[178:179], v[96:97]
	v_add_f64 v[6:7], v[6:7], v[8:9]
	v_mul_f64 v[8:9], v[124:125], v[16:17]
	v_add_f64 v[188:189], v[184:185], v[186:187]
	ds_read_b128 v[184:187], v158 offset:608
	v_fma_f64 v[8:9], v[122:123], v[10:11], -v[8:9]
	v_add_f64 v[6:7], v[6:7], v[8:9]
	v_mul_f64 v[8:9], v[128:129], v[70:71]
	v_fma_f64 v[8:9], v[126:127], v[72:73], -v[8:9]
	s_waitcnt lgkmcnt(1)
	v_mul_f64 v[190:191], v[180:181], v[90:91]
	v_add_f64 v[6:7], v[6:7], v[8:9]
	v_mul_f64 v[8:9], v[132:133], v[18:19]
	v_fmac_f64_e32 v[190:191], v[182:183], v[92:93]
	v_fma_f64 v[8:9], v[130:131], v[20:21], -v[8:9]
	v_add_f64 v[192:193], v[188:189], v[190:191]
	ds_read_b128 v[188:191], v158 offset:624
	s_waitcnt vmcnt(34) lgkmcnt(1)
	v_mul_f64 v[194:195], v[184:185], v[102:103]
	v_add_f64 v[6:7], v[6:7], v[8:9]
	v_mul_f64 v[8:9], v[162:163], v[78:79]
	s_waitcnt vmcnt(32)
	v_fmac_f64_e32 v[194:195], v[186:187], v[104:105]
	v_fma_f64 v[8:9], v[160:161], v[80:81], -v[8:9]
	v_add_f64 v[196:197], v[192:193], v[194:195]
	ds_read_b128 v[192:195], v158 offset:640
	v_add_f64 v[6:7], v[6:7], v[8:9]
	v_mul_f64 v[8:9], v[166:167], v[74:75]
	v_fma_f64 v[8:9], v[164:165], v[76:77], -v[8:9]
	v_add_f64 v[6:7], v[6:7], v[8:9]
	v_mul_f64 v[8:9], v[170:171], v[86:87]
	s_waitcnt lgkmcnt(1)
	v_mul_f64 v[198:199], v[188:189], v[98:99]
	v_fma_f64 v[8:9], v[168:169], v[88:89], -v[8:9]
	v_fmac_f64_e32 v[198:199], v[190:191], v[100:101]
	v_add_f64 v[6:7], v[6:7], v[8:9]
	v_mul_f64 v[8:9], v[174:175], v[82:83]
	v_add_f64 v[200:201], v[196:197], v[198:199]
	ds_read_b128 v[196:199], v158 offset:656
	s_waitcnt vmcnt(26) lgkmcnt(1)
	v_mul_f64 v[202:203], v[192:193], v[110:111]
	v_fma_f64 v[8:9], v[172:173], v[84:85], -v[8:9]
	s_waitcnt vmcnt(24)
	v_fmac_f64_e32 v[202:203], v[194:195], v[112:113]
	v_add_f64 v[6:7], v[6:7], v[8:9]
	v_mul_f64 v[8:9], v[178:179], v[94:95]
	v_add_f64 v[204:205], v[200:201], v[202:203]
	ds_read_b128 v[200:203], v158 offset:672
	v_fma_f64 v[8:9], v[176:177], v[96:97], -v[8:9]
	v_add_f64 v[6:7], v[6:7], v[8:9]
	v_mul_f64 v[8:9], v[182:183], v[90:91]
	v_fma_f64 v[8:9], v[180:181], v[92:93], -v[8:9]
	s_waitcnt lgkmcnt(1)
	v_mul_f64 v[206:207], v[196:197], v[106:107]
	v_add_f64 v[6:7], v[6:7], v[8:9]
	v_mul_f64 v[8:9], v[186:187], v[102:103]
	v_fmac_f64_e32 v[206:207], v[198:199], v[108:109]
	v_fma_f64 v[8:9], v[184:185], v[104:105], -v[8:9]
	v_add_f64 v[208:209], v[204:205], v[206:207]
	ds_read_b128 v[204:207], v158 offset:688
	s_waitcnt vmcnt(18) lgkmcnt(1)
	v_mul_f64 v[210:211], v[200:201], v[228:229]
	v_add_f64 v[6:7], v[6:7], v[8:9]
	v_mul_f64 v[8:9], v[190:191], v[98:99]
	s_waitcnt vmcnt(16)
	v_fmac_f64_e32 v[210:211], v[202:203], v[230:231]
	v_fma_f64 v[8:9], v[188:189], v[100:101], -v[8:9]
	v_add_f64 v[212:213], v[208:209], v[210:211]
	ds_read_b128 v[208:211], v158 offset:704
	v_add_f64 v[6:7], v[6:7], v[8:9]
	v_mul_f64 v[8:9], v[194:195], v[110:111]
	v_fma_f64 v[8:9], v[192:193], v[112:113], -v[8:9]
	v_add_f64 v[6:7], v[6:7], v[8:9]
	v_mul_f64 v[8:9], v[198:199], v[106:107]
	s_waitcnt lgkmcnt(1)
	v_mul_f64 v[214:215], v[204:205], v[224:225]
	v_fma_f64 v[8:9], v[196:197], v[108:109], -v[8:9]
	v_fmac_f64_e32 v[214:215], v[206:207], v[226:227]
	v_add_f64 v[6:7], v[6:7], v[8:9]
	v_mul_f64 v[8:9], v[202:203], v[228:229]
	v_add_f64 v[216:217], v[212:213], v[214:215]
	ds_read_b128 v[212:215], v158 offset:720
	s_waitcnt vmcnt(10) lgkmcnt(1)
	v_mul_f64 v[218:219], v[208:209], v[236:237]
	v_fma_f64 v[8:9], v[200:201], v[230:231], -v[8:9]
	s_waitcnt vmcnt(8)
	v_fmac_f64_e32 v[218:219], v[210:211], v[238:239]
	v_add_f64 v[6:7], v[6:7], v[8:9]
	v_mul_f64 v[8:9], v[206:207], v[224:225]
	v_add_f64 v[248:249], v[216:217], v[218:219]
	ds_read_b128 v[216:219], v158 offset:736
	v_fma_f64 v[8:9], v[204:205], v[226:227], -v[8:9]
	v_add_f64 v[6:7], v[6:7], v[8:9]
	v_mul_f64 v[8:9], v[210:211], v[236:237]
	v_fma_f64 v[8:9], v[208:209], v[238:239], -v[8:9]
	v_add_f64 v[6:7], v[6:7], v[8:9]
	s_waitcnt lgkmcnt(1)
	v_mul_f64 v[8:9], v[214:215], v[232:233]
	v_mul_f64 v[250:251], v[212:213], v[232:233]
	v_fma_f64 v[8:9], v[212:213], v[234:235], -v[8:9]
	v_fmac_f64_e32 v[250:251], v[214:215], v[234:235]
	v_add_f64 v[6:7], v[6:7], v[8:9]
	s_waitcnt vmcnt(3) lgkmcnt(0)
	v_mul_f64 v[8:9], v[218:219], v[244:245]
	v_add_f64 v[248:249], v[248:249], v[250:251]
	v_mul_f64 v[250:251], v[216:217], v[244:245]
	s_waitcnt vmcnt(1)
	v_fma_f64 v[8:9], v[216:217], v[246:247], -v[8:9]
	v_fmac_f64_e32 v[250:251], v[218:219], v[246:247]
	v_add_f64 v[6:7], v[6:7], v[8:9]
	s_waitcnt vmcnt(0)
	v_mul_f64 v[8:9], v[222:223], v[240:241]
	v_add_f64 v[248:249], v[248:249], v[250:251]
	v_mul_f64 v[250:251], v[220:221], v[240:241]
	v_fma_f64 v[8:9], v[220:221], v[242:243], -v[8:9]
	v_fmac_f64_e32 v[250:251], v[222:223], v[242:243]
	v_add_f64 v[6:7], v[6:7], v[8:9]
	v_add_f64 v[248:249], v[248:249], v[250:251]
	v_add_f64 v[4:5], v[4:5], -v[6:7]
	v_add_f64 v[2:3], v[2:3], -v[248:249]
	buffer_store_dword v5, off, s[0:3], 0 offset:36
	buffer_store_dword v4, off, s[0:3], 0 offset:32
	;; [unrolled: 1-line block ×4, first 2 shown]
	s_and_saveexec_b64 s[6:7], vcc
	s_cbranch_execz .LBB87_155
; %bb.154:
	buffer_load_dword v2, v153, s[0:3], 0 offen
	buffer_load_dword v3, v153, s[0:3], 0 offen offset:4
	buffer_load_dword v4, v153, s[0:3], 0 offen offset:8
	;; [unrolled: 1-line block ×3, first 2 shown]
	s_nop 0
	buffer_store_dword v158, off, s[0:3], 0 offset:16
	buffer_store_dword v158, off, s[0:3], 0 offset:20
	;; [unrolled: 1-line block ×4, first 2 shown]
	s_waitcnt vmcnt(4)
	ds_write_b128 v157, v[2:5]
.LBB87_155:
	s_or_b64 exec, exec, s[6:7]
	s_waitcnt lgkmcnt(0)
	; wave barrier
	s_waitcnt lgkmcnt(0)
	ds_read_b128 v[14:17], v158 offset:416
	ds_read_b128 v[10:13], v158 offset:432
	;; [unrolled: 1-line block ×4, first 2 shown]
	buffer_load_dword v20, off, s[0:3], 0 offset:16
	buffer_load_dword v21, off, s[0:3], 0 offset:20
	;; [unrolled: 1-line block ×92, first 2 shown]
	s_waitcnt vmcnt(62) lgkmcnt(3)
	v_mul_f64 v[160:161], v[14:15], v[76:77]
	v_fmac_f64_e32 v[160:161], v[16:17], v[70:71]
	s_waitcnt lgkmcnt(2)
	v_mul_f64 v[162:163], v[10:11], v[78:79]
	v_add_f64 v[160:161], v[160:161], 0
	v_fmac_f64_e32 v[162:163], v[12:13], v[72:73]
	v_add_f64 v[160:161], v[160:161], v[162:163]
	s_waitcnt lgkmcnt(1)
	v_mul_f64 v[162:163], v[6:7], v[80:81]
	v_fmac_f64_e32 v[162:163], v[8:9], v[74:75]
	v_add_f64 v[164:165], v[160:161], v[162:163]
	ds_read_b128 v[160:163], v158 offset:480
	v_mul_f64 v[16:17], v[16:17], v[76:77]
	v_fma_f64 v[14:15], v[14:15], v[70:71], -v[16:17]
	s_waitcnt lgkmcnt(1)
	v_mul_f64 v[166:167], v[2:3], v[86:87]
	v_mul_f64 v[12:13], v[12:13], v[78:79]
	v_fmac_f64_e32 v[166:167], v[4:5], v[88:89]
	v_add_f64 v[168:169], v[164:165], v[166:167]
	ds_read_b128 v[164:167], v158 offset:496
	s_waitcnt lgkmcnt(1)
	v_mul_f64 v[170:171], v[160:161], v[82:83]
	v_fmac_f64_e32 v[170:171], v[162:163], v[84:85]
	v_add_f64 v[172:173], v[168:169], v[170:171]
	ds_read_b128 v[168:171], v158 offset:512
	s_waitcnt lgkmcnt(1)
	v_mul_f64 v[174:175], v[164:165], v[94:95]
	s_waitcnt vmcnt(60)
	v_fmac_f64_e32 v[174:175], v[166:167], v[96:97]
	v_add_f64 v[176:177], v[172:173], v[174:175]
	ds_read_b128 v[172:175], v158 offset:528
	s_waitcnt lgkmcnt(1)
	v_mul_f64 v[178:179], v[168:169], v[90:91]
	v_fmac_f64_e32 v[178:179], v[170:171], v[92:93]
	v_add_f64 v[180:181], v[176:177], v[178:179]
	ds_read_b128 v[176:179], v158 offset:544
	s_waitcnt vmcnt(54) lgkmcnt(1)
	v_mul_f64 v[182:183], v[172:173], v[102:103]
	s_waitcnt vmcnt(52)
	v_fmac_f64_e32 v[182:183], v[174:175], v[104:105]
	v_add_f64 v[184:185], v[180:181], v[182:183]
	ds_read_b128 v[180:183], v158 offset:560
	s_waitcnt lgkmcnt(1)
	v_mul_f64 v[186:187], v[176:177], v[98:99]
	v_fmac_f64_e32 v[186:187], v[178:179], v[100:101]
	v_add_f64 v[188:189], v[184:185], v[186:187]
	ds_read_b128 v[184:187], v158 offset:576
	s_waitcnt vmcnt(46) lgkmcnt(1)
	v_mul_f64 v[190:191], v[180:181], v[110:111]
	s_waitcnt vmcnt(44)
	v_fmac_f64_e32 v[190:191], v[182:183], v[112:113]
	v_add_f64 v[192:193], v[188:189], v[190:191]
	ds_read_b128 v[188:191], v158 offset:592
	s_waitcnt lgkmcnt(1)
	v_mul_f64 v[194:195], v[184:185], v[106:107]
	v_fmac_f64_e32 v[194:195], v[186:187], v[108:109]
	v_add_f64 v[14:15], v[14:15], 0
	v_fma_f64 v[10:11], v[10:11], v[72:73], -v[12:13]
	v_mul_f64 v[8:9], v[8:9], v[80:81]
	v_add_f64 v[196:197], v[192:193], v[194:195]
	ds_read_b128 v[192:195], v158 offset:608
	v_add_f64 v[10:11], v[14:15], v[10:11]
	v_fma_f64 v[6:7], v[6:7], v[74:75], -v[8:9]
	v_mul_f64 v[4:5], v[4:5], v[86:87]
	v_add_f64 v[6:7], v[10:11], v[6:7]
	v_fma_f64 v[2:3], v[2:3], v[88:89], -v[4:5]
	v_mul_f64 v[4:5], v[162:163], v[82:83]
	v_add_f64 v[2:3], v[6:7], v[2:3]
	v_fma_f64 v[4:5], v[160:161], v[84:85], -v[4:5]
	s_waitcnt vmcnt(38) lgkmcnt(1)
	v_mul_f64 v[198:199], v[188:189], v[118:119]
	v_add_f64 v[2:3], v[2:3], v[4:5]
	v_mul_f64 v[4:5], v[166:167], v[94:95]
	s_waitcnt vmcnt(36)
	v_fmac_f64_e32 v[198:199], v[190:191], v[120:121]
	v_fma_f64 v[4:5], v[164:165], v[96:97], -v[4:5]
	v_add_f64 v[200:201], v[196:197], v[198:199]
	ds_read_b128 v[196:199], v158 offset:624
	s_waitcnt lgkmcnt(1)
	v_mul_f64 v[202:203], v[192:193], v[114:115]
	v_add_f64 v[2:3], v[2:3], v[4:5]
	v_mul_f64 v[4:5], v[170:171], v[90:91]
	v_fmac_f64_e32 v[202:203], v[194:195], v[116:117]
	v_fma_f64 v[4:5], v[168:169], v[92:93], -v[4:5]
	v_add_f64 v[204:205], v[200:201], v[202:203]
	ds_read_b128 v[200:203], v158 offset:640
	v_add_f64 v[2:3], v[2:3], v[4:5]
	v_mul_f64 v[4:5], v[174:175], v[102:103]
	v_fma_f64 v[4:5], v[172:173], v[104:105], -v[4:5]
	v_add_f64 v[2:3], v[2:3], v[4:5]
	v_mul_f64 v[4:5], v[178:179], v[98:99]
	s_waitcnt vmcnt(30) lgkmcnt(1)
	v_mul_f64 v[206:207], v[196:197], v[126:127]
	v_fma_f64 v[4:5], v[176:177], v[100:101], -v[4:5]
	s_waitcnt vmcnt(28)
	v_fmac_f64_e32 v[206:207], v[198:199], v[128:129]
	v_add_f64 v[2:3], v[2:3], v[4:5]
	v_mul_f64 v[4:5], v[182:183], v[110:111]
	v_add_f64 v[208:209], v[204:205], v[206:207]
	ds_read_b128 v[204:207], v158 offset:656
	s_waitcnt lgkmcnt(1)
	v_mul_f64 v[210:211], v[200:201], v[122:123]
	v_fma_f64 v[4:5], v[180:181], v[112:113], -v[4:5]
	v_fmac_f64_e32 v[210:211], v[202:203], v[124:125]
	v_add_f64 v[2:3], v[2:3], v[4:5]
	v_mul_f64 v[4:5], v[186:187], v[106:107]
	v_add_f64 v[212:213], v[208:209], v[210:211]
	ds_read_b128 v[208:211], v158 offset:672
	v_fma_f64 v[4:5], v[184:185], v[108:109], -v[4:5]
	v_add_f64 v[2:3], v[2:3], v[4:5]
	v_mul_f64 v[4:5], v[190:191], v[118:119]
	v_fma_f64 v[4:5], v[188:189], v[120:121], -v[4:5]
	s_waitcnt vmcnt(22) lgkmcnt(1)
	v_mul_f64 v[214:215], v[204:205], v[232:233]
	v_add_f64 v[2:3], v[2:3], v[4:5]
	v_mul_f64 v[4:5], v[194:195], v[114:115]
	s_waitcnt vmcnt(20)
	v_fmac_f64_e32 v[214:215], v[206:207], v[234:235]
	v_fma_f64 v[4:5], v[192:193], v[116:117], -v[4:5]
	v_add_f64 v[216:217], v[212:213], v[214:215]
	ds_read_b128 v[212:215], v158 offset:688
	s_waitcnt lgkmcnt(1)
	v_mul_f64 v[218:219], v[208:209], v[130:131]
	v_add_f64 v[2:3], v[2:3], v[4:5]
	v_mul_f64 v[4:5], v[198:199], v[126:127]
	v_fmac_f64_e32 v[218:219], v[210:211], v[132:133]
	v_fma_f64 v[4:5], v[196:197], v[128:129], -v[4:5]
	v_add_f64 v[220:221], v[216:217], v[218:219]
	ds_read_b128 v[216:219], v158 offset:704
	v_add_f64 v[2:3], v[2:3], v[4:5]
	v_mul_f64 v[4:5], v[202:203], v[122:123]
	v_fma_f64 v[4:5], v[200:201], v[124:125], -v[4:5]
	v_add_f64 v[2:3], v[2:3], v[4:5]
	v_mul_f64 v[4:5], v[206:207], v[232:233]
	s_waitcnt vmcnt(14) lgkmcnt(1)
	v_mul_f64 v[222:223], v[212:213], v[240:241]
	v_fma_f64 v[4:5], v[204:205], v[234:235], -v[4:5]
	s_waitcnt vmcnt(12)
	v_fmac_f64_e32 v[222:223], v[214:215], v[242:243]
	v_add_f64 v[2:3], v[2:3], v[4:5]
	v_mul_f64 v[4:5], v[210:211], v[130:131]
	v_add_f64 v[224:225], v[220:221], v[222:223]
	ds_read_b128 v[220:223], v158 offset:720
	s_waitcnt lgkmcnt(1)
	v_mul_f64 v[226:227], v[216:217], v[236:237]
	v_fma_f64 v[4:5], v[208:209], v[132:133], -v[4:5]
	v_fmac_f64_e32 v[226:227], v[218:219], v[238:239]
	v_add_f64 v[2:3], v[2:3], v[4:5]
	v_mul_f64 v[4:5], v[214:215], v[240:241]
	v_add_f64 v[134:135], v[224:225], v[226:227]
	ds_read_b128 v[224:227], v158 offset:736
	ds_read_b128 v[228:231], v158 offset:752
	v_fma_f64 v[4:5], v[212:213], v[242:243], -v[4:5]
	v_add_f64 v[2:3], v[2:3], v[4:5]
	v_mul_f64 v[4:5], v[218:219], v[236:237]
	v_fma_f64 v[4:5], v[216:217], v[238:239], -v[4:5]
	v_add_f64 v[2:3], v[2:3], v[4:5]
	s_waitcnt vmcnt(6) lgkmcnt(2)
	v_mul_f64 v[4:5], v[222:223], v[248:249]
	v_mul_f64 v[136:137], v[220:221], v[248:249]
	s_waitcnt vmcnt(4)
	v_fma_f64 v[4:5], v[220:221], v[250:251], -v[4:5]
	v_fmac_f64_e32 v[136:137], v[222:223], v[250:251]
	v_add_f64 v[2:3], v[2:3], v[4:5]
	s_waitcnt lgkmcnt(1)
	v_mul_f64 v[4:5], v[226:227], v[244:245]
	v_add_f64 v[134:135], v[134:135], v[136:137]
	v_mul_f64 v[136:137], v[224:225], v[244:245]
	v_fma_f64 v[4:5], v[224:225], v[246:247], -v[4:5]
	v_fmac_f64_e32 v[136:137], v[226:227], v[246:247]
	v_add_f64 v[2:3], v[2:3], v[4:5]
	s_waitcnt vmcnt(2) lgkmcnt(0)
	v_mul_f64 v[4:5], v[230:231], v[252:253]
	v_add_f64 v[134:135], v[134:135], v[136:137]
	v_mul_f64 v[136:137], v[228:229], v[252:253]
	s_waitcnt vmcnt(0)
	v_fma_f64 v[4:5], v[228:229], v[254:255], -v[4:5]
	v_fmac_f64_e32 v[136:137], v[230:231], v[254:255]
	v_add_f64 v[2:3], v[2:3], v[4:5]
	v_add_f64 v[134:135], v[134:135], v[136:137]
	v_add_f64 v[2:3], v[20:21], -v[2:3]
	v_cmp_ne_u32_e32 vcc, 0, v156
	v_add_f64 v[4:5], v[18:19], -v[134:135]
	buffer_store_dword v3, off, s[0:3], 0 offset:20
	buffer_store_dword v2, off, s[0:3], 0 offset:16
	;; [unrolled: 1-line block ×4, first 2 shown]
	s_and_saveexec_b64 s[6:7], vcc
	s_cbranch_execz .LBB87_157
; %bb.156:
	buffer_load_dword v2, off, s[0:3], 0
	buffer_load_dword v3, off, s[0:3], 0 offset:4
	buffer_load_dword v4, off, s[0:3], 0 offset:8
	;; [unrolled: 1-line block ×3, first 2 shown]
	v_mov_b32_e32 v6, 0
	buffer_store_dword v6, off, s[0:3], 0
	buffer_store_dword v6, off, s[0:3], 0 offset:4
	buffer_store_dword v6, off, s[0:3], 0 offset:8
	;; [unrolled: 1-line block ×3, first 2 shown]
	s_waitcnt vmcnt(4)
	ds_write_b128 v157, v[2:5]
.LBB87_157:
	s_or_b64 exec, exec, s[6:7]
	s_waitcnt lgkmcnt(0)
	; wave barrier
	s_waitcnt lgkmcnt(0)
	buffer_load_dword v9, off, s[0:3], 0 offset:28
	buffer_load_dword v6, off, s[0:3], 0 offset:40
	;; [unrolled: 1-line block ×6, first 2 shown]
	buffer_load_dword v4, off, s[0:3], 0
	buffer_load_dword v5, off, s[0:3], 0 offset:4
	buffer_load_dword v2, off, s[0:3], 0 offset:8
	;; [unrolled: 1-line block ×57, first 2 shown]
	v_mov_b32_e32 v122, 0
	ds_read_b128 v[124:127], v122 offset:400
	ds_read_b128 v[128:131], v122 offset:416
	buffer_load_dword v115, off, s[0:3], 0 offset:284
	buffer_load_dword v114, off, s[0:3], 0 offset:280
	;; [unrolled: 1-line block ×8, first 2 shown]
	ds_read_b128 v[158:161], v122 offset:432
	ds_read_b128 v[162:165], v122 offset:448
	buffer_load_dword v137, off, s[0:3], 0 offset:316
	buffer_load_dword v136, off, s[0:3], 0 offset:312
	;; [unrolled: 1-line block ×24, first 2 shown]
	ds_read_b128 v[166:169], v122 offset:464
	ds_read_b128 v[170:173], v122 offset:480
	;; [unrolled: 1-line block ×19, first 2 shown]
	s_and_b64 vcc, exec, s[18:19]
	s_waitcnt vmcnt(62) lgkmcnt(14)
	v_mul_f64 v[134:135], v[128:129], v[6:7]
	v_mul_f64 v[132:133], v[124:125], v[8:9]
	;; [unrolled: 1-line block ×3, first 2 shown]
	v_fma_f64 v[8:9], v[124:125], v[10:11], -v[8:9]
	v_mul_f64 v[6:7], v[130:131], v[6:7]
	v_fmac_f64_e32 v[132:133], v[126:127], v[10:11]
	v_add_f64 v[8:9], v[8:9], 0
	v_add_f64 v[132:133], v[132:133], 0
	v_fma_f64 v[6:7], v[128:129], v[14:15], -v[6:7]
	v_fmac_f64_e32 v[134:135], v[130:131], v[14:15]
	v_add_f64 v[6:7], v[8:9], v[6:7]
	v_mul_f64 v[8:9], v[160:161], v[16:17]
	v_add_f64 v[132:133], v[132:133], v[134:135]
	v_mul_f64 v[134:135], v[158:159], v[16:17]
	v_fma_f64 v[8:9], v[158:159], v[12:13], -v[8:9]
	v_fmac_f64_e32 v[134:135], v[160:161], v[12:13]
	v_add_f64 v[6:7], v[6:7], v[8:9]
	v_mul_f64 v[8:9], v[164:165], v[70:71]
	v_add_f64 v[132:133], v[132:133], v[134:135]
	v_mul_f64 v[134:135], v[162:163], v[70:71]
	;; [unrolled: 6-line block ×5, first 2 shown]
	v_fma_f64 v[8:9], v[174:175], v[76:77], -v[8:9]
	v_fmac_f64_e32 v[134:135], v[176:177], v[76:77]
	v_add_f64 v[6:7], v[6:7], v[8:9]
	s_waitcnt vmcnt(58)
	v_mul_f64 v[8:9], v[180:181], v[86:87]
	v_add_f64 v[132:133], v[132:133], v[134:135]
	v_mul_f64 v[134:135], v[178:179], v[86:87]
	s_waitcnt vmcnt(56)
	v_fma_f64 v[8:9], v[178:179], v[88:89], -v[8:9]
	v_fmac_f64_e32 v[134:135], v[180:181], v[88:89]
	v_add_f64 v[6:7], v[6:7], v[8:9]
	v_mul_f64 v[8:9], v[184:185], v[82:83]
	v_add_f64 v[132:133], v[132:133], v[134:135]
	v_mul_f64 v[134:135], v[182:183], v[82:83]
	v_fma_f64 v[8:9], v[182:183], v[84:85], -v[8:9]
	v_fmac_f64_e32 v[134:135], v[184:185], v[84:85]
	v_add_f64 v[6:7], v[6:7], v[8:9]
	s_waitcnt vmcnt(50) lgkmcnt(13)
	v_mul_f64 v[8:9], v[188:189], v[94:95]
	v_add_f64 v[132:133], v[132:133], v[134:135]
	v_mul_f64 v[134:135], v[186:187], v[94:95]
	s_waitcnt vmcnt(48)
	v_fma_f64 v[8:9], v[186:187], v[96:97], -v[8:9]
	v_fmac_f64_e32 v[134:135], v[188:189], v[96:97]
	v_add_f64 v[6:7], v[6:7], v[8:9]
	s_waitcnt lgkmcnt(12)
	v_mul_f64 v[8:9], v[192:193], v[90:91]
	v_add_f64 v[132:133], v[132:133], v[134:135]
	v_mul_f64 v[134:135], v[190:191], v[90:91]
	v_fma_f64 v[8:9], v[190:191], v[92:93], -v[8:9]
	v_fmac_f64_e32 v[134:135], v[192:193], v[92:93]
	v_add_f64 v[6:7], v[6:7], v[8:9]
	s_waitcnt vmcnt(42) lgkmcnt(11)
	v_mul_f64 v[8:9], v[196:197], v[102:103]
	v_add_f64 v[132:133], v[132:133], v[134:135]
	v_mul_f64 v[134:135], v[194:195], v[102:103]
	s_waitcnt vmcnt(40)
	v_fma_f64 v[8:9], v[194:195], v[104:105], -v[8:9]
	v_fmac_f64_e32 v[134:135], v[196:197], v[104:105]
	v_add_f64 v[6:7], v[6:7], v[8:9]
	s_waitcnt lgkmcnt(10)
	;; [unrolled: 15-line block ×7, first 2 shown]
	v_mul_f64 v[8:9], v[240:241], v[138:139]
	v_add_f64 v[122:123], v[122:123], v[132:133]
	v_mul_f64 v[132:133], v[238:239], v[138:139]
	v_fma_f64 v[8:9], v[238:239], v[140:141], -v[8:9]
	v_fmac_f64_e32 v[132:133], v[240:241], v[140:141]
	v_add_f64 v[6:7], v[6:7], v[8:9]
	v_add_f64 v[122:123], v[122:123], v[132:133]
	v_add_f64 v[4:5], v[4:5], -v[6:7]
	v_add_f64 v[2:3], v[2:3], -v[122:123]
	buffer_store_dword v5, off, s[0:3], 0 offset:4
	buffer_store_dword v4, off, s[0:3], 0
	buffer_store_dword v3, off, s[0:3], 0 offset:12
	buffer_store_dword v2, off, s[0:3], 0 offset:8
	s_cbranch_vccz .LBB87_205
; %bb.158:
	v_pk_mov_b32 v[2:3], s[16:17], s[16:17] op_sel:[0,1]
	flat_load_dword v2, v[2:3] offset:88
	s_load_dwordx2 s[4:5], s[4:5], 0x4
	v_bfe_u32 v4, v0, 10, 10
	v_bfe_u32 v0, v0, 20, 10
	s_waitcnt lgkmcnt(0)
	s_lshr_b32 s4, s4, 16
	s_mul_i32 s4, s4, s5
	v_mul_u32_u24_e32 v3, s4, v156
	v_mul_u32_u24_e32 v4, s5, v4
	v_add3_u32 v0, v3, v4, v0
	v_mov_b32_e32 v3, 0x308
	v_lshl_add_u32 v0, v0, 4, v3
	s_waitcnt vmcnt(0)
	v_add_u32_e32 v2, -1, v2
	v_cmp_ne_u32_e32 vcc, 22, v2
	s_and_saveexec_b64 s[4:5], vcc
	s_cbranch_execz .LBB87_160
; %bb.159:
	v_mov_b32_e32 v3, 0
	v_accvgpr_read_b32 v11, a1
	v_lshl_add_u32 v6, v2, 4, v3
	buffer_load_dword v2, v11, s[0:3], 0 offen
	buffer_load_dword v3, v11, s[0:3], 0 offen offset:4
	buffer_load_dword v4, v11, s[0:3], 0 offen offset:8
	buffer_load_dword v5, v11, s[0:3], 0 offen offset:12
	buffer_load_dword v7, v6, s[0:3], 0 offen
	buffer_load_dword v8, v6, s[0:3], 0 offen offset:4
	buffer_load_dword v9, v6, s[0:3], 0 offen offset:8
	buffer_load_dword v10, v6, s[0:3], 0 offen offset:12
	s_waitcnt vmcnt(4)
	ds_write2_b64 v0, v[2:3], v[4:5] offset1:1
	s_waitcnt vmcnt(3)
	buffer_store_dword v7, v11, s[0:3], 0 offen
	s_waitcnt vmcnt(3)
	buffer_store_dword v8, v11, s[0:3], 0 offen offset:4
	s_waitcnt vmcnt(3)
	buffer_store_dword v9, v11, s[0:3], 0 offen offset:8
	s_waitcnt vmcnt(3)
	buffer_store_dword v10, v11, s[0:3], 0 offen offset:12
	buffer_store_dword v5, v6, s[0:3], 0 offen offset:12
	buffer_store_dword v4, v6, s[0:3], 0 offen offset:8
	buffer_store_dword v3, v6, s[0:3], 0 offen offset:4
	buffer_store_dword v2, v6, s[0:3], 0 offen
.LBB87_160:
	s_or_b64 exec, exec, s[4:5]
	v_pk_mov_b32 v[2:3], s[16:17], s[16:17] op_sel:[0,1]
	flat_load_dword v2, v[2:3] offset:84
	s_waitcnt vmcnt(0) lgkmcnt(0)
	v_add_u32_e32 v2, -1, v2
	v_cmp_ne_u32_e32 vcc, 21, v2
	s_and_saveexec_b64 s[4:5], vcc
	s_cbranch_execz .LBB87_162
; %bb.161:
	v_mov_b32_e32 v3, 0
	v_accvgpr_read_b32 v11, a2
	v_lshl_add_u32 v6, v2, 4, v3
	buffer_load_dword v2, v11, s[0:3], 0 offen
	buffer_load_dword v3, v11, s[0:3], 0 offen offset:4
	buffer_load_dword v4, v11, s[0:3], 0 offen offset:8
	buffer_load_dword v5, v11, s[0:3], 0 offen offset:12
	buffer_load_dword v7, v6, s[0:3], 0 offen
	buffer_load_dword v8, v6, s[0:3], 0 offen offset:4
	buffer_load_dword v9, v6, s[0:3], 0 offen offset:8
	buffer_load_dword v10, v6, s[0:3], 0 offen offset:12
	s_waitcnt vmcnt(4)
	ds_write2_b64 v0, v[2:3], v[4:5] offset1:1
	s_waitcnt vmcnt(3)
	buffer_store_dword v7, v11, s[0:3], 0 offen
	s_waitcnt vmcnt(3)
	buffer_store_dword v8, v11, s[0:3], 0 offen offset:4
	s_waitcnt vmcnt(3)
	buffer_store_dword v9, v11, s[0:3], 0 offen offset:8
	s_waitcnt vmcnt(3)
	buffer_store_dword v10, v11, s[0:3], 0 offen offset:12
	buffer_store_dword v5, v6, s[0:3], 0 offen offset:12
	buffer_store_dword v4, v6, s[0:3], 0 offen offset:8
	buffer_store_dword v3, v6, s[0:3], 0 offen offset:4
	buffer_store_dword v2, v6, s[0:3], 0 offen
.LBB87_162:
	s_or_b64 exec, exec, s[4:5]
	v_pk_mov_b32 v[2:3], s[16:17], s[16:17] op_sel:[0,1]
	flat_load_dword v2, v[2:3] offset:80
	s_waitcnt vmcnt(0) lgkmcnt(0)
	;; [unrolled: 35-line block ×9, first 2 shown]
	v_add_u32_e32 v2, -1, v2
	v_cmp_ne_u32_e32 vcc, 13, v2
	s_and_saveexec_b64 s[4:5], vcc
	s_cbranch_execz .LBB87_178
; %bb.177:
	v_mov_b32_e32 v3, 0
	v_lshl_add_u32 v6, v2, 4, v3
	buffer_load_dword v2, v1, s[0:3], 0 offen
	buffer_load_dword v3, v1, s[0:3], 0 offen offset:4
	buffer_load_dword v4, v1, s[0:3], 0 offen offset:8
	buffer_load_dword v5, v1, s[0:3], 0 offen offset:12
	buffer_load_dword v7, v6, s[0:3], 0 offen
	buffer_load_dword v8, v6, s[0:3], 0 offen offset:4
	buffer_load_dword v9, v6, s[0:3], 0 offen offset:8
	;; [unrolled: 1-line block ×3, first 2 shown]
	s_waitcnt vmcnt(4)
	ds_write2_b64 v0, v[2:3], v[4:5] offset1:1
	s_waitcnt vmcnt(3)
	buffer_store_dword v7, v1, s[0:3], 0 offen
	s_waitcnt vmcnt(3)
	buffer_store_dword v8, v1, s[0:3], 0 offen offset:4
	s_waitcnt vmcnt(3)
	buffer_store_dword v9, v1, s[0:3], 0 offen offset:8
	;; [unrolled: 2-line block ×3, first 2 shown]
	buffer_store_dword v5, v6, s[0:3], 0 offen offset:12
	buffer_store_dword v4, v6, s[0:3], 0 offen offset:8
	;; [unrolled: 1-line block ×3, first 2 shown]
	buffer_store_dword v2, v6, s[0:3], 0 offen
.LBB87_178:
	s_or_b64 exec, exec, s[4:5]
	v_pk_mov_b32 v[2:3], s[16:17], s[16:17] op_sel:[0,1]
	flat_load_dword v2, v[2:3] offset:48
	s_waitcnt vmcnt(0) lgkmcnt(0)
	v_add_u32_e32 v2, -1, v2
	v_cmp_ne_u32_e32 vcc, 12, v2
	s_and_saveexec_b64 s[4:5], vcc
	s_cbranch_execz .LBB87_180
; %bb.179:
	v_mov_b32_e32 v3, 0
	v_accvgpr_read_b32 v11, a9
	v_lshl_add_u32 v6, v2, 4, v3
	buffer_load_dword v2, v11, s[0:3], 0 offen
	buffer_load_dword v3, v11, s[0:3], 0 offen offset:4
	buffer_load_dword v4, v11, s[0:3], 0 offen offset:8
	;; [unrolled: 1-line block ×3, first 2 shown]
	buffer_load_dword v7, v6, s[0:3], 0 offen
	buffer_load_dword v8, v6, s[0:3], 0 offen offset:4
	buffer_load_dword v9, v6, s[0:3], 0 offen offset:8
	;; [unrolled: 1-line block ×3, first 2 shown]
	s_waitcnt vmcnt(4)
	ds_write2_b64 v0, v[2:3], v[4:5] offset1:1
	s_waitcnt vmcnt(3)
	buffer_store_dword v7, v11, s[0:3], 0 offen
	s_waitcnt vmcnt(3)
	buffer_store_dword v8, v11, s[0:3], 0 offen offset:4
	s_waitcnt vmcnt(3)
	buffer_store_dword v9, v11, s[0:3], 0 offen offset:8
	s_waitcnt vmcnt(3)
	buffer_store_dword v10, v11, s[0:3], 0 offen offset:12
	buffer_store_dword v5, v6, s[0:3], 0 offen offset:12
	buffer_store_dword v4, v6, s[0:3], 0 offen offset:8
	buffer_store_dword v3, v6, s[0:3], 0 offen offset:4
	buffer_store_dword v2, v6, s[0:3], 0 offen
.LBB87_180:
	s_or_b64 exec, exec, s[4:5]
	v_pk_mov_b32 v[2:3], s[16:17], s[16:17] op_sel:[0,1]
	flat_load_dword v2, v[2:3] offset:44
	s_waitcnt vmcnt(0) lgkmcnt(0)
	v_add_u32_e32 v2, -1, v2
	v_cmp_ne_u32_e32 vcc, 11, v2
	s_and_saveexec_b64 s[4:5], vcc
	s_cbranch_execz .LBB87_182
; %bb.181:
	v_mov_b32_e32 v3, 0
	v_accvgpr_read_b32 v11, a10
	v_lshl_add_u32 v6, v2, 4, v3
	buffer_load_dword v2, v11, s[0:3], 0 offen
	buffer_load_dword v3, v11, s[0:3], 0 offen offset:4
	buffer_load_dword v4, v11, s[0:3], 0 offen offset:8
	;; [unrolled: 1-line block ×3, first 2 shown]
	buffer_load_dword v7, v6, s[0:3], 0 offen
	buffer_load_dword v8, v6, s[0:3], 0 offen offset:4
	buffer_load_dword v9, v6, s[0:3], 0 offen offset:8
	;; [unrolled: 1-line block ×3, first 2 shown]
	s_waitcnt vmcnt(4)
	ds_write2_b64 v0, v[2:3], v[4:5] offset1:1
	s_waitcnt vmcnt(3)
	buffer_store_dword v7, v11, s[0:3], 0 offen
	s_waitcnt vmcnt(3)
	buffer_store_dword v8, v11, s[0:3], 0 offen offset:4
	s_waitcnt vmcnt(3)
	buffer_store_dword v9, v11, s[0:3], 0 offen offset:8
	;; [unrolled: 2-line block ×3, first 2 shown]
	buffer_store_dword v5, v6, s[0:3], 0 offen offset:12
	buffer_store_dword v4, v6, s[0:3], 0 offen offset:8
	buffer_store_dword v3, v6, s[0:3], 0 offen offset:4
	buffer_store_dword v2, v6, s[0:3], 0 offen
.LBB87_182:
	s_or_b64 exec, exec, s[4:5]
	v_pk_mov_b32 v[2:3], s[16:17], s[16:17] op_sel:[0,1]
	flat_load_dword v2, v[2:3] offset:40
	s_waitcnt vmcnt(0) lgkmcnt(0)
	v_add_u32_e32 v2, -1, v2
	v_cmp_ne_u32_e32 vcc, 10, v2
	s_and_saveexec_b64 s[4:5], vcc
	s_cbranch_execz .LBB87_184
; %bb.183:
	v_mov_b32_e32 v3, 0
	v_lshl_add_u32 v6, v2, 4, v3
	buffer_load_dword v2, v147, s[0:3], 0 offen
	buffer_load_dword v3, v147, s[0:3], 0 offen offset:4
	buffer_load_dword v4, v147, s[0:3], 0 offen offset:8
	buffer_load_dword v5, v147, s[0:3], 0 offen offset:12
	buffer_load_dword v7, v6, s[0:3], 0 offen
	buffer_load_dword v8, v6, s[0:3], 0 offen offset:4
	buffer_load_dword v9, v6, s[0:3], 0 offen offset:8
	buffer_load_dword v10, v6, s[0:3], 0 offen offset:12
	s_waitcnt vmcnt(4)
	ds_write2_b64 v0, v[2:3], v[4:5] offset1:1
	s_waitcnt vmcnt(3)
	buffer_store_dword v7, v147, s[0:3], 0 offen
	s_waitcnt vmcnt(3)
	buffer_store_dword v8, v147, s[0:3], 0 offen offset:4
	s_waitcnt vmcnt(3)
	buffer_store_dword v9, v147, s[0:3], 0 offen offset:8
	s_waitcnt vmcnt(3)
	buffer_store_dword v10, v147, s[0:3], 0 offen offset:12
	buffer_store_dword v5, v6, s[0:3], 0 offen offset:12
	buffer_store_dword v4, v6, s[0:3], 0 offen offset:8
	buffer_store_dword v3, v6, s[0:3], 0 offen offset:4
	buffer_store_dword v2, v6, s[0:3], 0 offen
.LBB87_184:
	s_or_b64 exec, exec, s[4:5]
	v_pk_mov_b32 v[2:3], s[16:17], s[16:17] op_sel:[0,1]
	flat_load_dword v2, v[2:3] offset:36
	s_waitcnt vmcnt(0) lgkmcnt(0)
	v_add_u32_e32 v2, -1, v2
	v_cmp_ne_u32_e32 vcc, 9, v2
	s_and_saveexec_b64 s[4:5], vcc
	s_cbranch_execz .LBB87_186
; %bb.185:
	v_mov_b32_e32 v3, 0
	v_lshl_add_u32 v6, v2, 4, v3
	buffer_load_dword v2, v149, s[0:3], 0 offen
	buffer_load_dword v3, v149, s[0:3], 0 offen offset:4
	buffer_load_dword v4, v149, s[0:3], 0 offen offset:8
	buffer_load_dword v5, v149, s[0:3], 0 offen offset:12
	buffer_load_dword v7, v6, s[0:3], 0 offen
	buffer_load_dword v8, v6, s[0:3], 0 offen offset:4
	buffer_load_dword v9, v6, s[0:3], 0 offen offset:8
	buffer_load_dword v10, v6, s[0:3], 0 offen offset:12
	s_waitcnt vmcnt(4)
	ds_write2_b64 v0, v[2:3], v[4:5] offset1:1
	s_waitcnt vmcnt(3)
	buffer_store_dword v7, v149, s[0:3], 0 offen
	s_waitcnt vmcnt(3)
	buffer_store_dword v8, v149, s[0:3], 0 offen offset:4
	s_waitcnt vmcnt(3)
	buffer_store_dword v9, v149, s[0:3], 0 offen offset:8
	s_waitcnt vmcnt(3)
	buffer_store_dword v10, v149, s[0:3], 0 offen offset:12
	buffer_store_dword v5, v6, s[0:3], 0 offen offset:12
	buffer_store_dword v4, v6, s[0:3], 0 offen offset:8
	buffer_store_dword v3, v6, s[0:3], 0 offen offset:4
	buffer_store_dword v2, v6, s[0:3], 0 offen
.LBB87_186:
	s_or_b64 exec, exec, s[4:5]
	v_pk_mov_b32 v[2:3], s[16:17], s[16:17] op_sel:[0,1]
	flat_load_dword v2, v[2:3] offset:32
	s_waitcnt vmcnt(0) lgkmcnt(0)
	v_add_u32_e32 v2, -1, v2
	v_cmp_ne_u32_e32 vcc, 8, v2
	s_and_saveexec_b64 s[4:5], vcc
	s_cbranch_execz .LBB87_188
; %bb.187:
	v_mov_b32_e32 v3, 0
	v_lshl_add_u32 v6, v2, 4, v3
	buffer_load_dword v2, v146, s[0:3], 0 offen
	buffer_load_dword v3, v146, s[0:3], 0 offen offset:4
	buffer_load_dword v4, v146, s[0:3], 0 offen offset:8
	buffer_load_dword v5, v146, s[0:3], 0 offen offset:12
	buffer_load_dword v7, v6, s[0:3], 0 offen
	buffer_load_dword v8, v6, s[0:3], 0 offen offset:4
	buffer_load_dword v9, v6, s[0:3], 0 offen offset:8
	buffer_load_dword v10, v6, s[0:3], 0 offen offset:12
	s_waitcnt vmcnt(4)
	ds_write2_b64 v0, v[2:3], v[4:5] offset1:1
	s_waitcnt vmcnt(3)
	buffer_store_dword v7, v146, s[0:3], 0 offen
	s_waitcnt vmcnt(3)
	buffer_store_dword v8, v146, s[0:3], 0 offen offset:4
	s_waitcnt vmcnt(3)
	buffer_store_dword v9, v146, s[0:3], 0 offen offset:8
	s_waitcnt vmcnt(3)
	buffer_store_dword v10, v146, s[0:3], 0 offen offset:12
	buffer_store_dword v5, v6, s[0:3], 0 offen offset:12
	buffer_store_dword v4, v6, s[0:3], 0 offen offset:8
	buffer_store_dword v3, v6, s[0:3], 0 offen offset:4
	buffer_store_dword v2, v6, s[0:3], 0 offen
.LBB87_188:
	s_or_b64 exec, exec, s[4:5]
	v_pk_mov_b32 v[2:3], s[16:17], s[16:17] op_sel:[0,1]
	flat_load_dword v2, v[2:3] offset:28
	s_waitcnt vmcnt(0) lgkmcnt(0)
	v_add_u32_e32 v2, -1, v2
	v_cmp_ne_u32_e32 vcc, 7, v2
	s_and_saveexec_b64 s[4:5], vcc
	s_cbranch_execz .LBB87_190
; %bb.189:
	v_mov_b32_e32 v3, 0
	v_lshl_add_u32 v6, v2, 4, v3
	buffer_load_dword v2, v148, s[0:3], 0 offen
	buffer_load_dword v3, v148, s[0:3], 0 offen offset:4
	buffer_load_dword v4, v148, s[0:3], 0 offen offset:8
	buffer_load_dword v5, v148, s[0:3], 0 offen offset:12
	buffer_load_dword v7, v6, s[0:3], 0 offen
	buffer_load_dword v8, v6, s[0:3], 0 offen offset:4
	buffer_load_dword v9, v6, s[0:3], 0 offen offset:8
	buffer_load_dword v10, v6, s[0:3], 0 offen offset:12
	s_waitcnt vmcnt(4)
	ds_write2_b64 v0, v[2:3], v[4:5] offset1:1
	s_waitcnt vmcnt(3)
	buffer_store_dword v7, v148, s[0:3], 0 offen
	s_waitcnt vmcnt(3)
	buffer_store_dword v8, v148, s[0:3], 0 offen offset:4
	s_waitcnt vmcnt(3)
	buffer_store_dword v9, v148, s[0:3], 0 offen offset:8
	s_waitcnt vmcnt(3)
	buffer_store_dword v10, v148, s[0:3], 0 offen offset:12
	buffer_store_dword v5, v6, s[0:3], 0 offen offset:12
	buffer_store_dword v4, v6, s[0:3], 0 offen offset:8
	buffer_store_dword v3, v6, s[0:3], 0 offen offset:4
	buffer_store_dword v2, v6, s[0:3], 0 offen
.LBB87_190:
	s_or_b64 exec, exec, s[4:5]
	v_pk_mov_b32 v[2:3], s[16:17], s[16:17] op_sel:[0,1]
	flat_load_dword v2, v[2:3] offset:24
	s_waitcnt vmcnt(0) lgkmcnt(0)
	v_add_u32_e32 v2, -1, v2
	v_cmp_ne_u32_e32 vcc, 6, v2
	s_and_saveexec_b64 s[4:5], vcc
	s_cbranch_execz .LBB87_192
; %bb.191:
	v_mov_b32_e32 v3, 0
	v_lshl_add_u32 v6, v2, 4, v3
	buffer_load_dword v2, v152, s[0:3], 0 offen
	buffer_load_dword v3, v152, s[0:3], 0 offen offset:4
	buffer_load_dword v4, v152, s[0:3], 0 offen offset:8
	buffer_load_dword v5, v152, s[0:3], 0 offen offset:12
	buffer_load_dword v7, v6, s[0:3], 0 offen
	buffer_load_dword v8, v6, s[0:3], 0 offen offset:4
	buffer_load_dword v9, v6, s[0:3], 0 offen offset:8
	buffer_load_dword v10, v6, s[0:3], 0 offen offset:12
	s_waitcnt vmcnt(4)
	ds_write2_b64 v0, v[2:3], v[4:5] offset1:1
	s_waitcnt vmcnt(3)
	buffer_store_dword v7, v152, s[0:3], 0 offen
	s_waitcnt vmcnt(3)
	buffer_store_dword v8, v152, s[0:3], 0 offen offset:4
	s_waitcnt vmcnt(3)
	buffer_store_dword v9, v152, s[0:3], 0 offen offset:8
	s_waitcnt vmcnt(3)
	buffer_store_dword v10, v152, s[0:3], 0 offen offset:12
	buffer_store_dword v5, v6, s[0:3], 0 offen offset:12
	buffer_store_dword v4, v6, s[0:3], 0 offen offset:8
	buffer_store_dword v3, v6, s[0:3], 0 offen offset:4
	buffer_store_dword v2, v6, s[0:3], 0 offen
.LBB87_192:
	s_or_b64 exec, exec, s[4:5]
	v_pk_mov_b32 v[2:3], s[16:17], s[16:17] op_sel:[0,1]
	flat_load_dword v2, v[2:3] offset:20
	s_waitcnt vmcnt(0) lgkmcnt(0)
	v_add_u32_e32 v2, -1, v2
	v_cmp_ne_u32_e32 vcc, 5, v2
	s_and_saveexec_b64 s[4:5], vcc
	s_cbranch_execz .LBB87_194
; %bb.193:
	v_mov_b32_e32 v3, 0
	v_lshl_add_u32 v6, v2, 4, v3
	buffer_load_dword v2, v150, s[0:3], 0 offen
	buffer_load_dword v3, v150, s[0:3], 0 offen offset:4
	buffer_load_dword v4, v150, s[0:3], 0 offen offset:8
	buffer_load_dword v5, v150, s[0:3], 0 offen offset:12
	buffer_load_dword v7, v6, s[0:3], 0 offen
	buffer_load_dword v8, v6, s[0:3], 0 offen offset:4
	buffer_load_dword v9, v6, s[0:3], 0 offen offset:8
	buffer_load_dword v10, v6, s[0:3], 0 offen offset:12
	s_waitcnt vmcnt(4)
	ds_write2_b64 v0, v[2:3], v[4:5] offset1:1
	s_waitcnt vmcnt(3)
	buffer_store_dword v7, v150, s[0:3], 0 offen
	s_waitcnt vmcnt(3)
	buffer_store_dword v8, v150, s[0:3], 0 offen offset:4
	s_waitcnt vmcnt(3)
	buffer_store_dword v9, v150, s[0:3], 0 offen offset:8
	s_waitcnt vmcnt(3)
	buffer_store_dword v10, v150, s[0:3], 0 offen offset:12
	buffer_store_dword v5, v6, s[0:3], 0 offen offset:12
	buffer_store_dword v4, v6, s[0:3], 0 offen offset:8
	buffer_store_dword v3, v6, s[0:3], 0 offen offset:4
	buffer_store_dword v2, v6, s[0:3], 0 offen
.LBB87_194:
	s_or_b64 exec, exec, s[4:5]
	v_pk_mov_b32 v[2:3], s[16:17], s[16:17] op_sel:[0,1]
	flat_load_dword v2, v[2:3] offset:16
	s_waitcnt vmcnt(0) lgkmcnt(0)
	v_add_u32_e32 v2, -1, v2
	v_cmp_ne_u32_e32 vcc, 4, v2
	s_and_saveexec_b64 s[4:5], vcc
	s_cbranch_execz .LBB87_196
; %bb.195:
	v_mov_b32_e32 v3, 0
	v_lshl_add_u32 v6, v2, 4, v3
	buffer_load_dword v2, v151, s[0:3], 0 offen
	buffer_load_dword v3, v151, s[0:3], 0 offen offset:4
	buffer_load_dword v4, v151, s[0:3], 0 offen offset:8
	buffer_load_dword v5, v151, s[0:3], 0 offen offset:12
	buffer_load_dword v7, v6, s[0:3], 0 offen
	buffer_load_dword v8, v6, s[0:3], 0 offen offset:4
	buffer_load_dword v9, v6, s[0:3], 0 offen offset:8
	buffer_load_dword v10, v6, s[0:3], 0 offen offset:12
	s_waitcnt vmcnt(4)
	ds_write2_b64 v0, v[2:3], v[4:5] offset1:1
	s_waitcnt vmcnt(3)
	buffer_store_dword v7, v151, s[0:3], 0 offen
	s_waitcnt vmcnt(3)
	buffer_store_dword v8, v151, s[0:3], 0 offen offset:4
	s_waitcnt vmcnt(3)
	buffer_store_dword v9, v151, s[0:3], 0 offen offset:8
	s_waitcnt vmcnt(3)
	buffer_store_dword v10, v151, s[0:3], 0 offen offset:12
	buffer_store_dword v5, v6, s[0:3], 0 offen offset:12
	buffer_store_dword v4, v6, s[0:3], 0 offen offset:8
	buffer_store_dword v3, v6, s[0:3], 0 offen offset:4
	buffer_store_dword v2, v6, s[0:3], 0 offen
.LBB87_196:
	s_or_b64 exec, exec, s[4:5]
	v_pk_mov_b32 v[2:3], s[16:17], s[16:17] op_sel:[0,1]
	flat_load_dword v2, v[2:3] offset:12
	s_waitcnt vmcnt(0) lgkmcnt(0)
	v_add_u32_e32 v2, -1, v2
	v_cmp_ne_u32_e32 vcc, 3, v2
	s_and_saveexec_b64 s[4:5], vcc
	s_cbranch_execz .LBB87_198
; %bb.197:
	v_mov_b32_e32 v3, 0
	v_lshl_add_u32 v6, v2, 4, v3
	buffer_load_dword v2, v154, s[0:3], 0 offen
	buffer_load_dword v3, v154, s[0:3], 0 offen offset:4
	buffer_load_dword v4, v154, s[0:3], 0 offen offset:8
	buffer_load_dword v5, v154, s[0:3], 0 offen offset:12
	buffer_load_dword v7, v6, s[0:3], 0 offen
	buffer_load_dword v8, v6, s[0:3], 0 offen offset:4
	buffer_load_dword v9, v6, s[0:3], 0 offen offset:8
	buffer_load_dword v10, v6, s[0:3], 0 offen offset:12
	s_waitcnt vmcnt(4)
	ds_write2_b64 v0, v[2:3], v[4:5] offset1:1
	s_waitcnt vmcnt(3)
	buffer_store_dword v7, v154, s[0:3], 0 offen
	s_waitcnt vmcnt(3)
	buffer_store_dword v8, v154, s[0:3], 0 offen offset:4
	s_waitcnt vmcnt(3)
	buffer_store_dword v9, v154, s[0:3], 0 offen offset:8
	s_waitcnt vmcnt(3)
	buffer_store_dword v10, v154, s[0:3], 0 offen offset:12
	buffer_store_dword v5, v6, s[0:3], 0 offen offset:12
	buffer_store_dword v4, v6, s[0:3], 0 offen offset:8
	buffer_store_dword v3, v6, s[0:3], 0 offen offset:4
	buffer_store_dword v2, v6, s[0:3], 0 offen
.LBB87_198:
	s_or_b64 exec, exec, s[4:5]
	v_pk_mov_b32 v[2:3], s[16:17], s[16:17] op_sel:[0,1]
	flat_load_dword v2, v[2:3] offset:8
	s_waitcnt vmcnt(0) lgkmcnt(0)
	v_add_u32_e32 v2, -1, v2
	v_cmp_ne_u32_e32 vcc, 2, v2
	s_and_saveexec_b64 s[4:5], vcc
	s_cbranch_execz .LBB87_200
; %bb.199:
	v_mov_b32_e32 v3, 0
	v_lshl_add_u32 v6, v2, 4, v3
	buffer_load_dword v2, v155, s[0:3], 0 offen
	buffer_load_dword v3, v155, s[0:3], 0 offen offset:4
	buffer_load_dword v4, v155, s[0:3], 0 offen offset:8
	buffer_load_dword v5, v155, s[0:3], 0 offen offset:12
	buffer_load_dword v7, v6, s[0:3], 0 offen
	buffer_load_dword v8, v6, s[0:3], 0 offen offset:4
	buffer_load_dword v9, v6, s[0:3], 0 offen offset:8
	buffer_load_dword v10, v6, s[0:3], 0 offen offset:12
	s_waitcnt vmcnt(4)
	ds_write2_b64 v0, v[2:3], v[4:5] offset1:1
	s_waitcnt vmcnt(3)
	buffer_store_dword v7, v155, s[0:3], 0 offen
	s_waitcnt vmcnt(3)
	buffer_store_dword v8, v155, s[0:3], 0 offen offset:4
	s_waitcnt vmcnt(3)
	buffer_store_dword v9, v155, s[0:3], 0 offen offset:8
	s_waitcnt vmcnt(3)
	buffer_store_dword v10, v155, s[0:3], 0 offen offset:12
	buffer_store_dword v5, v6, s[0:3], 0 offen offset:12
	buffer_store_dword v4, v6, s[0:3], 0 offen offset:8
	buffer_store_dword v3, v6, s[0:3], 0 offen offset:4
	buffer_store_dword v2, v6, s[0:3], 0 offen
.LBB87_200:
	s_or_b64 exec, exec, s[4:5]
	v_pk_mov_b32 v[2:3], s[16:17], s[16:17] op_sel:[0,1]
	flat_load_dword v2, v[2:3] offset:4
	s_waitcnt vmcnt(0) lgkmcnt(0)
	v_add_u32_e32 v2, -1, v2
	v_cmp_ne_u32_e32 vcc, 1, v2
	s_and_saveexec_b64 s[4:5], vcc
	s_cbranch_execz .LBB87_202
; %bb.201:
	v_mov_b32_e32 v3, 0
	v_lshl_add_u32 v6, v2, 4, v3
	buffer_load_dword v2, v153, s[0:3], 0 offen
	buffer_load_dword v3, v153, s[0:3], 0 offen offset:4
	buffer_load_dword v4, v153, s[0:3], 0 offen offset:8
	buffer_load_dword v5, v153, s[0:3], 0 offen offset:12
	buffer_load_dword v7, v6, s[0:3], 0 offen
	buffer_load_dword v8, v6, s[0:3], 0 offen offset:4
	buffer_load_dword v9, v6, s[0:3], 0 offen offset:8
	buffer_load_dword v10, v6, s[0:3], 0 offen offset:12
	s_waitcnt vmcnt(4)
	ds_write2_b64 v0, v[2:3], v[4:5] offset1:1
	s_waitcnt vmcnt(3)
	buffer_store_dword v7, v153, s[0:3], 0 offen
	s_waitcnt vmcnt(3)
	buffer_store_dword v8, v153, s[0:3], 0 offen offset:4
	s_waitcnt vmcnt(3)
	buffer_store_dword v9, v153, s[0:3], 0 offen offset:8
	s_waitcnt vmcnt(3)
	buffer_store_dword v10, v153, s[0:3], 0 offen offset:12
	buffer_store_dword v5, v6, s[0:3], 0 offen offset:12
	buffer_store_dword v4, v6, s[0:3], 0 offen offset:8
	buffer_store_dword v3, v6, s[0:3], 0 offen offset:4
	buffer_store_dword v2, v6, s[0:3], 0 offen
.LBB87_202:
	s_or_b64 exec, exec, s[4:5]
	v_pk_mov_b32 v[2:3], s[16:17], s[16:17] op_sel:[0,1]
	flat_load_dword v2, v[2:3]
	s_waitcnt vmcnt(0) lgkmcnt(0)
	v_add_u32_e32 v2, -1, v2
	v_cmp_ne_u32_e32 vcc, 0, v2
	s_and_saveexec_b64 s[4:5], vcc
	s_cbranch_execz .LBB87_204
; %bb.203:
	v_mov_b32_e32 v3, 0
	v_lshl_add_u32 v6, v2, 4, v3
	buffer_load_dword v2, off, s[0:3], 0
	buffer_load_dword v3, off, s[0:3], 0 offset:4
	buffer_load_dword v4, off, s[0:3], 0 offset:8
	;; [unrolled: 1-line block ×3, first 2 shown]
	buffer_load_dword v7, v6, s[0:3], 0 offen
	buffer_load_dword v8, v6, s[0:3], 0 offen offset:4
	buffer_load_dword v9, v6, s[0:3], 0 offen offset:8
	;; [unrolled: 1-line block ×3, first 2 shown]
	s_waitcnt vmcnt(4)
	ds_write2_b64 v0, v[2:3], v[4:5] offset1:1
	s_waitcnt vmcnt(3)
	buffer_store_dword v7, off, s[0:3], 0
	s_waitcnt vmcnt(3)
	buffer_store_dword v8, off, s[0:3], 0 offset:4
	s_waitcnt vmcnt(3)
	buffer_store_dword v9, off, s[0:3], 0 offset:8
	;; [unrolled: 2-line block ×3, first 2 shown]
	buffer_store_dword v5, v6, s[0:3], 0 offen offset:12
	buffer_store_dword v4, v6, s[0:3], 0 offen offset:8
	;; [unrolled: 1-line block ×3, first 2 shown]
	buffer_store_dword v2, v6, s[0:3], 0 offen
.LBB87_204:
	s_or_b64 exec, exec, s[4:5]
.LBB87_205:
	v_accvgpr_read_b32 v115, a10
	v_accvgpr_read_b32 v110, a9
	;; [unrolled: 1-line block ×5, first 2 shown]
	buffer_load_dword v2, off, s[0:3], 0
	buffer_load_dword v3, off, s[0:3], 0 offset:4
	buffer_load_dword v4, off, s[0:3], 0 offset:8
	;; [unrolled: 1-line block ×3, first 2 shown]
	buffer_load_dword v7, v153, s[0:3], 0 offen offset:4
	buffer_load_dword v8, v153, s[0:3], 0 offen offset:8
	buffer_load_dword v9, v153, s[0:3], 0 offen offset:12
	buffer_load_dword v10, v155, s[0:3], 0 offen
	buffer_load_dword v11, v155, s[0:3], 0 offen offset:4
	buffer_load_dword v12, v155, s[0:3], 0 offen offset:8
	buffer_load_dword v6, v153, s[0:3], 0 offen
	buffer_load_dword v13, v155, s[0:3], 0 offen offset:12
	buffer_load_dword v15, v154, s[0:3], 0 offen offset:4
	;; [unrolled: 1-line block ×4, first 2 shown]
	buffer_load_dword v18, v151, s[0:3], 0 offen
	buffer_load_dword v19, v151, s[0:3], 0 offen offset:4
	buffer_load_dword v20, v151, s[0:3], 0 offen offset:8
	buffer_load_dword v14, v154, s[0:3], 0 offen
                                        ; kill: killed $vgpr155
                                        ; kill: killed $vgpr153
                                        ; kill: killed $vgpr154
	buffer_load_dword v21, v151, s[0:3], 0 offen offset:12
	buffer_load_dword v71, v150, s[0:3], 0 offen offset:4
	buffer_load_dword v72, v150, s[0:3], 0 offen offset:8
	buffer_load_dword v73, v150, s[0:3], 0 offen offset:12
	buffer_load_dword v74, v152, s[0:3], 0 offen
	buffer_load_dword v75, v152, s[0:3], 0 offen offset:4
	buffer_load_dword v76, v152, s[0:3], 0 offen offset:8
	buffer_load_dword v70, v150, s[0:3], 0 offen
	buffer_load_dword v77, v152, s[0:3], 0 offen offset:12
	buffer_load_dword v79, v148, s[0:3], 0 offen offset:4
	;; [unrolled: 1-line block ×4, first 2 shown]
	buffer_load_dword v82, v146, s[0:3], 0 offen
	buffer_load_dword v83, v146, s[0:3], 0 offen offset:4
	buffer_load_dword v84, v146, s[0:3], 0 offen offset:8
                                        ; kill: killed $vgpr151
                                        ; kill: killed $vgpr152
                                        ; kill: killed $vgpr150
	buffer_load_dword v78, v148, s[0:3], 0 offen
	buffer_load_dword v85, v146, s[0:3], 0 offen offset:12
	buffer_load_dword v87, v149, s[0:3], 0 offen offset:4
	;; [unrolled: 1-line block ×4, first 2 shown]
	buffer_load_dword v90, v147, s[0:3], 0 offen
	buffer_load_dword v91, v147, s[0:3], 0 offen offset:4
	buffer_load_dword v92, v147, s[0:3], 0 offen offset:8
	buffer_load_dword v86, v149, s[0:3], 0 offen
	buffer_load_dword v93, v147, s[0:3], 0 offen offset:12
	buffer_load_dword v95, v115, s[0:3], 0 offen offset:4
	;; [unrolled: 1-line block ×4, first 2 shown]
	buffer_load_dword v98, v110, s[0:3], 0 offen
	buffer_load_dword v99, v110, s[0:3], 0 offen offset:4
                                        ; kill: killed $vgpr148
                                        ; kill: killed $vgpr149
                                        ; kill: killed $vgpr146
                                        ; kill: killed $vgpr147
	buffer_load_dword v100, v110, s[0:3], 0 offen offset:8
	buffer_load_dword v94, v115, s[0:3], 0 offen
	buffer_load_dword v101, v110, s[0:3], 0 offen offset:12
	buffer_load_dword v103, v1, s[0:3], 0 offen offset:4
	;; [unrolled: 1-line block ×4, first 2 shown]
	buffer_load_dword v106, v116, s[0:3], 0 offen
	buffer_load_dword v107, v116, s[0:3], 0 offen offset:4
	buffer_load_dword v108, v116, s[0:3], 0 offen offset:8
	buffer_load_dword v102, v1, s[0:3], 0 offen
	buffer_load_dword v109, v116, s[0:3], 0 offen offset:12
	buffer_load_dword v111, v0, s[0:3], 0 offen offset:4
	;; [unrolled: 1-line block ×4, first 2 shown]
	buffer_load_dword v114, v118, s[0:3], 0 offen
                                        ; kill: killed $vgpr116
                                        ; kill: killed $vgpr115
                                        ; kill: killed $vgpr1
                                        ; kill: killed $vgpr110
	s_nop 0
	buffer_load_dword v115, v118, s[0:3], 0 offen offset:4
	buffer_load_dword v116, v118, s[0:3], 0 offen offset:8
	buffer_load_dword v110, v0, s[0:3], 0 offen
	buffer_load_dword v117, v118, s[0:3], 0 offen offset:12
	v_accvgpr_read_b32 v1, a6
                                        ; kill: killed $vgpr0
	v_accvgpr_read_b32 v0, a5
	buffer_load_dword v119, v1, s[0:3], 0 offen offset:4
	buffer_load_dword v120, v1, s[0:3], 0 offen offset:8
	;; [unrolled: 1-line block ×3, first 2 shown]
                                        ; kill: killed $vgpr118
	buffer_load_dword v122, v0, s[0:3], 0 offen
	buffer_load_dword v123, v0, s[0:3], 0 offen offset:4
	buffer_load_dword v124, v0, s[0:3], 0 offen offset:8
	buffer_load_dword v118, v1, s[0:3], 0 offen
	buffer_load_dword v125, v0, s[0:3], 0 offen offset:12
	v_accvgpr_read_b32 v1, a4
	v_accvgpr_read_b32 v0, a3
	buffer_load_dword v127, v1, s[0:3], 0 offen offset:4
	buffer_load_dword v128, v1, s[0:3], 0 offen offset:8
	;; [unrolled: 1-line block ×3, first 2 shown]
	buffer_load_dword v130, v0, s[0:3], 0 offen
	buffer_load_dword v131, v0, s[0:3], 0 offen offset:4
	buffer_load_dword v132, v0, s[0:3], 0 offen offset:8
	buffer_load_dword v126, v1, s[0:3], 0 offen
	buffer_load_dword v133, v0, s[0:3], 0 offen offset:12
	v_accvgpr_read_b32 v1, a2
	v_accvgpr_read_b32 v0, a1
	buffer_load_dword v137, v1, s[0:3], 0 offen offset:4
	buffer_load_dword v138, v1, s[0:3], 0 offen offset:8
	;; [unrolled: 1-line block ×3, first 2 shown]
	buffer_load_dword v140, v0, s[0:3], 0 offen
	buffer_load_dword v141, v0, s[0:3], 0 offen offset:4
	buffer_load_dword v142, v0, s[0:3], 0 offen offset:8
	buffer_load_dword v136, v1, s[0:3], 0 offen
	buffer_load_dword v143, v0, s[0:3], 0 offen offset:12
	v_accvgpr_read_b32 v0, a0
	buffer_load_dword v144, v0, s[0:3], 0 offen
	buffer_load_dword v145, v0, s[0:3], 0 offen offset:4
	buffer_load_dword v146, v0, s[0:3], 0 offen offset:8
	;; [unrolled: 1-line block ×3, first 2 shown]
	s_waitcnt vmcnt(62)
	global_store_dwordx4 v[22:23], v[2:5], off
	global_store_dwordx4 v[24:25], v[6:9], off
	;; [unrolled: 1-line block ×7, first 2 shown]
	s_waitcnt vmcnt(62)
	global_store_dwordx4 v[38:39], v[78:81], off
	global_store_dwordx4 v[40:41], v[82:85], off
	s_waitcnt vmcnt(62)
	global_store_dwordx4 v[42:43], v[86:89], off
	s_waitcnt vmcnt(62)
	;; [unrolled: 2-line block ×15, first 2 shown]
	global_store_dwordx4 v[32:33], v[144:147], off
	s_endpgm
	.section	.rodata,"a",@progbits
	.p2align	6, 0x0
	.amdhsa_kernel _ZN9rocsolver6v33100L18getri_kernel_smallILi24E19rocblas_complex_numIdEPKPS3_EEvT1_iilPiilS8_bb
		.amdhsa_group_segment_fixed_size 1800
		.amdhsa_private_segment_fixed_size 400
		.amdhsa_kernarg_size 60
		.amdhsa_user_sgpr_count 10
		.amdhsa_user_sgpr_private_segment_buffer 1
		.amdhsa_user_sgpr_dispatch_ptr 1
		.amdhsa_user_sgpr_queue_ptr 0
		.amdhsa_user_sgpr_kernarg_segment_ptr 1
		.amdhsa_user_sgpr_dispatch_id 0
		.amdhsa_user_sgpr_flat_scratch_init 1
		.amdhsa_user_sgpr_kernarg_preload_length 0
		.amdhsa_user_sgpr_kernarg_preload_offset 0
		.amdhsa_user_sgpr_private_segment_size 0
		.amdhsa_uses_dynamic_stack 0
		.amdhsa_system_sgpr_private_segment_wavefront_offset 1
		.amdhsa_system_sgpr_workgroup_id_x 1
		.amdhsa_system_sgpr_workgroup_id_y 0
		.amdhsa_system_sgpr_workgroup_id_z 0
		.amdhsa_system_sgpr_workgroup_info 0
		.amdhsa_system_vgpr_workitem_id 2
		.amdhsa_next_free_vgpr 268
		.amdhsa_next_free_sgpr 24
		.amdhsa_accum_offset 256
		.amdhsa_reserve_vcc 1
		.amdhsa_reserve_flat_scratch 1
		.amdhsa_float_round_mode_32 0
		.amdhsa_float_round_mode_16_64 0
		.amdhsa_float_denorm_mode_32 3
		.amdhsa_float_denorm_mode_16_64 3
		.amdhsa_dx10_clamp 1
		.amdhsa_ieee_mode 1
		.amdhsa_fp16_overflow 0
		.amdhsa_tg_split 0
		.amdhsa_exception_fp_ieee_invalid_op 0
		.amdhsa_exception_fp_denorm_src 0
		.amdhsa_exception_fp_ieee_div_zero 0
		.amdhsa_exception_fp_ieee_overflow 0
		.amdhsa_exception_fp_ieee_underflow 0
		.amdhsa_exception_fp_ieee_inexact 0
		.amdhsa_exception_int_div_zero 0
	.end_amdhsa_kernel
	.section	.text._ZN9rocsolver6v33100L18getri_kernel_smallILi24E19rocblas_complex_numIdEPKPS3_EEvT1_iilPiilS8_bb,"axG",@progbits,_ZN9rocsolver6v33100L18getri_kernel_smallILi24E19rocblas_complex_numIdEPKPS3_EEvT1_iilPiilS8_bb,comdat
.Lfunc_end87:
	.size	_ZN9rocsolver6v33100L18getri_kernel_smallILi24E19rocblas_complex_numIdEPKPS3_EEvT1_iilPiilS8_bb, .Lfunc_end87-_ZN9rocsolver6v33100L18getri_kernel_smallILi24E19rocblas_complex_numIdEPKPS3_EEvT1_iilPiilS8_bb
                                        ; -- End function
	.section	.AMDGPU.csdata,"",@progbits
; Kernel info:
; codeLenInByte = 45636
; NumSgprs: 30
; NumVgprs: 256
; NumAgprs: 12
; TotalNumVgprs: 268
; ScratchSize: 400
; MemoryBound: 0
; FloatMode: 240
; IeeeMode: 1
; LDSByteSize: 1800 bytes/workgroup (compile time only)
; SGPRBlocks: 3
; VGPRBlocks: 33
; NumSGPRsForWavesPerEU: 30
; NumVGPRsForWavesPerEU: 268
; AccumOffset: 256
; Occupancy: 1
; WaveLimiterHint : 1
; COMPUTE_PGM_RSRC2:SCRATCH_EN: 1
; COMPUTE_PGM_RSRC2:USER_SGPR: 10
; COMPUTE_PGM_RSRC2:TRAP_HANDLER: 0
; COMPUTE_PGM_RSRC2:TGID_X_EN: 1
; COMPUTE_PGM_RSRC2:TGID_Y_EN: 0
; COMPUTE_PGM_RSRC2:TGID_Z_EN: 0
; COMPUTE_PGM_RSRC2:TIDIG_COMP_CNT: 2
; COMPUTE_PGM_RSRC3_GFX90A:ACCUM_OFFSET: 63
; COMPUTE_PGM_RSRC3_GFX90A:TG_SPLIT: 0
	.section	.text._ZN9rocsolver6v33100L18getri_kernel_smallILi25E19rocblas_complex_numIdEPKPS3_EEvT1_iilPiilS8_bb,"axG",@progbits,_ZN9rocsolver6v33100L18getri_kernel_smallILi25E19rocblas_complex_numIdEPKPS3_EEvT1_iilPiilS8_bb,comdat
	.globl	_ZN9rocsolver6v33100L18getri_kernel_smallILi25E19rocblas_complex_numIdEPKPS3_EEvT1_iilPiilS8_bb ; -- Begin function _ZN9rocsolver6v33100L18getri_kernel_smallILi25E19rocblas_complex_numIdEPKPS3_EEvT1_iilPiilS8_bb
	.p2align	8
	.type	_ZN9rocsolver6v33100L18getri_kernel_smallILi25E19rocblas_complex_numIdEPKPS3_EEvT1_iilPiilS8_bb,@function
_ZN9rocsolver6v33100L18getri_kernel_smallILi25E19rocblas_complex_numIdEPKPS3_EEvT1_iilPiilS8_bb: ; @_ZN9rocsolver6v33100L18getri_kernel_smallILi25E19rocblas_complex_numIdEPKPS3_EEvT1_iilPiilS8_bb
; %bb.0:
	s_add_u32 flat_scratch_lo, s8, s11
	s_addc_u32 flat_scratch_hi, s9, 0
	s_add_u32 s0, s0, s11
	v_and_b32_e32 v171, 0x3ff, v0
	s_addc_u32 s1, s1, 0
	v_cmp_gt_u32_e32 vcc, 25, v171
	s_and_saveexec_b64 s[8:9], vcc
	s_cbranch_execz .LBB88_114
; %bb.1:
	s_load_dword s20, s[6:7], 0x38
	s_load_dwordx2 s[8:9], s[6:7], 0x0
	s_load_dwordx4 s[12:15], s[6:7], 0x28
	s_waitcnt lgkmcnt(0)
	s_bitcmp1_b32 s20, 8
	s_cselect_b64 s[18:19], -1, 0
	s_ashr_i32 s11, s10, 31
	s_lshl_b64 s[16:17], s[10:11], 3
	s_add_u32 s8, s8, s16
	s_addc_u32 s9, s9, s17
	s_load_dwordx2 s[8:9], s[8:9], 0x0
	s_bfe_u32 s16, s20, 0x10008
	s_cmp_eq_u32 s16, 0
                                        ; implicit-def: $sgpr16_sgpr17
	s_cbranch_scc1 .LBB88_3
; %bb.2:
	s_load_dword s16, s[6:7], 0x20
	s_load_dwordx2 s[22:23], s[6:7], 0x18
	s_mul_i32 s13, s10, s13
	s_mul_hi_u32 s17, s10, s12
	s_add_i32 s13, s17, s13
	s_mul_i32 s21, s11, s12
	s_add_i32 s13, s13, s21
	s_mul_i32 s12, s10, s12
	s_waitcnt lgkmcnt(0)
	s_ashr_i32 s17, s16, 31
	s_lshl_b64 s[12:13], s[12:13], 2
	s_add_u32 s21, s22, s12
	s_addc_u32 s22, s23, s13
	s_lshl_b64 s[12:13], s[16:17], 2
	s_add_u32 s16, s21, s12
	s_addc_u32 s17, s22, s13
.LBB88_3:
	s_load_dwordx2 s[6:7], s[6:7], 0x8
	v_lshlrev_b32_e32 v84, 4, v171
	s_waitcnt lgkmcnt(0)
	s_ashr_i32 s13, s6, 31
	s_mov_b32 s12, s6
	s_lshl_b64 s[12:13], s[12:13], 4
	s_add_u32 s8, s8, s12
	s_addc_u32 s9, s9, s13
	v_mov_b32_e32 v1, s9
	v_add_co_u32_e32 v34, vcc, s8, v84
	s_ashr_i32 s13, s7, 31
	s_mov_b32 s12, s7
	s_add_i32 s6, s7, s7
	v_addc_co_u32_e32 v35, vcc, 0, v1, vcc
	s_lshl_b64 s[12:13], s[12:13], 4
	v_add_u32_e32 v2, s6, v171
	v_mov_b32_e32 v1, s13
	v_add_co_u32_e32 v36, vcc, s12, v34
	v_ashrrev_i32_e32 v3, 31, v2
	v_addc_co_u32_e32 v37, vcc, v35, v1, vcc
	v_lshlrev_b64 v[4:5], 4, v[2:3]
	v_mov_b32_e32 v1, s9
	v_add_co_u32_e32 v38, vcc, s8, v4
	global_load_dwordx4 v[10:13], v84, s[8:9]
	v_addc_co_u32_e32 v39, vcc, v1, v5, vcc
	global_load_dwordx4 v[14:17], v[36:37], off
	global_load_dwordx4 v[18:21], v[38:39], off
	v_add_u32_e32 v2, s7, v2
	v_ashrrev_i32_e32 v3, 31, v2
	v_lshlrev_b64 v[4:5], 4, v[2:3]
	v_add_u32_e32 v2, s7, v2
	v_add_co_u32_e32 v40, vcc, s8, v4
	v_ashrrev_i32_e32 v3, 31, v2
	v_addc_co_u32_e32 v41, vcc, v1, v5, vcc
	v_add_u32_e32 v6, s7, v2
	v_lshlrev_b64 v[2:3], 4, v[2:3]
	v_add_co_u32_e32 v42, vcc, s8, v2
	v_addc_co_u32_e32 v43, vcc, v1, v3, vcc
	global_load_dwordx4 v[22:25], v[40:41], off
	global_load_dwordx4 v[26:29], v[42:43], off
	v_ashrrev_i32_e32 v7, 31, v6
	v_lshlrev_b64 v[2:3], 4, v[6:7]
	v_mov_b32_e32 v4, s9
	v_add_co_u32_e32 v44, vcc, s8, v2
	v_addc_co_u32_e32 v45, vcc, v4, v3, vcc
	global_load_dwordx4 v[2:5], v[44:45], off
	v_add_u32_e32 v6, s7, v6
	v_ashrrev_i32_e32 v7, 31, v6
	v_add_u32_e32 v8, s7, v6
	v_lshlrev_b64 v[6:7], 4, v[6:7]
	v_ashrrev_i32_e32 v9, 31, v8
	v_add_co_u32_e32 v46, vcc, s8, v6
	v_add_u32_e32 v30, s7, v8
	v_addc_co_u32_e32 v47, vcc, v1, v7, vcc
	v_lshlrev_b64 v[32:33], 4, v[8:9]
	global_load_dwordx4 v[6:9], v[46:47], off
	v_mov_b32_e32 v49, s9
	v_ashrrev_i32_e32 v31, 31, v30
	v_add_co_u32_e32 v48, vcc, s8, v32
	v_addc_co_u32_e32 v49, vcc, v49, v33, vcc
	v_lshlrev_b64 v[32:33], 4, v[30:31]
	v_add_co_u32_e32 v50, vcc, s8, v32
	v_addc_co_u32_e32 v51, vcc, v1, v33, vcc
	s_bitcmp0_b32 s20, 0
	s_waitcnt vmcnt(6)
	buffer_store_dword v13, off, s[0:3], 0 offset:12
	buffer_store_dword v12, off, s[0:3], 0 offset:8
	;; [unrolled: 1-line block ×3, first 2 shown]
	buffer_store_dword v10, off, s[0:3], 0
	s_waitcnt vmcnt(9)
	buffer_store_dword v17, off, s[0:3], 0 offset:28
	buffer_store_dword v16, off, s[0:3], 0 offset:24
	buffer_store_dword v15, off, s[0:3], 0 offset:20
	buffer_store_dword v14, off, s[0:3], 0 offset:16
	s_waitcnt vmcnt(12)
	buffer_store_dword v21, off, s[0:3], 0 offset:44
	buffer_store_dword v20, off, s[0:3], 0 offset:40
	buffer_store_dword v19, off, s[0:3], 0 offset:36
	buffer_store_dword v18, off, s[0:3], 0 offset:32
	;; [unrolled: 5-line block ×3, first 2 shown]
	v_add_u32_e32 v18, s7, v30
	v_ashrrev_i32_e32 v19, 31, v18
	v_lshlrev_b64 v[20:21], 4, v[18:19]
	v_add_u32_e32 v30, s7, v18
	v_add_co_u32_e32 v52, vcc, s8, v20
	v_ashrrev_i32_e32 v31, 31, v30
	v_addc_co_u32_e32 v53, vcc, v1, v21, vcc
	v_lshlrev_b64 v[18:19], 4, v[30:31]
	v_add_u32_e32 v30, s7, v30
	v_add_co_u32_e32 v54, vcc, s8, v18
	v_ashrrev_i32_e32 v31, 31, v30
	v_addc_co_u32_e32 v55, vcc, v1, v19, vcc
	v_lshlrev_b64 v[32:33], 4, v[30:31]
	v_add_u32_e32 v60, s7, v30
	v_add_co_u32_e32 v56, vcc, s8, v32
	v_ashrrev_i32_e32 v61, 31, v60
	global_load_dwordx4 v[10:13], v[48:49], off
	global_load_dwordx4 v[14:17], v[50:51], off
	;; [unrolled: 1-line block ×4, first 2 shown]
	v_addc_co_u32_e32 v57, vcc, v1, v33, vcc
	s_waitcnt vmcnt(22)
	buffer_store_dword v29, off, s[0:3], 0 offset:76
	buffer_store_dword v28, off, s[0:3], 0 offset:72
	;; [unrolled: 1-line block ×4, first 2 shown]
	s_waitcnt vmcnt(25)
	buffer_store_dword v5, off, s[0:3], 0 offset:92
	v_lshlrev_b64 v[26:27], 4, v[60:61]
	v_add_u32_e32 v62, s7, v60
	v_add_co_u32_e32 v58, vcc, s8, v26
	v_ashrrev_i32_e32 v63, 31, v62
	v_addc_co_u32_e32 v59, vcc, v1, v27, vcc
	v_lshlrev_b64 v[60:61], 4, v[62:63]
	v_add_u32_e32 v64, s7, v62
	v_add_co_u32_e32 v60, vcc, s8, v60
	v_ashrrev_i32_e32 v65, 31, v64
	v_addc_co_u32_e32 v61, vcc, v1, v61, vcc
	;; [unrolled: 5-line block ×10, first 2 shown]
	v_lshlrev_b64 v[78:79], 4, v[80:81]
	v_add_co_u32_e32 v78, vcc, s8, v78
	global_load_dwordx4 v[26:29], v[56:57], off
	global_load_dwordx4 v[30:33], v[58:59], off
	global_load_dwordx4 v[86:89], v[60:61], off
	global_load_dwordx4 v[90:93], v[62:63], off
	global_load_dwordx4 v[94:97], v[64:65], off
	global_load_dwordx4 v[98:101], v[66:67], off
	global_load_dwordx4 v[102:105], v[68:69], off
	global_load_dwordx4 v[106:109], v[70:71], off
	global_load_dwordx4 v[110:113], v[72:73], off
	global_load_dwordx4 v[114:117], v[74:75], off
	v_addc_co_u32_e32 v79, vcc, v1, v79, vcc
	global_load_dwordx4 v[118:121], v[76:77], off
	global_load_dwordx4 v[122:125], v[78:79], off
	v_add_u32_e32 v82, s7, v80
	v_ashrrev_i32_e32 v83, 31, v82
	v_lshlrev_b64 v[80:81], 4, v[82:83]
	v_add_u32_e32 v82, s7, v82
	v_add_co_u32_e32 v80, vcc, s8, v80
	v_ashrrev_i32_e32 v83, 31, v82
	v_addc_co_u32_e32 v81, vcc, v1, v81, vcc
	v_lshlrev_b64 v[82:83], 4, v[82:83]
	v_add_co_u32_e32 v82, vcc, s8, v82
	v_addc_co_u32_e32 v83, vcc, v1, v83, vcc
	global_load_dwordx4 v[126:129], v[80:81], off
	global_load_dwordx4 v[130:133], v[82:83], off
	s_nop 0
	buffer_store_dword v4, off, s[0:3], 0 offset:88
	buffer_store_dword v3, off, s[0:3], 0 offset:84
	buffer_store_dword v2, off, s[0:3], 0 offset:80
	s_waitcnt vmcnt(42)
	buffer_store_dword v9, off, s[0:3], 0 offset:108
	buffer_store_dword v8, off, s[0:3], 0 offset:104
	buffer_store_dword v7, off, s[0:3], 0 offset:100
	buffer_store_dword v6, off, s[0:3], 0 offset:96
	s_waitcnt vmcnt(29)
	buffer_store_dword v13, off, s[0:3], 0 offset:124
	;; [unrolled: 5-line block ×15, first 2 shown]
	buffer_store_dword v116, off, s[0:3], 0 offset:328
	buffer_store_dword v115, off, s[0:3], 0 offset:324
	;; [unrolled: 1-line block ×7, first 2 shown]
	s_waitcnt vmcnt(62)
	buffer_store_dword v125, off, s[0:3], 0 offset:364
	buffer_store_dword v124, off, s[0:3], 0 offset:360
	;; [unrolled: 1-line block ×8, first 2 shown]
	v_mov_b32_e32 v2, 0
	v_add_u32_e32 v3, 48, v2
	v_accvgpr_write_b32 a21, v3
	v_add_u32_e32 v3, 64, v2
	v_accvgpr_write_b32 a19, v3
	;; [unrolled: 2-line block ×18, first 2 shown]
	v_add_u32_e32 v3, 0x150, v2
	v_add_u32_e32 v1, 16, v2
	;; [unrolled: 1-line block ×3, first 2 shown]
	v_accvgpr_write_b32 a3, v3
	v_add_u32_e32 v24, 0x160, v2
	v_add_u32_e32 v23, 0x170, v2
	;; [unrolled: 1-line block ×3, first 2 shown]
	s_mov_b64 s[8:9], -1
	buffer_store_dword v133, off, s[0:3], 0 offset:396
	buffer_store_dword v132, off, s[0:3], 0 offset:392
	;; [unrolled: 1-line block ×4, first 2 shown]
	s_cbranch_scc1 .LBB88_112
; %bb.4:
	v_cmp_eq_u32_e64 s[6:7], 0, v171
	s_and_saveexec_b64 s[8:9], s[6:7]
	s_cbranch_execz .LBB88_6
; %bb.5:
	v_mov_b32_e32 v2, 0
	ds_write_b32 v2, v2 offset:800
.LBB88_6:
	s_or_b64 exec, exec, s[8:9]
	v_mov_b32_e32 v2, 0
	v_lshl_add_u32 v12, v171, 4, v2
	s_waitcnt lgkmcnt(0)
	; wave barrier
	s_waitcnt lgkmcnt(0)
	buffer_load_dword v2, v12, s[0:3], 0 offen
	buffer_load_dword v3, v12, s[0:3], 0 offen offset:4
	buffer_load_dword v4, v12, s[0:3], 0 offen offset:8
	;; [unrolled: 1-line block ×3, first 2 shown]
	s_waitcnt vmcnt(2)
	v_cmp_eq_f64_e32 vcc, 0, v[2:3]
	s_waitcnt vmcnt(0)
	v_cmp_eq_f64_e64 s[8:9], 0, v[4:5]
	s_and_b64 s[8:9], vcc, s[8:9]
	s_and_saveexec_b64 s[12:13], s[8:9]
	s_cbranch_execz .LBB88_10
; %bb.7:
	v_mov_b32_e32 v2, 0
	ds_read_b32 v4, v2 offset:800
	v_add_u32_e32 v3, 1, v171
	s_waitcnt lgkmcnt(0)
	v_readfirstlane_b32 s8, v4
	s_cmp_eq_u32 s8, 0
	s_cselect_b64 s[20:21], -1, 0
	v_cmp_gt_i32_e32 vcc, s8, v3
	s_or_b64 s[20:21], s[20:21], vcc
	s_and_b64 exec, exec, s[20:21]
	s_cbranch_execz .LBB88_10
; %bb.8:
	s_mov_b64 s[20:21], 0
	v_mov_b32_e32 v4, s8
.LBB88_9:                               ; =>This Inner Loop Header: Depth=1
	ds_cmpst_rtn_b32 v4, v2, v4, v3 offset:800
	s_waitcnt lgkmcnt(0)
	v_cmp_ne_u32_e32 vcc, 0, v4
	v_cmp_le_i32_e64 s[8:9], v4, v3
	s_and_b64 s[8:9], vcc, s[8:9]
	s_and_b64 s[8:9], exec, s[8:9]
	s_or_b64 s[20:21], s[8:9], s[20:21]
	s_andn2_b64 exec, exec, s[20:21]
	s_cbranch_execnz .LBB88_9
.LBB88_10:
	s_or_b64 exec, exec, s[12:13]
	v_mov_b32_e32 v3, 0
	s_waitcnt lgkmcnt(0)
	; wave barrier
	ds_read_b32 v2, v3 offset:800
	s_and_saveexec_b64 s[8:9], s[6:7]
	s_cbranch_execz .LBB88_12
; %bb.11:
	s_lshl_b64 s[12:13], s[10:11], 2
	s_add_u32 s12, s14, s12
	s_addc_u32 s13, s15, s13
	s_waitcnt lgkmcnt(0)
	global_store_dword v3, v2, s[12:13]
.LBB88_12:
	s_or_b64 exec, exec, s[8:9]
	s_waitcnt lgkmcnt(0)
	v_cmp_ne_u32_e32 vcc, 0, v2
	s_mov_b64 s[8:9], 0
	s_cbranch_vccnz .LBB88_112
; %bb.13:
	buffer_load_dword v7, v12, s[0:3], 0 offen offset:4
	buffer_load_dword v6, v12, s[0:3], 0 offen
	buffer_load_dword v9, v12, s[0:3], 0 offen offset:12
	buffer_load_dword v8, v12, s[0:3], 0 offen offset:8
                                        ; implicit-def: $vgpr10_vgpr11
	s_waitcnt vmcnt(3)
	v_xor_b32_e32 v3, 0x80000000, v7
	s_waitcnt vmcnt(2)
	v_cmp_gt_f64_e32 vcc, 0, v[6:7]
	s_waitcnt vmcnt(1)
	v_xor_b32_e32 v4, 0x80000000, v9
	v_cndmask_b32_e32 v3, v7, v3, vcc
	s_waitcnt vmcnt(0)
	v_cmp_gt_f64_e32 vcc, 0, v[8:9]
	v_mov_b32_e32 v2, v6
	v_cndmask_b32_e32 v5, v9, v4, vcc
	v_mov_b32_e32 v4, v8
	v_cmp_ngt_f64_e32 vcc, v[2:3], v[4:5]
                                        ; implicit-def: $vgpr4_vgpr5
	s_and_saveexec_b64 s[8:9], vcc
	s_xor_b64 s[8:9], exec, s[8:9]
	s_cbranch_execz .LBB88_15
; %bb.14:
	v_div_scale_f64 v[2:3], s[12:13], v[8:9], v[8:9], v[6:7]
	v_rcp_f64_e32 v[4:5], v[2:3]
	v_div_scale_f64 v[10:11], vcc, v[6:7], v[8:9], v[6:7]
	v_fma_f64 v[14:15], -v[2:3], v[4:5], 1.0
	v_fmac_f64_e32 v[4:5], v[4:5], v[14:15]
	v_fma_f64 v[14:15], -v[2:3], v[4:5], 1.0
	v_fmac_f64_e32 v[4:5], v[4:5], v[14:15]
	v_mul_f64 v[14:15], v[10:11], v[4:5]
	v_fma_f64 v[2:3], -v[2:3], v[14:15], v[10:11]
	v_div_fmas_f64 v[2:3], v[2:3], v[4:5], v[14:15]
	v_div_fixup_f64 v[2:3], v[2:3], v[8:9], v[6:7]
	v_fmac_f64_e32 v[8:9], v[6:7], v[2:3]
	v_div_scale_f64 v[4:5], s[12:13], v[8:9], v[8:9], 1.0
	v_rcp_f64_e32 v[6:7], v[4:5]
	v_fma_f64 v[10:11], -v[4:5], v[6:7], 1.0
	v_fmac_f64_e32 v[6:7], v[6:7], v[10:11]
	v_fma_f64 v[10:11], -v[4:5], v[6:7], 1.0
	v_fmac_f64_e32 v[6:7], v[6:7], v[10:11]
	v_div_scale_f64 v[10:11], vcc, 1.0, v[8:9], 1.0
	v_mul_f64 v[14:15], v[10:11], v[6:7]
	v_fma_f64 v[4:5], -v[4:5], v[14:15], v[10:11]
	s_nop 1
	v_div_fmas_f64 v[4:5], v[4:5], v[6:7], v[14:15]
	v_div_fixup_f64 v[4:5], v[4:5], v[8:9], 1.0
	v_mul_f64 v[10:11], v[2:3], v[4:5]
	v_xor_b32_e32 v5, 0x80000000, v5
	v_xor_b32_e32 v3, 0x80000000, v11
	v_mov_b32_e32 v2, v10
                                        ; implicit-def: $vgpr6_vgpr7
                                        ; implicit-def: $vgpr8_vgpr9
.LBB88_15:
	s_andn2_saveexec_b64 s[8:9], s[8:9]
	s_cbranch_execz .LBB88_17
; %bb.16:
	v_div_scale_f64 v[2:3], s[12:13], v[6:7], v[6:7], v[8:9]
	v_rcp_f64_e32 v[4:5], v[2:3]
	v_div_scale_f64 v[10:11], vcc, v[8:9], v[6:7], v[8:9]
	v_fma_f64 v[14:15], -v[2:3], v[4:5], 1.0
	v_fmac_f64_e32 v[4:5], v[4:5], v[14:15]
	v_fma_f64 v[14:15], -v[2:3], v[4:5], 1.0
	v_fmac_f64_e32 v[4:5], v[4:5], v[14:15]
	v_mul_f64 v[14:15], v[10:11], v[4:5]
	v_fma_f64 v[2:3], -v[2:3], v[14:15], v[10:11]
	v_div_fmas_f64 v[2:3], v[2:3], v[4:5], v[14:15]
	v_div_fixup_f64 v[4:5], v[2:3], v[6:7], v[8:9]
	v_fmac_f64_e32 v[6:7], v[8:9], v[4:5]
	v_div_scale_f64 v[2:3], s[12:13], v[6:7], v[6:7], 1.0
	v_rcp_f64_e32 v[8:9], v[2:3]
	v_fma_f64 v[10:11], -v[2:3], v[8:9], 1.0
	v_fmac_f64_e32 v[8:9], v[8:9], v[10:11]
	v_fma_f64 v[10:11], -v[2:3], v[8:9], 1.0
	v_fmac_f64_e32 v[8:9], v[8:9], v[10:11]
	v_div_scale_f64 v[10:11], vcc, 1.0, v[6:7], 1.0
	v_mul_f64 v[14:15], v[10:11], v[8:9]
	v_fma_f64 v[2:3], -v[2:3], v[14:15], v[10:11]
	s_nop 1
	v_div_fmas_f64 v[2:3], v[2:3], v[8:9], v[14:15]
	v_div_fixup_f64 v[10:11], v[2:3], v[6:7], 1.0
	v_xor_b32_e32 v3, 0x80000000, v11
	v_mov_b32_e32 v2, v10
	v_mul_f64 v[4:5], v[4:5], -v[10:11]
.LBB88_17:
	s_or_b64 exec, exec, s[8:9]
	buffer_store_dword v11, v12, s[0:3], 0 offen offset:4
	buffer_store_dword v10, v12, s[0:3], 0 offen
	buffer_store_dword v5, v12, s[0:3], 0 offen offset:12
	buffer_store_dword v4, v12, s[0:3], 0 offen offset:8
	buffer_load_dword v11, v1, s[0:3], 0 offen offset:12
	s_nop 0
	buffer_load_dword v10, v1, s[0:3], 0 offen offset:8
	buffer_load_dword v9, v1, s[0:3], 0 offen offset:4
	buffer_load_dword v8, v1, s[0:3], 0 offen
	v_xor_b32_e32 v5, 0x80000000, v5
	v_add_u32_e32 v6, 0x190, v84
	ds_write_b128 v84, v[2:5]
	s_waitcnt vmcnt(0)
	ds_write_b128 v84, v[8:11] offset:400
	s_waitcnt lgkmcnt(0)
	; wave barrier
	s_waitcnt lgkmcnt(0)
	s_and_saveexec_b64 s[8:9], s[6:7]
	s_cbranch_execz .LBB88_19
; %bb.18:
	buffer_load_dword v14, v12, s[0:3], 0 offen offset:8
	buffer_load_dword v15, v12, s[0:3], 0 offen offset:12
	buffer_load_dword v16, v12, s[0:3], 0 offen
	buffer_load_dword v17, v12, s[0:3], 0 offen offset:4
	ds_read_b128 v[2:5], v6
	v_mov_b32_e32 v7, 0
	ds_read_b128 v[8:11], v7 offset:16
	s_waitcnt vmcnt(2) lgkmcnt(1)
	v_mul_f64 v[18:19], v[4:5], v[14:15]
	v_mul_f64 v[14:15], v[2:3], v[14:15]
	s_waitcnt vmcnt(0)
	v_fmac_f64_e32 v[14:15], v[4:5], v[16:17]
	v_fma_f64 v[2:3], v[2:3], v[16:17], -v[18:19]
	v_add_f64 v[4:5], v[14:15], 0
	v_add_f64 v[2:3], v[2:3], 0
	s_waitcnt lgkmcnt(0)
	v_mul_f64 v[14:15], v[4:5], v[10:11]
	v_mul_f64 v[10:11], v[2:3], v[10:11]
	v_fma_f64 v[2:3], v[2:3], v[8:9], -v[14:15]
	v_fmac_f64_e32 v[10:11], v[4:5], v[8:9]
	buffer_store_dword v2, off, s[0:3], 0 offset:16
	buffer_store_dword v3, off, s[0:3], 0 offset:20
	buffer_store_dword v10, off, s[0:3], 0 offset:24
	buffer_store_dword v11, off, s[0:3], 0 offset:28
.LBB88_19:
	s_or_b64 exec, exec, s[8:9]
	s_waitcnt lgkmcnt(0)
	; wave barrier
	buffer_load_dword v2, v170, s[0:3], 0 offen
	buffer_load_dword v3, v170, s[0:3], 0 offen offset:4
	buffer_load_dword v4, v170, s[0:3], 0 offen offset:8
	;; [unrolled: 1-line block ×3, first 2 shown]
	v_cmp_gt_u32_e32 vcc, 2, v171
	s_waitcnt vmcnt(0)
	ds_write_b128 v6, v[2:5]
	s_waitcnt lgkmcnt(0)
	; wave barrier
	s_waitcnt lgkmcnt(0)
	s_and_saveexec_b64 s[8:9], vcc
	s_cbranch_execz .LBB88_23
; %bb.20:
	buffer_load_dword v8, v12, s[0:3], 0 offen offset:8
	buffer_load_dword v9, v12, s[0:3], 0 offen offset:12
	buffer_load_dword v10, v12, s[0:3], 0 offen
	buffer_load_dword v11, v12, s[0:3], 0 offen offset:4
	ds_read_b128 v[2:5], v6
	s_waitcnt vmcnt(2) lgkmcnt(0)
	v_mul_f64 v[12:13], v[4:5], v[8:9]
	v_mul_f64 v[8:9], v[2:3], v[8:9]
	s_waitcnt vmcnt(0)
	v_fma_f64 v[2:3], v[2:3], v[10:11], -v[12:13]
	v_fmac_f64_e32 v[8:9], v[4:5], v[10:11]
	v_add_f64 v[4:5], v[2:3], 0
	v_add_f64 v[2:3], v[8:9], 0
	s_and_saveexec_b64 s[12:13], s[6:7]
	s_cbranch_execz .LBB88_22
; %bb.21:
	buffer_load_dword v12, off, s[0:3], 0 offset:24
	buffer_load_dword v13, off, s[0:3], 0 offset:28
	buffer_load_dword v14, off, s[0:3], 0 offset:16
	buffer_load_dword v15, off, s[0:3], 0 offset:20
	v_mov_b32_e32 v7, 0
	ds_read_b128 v[8:11], v7 offset:416
	s_waitcnt vmcnt(2) lgkmcnt(0)
	v_mul_f64 v[16:17], v[8:9], v[12:13]
	v_mul_f64 v[12:13], v[10:11], v[12:13]
	s_waitcnt vmcnt(0)
	v_fmac_f64_e32 v[16:17], v[10:11], v[14:15]
	v_fma_f64 v[8:9], v[8:9], v[14:15], -v[12:13]
	v_add_f64 v[2:3], v[2:3], v[16:17]
	v_add_f64 v[4:5], v[4:5], v[8:9]
.LBB88_22:
	s_or_b64 exec, exec, s[12:13]
	v_mov_b32_e32 v7, 0
	ds_read_b128 v[8:11], v7 offset:32
	s_waitcnt lgkmcnt(0)
	v_mul_f64 v[12:13], v[2:3], v[10:11]
	v_mul_f64 v[10:11], v[4:5], v[10:11]
	v_fma_f64 v[4:5], v[4:5], v[8:9], -v[12:13]
	v_fmac_f64_e32 v[10:11], v[2:3], v[8:9]
	buffer_store_dword v5, off, s[0:3], 0 offset:36
	buffer_store_dword v4, off, s[0:3], 0 offset:32
	;; [unrolled: 1-line block ×4, first 2 shown]
.LBB88_23:
	s_or_b64 exec, exec, s[8:9]
	v_accvgpr_read_b32 v5, a21
	s_waitcnt lgkmcnt(0)
	; wave barrier
	buffer_load_dword v2, v5, s[0:3], 0 offen
	buffer_load_dword v3, v5, s[0:3], 0 offen offset:4
	buffer_load_dword v4, v5, s[0:3], 0 offen offset:8
	s_nop 0
	buffer_load_dword v5, v5, s[0:3], 0 offen offset:12
	v_cmp_gt_u32_e32 vcc, 3, v171
	v_add_u32_e32 v7, -1, v171
	s_waitcnt vmcnt(0)
	ds_write_b128 v6, v[2:5]
	s_waitcnt lgkmcnt(0)
	; wave barrier
	s_waitcnt lgkmcnt(0)
	s_and_saveexec_b64 s[6:7], vcc
	s_cbranch_execz .LBB88_27
; %bb.24:
	v_pk_mov_b32 v[2:3], 0, 0
	v_add_u32_e32 v8, -1, v171
	v_add_u32_e32 v9, 0x190, v84
	v_add_u32_e32 v10, 0, v84
	s_mov_b64 s[8:9], 0
	v_pk_mov_b32 v[4:5], v[2:3], v[2:3] op_sel:[0,1]
.LBB88_25:                              ; =>This Inner Loop Header: Depth=1
	buffer_load_dword v16, v10, s[0:3], 0 offen offset:8
	buffer_load_dword v17, v10, s[0:3], 0 offen offset:12
	buffer_load_dword v18, v10, s[0:3], 0 offen
	buffer_load_dword v19, v10, s[0:3], 0 offen offset:4
	ds_read_b128 v[12:15], v9
	v_add_u32_e32 v8, 1, v8
	v_cmp_lt_u32_e32 vcc, 1, v8
	v_add_u32_e32 v9, 16, v9
	v_add_u32_e32 v10, 16, v10
	s_or_b64 s[8:9], vcc, s[8:9]
	s_waitcnt vmcnt(2) lgkmcnt(0)
	v_mul_f64 v[20:21], v[14:15], v[16:17]
	v_mul_f64 v[16:17], v[12:13], v[16:17]
	s_waitcnt vmcnt(0)
	v_fma_f64 v[12:13], v[12:13], v[18:19], -v[20:21]
	v_fmac_f64_e32 v[16:17], v[14:15], v[18:19]
	v_add_f64 v[4:5], v[4:5], v[12:13]
	v_add_f64 v[2:3], v[2:3], v[16:17]
	s_andn2_b64 exec, exec, s[8:9]
	s_cbranch_execnz .LBB88_25
; %bb.26:
	s_or_b64 exec, exec, s[8:9]
	v_mov_b32_e32 v8, 0
	ds_read_b128 v[8:11], v8 offset:48
	s_waitcnt lgkmcnt(0)
	v_mul_f64 v[12:13], v[2:3], v[10:11]
	v_mul_f64 v[10:11], v[4:5], v[10:11]
	v_fma_f64 v[4:5], v[4:5], v[8:9], -v[12:13]
	v_fmac_f64_e32 v[10:11], v[2:3], v[8:9]
	buffer_store_dword v5, off, s[0:3], 0 offset:52
	buffer_store_dword v4, off, s[0:3], 0 offset:48
	buffer_store_dword v11, off, s[0:3], 0 offset:60
	buffer_store_dword v10, off, s[0:3], 0 offset:56
.LBB88_27:
	s_or_b64 exec, exec, s[6:7]
	v_accvgpr_read_b32 v5, a19
	s_waitcnt lgkmcnt(0)
	; wave barrier
	buffer_load_dword v2, v5, s[0:3], 0 offen
	buffer_load_dword v3, v5, s[0:3], 0 offen offset:4
	buffer_load_dword v4, v5, s[0:3], 0 offen offset:8
	s_nop 0
	buffer_load_dword v5, v5, s[0:3], 0 offen offset:12
	v_cmp_gt_u32_e32 vcc, 4, v171
	s_waitcnt vmcnt(0)
	ds_write_b128 v6, v[2:5]
	s_waitcnt lgkmcnt(0)
	; wave barrier
	s_waitcnt lgkmcnt(0)
	s_and_saveexec_b64 s[6:7], vcc
	s_cbranch_execz .LBB88_31
; %bb.28:
	v_pk_mov_b32 v[2:3], 0, 0
	v_add_u32_e32 v8, -1, v171
	v_add_u32_e32 v9, 0x190, v84
	v_add_u32_e32 v10, 0, v84
	s_mov_b64 s[8:9], 0
	v_pk_mov_b32 v[4:5], v[2:3], v[2:3] op_sel:[0,1]
.LBB88_29:                              ; =>This Inner Loop Header: Depth=1
	buffer_load_dword v16, v10, s[0:3], 0 offen offset:8
	buffer_load_dword v17, v10, s[0:3], 0 offen offset:12
	buffer_load_dword v18, v10, s[0:3], 0 offen
	buffer_load_dword v19, v10, s[0:3], 0 offen offset:4
	ds_read_b128 v[12:15], v9
	v_add_u32_e32 v8, 1, v8
	v_cmp_lt_u32_e32 vcc, 2, v8
	v_add_u32_e32 v9, 16, v9
	v_add_u32_e32 v10, 16, v10
	s_or_b64 s[8:9], vcc, s[8:9]
	s_waitcnt vmcnt(2) lgkmcnt(0)
	v_mul_f64 v[20:21], v[14:15], v[16:17]
	v_mul_f64 v[16:17], v[12:13], v[16:17]
	s_waitcnt vmcnt(0)
	v_fma_f64 v[12:13], v[12:13], v[18:19], -v[20:21]
	v_fmac_f64_e32 v[16:17], v[14:15], v[18:19]
	v_add_f64 v[4:5], v[4:5], v[12:13]
	v_add_f64 v[2:3], v[2:3], v[16:17]
	s_andn2_b64 exec, exec, s[8:9]
	s_cbranch_execnz .LBB88_29
; %bb.30:
	s_or_b64 exec, exec, s[8:9]
	v_mov_b32_e32 v8, 0
	ds_read_b128 v[8:11], v8 offset:64
	s_waitcnt lgkmcnt(0)
	v_mul_f64 v[12:13], v[2:3], v[10:11]
	v_mul_f64 v[10:11], v[4:5], v[10:11]
	v_fma_f64 v[4:5], v[4:5], v[8:9], -v[12:13]
	v_fmac_f64_e32 v[10:11], v[2:3], v[8:9]
	buffer_store_dword v5, off, s[0:3], 0 offset:68
	buffer_store_dword v4, off, s[0:3], 0 offset:64
	buffer_store_dword v11, off, s[0:3], 0 offset:76
	buffer_store_dword v10, off, s[0:3], 0 offset:72
.LBB88_31:
	s_or_b64 exec, exec, s[6:7]
	v_accvgpr_read_b32 v5, a17
	s_waitcnt lgkmcnt(0)
	; wave barrier
	buffer_load_dword v2, v5, s[0:3], 0 offen
	buffer_load_dword v3, v5, s[0:3], 0 offen offset:4
	buffer_load_dword v4, v5, s[0:3], 0 offen offset:8
	s_nop 0
	buffer_load_dword v5, v5, s[0:3], 0 offen offset:12
	v_cmp_gt_u32_e32 vcc, 5, v171
	;; [unrolled: 59-line block ×18, first 2 shown]
	s_waitcnt vmcnt(0)
	ds_write_b128 v6, v[2:5]
	s_waitcnt lgkmcnt(0)
	; wave barrier
	s_waitcnt lgkmcnt(0)
	s_and_saveexec_b64 s[6:7], vcc
	s_cbranch_execz .LBB88_99
; %bb.96:
	v_pk_mov_b32 v[2:3], 0, 0
	v_add_u32_e32 v8, -1, v171
	v_add_u32_e32 v9, 0x190, v84
	v_add_u32_e32 v10, 0, v84
	s_mov_b64 s[8:9], 0
	v_pk_mov_b32 v[4:5], v[2:3], v[2:3] op_sel:[0,1]
.LBB88_97:                              ; =>This Inner Loop Header: Depth=1
	buffer_load_dword v16, v10, s[0:3], 0 offen offset:8
	buffer_load_dword v17, v10, s[0:3], 0 offen offset:12
	buffer_load_dword v18, v10, s[0:3], 0 offen
	buffer_load_dword v19, v10, s[0:3], 0 offen offset:4
	ds_read_b128 v[12:15], v9
	v_add_u32_e32 v8, 1, v8
	v_cmp_lt_u32_e32 vcc, 19, v8
	v_add_u32_e32 v9, 16, v9
	v_add_u32_e32 v10, 16, v10
	s_or_b64 s[8:9], vcc, s[8:9]
	s_waitcnt vmcnt(2) lgkmcnt(0)
	v_mul_f64 v[20:21], v[14:15], v[16:17]
	v_mul_f64 v[16:17], v[12:13], v[16:17]
	s_waitcnt vmcnt(0)
	v_fma_f64 v[12:13], v[12:13], v[18:19], -v[20:21]
	v_fmac_f64_e32 v[16:17], v[14:15], v[18:19]
	v_add_f64 v[4:5], v[4:5], v[12:13]
	v_add_f64 v[2:3], v[2:3], v[16:17]
	s_andn2_b64 exec, exec, s[8:9]
	s_cbranch_execnz .LBB88_97
; %bb.98:
	s_or_b64 exec, exec, s[8:9]
	v_mov_b32_e32 v8, 0
	ds_read_b128 v[8:11], v8 offset:336
	s_waitcnt lgkmcnt(0)
	v_mul_f64 v[12:13], v[2:3], v[10:11]
	v_mul_f64 v[10:11], v[4:5], v[10:11]
	v_fma_f64 v[4:5], v[4:5], v[8:9], -v[12:13]
	v_fmac_f64_e32 v[10:11], v[2:3], v[8:9]
	buffer_store_dword v5, off, s[0:3], 0 offset:340
	buffer_store_dword v4, off, s[0:3], 0 offset:336
	;; [unrolled: 1-line block ×4, first 2 shown]
.LBB88_99:
	s_or_b64 exec, exec, s[6:7]
	s_waitcnt lgkmcnt(0)
	; wave barrier
	buffer_load_dword v2, v24, s[0:3], 0 offen
	buffer_load_dword v3, v24, s[0:3], 0 offen offset:4
	buffer_load_dword v4, v24, s[0:3], 0 offen offset:8
	;; [unrolled: 1-line block ×3, first 2 shown]
	v_cmp_gt_u32_e32 vcc, 22, v171
	s_waitcnt vmcnt(0)
	ds_write_b128 v6, v[2:5]
	s_waitcnt lgkmcnt(0)
	; wave barrier
	s_waitcnt lgkmcnt(0)
	s_and_saveexec_b64 s[6:7], vcc
	s_cbranch_execz .LBB88_103
; %bb.100:
	v_pk_mov_b32 v[2:3], 0, 0
	v_add_u32_e32 v8, -1, v171
	v_add_u32_e32 v9, 0x190, v84
	v_add_u32_e32 v10, 0, v84
	s_mov_b64 s[8:9], 0
	v_pk_mov_b32 v[4:5], v[2:3], v[2:3] op_sel:[0,1]
.LBB88_101:                             ; =>This Inner Loop Header: Depth=1
	buffer_load_dword v16, v10, s[0:3], 0 offen offset:8
	buffer_load_dword v17, v10, s[0:3], 0 offen offset:12
	buffer_load_dword v18, v10, s[0:3], 0 offen
	buffer_load_dword v19, v10, s[0:3], 0 offen offset:4
	ds_read_b128 v[12:15], v9
	v_add_u32_e32 v8, 1, v8
	v_cmp_lt_u32_e32 vcc, 20, v8
	v_add_u32_e32 v9, 16, v9
	v_add_u32_e32 v10, 16, v10
	s_or_b64 s[8:9], vcc, s[8:9]
	s_waitcnt vmcnt(2) lgkmcnt(0)
	v_mul_f64 v[20:21], v[14:15], v[16:17]
	v_mul_f64 v[16:17], v[12:13], v[16:17]
	s_waitcnt vmcnt(0)
	v_fma_f64 v[12:13], v[12:13], v[18:19], -v[20:21]
	v_fmac_f64_e32 v[16:17], v[14:15], v[18:19]
	v_add_f64 v[4:5], v[4:5], v[12:13]
	v_add_f64 v[2:3], v[2:3], v[16:17]
	s_andn2_b64 exec, exec, s[8:9]
	s_cbranch_execnz .LBB88_101
; %bb.102:
	s_or_b64 exec, exec, s[8:9]
	v_mov_b32_e32 v8, 0
	ds_read_b128 v[8:11], v8 offset:352
	s_waitcnt lgkmcnt(0)
	v_mul_f64 v[12:13], v[2:3], v[10:11]
	v_mul_f64 v[10:11], v[4:5], v[10:11]
	v_fma_f64 v[4:5], v[4:5], v[8:9], -v[12:13]
	v_fmac_f64_e32 v[10:11], v[2:3], v[8:9]
	buffer_store_dword v5, off, s[0:3], 0 offset:356
	buffer_store_dword v4, off, s[0:3], 0 offset:352
	;; [unrolled: 1-line block ×4, first 2 shown]
.LBB88_103:
	s_or_b64 exec, exec, s[6:7]
	s_waitcnt lgkmcnt(0)
	; wave barrier
	buffer_load_dword v2, v23, s[0:3], 0 offen
	buffer_load_dword v3, v23, s[0:3], 0 offen offset:4
	buffer_load_dword v4, v23, s[0:3], 0 offen offset:8
	;; [unrolled: 1-line block ×3, first 2 shown]
	v_cmp_gt_u32_e32 vcc, 23, v171
	s_waitcnt vmcnt(0)
	ds_write_b128 v6, v[2:5]
	s_waitcnt lgkmcnt(0)
	; wave barrier
	s_waitcnt lgkmcnt(0)
	s_and_saveexec_b64 s[6:7], vcc
	s_cbranch_execz .LBB88_107
; %bb.104:
	v_pk_mov_b32 v[2:3], 0, 0
	v_add_u32_e32 v8, -1, v171
	v_add_u32_e32 v9, 0x190, v84
	v_add_u32_e32 v10, 0, v84
	s_mov_b64 s[8:9], 0
	v_pk_mov_b32 v[4:5], v[2:3], v[2:3] op_sel:[0,1]
.LBB88_105:                             ; =>This Inner Loop Header: Depth=1
	buffer_load_dword v16, v10, s[0:3], 0 offen offset:8
	buffer_load_dword v17, v10, s[0:3], 0 offen offset:12
	buffer_load_dword v18, v10, s[0:3], 0 offen
	buffer_load_dword v19, v10, s[0:3], 0 offen offset:4
	ds_read_b128 v[12:15], v9
	v_add_u32_e32 v8, 1, v8
	v_cmp_lt_u32_e32 vcc, 21, v8
	v_add_u32_e32 v9, 16, v9
	v_add_u32_e32 v10, 16, v10
	s_or_b64 s[8:9], vcc, s[8:9]
	s_waitcnt vmcnt(2) lgkmcnt(0)
	v_mul_f64 v[20:21], v[14:15], v[16:17]
	v_mul_f64 v[16:17], v[12:13], v[16:17]
	s_waitcnt vmcnt(0)
	v_fma_f64 v[12:13], v[12:13], v[18:19], -v[20:21]
	v_fmac_f64_e32 v[16:17], v[14:15], v[18:19]
	v_add_f64 v[4:5], v[4:5], v[12:13]
	v_add_f64 v[2:3], v[2:3], v[16:17]
	s_andn2_b64 exec, exec, s[8:9]
	s_cbranch_execnz .LBB88_105
; %bb.106:
	s_or_b64 exec, exec, s[8:9]
	v_mov_b32_e32 v8, 0
	ds_read_b128 v[8:11], v8 offset:368
	s_waitcnt lgkmcnt(0)
	v_mul_f64 v[12:13], v[2:3], v[10:11]
	v_mul_f64 v[10:11], v[4:5], v[10:11]
	v_fma_f64 v[4:5], v[4:5], v[8:9], -v[12:13]
	v_fmac_f64_e32 v[10:11], v[2:3], v[8:9]
	buffer_store_dword v5, off, s[0:3], 0 offset:372
	buffer_store_dword v4, off, s[0:3], 0 offset:368
	;; [unrolled: 1-line block ×4, first 2 shown]
.LBB88_107:
	s_or_b64 exec, exec, s[6:7]
	s_waitcnt lgkmcnt(0)
	; wave barrier
	buffer_load_dword v2, v22, s[0:3], 0 offen
	buffer_load_dword v3, v22, s[0:3], 0 offen offset:4
	buffer_load_dword v4, v22, s[0:3], 0 offen offset:8
	;; [unrolled: 1-line block ×3, first 2 shown]
	v_cmp_ne_u32_e32 vcc, 24, v171
	s_waitcnt vmcnt(0)
	ds_write_b128 v6, v[2:5]
	s_waitcnt lgkmcnt(0)
	; wave barrier
	s_waitcnt lgkmcnt(0)
	s_and_saveexec_b64 s[6:7], vcc
	s_cbranch_execz .LBB88_111
; %bb.108:
	v_pk_mov_b32 v[2:3], 0, 0
	v_add_u32_e32 v6, 0x190, v84
	v_add_u32_e32 v8, 0, v84
	s_mov_b64 s[8:9], 0
	v_pk_mov_b32 v[4:5], v[2:3], v[2:3] op_sel:[0,1]
.LBB88_109:                             ; =>This Inner Loop Header: Depth=1
	buffer_load_dword v14, v8, s[0:3], 0 offen offset:8
	buffer_load_dword v15, v8, s[0:3], 0 offen offset:12
	buffer_load_dword v16, v8, s[0:3], 0 offen
	buffer_load_dword v17, v8, s[0:3], 0 offen offset:4
	ds_read_b128 v[10:13], v6
	v_add_u32_e32 v7, 1, v7
	v_cmp_lt_u32_e32 vcc, 22, v7
	v_add_u32_e32 v6, 16, v6
	v_add_u32_e32 v8, 16, v8
	s_or_b64 s[8:9], vcc, s[8:9]
	s_waitcnt vmcnt(2) lgkmcnt(0)
	v_mul_f64 v[18:19], v[12:13], v[14:15]
	v_mul_f64 v[14:15], v[10:11], v[14:15]
	s_waitcnt vmcnt(0)
	v_fma_f64 v[10:11], v[10:11], v[16:17], -v[18:19]
	v_fmac_f64_e32 v[14:15], v[12:13], v[16:17]
	v_add_f64 v[4:5], v[4:5], v[10:11]
	v_add_f64 v[2:3], v[2:3], v[14:15]
	s_andn2_b64 exec, exec, s[8:9]
	s_cbranch_execnz .LBB88_109
; %bb.110:
	s_or_b64 exec, exec, s[8:9]
	v_mov_b32_e32 v6, 0
	ds_read_b128 v[6:9], v6 offset:384
	s_waitcnt lgkmcnt(0)
	v_mul_f64 v[10:11], v[2:3], v[8:9]
	v_mul_f64 v[8:9], v[4:5], v[8:9]
	v_fma_f64 v[4:5], v[4:5], v[6:7], -v[10:11]
	v_fmac_f64_e32 v[8:9], v[2:3], v[6:7]
	buffer_store_dword v5, off, s[0:3], 0 offset:388
	buffer_store_dword v4, off, s[0:3], 0 offset:384
	;; [unrolled: 1-line block ×4, first 2 shown]
.LBB88_111:
	s_or_b64 exec, exec, s[6:7]
	s_mov_b64 s[8:9], -1
	s_waitcnt lgkmcnt(0)
	; wave barrier
.LBB88_112:
	s_and_b64 vcc, exec, s[8:9]
	s_cbranch_vccz .LBB88_114
; %bb.113:
	s_lshl_b64 s[6:7], s[10:11], 2
	s_add_u32 s6, s14, s6
	s_addc_u32 s7, s15, s7
	v_mov_b32_e32 v2, 0
	global_load_dword v2, v2, s[6:7]
	s_waitcnt vmcnt(0)
	v_cmp_ne_u32_e32 vcc, 0, v2
	s_cbranch_vccz .LBB88_115
.LBB88_114:
	s_endpgm
.LBB88_115:
	v_mov_b32_e32 v2, 0x190
	v_accvgpr_write_b32 a2, v24
	v_accvgpr_write_b32 a1, v23
	;; [unrolled: 1-line block ×3, first 2 shown]
	v_lshl_add_u32 v136, v171, 4, v2
	v_cmp_eq_u32_e32 vcc, 24, v171
	s_and_saveexec_b64 s[6:7], vcc
	s_cbranch_execz .LBB88_117
; %bb.116:
	v_accvgpr_read_b32 v5, a1
	buffer_load_dword v2, v5, s[0:3], 0 offen
	buffer_load_dword v3, v5, s[0:3], 0 offen offset:4
	buffer_load_dword v4, v5, s[0:3], 0 offen offset:8
	s_nop 0
	buffer_load_dword v5, v5, s[0:3], 0 offen offset:12
	v_mov_b32_e32 v6, 0
	buffer_store_dword v6, off, s[0:3], 0 offset:368
	buffer_store_dword v6, off, s[0:3], 0 offset:372
	buffer_store_dword v6, off, s[0:3], 0 offset:376
	buffer_store_dword v6, off, s[0:3], 0 offset:380
	s_waitcnt vmcnt(4)
	ds_write_b128 v136, v[2:5]
.LBB88_117:
	s_or_b64 exec, exec, s[6:7]
	s_waitcnt lgkmcnt(0)
	; wave barrier
	s_waitcnt lgkmcnt(0)
	buffer_load_dword v8, off, s[0:3], 0 offset:392
	buffer_load_dword v9, off, s[0:3], 0 offset:396
	;; [unrolled: 1-line block ×8, first 2 shown]
	v_mov_b32_e32 v2, 0
	ds_read_b128 v[4:7], v2 offset:784
	v_cmp_lt_u32_e32 vcc, 22, v171
	s_waitcnt vmcnt(6) lgkmcnt(0)
	v_mul_f64 v[16:17], v[4:5], v[8:9]
	v_mul_f64 v[8:9], v[6:7], v[8:9]
	s_waitcnt vmcnt(4)
	v_fma_f64 v[4:5], v[4:5], v[10:11], -v[8:9]
	v_fmac_f64_e32 v[16:17], v[6:7], v[10:11]
	v_add_f64 v[4:5], v[4:5], 0
	v_add_f64 v[6:7], v[16:17], 0
	s_waitcnt vmcnt(2)
	v_add_f64 v[4:5], v[12:13], -v[4:5]
	s_waitcnt vmcnt(0)
	v_add_f64 v[6:7], v[14:15], -v[6:7]
	buffer_store_dword v4, off, s[0:3], 0 offset:368
	buffer_store_dword v5, off, s[0:3], 0 offset:372
	;; [unrolled: 1-line block ×4, first 2 shown]
	s_and_saveexec_b64 s[6:7], vcc
	s_cbranch_execz .LBB88_119
; %bb.118:
	v_accvgpr_read_b32 v3, a2
	buffer_load_dword v4, v3, s[0:3], 0 offen
	buffer_load_dword v5, v3, s[0:3], 0 offen offset:4
	buffer_load_dword v6, v3, s[0:3], 0 offen offset:8
	;; [unrolled: 1-line block ×3, first 2 shown]
	s_nop 0
	buffer_store_dword v2, off, s[0:3], 0 offset:352
	buffer_store_dword v2, off, s[0:3], 0 offset:356
	;; [unrolled: 1-line block ×4, first 2 shown]
	s_waitcnt vmcnt(4)
	ds_write_b128 v136, v[4:7]
.LBB88_119:
	s_or_b64 exec, exec, s[6:7]
	s_waitcnt lgkmcnt(0)
	; wave barrier
	s_waitcnt lgkmcnt(0)
	buffer_load_dword v12, off, s[0:3], 0 offset:376
	buffer_load_dword v13, off, s[0:3], 0 offset:380
	;; [unrolled: 1-line block ×12, first 2 shown]
	ds_read_b128 v[4:7], v2 offset:768
	ds_read_b128 v[8:11], v2 offset:784
	v_cmp_lt_u32_e32 vcc, 21, v171
	s_waitcnt vmcnt(10) lgkmcnt(1)
	v_mul_f64 v[2:3], v[4:5], v[12:13]
	v_mul_f64 v[12:13], v[6:7], v[12:13]
	s_waitcnt vmcnt(8) lgkmcnt(0)
	v_mul_f64 v[24:25], v[8:9], v[14:15]
	v_mul_f64 v[14:15], v[10:11], v[14:15]
	s_waitcnt vmcnt(6)
	v_fma_f64 v[4:5], v[4:5], v[16:17], -v[12:13]
	v_fmac_f64_e32 v[2:3], v[6:7], v[16:17]
	s_waitcnt vmcnt(4)
	v_fma_f64 v[6:7], v[8:9], v[18:19], -v[14:15]
	v_add_f64 v[4:5], v[4:5], 0
	v_fmac_f64_e32 v[24:25], v[10:11], v[18:19]
	v_add_f64 v[2:3], v[2:3], 0
	v_add_f64 v[4:5], v[4:5], v[6:7]
	;; [unrolled: 1-line block ×3, first 2 shown]
	s_waitcnt vmcnt(2)
	v_add_f64 v[4:5], v[20:21], -v[4:5]
	s_waitcnt vmcnt(0)
	v_add_f64 v[2:3], v[22:23], -v[2:3]
	buffer_store_dword v4, off, s[0:3], 0 offset:352
	buffer_store_dword v5, off, s[0:3], 0 offset:356
	;; [unrolled: 1-line block ×4, first 2 shown]
	s_and_saveexec_b64 s[6:7], vcc
	s_cbranch_execz .LBB88_121
; %bb.120:
	v_accvgpr_read_b32 v5, a3
	buffer_load_dword v2, v5, s[0:3], 0 offen
	buffer_load_dword v3, v5, s[0:3], 0 offen offset:4
	buffer_load_dword v4, v5, s[0:3], 0 offen offset:8
	s_nop 0
	buffer_load_dword v5, v5, s[0:3], 0 offen offset:12
	v_mov_b32_e32 v6, 0
	buffer_store_dword v6, off, s[0:3], 0 offset:336
	buffer_store_dword v6, off, s[0:3], 0 offset:340
	;; [unrolled: 1-line block ×4, first 2 shown]
	s_waitcnt vmcnt(4)
	ds_write_b128 v136, v[2:5]
.LBB88_121:
	s_or_b64 exec, exec, s[6:7]
	s_waitcnt lgkmcnt(0)
	; wave barrier
	s_waitcnt lgkmcnt(0)
	buffer_load_dword v16, off, s[0:3], 0 offset:360
	buffer_load_dword v17, off, s[0:3], 0 offset:364
	;; [unrolled: 1-line block ×16, first 2 shown]
	v_mov_b32_e32 v2, 0
	ds_read_b128 v[4:7], v2 offset:752
	ds_read_b128 v[8:11], v2 offset:768
	;; [unrolled: 1-line block ×3, first 2 shown]
	v_cmp_lt_u32_e32 vcc, 20, v171
	s_waitcnt vmcnt(14) lgkmcnt(2)
	v_mul_f64 v[32:33], v[4:5], v[16:17]
	v_mul_f64 v[16:17], v[6:7], v[16:17]
	s_waitcnt vmcnt(12) lgkmcnt(1)
	v_mul_f64 v[84:85], v[8:9], v[18:19]
	v_mul_f64 v[18:19], v[10:11], v[18:19]
	;; [unrolled: 3-line block ×3, first 2 shown]
	s_waitcnt vmcnt(8)
	v_fma_f64 v[4:5], v[4:5], v[22:23], -v[16:17]
	v_fmac_f64_e32 v[32:33], v[6:7], v[22:23]
	s_waitcnt vmcnt(6)
	v_fma_f64 v[6:7], v[8:9], v[24:25], -v[18:19]
	v_add_f64 v[4:5], v[4:5], 0
	v_fmac_f64_e32 v[84:85], v[10:11], v[24:25]
	s_waitcnt vmcnt(4)
	v_fma_f64 v[8:9], v[12:13], v[26:27], -v[20:21]
	v_add_f64 v[10:11], v[32:33], 0
	v_add_f64 v[4:5], v[4:5], v[6:7]
	v_fmac_f64_e32 v[86:87], v[14:15], v[26:27]
	v_add_f64 v[10:11], v[10:11], v[84:85]
	v_add_f64 v[4:5], v[4:5], v[8:9]
	;; [unrolled: 1-line block ×3, first 2 shown]
	s_waitcnt vmcnt(2)
	v_add_f64 v[4:5], v[28:29], -v[4:5]
	s_waitcnt vmcnt(0)
	v_add_f64 v[6:7], v[30:31], -v[6:7]
	buffer_store_dword v4, off, s[0:3], 0 offset:336
	buffer_store_dword v5, off, s[0:3], 0 offset:340
	;; [unrolled: 1-line block ×4, first 2 shown]
	s_and_saveexec_b64 s[6:7], vcc
	s_cbranch_execz .LBB88_123
; %bb.122:
	v_accvgpr_read_b32 v3, a4
	buffer_load_dword v4, v3, s[0:3], 0 offen
	buffer_load_dword v5, v3, s[0:3], 0 offen offset:4
	buffer_load_dword v6, v3, s[0:3], 0 offen offset:8
	;; [unrolled: 1-line block ×3, first 2 shown]
	s_nop 0
	buffer_store_dword v2, off, s[0:3], 0 offset:320
	buffer_store_dword v2, off, s[0:3], 0 offset:324
	;; [unrolled: 1-line block ×4, first 2 shown]
	s_waitcnt vmcnt(4)
	ds_write_b128 v136, v[4:7]
.LBB88_123:
	s_or_b64 exec, exec, s[6:7]
	s_waitcnt lgkmcnt(0)
	; wave barrier
	s_waitcnt lgkmcnt(0)
	buffer_load_dword v20, off, s[0:3], 0 offset:344
	buffer_load_dword v21, off, s[0:3], 0 offset:348
	;; [unrolled: 1-line block ×20, first 2 shown]
	ds_read_b128 v[4:7], v2 offset:736
	ds_read_b128 v[8:11], v2 offset:752
	ds_read_b128 v[12:15], v2 offset:768
	ds_read_b128 v[16:19], v2 offset:784
	v_cmp_lt_u32_e32 vcc, 19, v171
	s_waitcnt vmcnt(18) lgkmcnt(3)
	v_mul_f64 v[2:3], v[4:5], v[20:21]
	v_mul_f64 v[20:21], v[6:7], v[20:21]
	s_waitcnt vmcnt(16) lgkmcnt(2)
	v_mul_f64 v[90:91], v[8:9], v[22:23]
	v_mul_f64 v[22:23], v[10:11], v[22:23]
	s_waitcnt vmcnt(14) lgkmcnt(1)
	v_mul_f64 v[92:93], v[12:13], v[24:25]
	v_mul_f64 v[24:25], v[14:15], v[24:25]
	s_waitcnt vmcnt(12) lgkmcnt(0)
	v_mul_f64 v[94:95], v[16:17], v[26:27]
	v_mul_f64 v[26:27], v[18:19], v[26:27]
	s_waitcnt vmcnt(10)
	v_fma_f64 v[4:5], v[4:5], v[28:29], -v[20:21]
	v_fmac_f64_e32 v[2:3], v[6:7], v[28:29]
	s_waitcnt vmcnt(8)
	v_fma_f64 v[6:7], v[8:9], v[30:31], -v[22:23]
	v_add_f64 v[4:5], v[4:5], 0
	v_fmac_f64_e32 v[90:91], v[10:11], v[30:31]
	s_waitcnt vmcnt(6)
	v_fma_f64 v[8:9], v[12:13], v[32:33], -v[24:25]
	v_add_f64 v[2:3], v[2:3], 0
	v_add_f64 v[4:5], v[4:5], v[6:7]
	v_fmac_f64_e32 v[92:93], v[14:15], v[32:33]
	s_waitcnt vmcnt(4)
	v_fma_f64 v[10:11], v[16:17], v[84:85], -v[26:27]
	v_add_f64 v[2:3], v[2:3], v[90:91]
	v_add_f64 v[4:5], v[4:5], v[8:9]
	v_fmac_f64_e32 v[94:95], v[18:19], v[84:85]
	v_add_f64 v[2:3], v[2:3], v[92:93]
	v_add_f64 v[4:5], v[4:5], v[10:11]
	;; [unrolled: 1-line block ×3, first 2 shown]
	s_waitcnt vmcnt(2)
	v_add_f64 v[4:5], v[86:87], -v[4:5]
	s_waitcnt vmcnt(0)
	v_add_f64 v[2:3], v[88:89], -v[2:3]
	buffer_store_dword v4, off, s[0:3], 0 offset:320
	buffer_store_dword v5, off, s[0:3], 0 offset:324
	;; [unrolled: 1-line block ×4, first 2 shown]
	s_and_saveexec_b64 s[6:7], vcc
	s_cbranch_execz .LBB88_125
; %bb.124:
	v_accvgpr_read_b32 v5, a5
	buffer_load_dword v2, v5, s[0:3], 0 offen
	buffer_load_dword v3, v5, s[0:3], 0 offen offset:4
	buffer_load_dword v4, v5, s[0:3], 0 offen offset:8
	s_nop 0
	buffer_load_dword v5, v5, s[0:3], 0 offen offset:12
	v_mov_b32_e32 v6, 0
	buffer_store_dword v6, off, s[0:3], 0 offset:304
	buffer_store_dword v6, off, s[0:3], 0 offset:308
	;; [unrolled: 1-line block ×4, first 2 shown]
	s_waitcnt vmcnt(4)
	ds_write_b128 v136, v[2:5]
.LBB88_125:
	s_or_b64 exec, exec, s[6:7]
	v_mov_b32_e32 v2, 0
	s_waitcnt lgkmcnt(0)
	; wave barrier
	s_waitcnt lgkmcnt(0)
	ds_read_b128 v[4:7], v2 offset:720
	ds_read_b128 v[8:11], v2 offset:736
	;; [unrolled: 1-line block ×4, first 2 shown]
	buffer_load_dword v24, off, s[0:3], 0 offset:304
	buffer_load_dword v25, off, s[0:3], 0 offset:308
	;; [unrolled: 1-line block ×20, first 2 shown]
	v_cmp_lt_u32_e32 vcc, 18, v171
	s_waitcnt vmcnt(12) lgkmcnt(3)
	v_mul_f64 v[20:21], v[4:5], v[30:31]
	v_fmac_f64_e32 v[20:21], v[6:7], v[28:29]
	v_add_f64 v[20:21], v[20:21], 0
	v_mul_f64 v[6:7], v[6:7], v[30:31]
	s_waitcnt vmcnt(8) lgkmcnt(2)
	v_mul_f64 v[22:23], v[8:9], v[84:85]
	v_fmac_f64_e32 v[22:23], v[10:11], v[32:33]
	v_add_f64 v[20:21], v[20:21], v[22:23]
	v_fma_f64 v[4:5], v[4:5], v[28:29], -v[6:7]
	s_waitcnt vmcnt(4) lgkmcnt(1)
	v_mul_f64 v[22:23], v[12:13], v[88:89]
	v_fmac_f64_e32 v[22:23], v[14:15], v[86:87]
	v_add_f64 v[20:21], v[20:21], v[22:23]
	s_waitcnt vmcnt(0) lgkmcnt(0)
	v_mul_f64 v[22:23], v[16:17], v[92:93]
	v_fmac_f64_e32 v[22:23], v[18:19], v[90:91]
	v_add_f64 v[94:95], v[20:21], v[22:23]
	ds_read_b128 v[20:23], v2 offset:784
	buffer_load_dword v97, off, s[0:3], 0 offset:388
	buffer_load_dword v96, off, s[0:3], 0 offset:384
	;; [unrolled: 1-line block ×4, first 2 shown]
	v_mul_f64 v[6:7], v[10:11], v[84:85]
	v_add_f64 v[4:5], v[4:5], 0
	v_fma_f64 v[6:7], v[8:9], v[32:33], -v[6:7]
	v_add_f64 v[4:5], v[4:5], v[6:7]
	v_mul_f64 v[6:7], v[14:15], v[88:89]
	v_fma_f64 v[6:7], v[12:13], v[86:87], -v[6:7]
	v_add_f64 v[4:5], v[4:5], v[6:7]
	v_mul_f64 v[6:7], v[18:19], v[92:93]
	v_fma_f64 v[6:7], v[16:17], v[90:91], -v[6:7]
	v_add_f64 v[4:5], v[4:5], v[6:7]
	s_waitcnt vmcnt(0) lgkmcnt(0)
	v_mul_f64 v[6:7], v[22:23], v[98:99]
	v_mul_f64 v[100:101], v[20:21], v[98:99]
	v_fma_f64 v[6:7], v[20:21], v[96:97], -v[6:7]
	v_fmac_f64_e32 v[100:101], v[22:23], v[96:97]
	v_add_f64 v[4:5], v[4:5], v[6:7]
	v_add_f64 v[94:95], v[94:95], v[100:101]
	v_add_f64 v[4:5], v[24:25], -v[4:5]
	v_add_f64 v[6:7], v[26:27], -v[94:95]
	buffer_store_dword v5, off, s[0:3], 0 offset:308
	buffer_store_dword v4, off, s[0:3], 0 offset:304
	;; [unrolled: 1-line block ×4, first 2 shown]
	s_and_saveexec_b64 s[6:7], vcc
	s_cbranch_execz .LBB88_127
; %bb.126:
	v_accvgpr_read_b32 v3, a6
	buffer_load_dword v4, v3, s[0:3], 0 offen
	buffer_load_dword v5, v3, s[0:3], 0 offen offset:4
	buffer_load_dword v6, v3, s[0:3], 0 offen offset:8
	;; [unrolled: 1-line block ×3, first 2 shown]
	s_nop 0
	buffer_store_dword v2, off, s[0:3], 0 offset:288
	buffer_store_dword v2, off, s[0:3], 0 offset:292
	;; [unrolled: 1-line block ×4, first 2 shown]
	s_waitcnt vmcnt(4)
	ds_write_b128 v136, v[4:7]
.LBB88_127:
	s_or_b64 exec, exec, s[6:7]
	s_waitcnt lgkmcnt(0)
	; wave barrier
	s_waitcnt lgkmcnt(0)
	buffer_load_dword v28, off, s[0:3], 0 offset:312
	buffer_load_dword v29, off, s[0:3], 0 offset:316
	;; [unrolled: 1-line block ×28, first 2 shown]
	ds_read_b128 v[4:7], v2 offset:704
	ds_read_b128 v[8:11], v2 offset:720
	;; [unrolled: 1-line block ×6, first 2 shown]
	v_cmp_lt_u32_e32 vcc, 17, v171
	s_waitcnt vmcnt(26) lgkmcnt(5)
	v_mul_f64 v[2:3], v[4:5], v[28:29]
	v_mul_f64 v[28:29], v[6:7], v[28:29]
	s_waitcnt vmcnt(24) lgkmcnt(4)
	v_mul_f64 v[106:107], v[8:9], v[30:31]
	v_mul_f64 v[30:31], v[10:11], v[30:31]
	;; [unrolled: 3-line block ×4, first 2 shown]
	s_waitcnt vmcnt(17)
	v_mul_f64 v[110:111], v[16:17], v[88:89]
	v_mul_f64 v[88:89], v[18:19], v[88:89]
	s_waitcnt vmcnt(15) lgkmcnt(0)
	v_mul_f64 v[114:115], v[24:25], v[90:91]
	v_mul_f64 v[90:91], v[26:27], v[90:91]
	s_waitcnt vmcnt(14)
	v_fmac_f64_e32 v[112:113], v[22:23], v[86:87]
	s_waitcnt vmcnt(12)
	v_fma_f64 v[4:5], v[4:5], v[92:93], -v[28:29]
	v_fmac_f64_e32 v[2:3], v[6:7], v[92:93]
	s_waitcnt vmcnt(10)
	v_fma_f64 v[6:7], v[8:9], v[94:95], -v[30:31]
	v_add_f64 v[4:5], v[4:5], 0
	v_fmac_f64_e32 v[106:107], v[10:11], v[94:95]
	s_waitcnt vmcnt(8)
	v_fma_f64 v[8:9], v[12:13], v[96:97], -v[32:33]
	v_add_f64 v[2:3], v[2:3], 0
	v_add_f64 v[4:5], v[4:5], v[6:7]
	v_fmac_f64_e32 v[108:109], v[14:15], v[96:97]
	s_waitcnt vmcnt(6)
	v_fma_f64 v[10:11], v[16:17], v[98:99], -v[88:89]
	v_add_f64 v[2:3], v[2:3], v[106:107]
	v_add_f64 v[4:5], v[4:5], v[8:9]
	v_fmac_f64_e32 v[110:111], v[18:19], v[98:99]
	v_fma_f64 v[12:13], v[20:21], v[86:87], -v[84:85]
	v_add_f64 v[2:3], v[2:3], v[108:109]
	v_add_f64 v[4:5], v[4:5], v[10:11]
	s_waitcnt vmcnt(4)
	v_fma_f64 v[14:15], v[24:25], v[100:101], -v[90:91]
	v_add_f64 v[2:3], v[2:3], v[110:111]
	v_add_f64 v[4:5], v[4:5], v[12:13]
	v_fmac_f64_e32 v[114:115], v[26:27], v[100:101]
	v_add_f64 v[2:3], v[2:3], v[112:113]
	v_add_f64 v[4:5], v[4:5], v[14:15]
	;; [unrolled: 1-line block ×3, first 2 shown]
	s_waitcnt vmcnt(2)
	v_add_f64 v[4:5], v[102:103], -v[4:5]
	s_waitcnt vmcnt(0)
	v_add_f64 v[2:3], v[104:105], -v[2:3]
	buffer_store_dword v5, off, s[0:3], 0 offset:292
	buffer_store_dword v4, off, s[0:3], 0 offset:288
	;; [unrolled: 1-line block ×4, first 2 shown]
	s_and_saveexec_b64 s[6:7], vcc
	s_cbranch_execz .LBB88_129
; %bb.128:
	v_accvgpr_read_b32 v5, a7
	buffer_load_dword v2, v5, s[0:3], 0 offen
	buffer_load_dword v3, v5, s[0:3], 0 offen offset:4
	buffer_load_dword v4, v5, s[0:3], 0 offen offset:8
	s_nop 0
	buffer_load_dword v5, v5, s[0:3], 0 offen offset:12
	v_mov_b32_e32 v6, 0
	buffer_store_dword v6, off, s[0:3], 0 offset:272
	buffer_store_dword v6, off, s[0:3], 0 offset:276
	;; [unrolled: 1-line block ×4, first 2 shown]
	s_waitcnt vmcnt(4)
	ds_write_b128 v136, v[2:5]
.LBB88_129:
	s_or_b64 exec, exec, s[6:7]
	s_waitcnt lgkmcnt(0)
	; wave barrier
	s_waitcnt lgkmcnt(0)
	buffer_load_dword v32, off, s[0:3], 0 offset:296
	buffer_load_dword v33, off, s[0:3], 0 offset:300
	;; [unrolled: 1-line block ×32, first 2 shown]
	v_mov_b32_e32 v2, 0
	ds_read_b128 v[4:7], v2 offset:688
	ds_read_b128 v[8:11], v2 offset:704
	;; [unrolled: 1-line block ×7, first 2 shown]
	v_cmp_lt_u32_e32 vcc, 16, v171
	s_waitcnt vmcnt(30) lgkmcnt(6)
	v_mul_f64 v[114:115], v[4:5], v[32:33]
	v_mul_f64 v[32:33], v[6:7], v[32:33]
	s_waitcnt vmcnt(28) lgkmcnt(5)
	v_mul_f64 v[116:117], v[8:9], v[84:85]
	v_mul_f64 v[84:85], v[10:11], v[84:85]
	;; [unrolled: 3-line block ×4, first 2 shown]
	s_waitcnt vmcnt(21)
	v_mul_f64 v[120:121], v[16:17], v[92:93]
	v_mul_f64 v[92:93], v[18:19], v[92:93]
	s_waitcnt vmcnt(17) lgkmcnt(1)
	v_mul_f64 v[124:125], v[24:25], v[98:99]
	v_mul_f64 v[98:99], v[26:27], v[98:99]
	s_waitcnt vmcnt(16) lgkmcnt(0)
	v_mul_f64 v[126:127], v[28:29], v[94:95]
	v_mul_f64 v[94:95], v[30:31], v[94:95]
	s_waitcnt vmcnt(13)
	v_fma_f64 v[4:5], v[4:5], v[100:101], -v[32:33]
	v_fmac_f64_e32 v[114:115], v[6:7], v[100:101]
	s_waitcnt vmcnt(11)
	v_fma_f64 v[6:7], v[8:9], v[102:103], -v[84:85]
	v_add_f64 v[4:5], v[4:5], 0
	v_fmac_f64_e32 v[116:117], v[10:11], v[102:103]
	s_waitcnt vmcnt(9)
	v_fma_f64 v[8:9], v[12:13], v[104:105], -v[86:87]
	s_waitcnt vmcnt(7)
	v_fmac_f64_e32 v[120:121], v[18:19], v[106:107]
	v_add_f64 v[18:19], v[114:115], 0
	v_add_f64 v[4:5], v[4:5], v[6:7]
	v_fmac_f64_e32 v[118:119], v[14:15], v[104:105]
	v_fma_f64 v[10:11], v[16:17], v[106:107], -v[92:93]
	v_add_f64 v[18:19], v[18:19], v[116:117]
	v_add_f64 v[4:5], v[4:5], v[8:9]
	v_fma_f64 v[12:13], v[20:21], v[90:91], -v[88:89]
	v_add_f64 v[6:7], v[18:19], v[118:119]
	v_add_f64 v[4:5], v[4:5], v[10:11]
	v_fmac_f64_e32 v[122:123], v[22:23], v[90:91]
	s_waitcnt vmcnt(5)
	v_fma_f64 v[14:15], v[24:25], v[108:109], -v[98:99]
	v_add_f64 v[6:7], v[6:7], v[120:121]
	v_add_f64 v[4:5], v[4:5], v[12:13]
	v_fmac_f64_e32 v[124:125], v[26:27], v[108:109]
	s_waitcnt vmcnt(4)
	v_fma_f64 v[16:17], v[28:29], v[96:97], -v[94:95]
	v_add_f64 v[6:7], v[6:7], v[122:123]
	v_add_f64 v[4:5], v[4:5], v[14:15]
	v_fmac_f64_e32 v[126:127], v[30:31], v[96:97]
	v_add_f64 v[6:7], v[6:7], v[124:125]
	v_add_f64 v[4:5], v[4:5], v[16:17]
	;; [unrolled: 1-line block ×3, first 2 shown]
	s_waitcnt vmcnt(2)
	v_add_f64 v[4:5], v[110:111], -v[4:5]
	s_waitcnt vmcnt(0)
	v_add_f64 v[6:7], v[112:113], -v[6:7]
	buffer_store_dword v5, off, s[0:3], 0 offset:276
	buffer_store_dword v4, off, s[0:3], 0 offset:272
	;; [unrolled: 1-line block ×4, first 2 shown]
	s_and_saveexec_b64 s[6:7], vcc
	s_cbranch_execz .LBB88_131
; %bb.130:
	v_accvgpr_read_b32 v3, a8
	buffer_load_dword v4, v3, s[0:3], 0 offen
	buffer_load_dword v5, v3, s[0:3], 0 offen offset:4
	buffer_load_dword v6, v3, s[0:3], 0 offen offset:8
	buffer_load_dword v7, v3, s[0:3], 0 offen offset:12
	s_nop 0
	buffer_store_dword v2, off, s[0:3], 0 offset:256
	buffer_store_dword v2, off, s[0:3], 0 offset:260
	;; [unrolled: 1-line block ×4, first 2 shown]
	s_waitcnt vmcnt(4)
	ds_write_b128 v136, v[4:7]
.LBB88_131:
	s_or_b64 exec, exec, s[6:7]
	s_waitcnt lgkmcnt(0)
	; wave barrier
	s_waitcnt lgkmcnt(0)
	buffer_load_dword v32, off, s[0:3], 0 offset:280
	buffer_load_dword v33, off, s[0:3], 0 offset:284
	buffer_load_dword v88, off, s[0:3], 0 offset:296
	buffer_load_dword v89, off, s[0:3], 0 offset:300
	buffer_load_dword v90, off, s[0:3], 0 offset:312
	buffer_load_dword v91, off, s[0:3], 0 offset:316
	buffer_load_dword v93, off, s[0:3], 0 offset:348
	buffer_load_dword v92, off, s[0:3], 0 offset:344
	buffer_load_dword v94, off, s[0:3], 0 offset:336
	buffer_load_dword v97, off, s[0:3], 0 offset:332
	buffer_load_dword v96, off, s[0:3], 0 offset:328
	buffer_load_dword v99, off, s[0:3], 0 offset:380
	buffer_load_dword v98, off, s[0:3], 0 offset:376
	buffer_load_dword v100, off, s[0:3], 0 offset:368
	buffer_load_dword v103, off, s[0:3], 0 offset:364
	buffer_load_dword v102, off, s[0:3], 0 offset:360
	buffer_load_dword v105, off, s[0:3], 0 offset:396
	buffer_load_dword v104, off, s[0:3], 0 offset:392
	buffer_load_dword v95, off, s[0:3], 0 offset:340
	buffer_load_dword v101, off, s[0:3], 0 offset:372
	buffer_load_dword v106, off, s[0:3], 0 offset:272
	buffer_load_dword v107, off, s[0:3], 0 offset:276
	buffer_load_dword v108, off, s[0:3], 0 offset:288
	buffer_load_dword v109, off, s[0:3], 0 offset:292
	buffer_load_dword v110, off, s[0:3], 0 offset:304
	buffer_load_dword v111, off, s[0:3], 0 offset:308
	buffer_load_dword v113, off, s[0:3], 0 offset:324
	buffer_load_dword v112, off, s[0:3], 0 offset:320
	buffer_load_dword v115, off, s[0:3], 0 offset:356
	buffer_load_dword v114, off, s[0:3], 0 offset:352
	buffer_load_dword v117, off, s[0:3], 0 offset:388
	buffer_load_dword v116, off, s[0:3], 0 offset:384
	buffer_load_dword v118, off, s[0:3], 0 offset:256
	buffer_load_dword v119, off, s[0:3], 0 offset:260
	buffer_load_dword v120, off, s[0:3], 0 offset:264
	buffer_load_dword v121, off, s[0:3], 0 offset:268
	ds_read_b128 v[4:7], v2 offset:672
	ds_read_b128 v[8:11], v2 offset:688
	;; [unrolled: 1-line block ×8, first 2 shown]
	v_cmp_lt_u32_e32 vcc, 15, v171
	s_waitcnt vmcnt(34) lgkmcnt(7)
	v_mul_f64 v[2:3], v[4:5], v[32:33]
	v_mul_f64 v[32:33], v[6:7], v[32:33]
	s_waitcnt vmcnt(32) lgkmcnt(6)
	v_mul_f64 v[122:123], v[8:9], v[88:89]
	v_mul_f64 v[88:89], v[10:11], v[88:89]
	;; [unrolled: 3-line block ×4, first 2 shown]
	s_waitcnt vmcnt(25)
	v_mul_f64 v[126:127], v[16:17], v[96:97]
	v_mul_f64 v[96:97], v[18:19], v[96:97]
	s_waitcnt vmcnt(23) lgkmcnt(1)
	v_mul_f64 v[132:133], v[28:29], v[98:99]
	v_mul_f64 v[98:99], v[30:31], v[98:99]
	s_waitcnt vmcnt(20)
	v_mul_f64 v[130:131], v[24:25], v[102:103]
	v_mul_f64 v[102:103], v[26:27], v[102:103]
	s_waitcnt vmcnt(18) lgkmcnt(0)
	v_mul_f64 v[134:135], v[84:85], v[104:105]
	s_waitcnt vmcnt(17)
	v_fmac_f64_e32 v[128:129], v[22:23], v[94:95]
	s_waitcnt vmcnt(16)
	v_fmac_f64_e32 v[132:133], v[30:31], v[100:101]
	s_waitcnt vmcnt(14)
	v_fma_f64 v[4:5], v[4:5], v[106:107], -v[32:33]
	v_fmac_f64_e32 v[2:3], v[6:7], v[106:107]
	s_waitcnt vmcnt(12)
	v_fma_f64 v[6:7], v[8:9], v[108:109], -v[88:89]
	v_add_f64 v[4:5], v[4:5], 0
	v_fmac_f64_e32 v[122:123], v[10:11], v[108:109]
	s_waitcnt vmcnt(10)
	v_fma_f64 v[8:9], v[12:13], v[110:111], -v[90:91]
	v_add_f64 v[2:3], v[2:3], 0
	v_add_f64 v[4:5], v[4:5], v[6:7]
	v_fmac_f64_e32 v[124:125], v[14:15], v[110:111]
	s_waitcnt vmcnt(8)
	v_fma_f64 v[10:11], v[16:17], v[112:113], -v[96:97]
	v_add_f64 v[2:3], v[2:3], v[122:123]
	v_add_f64 v[4:5], v[4:5], v[8:9]
	v_fmac_f64_e32 v[126:127], v[18:19], v[112:113]
	v_fma_f64 v[12:13], v[20:21], v[94:95], -v[92:93]
	v_add_f64 v[2:3], v[2:3], v[124:125]
	v_add_f64 v[4:5], v[4:5], v[10:11]
	s_waitcnt vmcnt(6)
	v_fma_f64 v[14:15], v[24:25], v[114:115], -v[102:103]
	v_add_f64 v[2:3], v[2:3], v[126:127]
	v_add_f64 v[4:5], v[4:5], v[12:13]
	v_fmac_f64_e32 v[130:131], v[26:27], v[114:115]
	v_fma_f64 v[16:17], v[28:29], v[100:101], -v[98:99]
	v_add_f64 v[2:3], v[2:3], v[128:129]
	v_add_f64 v[4:5], v[4:5], v[14:15]
	v_mul_f64 v[6:7], v[86:87], v[104:105]
	v_add_f64 v[2:3], v[2:3], v[130:131]
	v_add_f64 v[4:5], v[4:5], v[16:17]
	s_waitcnt vmcnt(4)
	v_fma_f64 v[6:7], v[84:85], v[116:117], -v[6:7]
	v_fmac_f64_e32 v[134:135], v[86:87], v[116:117]
	v_add_f64 v[2:3], v[2:3], v[132:133]
	v_add_f64 v[4:5], v[4:5], v[6:7]
	v_add_f64 v[2:3], v[2:3], v[134:135]
	s_waitcnt vmcnt(2)
	v_add_f64 v[4:5], v[118:119], -v[4:5]
	s_waitcnt vmcnt(0)
	v_add_f64 v[2:3], v[120:121], -v[2:3]
	buffer_store_dword v5, off, s[0:3], 0 offset:260
	buffer_store_dword v4, off, s[0:3], 0 offset:256
	;; [unrolled: 1-line block ×4, first 2 shown]
	s_and_saveexec_b64 s[6:7], vcc
	s_cbranch_execz .LBB88_133
; %bb.132:
	v_accvgpr_read_b32 v5, a12
	buffer_load_dword v2, v5, s[0:3], 0 offen
	buffer_load_dword v3, v5, s[0:3], 0 offen offset:4
	buffer_load_dword v4, v5, s[0:3], 0 offen offset:8
	s_nop 0
	buffer_load_dword v5, v5, s[0:3], 0 offen offset:12
	v_mov_b32_e32 v6, 0
	buffer_store_dword v6, off, s[0:3], 0 offset:240
	buffer_store_dword v6, off, s[0:3], 0 offset:244
	;; [unrolled: 1-line block ×4, first 2 shown]
	s_waitcnt vmcnt(4)
	ds_write_b128 v136, v[2:5]
.LBB88_133:
	s_or_b64 exec, exec, s[6:7]
	v_mov_b32_e32 v94, 0
	s_waitcnt lgkmcnt(0)
	; wave barrier
	s_waitcnt lgkmcnt(0)
	ds_read_b128 v[14:17], v94 offset:656
	ds_read_b128 v[10:13], v94 offset:672
	;; [unrolled: 1-line block ×4, first 2 shown]
	buffer_load_dword v24, off, s[0:3], 0 offset:240
	buffer_load_dword v25, off, s[0:3], 0 offset:244
	;; [unrolled: 1-line block ×20, first 2 shown]
	v_cmp_lt_u32_e32 vcc, 14, v171
	s_waitcnt vmcnt(12) lgkmcnt(3)
	v_mul_f64 v[18:19], v[14:15], v[86:87]
	v_fmac_f64_e32 v[18:19], v[16:17], v[26:27]
	v_add_f64 v[18:19], v[18:19], 0
	v_mul_f64 v[16:17], v[16:17], v[86:87]
	s_waitcnt vmcnt(8) lgkmcnt(2)
	v_mul_f64 v[20:21], v[10:11], v[88:89]
	v_fmac_f64_e32 v[20:21], v[12:13], v[32:33]
	v_add_f64 v[18:19], v[18:19], v[20:21]
	v_fma_f64 v[14:15], v[14:15], v[26:27], -v[16:17]
	s_waitcnt vmcnt(4) lgkmcnt(1)
	v_mul_f64 v[20:21], v[6:7], v[90:91]
	v_fmac_f64_e32 v[20:21], v[8:9], v[84:85]
	v_add_f64 v[18:19], v[18:19], v[20:21]
	s_waitcnt vmcnt(0) lgkmcnt(0)
	v_mul_f64 v[20:21], v[2:3], v[92:93]
	v_fmac_f64_e32 v[20:21], v[4:5], v[30:31]
	v_add_f64 v[96:97], v[18:19], v[20:21]
	ds_read_b128 v[18:21], v94 offset:720
	buffer_load_dword v29, off, s[0:3], 0 offset:324
	buffer_load_dword v28, off, s[0:3], 0 offset:320
	;; [unrolled: 1-line block ×4, first 2 shown]
	v_mul_f64 v[12:13], v[12:13], v[88:89]
	v_add_f64 v[14:15], v[14:15], 0
	v_fma_f64 v[10:11], v[10:11], v[32:33], -v[12:13]
	v_mul_f64 v[8:9], v[8:9], v[90:91]
	v_add_f64 v[10:11], v[14:15], v[10:11]
	v_fma_f64 v[6:7], v[6:7], v[84:85], -v[8:9]
	;; [unrolled: 3-line block ×3, first 2 shown]
	v_add_f64 v[2:3], v[6:7], v[2:3]
	s_waitcnt vmcnt(0) lgkmcnt(0)
	v_mul_f64 v[98:99], v[18:19], v[112:113]
	v_fmac_f64_e32 v[98:99], v[20:21], v[28:29]
	v_add_f64 v[100:101], v[96:97], v[98:99]
	ds_read_b128 v[96:99], v94 offset:736
	buffer_load_dword v115, off, s[0:3], 0 offset:340
	buffer_load_dword v114, off, s[0:3], 0 offset:336
	buffer_load_dword v117, off, s[0:3], 0 offset:348
	buffer_load_dword v116, off, s[0:3], 0 offset:344
	v_mul_f64 v[4:5], v[20:21], v[112:113]
	v_fma_f64 v[4:5], v[18:19], v[28:29], -v[4:5]
	v_add_f64 v[2:3], v[2:3], v[4:5]
	s_waitcnt vmcnt(0) lgkmcnt(0)
	v_mul_f64 v[102:103], v[96:97], v[116:117]
	v_fmac_f64_e32 v[102:103], v[98:99], v[114:115]
	v_add_f64 v[104:105], v[100:101], v[102:103]
	ds_read_b128 v[100:103], v94 offset:752
	buffer_load_dword v119, off, s[0:3], 0 offset:356
	buffer_load_dword v118, off, s[0:3], 0 offset:352
	buffer_load_dword v121, off, s[0:3], 0 offset:364
	buffer_load_dword v120, off, s[0:3], 0 offset:360
	v_mul_f64 v[4:5], v[98:99], v[116:117]
	v_fma_f64 v[4:5], v[96:97], v[114:115], -v[4:5]
	;; [unrolled: 12-line block ×4, first 2 shown]
	v_add_f64 v[2:3], v[2:3], v[4:5]
	s_waitcnt vmcnt(0) lgkmcnt(0)
	v_mul_f64 v[4:5], v[110:111], v[130:131]
	v_mul_f64 v[132:133], v[108:109], v[130:131]
	v_fma_f64 v[4:5], v[108:109], v[128:129], -v[4:5]
	v_fmac_f64_e32 v[132:133], v[110:111], v[128:129]
	v_add_f64 v[2:3], v[2:3], v[4:5]
	v_add_f64 v[126:127], v[126:127], v[132:133]
	v_add_f64 v[2:3], v[24:25], -v[2:3]
	v_add_f64 v[4:5], v[22:23], -v[126:127]
	buffer_store_dword v3, off, s[0:3], 0 offset:244
	buffer_store_dword v2, off, s[0:3], 0 offset:240
	;; [unrolled: 1-line block ×4, first 2 shown]
	s_and_saveexec_b64 s[6:7], vcc
	s_cbranch_execz .LBB88_135
; %bb.134:
	v_accvgpr_read_b32 v5, a10
	buffer_load_dword v2, v5, s[0:3], 0 offen
	buffer_load_dword v3, v5, s[0:3], 0 offen offset:4
	buffer_load_dword v4, v5, s[0:3], 0 offen offset:8
	s_nop 0
	buffer_load_dword v5, v5, s[0:3], 0 offen offset:12
	s_nop 0
	buffer_store_dword v94, off, s[0:3], 0 offset:224
	buffer_store_dword v94, off, s[0:3], 0 offset:228
	;; [unrolled: 1-line block ×4, first 2 shown]
	s_waitcnt vmcnt(4)
	ds_write_b128 v136, v[2:5]
.LBB88_135:
	s_or_b64 exec, exec, s[6:7]
	s_waitcnt lgkmcnt(0)
	; wave barrier
	s_waitcnt lgkmcnt(0)
	ds_read_b128 v[14:17], v94 offset:640
	ds_read_b128 v[10:13], v94 offset:656
	;; [unrolled: 1-line block ×4, first 2 shown]
	buffer_load_dword v24, off, s[0:3], 0 offset:224
	buffer_load_dword v25, off, s[0:3], 0 offset:228
	;; [unrolled: 1-line block ×20, first 2 shown]
	v_cmp_lt_u32_e32 vcc, 13, v171
	s_waitcnt vmcnt(12) lgkmcnt(3)
	v_mul_f64 v[18:19], v[14:15], v[90:91]
	v_fmac_f64_e32 v[18:19], v[16:17], v[88:89]
	v_add_f64 v[18:19], v[18:19], 0
	v_mul_f64 v[16:17], v[16:17], v[90:91]
	s_waitcnt vmcnt(8) lgkmcnt(2)
	v_mul_f64 v[20:21], v[10:11], v[92:93]
	v_fmac_f64_e32 v[20:21], v[12:13], v[30:31]
	v_add_f64 v[18:19], v[18:19], v[20:21]
	v_fma_f64 v[14:15], v[14:15], v[88:89], -v[16:17]
	s_waitcnt vmcnt(4) lgkmcnt(1)
	v_mul_f64 v[20:21], v[6:7], v[28:29]
	v_fmac_f64_e32 v[20:21], v[8:9], v[26:27]
	v_add_f64 v[18:19], v[18:19], v[20:21]
	s_waitcnt vmcnt(0) lgkmcnt(0)
	v_mul_f64 v[20:21], v[2:3], v[84:85]
	v_fmac_f64_e32 v[20:21], v[4:5], v[32:33]
	v_add_f64 v[96:97], v[18:19], v[20:21]
	ds_read_b128 v[18:21], v94 offset:704
	buffer_load_dword v87, off, s[0:3], 0 offset:308
	buffer_load_dword v86, off, s[0:3], 0 offset:304
	;; [unrolled: 1-line block ×4, first 2 shown]
	v_mul_f64 v[12:13], v[12:13], v[92:93]
	v_add_f64 v[14:15], v[14:15], 0
	v_fma_f64 v[10:11], v[10:11], v[30:31], -v[12:13]
	v_mul_f64 v[8:9], v[8:9], v[28:29]
	v_add_f64 v[10:11], v[14:15], v[10:11]
	v_fma_f64 v[6:7], v[6:7], v[26:27], -v[8:9]
	;; [unrolled: 3-line block ×3, first 2 shown]
	v_add_f64 v[2:3], v[6:7], v[2:3]
	s_waitcnt vmcnt(0) lgkmcnt(0)
	v_mul_f64 v[98:99], v[18:19], v[116:117]
	v_fmac_f64_e32 v[98:99], v[20:21], v[86:87]
	v_add_f64 v[100:101], v[96:97], v[98:99]
	ds_read_b128 v[96:99], v94 offset:720
	buffer_load_dword v119, off, s[0:3], 0 offset:324
	buffer_load_dword v118, off, s[0:3], 0 offset:320
	buffer_load_dword v121, off, s[0:3], 0 offset:332
	buffer_load_dword v120, off, s[0:3], 0 offset:328
	v_mul_f64 v[4:5], v[20:21], v[116:117]
	v_fma_f64 v[4:5], v[18:19], v[86:87], -v[4:5]
	v_add_f64 v[2:3], v[2:3], v[4:5]
	s_waitcnt vmcnt(0) lgkmcnt(0)
	v_mul_f64 v[102:103], v[96:97], v[120:121]
	v_fmac_f64_e32 v[102:103], v[98:99], v[118:119]
	v_add_f64 v[104:105], v[100:101], v[102:103]
	ds_read_b128 v[100:103], v94 offset:736
	buffer_load_dword v123, off, s[0:3], 0 offset:340
	buffer_load_dword v122, off, s[0:3], 0 offset:336
	buffer_load_dword v125, off, s[0:3], 0 offset:348
	buffer_load_dword v124, off, s[0:3], 0 offset:344
	v_mul_f64 v[4:5], v[98:99], v[120:121]
	v_fma_f64 v[4:5], v[96:97], v[118:119], -v[4:5]
	;; [unrolled: 12-line block ×5, first 2 shown]
	v_add_f64 v[2:3], v[2:3], v[4:5]
	s_waitcnt vmcnt(0) lgkmcnt(0)
	v_mul_f64 v[4:5], v[114:115], v[138:139]
	v_mul_f64 v[140:141], v[112:113], v[138:139]
	v_fma_f64 v[4:5], v[112:113], v[94:95], -v[4:5]
	v_fmac_f64_e32 v[140:141], v[114:115], v[94:95]
	v_add_f64 v[2:3], v[2:3], v[4:5]
	v_add_f64 v[134:135], v[134:135], v[140:141]
	v_add_f64 v[2:3], v[24:25], -v[2:3]
	v_add_f64 v[4:5], v[22:23], -v[134:135]
	buffer_store_dword v3, off, s[0:3], 0 offset:228
	buffer_store_dword v2, off, s[0:3], 0 offset:224
	;; [unrolled: 1-line block ×4, first 2 shown]
	s_and_saveexec_b64 s[6:7], vcc
	s_cbranch_execz .LBB88_137
; %bb.136:
	v_accvgpr_read_b32 v5, a11
	buffer_load_dword v2, v5, s[0:3], 0 offen
	buffer_load_dword v3, v5, s[0:3], 0 offen offset:4
	buffer_load_dword v4, v5, s[0:3], 0 offen offset:8
	s_nop 0
	buffer_load_dword v5, v5, s[0:3], 0 offen offset:12
	v_mov_b32_e32 v6, 0
	buffer_store_dword v6, off, s[0:3], 0 offset:208
	buffer_store_dword v6, off, s[0:3], 0 offset:212
	;; [unrolled: 1-line block ×4, first 2 shown]
	s_waitcnt vmcnt(4)
	ds_write_b128 v136, v[2:5]
.LBB88_137:
	s_or_b64 exec, exec, s[6:7]
	s_waitcnt lgkmcnt(0)
	; wave barrier
	s_waitcnt lgkmcnt(0)
	buffer_load_dword v2, off, s[0:3], 0 offset:224
	buffer_load_dword v3, off, s[0:3], 0 offset:228
	;; [unrolled: 1-line block ×48, first 2 shown]
	v_mov_b32_e32 v12, 0
	ds_read_b128 v[14:17], v12 offset:624
	ds_read_b128 v[18:21], v12 offset:640
	;; [unrolled: 1-line block ×11, first 2 shown]
	v_cmp_lt_u32_e32 vcc, 12, v171
	s_waitcnt vmcnt(44) lgkmcnt(10)
	v_mul_f64 v[172:173], v[14:15], v[6:7]
	v_mul_f64 v[6:7], v[16:17], v[6:7]
	v_fmac_f64_e32 v[172:173], v[16:17], v[2:3]
	v_fma_f64 v[2:3], v[14:15], v[2:3], -v[6:7]
	s_waitcnt vmcnt(40) lgkmcnt(9)
	v_mul_f64 v[174:175], v[18:19], v[8:9]
	v_mul_f64 v[6:7], v[20:21], v[8:9]
	v_fmac_f64_e32 v[174:175], v[20:21], v[4:5]
	v_add_f64 v[2:3], v[2:3], 0
	v_fma_f64 v[4:5], v[18:19], v[4:5], -v[6:7]
	v_add_f64 v[2:3], v[2:3], v[4:5]
	s_waitcnt vmcnt(38) lgkmcnt(8)
	v_mul_f64 v[4:5], v[24:25], v[10:11]
	v_mul_f64 v[176:177], v[22:23], v[10:11]
	v_add_f64 v[172:173], v[172:173], 0
	s_waitcnt vmcnt(32) lgkmcnt(7)
	v_mul_f64 v[178:179], v[26:27], v[112:113]
	v_add_f64 v[172:173], v[172:173], v[174:175]
	s_waitcnt lgkmcnt(6)
	v_mul_f64 v[180:181], v[30:31], v[108:109]
	v_fmac_f64_e32 v[180:181], v[32:33], v[110:111]
	s_waitcnt vmcnt(30) lgkmcnt(4)
	v_mul_f64 v[184:185], v[88:89], v[114:115]
	s_waitcnt vmcnt(26)
	v_mul_f64 v[182:183], v[84:85], v[118:119]
	v_fmac_f64_e32 v[184:185], v[90:91], v[116:117]
	s_waitcnt vmcnt(24) lgkmcnt(2)
	v_mul_f64 v[188:189], v[96:97], v[120:121]
	s_waitcnt vmcnt(22)
	v_fmac_f64_e32 v[188:189], v[98:99], v[122:123]
	s_waitcnt vmcnt(20)
	v_mul_f64 v[186:187], v[92:93], v[124:125]
	s_waitcnt vmcnt(16) lgkmcnt(1)
	v_mul_f64 v[190:191], v[100:101], v[130:131]
	s_waitcnt vmcnt(14)
	v_fma_f64 v[4:5], v[22:23], v[132:133], -v[4:5]
	v_add_f64 v[2:3], v[2:3], v[4:5]
	v_mul_f64 v[4:5], v[28:29], v[112:113]
	s_waitcnt vmcnt(12)
	v_fma_f64 v[4:5], v[26:27], v[134:135], -v[4:5]
	v_add_f64 v[2:3], v[2:3], v[4:5]
	v_mul_f64 v[4:5], v[32:33], v[108:109]
	v_fma_f64 v[4:5], v[30:31], v[110:111], -v[4:5]
	v_add_f64 v[2:3], v[2:3], v[4:5]
	v_mul_f64 v[4:5], v[86:87], v[118:119]
	s_waitcnt vmcnt(10)
	v_fma_f64 v[4:5], v[84:85], v[138:139], -v[4:5]
	v_add_f64 v[2:3], v[2:3], v[4:5]
	v_mul_f64 v[4:5], v[90:91], v[114:115]
	v_fma_f64 v[4:5], v[88:89], v[116:117], -v[4:5]
	v_fmac_f64_e32 v[176:177], v[24:25], v[132:133]
	v_add_f64 v[2:3], v[2:3], v[4:5]
	v_mul_f64 v[4:5], v[94:95], v[124:125]
	v_fmac_f64_e32 v[178:179], v[28:29], v[134:135]
	v_add_f64 v[172:173], v[172:173], v[176:177]
	s_waitcnt vmcnt(8)
	v_fma_f64 v[4:5], v[92:93], v[140:141], -v[4:5]
	v_add_f64 v[172:173], v[172:173], v[178:179]
	v_add_f64 v[2:3], v[2:3], v[4:5]
	v_mul_f64 v[4:5], v[98:99], v[120:121]
	v_fmac_f64_e32 v[182:183], v[86:87], v[138:139]
	v_add_f64 v[172:173], v[172:173], v[180:181]
	v_fma_f64 v[4:5], v[96:97], v[122:123], -v[4:5]
	v_add_f64 v[172:173], v[172:173], v[182:183]
	v_add_f64 v[2:3], v[2:3], v[4:5]
	v_mul_f64 v[4:5], v[102:103], v[130:131]
	v_fmac_f64_e32 v[186:187], v[94:95], v[140:141]
	v_add_f64 v[172:173], v[172:173], v[184:185]
	s_waitcnt vmcnt(6)
	v_fma_f64 v[4:5], v[100:101], v[142:143], -v[4:5]
	v_add_f64 v[172:173], v[172:173], v[186:187]
	v_add_f64 v[2:3], v[2:3], v[4:5]
	s_waitcnt vmcnt(5) lgkmcnt(0)
	v_mul_f64 v[4:5], v[106:107], v[126:127]
	v_fmac_f64_e32 v[190:191], v[102:103], v[142:143]
	v_add_f64 v[172:173], v[172:173], v[188:189]
	v_mul_f64 v[174:175], v[104:105], v[126:127]
	s_waitcnt vmcnt(4)
	v_fma_f64 v[4:5], v[104:105], v[128:129], -v[4:5]
	v_add_f64 v[172:173], v[172:173], v[190:191]
	v_fmac_f64_e32 v[174:175], v[106:107], v[128:129]
	v_add_f64 v[2:3], v[2:3], v[4:5]
	v_add_f64 v[172:173], v[172:173], v[174:175]
	s_waitcnt vmcnt(2)
	v_add_f64 v[2:3], v[144:145], -v[2:3]
	s_waitcnt vmcnt(0)
	v_add_f64 v[4:5], v[146:147], -v[172:173]
	buffer_store_dword v3, off, s[0:3], 0 offset:212
	buffer_store_dword v2, off, s[0:3], 0 offset:208
	;; [unrolled: 1-line block ×4, first 2 shown]
	s_and_saveexec_b64 s[6:7], vcc
	s_cbranch_execz .LBB88_139
; %bb.138:
	v_accvgpr_read_b32 v5, a9
	buffer_load_dword v2, v5, s[0:3], 0 offen
	buffer_load_dword v3, v5, s[0:3], 0 offen offset:4
	buffer_load_dword v4, v5, s[0:3], 0 offen offset:8
	s_nop 0
	buffer_load_dword v5, v5, s[0:3], 0 offen offset:12
	s_nop 0
	buffer_store_dword v12, off, s[0:3], 0 offset:192
	buffer_store_dword v12, off, s[0:3], 0 offset:196
	;; [unrolled: 1-line block ×4, first 2 shown]
	s_waitcnt vmcnt(4)
	ds_write_b128 v136, v[2:5]
.LBB88_139:
	s_or_b64 exec, exec, s[6:7]
	s_waitcnt lgkmcnt(0)
	; wave barrier
	s_waitcnt lgkmcnt(0)
	buffer_load_dword v2, off, s[0:3], 0 offset:208
	buffer_load_dword v3, off, s[0:3], 0 offset:212
	;; [unrolled: 1-line block ×52, first 2 shown]
	ds_read_b128 v[14:17], v12 offset:608
	ds_read_b128 v[18:21], v12 offset:624
	ds_read_b128 v[22:25], v12 offset:640
	ds_read_b128 v[26:29], v12 offset:656
	ds_read_b128 v[30:33], v12 offset:672
	ds_read_b128 v[84:87], v12 offset:688
	ds_read_b128 v[88:91], v12 offset:704
	ds_read_b128 v[92:95], v12 offset:720
	ds_read_b128 v[96:99], v12 offset:736
	ds_read_b128 v[100:103], v12 offset:752
	v_cmp_lt_u32_e32 vcc, 11, v171
	s_waitcnt vmcnt(48) lgkmcnt(9)
	v_mul_f64 v[104:105], v[14:15], v[6:7]
	v_mul_f64 v[6:7], v[16:17], v[6:7]
	v_fmac_f64_e32 v[104:105], v[16:17], v[2:3]
	v_fma_f64 v[2:3], v[14:15], v[2:3], -v[6:7]
	s_waitcnt vmcnt(44) lgkmcnt(8)
	v_mul_f64 v[106:107], v[18:19], v[8:9]
	v_mul_f64 v[6:7], v[20:21], v[8:9]
	v_fmac_f64_e32 v[106:107], v[20:21], v[4:5]
	v_add_f64 v[2:3], v[2:3], 0
	v_fma_f64 v[4:5], v[18:19], v[4:5], -v[6:7]
	v_add_f64 v[2:3], v[2:3], v[4:5]
	s_waitcnt vmcnt(42) lgkmcnt(7)
	v_mul_f64 v[4:5], v[24:25], v[10:11]
	v_mul_f64 v[108:109], v[22:23], v[10:11]
	v_add_f64 v[104:105], v[104:105], 0
	s_waitcnt vmcnt(36) lgkmcnt(6)
	v_mul_f64 v[110:111], v[26:27], v[116:117]
	v_add_f64 v[104:105], v[104:105], v[106:107]
	s_waitcnt lgkmcnt(5)
	v_mul_f64 v[180:181], v[30:31], v[112:113]
	v_fmac_f64_e32 v[180:181], v[32:33], v[114:115]
	s_waitcnt vmcnt(34) lgkmcnt(3)
	v_mul_f64 v[184:185], v[88:89], v[118:119]
	s_waitcnt vmcnt(30)
	v_mul_f64 v[182:183], v[84:85], v[122:123]
	v_fmac_f64_e32 v[184:185], v[90:91], v[120:121]
	s_waitcnt vmcnt(26) lgkmcnt(2)
	v_mul_f64 v[186:187], v[92:93], v[128:129]
	s_waitcnt vmcnt(25) lgkmcnt(1)
	v_mul_f64 v[188:189], v[96:97], v[124:125]
	s_waitcnt vmcnt(23)
	v_fma_f64 v[4:5], v[22:23], v[130:131], -v[4:5]
	v_add_f64 v[2:3], v[2:3], v[4:5]
	v_mul_f64 v[4:5], v[28:29], v[116:117]
	s_waitcnt vmcnt(21)
	v_fma_f64 v[4:5], v[26:27], v[132:133], -v[4:5]
	v_fmac_f64_e32 v[108:109], v[24:25], v[130:131]
	v_add_f64 v[2:3], v[2:3], v[4:5]
	v_mul_f64 v[4:5], v[32:33], v[112:113]
	v_fmac_f64_e32 v[110:111], v[28:29], v[132:133]
	v_add_f64 v[104:105], v[104:105], v[108:109]
	v_fma_f64 v[4:5], v[30:31], v[114:115], -v[4:5]
	v_add_f64 v[104:105], v[104:105], v[110:111]
	v_add_f64 v[2:3], v[2:3], v[4:5]
	v_mul_f64 v[4:5], v[86:87], v[122:123]
	s_waitcnt vmcnt(19)
	v_fmac_f64_e32 v[182:183], v[86:87], v[134:135]
	v_add_f64 v[104:105], v[104:105], v[180:181]
	v_fma_f64 v[4:5], v[84:85], v[134:135], -v[4:5]
	v_add_f64 v[104:105], v[104:105], v[182:183]
	v_add_f64 v[2:3], v[2:3], v[4:5]
	v_mul_f64 v[4:5], v[90:91], v[118:119]
	s_waitcnt vmcnt(17)
	v_fmac_f64_e32 v[186:187], v[94:95], v[138:139]
	v_add_f64 v[104:105], v[104:105], v[184:185]
	v_fma_f64 v[4:5], v[88:89], v[120:121], -v[4:5]
	s_waitcnt vmcnt(16)
	v_fmac_f64_e32 v[188:189], v[98:99], v[126:127]
	v_add_f64 v[104:105], v[104:105], v[186:187]
	v_add_f64 v[2:3], v[2:3], v[4:5]
	v_mul_f64 v[4:5], v[94:95], v[128:129]
	v_add_f64 v[180:181], v[104:105], v[188:189]
	ds_read_b128 v[104:107], v12 offset:768
	ds_read_b128 v[108:111], v12 offset:784
	v_fma_f64 v[4:5], v[92:93], v[138:139], -v[4:5]
	v_add_f64 v[2:3], v[2:3], v[4:5]
	v_mul_f64 v[4:5], v[98:99], v[124:125]
	v_fma_f64 v[4:5], v[96:97], v[126:127], -v[4:5]
	v_add_f64 v[2:3], v[2:3], v[4:5]
	s_waitcnt vmcnt(12) lgkmcnt(2)
	v_mul_f64 v[4:5], v[102:103], v[144:145]
	v_mul_f64 v[182:183], v[100:101], v[144:145]
	s_waitcnt vmcnt(10)
	v_fma_f64 v[4:5], v[100:101], v[146:147], -v[4:5]
	v_fmac_f64_e32 v[182:183], v[102:103], v[146:147]
	v_add_f64 v[2:3], v[2:3], v[4:5]
	s_waitcnt vmcnt(8) lgkmcnt(1)
	v_mul_f64 v[4:5], v[106:107], v[140:141]
	v_add_f64 v[12:13], v[180:181], v[182:183]
	v_mul_f64 v[180:181], v[104:105], v[140:141]
	v_fma_f64 v[4:5], v[104:105], v[142:143], -v[4:5]
	v_fmac_f64_e32 v[180:181], v[106:107], v[142:143]
	v_add_f64 v[2:3], v[2:3], v[4:5]
	s_waitcnt vmcnt(6) lgkmcnt(0)
	v_mul_f64 v[4:5], v[110:111], v[172:173]
	v_add_f64 v[12:13], v[12:13], v[180:181]
	v_mul_f64 v[180:181], v[108:109], v[172:173]
	s_waitcnt vmcnt(4)
	v_fma_f64 v[4:5], v[108:109], v[174:175], -v[4:5]
	v_fmac_f64_e32 v[180:181], v[110:111], v[174:175]
	v_add_f64 v[2:3], v[2:3], v[4:5]
	v_add_f64 v[12:13], v[12:13], v[180:181]
	s_waitcnt vmcnt(2)
	v_add_f64 v[2:3], v[176:177], -v[2:3]
	s_waitcnt vmcnt(0)
	v_add_f64 v[4:5], v[178:179], -v[12:13]
	buffer_store_dword v3, off, s[0:3], 0 offset:196
	buffer_store_dword v2, off, s[0:3], 0 offset:192
	;; [unrolled: 1-line block ×4, first 2 shown]
	s_and_saveexec_b64 s[6:7], vcc
	s_cbranch_execz .LBB88_141
; %bb.140:
	v_accvgpr_read_b32 v5, a16
	buffer_load_dword v2, v5, s[0:3], 0 offen
	buffer_load_dword v3, v5, s[0:3], 0 offen offset:4
	buffer_load_dword v4, v5, s[0:3], 0 offen offset:8
	s_nop 0
	buffer_load_dword v5, v5, s[0:3], 0 offen offset:12
	v_mov_b32_e32 v6, 0
	buffer_store_dword v6, off, s[0:3], 0 offset:176
	buffer_store_dword v6, off, s[0:3], 0 offset:180
	;; [unrolled: 1-line block ×4, first 2 shown]
	s_waitcnt vmcnt(4)
	ds_write_b128 v136, v[2:5]
.LBB88_141:
	s_or_b64 exec, exec, s[6:7]
	s_waitcnt lgkmcnt(0)
	; wave barrier
	s_waitcnt lgkmcnt(0)
	buffer_load_dword v2, off, s[0:3], 0 offset:192
	buffer_load_dword v3, off, s[0:3], 0 offset:196
	;; [unrolled: 1-line block ×56, first 2 shown]
	v_mov_b32_e32 v24, 0
	ds_read_b128 v[18:21], v24 offset:592
	ds_read_b128 v[26:29], v24 offset:608
	;; [unrolled: 1-line block ×9, first 2 shown]
	v_cmp_lt_u32_e32 vcc, 10, v171
	s_waitcnt vmcnt(52) lgkmcnt(8)
	v_mul_f64 v[104:105], v[18:19], v[6:7]
	v_fmac_f64_e32 v[104:105], v[20:21], v[2:3]
	v_mul_f64 v[6:7], v[20:21], v[6:7]
	v_add_f64 v[104:105], v[104:105], 0
	s_waitcnt vmcnt(48) lgkmcnt(7)
	v_mul_f64 v[106:107], v[26:27], v[8:9]
	v_fmac_f64_e32 v[106:107], v[28:29], v[4:5]
	s_waitcnt vmcnt(46) lgkmcnt(6)
	v_mul_f64 v[108:109], v[30:31], v[10:11]
	v_fma_f64 v[2:3], v[18:19], v[2:3], -v[6:7]
	v_mul_f64 v[6:7], v[28:29], v[8:9]
	v_add_f64 v[104:105], v[104:105], v[106:107]
	v_add_f64 v[2:3], v[2:3], 0
	v_fma_f64 v[4:5], v[26:27], v[4:5], -v[6:7]
	s_waitcnt vmcnt(40) lgkmcnt(5)
	v_mul_f64 v[110:111], v[84:85], v[16:17]
	s_waitcnt lgkmcnt(4)
	v_mul_f64 v[112:113], v[88:89], v[12:13]
	v_add_f64 v[2:3], v[2:3], v[4:5]
	v_mul_f64 v[4:5], v[32:33], v[10:11]
	s_waitcnt vmcnt(36) lgkmcnt(3)
	v_mul_f64 v[114:115], v[92:93], v[126:127]
	v_fmac_f64_e32 v[112:113], v[90:91], v[14:15]
	s_waitcnt vmcnt(35) lgkmcnt(2)
	v_mul_f64 v[116:117], v[96:97], v[22:23]
	s_waitcnt vmcnt(33)
	v_fmac_f64_e32 v[108:109], v[32:33], v[128:129]
	v_add_f64 v[104:105], v[104:105], v[108:109]
	s_waitcnt vmcnt(31)
	v_fmac_f64_e32 v[110:111], v[86:87], v[130:131]
	v_add_f64 v[104:105], v[104:105], v[110:111]
	v_fma_f64 v[4:5], v[30:31], v[128:129], -v[4:5]
	s_waitcnt vmcnt(29)
	v_fmac_f64_e32 v[114:115], v[94:95], v[132:133]
	v_add_f64 v[104:105], v[104:105], v[112:113]
	v_add_f64 v[2:3], v[2:3], v[4:5]
	v_mul_f64 v[4:5], v[86:87], v[16:17]
	s_waitcnt vmcnt(28)
	v_fmac_f64_e32 v[116:117], v[98:99], v[124:125]
	v_add_f64 v[104:105], v[104:105], v[114:115]
	v_fma_f64 v[4:5], v[84:85], v[130:131], -v[4:5]
	v_add_f64 v[108:109], v[104:105], v[116:117]
	ds_read_b128 v[104:107], v24 offset:720
	s_waitcnt vmcnt(24) lgkmcnt(2)
	v_mul_f64 v[110:111], v[100:101], v[140:141]
	v_add_f64 v[2:3], v[2:3], v[4:5]
	v_mul_f64 v[4:5], v[90:91], v[12:13]
	s_waitcnt vmcnt(22)
	v_fmac_f64_e32 v[110:111], v[102:103], v[142:143]
	v_fma_f64 v[4:5], v[88:89], v[14:15], -v[4:5]
	v_add_f64 v[112:113], v[108:109], v[110:111]
	ds_read_b128 v[108:111], v24 offset:736
	v_add_f64 v[2:3], v[2:3], v[4:5]
	v_mul_f64 v[4:5], v[94:95], v[126:127]
	v_fma_f64 v[4:5], v[92:93], v[132:133], -v[4:5]
	v_add_f64 v[2:3], v[2:3], v[4:5]
	v_mul_f64 v[4:5], v[98:99], v[22:23]
	s_waitcnt vmcnt(20) lgkmcnt(1)
	v_mul_f64 v[114:115], v[104:105], v[134:135]
	v_fma_f64 v[4:5], v[96:97], v[124:125], -v[4:5]
	v_fmac_f64_e32 v[114:115], v[106:107], v[138:139]
	v_add_f64 v[2:3], v[2:3], v[4:5]
	v_mul_f64 v[4:5], v[102:103], v[140:141]
	v_add_f64 v[116:117], v[112:113], v[114:115]
	ds_read_b128 v[112:115], v24 offset:752
	s_waitcnt vmcnt(16) lgkmcnt(1)
	v_mul_f64 v[118:119], v[108:109], v[172:173]
	v_fma_f64 v[4:5], v[100:101], v[142:143], -v[4:5]
	s_waitcnt vmcnt(14)
	v_fmac_f64_e32 v[118:119], v[110:111], v[174:175]
	v_add_f64 v[2:3], v[2:3], v[4:5]
	v_mul_f64 v[4:5], v[106:107], v[134:135]
	v_add_f64 v[188:189], v[116:117], v[118:119]
	ds_read_b128 v[116:119], v24 offset:768
	v_fma_f64 v[4:5], v[104:105], v[138:139], -v[4:5]
	v_add_f64 v[2:3], v[2:3], v[4:5]
	v_mul_f64 v[4:5], v[110:111], v[172:173]
	v_fma_f64 v[4:5], v[108:109], v[174:175], -v[4:5]
	v_add_f64 v[2:3], v[2:3], v[4:5]
	s_waitcnt vmcnt(12) lgkmcnt(1)
	v_mul_f64 v[4:5], v[114:115], v[144:145]
	v_mul_f64 v[190:191], v[112:113], v[144:145]
	v_fma_f64 v[4:5], v[112:113], v[146:147], -v[4:5]
	v_fmac_f64_e32 v[190:191], v[114:115], v[146:147]
	v_add_f64 v[2:3], v[2:3], v[4:5]
	s_waitcnt vmcnt(8) lgkmcnt(0)
	v_mul_f64 v[4:5], v[118:119], v[180:181]
	v_add_f64 v[188:189], v[188:189], v[190:191]
	v_mul_f64 v[190:191], v[116:117], v[180:181]
	s_waitcnt vmcnt(6)
	v_fma_f64 v[4:5], v[116:117], v[182:183], -v[4:5]
	v_fmac_f64_e32 v[190:191], v[118:119], v[182:183]
	v_add_f64 v[2:3], v[2:3], v[4:5]
	s_waitcnt vmcnt(5)
	v_mul_f64 v[4:5], v[122:123], v[176:177]
	v_add_f64 v[188:189], v[188:189], v[190:191]
	v_mul_f64 v[190:191], v[120:121], v[176:177]
	s_waitcnt vmcnt(4)
	v_fma_f64 v[4:5], v[120:121], v[178:179], -v[4:5]
	v_fmac_f64_e32 v[190:191], v[122:123], v[178:179]
	v_add_f64 v[2:3], v[2:3], v[4:5]
	v_add_f64 v[188:189], v[188:189], v[190:191]
	s_waitcnt vmcnt(2)
	v_add_f64 v[2:3], v[184:185], -v[2:3]
	s_waitcnt vmcnt(0)
	v_add_f64 v[4:5], v[186:187], -v[188:189]
	buffer_store_dword v3, off, s[0:3], 0 offset:180
	buffer_store_dword v2, off, s[0:3], 0 offset:176
	buffer_store_dword v5, off, s[0:3], 0 offset:188
	buffer_store_dword v4, off, s[0:3], 0 offset:184
	s_and_saveexec_b64 s[6:7], vcc
	s_cbranch_execz .LBB88_143
; %bb.142:
	v_accvgpr_read_b32 v5, a14
	buffer_load_dword v2, v5, s[0:3], 0 offen
	buffer_load_dword v3, v5, s[0:3], 0 offen offset:4
	buffer_load_dword v4, v5, s[0:3], 0 offen offset:8
	s_nop 0
	buffer_load_dword v5, v5, s[0:3], 0 offen offset:12
	s_nop 0
	buffer_store_dword v24, off, s[0:3], 0 offset:160
	buffer_store_dword v24, off, s[0:3], 0 offset:164
	;; [unrolled: 1-line block ×4, first 2 shown]
	s_waitcnt vmcnt(4)
	ds_write_b128 v136, v[2:5]
.LBB88_143:
	s_or_b64 exec, exec, s[6:7]
	s_waitcnt lgkmcnt(0)
	; wave barrier
	s_waitcnt lgkmcnt(0)
	buffer_load_dword v2, off, s[0:3], 0 offset:176
	buffer_load_dword v3, off, s[0:3], 0 offset:180
	;; [unrolled: 1-line block ×60, first 2 shown]
	ds_read_b128 v[26:29], v24 offset:576
	ds_read_b128 v[30:33], v24 offset:592
	;; [unrolled: 1-line block ×8, first 2 shown]
	v_cmp_lt_u32_e32 vcc, 9, v171
	ds_read_b128 v[128:131], v24 offset:784
	s_waitcnt vmcnt(56) lgkmcnt(8)
	v_mul_f64 v[108:109], v[26:27], v[6:7]
	v_fmac_f64_e32 v[108:109], v[28:29], v[2:3]
	v_add_f64 v[108:109], v[108:109], 0
	v_mul_f64 v[6:7], v[28:29], v[6:7]
	s_waitcnt vmcnt(52) lgkmcnt(7)
	v_mul_f64 v[110:111], v[30:31], v[8:9]
	v_fmac_f64_e32 v[110:111], v[32:33], v[4:5]
	s_waitcnt vmcnt(50) lgkmcnt(6)
	v_mul_f64 v[112:113], v[84:85], v[10:11]
	v_add_f64 v[108:109], v[108:109], v[110:111]
	s_waitcnt vmcnt(48) lgkmcnt(4)
	v_mul_f64 v[116:117], v[92:93], v[12:13]
	v_fma_f64 v[2:3], v[26:27], v[2:3], -v[6:7]
	s_waitcnt vmcnt(46)
	v_fmac_f64_e32 v[116:117], v[94:95], v[14:15]
	v_mul_f64 v[6:7], v[32:33], v[8:9]
	s_waitcnt vmcnt(44)
	v_mul_f64 v[114:115], v[88:89], v[16:17]
	v_add_f64 v[2:3], v[2:3], 0
	v_fma_f64 v[4:5], v[30:31], v[4:5], -v[6:7]
	v_add_f64 v[2:3], v[2:3], v[4:5]
	s_waitcnt vmcnt(40) lgkmcnt(3)
	v_mul_f64 v[118:119], v[96:97], v[22:23]
	v_mul_f64 v[4:5], v[86:87], v[10:11]
	s_waitcnt vmcnt(38)
	v_fmac_f64_e32 v[112:113], v[86:87], v[132:133]
	v_add_f64 v[108:109], v[108:109], v[112:113]
	s_waitcnt vmcnt(36)
	v_fmac_f64_e32 v[114:115], v[90:91], v[134:135]
	v_add_f64 v[108:109], v[108:109], v[114:115]
	;; [unrolled: 3-line block ×3, first 2 shown]
	s_waitcnt vmcnt(32) lgkmcnt(2)
	v_mul_f64 v[110:111], v[100:101], v[18:19]
	v_add_f64 v[108:109], v[108:109], v[118:119]
	v_fmac_f64_e32 v[110:111], v[102:103], v[20:21]
	v_add_f64 v[112:113], v[108:109], v[110:111]
	ds_read_b128 v[108:111], v24 offset:704
	v_fma_f64 v[4:5], v[84:85], v[132:133], -v[4:5]
	v_add_f64 v[2:3], v[2:3], v[4:5]
	v_mul_f64 v[4:5], v[90:91], v[16:17]
	v_fma_f64 v[4:5], v[88:89], v[134:135], -v[4:5]
	s_waitcnt vmcnt(28) lgkmcnt(2)
	v_mul_f64 v[114:115], v[104:105], v[144:145]
	v_add_f64 v[2:3], v[2:3], v[4:5]
	v_mul_f64 v[4:5], v[94:95], v[12:13]
	s_waitcnt vmcnt(26)
	v_fmac_f64_e32 v[114:115], v[106:107], v[146:147]
	v_fma_f64 v[4:5], v[92:93], v[14:15], -v[4:5]
	v_add_f64 v[116:117], v[112:113], v[114:115]
	ds_read_b128 v[112:115], v24 offset:720
	s_waitcnt vmcnt(24) lgkmcnt(1)
	v_mul_f64 v[118:119], v[108:109], v[140:141]
	v_add_f64 v[2:3], v[2:3], v[4:5]
	v_mul_f64 v[4:5], v[98:99], v[22:23]
	v_fmac_f64_e32 v[118:119], v[110:111], v[142:143]
	v_fma_f64 v[4:5], v[96:97], v[138:139], -v[4:5]
	v_add_f64 v[120:121], v[116:117], v[118:119]
	ds_read_b128 v[116:119], v24 offset:736
	v_add_f64 v[2:3], v[2:3], v[4:5]
	v_mul_f64 v[4:5], v[102:103], v[18:19]
	v_fma_f64 v[4:5], v[100:101], v[20:21], -v[4:5]
	v_add_f64 v[2:3], v[2:3], v[4:5]
	v_mul_f64 v[4:5], v[106:107], v[144:145]
	s_waitcnt vmcnt(20) lgkmcnt(1)
	v_mul_f64 v[122:123], v[112:113], v[176:177]
	v_fma_f64 v[4:5], v[104:105], v[146:147], -v[4:5]
	s_waitcnt vmcnt(18)
	v_fmac_f64_e32 v[122:123], v[114:115], v[178:179]
	v_add_f64 v[2:3], v[2:3], v[4:5]
	v_mul_f64 v[4:5], v[110:111], v[140:141]
	v_add_f64 v[124:125], v[120:121], v[122:123]
	ds_read_b128 v[120:123], v24 offset:752
	s_waitcnt vmcnt(16) lgkmcnt(1)
	v_mul_f64 v[126:127], v[116:117], v[172:173]
	v_fma_f64 v[4:5], v[108:109], v[142:143], -v[4:5]
	v_fmac_f64_e32 v[126:127], v[118:119], v[174:175]
	v_add_f64 v[2:3], v[2:3], v[4:5]
	v_mul_f64 v[4:5], v[114:115], v[176:177]
	v_add_f64 v[196:197], v[124:125], v[126:127]
	ds_read_b128 v[124:127], v24 offset:768
	v_fma_f64 v[4:5], v[112:113], v[178:179], -v[4:5]
	v_add_f64 v[2:3], v[2:3], v[4:5]
	v_mul_f64 v[4:5], v[118:119], v[172:173]
	v_fma_f64 v[4:5], v[116:117], v[174:175], -v[4:5]
	v_add_f64 v[2:3], v[2:3], v[4:5]
	s_waitcnt vmcnt(12) lgkmcnt(1)
	v_mul_f64 v[4:5], v[122:123], v[184:185]
	v_mul_f64 v[198:199], v[120:121], v[184:185]
	s_waitcnt vmcnt(10)
	v_fma_f64 v[4:5], v[120:121], v[186:187], -v[4:5]
	v_fmac_f64_e32 v[198:199], v[122:123], v[186:187]
	v_add_f64 v[2:3], v[2:3], v[4:5]
	s_waitcnt vmcnt(8) lgkmcnt(0)
	v_mul_f64 v[4:5], v[126:127], v[180:181]
	v_add_f64 v[24:25], v[196:197], v[198:199]
	v_mul_f64 v[196:197], v[124:125], v[180:181]
	v_fma_f64 v[4:5], v[124:125], v[182:183], -v[4:5]
	v_fmac_f64_e32 v[196:197], v[126:127], v[182:183]
	v_add_f64 v[2:3], v[2:3], v[4:5]
	s_waitcnt vmcnt(6)
	v_mul_f64 v[4:5], v[130:131], v[188:189]
	v_add_f64 v[24:25], v[24:25], v[196:197]
	v_mul_f64 v[196:197], v[128:129], v[188:189]
	s_waitcnt vmcnt(4)
	v_fma_f64 v[4:5], v[128:129], v[190:191], -v[4:5]
	v_fmac_f64_e32 v[196:197], v[130:131], v[190:191]
	v_add_f64 v[2:3], v[2:3], v[4:5]
	v_add_f64 v[24:25], v[24:25], v[196:197]
	s_waitcnt vmcnt(2)
	v_add_f64 v[2:3], v[192:193], -v[2:3]
	s_waitcnt vmcnt(0)
	v_add_f64 v[4:5], v[194:195], -v[24:25]
	buffer_store_dword v3, off, s[0:3], 0 offset:164
	buffer_store_dword v2, off, s[0:3], 0 offset:160
	;; [unrolled: 1-line block ×4, first 2 shown]
	s_and_saveexec_b64 s[6:7], vcc
	s_cbranch_execz .LBB88_145
; %bb.144:
	v_accvgpr_read_b32 v5, a15
	buffer_load_dword v2, v5, s[0:3], 0 offen
	buffer_load_dword v3, v5, s[0:3], 0 offen offset:4
	buffer_load_dword v4, v5, s[0:3], 0 offen offset:8
	s_nop 0
	buffer_load_dword v5, v5, s[0:3], 0 offen offset:12
	v_mov_b32_e32 v6, 0
	buffer_store_dword v6, off, s[0:3], 0 offset:144
	buffer_store_dword v6, off, s[0:3], 0 offset:148
	;; [unrolled: 1-line block ×4, first 2 shown]
	s_waitcnt vmcnt(4)
	ds_write_b128 v136, v[2:5]
.LBB88_145:
	s_or_b64 exec, exec, s[6:7]
	s_waitcnt lgkmcnt(0)
	; wave barrier
	s_waitcnt lgkmcnt(0)
	buffer_load_dword v2, off, s[0:3], 0 offset:160
	buffer_load_dword v3, off, s[0:3], 0 offset:164
	;; [unrolled: 1-line block ×64, first 2 shown]
	v_mov_b32_e32 v88, 0
	ds_read_b128 v[30:33], v88 offset:560
	ds_read_b128 v[84:87], v88 offset:576
	;; [unrolled: 1-line block ×7, first 2 shown]
	v_cmp_lt_u32_e32 vcc, 8, v171
	s_waitcnt vmcnt(60) lgkmcnt(6)
	v_mul_f64 v[106:107], v[30:31], v[6:7]
	v_fmac_f64_e32 v[106:107], v[32:33], v[2:3]
	v_add_f64 v[106:107], v[106:107], 0
	v_mul_f64 v[6:7], v[32:33], v[6:7]
	s_waitcnt vmcnt(56) lgkmcnt(5)
	v_mul_f64 v[108:109], v[84:85], v[8:9]
	v_fmac_f64_e32 v[108:109], v[86:87], v[4:5]
	s_waitcnt vmcnt(54) lgkmcnt(4)
	v_mul_f64 v[110:111], v[90:91], v[10:11]
	v_add_f64 v[106:107], v[106:107], v[108:109]
	v_fma_f64 v[2:3], v[30:31], v[2:3], -v[6:7]
	v_mul_f64 v[6:7], v[86:87], v[8:9]
	s_waitcnt vmcnt(50) lgkmcnt(3)
	v_mul_f64 v[112:113], v[94:95], v[16:17]
	s_waitcnt vmcnt(49) lgkmcnt(2)
	v_mul_f64 v[114:115], v[98:99], v[12:13]
	v_add_f64 v[2:3], v[2:3], 0
	s_waitcnt vmcnt(47)
	v_fmac_f64_e32 v[110:111], v[92:93], v[20:21]
	v_add_f64 v[106:107], v[106:107], v[110:111]
	s_waitcnt vmcnt(45)
	v_fmac_f64_e32 v[112:113], v[96:97], v[18:19]
	;; [unrolled: 3-line block ×3, first 2 shown]
	v_add_f64 v[110:111], v[106:107], v[114:115]
	ds_read_b128 v[106:109], v88 offset:656
	s_waitcnt vmcnt(40) lgkmcnt(2)
	v_mul_f64 v[112:113], v[102:103], v[26:27]
	v_fma_f64 v[4:5], v[84:85], v[4:5], -v[6:7]
	s_waitcnt vmcnt(38)
	v_fmac_f64_e32 v[112:113], v[104:105], v[28:29]
	v_add_f64 v[114:115], v[110:111], v[112:113]
	ds_read_b128 v[110:113], v88 offset:672
	s_waitcnt vmcnt(36) lgkmcnt(1)
	v_mul_f64 v[116:117], v[106:107], v[22:23]
	v_fmac_f64_e32 v[116:117], v[108:109], v[24:25]
	v_add_f64 v[2:3], v[2:3], v[4:5]
	v_mul_f64 v[4:5], v[92:93], v[10:11]
	v_add_f64 v[118:119], v[114:115], v[116:117]
	ds_read_b128 v[114:117], v88 offset:688
	s_waitcnt vmcnt(32) lgkmcnt(1)
	v_mul_f64 v[120:121], v[110:111], v[172:173]
	v_fma_f64 v[4:5], v[90:91], v[20:21], -v[4:5]
	s_waitcnt vmcnt(30)
	v_fmac_f64_e32 v[120:121], v[112:113], v[174:175]
	v_add_f64 v[2:3], v[2:3], v[4:5]
	v_mul_f64 v[4:5], v[96:97], v[16:17]
	v_add_f64 v[122:123], v[118:119], v[120:121]
	ds_read_b128 v[118:121], v88 offset:704
	v_fma_f64 v[4:5], v[94:95], v[18:19], -v[4:5]
	v_add_f64 v[2:3], v[2:3], v[4:5]
	v_mul_f64 v[4:5], v[100:101], v[12:13]
	v_fma_f64 v[4:5], v[98:99], v[14:15], -v[4:5]
	s_waitcnt vmcnt(28) lgkmcnt(1)
	v_mul_f64 v[124:125], v[114:115], v[134:135]
	v_add_f64 v[2:3], v[2:3], v[4:5]
	v_mul_f64 v[4:5], v[104:105], v[26:27]
	v_fmac_f64_e32 v[124:125], v[116:117], v[146:147]
	v_fma_f64 v[4:5], v[102:103], v[28:29], -v[4:5]
	v_add_f64 v[126:127], v[122:123], v[124:125]
	ds_read_b128 v[122:125], v88 offset:720
	s_waitcnt vmcnt(24) lgkmcnt(1)
	v_mul_f64 v[128:129], v[118:119], v[180:181]
	v_add_f64 v[2:3], v[2:3], v[4:5]
	v_mul_f64 v[4:5], v[108:109], v[22:23]
	s_waitcnt vmcnt(22)
	v_fmac_f64_e32 v[128:129], v[120:121], v[182:183]
	v_fma_f64 v[4:5], v[106:107], v[24:25], -v[4:5]
	v_add_f64 v[130:131], v[126:127], v[128:129]
	ds_read_b128 v[126:129], v88 offset:736
	v_add_f64 v[2:3], v[2:3], v[4:5]
	v_mul_f64 v[4:5], v[112:113], v[172:173]
	v_fma_f64 v[4:5], v[110:111], v[174:175], -v[4:5]
	v_add_f64 v[2:3], v[2:3], v[4:5]
	v_mul_f64 v[4:5], v[116:117], v[134:135]
	s_waitcnt vmcnt(20) lgkmcnt(1)
	v_mul_f64 v[132:133], v[122:123], v[176:177]
	v_fma_f64 v[4:5], v[114:115], v[146:147], -v[4:5]
	v_fmac_f64_e32 v[132:133], v[124:125], v[178:179]
	v_add_f64 v[2:3], v[2:3], v[4:5]
	v_mul_f64 v[4:5], v[120:121], v[180:181]
	v_add_f64 v[138:139], v[130:131], v[132:133]
	ds_read_b128 v[130:133], v88 offset:752
	s_waitcnt vmcnt(16) lgkmcnt(1)
	v_mul_f64 v[140:141], v[126:127], v[188:189]
	v_fma_f64 v[4:5], v[118:119], v[182:183], -v[4:5]
	s_waitcnt vmcnt(14)
	v_fmac_f64_e32 v[140:141], v[128:129], v[190:191]
	v_add_f64 v[2:3], v[2:3], v[4:5]
	v_mul_f64 v[4:5], v[124:125], v[176:177]
	v_add_f64 v[204:205], v[138:139], v[140:141]
	ds_read_b128 v[138:141], v88 offset:768
	v_fma_f64 v[4:5], v[122:123], v[178:179], -v[4:5]
	v_add_f64 v[2:3], v[2:3], v[4:5]
	v_mul_f64 v[4:5], v[128:129], v[188:189]
	v_fma_f64 v[4:5], v[126:127], v[190:191], -v[4:5]
	v_add_f64 v[2:3], v[2:3], v[4:5]
	s_waitcnt vmcnt(12) lgkmcnt(1)
	v_mul_f64 v[4:5], v[132:133], v[184:185]
	v_mul_f64 v[206:207], v[130:131], v[184:185]
	v_fma_f64 v[4:5], v[130:131], v[186:187], -v[4:5]
	v_fmac_f64_e32 v[206:207], v[132:133], v[186:187]
	v_add_f64 v[2:3], v[2:3], v[4:5]
	s_waitcnt vmcnt(8) lgkmcnt(0)
	v_mul_f64 v[4:5], v[140:141], v[196:197]
	v_add_f64 v[204:205], v[204:205], v[206:207]
	v_mul_f64 v[206:207], v[138:139], v[196:197]
	s_waitcnt vmcnt(6)
	v_fma_f64 v[4:5], v[138:139], v[198:199], -v[4:5]
	v_fmac_f64_e32 v[206:207], v[140:141], v[198:199]
	v_add_f64 v[2:3], v[2:3], v[4:5]
	s_waitcnt vmcnt(5)
	v_mul_f64 v[4:5], v[144:145], v[192:193]
	v_add_f64 v[204:205], v[204:205], v[206:207]
	v_mul_f64 v[206:207], v[142:143], v[192:193]
	s_waitcnt vmcnt(4)
	v_fma_f64 v[4:5], v[142:143], v[194:195], -v[4:5]
	v_fmac_f64_e32 v[206:207], v[144:145], v[194:195]
	v_add_f64 v[2:3], v[2:3], v[4:5]
	v_add_f64 v[204:205], v[204:205], v[206:207]
	s_waitcnt vmcnt(2)
	v_add_f64 v[2:3], v[200:201], -v[2:3]
	s_waitcnt vmcnt(0)
	v_add_f64 v[4:5], v[202:203], -v[204:205]
	buffer_store_dword v3, off, s[0:3], 0 offset:148
	buffer_store_dword v2, off, s[0:3], 0 offset:144
	;; [unrolled: 1-line block ×4, first 2 shown]
	s_and_saveexec_b64 s[6:7], vcc
	s_cbranch_execz .LBB88_147
; %bb.146:
	v_accvgpr_read_b32 v5, a13
	buffer_load_dword v2, v5, s[0:3], 0 offen
	buffer_load_dword v3, v5, s[0:3], 0 offen offset:4
	buffer_load_dword v4, v5, s[0:3], 0 offen offset:8
	s_nop 0
	buffer_load_dword v5, v5, s[0:3], 0 offen offset:12
	s_nop 0
	buffer_store_dword v88, off, s[0:3], 0 offset:128
	buffer_store_dword v88, off, s[0:3], 0 offset:132
	;; [unrolled: 1-line block ×4, first 2 shown]
	s_waitcnt vmcnt(4)
	ds_write_b128 v136, v[2:5]
.LBB88_147:
	s_or_b64 exec, exec, s[6:7]
	s_waitcnt lgkmcnt(0)
	; wave barrier
	s_waitcnt lgkmcnt(0)
	buffer_load_dword v2, off, s[0:3], 0 offset:144
	buffer_load_dword v3, off, s[0:3], 0 offset:148
	;; [unrolled: 1-line block ×64, first 2 shown]
	ds_read_b128 v[90:93], v88 offset:544
	ds_read_b128 v[94:97], v88 offset:560
	;; [unrolled: 1-line block ×4, first 2 shown]
	buffer_load_dword v208, off, s[0:3], 0 offset:128
	buffer_load_dword v209, off, s[0:3], 0 offset:132
	;; [unrolled: 1-line block ×4, first 2 shown]
	v_cmp_lt_u32_e32 vcc, 7, v171
	ds_read_b128 v[180:183], v88 offset:784
	s_waitcnt vmcnt(62) lgkmcnt(4)
	v_mul_f64 v[106:107], v[90:91], v[4:5]
	v_fmac_f64_e32 v[106:107], v[92:93], v[2:3]
	s_waitcnt lgkmcnt(3)
	v_mul_f64 v[108:109], v[94:95], v[6:7]
	v_add_f64 v[106:107], v[106:107], 0
	s_waitcnt vmcnt(60) lgkmcnt(2)
	v_mul_f64 v[110:111], v[98:99], v[8:9]
	v_mul_f64 v[4:5], v[92:93], v[4:5]
	v_fma_f64 v[2:3], v[90:91], v[2:3], -v[4:5]
	v_mul_f64 v[4:5], v[96:97], v[6:7]
	s_waitcnt vmcnt(56) lgkmcnt(1)
	v_mul_f64 v[112:113], v[102:103], v[14:15]
	v_add_f64 v[2:3], v[2:3], 0
	s_waitcnt vmcnt(54)
	v_fmac_f64_e32 v[108:109], v[96:97], v[20:21]
	v_add_f64 v[114:115], v[106:107], v[108:109]
	ds_read_b128 v[106:109], v88 offset:608
	s_waitcnt vmcnt(52)
	v_fmac_f64_e32 v[110:111], v[100:101], v[18:19]
	v_add_f64 v[110:111], v[114:115], v[110:111]
	s_waitcnt vmcnt(50)
	v_fmac_f64_e32 v[112:113], v[104:105], v[16:17]
	v_add_f64 v[114:115], v[110:111], v[112:113]
	ds_read_b128 v[110:113], v88 offset:624
	s_waitcnt vmcnt(48) lgkmcnt(1)
	v_mul_f64 v[116:117], v[106:107], v[10:11]
	v_fmac_f64_e32 v[116:117], v[108:109], v[12:13]
	v_add_f64 v[118:119], v[114:115], v[116:117]
	ds_read_b128 v[114:117], v88 offset:640
	s_waitcnt vmcnt(44) lgkmcnt(1)
	v_mul_f64 v[120:121], v[110:111], v[26:27]
	s_waitcnt vmcnt(42)
	v_fmac_f64_e32 v[120:121], v[112:113], v[28:29]
	v_add_f64 v[122:123], v[118:119], v[120:121]
	ds_read_b128 v[118:121], v88 offset:656
	s_waitcnt vmcnt(40) lgkmcnt(1)
	v_mul_f64 v[124:125], v[114:115], v[22:23]
	v_fmac_f64_e32 v[124:125], v[116:117], v[24:25]
	v_add_f64 v[126:127], v[122:123], v[124:125]
	ds_read_b128 v[122:125], v88 offset:672
	v_fma_f64 v[4:5], v[94:95], v[20:21], -v[4:5]
	v_add_f64 v[2:3], v[2:3], v[4:5]
	v_mul_f64 v[4:5], v[100:101], v[8:9]
	s_waitcnt vmcnt(36) lgkmcnt(1)
	v_mul_f64 v[128:129], v[118:119], v[84:85]
	v_fma_f64 v[4:5], v[98:99], v[18:19], -v[4:5]
	s_waitcnt vmcnt(34)
	v_fmac_f64_e32 v[128:129], v[120:121], v[86:87]
	v_add_f64 v[2:3], v[2:3], v[4:5]
	v_mul_f64 v[4:5], v[104:105], v[14:15]
	v_add_f64 v[130:131], v[126:127], v[128:129]
	ds_read_b128 v[126:129], v88 offset:688
	s_waitcnt vmcnt(32) lgkmcnt(1)
	v_mul_f64 v[132:133], v[122:123], v[30:31]
	v_fma_f64 v[4:5], v[102:103], v[16:17], -v[4:5]
	v_fmac_f64_e32 v[132:133], v[124:125], v[32:33]
	v_add_f64 v[2:3], v[2:3], v[4:5]
	v_mul_f64 v[4:5], v[108:109], v[10:11]
	v_add_f64 v[138:139], v[130:131], v[132:133]
	ds_read_b128 v[130:133], v88 offset:704
	v_fma_f64 v[4:5], v[106:107], v[12:13], -v[4:5]
	v_add_f64 v[2:3], v[2:3], v[4:5]
	v_mul_f64 v[4:5], v[112:113], v[26:27]
	v_fma_f64 v[4:5], v[110:111], v[28:29], -v[4:5]
	s_waitcnt vmcnt(28) lgkmcnt(1)
	v_mul_f64 v[140:141], v[126:127], v[184:185]
	v_add_f64 v[2:3], v[2:3], v[4:5]
	v_mul_f64 v[4:5], v[116:117], v[22:23]
	s_waitcnt vmcnt(26)
	v_fmac_f64_e32 v[140:141], v[128:129], v[186:187]
	v_fma_f64 v[4:5], v[114:115], v[24:25], -v[4:5]
	v_add_f64 v[142:143], v[138:139], v[140:141]
	ds_read_b128 v[138:141], v88 offset:720
	s_waitcnt vmcnt(24) lgkmcnt(1)
	v_mul_f64 v[144:145], v[130:131], v[134:135]
	v_add_f64 v[2:3], v[2:3], v[4:5]
	v_mul_f64 v[4:5], v[120:121], v[84:85]
	v_fmac_f64_e32 v[144:145], v[132:133], v[146:147]
	v_fma_f64 v[4:5], v[118:119], v[86:87], -v[4:5]
	v_add_f64 v[172:173], v[142:143], v[144:145]
	ds_read_b128 v[142:145], v88 offset:736
	v_add_f64 v[2:3], v[2:3], v[4:5]
	v_mul_f64 v[4:5], v[124:125], v[30:31]
	v_fma_f64 v[4:5], v[122:123], v[32:33], -v[4:5]
	v_add_f64 v[2:3], v[2:3], v[4:5]
	v_mul_f64 v[4:5], v[128:129], v[184:185]
	s_waitcnt vmcnt(20) lgkmcnt(1)
	v_mul_f64 v[174:175], v[138:139], v[192:193]
	v_fma_f64 v[4:5], v[126:127], v[186:187], -v[4:5]
	s_waitcnt vmcnt(18)
	v_fmac_f64_e32 v[174:175], v[140:141], v[194:195]
	v_add_f64 v[2:3], v[2:3], v[4:5]
	v_mul_f64 v[4:5], v[132:133], v[134:135]
	v_add_f64 v[176:177], v[172:173], v[174:175]
	ds_read_b128 v[172:175], v88 offset:752
	s_waitcnt vmcnt(16) lgkmcnt(1)
	v_mul_f64 v[178:179], v[142:143], v[188:189]
	v_fma_f64 v[4:5], v[130:131], v[146:147], -v[4:5]
	v_fmac_f64_e32 v[178:179], v[144:145], v[190:191]
	v_add_f64 v[2:3], v[2:3], v[4:5]
	v_mul_f64 v[4:5], v[140:141], v[192:193]
	v_add_f64 v[212:213], v[176:177], v[178:179]
	ds_read_b128 v[176:179], v88 offset:768
	v_fma_f64 v[4:5], v[138:139], v[194:195], -v[4:5]
	v_add_f64 v[2:3], v[2:3], v[4:5]
	v_mul_f64 v[4:5], v[144:145], v[188:189]
	v_fma_f64 v[4:5], v[142:143], v[190:191], -v[4:5]
	v_add_f64 v[2:3], v[2:3], v[4:5]
	s_waitcnt vmcnt(12) lgkmcnt(1)
	v_mul_f64 v[4:5], v[174:175], v[200:201]
	v_mul_f64 v[214:215], v[172:173], v[200:201]
	s_waitcnt vmcnt(10)
	v_fma_f64 v[4:5], v[172:173], v[202:203], -v[4:5]
	v_fmac_f64_e32 v[214:215], v[174:175], v[202:203]
	v_add_f64 v[2:3], v[2:3], v[4:5]
	s_waitcnt vmcnt(8) lgkmcnt(0)
	v_mul_f64 v[4:5], v[178:179], v[196:197]
	v_add_f64 v[88:89], v[212:213], v[214:215]
	v_mul_f64 v[212:213], v[176:177], v[196:197]
	v_fma_f64 v[4:5], v[176:177], v[198:199], -v[4:5]
	v_fmac_f64_e32 v[212:213], v[178:179], v[198:199]
	v_add_f64 v[2:3], v[2:3], v[4:5]
	s_waitcnt vmcnt(6)
	v_mul_f64 v[4:5], v[182:183], v[204:205]
	v_add_f64 v[88:89], v[88:89], v[212:213]
	v_mul_f64 v[212:213], v[180:181], v[204:205]
	s_waitcnt vmcnt(4)
	v_fma_f64 v[4:5], v[180:181], v[206:207], -v[4:5]
	v_fmac_f64_e32 v[212:213], v[182:183], v[206:207]
	v_add_f64 v[2:3], v[2:3], v[4:5]
	v_add_f64 v[88:89], v[88:89], v[212:213]
	s_waitcnt vmcnt(2)
	v_add_f64 v[2:3], v[208:209], -v[2:3]
	s_waitcnt vmcnt(0)
	v_add_f64 v[4:5], v[210:211], -v[88:89]
	buffer_store_dword v3, off, s[0:3], 0 offset:132
	buffer_store_dword v2, off, s[0:3], 0 offset:128
	;; [unrolled: 1-line block ×4, first 2 shown]
	s_and_saveexec_b64 s[6:7], vcc
	s_cbranch_execz .LBB88_149
; %bb.148:
	v_accvgpr_read_b32 v5, a18
	buffer_load_dword v2, v5, s[0:3], 0 offen
	buffer_load_dword v3, v5, s[0:3], 0 offen offset:4
	buffer_load_dword v4, v5, s[0:3], 0 offen offset:8
	s_nop 0
	buffer_load_dword v5, v5, s[0:3], 0 offen offset:12
	v_mov_b32_e32 v6, 0
	buffer_store_dword v6, off, s[0:3], 0 offset:112
	buffer_store_dword v6, off, s[0:3], 0 offset:116
	;; [unrolled: 1-line block ×4, first 2 shown]
	s_waitcnt vmcnt(4)
	ds_write_b128 v136, v[2:5]
.LBB88_149:
	s_or_b64 exec, exec, s[6:7]
	s_waitcnt lgkmcnt(0)
	; wave barrier
	s_waitcnt lgkmcnt(0)
	buffer_load_dword v2, off, s[0:3], 0 offset:128
	buffer_load_dword v3, off, s[0:3], 0 offset:132
	;; [unrolled: 1-line block ×68, first 2 shown]
	v_mov_b32_e32 v96, 0
	ds_read_b128 v[92:95], v96 offset:528
	ds_read_b128 v[98:101], v96 offset:544
	buffer_load_dword v216, off, s[0:3], 0 offset:112
	buffer_load_dword v217, off, s[0:3], 0 offset:116
	;; [unrolled: 1-line block ×4, first 2 shown]
	ds_read_b128 v[102:105], v96 offset:560
	ds_read_b128 v[106:109], v96 offset:576
	;; [unrolled: 1-line block ×3, first 2 shown]
	v_cmp_lt_u32_e32 vcc, 6, v171
	s_waitcnt vmcnt(62) lgkmcnt(4)
	v_mul_f64 v[110:111], v[92:93], v[8:9]
	v_fmac_f64_e32 v[110:111], v[94:95], v[2:3]
	v_add_f64 v[110:111], v[110:111], 0
	v_mul_f64 v[8:9], v[94:95], v[8:9]
	s_waitcnt lgkmcnt(3)
	v_mul_f64 v[112:113], v[98:99], v[10:11]
	v_fmac_f64_e32 v[112:113], v[100:101], v[4:5]
	v_add_f64 v[110:111], v[110:111], v[112:113]
	v_fma_f64 v[2:3], v[92:93], v[2:3], -v[8:9]
	s_waitcnt vmcnt(60) lgkmcnt(2)
	v_mul_f64 v[112:113], v[102:103], v[12:13]
	v_fmac_f64_e32 v[112:113], v[104:105], v[6:7]
	v_add_f64 v[114:115], v[110:111], v[112:113]
	ds_read_b128 v[110:113], v96 offset:592
	s_waitcnt vmcnt(56) lgkmcnt(2)
	v_mul_f64 v[116:117], v[106:107], v[18:19]
	v_mul_f64 v[8:9], v[100:101], v[10:11]
	s_waitcnt vmcnt(54)
	v_fmac_f64_e32 v[116:117], v[108:109], v[20:21]
	v_add_f64 v[118:119], v[114:115], v[116:117]
	ds_read_b128 v[114:117], v96 offset:608
	s_waitcnt vmcnt(52) lgkmcnt(1)
	v_mul_f64 v[120:121], v[110:111], v[14:15]
	v_fmac_f64_e32 v[120:121], v[112:113], v[16:17]
	v_add_f64 v[122:123], v[118:119], v[120:121]
	ds_read_b128 v[118:121], v96 offset:624
	s_waitcnt vmcnt(48) lgkmcnt(1)
	v_mul_f64 v[124:125], v[114:115], v[26:27]
	s_waitcnt vmcnt(46)
	v_fmac_f64_e32 v[124:125], v[116:117], v[28:29]
	v_add_f64 v[126:127], v[122:123], v[124:125]
	ds_read_b128 v[122:125], v96 offset:640
	s_waitcnt vmcnt(44) lgkmcnt(1)
	v_mul_f64 v[128:129], v[118:119], v[22:23]
	v_fmac_f64_e32 v[128:129], v[120:121], v[24:25]
	v_add_f64 v[130:131], v[126:127], v[128:129]
	ds_read_b128 v[126:129], v96 offset:656
	s_waitcnt vmcnt(40) lgkmcnt(1)
	v_mul_f64 v[132:133], v[122:123], v[84:85]
	s_waitcnt vmcnt(38)
	v_fmac_f64_e32 v[132:133], v[124:125], v[86:87]
	v_add_f64 v[2:3], v[2:3], 0
	v_fma_f64 v[4:5], v[98:99], v[4:5], -v[8:9]
	v_add_f64 v[138:139], v[130:131], v[132:133]
	ds_read_b128 v[130:133], v96 offset:672
	v_add_f64 v[2:3], v[2:3], v[4:5]
	v_mul_f64 v[4:5], v[104:105], v[12:13]
	v_fma_f64 v[4:5], v[102:103], v[6:7], -v[4:5]
	v_add_f64 v[2:3], v[2:3], v[4:5]
	v_mul_f64 v[4:5], v[108:109], v[18:19]
	s_waitcnt vmcnt(36) lgkmcnt(1)
	v_mul_f64 v[140:141], v[126:127], v[30:31]
	v_fma_f64 v[4:5], v[106:107], v[20:21], -v[4:5]
	v_fmac_f64_e32 v[140:141], v[128:129], v[32:33]
	v_add_f64 v[2:3], v[2:3], v[4:5]
	v_mul_f64 v[4:5], v[112:113], v[14:15]
	v_add_f64 v[142:143], v[138:139], v[140:141]
	ds_read_b128 v[138:141], v96 offset:688
	s_waitcnt vmcnt(32) lgkmcnt(1)
	v_mul_f64 v[144:145], v[130:131], v[134:135]
	v_fma_f64 v[4:5], v[110:111], v[16:17], -v[4:5]
	s_waitcnt vmcnt(30)
	v_fmac_f64_e32 v[144:145], v[132:133], v[146:147]
	v_add_f64 v[2:3], v[2:3], v[4:5]
	v_mul_f64 v[4:5], v[116:117], v[26:27]
	v_add_f64 v[172:173], v[142:143], v[144:145]
	ds_read_b128 v[142:145], v96 offset:704
	v_fma_f64 v[4:5], v[114:115], v[28:29], -v[4:5]
	v_add_f64 v[2:3], v[2:3], v[4:5]
	v_mul_f64 v[4:5], v[120:121], v[22:23]
	v_fma_f64 v[4:5], v[118:119], v[24:25], -v[4:5]
	s_waitcnt vmcnt(28) lgkmcnt(1)
	v_mul_f64 v[174:175], v[138:139], v[88:89]
	v_add_f64 v[2:3], v[2:3], v[4:5]
	v_mul_f64 v[4:5], v[124:125], v[84:85]
	v_fmac_f64_e32 v[174:175], v[140:141], v[90:91]
	v_fma_f64 v[4:5], v[122:123], v[86:87], -v[4:5]
	v_add_f64 v[176:177], v[172:173], v[174:175]
	ds_read_b128 v[172:175], v96 offset:720
	s_waitcnt vmcnt(24) lgkmcnt(1)
	v_mul_f64 v[178:179], v[142:143], v[196:197]
	v_add_f64 v[2:3], v[2:3], v[4:5]
	v_mul_f64 v[4:5], v[128:129], v[30:31]
	s_waitcnt vmcnt(22)
	v_fmac_f64_e32 v[178:179], v[144:145], v[198:199]
	v_fma_f64 v[4:5], v[126:127], v[32:33], -v[4:5]
	v_add_f64 v[180:181], v[176:177], v[178:179]
	ds_read_b128 v[176:179], v96 offset:736
	v_add_f64 v[2:3], v[2:3], v[4:5]
	v_mul_f64 v[4:5], v[132:133], v[134:135]
	v_fma_f64 v[4:5], v[130:131], v[146:147], -v[4:5]
	v_add_f64 v[2:3], v[2:3], v[4:5]
	v_mul_f64 v[4:5], v[140:141], v[88:89]
	s_waitcnt vmcnt(20) lgkmcnt(1)
	v_mul_f64 v[182:183], v[172:173], v[192:193]
	v_fma_f64 v[4:5], v[138:139], v[90:91], -v[4:5]
	v_fmac_f64_e32 v[182:183], v[174:175], v[194:195]
	v_add_f64 v[2:3], v[2:3], v[4:5]
	v_mul_f64 v[4:5], v[144:145], v[196:197]
	v_add_f64 v[184:185], v[180:181], v[182:183]
	ds_read_b128 v[180:183], v96 offset:752
	s_waitcnt vmcnt(16) lgkmcnt(1)
	v_mul_f64 v[186:187], v[176:177], v[204:205]
	v_fma_f64 v[4:5], v[142:143], v[198:199], -v[4:5]
	s_waitcnt vmcnt(14)
	v_fmac_f64_e32 v[186:187], v[178:179], v[206:207]
	v_add_f64 v[2:3], v[2:3], v[4:5]
	v_mul_f64 v[4:5], v[174:175], v[192:193]
	v_add_f64 v[220:221], v[184:185], v[186:187]
	ds_read_b128 v[184:187], v96 offset:768
	v_fma_f64 v[4:5], v[172:173], v[194:195], -v[4:5]
	v_add_f64 v[2:3], v[2:3], v[4:5]
	v_mul_f64 v[4:5], v[178:179], v[204:205]
	v_fma_f64 v[4:5], v[176:177], v[206:207], -v[4:5]
	v_add_f64 v[2:3], v[2:3], v[4:5]
	s_waitcnt vmcnt(12) lgkmcnt(1)
	v_mul_f64 v[4:5], v[182:183], v[200:201]
	v_mul_f64 v[222:223], v[180:181], v[200:201]
	v_fma_f64 v[4:5], v[180:181], v[202:203], -v[4:5]
	v_fmac_f64_e32 v[222:223], v[182:183], v[202:203]
	v_add_f64 v[2:3], v[2:3], v[4:5]
	s_waitcnt vmcnt(8) lgkmcnt(0)
	v_mul_f64 v[4:5], v[186:187], v[212:213]
	v_add_f64 v[220:221], v[220:221], v[222:223]
	v_mul_f64 v[222:223], v[184:185], v[212:213]
	s_waitcnt vmcnt(6)
	v_fma_f64 v[4:5], v[184:185], v[214:215], -v[4:5]
	v_fmac_f64_e32 v[222:223], v[186:187], v[214:215]
	v_add_f64 v[2:3], v[2:3], v[4:5]
	s_waitcnt vmcnt(5)
	v_mul_f64 v[4:5], v[190:191], v[208:209]
	v_add_f64 v[220:221], v[220:221], v[222:223]
	v_mul_f64 v[222:223], v[188:189], v[208:209]
	s_waitcnt vmcnt(4)
	v_fma_f64 v[4:5], v[188:189], v[210:211], -v[4:5]
	v_fmac_f64_e32 v[222:223], v[190:191], v[210:211]
	v_add_f64 v[2:3], v[2:3], v[4:5]
	v_add_f64 v[220:221], v[220:221], v[222:223]
	s_waitcnt vmcnt(2)
	v_add_f64 v[2:3], v[216:217], -v[2:3]
	s_waitcnt vmcnt(0)
	v_add_f64 v[4:5], v[218:219], -v[220:221]
	buffer_store_dword v3, off, s[0:3], 0 offset:116
	buffer_store_dword v2, off, s[0:3], 0 offset:112
	;; [unrolled: 1-line block ×4, first 2 shown]
	s_and_saveexec_b64 s[6:7], vcc
	s_cbranch_execz .LBB88_151
; %bb.150:
	v_accvgpr_read_b32 v5, a20
	buffer_load_dword v2, v5, s[0:3], 0 offen
	buffer_load_dword v3, v5, s[0:3], 0 offen offset:4
	buffer_load_dword v4, v5, s[0:3], 0 offen offset:8
	s_nop 0
	buffer_load_dword v5, v5, s[0:3], 0 offen offset:12
	s_nop 0
	buffer_store_dword v96, off, s[0:3], 0 offset:96
	buffer_store_dword v96, off, s[0:3], 0 offset:100
	;; [unrolled: 1-line block ×4, first 2 shown]
	s_waitcnt vmcnt(4)
	ds_write_b128 v136, v[2:5]
.LBB88_151:
	s_or_b64 exec, exec, s[6:7]
	s_waitcnt lgkmcnt(0)
	; wave barrier
	s_waitcnt lgkmcnt(0)
	buffer_load_dword v2, off, s[0:3], 0 offset:112
	buffer_load_dword v3, off, s[0:3], 0 offset:116
	;; [unrolled: 1-line block ×72, first 2 shown]
	ds_read_b128 v[98:101], v96 offset:512
	buffer_load_dword v224, off, s[0:3], 0 offset:96
	buffer_load_dword v225, off, s[0:3], 0 offset:100
	;; [unrolled: 1-line block ×4, first 2 shown]
	ds_read_b128 v[102:105], v96 offset:528
	ds_read_b128 v[106:109], v96 offset:544
	;; [unrolled: 1-line block ×3, first 2 shown]
	v_cmp_lt_u32_e32 vcc, 5, v171
	ds_read_b128 v[196:199], v96 offset:784
	s_waitcnt vmcnt(62) lgkmcnt(4)
	v_mul_f64 v[114:115], v[98:99], v[8:9]
	v_fmac_f64_e32 v[114:115], v[100:101], v[2:3]
	v_add_f64 v[114:115], v[114:115], 0
	v_mul_f64 v[8:9], v[100:101], v[8:9]
	s_waitcnt lgkmcnt(3)
	v_mul_f64 v[116:117], v[102:103], v[10:11]
	v_fmac_f64_e32 v[116:117], v[104:105], v[4:5]
	v_add_f64 v[114:115], v[114:115], v[116:117]
	v_fma_f64 v[2:3], v[98:99], v[2:3], -v[8:9]
	s_waitcnt lgkmcnt(2)
	v_mul_f64 v[116:117], v[106:107], v[12:13]
	v_fmac_f64_e32 v[116:117], v[108:109], v[6:7]
	v_add_f64 v[118:119], v[114:115], v[116:117]
	ds_read_b128 v[114:117], v96 offset:576
	s_waitcnt vmcnt(60) lgkmcnt(2)
	v_mul_f64 v[120:121], v[110:111], v[18:19]
	v_mul_f64 v[8:9], v[104:105], v[10:11]
	s_waitcnt vmcnt(58)
	v_fmac_f64_e32 v[120:121], v[112:113], v[20:21]
	v_add_f64 v[122:123], v[118:119], v[120:121]
	ds_read_b128 v[118:121], v96 offset:592
	s_waitcnt vmcnt(56) lgkmcnt(1)
	v_mul_f64 v[124:125], v[114:115], v[14:15]
	v_fmac_f64_e32 v[124:125], v[116:117], v[16:17]
	v_add_f64 v[126:127], v[122:123], v[124:125]
	ds_read_b128 v[122:125], v96 offset:608
	s_waitcnt vmcnt(52) lgkmcnt(1)
	v_mul_f64 v[128:129], v[118:119], v[26:27]
	s_waitcnt vmcnt(50)
	v_fmac_f64_e32 v[128:129], v[120:121], v[28:29]
	v_add_f64 v[130:131], v[126:127], v[128:129]
	ds_read_b128 v[126:129], v96 offset:624
	s_waitcnt vmcnt(48) lgkmcnt(1)
	v_mul_f64 v[132:133], v[122:123], v[22:23]
	v_fmac_f64_e32 v[132:133], v[124:125], v[24:25]
	v_add_f64 v[138:139], v[130:131], v[132:133]
	ds_read_b128 v[130:133], v96 offset:640
	s_waitcnt vmcnt(44) lgkmcnt(1)
	v_mul_f64 v[140:141], v[126:127], v[84:85]
	s_waitcnt vmcnt(42)
	v_fmac_f64_e32 v[140:141], v[128:129], v[86:87]
	v_add_f64 v[2:3], v[2:3], 0
	v_fma_f64 v[4:5], v[102:103], v[4:5], -v[8:9]
	v_add_f64 v[142:143], v[138:139], v[140:141]
	ds_read_b128 v[138:141], v96 offset:656
	s_waitcnt vmcnt(40) lgkmcnt(1)
	v_mul_f64 v[144:145], v[130:131], v[30:31]
	v_add_f64 v[2:3], v[2:3], v[4:5]
	v_mul_f64 v[4:5], v[108:109], v[12:13]
	v_fmac_f64_e32 v[144:145], v[132:133], v[32:33]
	v_fma_f64 v[4:5], v[106:107], v[6:7], -v[4:5]
	v_add_f64 v[172:173], v[142:143], v[144:145]
	ds_read_b128 v[142:145], v96 offset:672
	v_add_f64 v[2:3], v[2:3], v[4:5]
	v_mul_f64 v[4:5], v[112:113], v[18:19]
	v_fma_f64 v[4:5], v[110:111], v[20:21], -v[4:5]
	v_add_f64 v[2:3], v[2:3], v[4:5]
	v_mul_f64 v[4:5], v[116:117], v[14:15]
	s_waitcnt vmcnt(36) lgkmcnt(1)
	v_mul_f64 v[174:175], v[138:139], v[92:93]
	v_fma_f64 v[4:5], v[114:115], v[16:17], -v[4:5]
	s_waitcnt vmcnt(34)
	v_fmac_f64_e32 v[174:175], v[140:141], v[94:95]
	v_add_f64 v[2:3], v[2:3], v[4:5]
	v_mul_f64 v[4:5], v[120:121], v[26:27]
	v_add_f64 v[176:177], v[172:173], v[174:175]
	ds_read_b128 v[172:175], v96 offset:688
	s_waitcnt vmcnt(32) lgkmcnt(1)
	v_mul_f64 v[178:179], v[142:143], v[88:89]
	v_fma_f64 v[4:5], v[118:119], v[28:29], -v[4:5]
	v_fmac_f64_e32 v[178:179], v[144:145], v[90:91]
	v_add_f64 v[2:3], v[2:3], v[4:5]
	v_mul_f64 v[4:5], v[124:125], v[22:23]
	v_add_f64 v[180:181], v[176:177], v[178:179]
	ds_read_b128 v[176:179], v96 offset:704
	v_fma_f64 v[4:5], v[122:123], v[24:25], -v[4:5]
	v_add_f64 v[2:3], v[2:3], v[4:5]
	v_mul_f64 v[4:5], v[128:129], v[84:85]
	v_fma_f64 v[4:5], v[126:127], v[86:87], -v[4:5]
	s_waitcnt vmcnt(28) lgkmcnt(1)
	v_mul_f64 v[182:183], v[172:173], v[200:201]
	v_add_f64 v[2:3], v[2:3], v[4:5]
	v_mul_f64 v[4:5], v[132:133], v[30:31]
	s_waitcnt vmcnt(26)
	v_fmac_f64_e32 v[182:183], v[174:175], v[202:203]
	v_fma_f64 v[4:5], v[130:131], v[32:33], -v[4:5]
	v_add_f64 v[184:185], v[180:181], v[182:183]
	ds_read_b128 v[180:183], v96 offset:720
	s_waitcnt vmcnt(24) lgkmcnt(1)
	v_mul_f64 v[186:187], v[176:177], v[134:135]
	v_add_f64 v[2:3], v[2:3], v[4:5]
	v_mul_f64 v[4:5], v[140:141], v[92:93]
	v_fmac_f64_e32 v[186:187], v[178:179], v[146:147]
	v_fma_f64 v[4:5], v[138:139], v[94:95], -v[4:5]
	v_add_f64 v[188:189], v[184:185], v[186:187]
	ds_read_b128 v[184:187], v96 offset:736
	v_add_f64 v[2:3], v[2:3], v[4:5]
	v_mul_f64 v[4:5], v[144:145], v[88:89]
	v_fma_f64 v[4:5], v[142:143], v[90:91], -v[4:5]
	v_add_f64 v[2:3], v[2:3], v[4:5]
	v_mul_f64 v[4:5], v[174:175], v[200:201]
	s_waitcnt vmcnt(20) lgkmcnt(1)
	v_mul_f64 v[190:191], v[180:181], v[208:209]
	v_fma_f64 v[4:5], v[172:173], v[202:203], -v[4:5]
	s_waitcnt vmcnt(18)
	v_fmac_f64_e32 v[190:191], v[182:183], v[210:211]
	v_add_f64 v[2:3], v[2:3], v[4:5]
	v_mul_f64 v[4:5], v[178:179], v[134:135]
	v_add_f64 v[192:193], v[188:189], v[190:191]
	ds_read_b128 v[188:191], v96 offset:752
	s_waitcnt vmcnt(16) lgkmcnt(1)
	v_mul_f64 v[194:195], v[184:185], v[204:205]
	v_fma_f64 v[4:5], v[176:177], v[146:147], -v[4:5]
	v_fmac_f64_e32 v[194:195], v[186:187], v[206:207]
	v_add_f64 v[2:3], v[2:3], v[4:5]
	v_mul_f64 v[4:5], v[182:183], v[208:209]
	v_add_f64 v[228:229], v[192:193], v[194:195]
	ds_read_b128 v[192:195], v96 offset:768
	v_fma_f64 v[4:5], v[180:181], v[210:211], -v[4:5]
	v_add_f64 v[2:3], v[2:3], v[4:5]
	v_mul_f64 v[4:5], v[186:187], v[204:205]
	v_fma_f64 v[4:5], v[184:185], v[206:207], -v[4:5]
	v_add_f64 v[2:3], v[2:3], v[4:5]
	s_waitcnt vmcnt(12) lgkmcnt(1)
	v_mul_f64 v[4:5], v[190:191], v[216:217]
	v_mul_f64 v[230:231], v[188:189], v[216:217]
	s_waitcnt vmcnt(10)
	v_fma_f64 v[4:5], v[188:189], v[218:219], -v[4:5]
	v_fmac_f64_e32 v[230:231], v[190:191], v[218:219]
	v_add_f64 v[2:3], v[2:3], v[4:5]
	s_waitcnt vmcnt(8) lgkmcnt(0)
	v_mul_f64 v[4:5], v[194:195], v[212:213]
	v_add_f64 v[96:97], v[228:229], v[230:231]
	v_mul_f64 v[228:229], v[192:193], v[212:213]
	v_fma_f64 v[4:5], v[192:193], v[214:215], -v[4:5]
	v_fmac_f64_e32 v[228:229], v[194:195], v[214:215]
	v_add_f64 v[2:3], v[2:3], v[4:5]
	s_waitcnt vmcnt(6)
	v_mul_f64 v[4:5], v[198:199], v[220:221]
	v_add_f64 v[96:97], v[96:97], v[228:229]
	v_mul_f64 v[228:229], v[196:197], v[220:221]
	s_waitcnt vmcnt(4)
	v_fma_f64 v[4:5], v[196:197], v[222:223], -v[4:5]
	v_fmac_f64_e32 v[228:229], v[198:199], v[222:223]
	v_add_f64 v[2:3], v[2:3], v[4:5]
	v_add_f64 v[96:97], v[96:97], v[228:229]
	s_waitcnt vmcnt(2)
	v_add_f64 v[2:3], v[224:225], -v[2:3]
	s_waitcnt vmcnt(0)
	v_add_f64 v[4:5], v[226:227], -v[96:97]
	buffer_store_dword v3, off, s[0:3], 0 offset:100
	buffer_store_dword v2, off, s[0:3], 0 offset:96
	;; [unrolled: 1-line block ×4, first 2 shown]
	s_and_saveexec_b64 s[6:7], vcc
	s_cbranch_execz .LBB88_153
; %bb.152:
	v_accvgpr_read_b32 v5, a17
	buffer_load_dword v2, v5, s[0:3], 0 offen
	buffer_load_dword v3, v5, s[0:3], 0 offen offset:4
	buffer_load_dword v4, v5, s[0:3], 0 offen offset:8
	s_nop 0
	buffer_load_dword v5, v5, s[0:3], 0 offen offset:12
	v_mov_b32_e32 v6, 0
	buffer_store_dword v6, off, s[0:3], 0 offset:80
	buffer_store_dword v6, off, s[0:3], 0 offset:84
	buffer_store_dword v6, off, s[0:3], 0 offset:88
	buffer_store_dword v6, off, s[0:3], 0 offset:92
	s_waitcnt vmcnt(4)
	ds_write_b128 v136, v[2:5]
.LBB88_153:
	s_or_b64 exec, exec, s[6:7]
	s_waitcnt lgkmcnt(0)
	; wave barrier
	s_waitcnt lgkmcnt(0)
	buffer_load_dword v2, off, s[0:3], 0 offset:96
	buffer_load_dword v3, off, s[0:3], 0 offset:100
	;; [unrolled: 1-line block ×76, first 2 shown]
	v_mov_b32_e32 v104, 0
	ds_read_b128 v[106:109], v104 offset:496
	buffer_load_dword v232, off, s[0:3], 0 offset:80
	buffer_load_dword v233, off, s[0:3], 0 offset:84
	;; [unrolled: 1-line block ×4, first 2 shown]
	ds_read_b128 v[110:113], v104 offset:512
	ds_read_b128 v[114:117], v104 offset:528
	;; [unrolled: 1-line block ×4, first 2 shown]
	v_cmp_lt_u32_e32 vcc, 4, v171
	s_waitcnt vmcnt(62) lgkmcnt(4)
	v_mul_f64 v[122:123], v[106:107], v[8:9]
	v_fmac_f64_e32 v[122:123], v[108:109], v[2:3]
	v_add_f64 v[122:123], v[122:123], 0
	v_mul_f64 v[8:9], v[108:109], v[8:9]
	s_waitcnt lgkmcnt(3)
	v_mul_f64 v[124:125], v[110:111], v[10:11]
	v_fmac_f64_e32 v[124:125], v[112:113], v[4:5]
	v_add_f64 v[122:123], v[122:123], v[124:125]
	v_fma_f64 v[2:3], v[106:107], v[2:3], -v[8:9]
	s_waitcnt lgkmcnt(2)
	v_mul_f64 v[124:125], v[114:115], v[12:13]
	v_fmac_f64_e32 v[124:125], v[116:117], v[6:7]
	v_add_f64 v[126:127], v[122:123], v[124:125]
	ds_read_b128 v[122:125], v104 offset:560
	s_waitcnt lgkmcnt(2)
	v_mul_f64 v[128:129], v[118:119], v[18:19]
	v_mul_f64 v[8:9], v[112:113], v[10:11]
	v_fmac_f64_e32 v[128:129], v[120:121], v[20:21]
	v_add_f64 v[130:131], v[126:127], v[128:129]
	ds_read_b128 v[126:129], v104 offset:576
	s_waitcnt vmcnt(60) lgkmcnt(1)
	v_mul_f64 v[132:133], v[122:123], v[14:15]
	v_fmac_f64_e32 v[132:133], v[124:125], v[16:17]
	v_add_f64 v[138:139], v[130:131], v[132:133]
	ds_read_b128 v[130:133], v104 offset:592
	s_waitcnt vmcnt(56) lgkmcnt(1)
	v_mul_f64 v[140:141], v[126:127], v[26:27]
	s_waitcnt vmcnt(54)
	v_fmac_f64_e32 v[140:141], v[128:129], v[28:29]
	v_add_f64 v[142:143], v[138:139], v[140:141]
	ds_read_b128 v[138:141], v104 offset:608
	s_waitcnt vmcnt(52) lgkmcnt(1)
	v_mul_f64 v[144:145], v[130:131], v[22:23]
	v_fmac_f64_e32 v[144:145], v[132:133], v[24:25]
	v_add_f64 v[172:173], v[142:143], v[144:145]
	ds_read_b128 v[142:145], v104 offset:624
	s_waitcnt vmcnt(48) lgkmcnt(1)
	v_mul_f64 v[174:175], v[138:139], v[84:85]
	s_waitcnt vmcnt(46)
	v_fmac_f64_e32 v[174:175], v[140:141], v[86:87]
	v_add_f64 v[176:177], v[172:173], v[174:175]
	ds_read_b128 v[172:175], v104 offset:640
	v_add_f64 v[2:3], v[2:3], 0
	v_fma_f64 v[4:5], v[110:111], v[4:5], -v[8:9]
	s_waitcnt vmcnt(44) lgkmcnt(1)
	v_mul_f64 v[178:179], v[142:143], v[30:31]
	v_add_f64 v[2:3], v[2:3], v[4:5]
	v_mul_f64 v[4:5], v[116:117], v[12:13]
	v_fmac_f64_e32 v[178:179], v[144:145], v[32:33]
	v_fma_f64 v[4:5], v[114:115], v[6:7], -v[4:5]
	v_add_f64 v[180:181], v[176:177], v[178:179]
	ds_read_b128 v[176:179], v104 offset:656
	s_waitcnt vmcnt(40) lgkmcnt(1)
	v_mul_f64 v[182:183], v[172:173], v[92:93]
	v_add_f64 v[2:3], v[2:3], v[4:5]
	v_mul_f64 v[4:5], v[120:121], v[18:19]
	s_waitcnt vmcnt(38)
	v_fmac_f64_e32 v[182:183], v[174:175], v[94:95]
	v_fma_f64 v[4:5], v[118:119], v[20:21], -v[4:5]
	v_add_f64 v[184:185], v[180:181], v[182:183]
	ds_read_b128 v[180:183], v104 offset:672
	v_add_f64 v[2:3], v[2:3], v[4:5]
	v_mul_f64 v[4:5], v[124:125], v[14:15]
	v_fma_f64 v[4:5], v[122:123], v[16:17], -v[4:5]
	v_add_f64 v[2:3], v[2:3], v[4:5]
	v_mul_f64 v[4:5], v[128:129], v[26:27]
	s_waitcnt vmcnt(36) lgkmcnt(1)
	v_mul_f64 v[186:187], v[176:177], v[88:89]
	v_fma_f64 v[4:5], v[126:127], v[28:29], -v[4:5]
	v_fmac_f64_e32 v[186:187], v[178:179], v[90:91]
	v_add_f64 v[2:3], v[2:3], v[4:5]
	v_mul_f64 v[4:5], v[132:133], v[22:23]
	v_add_f64 v[188:189], v[184:185], v[186:187]
	ds_read_b128 v[184:187], v104 offset:688
	s_waitcnt vmcnt(32) lgkmcnt(1)
	v_mul_f64 v[190:191], v[180:181], v[100:101]
	v_fma_f64 v[4:5], v[130:131], v[24:25], -v[4:5]
	s_waitcnt vmcnt(30)
	v_fmac_f64_e32 v[190:191], v[182:183], v[102:103]
	v_add_f64 v[2:3], v[2:3], v[4:5]
	v_mul_f64 v[4:5], v[140:141], v[84:85]
	v_add_f64 v[192:193], v[188:189], v[190:191]
	ds_read_b128 v[188:191], v104 offset:704
	v_fma_f64 v[4:5], v[138:139], v[86:87], -v[4:5]
	v_add_f64 v[2:3], v[2:3], v[4:5]
	v_mul_f64 v[4:5], v[144:145], v[30:31]
	v_fma_f64 v[4:5], v[142:143], v[32:33], -v[4:5]
	s_waitcnt vmcnt(28) lgkmcnt(1)
	v_mul_f64 v[194:195], v[184:185], v[96:97]
	v_add_f64 v[2:3], v[2:3], v[4:5]
	v_mul_f64 v[4:5], v[174:175], v[92:93]
	v_fmac_f64_e32 v[194:195], v[186:187], v[98:99]
	v_fma_f64 v[4:5], v[172:173], v[94:95], -v[4:5]
	v_add_f64 v[196:197], v[192:193], v[194:195]
	ds_read_b128 v[192:195], v104 offset:720
	s_waitcnt vmcnt(24) lgkmcnt(1)
	v_mul_f64 v[198:199], v[188:189], v[212:213]
	v_add_f64 v[2:3], v[2:3], v[4:5]
	v_mul_f64 v[4:5], v[178:179], v[88:89]
	s_waitcnt vmcnt(22)
	v_fmac_f64_e32 v[198:199], v[190:191], v[214:215]
	v_fma_f64 v[4:5], v[176:177], v[90:91], -v[4:5]
	v_add_f64 v[200:201], v[196:197], v[198:199]
	ds_read_b128 v[196:199], v104 offset:736
	v_add_f64 v[2:3], v[2:3], v[4:5]
	v_mul_f64 v[4:5], v[182:183], v[100:101]
	v_fma_f64 v[4:5], v[180:181], v[102:103], -v[4:5]
	v_add_f64 v[2:3], v[2:3], v[4:5]
	v_mul_f64 v[4:5], v[186:187], v[96:97]
	s_waitcnt vmcnt(20) lgkmcnt(1)
	v_mul_f64 v[202:203], v[192:193], v[134:135]
	v_fma_f64 v[4:5], v[184:185], v[98:99], -v[4:5]
	v_fmac_f64_e32 v[202:203], v[194:195], v[146:147]
	v_add_f64 v[2:3], v[2:3], v[4:5]
	v_mul_f64 v[4:5], v[190:191], v[212:213]
	v_add_f64 v[204:205], v[200:201], v[202:203]
	ds_read_b128 v[200:203], v104 offset:752
	s_waitcnt vmcnt(16) lgkmcnt(1)
	v_mul_f64 v[206:207], v[196:197], v[220:221]
	v_fma_f64 v[4:5], v[188:189], v[214:215], -v[4:5]
	s_waitcnt vmcnt(14)
	v_fmac_f64_e32 v[206:207], v[198:199], v[222:223]
	v_add_f64 v[2:3], v[2:3], v[4:5]
	v_mul_f64 v[4:5], v[194:195], v[134:135]
	v_add_f64 v[236:237], v[204:205], v[206:207]
	ds_read_b128 v[204:207], v104 offset:768
	v_fma_f64 v[4:5], v[192:193], v[146:147], -v[4:5]
	v_add_f64 v[2:3], v[2:3], v[4:5]
	v_mul_f64 v[4:5], v[198:199], v[220:221]
	v_fma_f64 v[4:5], v[196:197], v[222:223], -v[4:5]
	v_add_f64 v[2:3], v[2:3], v[4:5]
	s_waitcnt vmcnt(12) lgkmcnt(1)
	v_mul_f64 v[4:5], v[202:203], v[216:217]
	v_mul_f64 v[238:239], v[200:201], v[216:217]
	v_fma_f64 v[4:5], v[200:201], v[218:219], -v[4:5]
	v_fmac_f64_e32 v[238:239], v[202:203], v[218:219]
	v_add_f64 v[2:3], v[2:3], v[4:5]
	s_waitcnt vmcnt(8) lgkmcnt(0)
	v_mul_f64 v[4:5], v[206:207], v[228:229]
	v_add_f64 v[236:237], v[236:237], v[238:239]
	v_mul_f64 v[238:239], v[204:205], v[228:229]
	s_waitcnt vmcnt(6)
	v_fma_f64 v[4:5], v[204:205], v[230:231], -v[4:5]
	v_fmac_f64_e32 v[238:239], v[206:207], v[230:231]
	v_add_f64 v[2:3], v[2:3], v[4:5]
	s_waitcnt vmcnt(5)
	v_mul_f64 v[4:5], v[210:211], v[224:225]
	v_add_f64 v[236:237], v[236:237], v[238:239]
	v_mul_f64 v[238:239], v[208:209], v[224:225]
	s_waitcnt vmcnt(4)
	v_fma_f64 v[4:5], v[208:209], v[226:227], -v[4:5]
	v_fmac_f64_e32 v[238:239], v[210:211], v[226:227]
	v_add_f64 v[2:3], v[2:3], v[4:5]
	v_add_f64 v[236:237], v[236:237], v[238:239]
	s_waitcnt vmcnt(2)
	v_add_f64 v[2:3], v[232:233], -v[2:3]
	s_waitcnt vmcnt(0)
	v_add_f64 v[4:5], v[234:235], -v[236:237]
	buffer_store_dword v3, off, s[0:3], 0 offset:84
	buffer_store_dword v2, off, s[0:3], 0 offset:80
	;; [unrolled: 1-line block ×4, first 2 shown]
	s_and_saveexec_b64 s[6:7], vcc
	s_cbranch_execz .LBB88_155
; %bb.154:
	v_accvgpr_read_b32 v5, a19
	buffer_load_dword v2, v5, s[0:3], 0 offen
	buffer_load_dword v3, v5, s[0:3], 0 offen offset:4
	buffer_load_dword v4, v5, s[0:3], 0 offen offset:8
	s_nop 0
	buffer_load_dword v5, v5, s[0:3], 0 offen offset:12
	s_nop 0
	buffer_store_dword v104, off, s[0:3], 0 offset:64
	buffer_store_dword v104, off, s[0:3], 0 offset:68
	;; [unrolled: 1-line block ×4, first 2 shown]
	s_waitcnt vmcnt(4)
	ds_write_b128 v136, v[2:5]
.LBB88_155:
	s_or_b64 exec, exec, s[6:7]
	s_waitcnt lgkmcnt(0)
	; wave barrier
	s_waitcnt lgkmcnt(0)
	buffer_load_dword v2, off, s[0:3], 0 offset:80
	buffer_load_dword v3, off, s[0:3], 0 offset:84
	;; [unrolled: 1-line block ×76, first 2 shown]
	ds_read_b128 v[106:109], v104 offset:480
	buffer_load_dword v237, off, s[0:3], 0 offset:396
	buffer_load_dword v236, off, s[0:3], 0 offset:392
	;; [unrolled: 1-line block ×8, first 2 shown]
	ds_read_b128 v[110:113], v104 offset:496
	ds_read_b128 v[114:117], v104 offset:512
	;; [unrolled: 1-line block ×3, first 2 shown]
	v_cmp_lt_u32_e32 vcc, 3, v171
	ds_read_b128 v[212:215], v104 offset:784
	s_waitcnt vmcnt(62) lgkmcnt(4)
	v_mul_f64 v[122:123], v[106:107], v[8:9]
	v_fmac_f64_e32 v[122:123], v[108:109], v[2:3]
	v_add_f64 v[122:123], v[122:123], 0
	v_mul_f64 v[8:9], v[108:109], v[8:9]
	s_waitcnt lgkmcnt(3)
	v_mul_f64 v[124:125], v[110:111], v[10:11]
	v_fmac_f64_e32 v[124:125], v[112:113], v[4:5]
	v_add_f64 v[122:123], v[122:123], v[124:125]
	v_fma_f64 v[2:3], v[106:107], v[2:3], -v[8:9]
	s_waitcnt lgkmcnt(2)
	v_mul_f64 v[124:125], v[114:115], v[12:13]
	v_fmac_f64_e32 v[124:125], v[116:117], v[6:7]
	v_add_f64 v[126:127], v[122:123], v[124:125]
	ds_read_b128 v[122:125], v104 offset:544
	v_mul_f64 v[8:9], v[112:113], v[10:11]
	v_add_f64 v[2:3], v[2:3], 0
	s_waitcnt lgkmcnt(2)
	v_mul_f64 v[128:129], v[118:119], v[18:19]
	v_fma_f64 v[4:5], v[110:111], v[4:5], -v[8:9]
	v_fmac_f64_e32 v[128:129], v[120:121], v[20:21]
	v_add_f64 v[130:131], v[126:127], v[128:129]
	ds_read_b128 v[126:129], v104 offset:560
	s_waitcnt lgkmcnt(1)
	v_mul_f64 v[132:133], v[122:123], v[14:15]
	v_fmac_f64_e32 v[132:133], v[124:125], v[16:17]
	v_add_f64 v[138:139], v[130:131], v[132:133]
	ds_read_b128 v[130:133], v104 offset:576
	s_waitcnt vmcnt(58) lgkmcnt(1)
	v_mul_f64 v[140:141], v[126:127], v[26:27]
	s_waitcnt vmcnt(56)
	v_fmac_f64_e32 v[140:141], v[128:129], v[28:29]
	v_add_f64 v[142:143], v[138:139], v[140:141]
	ds_read_b128 v[138:141], v104 offset:592
	s_waitcnt lgkmcnt(1)
	v_mul_f64 v[144:145], v[130:131], v[22:23]
	v_fmac_f64_e32 v[144:145], v[132:133], v[24:25]
	v_add_f64 v[172:173], v[142:143], v[144:145]
	ds_read_b128 v[142:145], v104 offset:608
	s_waitcnt vmcnt(50) lgkmcnt(1)
	v_mul_f64 v[174:175], v[138:139], v[84:85]
	s_waitcnt vmcnt(48)
	v_fmac_f64_e32 v[174:175], v[140:141], v[86:87]
	v_add_f64 v[176:177], v[172:173], v[174:175]
	ds_read_b128 v[172:175], v104 offset:624
	s_waitcnt lgkmcnt(1)
	v_mul_f64 v[178:179], v[142:143], v[30:31]
	v_fmac_f64_e32 v[178:179], v[144:145], v[32:33]
	v_add_f64 v[180:181], v[176:177], v[178:179]
	ds_read_b128 v[176:179], v104 offset:640
	v_add_f64 v[2:3], v[2:3], v[4:5]
	v_mul_f64 v[4:5], v[116:117], v[12:13]
	v_fma_f64 v[4:5], v[114:115], v[6:7], -v[4:5]
	s_waitcnt vmcnt(42) lgkmcnt(1)
	v_mul_f64 v[182:183], v[172:173], v[92:93]
	v_add_f64 v[2:3], v[2:3], v[4:5]
	v_mul_f64 v[4:5], v[120:121], v[18:19]
	s_waitcnt vmcnt(40)
	v_fmac_f64_e32 v[182:183], v[174:175], v[94:95]
	v_fma_f64 v[4:5], v[118:119], v[20:21], -v[4:5]
	v_add_f64 v[184:185], v[180:181], v[182:183]
	ds_read_b128 v[180:183], v104 offset:656
	s_waitcnt lgkmcnt(1)
	v_mul_f64 v[186:187], v[176:177], v[88:89]
	v_add_f64 v[2:3], v[2:3], v[4:5]
	v_mul_f64 v[4:5], v[124:125], v[14:15]
	v_fmac_f64_e32 v[186:187], v[178:179], v[90:91]
	v_fma_f64 v[4:5], v[122:123], v[16:17], -v[4:5]
	v_add_f64 v[188:189], v[184:185], v[186:187]
	ds_read_b128 v[184:187], v104 offset:672
	v_add_f64 v[2:3], v[2:3], v[4:5]
	v_mul_f64 v[4:5], v[128:129], v[26:27]
	v_fma_f64 v[4:5], v[126:127], v[28:29], -v[4:5]
	v_add_f64 v[2:3], v[2:3], v[4:5]
	v_mul_f64 v[4:5], v[132:133], v[22:23]
	s_waitcnt vmcnt(34) lgkmcnt(1)
	v_mul_f64 v[190:191], v[180:181], v[100:101]
	v_fma_f64 v[4:5], v[130:131], v[24:25], -v[4:5]
	s_waitcnt vmcnt(32)
	v_fmac_f64_e32 v[190:191], v[182:183], v[102:103]
	v_add_f64 v[2:3], v[2:3], v[4:5]
	v_mul_f64 v[4:5], v[140:141], v[84:85]
	v_add_f64 v[192:193], v[188:189], v[190:191]
	ds_read_b128 v[188:191], v104 offset:688
	s_waitcnt lgkmcnt(1)
	v_mul_f64 v[194:195], v[184:185], v[96:97]
	v_fma_f64 v[4:5], v[138:139], v[86:87], -v[4:5]
	v_fmac_f64_e32 v[194:195], v[186:187], v[98:99]
	v_add_f64 v[2:3], v[2:3], v[4:5]
	v_mul_f64 v[4:5], v[144:145], v[30:31]
	v_add_f64 v[196:197], v[192:193], v[194:195]
	ds_read_b128 v[192:195], v104 offset:704
	v_fma_f64 v[4:5], v[142:143], v[32:33], -v[4:5]
	v_add_f64 v[2:3], v[2:3], v[4:5]
	v_mul_f64 v[4:5], v[174:175], v[92:93]
	v_fma_f64 v[4:5], v[172:173], v[94:95], -v[4:5]
	s_waitcnt vmcnt(26) lgkmcnt(1)
	v_mul_f64 v[198:199], v[188:189], v[216:217]
	v_add_f64 v[2:3], v[2:3], v[4:5]
	v_mul_f64 v[4:5], v[178:179], v[88:89]
	s_waitcnt vmcnt(24)
	v_fmac_f64_e32 v[198:199], v[190:191], v[218:219]
	v_fma_f64 v[4:5], v[176:177], v[90:91], -v[4:5]
	v_add_f64 v[200:201], v[196:197], v[198:199]
	ds_read_b128 v[196:199], v104 offset:720
	s_waitcnt lgkmcnt(1)
	v_mul_f64 v[202:203], v[192:193], v[134:135]
	v_add_f64 v[2:3], v[2:3], v[4:5]
	v_mul_f64 v[4:5], v[182:183], v[100:101]
	v_fmac_f64_e32 v[202:203], v[194:195], v[146:147]
	v_fma_f64 v[4:5], v[180:181], v[102:103], -v[4:5]
	v_add_f64 v[204:205], v[200:201], v[202:203]
	ds_read_b128 v[200:203], v104 offset:736
	v_add_f64 v[2:3], v[2:3], v[4:5]
	v_mul_f64 v[4:5], v[186:187], v[96:97]
	v_fma_f64 v[4:5], v[184:185], v[98:99], -v[4:5]
	v_add_f64 v[2:3], v[2:3], v[4:5]
	v_mul_f64 v[4:5], v[190:191], v[216:217]
	s_waitcnt vmcnt(18) lgkmcnt(1)
	v_mul_f64 v[206:207], v[196:197], v[224:225]
	v_fma_f64 v[4:5], v[188:189], v[218:219], -v[4:5]
	s_waitcnt vmcnt(16)
	v_fmac_f64_e32 v[206:207], v[198:199], v[226:227]
	v_add_f64 v[2:3], v[2:3], v[4:5]
	v_mul_f64 v[4:5], v[194:195], v[134:135]
	v_add_f64 v[208:209], v[204:205], v[206:207]
	ds_read_b128 v[204:207], v104 offset:752
	s_waitcnt lgkmcnt(1)
	v_mul_f64 v[210:211], v[200:201], v[220:221]
	v_fma_f64 v[4:5], v[192:193], v[146:147], -v[4:5]
	v_fmac_f64_e32 v[210:211], v[202:203], v[222:223]
	v_add_f64 v[2:3], v[2:3], v[4:5]
	v_mul_f64 v[4:5], v[198:199], v[224:225]
	v_add_f64 v[244:245], v[208:209], v[210:211]
	ds_read_b128 v[208:211], v104 offset:768
	v_fma_f64 v[4:5], v[196:197], v[226:227], -v[4:5]
	v_add_f64 v[2:3], v[2:3], v[4:5]
	v_mul_f64 v[4:5], v[202:203], v[220:221]
	v_fma_f64 v[4:5], v[200:201], v[222:223], -v[4:5]
	v_add_f64 v[2:3], v[2:3], v[4:5]
	s_waitcnt vmcnt(10) lgkmcnt(1)
	v_mul_f64 v[4:5], v[206:207], v[232:233]
	v_mul_f64 v[246:247], v[204:205], v[232:233]
	s_waitcnt vmcnt(8)
	v_fma_f64 v[4:5], v[204:205], v[234:235], -v[4:5]
	v_fmac_f64_e32 v[246:247], v[206:207], v[234:235]
	v_add_f64 v[2:3], v[2:3], v[4:5]
	s_waitcnt lgkmcnt(0)
	v_mul_f64 v[4:5], v[210:211], v[228:229]
	v_add_f64 v[104:105], v[244:245], v[246:247]
	v_mul_f64 v[244:245], v[208:209], v[228:229]
	v_fma_f64 v[4:5], v[208:209], v[230:231], -v[4:5]
	v_fmac_f64_e32 v[244:245], v[210:211], v[230:231]
	v_add_f64 v[2:3], v[2:3], v[4:5]
	s_waitcnt vmcnt(6)
	v_mul_f64 v[4:5], v[214:215], v[236:237]
	v_add_f64 v[104:105], v[104:105], v[244:245]
	v_mul_f64 v[244:245], v[212:213], v[236:237]
	s_waitcnt vmcnt(4)
	v_fma_f64 v[4:5], v[212:213], v[238:239], -v[4:5]
	v_fmac_f64_e32 v[244:245], v[214:215], v[238:239]
	v_add_f64 v[2:3], v[2:3], v[4:5]
	v_add_f64 v[104:105], v[104:105], v[244:245]
	s_waitcnt vmcnt(2)
	v_add_f64 v[2:3], v[240:241], -v[2:3]
	s_waitcnt vmcnt(0)
	v_add_f64 v[4:5], v[242:243], -v[104:105]
	buffer_store_dword v3, off, s[0:3], 0 offset:68
	buffer_store_dword v2, off, s[0:3], 0 offset:64
	;; [unrolled: 1-line block ×4, first 2 shown]
	s_and_saveexec_b64 s[6:7], vcc
	s_cbranch_execz .LBB88_157
; %bb.156:
	v_accvgpr_read_b32 v5, a21
	buffer_load_dword v2, v5, s[0:3], 0 offen
	buffer_load_dword v3, v5, s[0:3], 0 offen offset:4
	buffer_load_dword v4, v5, s[0:3], 0 offen offset:8
	s_nop 0
	buffer_load_dword v5, v5, s[0:3], 0 offen offset:12
	v_mov_b32_e32 v6, 0
	buffer_store_dword v6, off, s[0:3], 0 offset:48
	buffer_store_dword v6, off, s[0:3], 0 offset:52
	;; [unrolled: 1-line block ×4, first 2 shown]
	s_waitcnt vmcnt(4)
	ds_write_b128 v136, v[2:5]
.LBB88_157:
	s_or_b64 exec, exec, s[6:7]
	s_waitcnt lgkmcnt(0)
	; wave barrier
	s_waitcnt lgkmcnt(0)
	buffer_load_dword v4, off, s[0:3], 0 offset:48
	buffer_load_dword v5, off, s[0:3], 0 offset:52
	buffer_load_dword v2, off, s[0:3], 0 offset:56
	buffer_load_dword v3, off, s[0:3], 0 offset:60
	buffer_load_dword v6, off, s[0:3], 0 offset:64
	buffer_load_dword v7, off, s[0:3], 0 offset:68
	buffer_load_dword v12, off, s[0:3], 0 offset:72
	buffer_load_dword v13, off, s[0:3], 0 offset:76
	buffer_load_dword v8, off, s[0:3], 0 offset:80
	buffer_load_dword v9, off, s[0:3], 0 offset:84
	buffer_load_dword v14, off, s[0:3], 0 offset:88
	buffer_load_dword v15, off, s[0:3], 0 offset:92
	buffer_load_dword v10, off, s[0:3], 0 offset:96
	buffer_load_dword v11, off, s[0:3], 0 offset:100
	buffer_load_dword v16, off, s[0:3], 0 offset:104
	buffer_load_dword v17, off, s[0:3], 0 offset:108
	buffer_load_dword v19, off, s[0:3], 0 offset:140
	buffer_load_dword v18, off, s[0:3], 0 offset:136
	buffer_load_dword v21, off, s[0:3], 0 offset:132
	buffer_load_dword v20, off, s[0:3], 0 offset:128
	buffer_load_dword v23, off, s[0:3], 0 offset:124
	buffer_load_dword v22, off, s[0:3], 0 offset:120
	buffer_load_dword v25, off, s[0:3], 0 offset:116
	buffer_load_dword v24, off, s[0:3], 0 offset:112
	buffer_load_dword v27, off, s[0:3], 0 offset:172
	buffer_load_dword v26, off, s[0:3], 0 offset:168
	buffer_load_dword v29, off, s[0:3], 0 offset:164
	buffer_load_dword v28, off, s[0:3], 0 offset:160
	buffer_load_dword v31, off, s[0:3], 0 offset:156
	buffer_load_dword v30, off, s[0:3], 0 offset:152
	buffer_load_dword v33, off, s[0:3], 0 offset:148
	buffer_load_dword v32, off, s[0:3], 0 offset:144
	buffer_load_dword v85, off, s[0:3], 0 offset:204
	buffer_load_dword v84, off, s[0:3], 0 offset:200
	buffer_load_dword v87, off, s[0:3], 0 offset:196
	buffer_load_dword v86, off, s[0:3], 0 offset:192
	buffer_load_dword v89, off, s[0:3], 0 offset:188
	buffer_load_dword v88, off, s[0:3], 0 offset:184
	buffer_load_dword v91, off, s[0:3], 0 offset:180
	buffer_load_dword v90, off, s[0:3], 0 offset:176
	buffer_load_dword v93, off, s[0:3], 0 offset:236
	buffer_load_dword v92, off, s[0:3], 0 offset:232
	buffer_load_dword v95, off, s[0:3], 0 offset:228
	buffer_load_dword v94, off, s[0:3], 0 offset:224
	buffer_load_dword v97, off, s[0:3], 0 offset:220
	buffer_load_dword v96, off, s[0:3], 0 offset:216
	buffer_load_dword v99, off, s[0:3], 0 offset:212
	buffer_load_dword v98, off, s[0:3], 0 offset:208
	buffer_load_dword v101, off, s[0:3], 0 offset:268
	buffer_load_dword v100, off, s[0:3], 0 offset:264
	buffer_load_dword v103, off, s[0:3], 0 offset:260
	buffer_load_dword v102, off, s[0:3], 0 offset:256
	buffer_load_dword v105, off, s[0:3], 0 offset:252
	buffer_load_dword v104, off, s[0:3], 0 offset:248
	buffer_load_dword v107, off, s[0:3], 0 offset:244
	buffer_load_dword v106, off, s[0:3], 0 offset:240
	buffer_load_dword v109, off, s[0:3], 0 offset:300
	buffer_load_dword v108, off, s[0:3], 0 offset:296
	buffer_load_dword v111, off, s[0:3], 0 offset:292
	buffer_load_dword v110, off, s[0:3], 0 offset:288
	buffer_load_dword v113, off, s[0:3], 0 offset:284
	buffer_load_dword v112, off, s[0:3], 0 offset:280
	buffer_load_dword v115, off, s[0:3], 0 offset:276
	buffer_load_dword v114, off, s[0:3], 0 offset:272
	buffer_load_dword v147, off, s[0:3], 0 offset:332
	buffer_load_dword v146, off, s[0:3], 0 offset:328
	buffer_load_dword v229, off, s[0:3], 0 offset:324
	buffer_load_dword v228, off, s[0:3], 0 offset:320
	buffer_load_dword v231, off, s[0:3], 0 offset:316
	buffer_load_dword v230, off, s[0:3], 0 offset:312
	buffer_load_dword v233, off, s[0:3], 0 offset:308
	buffer_load_dword v232, off, s[0:3], 0 offset:304
	buffer_load_dword v235, off, s[0:3], 0 offset:364
	buffer_load_dword v234, off, s[0:3], 0 offset:360
	buffer_load_dword v237, off, s[0:3], 0 offset:356
	buffer_load_dword v236, off, s[0:3], 0 offset:352
	buffer_load_dword v239, off, s[0:3], 0 offset:348
	buffer_load_dword v238, off, s[0:3], 0 offset:344
	buffer_load_dword v241, off, s[0:3], 0 offset:340
	buffer_load_dword v240, off, s[0:3], 0 offset:336
	buffer_load_dword v242, off, s[0:3], 0 offset:392
	buffer_load_dword v245, off, s[0:3], 0 offset:388
	buffer_load_dword v244, off, s[0:3], 0 offset:384
	buffer_load_dword v247, off, s[0:3], 0 offset:380
	buffer_load_dword v246, off, s[0:3], 0 offset:376
	buffer_load_dword v249, off, s[0:3], 0 offset:372
	buffer_load_dword v248, off, s[0:3], 0 offset:368
	buffer_load_dword v243, off, s[0:3], 0 offset:396
	v_mov_b32_e32 v137, 0
	ds_read_b128 v[116:119], v137 offset:464
	ds_read_b128 v[120:123], v137 offset:480
	;; [unrolled: 1-line block ×5, first 2 shown]
	v_cmp_lt_u32_e32 vcc, 2, v171
	s_waitcnt vmcnt(62) lgkmcnt(3)
	v_mul_f64 v[134:135], v[120:121], v[14:15]
	v_mul_f64 v[132:133], v[116:117], v[12:13]
	v_fmac_f64_e32 v[132:133], v[118:119], v[6:7]
	v_add_f64 v[132:133], v[132:133], 0
	v_fmac_f64_e32 v[134:135], v[122:123], v[8:9]
	v_add_f64 v[132:133], v[132:133], v[134:135]
	s_waitcnt lgkmcnt(2)
	v_mul_f64 v[134:135], v[124:125], v[16:17]
	v_fmac_f64_e32 v[134:135], v[126:127], v[10:11]
	v_add_f64 v[138:139], v[132:133], v[134:135]
	ds_read_b128 v[132:135], v137 offset:528
	s_waitcnt lgkmcnt(2)
	v_mul_f64 v[140:141], v[128:129], v[22:23]
	v_fmac_f64_e32 v[140:141], v[130:131], v[24:25]
	v_add_f64 v[142:143], v[138:139], v[140:141]
	ds_read_b128 v[138:141], v137 offset:544
	;; [unrolled: 5-line block ×3, first 2 shown]
	s_waitcnt vmcnt(58) lgkmcnt(1)
	v_mul_f64 v[174:175], v[138:139], v[30:31]
	s_waitcnt vmcnt(56)
	v_fmac_f64_e32 v[174:175], v[140:141], v[32:33]
	v_add_f64 v[176:177], v[172:173], v[174:175]
	ds_read_b128 v[172:175], v137 offset:576
	s_waitcnt lgkmcnt(1)
	v_mul_f64 v[178:179], v[142:143], v[26:27]
	v_fmac_f64_e32 v[178:179], v[144:145], v[28:29]
	v_add_f64 v[180:181], v[176:177], v[178:179]
	ds_read_b128 v[176:179], v137 offset:592
	s_waitcnt vmcnt(50) lgkmcnt(1)
	v_mul_f64 v[182:183], v[172:173], v[88:89]
	s_waitcnt vmcnt(48)
	v_fmac_f64_e32 v[182:183], v[174:175], v[90:91]
	v_add_f64 v[184:185], v[180:181], v[182:183]
	ds_read_b128 v[180:183], v137 offset:608
	s_waitcnt lgkmcnt(1)
	v_mul_f64 v[186:187], v[176:177], v[84:85]
	v_mul_f64 v[12:13], v[118:119], v[12:13]
	v_fmac_f64_e32 v[186:187], v[178:179], v[86:87]
	v_fma_f64 v[6:7], v[116:117], v[6:7], -v[12:13]
	v_mul_f64 v[12:13], v[122:123], v[14:15]
	v_add_f64 v[188:189], v[184:185], v[186:187]
	ds_read_b128 v[184:187], v137 offset:624
	s_waitcnt vmcnt(42) lgkmcnt(1)
	v_mul_f64 v[190:191], v[180:181], v[96:97]
	v_add_f64 v[6:7], v[6:7], 0
	v_fma_f64 v[8:9], v[120:121], v[8:9], -v[12:13]
	s_waitcnt vmcnt(40)
	v_fmac_f64_e32 v[190:191], v[182:183], v[98:99]
	v_add_f64 v[6:7], v[6:7], v[8:9]
	v_mul_f64 v[8:9], v[126:127], v[16:17]
	v_add_f64 v[192:193], v[188:189], v[190:191]
	ds_read_b128 v[188:191], v137 offset:640
	v_fma_f64 v[8:9], v[124:125], v[10:11], -v[8:9]
	v_add_f64 v[6:7], v[6:7], v[8:9]
	v_mul_f64 v[8:9], v[130:131], v[22:23]
	v_fma_f64 v[8:9], v[128:129], v[24:25], -v[8:9]
	s_waitcnt lgkmcnt(1)
	v_mul_f64 v[194:195], v[184:185], v[92:93]
	v_add_f64 v[6:7], v[6:7], v[8:9]
	v_mul_f64 v[8:9], v[134:135], v[18:19]
	v_fmac_f64_e32 v[194:195], v[186:187], v[94:95]
	v_fma_f64 v[8:9], v[132:133], v[20:21], -v[8:9]
	v_add_f64 v[196:197], v[192:193], v[194:195]
	ds_read_b128 v[192:195], v137 offset:656
	s_waitcnt vmcnt(34) lgkmcnt(1)
	v_mul_f64 v[198:199], v[188:189], v[104:105]
	v_add_f64 v[6:7], v[6:7], v[8:9]
	v_mul_f64 v[8:9], v[140:141], v[30:31]
	s_waitcnt vmcnt(32)
	v_fmac_f64_e32 v[198:199], v[190:191], v[106:107]
	v_fma_f64 v[8:9], v[138:139], v[32:33], -v[8:9]
	v_add_f64 v[200:201], v[196:197], v[198:199]
	ds_read_b128 v[196:199], v137 offset:672
	v_add_f64 v[6:7], v[6:7], v[8:9]
	v_mul_f64 v[8:9], v[144:145], v[26:27]
	v_fma_f64 v[8:9], v[142:143], v[28:29], -v[8:9]
	v_add_f64 v[6:7], v[6:7], v[8:9]
	v_mul_f64 v[8:9], v[174:175], v[88:89]
	s_waitcnt lgkmcnt(1)
	v_mul_f64 v[202:203], v[192:193], v[100:101]
	v_fma_f64 v[8:9], v[172:173], v[90:91], -v[8:9]
	v_fmac_f64_e32 v[202:203], v[194:195], v[102:103]
	v_add_f64 v[6:7], v[6:7], v[8:9]
	v_mul_f64 v[8:9], v[178:179], v[84:85]
	v_add_f64 v[204:205], v[200:201], v[202:203]
	ds_read_b128 v[200:203], v137 offset:688
	s_waitcnt vmcnt(26) lgkmcnt(1)
	v_mul_f64 v[206:207], v[196:197], v[112:113]
	v_fma_f64 v[8:9], v[176:177], v[86:87], -v[8:9]
	s_waitcnt vmcnt(24)
	v_fmac_f64_e32 v[206:207], v[198:199], v[114:115]
	v_add_f64 v[6:7], v[6:7], v[8:9]
	v_mul_f64 v[8:9], v[182:183], v[96:97]
	v_add_f64 v[208:209], v[204:205], v[206:207]
	ds_read_b128 v[204:207], v137 offset:704
	v_fma_f64 v[8:9], v[180:181], v[98:99], -v[8:9]
	v_add_f64 v[6:7], v[6:7], v[8:9]
	v_mul_f64 v[8:9], v[186:187], v[92:93]
	v_fma_f64 v[8:9], v[184:185], v[94:95], -v[8:9]
	s_waitcnt lgkmcnt(1)
	v_mul_f64 v[210:211], v[200:201], v[108:109]
	v_add_f64 v[6:7], v[6:7], v[8:9]
	v_mul_f64 v[8:9], v[190:191], v[104:105]
	v_fmac_f64_e32 v[210:211], v[202:203], v[110:111]
	v_fma_f64 v[8:9], v[188:189], v[106:107], -v[8:9]
	v_add_f64 v[212:213], v[208:209], v[210:211]
	ds_read_b128 v[208:211], v137 offset:720
	s_waitcnt vmcnt(18) lgkmcnt(1)
	v_mul_f64 v[214:215], v[204:205], v[230:231]
	v_add_f64 v[6:7], v[6:7], v[8:9]
	v_mul_f64 v[8:9], v[194:195], v[100:101]
	s_waitcnt vmcnt(16)
	v_fmac_f64_e32 v[214:215], v[206:207], v[232:233]
	v_fma_f64 v[8:9], v[192:193], v[102:103], -v[8:9]
	v_add_f64 v[216:217], v[212:213], v[214:215]
	ds_read_b128 v[212:215], v137 offset:736
	v_add_f64 v[6:7], v[6:7], v[8:9]
	v_mul_f64 v[8:9], v[198:199], v[112:113]
	v_fma_f64 v[8:9], v[196:197], v[114:115], -v[8:9]
	v_add_f64 v[6:7], v[6:7], v[8:9]
	v_mul_f64 v[8:9], v[202:203], v[108:109]
	s_waitcnt lgkmcnt(1)
	v_mul_f64 v[218:219], v[208:209], v[146:147]
	v_fma_f64 v[8:9], v[200:201], v[110:111], -v[8:9]
	v_fmac_f64_e32 v[218:219], v[210:211], v[228:229]
	v_add_f64 v[6:7], v[6:7], v[8:9]
	v_mul_f64 v[8:9], v[206:207], v[230:231]
	v_add_f64 v[220:221], v[216:217], v[218:219]
	ds_read_b128 v[216:219], v137 offset:752
	s_waitcnt vmcnt(10) lgkmcnt(1)
	v_mul_f64 v[222:223], v[212:213], v[238:239]
	v_fma_f64 v[8:9], v[204:205], v[232:233], -v[8:9]
	s_waitcnt vmcnt(8)
	v_fmac_f64_e32 v[222:223], v[214:215], v[240:241]
	v_add_f64 v[6:7], v[6:7], v[8:9]
	v_mul_f64 v[8:9], v[210:211], v[146:147]
	v_add_f64 v[250:251], v[220:221], v[222:223]
	ds_read_b128 v[220:223], v137 offset:768
	v_fma_f64 v[8:9], v[208:209], v[228:229], -v[8:9]
	v_add_f64 v[6:7], v[6:7], v[8:9]
	v_mul_f64 v[8:9], v[214:215], v[238:239]
	v_fma_f64 v[8:9], v[212:213], v[240:241], -v[8:9]
	v_add_f64 v[6:7], v[6:7], v[8:9]
	s_waitcnt lgkmcnt(1)
	v_mul_f64 v[8:9], v[218:219], v[234:235]
	v_mul_f64 v[252:253], v[216:217], v[234:235]
	v_fma_f64 v[8:9], v[216:217], v[236:237], -v[8:9]
	v_fmac_f64_e32 v[252:253], v[218:219], v[236:237]
	v_add_f64 v[6:7], v[6:7], v[8:9]
	s_waitcnt vmcnt(3) lgkmcnt(0)
	v_mul_f64 v[8:9], v[222:223], v[246:247]
	v_add_f64 v[250:251], v[250:251], v[252:253]
	v_mul_f64 v[252:253], v[220:221], v[246:247]
	s_waitcnt vmcnt(1)
	v_fma_f64 v[8:9], v[220:221], v[248:249], -v[8:9]
	v_fmac_f64_e32 v[252:253], v[222:223], v[248:249]
	v_add_f64 v[6:7], v[6:7], v[8:9]
	s_waitcnt vmcnt(0)
	v_mul_f64 v[8:9], v[226:227], v[242:243]
	v_add_f64 v[250:251], v[250:251], v[252:253]
	v_mul_f64 v[252:253], v[224:225], v[242:243]
	v_fma_f64 v[8:9], v[224:225], v[244:245], -v[8:9]
	v_fmac_f64_e32 v[252:253], v[226:227], v[244:245]
	v_add_f64 v[6:7], v[6:7], v[8:9]
	v_add_f64 v[250:251], v[250:251], v[252:253]
	v_add_f64 v[4:5], v[4:5], -v[6:7]
	v_add_f64 v[2:3], v[2:3], -v[250:251]
	buffer_store_dword v5, off, s[0:3], 0 offset:52
	buffer_store_dword v4, off, s[0:3], 0 offset:48
	;; [unrolled: 1-line block ×4, first 2 shown]
	s_and_saveexec_b64 s[6:7], vcc
	s_cbranch_execz .LBB88_159
; %bb.158:
	buffer_load_dword v2, v170, s[0:3], 0 offen
	buffer_load_dword v3, v170, s[0:3], 0 offen offset:4
	buffer_load_dword v4, v170, s[0:3], 0 offen offset:8
	;; [unrolled: 1-line block ×3, first 2 shown]
	s_nop 0
	buffer_store_dword v137, off, s[0:3], 0 offset:32
	buffer_store_dword v137, off, s[0:3], 0 offset:36
	buffer_store_dword v137, off, s[0:3], 0 offset:40
	buffer_store_dword v137, off, s[0:3], 0 offset:44
	s_waitcnt vmcnt(4)
	ds_write_b128 v136, v[2:5]
.LBB88_159:
	s_or_b64 exec, exec, s[6:7]
	s_waitcnt lgkmcnt(0)
	; wave barrier
	s_waitcnt lgkmcnt(0)
	ds_read_b128 v[14:17], v137 offset:448
	ds_read_b128 v[10:13], v137 offset:464
	;; [unrolled: 1-line block ×4, first 2 shown]
	buffer_load_dword v20, off, s[0:3], 0 offset:32
	buffer_load_dword v21, off, s[0:3], 0 offset:36
	;; [unrolled: 1-line block ×92, first 2 shown]
	s_waitcnt vmcnt(62) lgkmcnt(3)
	v_mul_f64 v[138:139], v[14:15], v[28:29]
	v_fmac_f64_e32 v[138:139], v[16:17], v[22:23]
	s_waitcnt lgkmcnt(2)
	v_mul_f64 v[140:141], v[10:11], v[30:31]
	v_add_f64 v[138:139], v[138:139], 0
	v_fmac_f64_e32 v[140:141], v[12:13], v[24:25]
	v_add_f64 v[138:139], v[138:139], v[140:141]
	s_waitcnt lgkmcnt(1)
	v_mul_f64 v[140:141], v[6:7], v[32:33]
	v_fmac_f64_e32 v[140:141], v[8:9], v[26:27]
	v_add_f64 v[142:143], v[138:139], v[140:141]
	ds_read_b128 v[138:141], v137 offset:512
	v_mul_f64 v[16:17], v[16:17], v[28:29]
	v_fma_f64 v[14:15], v[14:15], v[22:23], -v[16:17]
	s_waitcnt lgkmcnt(1)
	v_mul_f64 v[144:145], v[2:3], v[88:89]
	v_mul_f64 v[12:13], v[12:13], v[30:31]
	v_fmac_f64_e32 v[144:145], v[4:5], v[90:91]
	v_add_f64 v[172:173], v[142:143], v[144:145]
	ds_read_b128 v[142:145], v137 offset:528
	s_waitcnt lgkmcnt(1)
	v_mul_f64 v[174:175], v[138:139], v[84:85]
	v_fmac_f64_e32 v[174:175], v[140:141], v[86:87]
	v_add_f64 v[176:177], v[172:173], v[174:175]
	ds_read_b128 v[172:175], v137 offset:544
	s_waitcnt lgkmcnt(1)
	v_mul_f64 v[178:179], v[142:143], v[96:97]
	s_waitcnt vmcnt(60)
	v_fmac_f64_e32 v[178:179], v[144:145], v[98:99]
	v_add_f64 v[180:181], v[176:177], v[178:179]
	ds_read_b128 v[176:179], v137 offset:560
	s_waitcnt lgkmcnt(1)
	v_mul_f64 v[182:183], v[172:173], v[92:93]
	v_fmac_f64_e32 v[182:183], v[174:175], v[94:95]
	v_add_f64 v[184:185], v[180:181], v[182:183]
	ds_read_b128 v[180:183], v137 offset:576
	s_waitcnt vmcnt(54) lgkmcnt(1)
	v_mul_f64 v[186:187], v[176:177], v[104:105]
	s_waitcnt vmcnt(52)
	v_fmac_f64_e32 v[186:187], v[178:179], v[106:107]
	v_add_f64 v[188:189], v[184:185], v[186:187]
	ds_read_b128 v[184:187], v137 offset:592
	s_waitcnt lgkmcnt(1)
	v_mul_f64 v[190:191], v[180:181], v[100:101]
	v_fmac_f64_e32 v[190:191], v[182:183], v[102:103]
	v_add_f64 v[192:193], v[188:189], v[190:191]
	ds_read_b128 v[188:191], v137 offset:608
	s_waitcnt vmcnt(46) lgkmcnt(1)
	v_mul_f64 v[194:195], v[184:185], v[112:113]
	s_waitcnt vmcnt(44)
	v_fmac_f64_e32 v[194:195], v[186:187], v[114:115]
	v_add_f64 v[196:197], v[192:193], v[194:195]
	ds_read_b128 v[192:195], v137 offset:624
	s_waitcnt lgkmcnt(1)
	v_mul_f64 v[198:199], v[188:189], v[108:109]
	v_fmac_f64_e32 v[198:199], v[190:191], v[110:111]
	v_add_f64 v[14:15], v[14:15], 0
	v_fma_f64 v[10:11], v[10:11], v[24:25], -v[12:13]
	v_mul_f64 v[8:9], v[8:9], v[32:33]
	v_add_f64 v[200:201], v[196:197], v[198:199]
	ds_read_b128 v[196:199], v137 offset:640
	v_add_f64 v[10:11], v[14:15], v[10:11]
	v_fma_f64 v[6:7], v[6:7], v[26:27], -v[8:9]
	v_mul_f64 v[4:5], v[4:5], v[88:89]
	v_add_f64 v[6:7], v[10:11], v[6:7]
	v_fma_f64 v[2:3], v[2:3], v[90:91], -v[4:5]
	v_mul_f64 v[4:5], v[140:141], v[84:85]
	v_add_f64 v[2:3], v[6:7], v[2:3]
	v_fma_f64 v[4:5], v[138:139], v[86:87], -v[4:5]
	s_waitcnt vmcnt(38) lgkmcnt(1)
	v_mul_f64 v[202:203], v[192:193], v[120:121]
	v_add_f64 v[2:3], v[2:3], v[4:5]
	v_mul_f64 v[4:5], v[144:145], v[96:97]
	s_waitcnt vmcnt(36)
	v_fmac_f64_e32 v[202:203], v[194:195], v[122:123]
	v_fma_f64 v[4:5], v[142:143], v[98:99], -v[4:5]
	v_add_f64 v[204:205], v[200:201], v[202:203]
	ds_read_b128 v[200:203], v137 offset:656
	s_waitcnt lgkmcnt(1)
	v_mul_f64 v[206:207], v[196:197], v[116:117]
	v_add_f64 v[2:3], v[2:3], v[4:5]
	v_mul_f64 v[4:5], v[174:175], v[92:93]
	v_fmac_f64_e32 v[206:207], v[198:199], v[118:119]
	v_fma_f64 v[4:5], v[172:173], v[94:95], -v[4:5]
	v_add_f64 v[208:209], v[204:205], v[206:207]
	ds_read_b128 v[204:207], v137 offset:672
	v_add_f64 v[2:3], v[2:3], v[4:5]
	v_mul_f64 v[4:5], v[178:179], v[104:105]
	v_fma_f64 v[4:5], v[176:177], v[106:107], -v[4:5]
	v_add_f64 v[2:3], v[2:3], v[4:5]
	v_mul_f64 v[4:5], v[182:183], v[100:101]
	s_waitcnt vmcnt(30) lgkmcnt(1)
	v_mul_f64 v[210:211], v[200:201], v[128:129]
	v_fma_f64 v[4:5], v[180:181], v[102:103], -v[4:5]
	s_waitcnt vmcnt(28)
	v_fmac_f64_e32 v[210:211], v[202:203], v[130:131]
	v_add_f64 v[2:3], v[2:3], v[4:5]
	v_mul_f64 v[4:5], v[186:187], v[112:113]
	v_add_f64 v[212:213], v[208:209], v[210:211]
	ds_read_b128 v[208:211], v137 offset:688
	s_waitcnt lgkmcnt(1)
	v_mul_f64 v[214:215], v[204:205], v[124:125]
	v_fma_f64 v[4:5], v[184:185], v[114:115], -v[4:5]
	v_fmac_f64_e32 v[214:215], v[206:207], v[126:127]
	v_add_f64 v[2:3], v[2:3], v[4:5]
	v_mul_f64 v[4:5], v[190:191], v[108:109]
	v_add_f64 v[216:217], v[212:213], v[214:215]
	ds_read_b128 v[212:215], v137 offset:704
	v_fma_f64 v[4:5], v[188:189], v[110:111], -v[4:5]
	v_add_f64 v[2:3], v[2:3], v[4:5]
	v_mul_f64 v[4:5], v[194:195], v[120:121]
	v_fma_f64 v[4:5], v[192:193], v[122:123], -v[4:5]
	s_waitcnt vmcnt(22) lgkmcnt(1)
	v_mul_f64 v[218:219], v[208:209], v[146:147]
	v_add_f64 v[2:3], v[2:3], v[4:5]
	v_mul_f64 v[4:5], v[198:199], v[116:117]
	s_waitcnt vmcnt(20)
	v_fmac_f64_e32 v[218:219], v[210:211], v[236:237]
	v_fma_f64 v[4:5], v[196:197], v[118:119], -v[4:5]
	v_add_f64 v[220:221], v[216:217], v[218:219]
	ds_read_b128 v[216:219], v137 offset:720
	s_waitcnt lgkmcnt(1)
	v_mul_f64 v[222:223], v[212:213], v[132:133]
	v_add_f64 v[2:3], v[2:3], v[4:5]
	v_mul_f64 v[4:5], v[202:203], v[128:129]
	v_fmac_f64_e32 v[222:223], v[214:215], v[134:135]
	v_fma_f64 v[4:5], v[200:201], v[130:131], -v[4:5]
	v_add_f64 v[224:225], v[220:221], v[222:223]
	ds_read_b128 v[220:223], v137 offset:736
	v_add_f64 v[2:3], v[2:3], v[4:5]
	v_mul_f64 v[4:5], v[206:207], v[124:125]
	v_fma_f64 v[4:5], v[204:205], v[126:127], -v[4:5]
	v_add_f64 v[2:3], v[2:3], v[4:5]
	v_mul_f64 v[4:5], v[210:211], v[146:147]
	s_waitcnt vmcnt(14) lgkmcnt(1)
	v_mul_f64 v[226:227], v[216:217], v[242:243]
	v_fma_f64 v[4:5], v[208:209], v[236:237], -v[4:5]
	s_waitcnt vmcnt(12)
	v_fmac_f64_e32 v[226:227], v[218:219], v[244:245]
	v_add_f64 v[2:3], v[2:3], v[4:5]
	v_mul_f64 v[4:5], v[214:215], v[132:133]
	v_add_f64 v[228:229], v[224:225], v[226:227]
	ds_read_b128 v[224:227], v137 offset:752
	s_waitcnt lgkmcnt(1)
	v_mul_f64 v[230:231], v[220:221], v[238:239]
	v_fma_f64 v[4:5], v[212:213], v[134:135], -v[4:5]
	v_fmac_f64_e32 v[230:231], v[222:223], v[240:241]
	v_add_f64 v[2:3], v[2:3], v[4:5]
	v_mul_f64 v[4:5], v[218:219], v[242:243]
	v_add_f64 v[150:151], v[228:229], v[230:231]
	ds_read_b128 v[228:231], v137 offset:768
	ds_read_b128 v[232:235], v137 offset:784
	v_fma_f64 v[4:5], v[216:217], v[244:245], -v[4:5]
	v_add_f64 v[2:3], v[2:3], v[4:5]
	v_mul_f64 v[4:5], v[222:223], v[238:239]
	v_fma_f64 v[4:5], v[220:221], v[240:241], -v[4:5]
	v_add_f64 v[2:3], v[2:3], v[4:5]
	s_waitcnt vmcnt(6) lgkmcnt(2)
	v_mul_f64 v[4:5], v[226:227], v[250:251]
	v_mul_f64 v[152:153], v[224:225], v[250:251]
	s_waitcnt vmcnt(4)
	v_fma_f64 v[4:5], v[224:225], v[252:253], -v[4:5]
	v_fmac_f64_e32 v[152:153], v[226:227], v[252:253]
	v_add_f64 v[2:3], v[2:3], v[4:5]
	s_waitcnt lgkmcnt(1)
	v_mul_f64 v[4:5], v[230:231], v[246:247]
	v_add_f64 v[150:151], v[150:151], v[152:153]
	v_mul_f64 v[152:153], v[228:229], v[246:247]
	v_fma_f64 v[4:5], v[228:229], v[248:249], -v[4:5]
	v_fmac_f64_e32 v[152:153], v[230:231], v[248:249]
	v_add_f64 v[2:3], v[2:3], v[4:5]
	s_waitcnt vmcnt(2) lgkmcnt(0)
	v_mul_f64 v[4:5], v[234:235], v[254:255]
	v_add_f64 v[150:151], v[150:151], v[152:153]
	v_mul_f64 v[152:153], v[232:233], v[254:255]
	s_waitcnt vmcnt(0)
	v_fma_f64 v[4:5], v[232:233], v[148:149], -v[4:5]
	v_fmac_f64_e32 v[152:153], v[234:235], v[148:149]
	v_add_f64 v[2:3], v[2:3], v[4:5]
	v_add_f64 v[150:151], v[150:151], v[152:153]
	v_add_f64 v[2:3], v[20:21], -v[2:3]
	v_cmp_lt_u32_e32 vcc, 1, v171
	v_add_f64 v[4:5], v[18:19], -v[150:151]
	buffer_store_dword v3, off, s[0:3], 0 offset:36
	buffer_store_dword v2, off, s[0:3], 0 offset:32
	;; [unrolled: 1-line block ×4, first 2 shown]
	s_and_saveexec_b64 s[6:7], vcc
	s_cbranch_execz .LBB88_161
; %bb.160:
	buffer_load_dword v2, v1, s[0:3], 0 offen
	buffer_load_dword v3, v1, s[0:3], 0 offen offset:4
	buffer_load_dword v4, v1, s[0:3], 0 offen offset:8
	buffer_load_dword v5, v1, s[0:3], 0 offen offset:12
	v_mov_b32_e32 v6, 0
	buffer_store_dword v6, off, s[0:3], 0 offset:16
	buffer_store_dword v6, off, s[0:3], 0 offset:20
	;; [unrolled: 1-line block ×4, first 2 shown]
	s_waitcnt vmcnt(4)
	ds_write_b128 v136, v[2:5]
.LBB88_161:
	s_or_b64 exec, exec, s[6:7]
	s_waitcnt lgkmcnt(0)
	; wave barrier
	s_waitcnt lgkmcnt(0)
	buffer_load_dword v9, off, s[0:3], 0 offset:44
	buffer_load_dword v6, off, s[0:3], 0 offset:56
	;; [unrolled: 1-line block ×64, first 2 shown]
	v_mov_b32_e32 v172, 0
	ds_read_b128 v[124:127], v172 offset:432
	ds_read_b128 v[128:131], v172 offset:448
	buffer_load_dword v117, off, s[0:3], 0 offset:300
	buffer_load_dword v116, off, s[0:3], 0 offset:296
	;; [unrolled: 1-line block ×8, first 2 shown]
	ds_read_b128 v[132:135], v172 offset:464
	ds_read_b128 v[138:141], v172 offset:480
	buffer_load_dword v147, off, s[0:3], 0 offset:332
	buffer_load_dword v146, off, s[0:3], 0 offset:328
	;; [unrolled: 1-line block ×24, first 2 shown]
	ds_read_b128 v[242:245], v172 offset:784
	v_cmp_ne_u32_e32 vcc, 0, v171
	s_waitcnt vmcnt(62) lgkmcnt(1)
	v_mul_f64 v[176:177], v[138:139], v[22:23]
	v_fmac_f64_e32 v[176:177], v[140:141], v[24:25]
	v_mul_f64 v[144:145], v[128:129], v[6:7]
	v_mul_f64 v[142:143], v[124:125], v[8:9]
	;; [unrolled: 1-line block ×3, first 2 shown]
	v_fmac_f64_e32 v[142:143], v[126:127], v[10:11]
	v_add_f64 v[142:143], v[142:143], 0
	v_fma_f64 v[8:9], v[124:125], v[10:11], -v[8:9]
	v_mul_f64 v[6:7], v[130:131], v[6:7]
	v_add_f64 v[8:9], v[8:9], 0
	v_fmac_f64_e32 v[144:145], v[130:131], v[14:15]
	v_add_f64 v[142:143], v[142:143], v[144:145]
	v_mul_f64 v[144:145], v[132:133], v[16:17]
	v_fmac_f64_e32 v[144:145], v[134:135], v[12:13]
	v_add_f64 v[174:175], v[142:143], v[144:145]
	ds_read_b128 v[142:145], v172 offset:496
	v_add_f64 v[178:179], v[174:175], v[176:177]
	ds_read_b128 v[174:177], v172 offset:512
	v_fma_f64 v[6:7], v[128:129], v[14:15], -v[6:7]
	v_add_f64 v[6:7], v[8:9], v[6:7]
	s_waitcnt lgkmcnt(1)
	v_mul_f64 v[180:181], v[142:143], v[18:19]
	v_fmac_f64_e32 v[180:181], v[144:145], v[20:21]
	v_add_f64 v[182:183], v[178:179], v[180:181]
	ds_read_b128 v[178:181], v172 offset:528
	s_waitcnt lgkmcnt(1)
	v_mul_f64 v[184:185], v[174:175], v[30:31]
	v_fmac_f64_e32 v[184:185], v[176:177], v[32:33]
	v_add_f64 v[186:187], v[182:183], v[184:185]
	ds_read_b128 v[182:185], v172 offset:544
	;; [unrolled: 5-line block ×3, first 2 shown]
	s_waitcnt vmcnt(58) lgkmcnt(1)
	v_mul_f64 v[192:193], v[182:183], v[88:89]
	s_waitcnt vmcnt(56)
	v_fmac_f64_e32 v[192:193], v[184:185], v[90:91]
	v_add_f64 v[194:195], v[190:191], v[192:193]
	ds_read_b128 v[190:193], v172 offset:576
	s_waitcnt lgkmcnt(1)
	v_mul_f64 v[196:197], v[186:187], v[84:85]
	v_fmac_f64_e32 v[196:197], v[188:189], v[86:87]
	v_add_f64 v[198:199], v[194:195], v[196:197]
	ds_read_b128 v[194:197], v172 offset:592
	s_waitcnt vmcnt(50) lgkmcnt(1)
	v_mul_f64 v[200:201], v[190:191], v[96:97]
	s_waitcnt vmcnt(48)
	v_fmac_f64_e32 v[200:201], v[192:193], v[98:99]
	v_add_f64 v[202:203], v[198:199], v[200:201]
	ds_read_b128 v[198:201], v172 offset:608
	v_mul_f64 v[8:9], v[134:135], v[16:17]
	s_waitcnt lgkmcnt(1)
	v_mul_f64 v[204:205], v[194:195], v[92:93]
	v_fma_f64 v[8:9], v[132:133], v[12:13], -v[8:9]
	v_fmac_f64_e32 v[204:205], v[196:197], v[94:95]
	v_add_f64 v[6:7], v[6:7], v[8:9]
	v_mul_f64 v[8:9], v[140:141], v[22:23]
	v_add_f64 v[206:207], v[202:203], v[204:205]
	ds_read_b128 v[202:205], v172 offset:624
	s_waitcnt vmcnt(42) lgkmcnt(1)
	v_mul_f64 v[208:209], v[198:199], v[104:105]
	v_fma_f64 v[8:9], v[138:139], v[24:25], -v[8:9]
	s_waitcnt vmcnt(40)
	v_fmac_f64_e32 v[208:209], v[200:201], v[106:107]
	v_add_f64 v[6:7], v[6:7], v[8:9]
	v_mul_f64 v[8:9], v[144:145], v[18:19]
	v_add_f64 v[210:211], v[206:207], v[208:209]
	ds_read_b128 v[206:209], v172 offset:640
	v_fma_f64 v[8:9], v[142:143], v[20:21], -v[8:9]
	v_add_f64 v[6:7], v[6:7], v[8:9]
	v_mul_f64 v[8:9], v[176:177], v[30:31]
	v_fma_f64 v[8:9], v[174:175], v[32:33], -v[8:9]
	s_waitcnt lgkmcnt(1)
	v_mul_f64 v[212:213], v[202:203], v[100:101]
	v_add_f64 v[6:7], v[6:7], v[8:9]
	v_mul_f64 v[8:9], v[180:181], v[26:27]
	v_fmac_f64_e32 v[212:213], v[204:205], v[102:103]
	v_fma_f64 v[8:9], v[178:179], v[28:29], -v[8:9]
	v_add_f64 v[214:215], v[210:211], v[212:213]
	ds_read_b128 v[210:213], v172 offset:656
	s_waitcnt vmcnt(34) lgkmcnt(1)
	v_mul_f64 v[216:217], v[206:207], v[112:113]
	v_add_f64 v[6:7], v[6:7], v[8:9]
	v_mul_f64 v[8:9], v[184:185], v[88:89]
	s_waitcnt vmcnt(32)
	v_fmac_f64_e32 v[216:217], v[208:209], v[114:115]
	v_fma_f64 v[8:9], v[182:183], v[90:91], -v[8:9]
	v_add_f64 v[218:219], v[214:215], v[216:217]
	ds_read_b128 v[214:217], v172 offset:672
	v_add_f64 v[6:7], v[6:7], v[8:9]
	v_mul_f64 v[8:9], v[188:189], v[84:85]
	v_fma_f64 v[8:9], v[186:187], v[86:87], -v[8:9]
	v_add_f64 v[6:7], v[6:7], v[8:9]
	v_mul_f64 v[8:9], v[192:193], v[96:97]
	s_waitcnt lgkmcnt(1)
	v_mul_f64 v[220:221], v[210:211], v[108:109]
	v_fma_f64 v[8:9], v[190:191], v[98:99], -v[8:9]
	v_fmac_f64_e32 v[220:221], v[212:213], v[110:111]
	v_add_f64 v[6:7], v[6:7], v[8:9]
	v_mul_f64 v[8:9], v[196:197], v[92:93]
	v_add_f64 v[222:223], v[218:219], v[220:221]
	ds_read_b128 v[218:221], v172 offset:688
	s_waitcnt vmcnt(26) lgkmcnt(1)
	v_mul_f64 v[224:225], v[214:215], v[120:121]
	v_fma_f64 v[8:9], v[194:195], v[94:95], -v[8:9]
	s_waitcnt vmcnt(24)
	v_fmac_f64_e32 v[224:225], v[216:217], v[122:123]
	v_add_f64 v[6:7], v[6:7], v[8:9]
	v_mul_f64 v[8:9], v[200:201], v[104:105]
	v_add_f64 v[226:227], v[222:223], v[224:225]
	ds_read_b128 v[222:225], v172 offset:704
	v_fma_f64 v[8:9], v[198:199], v[106:107], -v[8:9]
	v_add_f64 v[6:7], v[6:7], v[8:9]
	v_mul_f64 v[8:9], v[204:205], v[100:101]
	v_fma_f64 v[8:9], v[202:203], v[102:103], -v[8:9]
	s_waitcnt lgkmcnt(1)
	v_mul_f64 v[228:229], v[218:219], v[116:117]
	v_add_f64 v[6:7], v[6:7], v[8:9]
	v_mul_f64 v[8:9], v[208:209], v[112:113]
	v_fmac_f64_e32 v[228:229], v[220:221], v[118:119]
	v_fma_f64 v[8:9], v[206:207], v[114:115], -v[8:9]
	v_add_f64 v[230:231], v[226:227], v[228:229]
	ds_read_b128 v[226:229], v172 offset:720
	s_waitcnt vmcnt(18) lgkmcnt(1)
	v_mul_f64 v[232:233], v[222:223], v[150:151]
	v_add_f64 v[6:7], v[6:7], v[8:9]
	v_mul_f64 v[8:9], v[212:213], v[108:109]
	s_waitcnt vmcnt(16)
	v_fmac_f64_e32 v[232:233], v[224:225], v[152:153]
	v_fma_f64 v[8:9], v[210:211], v[110:111], -v[8:9]
	v_add_f64 v[234:235], v[230:231], v[232:233]
	ds_read_b128 v[230:233], v172 offset:736
	v_add_f64 v[6:7], v[6:7], v[8:9]
	v_mul_f64 v[8:9], v[216:217], v[120:121]
	v_fma_f64 v[8:9], v[214:215], v[122:123], -v[8:9]
	v_add_f64 v[6:7], v[6:7], v[8:9]
	v_mul_f64 v[8:9], v[220:221], v[116:117]
	s_waitcnt lgkmcnt(1)
	v_mul_f64 v[236:237], v[226:227], v[146:147]
	v_fma_f64 v[8:9], v[218:219], v[118:119], -v[8:9]
	v_fmac_f64_e32 v[236:237], v[228:229], v[148:149]
	v_add_f64 v[6:7], v[6:7], v[8:9]
	v_mul_f64 v[8:9], v[224:225], v[150:151]
	v_add_f64 v[238:239], v[234:235], v[236:237]
	ds_read_b128 v[234:237], v172 offset:752
	s_waitcnt vmcnt(10) lgkmcnt(1)
	v_mul_f64 v[240:241], v[230:231], v[250:251]
	v_fma_f64 v[8:9], v[222:223], v[152:153], -v[8:9]
	s_waitcnt vmcnt(8)
	v_fmac_f64_e32 v[240:241], v[232:233], v[252:253]
	v_add_f64 v[6:7], v[6:7], v[8:9]
	v_mul_f64 v[8:9], v[228:229], v[146:147]
	v_add_f64 v[160:161], v[238:239], v[240:241]
	ds_read_b128 v[238:241], v172 offset:768
	v_fma_f64 v[8:9], v[226:227], v[148:149], -v[8:9]
	v_add_f64 v[6:7], v[6:7], v[8:9]
	v_mul_f64 v[8:9], v[232:233], v[250:251]
	v_fma_f64 v[8:9], v[230:231], v[252:253], -v[8:9]
	v_add_f64 v[6:7], v[6:7], v[8:9]
	s_waitcnt lgkmcnt(1)
	v_mul_f64 v[8:9], v[236:237], v[246:247]
	v_mul_f64 v[162:163], v[234:235], v[246:247]
	v_fma_f64 v[8:9], v[234:235], v[248:249], -v[8:9]
	v_fmac_f64_e32 v[162:163], v[236:237], v[248:249]
	v_add_f64 v[6:7], v[6:7], v[8:9]
	s_waitcnt vmcnt(2) lgkmcnt(0)
	v_mul_f64 v[8:9], v[240:241], v[156:157]
	v_add_f64 v[160:161], v[160:161], v[162:163]
	v_mul_f64 v[162:163], v[238:239], v[156:157]
	s_waitcnt vmcnt(0)
	v_fma_f64 v[8:9], v[238:239], v[158:159], -v[8:9]
	v_fmac_f64_e32 v[162:163], v[240:241], v[158:159]
	v_add_f64 v[6:7], v[6:7], v[8:9]
	v_mul_f64 v[8:9], v[244:245], v[254:255]
	v_add_f64 v[160:161], v[160:161], v[162:163]
	v_mul_f64 v[162:163], v[242:243], v[254:255]
	v_fma_f64 v[8:9], v[242:243], v[154:155], -v[8:9]
	v_fmac_f64_e32 v[162:163], v[244:245], v[154:155]
	v_add_f64 v[6:7], v[6:7], v[8:9]
	v_add_f64 v[160:161], v[160:161], v[162:163]
	v_add_f64 v[4:5], v[4:5], -v[6:7]
	v_add_f64 v[2:3], v[2:3], -v[160:161]
	buffer_store_dword v5, off, s[0:3], 0 offset:20
	buffer_store_dword v4, off, s[0:3], 0 offset:16
	;; [unrolled: 1-line block ×4, first 2 shown]
	s_and_saveexec_b64 s[6:7], vcc
	s_cbranch_execz .LBB88_163
; %bb.162:
	buffer_load_dword v2, off, s[0:3], 0
	buffer_load_dword v3, off, s[0:3], 0 offset:4
	buffer_load_dword v4, off, s[0:3], 0 offset:8
	;; [unrolled: 1-line block ×3, first 2 shown]
	s_nop 0
	buffer_store_dword v172, off, s[0:3], 0
	buffer_store_dword v172, off, s[0:3], 0 offset:4
	buffer_store_dword v172, off, s[0:3], 0 offset:8
	;; [unrolled: 1-line block ×3, first 2 shown]
	s_waitcnt vmcnt(4)
	ds_write_b128 v136, v[2:5]
.LBB88_163:
	s_or_b64 exec, exec, s[6:7]
	s_waitcnt lgkmcnt(0)
	; wave barrier
	s_waitcnt lgkmcnt(0)
	buffer_load_dword v22, off, s[0:3], 0 offset:16
	buffer_load_dword v23, off, s[0:3], 0 offset:20
	;; [unrolled: 1-line block ×12, first 2 shown]
	buffer_load_dword v20, off, s[0:3], 0
	buffer_load_dword v21, off, s[0:3], 0 offset:4
	buffer_load_dword v18, off, s[0:3], 0 offset:8
	;; [unrolled: 1-line block ×3, first 2 shown]
	ds_read_b128 v[2:5], v172 offset:416
	ds_read_b128 v[6:9], v172 offset:432
	;; [unrolled: 1-line block ×4, first 2 shown]
	buffer_load_dword v85, off, s[0:3], 0 offset:92
	buffer_load_dword v84, off, s[0:3], 0 offset:88
	;; [unrolled: 1-line block ×48, first 2 shown]
	s_and_b64 vcc, exec, s[18:19]
	s_waitcnt vmcnt(60) lgkmcnt(3)
	v_mul_f64 v[132:133], v[2:3], v[24:25]
	v_fmac_f64_e32 v[132:133], v[4:5], v[22:23]
	v_add_f64 v[132:133], v[132:133], 0
	v_mul_f64 v[4:5], v[4:5], v[24:25]
	s_waitcnt vmcnt(56) lgkmcnt(2)
	v_mul_f64 v[134:135], v[6:7], v[32:33]
	v_fma_f64 v[2:3], v[2:3], v[22:23], -v[4:5]
	v_mul_f64 v[4:5], v[8:9], v[32:33]
	v_add_f64 v[2:3], v[2:3], 0
	s_waitcnt vmcnt(52)
	v_fmac_f64_e32 v[134:135], v[8:9], v[28:29]
	v_add_f64 v[150:151], v[132:133], v[134:135]
	buffer_load_dword v133, off, s[0:3], 0 offset:284
	buffer_load_dword v132, off, s[0:3], 0 offset:280
	;; [unrolled: 1-line block ×32, first 2 shown]
	ds_read_b128 v[174:177], v172 offset:480
	buffer_load_dword v167, off, s[0:3], 0 offset:396
	buffer_load_dword v166, off, s[0:3], 0 offset:392
	buffer_load_dword v169, off, s[0:3], 0 offset:388
	buffer_load_dword v168, off, s[0:3], 0 offset:384
	v_fma_f64 v[4:5], v[6:7], v[28:29], -v[4:5]
	v_add_f64 v[2:3], v[2:3], v[4:5]
	s_waitcnt lgkmcnt(2)
	v_mul_f64 v[4:5], v[12:13], v[26:27]
	v_mul_f64 v[148:149], v[10:11], v[26:27]
	ds_read_b128 v[178:181], v172 offset:496
	ds_read_b128 v[182:185], v172 offset:512
	v_fma_f64 v[4:5], v[10:11], v[30:31], -v[4:5]
	v_fmac_f64_e32 v[148:149], v[12:13], v[30:31]
	v_add_f64 v[2:3], v[2:3], v[4:5]
	s_waitcnt vmcnt(62) lgkmcnt(3)
	v_mul_f64 v[4:5], v[16:17], v[88:89]
	v_add_f64 v[148:149], v[150:151], v[148:149]
	v_mul_f64 v[150:151], v[14:15], v[88:89]
	v_fma_f64 v[4:5], v[14:15], v[90:91], -v[4:5]
	v_fmac_f64_e32 v[150:151], v[16:17], v[90:91]
	v_add_f64 v[2:3], v[2:3], v[4:5]
	s_waitcnt lgkmcnt(2)
	v_mul_f64 v[4:5], v[176:177], v[84:85]
	v_add_f64 v[148:149], v[148:149], v[150:151]
	v_mul_f64 v[150:151], v[174:175], v[84:85]
	ds_read_b128 v[186:189], v172 offset:528
	ds_read_b128 v[190:193], v172 offset:544
	v_fma_f64 v[4:5], v[174:175], v[86:87], -v[4:5]
	v_fmac_f64_e32 v[150:151], v[176:177], v[86:87]
	v_add_f64 v[2:3], v[2:3], v[4:5]
	s_waitcnt lgkmcnt(3)
	v_mul_f64 v[4:5], v[180:181], v[96:97]
	v_add_f64 v[148:149], v[148:149], v[150:151]
	v_mul_f64 v[150:151], v[178:179], v[96:97]
	v_fma_f64 v[4:5], v[178:179], v[98:99], -v[4:5]
	v_fmac_f64_e32 v[150:151], v[180:181], v[98:99]
	v_add_f64 v[2:3], v[2:3], v[4:5]
	s_waitcnt lgkmcnt(2)
	v_mul_f64 v[4:5], v[184:185], v[92:93]
	v_add_f64 v[148:149], v[148:149], v[150:151]
	v_mul_f64 v[150:151], v[182:183], v[92:93]
	ds_read_b128 v[194:197], v172 offset:560
	ds_read_b128 v[198:201], v172 offset:576
	v_fma_f64 v[4:5], v[182:183], v[94:95], -v[4:5]
	v_fmac_f64_e32 v[150:151], v[184:185], v[94:95]
	v_add_f64 v[2:3], v[2:3], v[4:5]
	s_waitcnt lgkmcnt(3)
	v_mul_f64 v[4:5], v[188:189], v[104:105]
	v_add_f64 v[148:149], v[148:149], v[150:151]
	v_mul_f64 v[150:151], v[186:187], v[104:105]
	s_waitcnt vmcnt(60)
	v_fma_f64 v[4:5], v[186:187], v[106:107], -v[4:5]
	v_fmac_f64_e32 v[150:151], v[188:189], v[106:107]
	v_add_f64 v[2:3], v[2:3], v[4:5]
	s_waitcnt lgkmcnt(2)
	v_mul_f64 v[4:5], v[192:193], v[100:101]
	v_add_f64 v[148:149], v[148:149], v[150:151]
	v_mul_f64 v[150:151], v[190:191], v[100:101]
	ds_read_b128 v[202:205], v172 offset:592
	ds_read_b128 v[206:209], v172 offset:608
	v_fma_f64 v[4:5], v[190:191], v[102:103], -v[4:5]
	v_fmac_f64_e32 v[150:151], v[192:193], v[102:103]
	v_add_f64 v[2:3], v[2:3], v[4:5]
	s_waitcnt vmcnt(54) lgkmcnt(3)
	v_mul_f64 v[4:5], v[196:197], v[112:113]
	v_add_f64 v[148:149], v[148:149], v[150:151]
	v_mul_f64 v[150:151], v[194:195], v[112:113]
	s_waitcnt vmcnt(52)
	v_fma_f64 v[4:5], v[194:195], v[114:115], -v[4:5]
	v_fmac_f64_e32 v[150:151], v[196:197], v[114:115]
	v_add_f64 v[2:3], v[2:3], v[4:5]
	s_waitcnt lgkmcnt(2)
	v_mul_f64 v[4:5], v[200:201], v[108:109]
	v_add_f64 v[148:149], v[148:149], v[150:151]
	v_mul_f64 v[150:151], v[198:199], v[108:109]
	ds_read_b128 v[210:213], v172 offset:624
	ds_read_b128 v[214:217], v172 offset:640
	v_fma_f64 v[4:5], v[198:199], v[110:111], -v[4:5]
	v_fmac_f64_e32 v[150:151], v[200:201], v[110:111]
	v_add_f64 v[2:3], v[2:3], v[4:5]
	s_waitcnt vmcnt(46) lgkmcnt(3)
	;; [unrolled: 17-line block ×6, first 2 shown]
	v_mul_f64 v[4:5], v[236:237], v[156:157]
	v_add_f64 v[148:149], v[148:149], v[150:151]
	v_mul_f64 v[150:151], v[234:235], v[156:157]
	s_waitcnt vmcnt(12)
	v_fma_f64 v[4:5], v[234:235], v[158:159], -v[4:5]
	v_fmac_f64_e32 v[150:151], v[236:237], v[158:159]
	v_add_f64 v[2:3], v[2:3], v[4:5]
	s_waitcnt lgkmcnt(2)
	v_mul_f64 v[4:5], v[240:241], v[152:153]
	v_add_f64 v[148:149], v[148:149], v[150:151]
	v_mul_f64 v[150:151], v[238:239], v[152:153]
	ds_read_b128 v[250:253], v172 offset:784
	v_fma_f64 v[4:5], v[238:239], v[154:155], -v[4:5]
	v_fmac_f64_e32 v[150:151], v[240:241], v[154:155]
	v_add_f64 v[2:3], v[2:3], v[4:5]
	s_waitcnt vmcnt(6) lgkmcnt(2)
	v_mul_f64 v[4:5], v[244:245], v[254:255]
	v_add_f64 v[148:149], v[148:149], v[150:151]
	v_mul_f64 v[150:151], v[242:243], v[254:255]
	s_waitcnt vmcnt(4)
	v_fma_f64 v[4:5], v[242:243], v[164:165], -v[4:5]
	v_fmac_f64_e32 v[150:151], v[244:245], v[164:165]
	v_add_f64 v[2:3], v[2:3], v[4:5]
	s_waitcnt lgkmcnt(1)
	v_mul_f64 v[4:5], v[248:249], v[160:161]
	v_add_f64 v[148:149], v[148:149], v[150:151]
	v_mul_f64 v[150:151], v[246:247], v[160:161]
	v_fma_f64 v[4:5], v[246:247], v[162:163], -v[4:5]
	v_fmac_f64_e32 v[150:151], v[248:249], v[162:163]
	v_add_f64 v[2:3], v[2:3], v[4:5]
	s_waitcnt vmcnt(2) lgkmcnt(0)
	v_mul_f64 v[4:5], v[252:253], v[166:167]
	v_add_f64 v[148:149], v[148:149], v[150:151]
	v_mul_f64 v[150:151], v[250:251], v[166:167]
	s_waitcnt vmcnt(0)
	v_fma_f64 v[4:5], v[250:251], v[168:169], -v[4:5]
	v_fmac_f64_e32 v[150:151], v[252:253], v[168:169]
	v_add_f64 v[2:3], v[2:3], v[4:5]
	v_add_f64 v[148:149], v[148:149], v[150:151]
	v_add_f64 v[2:3], v[20:21], -v[2:3]
	v_add_f64 v[4:5], v[18:19], -v[148:149]
	buffer_store_dword v3, off, s[0:3], 0 offset:4
	buffer_store_dword v2, off, s[0:3], 0
	buffer_store_dword v5, off, s[0:3], 0 offset:12
	buffer_store_dword v4, off, s[0:3], 0 offset:8
	s_cbranch_vccz .LBB88_213
; %bb.164:
	v_pk_mov_b32 v[2:3], s[16:17], s[16:17] op_sel:[0,1]
	flat_load_dword v2, v[2:3] offset:92
	s_load_dwordx2 s[4:5], s[4:5], 0x4
	v_bfe_u32 v4, v0, 10, 10
	v_bfe_u32 v0, v0, 20, 10
	s_waitcnt lgkmcnt(0)
	s_lshr_b32 s4, s4, 16
	s_mul_i32 s4, s4, s5
	v_mul_u32_u24_e32 v3, s4, v171
	v_mul_u32_u24_e32 v4, s5, v4
	v_add3_u32 v0, v3, v4, v0
	v_mov_b32_e32 v3, 0x328
	v_lshl_add_u32 v0, v0, 4, v3
	s_waitcnt vmcnt(0)
	v_add_u32_e32 v2, -1, v2
	v_cmp_ne_u32_e32 vcc, 23, v2
	s_mov_b64 s[4:5], exec
	s_and_b64 s[6:7], s[4:5], vcc
	v_accvgpr_read_b32 v11, a1
	s_mov_b64 exec, s[6:7]
	s_cbranch_execz .LBB88_166
; %bb.165:
	v_mov_b32_e32 v3, 0
	v_lshl_add_u32 v6, v2, 4, v3
	buffer_load_dword v2, v11, s[0:3], 0 offen
	buffer_load_dword v3, v11, s[0:3], 0 offen offset:4
	buffer_load_dword v4, v11, s[0:3], 0 offen offset:8
	;; [unrolled: 1-line block ×3, first 2 shown]
	buffer_load_dword v7, v6, s[0:3], 0 offen
	buffer_load_dword v8, v6, s[0:3], 0 offen offset:4
	buffer_load_dword v9, v6, s[0:3], 0 offen offset:8
	;; [unrolled: 1-line block ×3, first 2 shown]
	s_waitcnt vmcnt(4)
	ds_write2_b64 v0, v[2:3], v[4:5] offset1:1
	s_waitcnt vmcnt(3)
	buffer_store_dword v7, v11, s[0:3], 0 offen
	s_waitcnt vmcnt(3)
	buffer_store_dword v8, v11, s[0:3], 0 offen offset:4
	s_waitcnt vmcnt(3)
	buffer_store_dword v9, v11, s[0:3], 0 offen offset:8
	;; [unrolled: 2-line block ×3, first 2 shown]
	buffer_store_dword v5, v6, s[0:3], 0 offen offset:12
	buffer_store_dword v4, v6, s[0:3], 0 offen offset:8
	;; [unrolled: 1-line block ×3, first 2 shown]
	buffer_store_dword v2, v6, s[0:3], 0 offen
.LBB88_166:
	s_or_b64 exec, exec, s[4:5]
	v_pk_mov_b32 v[2:3], s[16:17], s[16:17] op_sel:[0,1]
	flat_load_dword v2, v[2:3] offset:88
	s_waitcnt vmcnt(0) lgkmcnt(0)
	v_add_u32_e32 v2, -1, v2
	v_cmp_ne_u32_e32 vcc, 22, v2
	s_mov_b64 s[4:5], exec
	s_and_b64 s[6:7], s[4:5], vcc
	v_accvgpr_read_b32 v11, a2
	s_mov_b64 exec, s[6:7]
	s_cbranch_execz .LBB88_168
; %bb.167:
	v_mov_b32_e32 v3, 0
	v_lshl_add_u32 v6, v2, 4, v3
	buffer_load_dword v2, v11, s[0:3], 0 offen
	buffer_load_dword v3, v11, s[0:3], 0 offen offset:4
	buffer_load_dword v4, v11, s[0:3], 0 offen offset:8
	;; [unrolled: 1-line block ×3, first 2 shown]
	buffer_load_dword v7, v6, s[0:3], 0 offen
	buffer_load_dword v8, v6, s[0:3], 0 offen offset:4
	buffer_load_dword v9, v6, s[0:3], 0 offen offset:8
	;; [unrolled: 1-line block ×3, first 2 shown]
	s_waitcnt vmcnt(4)
	ds_write2_b64 v0, v[2:3], v[4:5] offset1:1
	s_waitcnt vmcnt(3)
	buffer_store_dword v7, v11, s[0:3], 0 offen
	s_waitcnt vmcnt(3)
	buffer_store_dword v8, v11, s[0:3], 0 offen offset:4
	s_waitcnt vmcnt(3)
	buffer_store_dword v9, v11, s[0:3], 0 offen offset:8
	;; [unrolled: 2-line block ×3, first 2 shown]
	buffer_store_dword v5, v6, s[0:3], 0 offen offset:12
	buffer_store_dword v4, v6, s[0:3], 0 offen offset:8
	;; [unrolled: 1-line block ×3, first 2 shown]
	buffer_store_dword v2, v6, s[0:3], 0 offen
.LBB88_168:
	s_or_b64 exec, exec, s[4:5]
	v_pk_mov_b32 v[2:3], s[16:17], s[16:17] op_sel:[0,1]
	flat_load_dword v2, v[2:3] offset:84
	s_waitcnt vmcnt(0) lgkmcnt(0)
	v_add_u32_e32 v2, -1, v2
	v_cmp_ne_u32_e32 vcc, 21, v2
	s_and_saveexec_b64 s[4:5], vcc
	s_cbranch_execz .LBB88_170
; %bb.169:
	v_mov_b32_e32 v3, 0
	v_accvgpr_read_b32 v11, a3
	v_lshl_add_u32 v6, v2, 4, v3
	buffer_load_dword v2, v11, s[0:3], 0 offen
	buffer_load_dword v3, v11, s[0:3], 0 offen offset:4
	buffer_load_dword v4, v11, s[0:3], 0 offen offset:8
	buffer_load_dword v5, v11, s[0:3], 0 offen offset:12
	buffer_load_dword v7, v6, s[0:3], 0 offen
	buffer_load_dword v8, v6, s[0:3], 0 offen offset:4
	buffer_load_dword v9, v6, s[0:3], 0 offen offset:8
	buffer_load_dword v10, v6, s[0:3], 0 offen offset:12
	s_waitcnt vmcnt(4)
	ds_write2_b64 v0, v[2:3], v[4:5] offset1:1
	s_waitcnt vmcnt(3)
	buffer_store_dword v7, v11, s[0:3], 0 offen
	s_waitcnt vmcnt(3)
	buffer_store_dword v8, v11, s[0:3], 0 offen offset:4
	s_waitcnt vmcnt(3)
	buffer_store_dword v9, v11, s[0:3], 0 offen offset:8
	s_waitcnt vmcnt(3)
	buffer_store_dword v10, v11, s[0:3], 0 offen offset:12
	buffer_store_dword v5, v6, s[0:3], 0 offen offset:12
	buffer_store_dword v4, v6, s[0:3], 0 offen offset:8
	buffer_store_dword v3, v6, s[0:3], 0 offen offset:4
	buffer_store_dword v2, v6, s[0:3], 0 offen
.LBB88_170:
	s_or_b64 exec, exec, s[4:5]
	v_pk_mov_b32 v[2:3], s[16:17], s[16:17] op_sel:[0,1]
	flat_load_dword v2, v[2:3] offset:80
	s_waitcnt vmcnt(0) lgkmcnt(0)
	v_add_u32_e32 v2, -1, v2
	v_cmp_ne_u32_e32 vcc, 20, v2
	s_and_saveexec_b64 s[4:5], vcc
	s_cbranch_execz .LBB88_172
; %bb.171:
	v_mov_b32_e32 v3, 0
	v_accvgpr_read_b32 v11, a4
	v_lshl_add_u32 v6, v2, 4, v3
	buffer_load_dword v2, v11, s[0:3], 0 offen
	buffer_load_dword v3, v11, s[0:3], 0 offen offset:4
	buffer_load_dword v4, v11, s[0:3], 0 offen offset:8
	buffer_load_dword v5, v11, s[0:3], 0 offen offset:12
	buffer_load_dword v7, v6, s[0:3], 0 offen
	buffer_load_dword v8, v6, s[0:3], 0 offen offset:4
	buffer_load_dword v9, v6, s[0:3], 0 offen offset:8
	buffer_load_dword v10, v6, s[0:3], 0 offen offset:12
	s_waitcnt vmcnt(4)
	ds_write2_b64 v0, v[2:3], v[4:5] offset1:1
	s_waitcnt vmcnt(3)
	buffer_store_dword v7, v11, s[0:3], 0 offen
	s_waitcnt vmcnt(3)
	buffer_store_dword v8, v11, s[0:3], 0 offen offset:4
	s_waitcnt vmcnt(3)
	buffer_store_dword v9, v11, s[0:3], 0 offen offset:8
	s_waitcnt vmcnt(3)
	buffer_store_dword v10, v11, s[0:3], 0 offen offset:12
	buffer_store_dword v5, v6, s[0:3], 0 offen offset:12
	buffer_store_dword v4, v6, s[0:3], 0 offen offset:8
	buffer_store_dword v3, v6, s[0:3], 0 offen offset:4
	buffer_store_dword v2, v6, s[0:3], 0 offen
.LBB88_172:
	;; [unrolled: 35-line block ×19, first 2 shown]
	s_or_b64 exec, exec, s[4:5]
	v_pk_mov_b32 v[2:3], s[16:17], s[16:17] op_sel:[0,1]
	flat_load_dword v2, v[2:3] offset:8
	s_waitcnt vmcnt(0) lgkmcnt(0)
	v_add_u32_e32 v2, -1, v2
	v_cmp_ne_u32_e32 vcc, 2, v2
	s_and_saveexec_b64 s[4:5], vcc
	s_cbranch_execz .LBB88_208
; %bb.207:
	v_mov_b32_e32 v3, 0
	v_lshl_add_u32 v6, v2, 4, v3
	buffer_load_dword v2, v170, s[0:3], 0 offen
	buffer_load_dword v3, v170, s[0:3], 0 offen offset:4
	buffer_load_dword v4, v170, s[0:3], 0 offen offset:8
	;; [unrolled: 1-line block ×3, first 2 shown]
	buffer_load_dword v7, v6, s[0:3], 0 offen
	buffer_load_dword v8, v6, s[0:3], 0 offen offset:4
	buffer_load_dword v9, v6, s[0:3], 0 offen offset:8
	;; [unrolled: 1-line block ×3, first 2 shown]
	s_waitcnt vmcnt(4)
	ds_write2_b64 v0, v[2:3], v[4:5] offset1:1
	s_waitcnt vmcnt(3)
	buffer_store_dword v7, v170, s[0:3], 0 offen
	s_waitcnt vmcnt(3)
	buffer_store_dword v8, v170, s[0:3], 0 offen offset:4
	s_waitcnt vmcnt(3)
	buffer_store_dword v9, v170, s[0:3], 0 offen offset:8
	;; [unrolled: 2-line block ×3, first 2 shown]
	buffer_store_dword v5, v6, s[0:3], 0 offen offset:12
	buffer_store_dword v4, v6, s[0:3], 0 offen offset:8
	;; [unrolled: 1-line block ×3, first 2 shown]
	buffer_store_dword v2, v6, s[0:3], 0 offen
.LBB88_208:
	s_or_b64 exec, exec, s[4:5]
	v_pk_mov_b32 v[2:3], s[16:17], s[16:17] op_sel:[0,1]
	flat_load_dword v2, v[2:3] offset:4
	s_waitcnt vmcnt(0) lgkmcnt(0)
	v_add_u32_e32 v2, -1, v2
	v_cmp_ne_u32_e32 vcc, 1, v2
	s_and_saveexec_b64 s[4:5], vcc
	s_cbranch_execz .LBB88_210
; %bb.209:
	v_mov_b32_e32 v3, 0
	v_lshl_add_u32 v6, v2, 4, v3
	buffer_load_dword v2, v1, s[0:3], 0 offen
	buffer_load_dword v3, v1, s[0:3], 0 offen offset:4
	buffer_load_dword v4, v1, s[0:3], 0 offen offset:8
	;; [unrolled: 1-line block ×3, first 2 shown]
	buffer_load_dword v7, v6, s[0:3], 0 offen
	buffer_load_dword v8, v6, s[0:3], 0 offen offset:4
	buffer_load_dword v9, v6, s[0:3], 0 offen offset:8
	;; [unrolled: 1-line block ×3, first 2 shown]
	s_waitcnt vmcnt(4)
	ds_write2_b64 v0, v[2:3], v[4:5] offset1:1
	s_waitcnt vmcnt(3)
	buffer_store_dword v7, v1, s[0:3], 0 offen
	s_waitcnt vmcnt(3)
	buffer_store_dword v8, v1, s[0:3], 0 offen offset:4
	s_waitcnt vmcnt(3)
	buffer_store_dword v9, v1, s[0:3], 0 offen offset:8
	;; [unrolled: 2-line block ×3, first 2 shown]
	buffer_store_dword v5, v6, s[0:3], 0 offen offset:12
	buffer_store_dword v4, v6, s[0:3], 0 offen offset:8
	;; [unrolled: 1-line block ×3, first 2 shown]
	buffer_store_dword v2, v6, s[0:3], 0 offen
.LBB88_210:
	s_or_b64 exec, exec, s[4:5]
	v_pk_mov_b32 v[2:3], s[16:17], s[16:17] op_sel:[0,1]
	flat_load_dword v2, v[2:3]
	s_waitcnt vmcnt(0) lgkmcnt(0)
	v_add_u32_e32 v2, -1, v2
	v_cmp_ne_u32_e32 vcc, 0, v2
	s_and_saveexec_b64 s[4:5], vcc
	s_cbranch_execz .LBB88_212
; %bb.211:
	v_mov_b32_e32 v3, 0
	v_lshl_add_u32 v6, v2, 4, v3
	buffer_load_dword v2, off, s[0:3], 0
	buffer_load_dword v3, off, s[0:3], 0 offset:4
	buffer_load_dword v4, off, s[0:3], 0 offset:8
	;; [unrolled: 1-line block ×3, first 2 shown]
	buffer_load_dword v7, v6, s[0:3], 0 offen
	buffer_load_dword v8, v6, s[0:3], 0 offen offset:4
	buffer_load_dword v9, v6, s[0:3], 0 offen offset:8
	;; [unrolled: 1-line block ×3, first 2 shown]
	s_waitcnt vmcnt(4)
	ds_write2_b64 v0, v[2:3], v[4:5] offset1:1
	s_waitcnt vmcnt(3)
	buffer_store_dword v7, off, s[0:3], 0
	s_waitcnt vmcnt(3)
	buffer_store_dword v8, off, s[0:3], 0 offset:4
	s_waitcnt vmcnt(3)
	buffer_store_dword v9, off, s[0:3], 0 offset:8
	;; [unrolled: 2-line block ×3, first 2 shown]
	buffer_store_dword v5, v6, s[0:3], 0 offen offset:12
	buffer_store_dword v4, v6, s[0:3], 0 offen offset:8
	;; [unrolled: 1-line block ×3, first 2 shown]
	buffer_store_dword v2, v6, s[0:3], 0 offen
.LBB88_212:
	s_or_b64 exec, exec, s[4:5]
.LBB88_213:
	v_accvgpr_read_b32 v0, a21
	buffer_load_dword v2, off, s[0:3], 0
	buffer_load_dword v3, off, s[0:3], 0 offset:4
	buffer_load_dword v4, off, s[0:3], 0 offset:8
	;; [unrolled: 1-line block ×3, first 2 shown]
	buffer_load_dword v6, v1, s[0:3], 0 offen
	buffer_load_dword v7, v1, s[0:3], 0 offen offset:4
	buffer_load_dword v8, v1, s[0:3], 0 offen offset:8
	;; [unrolled: 1-line block ×6, first 2 shown]
	buffer_load_dword v14, v0, s[0:3], 0 offen
	buffer_load_dword v15, v0, s[0:3], 0 offen offset:4
	buffer_load_dword v16, v0, s[0:3], 0 offen offset:8
	buffer_load_dword v10, v170, s[0:3], 0 offen
	buffer_load_dword v17, v0, s[0:3], 0 offen offset:12
	v_accvgpr_read_b32 v87, a19
                                        ; kill: killed $vgpr1
                                        ; kill: killed $vgpr0
	v_accvgpr_read_b32 v0, a17
	v_accvgpr_read_b32 v88, a20
	;; [unrolled: 1-line block ×4, first 2 shown]
	buffer_load_dword v19, v87, s[0:3], 0 offen offset:4
	buffer_load_dword v20, v87, s[0:3], 0 offen offset:8
	;; [unrolled: 1-line block ×3, first 2 shown]
	buffer_load_dword v22, v0, s[0:3], 0 offen
	buffer_load_dword v23, v0, s[0:3], 0 offen offset:4
	buffer_load_dword v24, v0, s[0:3], 0 offen offset:8
	buffer_load_dword v18, v87, s[0:3], 0 offen
	buffer_load_dword v25, v0, s[0:3], 0 offen offset:12
	buffer_load_dword v27, v88, s[0:3], 0 offen offset:4
	;; [unrolled: 1-line block ×4, first 2 shown]
	buffer_load_dword v30, v84, s[0:3], 0 offen
	buffer_load_dword v31, v84, s[0:3], 0 offen offset:4
	buffer_load_dword v32, v84, s[0:3], 0 offen offset:8
	buffer_load_dword v26, v88, s[0:3], 0 offen
	buffer_load_dword v33, v84, s[0:3], 0 offen offset:12
	buffer_load_dword v85, v1, s[0:3], 0 offen offset:4
	;; [unrolled: 1-line block ×3, first 2 shown]
                                        ; kill: killed $vgpr87
                                        ; kill: killed $vgpr88
                                        ; kill: killed $vgpr0
                                        ; kill: killed $vgpr84
	s_nop 0
	buffer_load_dword v87, v1, s[0:3], 0 offen offset:12
	v_accvgpr_read_b32 v102, a15
	v_accvgpr_read_b32 v100, a14
	;; [unrolled: 1-line block ×4, first 2 shown]
	buffer_load_dword v88, v102, s[0:3], 0 offen
	buffer_load_dword v89, v102, s[0:3], 0 offen offset:4
	buffer_load_dword v90, v102, s[0:3], 0 offen offset:8
	buffer_load_dword v84, v1, s[0:3], 0 offen
	buffer_load_dword v91, v102, s[0:3], 0 offen offset:12
	buffer_load_dword v93, v100, s[0:3], 0 offen offset:4
	;; [unrolled: 1-line block ×4, first 2 shown]
	buffer_load_dword v96, v103, s[0:3], 0 offen
	buffer_load_dword v97, v103, s[0:3], 0 offen offset:4
	buffer_load_dword v98, v103, s[0:3], 0 offen offset:8
	buffer_load_dword v92, v100, s[0:3], 0 offen
	buffer_load_dword v99, v103, s[0:3], 0 offen offset:12
	buffer_load_dword v101, v0, s[0:3], 0 offen offset:4
                                        ; kill: killed $vgpr102
                                        ; kill: killed $vgpr103
                                        ; kill: killed $vgpr1
                                        ; kill: killed $vgpr100
	s_nop 0
	buffer_load_dword v102, v0, s[0:3], 0 offen offset:8
	buffer_load_dword v103, v0, s[0:3], 0 offen offset:12
	v_accvgpr_read_b32 v116, a11
	v_accvgpr_read_b32 v1, a10
	;; [unrolled: 1-line block ×3, first 2 shown]
	buffer_load_dword v104, v116, s[0:3], 0 offen
	buffer_load_dword v105, v116, s[0:3], 0 offen offset:4
	buffer_load_dword v106, v116, s[0:3], 0 offen offset:8
	buffer_load_dword v100, v0, s[0:3], 0 offen
	buffer_load_dword v107, v116, s[0:3], 0 offen offset:12
	buffer_load_dword v109, v1, s[0:3], 0 offen offset:4
	;; [unrolled: 1-line block ×4, first 2 shown]
	buffer_load_dword v112, v117, s[0:3], 0 offen
	buffer_load_dword v113, v117, s[0:3], 0 offen offset:4
	buffer_load_dword v114, v117, s[0:3], 0 offen offset:8
	buffer_load_dword v108, v1, s[0:3], 0 offen
	buffer_load_dword v115, v117, s[0:3], 0 offen offset:12
                                        ; kill: killed $vgpr0
                                        ; kill: killed $vgpr1
	v_accvgpr_read_b32 v1, a8
	v_accvgpr_read_b32 v0, a7
                                        ; kill: killed $vgpr116
                                        ; kill: killed $vgpr117
	buffer_load_dword v117, v1, s[0:3], 0 offen offset:4
	buffer_load_dword v118, v1, s[0:3], 0 offen offset:8
	buffer_load_dword v119, v1, s[0:3], 0 offen offset:12
	buffer_load_dword v120, v0, s[0:3], 0 offen
	buffer_load_dword v121, v0, s[0:3], 0 offen offset:4
	buffer_load_dword v122, v0, s[0:3], 0 offen offset:8
	buffer_load_dword v116, v1, s[0:3], 0 offen
	buffer_load_dword v123, v0, s[0:3], 0 offen offset:12
	v_accvgpr_read_b32 v1, a6
	v_accvgpr_read_b32 v0, a5
	buffer_load_dword v125, v1, s[0:3], 0 offen offset:4
	buffer_load_dword v126, v1, s[0:3], 0 offen offset:8
	buffer_load_dword v127, v1, s[0:3], 0 offen offset:12
	buffer_load_dword v128, v0, s[0:3], 0 offen
	buffer_load_dword v129, v0, s[0:3], 0 offen offset:4
	buffer_load_dword v130, v0, s[0:3], 0 offen offset:8
	buffer_load_dword v124, v1, s[0:3], 0 offen
	buffer_load_dword v131, v0, s[0:3], 0 offen offset:12
	v_accvgpr_read_b32 v1, a4
	v_accvgpr_read_b32 v0, a3
	;; [unrolled: 10-line block ×3, first 2 shown]
	buffer_load_dword v141, v1, s[0:3], 0 offen offset:4
	buffer_load_dword v142, v1, s[0:3], 0 offen offset:8
	buffer_load_dword v143, v1, s[0:3], 0 offen offset:12
	buffer_load_dword v144, v0, s[0:3], 0 offen
	buffer_load_dword v145, v0, s[0:3], 0 offen offset:4
	buffer_load_dword v146, v0, s[0:3], 0 offen offset:8
	buffer_load_dword v140, v1, s[0:3], 0 offen
	buffer_load_dword v147, v0, s[0:3], 0 offen offset:12
	v_accvgpr_read_b32 v0, a0
	buffer_load_dword v148, v0, s[0:3], 0 offen
	buffer_load_dword v149, v0, s[0:3], 0 offen offset:4
	buffer_load_dword v150, v0, s[0:3], 0 offen offset:8
	;; [unrolled: 1-line block ×3, first 2 shown]
                                        ; kill: killed $vgpr170
	s_waitcnt vmcnt(62)
	global_store_dwordx4 v[34:35], v[2:5], off
	global_store_dwordx4 v[36:37], v[6:9], off
	global_store_dwordx4 v[38:39], v[10:13], off
	global_store_dwordx4 v[40:41], v[14:17], off
	global_store_dwordx4 v[42:43], v[18:21], off
	global_store_dwordx4 v[44:45], v[22:25], off
	global_store_dwordx4 v[46:47], v[26:29], off
	global_store_dwordx4 v[48:49], v[30:33], off
	s_waitcnt vmcnt(62)
	global_store_dwordx4 v[50:51], v[84:87], off
	global_store_dwordx4 v[52:53], v[88:91], off
	s_waitcnt vmcnt(62)
	global_store_dwordx4 v[54:55], v[92:95], off
	global_store_dwordx4 v[56:57], v[96:99], off
	s_waitcnt vmcnt(57)
	global_store_dwordx4 v[58:59], v[100:103], off
	s_waitcnt vmcnt(57)
	;; [unrolled: 2-line block ×13, first 2 shown]
	global_store_dwordx4 v[82:83], v[148:151], off
	s_endpgm
	.section	.rodata,"a",@progbits
	.p2align	6, 0x0
	.amdhsa_kernel _ZN9rocsolver6v33100L18getri_kernel_smallILi25E19rocblas_complex_numIdEPKPS3_EEvT1_iilPiilS8_bb
		.amdhsa_group_segment_fixed_size 1832
		.amdhsa_private_segment_fixed_size 416
		.amdhsa_kernarg_size 60
		.amdhsa_user_sgpr_count 10
		.amdhsa_user_sgpr_private_segment_buffer 1
		.amdhsa_user_sgpr_dispatch_ptr 1
		.amdhsa_user_sgpr_queue_ptr 0
		.amdhsa_user_sgpr_kernarg_segment_ptr 1
		.amdhsa_user_sgpr_dispatch_id 0
		.amdhsa_user_sgpr_flat_scratch_init 1
		.amdhsa_user_sgpr_kernarg_preload_length 0
		.amdhsa_user_sgpr_kernarg_preload_offset 0
		.amdhsa_user_sgpr_private_segment_size 0
		.amdhsa_uses_dynamic_stack 0
		.amdhsa_system_sgpr_private_segment_wavefront_offset 1
		.amdhsa_system_sgpr_workgroup_id_x 1
		.amdhsa_system_sgpr_workgroup_id_y 0
		.amdhsa_system_sgpr_workgroup_id_z 0
		.amdhsa_system_sgpr_workgroup_info 0
		.amdhsa_system_vgpr_workitem_id 2
		.amdhsa_next_free_vgpr 278
		.amdhsa_next_free_sgpr 24
		.amdhsa_accum_offset 256
		.amdhsa_reserve_vcc 1
		.amdhsa_reserve_flat_scratch 1
		.amdhsa_float_round_mode_32 0
		.amdhsa_float_round_mode_16_64 0
		.amdhsa_float_denorm_mode_32 3
		.amdhsa_float_denorm_mode_16_64 3
		.amdhsa_dx10_clamp 1
		.amdhsa_ieee_mode 1
		.amdhsa_fp16_overflow 0
		.amdhsa_tg_split 0
		.amdhsa_exception_fp_ieee_invalid_op 0
		.amdhsa_exception_fp_denorm_src 0
		.amdhsa_exception_fp_ieee_div_zero 0
		.amdhsa_exception_fp_ieee_overflow 0
		.amdhsa_exception_fp_ieee_underflow 0
		.amdhsa_exception_fp_ieee_inexact 0
		.amdhsa_exception_int_div_zero 0
	.end_amdhsa_kernel
	.section	.text._ZN9rocsolver6v33100L18getri_kernel_smallILi25E19rocblas_complex_numIdEPKPS3_EEvT1_iilPiilS8_bb,"axG",@progbits,_ZN9rocsolver6v33100L18getri_kernel_smallILi25E19rocblas_complex_numIdEPKPS3_EEvT1_iilPiilS8_bb,comdat
.Lfunc_end88:
	.size	_ZN9rocsolver6v33100L18getri_kernel_smallILi25E19rocblas_complex_numIdEPKPS3_EEvT1_iilPiilS8_bb, .Lfunc_end88-_ZN9rocsolver6v33100L18getri_kernel_smallILi25E19rocblas_complex_numIdEPKPS3_EEvT1_iilPiilS8_bb
                                        ; -- End function
	.section	.AMDGPU.csdata,"",@progbits
; Kernel info:
; codeLenInByte = 49072
; NumSgprs: 30
; NumVgprs: 256
; NumAgprs: 22
; TotalNumVgprs: 278
; ScratchSize: 416
; MemoryBound: 0
; FloatMode: 240
; IeeeMode: 1
; LDSByteSize: 1832 bytes/workgroup (compile time only)
; SGPRBlocks: 3
; VGPRBlocks: 34
; NumSGPRsForWavesPerEU: 30
; NumVGPRsForWavesPerEU: 278
; AccumOffset: 256
; Occupancy: 1
; WaveLimiterHint : 1
; COMPUTE_PGM_RSRC2:SCRATCH_EN: 1
; COMPUTE_PGM_RSRC2:USER_SGPR: 10
; COMPUTE_PGM_RSRC2:TRAP_HANDLER: 0
; COMPUTE_PGM_RSRC2:TGID_X_EN: 1
; COMPUTE_PGM_RSRC2:TGID_Y_EN: 0
; COMPUTE_PGM_RSRC2:TGID_Z_EN: 0
; COMPUTE_PGM_RSRC2:TIDIG_COMP_CNT: 2
; COMPUTE_PGM_RSRC3_GFX90A:ACCUM_OFFSET: 63
; COMPUTE_PGM_RSRC3_GFX90A:TG_SPLIT: 0
	.section	.text._ZN9rocsolver6v33100L18getri_kernel_smallILi26E19rocblas_complex_numIdEPKPS3_EEvT1_iilPiilS8_bb,"axG",@progbits,_ZN9rocsolver6v33100L18getri_kernel_smallILi26E19rocblas_complex_numIdEPKPS3_EEvT1_iilPiilS8_bb,comdat
	.globl	_ZN9rocsolver6v33100L18getri_kernel_smallILi26E19rocblas_complex_numIdEPKPS3_EEvT1_iilPiilS8_bb ; -- Begin function _ZN9rocsolver6v33100L18getri_kernel_smallILi26E19rocblas_complex_numIdEPKPS3_EEvT1_iilPiilS8_bb
	.p2align	8
	.type	_ZN9rocsolver6v33100L18getri_kernel_smallILi26E19rocblas_complex_numIdEPKPS3_EEvT1_iilPiilS8_bb,@function
_ZN9rocsolver6v33100L18getri_kernel_smallILi26E19rocblas_complex_numIdEPKPS3_EEvT1_iilPiilS8_bb: ; @_ZN9rocsolver6v33100L18getri_kernel_smallILi26E19rocblas_complex_numIdEPKPS3_EEvT1_iilPiilS8_bb
; %bb.0:
	s_add_u32 flat_scratch_lo, s8, s11
	s_addc_u32 flat_scratch_hi, s9, 0
	s_add_u32 s0, s0, s11
	v_and_b32_e32 v178, 0x3ff, v0
	s_addc_u32 s1, s1, 0
	v_cmp_gt_u32_e32 vcc, 26, v178
	s_and_saveexec_b64 s[8:9], vcc
	s_cbranch_execz .LBB89_118
; %bb.1:
	s_load_dword s22, s[6:7], 0x38
	s_load_dwordx2 s[8:9], s[6:7], 0x0
	s_load_dwordx4 s[12:15], s[6:7], 0x28
	s_waitcnt lgkmcnt(0)
	s_bitcmp1_b32 s22, 8
	s_cselect_b64 s[18:19], -1, 0
	s_ashr_i32 s11, s10, 31
	s_lshl_b64 s[16:17], s[10:11], 3
	s_add_u32 s8, s8, s16
	s_addc_u32 s9, s9, s17
	s_load_dwordx2 s[20:21], s[8:9], 0x0
	s_bfe_u32 s8, s22, 0x10008
	s_cmp_eq_u32 s8, 0
                                        ; implicit-def: $sgpr16_sgpr17
	s_cbranch_scc1 .LBB89_3
; %bb.2:
	s_load_dword s8, s[6:7], 0x20
	s_load_dwordx2 s[16:17], s[6:7], 0x18
	s_mul_i32 s9, s10, s13
	s_mul_hi_u32 s13, s10, s12
	s_add_i32 s13, s13, s9
	s_mul_i32 s23, s11, s12
	s_add_i32 s13, s13, s23
	s_mul_i32 s12, s10, s12
	s_waitcnt lgkmcnt(0)
	s_ashr_i32 s9, s8, 31
	s_lshl_b64 s[12:13], s[12:13], 2
	s_add_u32 s12, s16, s12
	s_addc_u32 s13, s17, s13
	s_lshl_b64 s[8:9], s[8:9], 2
	s_add_u32 s16, s12, s8
	s_addc_u32 s17, s13, s9
.LBB89_3:
	s_load_dwordx2 s[8:9], s[6:7], 0x8
	v_lshlrev_b32_e32 v12, 4, v178
	s_waitcnt lgkmcnt(0)
	s_ashr_i32 s7, s8, 31
	s_mov_b32 s6, s8
	s_lshl_b64 s[6:7], s[6:7], 4
	s_add_u32 s6, s20, s6
	s_addc_u32 s7, s21, s7
	s_add_i32 s8, s9, s9
	v_add_u32_e32 v6, s8, v178
	v_mov_b32_e32 v1, s7
	v_add_co_u32_e32 v22, vcc, s6, v12
	v_ashrrev_i32_e32 v7, 31, v6
	v_add_u32_e32 v8, s9, v6
	v_addc_co_u32_e32 v23, vcc, 0, v1, vcc
	v_lshlrev_b64 v[6:7], 4, v[6:7]
	s_mov_b32 s12, s9
	s_ashr_i32 s13, s9, 31
	v_mov_b32_e32 v9, s7
	v_add_co_u32_e32 v24, vcc, s6, v6
	s_lshl_b64 s[12:13], s[12:13], 4
	v_addc_co_u32_e32 v25, vcc, v9, v7, vcc
	v_mov_b32_e32 v1, s13
	v_add_co_u32_e32 v26, vcc, s12, v22
	v_addc_co_u32_e32 v27, vcc, v23, v1, vcc
	global_load_dwordx4 v[2:5], v12, s[6:7]
	global_load_dwordx4 v[14:17], v[26:27], off
	global_load_dwordx4 v[18:21], v[24:25], off
	v_ashrrev_i32_e32 v9, 31, v8
	v_lshlrev_b64 v[6:7], 4, v[8:9]
	v_mov_b32_e32 v1, s7
	v_add_co_u32_e32 v28, vcc, s6, v6
	v_add_u32_e32 v10, s9, v8
	v_addc_co_u32_e32 v29, vcc, v1, v7, vcc
	v_ashrrev_i32_e32 v11, 31, v10
	global_load_dwordx4 v[34:37], v[28:29], off
	v_lshlrev_b64 v[6:7], 4, v[10:11]
	v_add_co_u32_e32 v30, vcc, s6, v6
	v_addc_co_u32_e32 v31, vcc, v1, v7, vcc
	global_load_dwordx4 v[74:77], v[30:31], off
	v_add_u32_e32 v10, s9, v10
	v_add_u32_e32 v38, s9, v10
	;; [unrolled: 1-line block ×21, first 2 shown]
	v_ashrrev_i32_e32 v7, 31, v6
	v_lshlrev_b64 v[6:7], 4, v[6:7]
	v_add_co_u32_e32 v32, vcc, s6, v6
	v_addc_co_u32_e32 v33, vcc, v1, v7, vcc
	v_ashrrev_i32_e32 v11, 31, v10
	global_load_dwordx4 v[6:9], v[32:33], off
	v_ashrrev_i32_e32 v39, 31, v38
	v_ashrrev_i32_e32 v41, 31, v40
	;; [unrolled: 1-line block ×16, first 2 shown]
	s_waitcnt vmcnt(5)
	buffer_store_dword v5, off, s[0:3], 0 offset:12
	buffer_store_dword v4, off, s[0:3], 0 offset:8
	;; [unrolled: 1-line block ×3, first 2 shown]
	buffer_store_dword v2, off, s[0:3], 0
	s_waitcnt vmcnt(8)
	buffer_store_dword v17, off, s[0:3], 0 offset:28
	buffer_store_dword v16, off, s[0:3], 0 offset:24
	buffer_store_dword v15, off, s[0:3], 0 offset:20
	buffer_store_dword v14, off, s[0:3], 0 offset:16
	s_waitcnt vmcnt(11)
	buffer_store_dword v21, off, s[0:3], 0 offset:44
	buffer_store_dword v20, off, s[0:3], 0 offset:40
	buffer_store_dword v19, off, s[0:3], 0 offset:36
	buffer_store_dword v18, off, s[0:3], 0 offset:32
	;; [unrolled: 5-line block ×3, first 2 shown]
	s_waitcnt vmcnt(17)
	buffer_store_dword v77, off, s[0:3], 0 offset:76
	v_lshlrev_b64 v[2:3], 4, v[10:11]
	v_add_co_u32_e32 v34, vcc, s6, v2
	v_addc_co_u32_e32 v35, vcc, v1, v3, vcc
	v_lshlrev_b64 v[2:3], 4, v[38:39]
	v_add_co_u32_e32 v36, vcc, s6, v2
	v_addc_co_u32_e32 v37, vcc, v1, v3, vcc
	;; [unrolled: 3-line block ×16, first 2 shown]
	v_lshlrev_b64 v[10:11], 4, v[68:69]
	v_add_co_u32_e32 v66, vcc, s6, v10
	v_ashrrev_i32_e32 v71, 31, v70
	v_addc_co_u32_e32 v67, vcc, v1, v11, vcc
	v_lshlrev_b64 v[10:11], 4, v[70:71]
	v_add_co_u32_e32 v68, vcc, s6, v10
	global_load_dwordx4 v[2:5], v[34:35], off
	global_load_dwordx4 v[14:17], v[36:37], off
	;; [unrolled: 1-line block ×16, first 2 shown]
	v_addc_co_u32_e32 v69, vcc, v1, v11, vcc
	global_load_dwordx4 v[130:133], v[66:67], off
	global_load_dwordx4 v[134:137], v[68:69], off
	v_ashrrev_i32_e32 v73, 31, v72
	v_lshlrev_b64 v[10:11], 4, v[72:73]
	v_add_co_u32_e32 v70, vcc, s6, v10
	v_addc_co_u32_e32 v71, vcc, v1, v11, vcc
	v_ashrrev_i32_e32 v139, 31, v138
	v_lshlrev_b64 v[10:11], 4, v[138:139]
	global_load_dwordx4 v[138:141], v[70:71], off
	v_add_co_u32_e32 v72, vcc, s6, v10
	v_addc_co_u32_e32 v73, vcc, v1, v11, vcc
	global_load_dwordx4 v[142:145], v[72:73], off
	s_nop 0
	buffer_store_dword v76, off, s[0:3], 0 offset:72
	buffer_store_dword v75, off, s[0:3], 0 offset:68
	buffer_store_dword v74, off, s[0:3], 0 offset:64
	s_waitcnt vmcnt(22)
	buffer_store_dword v5, off, s[0:3], 0 offset:92
	buffer_store_dword v4, off, s[0:3], 0 offset:88
	buffer_store_dword v3, off, s[0:3], 0 offset:84
	buffer_store_dword v2, off, s[0:3], 0 offset:80
	s_waitcnt vmcnt(25)
	buffer_store_dword v17, off, s[0:3], 0 offset:108
	buffer_store_dword v16, off, s[0:3], 0 offset:104
	buffer_store_dword v15, off, s[0:3], 0 offset:100
	buffer_store_dword v14, off, s[0:3], 0 offset:96
	s_waitcnt vmcnt(28)
	buffer_store_dword v21, off, s[0:3], 0 offset:124
	buffer_store_dword v20, off, s[0:3], 0 offset:120
	buffer_store_dword v19, off, s[0:3], 0 offset:116
	buffer_store_dword v18, off, s[0:3], 0 offset:112
	s_waitcnt vmcnt(31)
	buffer_store_dword v81, off, s[0:3], 0 offset:140
	buffer_store_dword v80, off, s[0:3], 0 offset:136
	buffer_store_dword v79, off, s[0:3], 0 offset:132
	buffer_store_dword v78, off, s[0:3], 0 offset:128
	s_waitcnt vmcnt(34)
	buffer_store_dword v82, off, s[0:3], 0 offset:144
	buffer_store_dword v83, off, s[0:3], 0 offset:148
	buffer_store_dword v84, off, s[0:3], 0 offset:152
	buffer_store_dword v85, off, s[0:3], 0 offset:156
	s_waitcnt vmcnt(37)
	buffer_store_dword v86, off, s[0:3], 0 offset:160
	buffer_store_dword v87, off, s[0:3], 0 offset:164
	buffer_store_dword v88, off, s[0:3], 0 offset:168
	buffer_store_dword v89, off, s[0:3], 0 offset:172
	s_waitcnt vmcnt(40)
	buffer_store_dword v90, off, s[0:3], 0 offset:176
	buffer_store_dword v91, off, s[0:3], 0 offset:180
	buffer_store_dword v92, off, s[0:3], 0 offset:184
	buffer_store_dword v93, off, s[0:3], 0 offset:188
	s_waitcnt vmcnt(43)
	buffer_store_dword v97, off, s[0:3], 0 offset:204
	buffer_store_dword v96, off, s[0:3], 0 offset:200
	buffer_store_dword v95, off, s[0:3], 0 offset:196
	buffer_store_dword v94, off, s[0:3], 0 offset:192
	s_waitcnt vmcnt(46)
	buffer_store_dword v101, off, s[0:3], 0 offset:220
	buffer_store_dword v100, off, s[0:3], 0 offset:216
	buffer_store_dword v99, off, s[0:3], 0 offset:212
	buffer_store_dword v98, off, s[0:3], 0 offset:208
	s_waitcnt vmcnt(49)
	buffer_store_dword v105, off, s[0:3], 0 offset:236
	buffer_store_dword v104, off, s[0:3], 0 offset:232
	buffer_store_dword v103, off, s[0:3], 0 offset:228
	buffer_store_dword v102, off, s[0:3], 0 offset:224
	s_waitcnt vmcnt(52)
	buffer_store_dword v109, off, s[0:3], 0 offset:252
	buffer_store_dword v108, off, s[0:3], 0 offset:248
	buffer_store_dword v107, off, s[0:3], 0 offset:244
	buffer_store_dword v106, off, s[0:3], 0 offset:240
	s_waitcnt vmcnt(55)
	buffer_store_dword v113, off, s[0:3], 0 offset:268
	buffer_store_dword v112, off, s[0:3], 0 offset:264
	buffer_store_dword v111, off, s[0:3], 0 offset:260
	buffer_store_dword v110, off, s[0:3], 0 offset:256
	s_waitcnt vmcnt(58)
	buffer_store_dword v117, off, s[0:3], 0 offset:284
	buffer_store_dword v116, off, s[0:3], 0 offset:280
	buffer_store_dword v115, off, s[0:3], 0 offset:276
	buffer_store_dword v114, off, s[0:3], 0 offset:272
	s_waitcnt vmcnt(61)
	buffer_store_dword v121, off, s[0:3], 0 offset:300
	buffer_store_dword v120, off, s[0:3], 0 offset:296
	buffer_store_dword v119, off, s[0:3], 0 offset:292
	buffer_store_dword v118, off, s[0:3], 0 offset:288
	s_waitcnt vmcnt(62)
	buffer_store_dword v125, off, s[0:3], 0 offset:316
	buffer_store_dword v124, off, s[0:3], 0 offset:312
	buffer_store_dword v123, off, s[0:3], 0 offset:308
	;; [unrolled: 1-line block ×11, first 2 shown]
	s_waitcnt vmcnt(62)
	buffer_store_dword v137, off, s[0:3], 0 offset:364
	buffer_store_dword v136, off, s[0:3], 0 offset:360
	buffer_store_dword v135, off, s[0:3], 0 offset:356
	buffer_store_dword v134, off, s[0:3], 0 offset:352
	buffer_store_dword v141, off, s[0:3], 0 offset:380
	buffer_store_dword v140, off, s[0:3], 0 offset:376
	buffer_store_dword v139, off, s[0:3], 0 offset:372
	buffer_store_dword v138, off, s[0:3], 0 offset:368
	buffer_store_dword v145, off, s[0:3], 0 offset:396
	buffer_store_dword v144, off, s[0:3], 0 offset:392
	buffer_store_dword v143, off, s[0:3], 0 offset:388
	buffer_store_dword v142, off, s[0:3], 0 offset:384
	v_mov_b32_e32 v2, 0
	v_add_u32_e32 v3, 48, v2
	v_accvgpr_write_b32 a31, v3
	v_add_u32_e32 v3, 64, v2
	v_accvgpr_write_b32 a27, v3
	v_add_u32_e32 v3, 0x50, v2
	v_accvgpr_write_b32 a29, v3
	v_add_u32_e32 v3, 0x60, v2
	v_accvgpr_write_b32 a28, v3
	v_add_u32_e32 v3, 0x70, v2
	v_accvgpr_write_b32 a23, v3
	v_add_u32_e32 v3, 0x80, v2
	v_accvgpr_write_b32 a25, v3
	v_add_u32_e32 v3, 0x90, v2
	v_accvgpr_write_b32 a24, v3
	v_add_u32_e32 v3, 0xa0, v2
	v_accvgpr_write_b32 a26, v3
	v_add_u32_e32 v3, 0xb0, v2
	v_accvgpr_write_b32 a19, v3
	v_add_u32_e32 v3, 0xc0, v2
	v_accvgpr_write_b32 a20, v3
	v_add_u32_e32 v3, 0xd0, v2
	v_accvgpr_write_b32 a22, v3
	v_add_u32_e32 v3, 0xe0, v2
	v_accvgpr_write_b32 a21, v3
	v_add_u32_e32 v3, 0xf0, v2
	v_accvgpr_write_b32 a18, v3
	v_add_u32_e32 v3, 0x100, v2
	v_accvgpr_write_b32 a17, v3
	v_add_u32_e32 v3, 0x110, v2
	v_accvgpr_write_b32 a16, v3
	v_add_u32_e32 v3, 0x120, v2
	v_accvgpr_write_b32 a15, v3
	v_add_u32_e32 v3, 0x130, v2
	v_accvgpr_write_b32 a14, v3
	v_add_u32_e32 v3, 0x140, v2
	v_accvgpr_write_b32 a13, v3
	v_add_u32_e32 v3, 0x150, v2
	v_accvgpr_write_b32 a12, v3
	v_add_u32_e32 v3, 0x160, v2
	v_accvgpr_write_b32 a11, v3
	v_add_u32_e32 v3, 0x170, v2
	v_add_u32_e32 v1, 16, v2
	v_accvgpr_write_b32 a10, v3
	v_add_u32_e32 v3, 0x180, v2
	v_accvgpr_write_b32 a30, v1
	;; [unrolled: 2-line block ×3, first 2 shown]
	v_add_u32_e32 v76, 0x190, v2
	s_bitcmp0_b32 s22, 0
	s_mov_b64 s[8:9], -1
	buffer_store_dword v9, off, s[0:3], 0 offset:412
	buffer_store_dword v8, off, s[0:3], 0 offset:408
	;; [unrolled: 1-line block ×4, first 2 shown]
	s_cbranch_scc1 .LBB89_116
; %bb.4:
	v_cmp_eq_u32_e64 s[6:7], 0, v178
	s_and_saveexec_b64 s[8:9], s[6:7]
	s_cbranch_execz .LBB89_6
; %bb.5:
	v_mov_b32_e32 v2, 0
	ds_write_b32 v2, v2 offset:832
.LBB89_6:
	s_or_b64 exec, exec, s[8:9]
	v_mov_b32_e32 v2, 0
	v_lshl_add_u32 v13, v178, 4, v2
	s_waitcnt lgkmcnt(0)
	; wave barrier
	s_waitcnt lgkmcnt(0)
	buffer_load_dword v2, v13, s[0:3], 0 offen
	buffer_load_dword v3, v13, s[0:3], 0 offen offset:4
	buffer_load_dword v4, v13, s[0:3], 0 offen offset:8
	;; [unrolled: 1-line block ×3, first 2 shown]
	s_waitcnt vmcnt(2)
	v_cmp_eq_f64_e32 vcc, 0, v[2:3]
	s_waitcnt vmcnt(0)
	v_cmp_eq_f64_e64 s[8:9], 0, v[4:5]
	s_and_b64 s[8:9], vcc, s[8:9]
	s_and_saveexec_b64 s[12:13], s[8:9]
	s_cbranch_execz .LBB89_10
; %bb.7:
	v_mov_b32_e32 v2, 0
	ds_read_b32 v4, v2 offset:832
	v_add_u32_e32 v3, 1, v178
	s_waitcnt lgkmcnt(0)
	v_readfirstlane_b32 s8, v4
	s_cmp_eq_u32 s8, 0
	s_cselect_b64 s[20:21], -1, 0
	v_cmp_gt_i32_e32 vcc, s8, v3
	s_or_b64 s[20:21], s[20:21], vcc
	s_and_b64 exec, exec, s[20:21]
	s_cbranch_execz .LBB89_10
; %bb.8:
	s_mov_b64 s[20:21], 0
	v_mov_b32_e32 v4, s8
.LBB89_9:                               ; =>This Inner Loop Header: Depth=1
	ds_cmpst_rtn_b32 v4, v2, v4, v3 offset:832
	s_waitcnt lgkmcnt(0)
	v_cmp_ne_u32_e32 vcc, 0, v4
	v_cmp_le_i32_e64 s[8:9], v4, v3
	s_and_b64 s[8:9], vcc, s[8:9]
	s_and_b64 s[8:9], exec, s[8:9]
	s_or_b64 s[20:21], s[8:9], s[20:21]
	s_andn2_b64 exec, exec, s[20:21]
	s_cbranch_execnz .LBB89_9
.LBB89_10:
	s_or_b64 exec, exec, s[12:13]
	v_mov_b32_e32 v3, 0
	s_waitcnt lgkmcnt(0)
	; wave barrier
	ds_read_b32 v2, v3 offset:832
	s_and_saveexec_b64 s[8:9], s[6:7]
	s_cbranch_execz .LBB89_12
; %bb.11:
	s_lshl_b64 s[12:13], s[10:11], 2
	s_add_u32 s12, s14, s12
	s_addc_u32 s13, s15, s13
	s_waitcnt lgkmcnt(0)
	global_store_dword v3, v2, s[12:13]
.LBB89_12:
	s_or_b64 exec, exec, s[8:9]
	s_waitcnt lgkmcnt(0)
	v_cmp_ne_u32_e32 vcc, 0, v2
	s_mov_b64 s[8:9], 0
	s_cbranch_vccnz .LBB89_116
; %bb.13:
	buffer_load_dword v7, v13, s[0:3], 0 offen offset:4
	buffer_load_dword v6, v13, s[0:3], 0 offen
	buffer_load_dword v9, v13, s[0:3], 0 offen offset:12
	buffer_load_dword v8, v13, s[0:3], 0 offen offset:8
                                        ; implicit-def: $vgpr10_vgpr11
	s_waitcnt vmcnt(3)
	v_xor_b32_e32 v3, 0x80000000, v7
	s_waitcnt vmcnt(2)
	v_cmp_gt_f64_e32 vcc, 0, v[6:7]
	s_waitcnt vmcnt(1)
	v_xor_b32_e32 v4, 0x80000000, v9
	v_cndmask_b32_e32 v3, v7, v3, vcc
	s_waitcnt vmcnt(0)
	v_cmp_gt_f64_e32 vcc, 0, v[8:9]
	v_mov_b32_e32 v2, v6
	v_cndmask_b32_e32 v5, v9, v4, vcc
	v_mov_b32_e32 v4, v8
	v_cmp_ngt_f64_e32 vcc, v[2:3], v[4:5]
                                        ; implicit-def: $vgpr4_vgpr5
	s_and_saveexec_b64 s[8:9], vcc
	s_xor_b64 s[8:9], exec, s[8:9]
	s_cbranch_execz .LBB89_15
; %bb.14:
	v_div_scale_f64 v[2:3], s[12:13], v[8:9], v[8:9], v[6:7]
	v_rcp_f64_e32 v[4:5], v[2:3]
	v_div_scale_f64 v[10:11], vcc, v[6:7], v[8:9], v[6:7]
	v_fma_f64 v[14:15], -v[2:3], v[4:5], 1.0
	v_fmac_f64_e32 v[4:5], v[4:5], v[14:15]
	v_fma_f64 v[14:15], -v[2:3], v[4:5], 1.0
	v_fmac_f64_e32 v[4:5], v[4:5], v[14:15]
	v_mul_f64 v[14:15], v[10:11], v[4:5]
	v_fma_f64 v[2:3], -v[2:3], v[14:15], v[10:11]
	v_div_fmas_f64 v[2:3], v[2:3], v[4:5], v[14:15]
	v_div_fixup_f64 v[2:3], v[2:3], v[8:9], v[6:7]
	v_fmac_f64_e32 v[8:9], v[6:7], v[2:3]
	v_div_scale_f64 v[4:5], s[12:13], v[8:9], v[8:9], 1.0
	v_rcp_f64_e32 v[6:7], v[4:5]
	v_fma_f64 v[10:11], -v[4:5], v[6:7], 1.0
	v_fmac_f64_e32 v[6:7], v[6:7], v[10:11]
	v_fma_f64 v[10:11], -v[4:5], v[6:7], 1.0
	v_fmac_f64_e32 v[6:7], v[6:7], v[10:11]
	v_div_scale_f64 v[10:11], vcc, 1.0, v[8:9], 1.0
	v_mul_f64 v[14:15], v[10:11], v[6:7]
	v_fma_f64 v[4:5], -v[4:5], v[14:15], v[10:11]
	s_nop 1
	v_div_fmas_f64 v[4:5], v[4:5], v[6:7], v[14:15]
	v_div_fixup_f64 v[4:5], v[4:5], v[8:9], 1.0
	v_mul_f64 v[10:11], v[2:3], v[4:5]
	v_xor_b32_e32 v5, 0x80000000, v5
	v_xor_b32_e32 v3, 0x80000000, v11
	v_mov_b32_e32 v2, v10
                                        ; implicit-def: $vgpr6_vgpr7
                                        ; implicit-def: $vgpr8_vgpr9
.LBB89_15:
	s_andn2_saveexec_b64 s[8:9], s[8:9]
	s_cbranch_execz .LBB89_17
; %bb.16:
	v_div_scale_f64 v[2:3], s[12:13], v[6:7], v[6:7], v[8:9]
	v_rcp_f64_e32 v[4:5], v[2:3]
	v_div_scale_f64 v[10:11], vcc, v[8:9], v[6:7], v[8:9]
	v_fma_f64 v[14:15], -v[2:3], v[4:5], 1.0
	v_fmac_f64_e32 v[4:5], v[4:5], v[14:15]
	v_fma_f64 v[14:15], -v[2:3], v[4:5], 1.0
	v_fmac_f64_e32 v[4:5], v[4:5], v[14:15]
	v_mul_f64 v[14:15], v[10:11], v[4:5]
	v_fma_f64 v[2:3], -v[2:3], v[14:15], v[10:11]
	v_div_fmas_f64 v[2:3], v[2:3], v[4:5], v[14:15]
	v_div_fixup_f64 v[4:5], v[2:3], v[6:7], v[8:9]
	v_fmac_f64_e32 v[6:7], v[8:9], v[4:5]
	v_div_scale_f64 v[2:3], s[12:13], v[6:7], v[6:7], 1.0
	v_rcp_f64_e32 v[8:9], v[2:3]
	v_fma_f64 v[10:11], -v[2:3], v[8:9], 1.0
	v_fmac_f64_e32 v[8:9], v[8:9], v[10:11]
	v_fma_f64 v[10:11], -v[2:3], v[8:9], 1.0
	v_fmac_f64_e32 v[8:9], v[8:9], v[10:11]
	v_div_scale_f64 v[10:11], vcc, 1.0, v[6:7], 1.0
	v_mul_f64 v[14:15], v[10:11], v[8:9]
	v_fma_f64 v[2:3], -v[2:3], v[14:15], v[10:11]
	s_nop 1
	v_div_fmas_f64 v[2:3], v[2:3], v[8:9], v[14:15]
	v_div_fixup_f64 v[10:11], v[2:3], v[6:7], 1.0
	v_xor_b32_e32 v3, 0x80000000, v11
	v_mov_b32_e32 v2, v10
	v_mul_f64 v[4:5], v[4:5], -v[10:11]
.LBB89_17:
	s_or_b64 exec, exec, s[8:9]
	buffer_store_dword v11, v13, s[0:3], 0 offen offset:4
	buffer_store_dword v10, v13, s[0:3], 0 offen
	buffer_store_dword v5, v13, s[0:3], 0 offen offset:12
	buffer_store_dword v4, v13, s[0:3], 0 offen offset:8
	v_accvgpr_read_b32 v6, a30
	buffer_load_dword v11, v6, s[0:3], 0 offen offset:12
	buffer_load_dword v10, v6, s[0:3], 0 offen offset:8
	;; [unrolled: 1-line block ×3, first 2 shown]
	buffer_load_dword v8, v6, s[0:3], 0 offen
	v_xor_b32_e32 v5, 0x80000000, v5
	v_add_u32_e32 v6, 0x1a0, v12
	ds_write_b128 v12, v[2:5]
	s_waitcnt vmcnt(0)
	ds_write_b128 v12, v[8:11] offset:416
	s_waitcnt lgkmcnt(0)
	; wave barrier
	s_waitcnt lgkmcnt(0)
	s_and_saveexec_b64 s[8:9], s[6:7]
	s_cbranch_execz .LBB89_19
; %bb.18:
	buffer_load_dword v14, v13, s[0:3], 0 offen offset:8
	buffer_load_dword v15, v13, s[0:3], 0 offen offset:12
	buffer_load_dword v16, v13, s[0:3], 0 offen
	buffer_load_dword v17, v13, s[0:3], 0 offen offset:4
	ds_read_b128 v[2:5], v6
	v_mov_b32_e32 v7, 0
	ds_read_b128 v[8:11], v7 offset:16
	s_waitcnt vmcnt(2) lgkmcnt(1)
	v_mul_f64 v[18:19], v[4:5], v[14:15]
	v_mul_f64 v[14:15], v[2:3], v[14:15]
	s_waitcnt vmcnt(0)
	v_fmac_f64_e32 v[14:15], v[4:5], v[16:17]
	v_fma_f64 v[2:3], v[2:3], v[16:17], -v[18:19]
	v_add_f64 v[4:5], v[14:15], 0
	v_add_f64 v[2:3], v[2:3], 0
	s_waitcnt lgkmcnt(0)
	v_mul_f64 v[14:15], v[4:5], v[10:11]
	v_mul_f64 v[10:11], v[2:3], v[10:11]
	v_fma_f64 v[2:3], v[2:3], v[8:9], -v[14:15]
	v_fmac_f64_e32 v[10:11], v[4:5], v[8:9]
	buffer_store_dword v2, off, s[0:3], 0 offset:16
	buffer_store_dword v3, off, s[0:3], 0 offset:20
	;; [unrolled: 1-line block ×4, first 2 shown]
.LBB89_19:
	s_or_b64 exec, exec, s[8:9]
	s_waitcnt lgkmcnt(0)
	; wave barrier
	buffer_load_dword v2, v1, s[0:3], 0 offen
	buffer_load_dword v3, v1, s[0:3], 0 offen offset:4
	buffer_load_dword v4, v1, s[0:3], 0 offen offset:8
	buffer_load_dword v5, v1, s[0:3], 0 offen offset:12
	v_cmp_gt_u32_e32 vcc, 2, v178
	s_waitcnt vmcnt(0)
	ds_write_b128 v6, v[2:5]
	s_waitcnt lgkmcnt(0)
	; wave barrier
	s_waitcnt lgkmcnt(0)
	s_and_saveexec_b64 s[8:9], vcc
	s_cbranch_execz .LBB89_23
; %bb.20:
	buffer_load_dword v8, v13, s[0:3], 0 offen offset:8
	buffer_load_dword v9, v13, s[0:3], 0 offen offset:12
	buffer_load_dword v10, v13, s[0:3], 0 offen
	buffer_load_dword v11, v13, s[0:3], 0 offen offset:4
	ds_read_b128 v[2:5], v6
	s_waitcnt vmcnt(2) lgkmcnt(0)
	v_mul_f64 v[14:15], v[4:5], v[8:9]
	v_mul_f64 v[8:9], v[2:3], v[8:9]
	s_waitcnt vmcnt(0)
	v_fma_f64 v[2:3], v[2:3], v[10:11], -v[14:15]
	v_fmac_f64_e32 v[8:9], v[4:5], v[10:11]
	v_add_f64 v[4:5], v[2:3], 0
	v_add_f64 v[2:3], v[8:9], 0
	s_and_saveexec_b64 s[12:13], s[6:7]
	s_cbranch_execz .LBB89_22
; %bb.21:
	buffer_load_dword v14, off, s[0:3], 0 offset:24
	buffer_load_dword v15, off, s[0:3], 0 offset:28
	;; [unrolled: 1-line block ×4, first 2 shown]
	v_mov_b32_e32 v7, 0
	ds_read_b128 v[8:11], v7 offset:432
	s_waitcnt vmcnt(2) lgkmcnt(0)
	v_mul_f64 v[18:19], v[8:9], v[14:15]
	v_mul_f64 v[14:15], v[10:11], v[14:15]
	s_waitcnt vmcnt(0)
	v_fmac_f64_e32 v[18:19], v[10:11], v[16:17]
	v_fma_f64 v[8:9], v[8:9], v[16:17], -v[14:15]
	v_add_f64 v[2:3], v[2:3], v[18:19]
	v_add_f64 v[4:5], v[4:5], v[8:9]
.LBB89_22:
	s_or_b64 exec, exec, s[12:13]
	v_mov_b32_e32 v7, 0
	ds_read_b128 v[8:11], v7 offset:32
	s_waitcnt lgkmcnt(0)
	v_mul_f64 v[14:15], v[2:3], v[10:11]
	v_mul_f64 v[10:11], v[4:5], v[10:11]
	v_fma_f64 v[4:5], v[4:5], v[8:9], -v[14:15]
	v_fmac_f64_e32 v[10:11], v[2:3], v[8:9]
	buffer_store_dword v5, off, s[0:3], 0 offset:36
	buffer_store_dword v4, off, s[0:3], 0 offset:32
	;; [unrolled: 1-line block ×4, first 2 shown]
.LBB89_23:
	s_or_b64 exec, exec, s[8:9]
	v_accvgpr_read_b32 v5, a31
	s_waitcnt lgkmcnt(0)
	; wave barrier
	buffer_load_dword v2, v5, s[0:3], 0 offen
	buffer_load_dword v3, v5, s[0:3], 0 offen offset:4
	buffer_load_dword v4, v5, s[0:3], 0 offen offset:8
	s_nop 0
	buffer_load_dword v5, v5, s[0:3], 0 offen offset:12
	v_cmp_gt_u32_e32 vcc, 3, v178
	v_add_u32_e32 v7, -1, v178
	s_waitcnt vmcnt(0)
	ds_write_b128 v6, v[2:5]
	s_waitcnt lgkmcnt(0)
	; wave barrier
	s_waitcnt lgkmcnt(0)
	s_and_saveexec_b64 s[6:7], vcc
	s_cbranch_execz .LBB89_27
; %bb.24:
	v_pk_mov_b32 v[2:3], 0, 0
	v_add_u32_e32 v8, -1, v178
	v_add_u32_e32 v9, 0x1a0, v12
	v_add_u32_e32 v10, 0, v12
	s_mov_b64 s[8:9], 0
	v_pk_mov_b32 v[4:5], v[2:3], v[2:3] op_sel:[0,1]
.LBB89_25:                              ; =>This Inner Loop Header: Depth=1
	buffer_load_dword v18, v10, s[0:3], 0 offen offset:8
	buffer_load_dword v19, v10, s[0:3], 0 offen offset:12
	buffer_load_dword v20, v10, s[0:3], 0 offen
	buffer_load_dword v21, v10, s[0:3], 0 offen offset:4
	ds_read_b128 v[14:17], v9
	v_add_u32_e32 v8, 1, v8
	v_cmp_lt_u32_e32 vcc, 1, v8
	v_add_u32_e32 v9, 16, v9
	v_add_u32_e32 v10, 16, v10
	s_or_b64 s[8:9], vcc, s[8:9]
	s_waitcnt vmcnt(2) lgkmcnt(0)
	v_mul_f64 v[74:75], v[16:17], v[18:19]
	v_mul_f64 v[18:19], v[14:15], v[18:19]
	s_waitcnt vmcnt(0)
	v_fma_f64 v[14:15], v[14:15], v[20:21], -v[74:75]
	v_fmac_f64_e32 v[18:19], v[16:17], v[20:21]
	v_add_f64 v[4:5], v[4:5], v[14:15]
	v_add_f64 v[2:3], v[2:3], v[18:19]
	s_andn2_b64 exec, exec, s[8:9]
	s_cbranch_execnz .LBB89_25
; %bb.26:
	s_or_b64 exec, exec, s[8:9]
	v_mov_b32_e32 v8, 0
	ds_read_b128 v[8:11], v8 offset:48
	s_waitcnt lgkmcnt(0)
	v_mul_f64 v[14:15], v[2:3], v[10:11]
	v_mul_f64 v[10:11], v[4:5], v[10:11]
	v_fma_f64 v[4:5], v[4:5], v[8:9], -v[14:15]
	v_fmac_f64_e32 v[10:11], v[2:3], v[8:9]
	buffer_store_dword v5, off, s[0:3], 0 offset:52
	buffer_store_dword v4, off, s[0:3], 0 offset:48
	buffer_store_dword v11, off, s[0:3], 0 offset:60
	buffer_store_dword v10, off, s[0:3], 0 offset:56
.LBB89_27:
	s_or_b64 exec, exec, s[6:7]
	v_accvgpr_read_b32 v5, a27
	s_waitcnt lgkmcnt(0)
	; wave barrier
	buffer_load_dword v2, v5, s[0:3], 0 offen
	buffer_load_dword v3, v5, s[0:3], 0 offen offset:4
	buffer_load_dword v4, v5, s[0:3], 0 offen offset:8
	s_nop 0
	buffer_load_dword v5, v5, s[0:3], 0 offen offset:12
	v_cmp_gt_u32_e32 vcc, 4, v178
	s_waitcnt vmcnt(0)
	ds_write_b128 v6, v[2:5]
	s_waitcnt lgkmcnt(0)
	; wave barrier
	s_waitcnt lgkmcnt(0)
	s_and_saveexec_b64 s[6:7], vcc
	s_cbranch_execz .LBB89_31
; %bb.28:
	v_pk_mov_b32 v[2:3], 0, 0
	v_add_u32_e32 v8, -1, v178
	v_add_u32_e32 v9, 0x1a0, v12
	v_add_u32_e32 v10, 0, v12
	s_mov_b64 s[8:9], 0
	v_pk_mov_b32 v[4:5], v[2:3], v[2:3] op_sel:[0,1]
.LBB89_29:                              ; =>This Inner Loop Header: Depth=1
	buffer_load_dword v18, v10, s[0:3], 0 offen offset:8
	buffer_load_dword v19, v10, s[0:3], 0 offen offset:12
	buffer_load_dword v20, v10, s[0:3], 0 offen
	buffer_load_dword v21, v10, s[0:3], 0 offen offset:4
	ds_read_b128 v[14:17], v9
	v_add_u32_e32 v8, 1, v8
	v_cmp_lt_u32_e32 vcc, 2, v8
	v_add_u32_e32 v9, 16, v9
	v_add_u32_e32 v10, 16, v10
	s_or_b64 s[8:9], vcc, s[8:9]
	s_waitcnt vmcnt(2) lgkmcnt(0)
	v_mul_f64 v[74:75], v[16:17], v[18:19]
	v_mul_f64 v[18:19], v[14:15], v[18:19]
	s_waitcnt vmcnt(0)
	v_fma_f64 v[14:15], v[14:15], v[20:21], -v[74:75]
	v_fmac_f64_e32 v[18:19], v[16:17], v[20:21]
	v_add_f64 v[4:5], v[4:5], v[14:15]
	v_add_f64 v[2:3], v[2:3], v[18:19]
	s_andn2_b64 exec, exec, s[8:9]
	s_cbranch_execnz .LBB89_29
; %bb.30:
	s_or_b64 exec, exec, s[8:9]
	v_mov_b32_e32 v8, 0
	ds_read_b128 v[8:11], v8 offset:64
	s_waitcnt lgkmcnt(0)
	v_mul_f64 v[14:15], v[2:3], v[10:11]
	v_mul_f64 v[10:11], v[4:5], v[10:11]
	v_fma_f64 v[4:5], v[4:5], v[8:9], -v[14:15]
	v_fmac_f64_e32 v[10:11], v[2:3], v[8:9]
	buffer_store_dword v5, off, s[0:3], 0 offset:68
	buffer_store_dword v4, off, s[0:3], 0 offset:64
	buffer_store_dword v11, off, s[0:3], 0 offset:76
	buffer_store_dword v10, off, s[0:3], 0 offset:72
.LBB89_31:
	s_or_b64 exec, exec, s[6:7]
	v_accvgpr_read_b32 v5, a29
	s_waitcnt lgkmcnt(0)
	; wave barrier
	buffer_load_dword v2, v5, s[0:3], 0 offen
	buffer_load_dword v3, v5, s[0:3], 0 offen offset:4
	buffer_load_dword v4, v5, s[0:3], 0 offen offset:8
	s_nop 0
	buffer_load_dword v5, v5, s[0:3], 0 offen offset:12
	v_cmp_gt_u32_e32 vcc, 5, v178
	;; [unrolled: 59-line block ×19, first 2 shown]
	s_waitcnt vmcnt(0)
	ds_write_b128 v6, v[2:5]
	s_waitcnt lgkmcnt(0)
	; wave barrier
	s_waitcnt lgkmcnt(0)
	s_and_saveexec_b64 s[6:7], vcc
	s_cbranch_execz .LBB89_103
; %bb.100:
	v_pk_mov_b32 v[2:3], 0, 0
	v_add_u32_e32 v8, -1, v178
	v_add_u32_e32 v9, 0x1a0, v12
	v_add_u32_e32 v10, 0, v12
	s_mov_b64 s[8:9], 0
	v_pk_mov_b32 v[4:5], v[2:3], v[2:3] op_sel:[0,1]
.LBB89_101:                             ; =>This Inner Loop Header: Depth=1
	buffer_load_dword v18, v10, s[0:3], 0 offen offset:8
	buffer_load_dword v19, v10, s[0:3], 0 offen offset:12
	buffer_load_dword v20, v10, s[0:3], 0 offen
	buffer_load_dword v21, v10, s[0:3], 0 offen offset:4
	ds_read_b128 v[14:17], v9
	v_add_u32_e32 v8, 1, v8
	v_cmp_lt_u32_e32 vcc, 20, v8
	v_add_u32_e32 v9, 16, v9
	v_add_u32_e32 v10, 16, v10
	s_or_b64 s[8:9], vcc, s[8:9]
	s_waitcnt vmcnt(2) lgkmcnt(0)
	v_mul_f64 v[74:75], v[16:17], v[18:19]
	v_mul_f64 v[18:19], v[14:15], v[18:19]
	s_waitcnt vmcnt(0)
	v_fma_f64 v[14:15], v[14:15], v[20:21], -v[74:75]
	v_fmac_f64_e32 v[18:19], v[16:17], v[20:21]
	v_add_f64 v[4:5], v[4:5], v[14:15]
	v_add_f64 v[2:3], v[2:3], v[18:19]
	s_andn2_b64 exec, exec, s[8:9]
	s_cbranch_execnz .LBB89_101
; %bb.102:
	s_or_b64 exec, exec, s[8:9]
	v_mov_b32_e32 v8, 0
	ds_read_b128 v[8:11], v8 offset:352
	s_waitcnt lgkmcnt(0)
	v_mul_f64 v[14:15], v[2:3], v[10:11]
	v_mul_f64 v[10:11], v[4:5], v[10:11]
	v_fma_f64 v[4:5], v[4:5], v[8:9], -v[14:15]
	v_fmac_f64_e32 v[10:11], v[2:3], v[8:9]
	buffer_store_dword v5, off, s[0:3], 0 offset:356
	buffer_store_dword v4, off, s[0:3], 0 offset:352
	;; [unrolled: 1-line block ×4, first 2 shown]
.LBB89_103:
	s_or_b64 exec, exec, s[6:7]
	v_accvgpr_read_b32 v5, a10
	s_waitcnt lgkmcnt(0)
	; wave barrier
	buffer_load_dword v2, v5, s[0:3], 0 offen
	buffer_load_dword v3, v5, s[0:3], 0 offen offset:4
	buffer_load_dword v4, v5, s[0:3], 0 offen offset:8
	s_nop 0
	buffer_load_dword v5, v5, s[0:3], 0 offen offset:12
	v_cmp_gt_u32_e32 vcc, 23, v178
	s_waitcnt vmcnt(0)
	ds_write_b128 v6, v[2:5]
	s_waitcnt lgkmcnt(0)
	; wave barrier
	s_waitcnt lgkmcnt(0)
	s_and_saveexec_b64 s[6:7], vcc
	s_cbranch_execz .LBB89_107
; %bb.104:
	v_pk_mov_b32 v[2:3], 0, 0
	v_add_u32_e32 v8, -1, v178
	v_add_u32_e32 v9, 0x1a0, v12
	v_add_u32_e32 v10, 0, v12
	s_mov_b64 s[8:9], 0
	v_pk_mov_b32 v[4:5], v[2:3], v[2:3] op_sel:[0,1]
.LBB89_105:                             ; =>This Inner Loop Header: Depth=1
	buffer_load_dword v18, v10, s[0:3], 0 offen offset:8
	buffer_load_dword v19, v10, s[0:3], 0 offen offset:12
	buffer_load_dword v20, v10, s[0:3], 0 offen
	buffer_load_dword v21, v10, s[0:3], 0 offen offset:4
	ds_read_b128 v[14:17], v9
	v_add_u32_e32 v8, 1, v8
	v_cmp_lt_u32_e32 vcc, 21, v8
	v_add_u32_e32 v9, 16, v9
	v_add_u32_e32 v10, 16, v10
	s_or_b64 s[8:9], vcc, s[8:9]
	s_waitcnt vmcnt(2) lgkmcnt(0)
	v_mul_f64 v[74:75], v[16:17], v[18:19]
	v_mul_f64 v[18:19], v[14:15], v[18:19]
	s_waitcnt vmcnt(0)
	v_fma_f64 v[14:15], v[14:15], v[20:21], -v[74:75]
	v_fmac_f64_e32 v[18:19], v[16:17], v[20:21]
	v_add_f64 v[4:5], v[4:5], v[14:15]
	v_add_f64 v[2:3], v[2:3], v[18:19]
	s_andn2_b64 exec, exec, s[8:9]
	s_cbranch_execnz .LBB89_105
; %bb.106:
	s_or_b64 exec, exec, s[8:9]
	v_mov_b32_e32 v8, 0
	ds_read_b128 v[8:11], v8 offset:368
	s_waitcnt lgkmcnt(0)
	v_mul_f64 v[14:15], v[2:3], v[10:11]
	v_mul_f64 v[10:11], v[4:5], v[10:11]
	v_fma_f64 v[4:5], v[4:5], v[8:9], -v[14:15]
	v_fmac_f64_e32 v[10:11], v[2:3], v[8:9]
	buffer_store_dword v5, off, s[0:3], 0 offset:372
	buffer_store_dword v4, off, s[0:3], 0 offset:368
	;; [unrolled: 1-line block ×4, first 2 shown]
.LBB89_107:
	s_or_b64 exec, exec, s[6:7]
	v_accvgpr_read_b32 v5, a9
	s_waitcnt lgkmcnt(0)
	; wave barrier
	buffer_load_dword v2, v5, s[0:3], 0 offen
	buffer_load_dword v3, v5, s[0:3], 0 offen offset:4
	buffer_load_dword v4, v5, s[0:3], 0 offen offset:8
	s_nop 0
	buffer_load_dword v5, v5, s[0:3], 0 offen offset:12
	v_cmp_gt_u32_e32 vcc, 24, v178
	s_waitcnt vmcnt(0)
	ds_write_b128 v6, v[2:5]
	s_waitcnt lgkmcnt(0)
	; wave barrier
	s_waitcnt lgkmcnt(0)
	s_and_saveexec_b64 s[6:7], vcc
	s_cbranch_execz .LBB89_111
; %bb.108:
	v_pk_mov_b32 v[2:3], 0, 0
	v_add_u32_e32 v8, -1, v178
	v_add_u32_e32 v9, 0x1a0, v12
	v_add_u32_e32 v10, 0, v12
	s_mov_b64 s[8:9], 0
	v_pk_mov_b32 v[4:5], v[2:3], v[2:3] op_sel:[0,1]
.LBB89_109:                             ; =>This Inner Loop Header: Depth=1
	buffer_load_dword v18, v10, s[0:3], 0 offen offset:8
	buffer_load_dword v19, v10, s[0:3], 0 offen offset:12
	buffer_load_dword v20, v10, s[0:3], 0 offen
	buffer_load_dword v21, v10, s[0:3], 0 offen offset:4
	ds_read_b128 v[14:17], v9
	v_add_u32_e32 v8, 1, v8
	v_cmp_lt_u32_e32 vcc, 22, v8
	v_add_u32_e32 v9, 16, v9
	v_add_u32_e32 v10, 16, v10
	s_or_b64 s[8:9], vcc, s[8:9]
	s_waitcnt vmcnt(2) lgkmcnt(0)
	v_mul_f64 v[74:75], v[16:17], v[18:19]
	v_mul_f64 v[18:19], v[14:15], v[18:19]
	s_waitcnt vmcnt(0)
	v_fma_f64 v[14:15], v[14:15], v[20:21], -v[74:75]
	v_fmac_f64_e32 v[18:19], v[16:17], v[20:21]
	v_add_f64 v[4:5], v[4:5], v[14:15]
	v_add_f64 v[2:3], v[2:3], v[18:19]
	s_andn2_b64 exec, exec, s[8:9]
	s_cbranch_execnz .LBB89_109
; %bb.110:
	s_or_b64 exec, exec, s[8:9]
	v_mov_b32_e32 v8, 0
	ds_read_b128 v[8:11], v8 offset:384
	s_waitcnt lgkmcnt(0)
	v_mul_f64 v[14:15], v[2:3], v[10:11]
	v_mul_f64 v[10:11], v[4:5], v[10:11]
	v_fma_f64 v[4:5], v[4:5], v[8:9], -v[14:15]
	v_fmac_f64_e32 v[10:11], v[2:3], v[8:9]
	buffer_store_dword v5, off, s[0:3], 0 offset:388
	buffer_store_dword v4, off, s[0:3], 0 offset:384
	;; [unrolled: 1-line block ×4, first 2 shown]
.LBB89_111:
	s_or_b64 exec, exec, s[6:7]
	s_waitcnt lgkmcnt(0)
	; wave barrier
	buffer_load_dword v2, v76, s[0:3], 0 offen
	buffer_load_dword v3, v76, s[0:3], 0 offen offset:4
	buffer_load_dword v4, v76, s[0:3], 0 offen offset:8
	;; [unrolled: 1-line block ×3, first 2 shown]
	v_cmp_ne_u32_e32 vcc, 25, v178
	s_waitcnt vmcnt(0)
	ds_write_b128 v6, v[2:5]
	s_waitcnt lgkmcnt(0)
	; wave barrier
	s_waitcnt lgkmcnt(0)
	s_and_saveexec_b64 s[6:7], vcc
	s_cbranch_execz .LBB89_115
; %bb.112:
	v_pk_mov_b32 v[2:3], 0, 0
	v_add_u32_e32 v6, 0x1a0, v12
	v_add_u32_e32 v8, 0, v12
	s_mov_b64 s[8:9], 0
	v_pk_mov_b32 v[4:5], v[2:3], v[2:3] op_sel:[0,1]
.LBB89_113:                             ; =>This Inner Loop Header: Depth=1
	buffer_load_dword v14, v8, s[0:3], 0 offen offset:8
	buffer_load_dword v15, v8, s[0:3], 0 offen offset:12
	buffer_load_dword v16, v8, s[0:3], 0 offen
	buffer_load_dword v17, v8, s[0:3], 0 offen offset:4
	ds_read_b128 v[10:13], v6
	v_add_u32_e32 v7, 1, v7
	v_cmp_lt_u32_e32 vcc, 23, v7
	v_add_u32_e32 v6, 16, v6
	v_add_u32_e32 v8, 16, v8
	s_or_b64 s[8:9], vcc, s[8:9]
	s_waitcnt vmcnt(2) lgkmcnt(0)
	v_mul_f64 v[18:19], v[12:13], v[14:15]
	v_mul_f64 v[14:15], v[10:11], v[14:15]
	s_waitcnt vmcnt(0)
	v_fma_f64 v[10:11], v[10:11], v[16:17], -v[18:19]
	v_fmac_f64_e32 v[14:15], v[12:13], v[16:17]
	v_add_f64 v[4:5], v[4:5], v[10:11]
	v_add_f64 v[2:3], v[2:3], v[14:15]
	s_andn2_b64 exec, exec, s[8:9]
	s_cbranch_execnz .LBB89_113
; %bb.114:
	s_or_b64 exec, exec, s[8:9]
	v_mov_b32_e32 v6, 0
	ds_read_b128 v[6:9], v6 offset:400
	s_waitcnt lgkmcnt(0)
	v_mul_f64 v[10:11], v[2:3], v[8:9]
	v_mul_f64 v[8:9], v[4:5], v[8:9]
	v_fma_f64 v[4:5], v[4:5], v[6:7], -v[10:11]
	v_fmac_f64_e32 v[8:9], v[2:3], v[6:7]
	buffer_store_dword v5, off, s[0:3], 0 offset:404
	buffer_store_dword v4, off, s[0:3], 0 offset:400
	;; [unrolled: 1-line block ×4, first 2 shown]
.LBB89_115:
	s_or_b64 exec, exec, s[6:7]
	s_mov_b64 s[8:9], -1
	s_waitcnt lgkmcnt(0)
	; wave barrier
.LBB89_116:
	s_and_b64 vcc, exec, s[8:9]
	s_cbranch_vccz .LBB89_118
; %bb.117:
	s_lshl_b64 s[6:7], s[10:11], 2
	s_add_u32 s6, s14, s6
	s_addc_u32 s7, s15, s7
	v_mov_b32_e32 v2, 0
	global_load_dword v2, v2, s[6:7]
	s_waitcnt vmcnt(0)
	v_cmp_ne_u32_e32 vcc, 0, v2
	s_cbranch_vccz .LBB89_119
.LBB89_118:
	s_endpgm
.LBB89_119:
	v_accvgpr_write_b32 a6, v30
	v_accvgpr_write_b32 a4, v28
	;; [unrolled: 1-line block ×4, first 2 shown]
	v_mov_b32_e32 v2, 0x1a0
	v_accvgpr_write_b32 a8, v76
	v_accvgpr_write_b32 a7, v31
	;; [unrolled: 1-line block ×5, first 2 shown]
	v_lshl_add_u32 v150, v178, 4, v2
	v_cmp_eq_u32_e32 vcc, 25, v178
	s_and_saveexec_b64 s[6:7], vcc
	s_cbranch_execz .LBB89_121
; %bb.120:
	v_accvgpr_read_b32 v5, a9
	buffer_load_dword v2, v5, s[0:3], 0 offen
	buffer_load_dword v3, v5, s[0:3], 0 offen offset:4
	buffer_load_dword v4, v5, s[0:3], 0 offen offset:8
	s_nop 0
	buffer_load_dword v5, v5, s[0:3], 0 offen offset:12
	v_mov_b32_e32 v6, 0
	buffer_store_dword v6, off, s[0:3], 0 offset:384
	buffer_store_dword v6, off, s[0:3], 0 offset:388
	;; [unrolled: 1-line block ×4, first 2 shown]
	s_waitcnt vmcnt(4)
	ds_write_b128 v150, v[2:5]
.LBB89_121:
	s_or_b64 exec, exec, s[6:7]
	s_waitcnt lgkmcnt(0)
	; wave barrier
	s_waitcnt lgkmcnt(0)
	buffer_load_dword v8, off, s[0:3], 0 offset:408
	buffer_load_dword v9, off, s[0:3], 0 offset:412
	;; [unrolled: 1-line block ×8, first 2 shown]
	v_mov_b32_e32 v2, 0
	ds_read_b128 v[4:7], v2 offset:816
	v_cmp_lt_u32_e32 vcc, 23, v178
	s_waitcnt vmcnt(6) lgkmcnt(0)
	v_mul_f64 v[16:17], v[4:5], v[8:9]
	v_mul_f64 v[8:9], v[6:7], v[8:9]
	s_waitcnt vmcnt(4)
	v_fma_f64 v[4:5], v[4:5], v[10:11], -v[8:9]
	v_fmac_f64_e32 v[16:17], v[6:7], v[10:11]
	v_add_f64 v[4:5], v[4:5], 0
	v_add_f64 v[6:7], v[16:17], 0
	s_waitcnt vmcnt(2)
	v_add_f64 v[4:5], v[12:13], -v[4:5]
	s_waitcnt vmcnt(0)
	v_add_f64 v[6:7], v[14:15], -v[6:7]
	buffer_store_dword v4, off, s[0:3], 0 offset:384
	buffer_store_dword v5, off, s[0:3], 0 offset:388
	buffer_store_dword v6, off, s[0:3], 0 offset:392
	buffer_store_dword v7, off, s[0:3], 0 offset:396
	s_and_saveexec_b64 s[6:7], vcc
	s_cbranch_execz .LBB89_123
; %bb.122:
	v_accvgpr_read_b32 v3, a10
	buffer_load_dword v4, v3, s[0:3], 0 offen
	buffer_load_dword v5, v3, s[0:3], 0 offen offset:4
	buffer_load_dword v6, v3, s[0:3], 0 offen offset:8
	;; [unrolled: 1-line block ×3, first 2 shown]
	s_nop 0
	buffer_store_dword v2, off, s[0:3], 0 offset:368
	buffer_store_dword v2, off, s[0:3], 0 offset:372
	;; [unrolled: 1-line block ×4, first 2 shown]
	s_waitcnt vmcnt(4)
	ds_write_b128 v150, v[4:7]
.LBB89_123:
	s_or_b64 exec, exec, s[6:7]
	s_waitcnt lgkmcnt(0)
	; wave barrier
	s_waitcnt lgkmcnt(0)
	buffer_load_dword v12, off, s[0:3], 0 offset:392
	buffer_load_dword v13, off, s[0:3], 0 offset:396
	;; [unrolled: 1-line block ×12, first 2 shown]
	ds_read_b128 v[4:7], v2 offset:800
	ds_read_b128 v[8:11], v2 offset:816
	v_cmp_lt_u32_e32 vcc, 22, v178
	s_waitcnt vmcnt(10) lgkmcnt(1)
	v_mul_f64 v[2:3], v[4:5], v[12:13]
	v_mul_f64 v[12:13], v[6:7], v[12:13]
	s_waitcnt vmcnt(8) lgkmcnt(0)
	v_mul_f64 v[76:77], v[8:9], v[14:15]
	v_mul_f64 v[14:15], v[10:11], v[14:15]
	s_waitcnt vmcnt(6)
	v_fma_f64 v[4:5], v[4:5], v[16:17], -v[12:13]
	v_fmac_f64_e32 v[2:3], v[6:7], v[16:17]
	s_waitcnt vmcnt(4)
	v_fma_f64 v[6:7], v[8:9], v[18:19], -v[14:15]
	v_add_f64 v[4:5], v[4:5], 0
	v_fmac_f64_e32 v[76:77], v[10:11], v[18:19]
	v_add_f64 v[2:3], v[2:3], 0
	v_add_f64 v[4:5], v[4:5], v[6:7]
	;; [unrolled: 1-line block ×3, first 2 shown]
	s_waitcnt vmcnt(2)
	v_add_f64 v[4:5], v[20:21], -v[4:5]
	s_waitcnt vmcnt(0)
	v_add_f64 v[2:3], v[74:75], -v[2:3]
	buffer_store_dword v4, off, s[0:3], 0 offset:368
	buffer_store_dword v5, off, s[0:3], 0 offset:372
	;; [unrolled: 1-line block ×4, first 2 shown]
	s_and_saveexec_b64 s[6:7], vcc
	s_cbranch_execz .LBB89_125
; %bb.124:
	v_accvgpr_read_b32 v5, a11
	buffer_load_dword v2, v5, s[0:3], 0 offen
	buffer_load_dword v3, v5, s[0:3], 0 offen offset:4
	buffer_load_dword v4, v5, s[0:3], 0 offen offset:8
	s_nop 0
	buffer_load_dword v5, v5, s[0:3], 0 offen offset:12
	v_mov_b32_e32 v6, 0
	buffer_store_dword v6, off, s[0:3], 0 offset:352
	buffer_store_dword v6, off, s[0:3], 0 offset:356
	;; [unrolled: 1-line block ×4, first 2 shown]
	s_waitcnt vmcnt(4)
	ds_write_b128 v150, v[2:5]
.LBB89_125:
	s_or_b64 exec, exec, s[6:7]
	s_waitcnt lgkmcnt(0)
	; wave barrier
	s_waitcnt lgkmcnt(0)
	buffer_load_dword v16, off, s[0:3], 0 offset:376
	buffer_load_dword v17, off, s[0:3], 0 offset:380
	;; [unrolled: 1-line block ×16, first 2 shown]
	v_mov_b32_e32 v2, 0
	ds_read_b128 v[4:7], v2 offset:784
	ds_read_b128 v[8:11], v2 offset:800
	;; [unrolled: 1-line block ×3, first 2 shown]
	v_cmp_lt_u32_e32 vcc, 21, v178
	s_waitcnt vmcnt(14) lgkmcnt(2)
	v_mul_f64 v[84:85], v[4:5], v[16:17]
	v_mul_f64 v[16:17], v[6:7], v[16:17]
	s_waitcnt vmcnt(12) lgkmcnt(1)
	v_mul_f64 v[86:87], v[8:9], v[18:19]
	v_mul_f64 v[18:19], v[10:11], v[18:19]
	;; [unrolled: 3-line block ×3, first 2 shown]
	s_waitcnt vmcnt(8)
	v_fma_f64 v[4:5], v[4:5], v[74:75], -v[16:17]
	v_fmac_f64_e32 v[84:85], v[6:7], v[74:75]
	s_waitcnt vmcnt(6)
	v_fma_f64 v[6:7], v[8:9], v[76:77], -v[18:19]
	v_add_f64 v[4:5], v[4:5], 0
	v_fmac_f64_e32 v[86:87], v[10:11], v[76:77]
	s_waitcnt vmcnt(4)
	v_fma_f64 v[8:9], v[12:13], v[78:79], -v[20:21]
	v_add_f64 v[10:11], v[84:85], 0
	v_add_f64 v[4:5], v[4:5], v[6:7]
	v_fmac_f64_e32 v[88:89], v[14:15], v[78:79]
	v_add_f64 v[10:11], v[10:11], v[86:87]
	v_add_f64 v[4:5], v[4:5], v[8:9]
	;; [unrolled: 1-line block ×3, first 2 shown]
	s_waitcnt vmcnt(2)
	v_add_f64 v[4:5], v[80:81], -v[4:5]
	s_waitcnt vmcnt(0)
	v_add_f64 v[6:7], v[82:83], -v[6:7]
	buffer_store_dword v4, off, s[0:3], 0 offset:352
	buffer_store_dword v5, off, s[0:3], 0 offset:356
	;; [unrolled: 1-line block ×4, first 2 shown]
	s_and_saveexec_b64 s[6:7], vcc
	s_cbranch_execz .LBB89_127
; %bb.126:
	v_accvgpr_read_b32 v3, a12
	buffer_load_dword v4, v3, s[0:3], 0 offen
	buffer_load_dword v5, v3, s[0:3], 0 offen offset:4
	buffer_load_dword v6, v3, s[0:3], 0 offen offset:8
	;; [unrolled: 1-line block ×3, first 2 shown]
	s_nop 0
	buffer_store_dword v2, off, s[0:3], 0 offset:336
	buffer_store_dword v2, off, s[0:3], 0 offset:340
	;; [unrolled: 1-line block ×4, first 2 shown]
	s_waitcnt vmcnt(4)
	ds_write_b128 v150, v[4:7]
.LBB89_127:
	s_or_b64 exec, exec, s[6:7]
	s_waitcnt lgkmcnt(0)
	; wave barrier
	s_waitcnt lgkmcnt(0)
	buffer_load_dword v20, off, s[0:3], 0 offset:360
	buffer_load_dword v21, off, s[0:3], 0 offset:364
	;; [unrolled: 1-line block ×20, first 2 shown]
	ds_read_b128 v[4:7], v2 offset:768
	ds_read_b128 v[8:11], v2 offset:784
	;; [unrolled: 1-line block ×4, first 2 shown]
	v_cmp_lt_u32_e32 vcc, 20, v178
	s_waitcnt vmcnt(18) lgkmcnt(3)
	v_mul_f64 v[2:3], v[4:5], v[20:21]
	v_mul_f64 v[20:21], v[6:7], v[20:21]
	s_waitcnt vmcnt(16) lgkmcnt(2)
	v_mul_f64 v[92:93], v[8:9], v[74:75]
	v_mul_f64 v[74:75], v[10:11], v[74:75]
	;; [unrolled: 3-line block ×4, first 2 shown]
	s_waitcnt vmcnt(10)
	v_fma_f64 v[4:5], v[4:5], v[80:81], -v[20:21]
	v_fmac_f64_e32 v[2:3], v[6:7], v[80:81]
	s_waitcnt vmcnt(8)
	v_fma_f64 v[6:7], v[8:9], v[82:83], -v[74:75]
	v_add_f64 v[4:5], v[4:5], 0
	v_fmac_f64_e32 v[92:93], v[10:11], v[82:83]
	s_waitcnt vmcnt(6)
	v_fma_f64 v[8:9], v[12:13], v[84:85], -v[76:77]
	v_add_f64 v[2:3], v[2:3], 0
	v_add_f64 v[4:5], v[4:5], v[6:7]
	v_fmac_f64_e32 v[94:95], v[14:15], v[84:85]
	s_waitcnt vmcnt(4)
	v_fma_f64 v[10:11], v[16:17], v[86:87], -v[78:79]
	v_add_f64 v[2:3], v[2:3], v[92:93]
	v_add_f64 v[4:5], v[4:5], v[8:9]
	v_fmac_f64_e32 v[96:97], v[18:19], v[86:87]
	v_add_f64 v[2:3], v[2:3], v[94:95]
	v_add_f64 v[4:5], v[4:5], v[10:11]
	;; [unrolled: 1-line block ×3, first 2 shown]
	s_waitcnt vmcnt(2)
	v_add_f64 v[4:5], v[88:89], -v[4:5]
	s_waitcnt vmcnt(0)
	v_add_f64 v[2:3], v[90:91], -v[2:3]
	buffer_store_dword v4, off, s[0:3], 0 offset:336
	buffer_store_dword v5, off, s[0:3], 0 offset:340
	;; [unrolled: 1-line block ×4, first 2 shown]
	s_and_saveexec_b64 s[6:7], vcc
	s_cbranch_execz .LBB89_129
; %bb.128:
	v_accvgpr_read_b32 v5, a13
	buffer_load_dword v2, v5, s[0:3], 0 offen
	buffer_load_dword v3, v5, s[0:3], 0 offen offset:4
	buffer_load_dword v4, v5, s[0:3], 0 offen offset:8
	s_nop 0
	buffer_load_dword v5, v5, s[0:3], 0 offen offset:12
	v_mov_b32_e32 v6, 0
	buffer_store_dword v6, off, s[0:3], 0 offset:320
	buffer_store_dword v6, off, s[0:3], 0 offset:324
	;; [unrolled: 1-line block ×4, first 2 shown]
	s_waitcnt vmcnt(4)
	ds_write_b128 v150, v[2:5]
.LBB89_129:
	s_or_b64 exec, exec, s[6:7]
	s_waitcnt lgkmcnt(0)
	; wave barrier
	s_waitcnt lgkmcnt(0)
	buffer_load_dword v20, off, s[0:3], 0 offset:344
	buffer_load_dword v21, off, s[0:3], 0 offset:348
	;; [unrolled: 1-line block ×24, first 2 shown]
	v_mov_b32_e32 v2, 0
	ds_read_b128 v[4:7], v2 offset:752
	ds_read_b128 v[8:11], v2 offset:768
	;; [unrolled: 1-line block ×5, first 2 shown]
	v_cmp_lt_u32_e32 vcc, 19, v178
	s_waitcnt vmcnt(22) lgkmcnt(4)
	v_mul_f64 v[100:101], v[4:5], v[20:21]
	v_mul_f64 v[20:21], v[6:7], v[20:21]
	s_waitcnt vmcnt(20) lgkmcnt(3)
	v_mul_f64 v[102:103], v[8:9], v[78:79]
	v_mul_f64 v[78:79], v[10:11], v[78:79]
	;; [unrolled: 3-line block ×4, first 2 shown]
	s_waitcnt vmcnt(13) lgkmcnt(0)
	v_mul_f64 v[108:109], v[74:75], v[82:83]
	s_waitcnt vmcnt(11)
	v_fma_f64 v[4:5], v[4:5], v[88:89], -v[20:21]
	v_fmac_f64_e32 v[100:101], v[6:7], v[88:89]
	s_waitcnt vmcnt(9)
	v_fma_f64 v[6:7], v[8:9], v[90:91], -v[78:79]
	v_add_f64 v[4:5], v[4:5], 0
	v_fmac_f64_e32 v[102:103], v[10:11], v[90:91]
	s_waitcnt vmcnt(7)
	v_fmac_f64_e32 v[104:105], v[14:15], v[92:93]
	v_fma_f64 v[8:9], v[12:13], v[92:93], -v[80:81]
	v_add_f64 v[14:15], v[100:101], 0
	v_add_f64 v[4:5], v[4:5], v[6:7]
	v_mul_f64 v[82:83], v[76:77], v[82:83]
	s_waitcnt vmcnt(5)
	v_fma_f64 v[10:11], v[16:17], v[94:95], -v[86:87]
	v_add_f64 v[14:15], v[14:15], v[102:103]
	v_add_f64 v[4:5], v[4:5], v[8:9]
	v_fmac_f64_e32 v[106:107], v[18:19], v[94:95]
	s_waitcnt vmcnt(4)
	v_fma_f64 v[12:13], v[74:75], v[84:85], -v[82:83]
	v_add_f64 v[6:7], v[14:15], v[104:105]
	v_add_f64 v[4:5], v[4:5], v[10:11]
	v_fmac_f64_e32 v[108:109], v[76:77], v[84:85]
	v_add_f64 v[6:7], v[6:7], v[106:107]
	v_add_f64 v[4:5], v[4:5], v[12:13]
	;; [unrolled: 1-line block ×3, first 2 shown]
	s_waitcnt vmcnt(2)
	v_add_f64 v[4:5], v[96:97], -v[4:5]
	s_waitcnt vmcnt(0)
	v_add_f64 v[6:7], v[98:99], -v[6:7]
	buffer_store_dword v5, off, s[0:3], 0 offset:324
	buffer_store_dword v4, off, s[0:3], 0 offset:320
	;; [unrolled: 1-line block ×4, first 2 shown]
	s_and_saveexec_b64 s[6:7], vcc
	s_cbranch_execz .LBB89_131
; %bb.130:
	v_accvgpr_read_b32 v3, a14
	buffer_load_dword v4, v3, s[0:3], 0 offen
	buffer_load_dword v5, v3, s[0:3], 0 offen offset:4
	buffer_load_dword v6, v3, s[0:3], 0 offen offset:8
	buffer_load_dword v7, v3, s[0:3], 0 offen offset:12
	s_nop 0
	buffer_store_dword v2, off, s[0:3], 0 offset:304
	buffer_store_dword v2, off, s[0:3], 0 offset:308
	;; [unrolled: 1-line block ×4, first 2 shown]
	s_waitcnt vmcnt(4)
	ds_write_b128 v150, v[4:7]
.LBB89_131:
	s_or_b64 exec, exec, s[6:7]
	s_waitcnt lgkmcnt(0)
	; wave barrier
	s_waitcnt lgkmcnt(0)
	buffer_load_dword v20, off, s[0:3], 0 offset:328
	buffer_load_dword v21, off, s[0:3], 0 offset:332
	;; [unrolled: 1-line block ×28, first 2 shown]
	ds_read_b128 v[4:7], v2 offset:736
	ds_read_b128 v[8:11], v2 offset:752
	;; [unrolled: 1-line block ×6, first 2 shown]
	v_cmp_lt_u32_e32 vcc, 18, v178
	s_waitcnt vmcnt(26) lgkmcnt(5)
	v_mul_f64 v[2:3], v[4:5], v[20:21]
	v_mul_f64 v[20:21], v[6:7], v[20:21]
	s_waitcnt vmcnt(24) lgkmcnt(4)
	v_mul_f64 v[108:109], v[8:9], v[82:83]
	v_mul_f64 v[82:83], v[10:11], v[82:83]
	;; [unrolled: 3-line block ×4, first 2 shown]
	s_waitcnt vmcnt(17)
	v_mul_f64 v[112:113], v[16:17], v[90:91]
	v_mul_f64 v[90:91], v[18:19], v[90:91]
	s_waitcnt vmcnt(15) lgkmcnt(0)
	v_mul_f64 v[116:117], v[78:79], v[92:93]
	v_mul_f64 v[92:93], v[80:81], v[92:93]
	s_waitcnt vmcnt(14)
	v_fmac_f64_e32 v[114:115], v[76:77], v[88:89]
	s_waitcnt vmcnt(12)
	v_fma_f64 v[4:5], v[4:5], v[94:95], -v[20:21]
	v_fmac_f64_e32 v[2:3], v[6:7], v[94:95]
	s_waitcnt vmcnt(10)
	v_fma_f64 v[6:7], v[8:9], v[96:97], -v[82:83]
	v_add_f64 v[4:5], v[4:5], 0
	v_fmac_f64_e32 v[108:109], v[10:11], v[96:97]
	s_waitcnt vmcnt(8)
	v_fma_f64 v[8:9], v[12:13], v[98:99], -v[84:85]
	v_add_f64 v[2:3], v[2:3], 0
	v_add_f64 v[4:5], v[4:5], v[6:7]
	v_fmac_f64_e32 v[110:111], v[14:15], v[98:99]
	s_waitcnt vmcnt(6)
	v_fma_f64 v[10:11], v[16:17], v[100:101], -v[90:91]
	v_add_f64 v[2:3], v[2:3], v[108:109]
	v_add_f64 v[4:5], v[4:5], v[8:9]
	v_fmac_f64_e32 v[112:113], v[18:19], v[100:101]
	v_fma_f64 v[12:13], v[74:75], v[88:89], -v[86:87]
	v_add_f64 v[2:3], v[2:3], v[110:111]
	v_add_f64 v[4:5], v[4:5], v[10:11]
	s_waitcnt vmcnt(4)
	v_fma_f64 v[14:15], v[78:79], v[102:103], -v[92:93]
	v_add_f64 v[2:3], v[2:3], v[112:113]
	v_add_f64 v[4:5], v[4:5], v[12:13]
	v_fmac_f64_e32 v[116:117], v[80:81], v[102:103]
	v_add_f64 v[2:3], v[2:3], v[114:115]
	v_add_f64 v[4:5], v[4:5], v[14:15]
	v_add_f64 v[2:3], v[2:3], v[116:117]
	s_waitcnt vmcnt(2)
	v_add_f64 v[4:5], v[104:105], -v[4:5]
	s_waitcnt vmcnt(0)
	v_add_f64 v[2:3], v[106:107], -v[2:3]
	buffer_store_dword v5, off, s[0:3], 0 offset:308
	buffer_store_dword v4, off, s[0:3], 0 offset:304
	;; [unrolled: 1-line block ×4, first 2 shown]
	s_and_saveexec_b64 s[6:7], vcc
	s_cbranch_execz .LBB89_133
; %bb.132:
	v_accvgpr_read_b32 v5, a15
	buffer_load_dword v2, v5, s[0:3], 0 offen
	buffer_load_dword v3, v5, s[0:3], 0 offen offset:4
	buffer_load_dword v4, v5, s[0:3], 0 offen offset:8
	s_nop 0
	buffer_load_dword v5, v5, s[0:3], 0 offen offset:12
	v_mov_b32_e32 v6, 0
	buffer_store_dword v6, off, s[0:3], 0 offset:288
	buffer_store_dword v6, off, s[0:3], 0 offset:292
	;; [unrolled: 1-line block ×4, first 2 shown]
	s_waitcnt vmcnt(4)
	ds_write_b128 v150, v[2:5]
.LBB89_133:
	s_or_b64 exec, exec, s[6:7]
	s_waitcnt lgkmcnt(0)
	; wave barrier
	s_waitcnt lgkmcnt(0)
	buffer_load_dword v20, off, s[0:3], 0 offset:312
	buffer_load_dword v21, off, s[0:3], 0 offset:316
	;; [unrolled: 1-line block ×32, first 2 shown]
	v_mov_b32_e32 v2, 0
	ds_read_b128 v[4:7], v2 offset:720
	ds_read_b128 v[8:11], v2 offset:736
	;; [unrolled: 1-line block ×7, first 2 shown]
	v_cmp_lt_u32_e32 vcc, 17, v178
	s_waitcnt vmcnt(30) lgkmcnt(6)
	v_mul_f64 v[116:117], v[4:5], v[20:21]
	v_mul_f64 v[20:21], v[6:7], v[20:21]
	s_waitcnt vmcnt(28) lgkmcnt(5)
	v_mul_f64 v[118:119], v[8:9], v[86:87]
	v_mul_f64 v[86:87], v[10:11], v[86:87]
	;; [unrolled: 3-line block ×4, first 2 shown]
	s_waitcnt vmcnt(21)
	v_mul_f64 v[122:123], v[16:17], v[94:95]
	v_mul_f64 v[94:95], v[18:19], v[94:95]
	s_waitcnt vmcnt(17) lgkmcnt(1)
	v_mul_f64 v[126:127], v[78:79], v[100:101]
	v_mul_f64 v[100:101], v[80:81], v[100:101]
	s_waitcnt vmcnt(16) lgkmcnt(0)
	v_mul_f64 v[128:129], v[82:83], v[96:97]
	v_mul_f64 v[96:97], v[84:85], v[96:97]
	s_waitcnt vmcnt(13)
	v_fma_f64 v[4:5], v[4:5], v[102:103], -v[20:21]
	v_fmac_f64_e32 v[116:117], v[6:7], v[102:103]
	s_waitcnt vmcnt(11)
	v_fma_f64 v[6:7], v[8:9], v[104:105], -v[86:87]
	v_add_f64 v[4:5], v[4:5], 0
	v_fmac_f64_e32 v[118:119], v[10:11], v[104:105]
	s_waitcnt vmcnt(9)
	v_fma_f64 v[8:9], v[12:13], v[106:107], -v[88:89]
	s_waitcnt vmcnt(7)
	v_fmac_f64_e32 v[122:123], v[18:19], v[108:109]
	v_add_f64 v[18:19], v[116:117], 0
	v_add_f64 v[4:5], v[4:5], v[6:7]
	v_fmac_f64_e32 v[120:121], v[14:15], v[106:107]
	v_fma_f64 v[10:11], v[16:17], v[108:109], -v[94:95]
	v_add_f64 v[18:19], v[18:19], v[118:119]
	v_add_f64 v[4:5], v[4:5], v[8:9]
	v_fma_f64 v[12:13], v[74:75], v[92:93], -v[90:91]
	v_add_f64 v[6:7], v[18:19], v[120:121]
	v_add_f64 v[4:5], v[4:5], v[10:11]
	v_fmac_f64_e32 v[124:125], v[76:77], v[92:93]
	s_waitcnt vmcnt(5)
	v_fma_f64 v[14:15], v[78:79], v[110:111], -v[100:101]
	v_add_f64 v[6:7], v[6:7], v[122:123]
	v_add_f64 v[4:5], v[4:5], v[12:13]
	v_fmac_f64_e32 v[126:127], v[80:81], v[110:111]
	s_waitcnt vmcnt(4)
	v_fma_f64 v[16:17], v[82:83], v[98:99], -v[96:97]
	v_add_f64 v[6:7], v[6:7], v[124:125]
	v_add_f64 v[4:5], v[4:5], v[14:15]
	v_fmac_f64_e32 v[128:129], v[84:85], v[98:99]
	v_add_f64 v[6:7], v[6:7], v[126:127]
	v_add_f64 v[4:5], v[4:5], v[16:17]
	;; [unrolled: 1-line block ×3, first 2 shown]
	s_waitcnt vmcnt(2)
	v_add_f64 v[4:5], v[112:113], -v[4:5]
	s_waitcnt vmcnt(0)
	v_add_f64 v[6:7], v[114:115], -v[6:7]
	buffer_store_dword v5, off, s[0:3], 0 offset:292
	buffer_store_dword v4, off, s[0:3], 0 offset:288
	;; [unrolled: 1-line block ×4, first 2 shown]
	s_and_saveexec_b64 s[6:7], vcc
	s_cbranch_execz .LBB89_135
; %bb.134:
	v_accvgpr_read_b32 v3, a16
	buffer_load_dword v4, v3, s[0:3], 0 offen
	buffer_load_dword v5, v3, s[0:3], 0 offen offset:4
	buffer_load_dword v6, v3, s[0:3], 0 offen offset:8
	;; [unrolled: 1-line block ×3, first 2 shown]
	s_nop 0
	buffer_store_dword v2, off, s[0:3], 0 offset:272
	buffer_store_dword v2, off, s[0:3], 0 offset:276
	;; [unrolled: 1-line block ×4, first 2 shown]
	s_waitcnt vmcnt(4)
	ds_write_b128 v150, v[4:7]
.LBB89_135:
	s_or_b64 exec, exec, s[6:7]
	s_waitcnt lgkmcnt(0)
	; wave barrier
	s_waitcnt lgkmcnt(0)
	buffer_load_dword v20, off, s[0:3], 0 offset:296
	buffer_load_dword v21, off, s[0:3], 0 offset:300
	;; [unrolled: 1-line block ×36, first 2 shown]
	ds_read_b128 v[4:7], v2 offset:704
	ds_read_b128 v[8:11], v2 offset:720
	ds_read_b128 v[12:15], v2 offset:736
	ds_read_b128 v[16:19], v2 offset:752
	ds_read_b128 v[74:77], v2 offset:768
	ds_read_b128 v[78:81], v2 offset:784
	ds_read_b128 v[82:85], v2 offset:800
	ds_read_b128 v[86:89], v2 offset:816
	v_cmp_lt_u32_e32 vcc, 16, v178
	s_waitcnt vmcnt(34) lgkmcnt(7)
	v_mul_f64 v[2:3], v[4:5], v[20:21]
	v_mul_f64 v[20:21], v[6:7], v[20:21]
	s_waitcnt vmcnt(32) lgkmcnt(6)
	v_mul_f64 v[124:125], v[8:9], v[90:91]
	v_mul_f64 v[90:91], v[10:11], v[90:91]
	s_waitcnt vmcnt(30) lgkmcnt(5)
	v_mul_f64 v[126:127], v[12:13], v[92:93]
	v_mul_f64 v[92:93], v[14:15], v[92:93]
	s_waitcnt vmcnt(28) lgkmcnt(3)
	v_mul_f64 v[130:131], v[74:75], v[94:95]
	v_mul_f64 v[94:95], v[76:77], v[94:95]
	s_waitcnt vmcnt(25)
	v_mul_f64 v[128:129], v[16:17], v[98:99]
	v_mul_f64 v[98:99], v[18:19], v[98:99]
	s_waitcnt vmcnt(23) lgkmcnt(1)
	v_mul_f64 v[134:135], v[82:83], v[100:101]
	v_mul_f64 v[100:101], v[84:85], v[100:101]
	s_waitcnt vmcnt(20)
	v_mul_f64 v[132:133], v[78:79], v[104:105]
	v_mul_f64 v[104:105], v[80:81], v[104:105]
	s_waitcnt vmcnt(18) lgkmcnt(0)
	v_mul_f64 v[136:137], v[86:87], v[106:107]
	s_waitcnt vmcnt(17)
	v_fmac_f64_e32 v[130:131], v[76:77], v[96:97]
	s_waitcnt vmcnt(16)
	v_fmac_f64_e32 v[134:135], v[84:85], v[102:103]
	s_waitcnt vmcnt(14)
	v_fma_f64 v[4:5], v[4:5], v[108:109], -v[20:21]
	v_fmac_f64_e32 v[2:3], v[6:7], v[108:109]
	s_waitcnt vmcnt(12)
	v_fma_f64 v[6:7], v[8:9], v[110:111], -v[90:91]
	v_add_f64 v[4:5], v[4:5], 0
	v_fmac_f64_e32 v[124:125], v[10:11], v[110:111]
	s_waitcnt vmcnt(10)
	v_fma_f64 v[8:9], v[12:13], v[112:113], -v[92:93]
	v_add_f64 v[2:3], v[2:3], 0
	v_add_f64 v[4:5], v[4:5], v[6:7]
	v_fmac_f64_e32 v[126:127], v[14:15], v[112:113]
	s_waitcnt vmcnt(8)
	v_fma_f64 v[10:11], v[16:17], v[114:115], -v[98:99]
	v_add_f64 v[2:3], v[2:3], v[124:125]
	v_add_f64 v[4:5], v[4:5], v[8:9]
	v_fmac_f64_e32 v[128:129], v[18:19], v[114:115]
	v_fma_f64 v[12:13], v[74:75], v[96:97], -v[94:95]
	v_add_f64 v[2:3], v[2:3], v[126:127]
	v_add_f64 v[4:5], v[4:5], v[10:11]
	s_waitcnt vmcnt(6)
	v_fma_f64 v[14:15], v[78:79], v[116:117], -v[104:105]
	v_add_f64 v[2:3], v[2:3], v[128:129]
	v_add_f64 v[4:5], v[4:5], v[12:13]
	v_fmac_f64_e32 v[132:133], v[80:81], v[116:117]
	v_fma_f64 v[16:17], v[82:83], v[102:103], -v[100:101]
	v_add_f64 v[2:3], v[2:3], v[130:131]
	v_add_f64 v[4:5], v[4:5], v[14:15]
	v_mul_f64 v[6:7], v[88:89], v[106:107]
	v_add_f64 v[2:3], v[2:3], v[132:133]
	v_add_f64 v[4:5], v[4:5], v[16:17]
	s_waitcnt vmcnt(4)
	v_fma_f64 v[6:7], v[86:87], v[118:119], -v[6:7]
	v_fmac_f64_e32 v[136:137], v[88:89], v[118:119]
	v_add_f64 v[2:3], v[2:3], v[134:135]
	v_add_f64 v[4:5], v[4:5], v[6:7]
	;; [unrolled: 1-line block ×3, first 2 shown]
	s_waitcnt vmcnt(2)
	v_add_f64 v[4:5], v[120:121], -v[4:5]
	s_waitcnt vmcnt(0)
	v_add_f64 v[2:3], v[122:123], -v[2:3]
	buffer_store_dword v5, off, s[0:3], 0 offset:276
	buffer_store_dword v4, off, s[0:3], 0 offset:272
	;; [unrolled: 1-line block ×4, first 2 shown]
	s_and_saveexec_b64 s[6:7], vcc
	s_cbranch_execz .LBB89_137
; %bb.136:
	v_accvgpr_read_b32 v5, a17
	buffer_load_dword v2, v5, s[0:3], 0 offen
	buffer_load_dword v3, v5, s[0:3], 0 offen offset:4
	buffer_load_dword v4, v5, s[0:3], 0 offen offset:8
	s_nop 0
	buffer_load_dword v5, v5, s[0:3], 0 offen offset:12
	v_mov_b32_e32 v6, 0
	buffer_store_dword v6, off, s[0:3], 0 offset:256
	buffer_store_dword v6, off, s[0:3], 0 offset:260
	;; [unrolled: 1-line block ×4, first 2 shown]
	s_waitcnt vmcnt(4)
	ds_write_b128 v150, v[2:5]
.LBB89_137:
	s_or_b64 exec, exec, s[6:7]
	v_mov_b32_e32 v96, 0
	s_waitcnt lgkmcnt(0)
	; wave barrier
	s_waitcnt lgkmcnt(0)
	ds_read_b128 v[14:17], v96 offset:688
	ds_read_b128 v[10:13], v96 offset:704
	;; [unrolled: 1-line block ×4, first 2 shown]
	buffer_load_dword v76, off, s[0:3], 0 offset:256
	buffer_load_dword v77, off, s[0:3], 0 offset:260
	;; [unrolled: 1-line block ×20, first 2 shown]
	v_cmp_lt_u32_e32 vcc, 15, v178
	s_waitcnt vmcnt(12) lgkmcnt(3)
	v_mul_f64 v[18:19], v[14:15], v[88:89]
	v_fmac_f64_e32 v[18:19], v[16:17], v[78:79]
	v_add_f64 v[18:19], v[18:19], 0
	v_mul_f64 v[16:17], v[16:17], v[88:89]
	s_waitcnt vmcnt(8) lgkmcnt(2)
	v_mul_f64 v[20:21], v[10:11], v[90:91]
	v_fmac_f64_e32 v[20:21], v[12:13], v[84:85]
	v_add_f64 v[18:19], v[18:19], v[20:21]
	v_fma_f64 v[14:15], v[14:15], v[78:79], -v[16:17]
	s_waitcnt vmcnt(4) lgkmcnt(1)
	v_mul_f64 v[20:21], v[6:7], v[92:93]
	v_fmac_f64_e32 v[20:21], v[8:9], v[86:87]
	v_add_f64 v[18:19], v[18:19], v[20:21]
	s_waitcnt vmcnt(0) lgkmcnt(0)
	v_mul_f64 v[20:21], v[2:3], v[94:95]
	v_fmac_f64_e32 v[20:21], v[4:5], v[82:83]
	v_add_f64 v[98:99], v[18:19], v[20:21]
	ds_read_b128 v[18:21], v96 offset:752
	buffer_load_dword v81, off, s[0:3], 0 offset:340
	buffer_load_dword v80, off, s[0:3], 0 offset:336
	buffer_load_dword v115, off, s[0:3], 0 offset:348
	buffer_load_dword v114, off, s[0:3], 0 offset:344
	v_mul_f64 v[12:13], v[12:13], v[90:91]
	v_add_f64 v[14:15], v[14:15], 0
	v_fma_f64 v[10:11], v[10:11], v[84:85], -v[12:13]
	v_mul_f64 v[8:9], v[8:9], v[92:93]
	v_add_f64 v[10:11], v[14:15], v[10:11]
	v_fma_f64 v[6:7], v[6:7], v[86:87], -v[8:9]
	;; [unrolled: 3-line block ×3, first 2 shown]
	v_add_f64 v[2:3], v[6:7], v[2:3]
	s_waitcnt vmcnt(0) lgkmcnt(0)
	v_mul_f64 v[100:101], v[18:19], v[114:115]
	v_fmac_f64_e32 v[100:101], v[20:21], v[80:81]
	v_add_f64 v[102:103], v[98:99], v[100:101]
	ds_read_b128 v[98:101], v96 offset:768
	buffer_load_dword v117, off, s[0:3], 0 offset:356
	buffer_load_dword v116, off, s[0:3], 0 offset:352
	buffer_load_dword v119, off, s[0:3], 0 offset:364
	buffer_load_dword v118, off, s[0:3], 0 offset:360
	v_mul_f64 v[4:5], v[20:21], v[114:115]
	v_fma_f64 v[4:5], v[18:19], v[80:81], -v[4:5]
	v_add_f64 v[2:3], v[2:3], v[4:5]
	s_waitcnt vmcnt(0) lgkmcnt(0)
	v_mul_f64 v[104:105], v[98:99], v[118:119]
	v_fmac_f64_e32 v[104:105], v[100:101], v[116:117]
	v_add_f64 v[106:107], v[102:103], v[104:105]
	ds_read_b128 v[102:105], v96 offset:784
	buffer_load_dword v121, off, s[0:3], 0 offset:372
	buffer_load_dword v120, off, s[0:3], 0 offset:368
	buffer_load_dword v123, off, s[0:3], 0 offset:380
	buffer_load_dword v122, off, s[0:3], 0 offset:376
	v_mul_f64 v[4:5], v[100:101], v[118:119]
	v_fma_f64 v[4:5], v[98:99], v[116:117], -v[4:5]
	;; [unrolled: 12-line block ×4, first 2 shown]
	v_add_f64 v[2:3], v[2:3], v[4:5]
	s_waitcnt vmcnt(0) lgkmcnt(0)
	v_mul_f64 v[4:5], v[112:113], v[132:133]
	v_mul_f64 v[134:135], v[110:111], v[132:133]
	v_fma_f64 v[4:5], v[110:111], v[130:131], -v[4:5]
	v_fmac_f64_e32 v[134:135], v[112:113], v[130:131]
	v_add_f64 v[2:3], v[2:3], v[4:5]
	v_add_f64 v[128:129], v[128:129], v[134:135]
	v_add_f64 v[2:3], v[76:77], -v[2:3]
	v_add_f64 v[4:5], v[74:75], -v[128:129]
	buffer_store_dword v3, off, s[0:3], 0 offset:260
	buffer_store_dword v2, off, s[0:3], 0 offset:256
	;; [unrolled: 1-line block ×4, first 2 shown]
	s_and_saveexec_b64 s[6:7], vcc
	s_cbranch_execz .LBB89_139
; %bb.138:
	v_accvgpr_read_b32 v5, a18
	buffer_load_dword v2, v5, s[0:3], 0 offen
	buffer_load_dword v3, v5, s[0:3], 0 offen offset:4
	buffer_load_dword v4, v5, s[0:3], 0 offen offset:8
	s_nop 0
	buffer_load_dword v5, v5, s[0:3], 0 offen offset:12
	s_nop 0
	buffer_store_dword v96, off, s[0:3], 0 offset:240
	buffer_store_dword v96, off, s[0:3], 0 offset:244
	;; [unrolled: 1-line block ×4, first 2 shown]
	s_waitcnt vmcnt(4)
	ds_write_b128 v150, v[2:5]
.LBB89_139:
	s_or_b64 exec, exec, s[6:7]
	s_waitcnt lgkmcnt(0)
	; wave barrier
	s_waitcnt lgkmcnt(0)
	buffer_load_dword v4, off, s[0:3], 0 offset:256
	buffer_load_dword v5, off, s[0:3], 0 offset:260
	;; [unrolled: 1-line block ×44, first 2 shown]
	ds_read_b128 v[6:9], v96 offset:672
	ds_read_b128 v[10:13], v96 offset:688
	;; [unrolled: 1-line block ×10, first 2 shown]
	v_cmp_lt_u32_e32 vcc, 14, v178
	s_waitcnt vmcnt(40) lgkmcnt(9)
	v_mul_f64 v[138:139], v[6:7], v[98:99]
	v_mul_f64 v[98:99], v[8:9], v[98:99]
	s_waitcnt vmcnt(38) lgkmcnt(8)
	v_mul_f64 v[140:141], v[10:11], v[100:101]
	v_mul_f64 v[100:101], v[12:13], v[100:101]
	v_fmac_f64_e32 v[138:139], v[8:9], v[4:5]
	v_fma_f64 v[4:5], v[6:7], v[4:5], -v[98:99]
	s_waitcnt vmcnt(36) lgkmcnt(7)
	v_mul_f64 v[142:143], v[14:15], v[2:3]
	v_add_f64 v[4:5], v[4:5], 0
	v_mul_f64 v[2:3], v[16:17], v[2:3]
	v_add_f64 v[8:9], v[138:139], 0
	s_waitcnt vmcnt(30) lgkmcnt(6)
	v_mul_f64 v[144:145], v[18:19], v[106:107]
	s_waitcnt lgkmcnt(5)
	v_mul_f64 v[146:147], v[74:75], v[102:103]
	v_fmac_f64_e32 v[146:147], v[76:77], v[104:105]
	s_waitcnt vmcnt(28) lgkmcnt(3)
	v_mul_f64 v[152:153], v[82:83], v[108:109]
	s_waitcnt vmcnt(26)
	v_fmac_f64_e32 v[152:153], v[84:85], v[110:111]
	s_waitcnt vmcnt(24)
	v_mul_f64 v[148:149], v[78:79], v[112:113]
	s_waitcnt vmcnt(22) lgkmcnt(1)
	v_mul_f64 v[156:157], v[90:91], v[114:115]
	s_waitcnt vmcnt(20)
	v_fmac_f64_e32 v[156:157], v[92:93], v[116:117]
	s_waitcnt vmcnt(18)
	v_mul_f64 v[154:155], v[86:87], v[118:119]
	s_waitcnt vmcnt(16) lgkmcnt(0)
	v_mul_f64 v[180:181], v[94:95], v[120:121]
	s_waitcnt vmcnt(14)
	v_fma_f64 v[6:7], v[10:11], v[122:123], -v[100:101]
	v_add_f64 v[4:5], v[4:5], v[6:7]
	s_waitcnt vmcnt(12)
	v_fma_f64 v[2:3], v[14:15], v[124:125], -v[2:3]
	v_add_f64 v[2:3], v[4:5], v[2:3]
	v_mul_f64 v[4:5], v[20:21], v[106:107]
	s_waitcnt vmcnt(10)
	v_fma_f64 v[4:5], v[18:19], v[126:127], -v[4:5]
	v_add_f64 v[2:3], v[2:3], v[4:5]
	v_mul_f64 v[4:5], v[76:77], v[102:103]
	v_fma_f64 v[4:5], v[74:75], v[104:105], -v[4:5]
	v_add_f64 v[2:3], v[2:3], v[4:5]
	v_mul_f64 v[4:5], v[80:81], v[112:113]
	s_waitcnt vmcnt(8)
	v_fma_f64 v[4:5], v[78:79], v[128:129], -v[4:5]
	v_fmac_f64_e32 v[140:141], v[12:13], v[122:123]
	v_add_f64 v[2:3], v[2:3], v[4:5]
	v_mul_f64 v[4:5], v[84:85], v[108:109]
	v_fmac_f64_e32 v[142:143], v[16:17], v[124:125]
	v_add_f64 v[8:9], v[8:9], v[140:141]
	v_fma_f64 v[4:5], v[82:83], v[110:111], -v[4:5]
	v_fmac_f64_e32 v[144:145], v[20:21], v[126:127]
	v_add_f64 v[6:7], v[8:9], v[142:143]
	v_add_f64 v[2:3], v[2:3], v[4:5]
	v_mul_f64 v[4:5], v[88:89], v[118:119]
	v_add_f64 v[6:7], v[6:7], v[144:145]
	s_waitcnt vmcnt(6)
	v_fma_f64 v[4:5], v[86:87], v[130:131], -v[4:5]
	v_fmac_f64_e32 v[148:149], v[80:81], v[128:129]
	v_add_f64 v[6:7], v[6:7], v[146:147]
	v_add_f64 v[2:3], v[2:3], v[4:5]
	v_mul_f64 v[4:5], v[92:93], v[114:115]
	v_add_f64 v[6:7], v[6:7], v[148:149]
	v_fma_f64 v[4:5], v[90:91], v[116:117], -v[4:5]
	v_fmac_f64_e32 v[154:155], v[88:89], v[130:131]
	v_add_f64 v[6:7], v[6:7], v[152:153]
	v_add_f64 v[2:3], v[2:3], v[4:5]
	v_mul_f64 v[4:5], v[96:97], v[120:121]
	v_add_f64 v[6:7], v[6:7], v[154:155]
	s_waitcnt vmcnt(4)
	v_fma_f64 v[4:5], v[94:95], v[132:133], -v[4:5]
	v_fmac_f64_e32 v[180:181], v[96:97], v[132:133]
	v_add_f64 v[6:7], v[6:7], v[156:157]
	v_add_f64 v[2:3], v[2:3], v[4:5]
	v_add_f64 v[6:7], v[6:7], v[180:181]
	s_waitcnt vmcnt(2)
	v_add_f64 v[2:3], v[134:135], -v[2:3]
	s_waitcnt vmcnt(0)
	v_add_f64 v[4:5], v[136:137], -v[6:7]
	buffer_store_dword v3, off, s[0:3], 0 offset:244
	buffer_store_dword v2, off, s[0:3], 0 offset:240
	;; [unrolled: 1-line block ×4, first 2 shown]
	s_and_saveexec_b64 s[6:7], vcc
	s_cbranch_execz .LBB89_141
; %bb.140:
	v_accvgpr_read_b32 v5, a21
	buffer_load_dword v2, v5, s[0:3], 0 offen
	buffer_load_dword v3, v5, s[0:3], 0 offen offset:4
	buffer_load_dword v4, v5, s[0:3], 0 offen offset:8
	s_nop 0
	buffer_load_dword v5, v5, s[0:3], 0 offen offset:12
	v_mov_b32_e32 v6, 0
	buffer_store_dword v6, off, s[0:3], 0 offset:224
	buffer_store_dword v6, off, s[0:3], 0 offset:228
	;; [unrolled: 1-line block ×4, first 2 shown]
	s_waitcnt vmcnt(4)
	ds_write_b128 v150, v[2:5]
.LBB89_141:
	s_or_b64 exec, exec, s[6:7]
	s_waitcnt lgkmcnt(0)
	; wave barrier
	s_waitcnt lgkmcnt(0)
	buffer_load_dword v2, off, s[0:3], 0 offset:240
	buffer_load_dword v3, off, s[0:3], 0 offset:244
	;; [unrolled: 1-line block ×48, first 2 shown]
	v_mov_b32_e32 v12, 0
	ds_read_b128 v[14:17], v12 offset:656
	ds_read_b128 v[18:21], v12 offset:672
	;; [unrolled: 1-line block ×11, first 2 shown]
	v_cmp_lt_u32_e32 vcc, 13, v178
	s_waitcnt vmcnt(44) lgkmcnt(10)
	v_mul_f64 v[148:149], v[14:15], v[6:7]
	v_mul_f64 v[6:7], v[16:17], v[6:7]
	v_fmac_f64_e32 v[148:149], v[16:17], v[2:3]
	v_fma_f64 v[2:3], v[14:15], v[2:3], -v[6:7]
	s_waitcnt vmcnt(40) lgkmcnt(9)
	v_mul_f64 v[152:153], v[18:19], v[8:9]
	v_mul_f64 v[6:7], v[20:21], v[8:9]
	v_fmac_f64_e32 v[152:153], v[20:21], v[4:5]
	v_add_f64 v[2:3], v[2:3], 0
	v_fma_f64 v[4:5], v[18:19], v[4:5], -v[6:7]
	v_add_f64 v[2:3], v[2:3], v[4:5]
	s_waitcnt vmcnt(38) lgkmcnt(8)
	v_mul_f64 v[4:5], v[76:77], v[10:11]
	v_mul_f64 v[154:155], v[74:75], v[10:11]
	v_add_f64 v[148:149], v[148:149], 0
	s_waitcnt vmcnt(32) lgkmcnt(7)
	v_mul_f64 v[156:157], v[78:79], v[114:115]
	v_add_f64 v[148:149], v[148:149], v[152:153]
	s_waitcnt lgkmcnt(6)
	v_mul_f64 v[180:181], v[82:83], v[110:111]
	v_fmac_f64_e32 v[180:181], v[84:85], v[112:113]
	s_waitcnt vmcnt(30) lgkmcnt(4)
	v_mul_f64 v[184:185], v[90:91], v[116:117]
	s_waitcnt vmcnt(26)
	v_mul_f64 v[182:183], v[86:87], v[120:121]
	v_fmac_f64_e32 v[184:185], v[92:93], v[118:119]
	s_waitcnt vmcnt(24) lgkmcnt(2)
	v_mul_f64 v[188:189], v[98:99], v[122:123]
	s_waitcnt vmcnt(22)
	v_fmac_f64_e32 v[188:189], v[100:101], v[124:125]
	s_waitcnt vmcnt(20)
	v_mul_f64 v[186:187], v[94:95], v[126:127]
	s_waitcnt vmcnt(16) lgkmcnt(1)
	v_mul_f64 v[190:191], v[102:103], v[132:133]
	s_waitcnt vmcnt(14)
	v_fma_f64 v[4:5], v[74:75], v[134:135], -v[4:5]
	v_add_f64 v[2:3], v[2:3], v[4:5]
	v_mul_f64 v[4:5], v[80:81], v[114:115]
	s_waitcnt vmcnt(12)
	v_fma_f64 v[4:5], v[78:79], v[136:137], -v[4:5]
	v_add_f64 v[2:3], v[2:3], v[4:5]
	v_mul_f64 v[4:5], v[84:85], v[110:111]
	v_fma_f64 v[4:5], v[82:83], v[112:113], -v[4:5]
	v_add_f64 v[2:3], v[2:3], v[4:5]
	v_mul_f64 v[4:5], v[88:89], v[120:121]
	s_waitcnt vmcnt(10)
	v_fma_f64 v[4:5], v[86:87], v[138:139], -v[4:5]
	v_add_f64 v[2:3], v[2:3], v[4:5]
	v_mul_f64 v[4:5], v[92:93], v[116:117]
	v_fma_f64 v[4:5], v[90:91], v[118:119], -v[4:5]
	v_fmac_f64_e32 v[154:155], v[76:77], v[134:135]
	v_add_f64 v[2:3], v[2:3], v[4:5]
	v_mul_f64 v[4:5], v[96:97], v[126:127]
	v_fmac_f64_e32 v[156:157], v[80:81], v[136:137]
	v_add_f64 v[148:149], v[148:149], v[154:155]
	s_waitcnt vmcnt(8)
	v_fma_f64 v[4:5], v[94:95], v[140:141], -v[4:5]
	v_add_f64 v[148:149], v[148:149], v[156:157]
	v_add_f64 v[2:3], v[2:3], v[4:5]
	v_mul_f64 v[4:5], v[100:101], v[122:123]
	v_fmac_f64_e32 v[182:183], v[88:89], v[138:139]
	v_add_f64 v[148:149], v[148:149], v[180:181]
	v_fma_f64 v[4:5], v[98:99], v[124:125], -v[4:5]
	v_add_f64 v[148:149], v[148:149], v[182:183]
	v_add_f64 v[2:3], v[2:3], v[4:5]
	v_mul_f64 v[4:5], v[104:105], v[132:133]
	v_fmac_f64_e32 v[186:187], v[96:97], v[140:141]
	v_add_f64 v[148:149], v[148:149], v[184:185]
	s_waitcnt vmcnt(6)
	v_fma_f64 v[4:5], v[102:103], v[142:143], -v[4:5]
	v_add_f64 v[148:149], v[148:149], v[186:187]
	v_add_f64 v[2:3], v[2:3], v[4:5]
	s_waitcnt vmcnt(5) lgkmcnt(0)
	v_mul_f64 v[4:5], v[108:109], v[128:129]
	v_fmac_f64_e32 v[190:191], v[104:105], v[142:143]
	v_add_f64 v[148:149], v[148:149], v[188:189]
	v_mul_f64 v[152:153], v[106:107], v[128:129]
	s_waitcnt vmcnt(4)
	v_fma_f64 v[4:5], v[106:107], v[130:131], -v[4:5]
	v_add_f64 v[148:149], v[148:149], v[190:191]
	v_fmac_f64_e32 v[152:153], v[108:109], v[130:131]
	v_add_f64 v[2:3], v[2:3], v[4:5]
	v_add_f64 v[148:149], v[148:149], v[152:153]
	s_waitcnt vmcnt(2)
	v_add_f64 v[2:3], v[144:145], -v[2:3]
	s_waitcnt vmcnt(0)
	v_add_f64 v[4:5], v[146:147], -v[148:149]
	buffer_store_dword v3, off, s[0:3], 0 offset:228
	buffer_store_dword v2, off, s[0:3], 0 offset:224
	;; [unrolled: 1-line block ×4, first 2 shown]
	s_and_saveexec_b64 s[6:7], vcc
	s_cbranch_execz .LBB89_143
; %bb.142:
	v_accvgpr_read_b32 v5, a22
	buffer_load_dword v2, v5, s[0:3], 0 offen
	buffer_load_dword v3, v5, s[0:3], 0 offen offset:4
	buffer_load_dword v4, v5, s[0:3], 0 offen offset:8
	s_nop 0
	buffer_load_dword v5, v5, s[0:3], 0 offen offset:12
	s_nop 0
	buffer_store_dword v12, off, s[0:3], 0 offset:208
	buffer_store_dword v12, off, s[0:3], 0 offset:212
	;; [unrolled: 1-line block ×4, first 2 shown]
	s_waitcnt vmcnt(4)
	ds_write_b128 v150, v[2:5]
.LBB89_143:
	s_or_b64 exec, exec, s[6:7]
	s_waitcnt lgkmcnt(0)
	; wave barrier
	s_waitcnt lgkmcnt(0)
	buffer_load_dword v2, off, s[0:3], 0 offset:224
	buffer_load_dword v3, off, s[0:3], 0 offset:228
	;; [unrolled: 1-line block ×52, first 2 shown]
	ds_read_b128 v[14:17], v12 offset:640
	ds_read_b128 v[18:21], v12 offset:656
	;; [unrolled: 1-line block ×10, first 2 shown]
	v_cmp_lt_u32_e32 vcc, 12, v178
	s_waitcnt vmcnt(48) lgkmcnt(9)
	v_mul_f64 v[106:107], v[14:15], v[6:7]
	v_mul_f64 v[6:7], v[16:17], v[6:7]
	v_fmac_f64_e32 v[106:107], v[16:17], v[2:3]
	v_fma_f64 v[2:3], v[14:15], v[2:3], -v[6:7]
	s_waitcnt vmcnt(44) lgkmcnt(8)
	v_mul_f64 v[108:109], v[18:19], v[8:9]
	v_mul_f64 v[6:7], v[20:21], v[8:9]
	v_fmac_f64_e32 v[108:109], v[20:21], v[4:5]
	v_add_f64 v[2:3], v[2:3], 0
	v_fma_f64 v[4:5], v[18:19], v[4:5], -v[6:7]
	v_add_f64 v[2:3], v[2:3], v[4:5]
	s_waitcnt vmcnt(42) lgkmcnt(7)
	v_mul_f64 v[4:5], v[76:77], v[10:11]
	v_mul_f64 v[110:111], v[74:75], v[10:11]
	v_add_f64 v[106:107], v[106:107], 0
	s_waitcnt vmcnt(36) lgkmcnt(6)
	v_mul_f64 v[112:113], v[78:79], v[118:119]
	v_add_f64 v[106:107], v[106:107], v[108:109]
	s_waitcnt lgkmcnt(5)
	v_mul_f64 v[180:181], v[82:83], v[114:115]
	v_fmac_f64_e32 v[180:181], v[84:85], v[116:117]
	s_waitcnt vmcnt(34) lgkmcnt(3)
	v_mul_f64 v[184:185], v[90:91], v[120:121]
	s_waitcnt vmcnt(30)
	v_mul_f64 v[182:183], v[86:87], v[124:125]
	v_fmac_f64_e32 v[184:185], v[92:93], v[122:123]
	s_waitcnt vmcnt(26) lgkmcnt(2)
	v_mul_f64 v[186:187], v[94:95], v[130:131]
	s_waitcnt vmcnt(25) lgkmcnt(1)
	v_mul_f64 v[188:189], v[98:99], v[126:127]
	s_waitcnt vmcnt(23)
	v_fma_f64 v[4:5], v[74:75], v[132:133], -v[4:5]
	v_add_f64 v[2:3], v[2:3], v[4:5]
	v_mul_f64 v[4:5], v[80:81], v[118:119]
	s_waitcnt vmcnt(21)
	v_fma_f64 v[4:5], v[78:79], v[134:135], -v[4:5]
	v_fmac_f64_e32 v[110:111], v[76:77], v[132:133]
	v_add_f64 v[2:3], v[2:3], v[4:5]
	v_mul_f64 v[4:5], v[84:85], v[114:115]
	v_fmac_f64_e32 v[112:113], v[80:81], v[134:135]
	v_add_f64 v[106:107], v[106:107], v[110:111]
	v_fma_f64 v[4:5], v[82:83], v[116:117], -v[4:5]
	v_add_f64 v[106:107], v[106:107], v[112:113]
	v_add_f64 v[2:3], v[2:3], v[4:5]
	v_mul_f64 v[4:5], v[88:89], v[124:125]
	s_waitcnt vmcnt(19)
	v_fmac_f64_e32 v[182:183], v[88:89], v[136:137]
	v_add_f64 v[106:107], v[106:107], v[180:181]
	v_fma_f64 v[4:5], v[86:87], v[136:137], -v[4:5]
	v_add_f64 v[106:107], v[106:107], v[182:183]
	v_add_f64 v[2:3], v[2:3], v[4:5]
	v_mul_f64 v[4:5], v[92:93], v[120:121]
	s_waitcnt vmcnt(17)
	v_fmac_f64_e32 v[186:187], v[96:97], v[138:139]
	v_add_f64 v[106:107], v[106:107], v[184:185]
	v_fma_f64 v[4:5], v[90:91], v[122:123], -v[4:5]
	s_waitcnt vmcnt(16)
	v_fmac_f64_e32 v[188:189], v[100:101], v[128:129]
	v_add_f64 v[106:107], v[106:107], v[186:187]
	v_add_f64 v[2:3], v[2:3], v[4:5]
	v_mul_f64 v[4:5], v[96:97], v[130:131]
	v_add_f64 v[180:181], v[106:107], v[188:189]
	ds_read_b128 v[106:109], v12 offset:800
	ds_read_b128 v[110:113], v12 offset:816
	v_fma_f64 v[4:5], v[94:95], v[138:139], -v[4:5]
	v_add_f64 v[2:3], v[2:3], v[4:5]
	v_mul_f64 v[4:5], v[100:101], v[126:127]
	v_fma_f64 v[4:5], v[98:99], v[128:129], -v[4:5]
	v_add_f64 v[2:3], v[2:3], v[4:5]
	s_waitcnt vmcnt(12) lgkmcnt(2)
	v_mul_f64 v[4:5], v[104:105], v[144:145]
	v_mul_f64 v[182:183], v[102:103], v[144:145]
	s_waitcnt vmcnt(10)
	v_fma_f64 v[4:5], v[102:103], v[146:147], -v[4:5]
	v_fmac_f64_e32 v[182:183], v[104:105], v[146:147]
	v_add_f64 v[2:3], v[2:3], v[4:5]
	s_waitcnt vmcnt(8) lgkmcnt(1)
	v_mul_f64 v[4:5], v[108:109], v[140:141]
	v_add_f64 v[12:13], v[180:181], v[182:183]
	v_mul_f64 v[180:181], v[106:107], v[140:141]
	v_fma_f64 v[4:5], v[106:107], v[142:143], -v[4:5]
	v_fmac_f64_e32 v[180:181], v[108:109], v[142:143]
	v_add_f64 v[2:3], v[2:3], v[4:5]
	s_waitcnt vmcnt(6) lgkmcnt(0)
	v_mul_f64 v[4:5], v[112:113], v[148:149]
	v_add_f64 v[12:13], v[12:13], v[180:181]
	v_mul_f64 v[180:181], v[110:111], v[148:149]
	s_waitcnt vmcnt(4)
	v_fma_f64 v[4:5], v[110:111], v[152:153], -v[4:5]
	v_fmac_f64_e32 v[180:181], v[112:113], v[152:153]
	v_add_f64 v[2:3], v[2:3], v[4:5]
	v_add_f64 v[12:13], v[12:13], v[180:181]
	s_waitcnt vmcnt(2)
	v_add_f64 v[2:3], v[154:155], -v[2:3]
	s_waitcnt vmcnt(0)
	v_add_f64 v[4:5], v[156:157], -v[12:13]
	buffer_store_dword v3, off, s[0:3], 0 offset:212
	buffer_store_dword v2, off, s[0:3], 0 offset:208
	;; [unrolled: 1-line block ×4, first 2 shown]
	s_and_saveexec_b64 s[6:7], vcc
	s_cbranch_execz .LBB89_145
; %bb.144:
	v_accvgpr_read_b32 v5, a20
	buffer_load_dword v2, v5, s[0:3], 0 offen
	buffer_load_dword v3, v5, s[0:3], 0 offen offset:4
	buffer_load_dword v4, v5, s[0:3], 0 offen offset:8
	s_nop 0
	buffer_load_dword v5, v5, s[0:3], 0 offen offset:12
	v_mov_b32_e32 v6, 0
	buffer_store_dword v6, off, s[0:3], 0 offset:192
	buffer_store_dword v6, off, s[0:3], 0 offset:196
	;; [unrolled: 1-line block ×4, first 2 shown]
	s_waitcnt vmcnt(4)
	ds_write_b128 v150, v[2:5]
.LBB89_145:
	s_or_b64 exec, exec, s[6:7]
	s_waitcnt lgkmcnt(0)
	; wave barrier
	s_waitcnt lgkmcnt(0)
	buffer_load_dword v2, off, s[0:3], 0 offset:208
	buffer_load_dword v3, off, s[0:3], 0 offset:212
	;; [unrolled: 1-line block ×56, first 2 shown]
	v_mov_b32_e32 v76, 0
	ds_read_b128 v[18:21], v76 offset:624
	ds_read_b128 v[78:81], v76 offset:640
	;; [unrolled: 1-line block ×9, first 2 shown]
	v_cmp_lt_u32_e32 vcc, 11, v178
	s_waitcnt vmcnt(52) lgkmcnt(8)
	v_mul_f64 v[106:107], v[18:19], v[6:7]
	v_fmac_f64_e32 v[106:107], v[20:21], v[2:3]
	v_mul_f64 v[6:7], v[20:21], v[6:7]
	v_add_f64 v[106:107], v[106:107], 0
	s_waitcnt vmcnt(48) lgkmcnt(7)
	v_mul_f64 v[108:109], v[78:79], v[8:9]
	v_fmac_f64_e32 v[108:109], v[80:81], v[4:5]
	s_waitcnt vmcnt(46) lgkmcnt(6)
	v_mul_f64 v[110:111], v[82:83], v[10:11]
	v_fma_f64 v[2:3], v[18:19], v[2:3], -v[6:7]
	v_mul_f64 v[6:7], v[80:81], v[8:9]
	v_add_f64 v[106:107], v[106:107], v[108:109]
	v_add_f64 v[2:3], v[2:3], 0
	v_fma_f64 v[4:5], v[78:79], v[4:5], -v[6:7]
	s_waitcnt vmcnt(40) lgkmcnt(5)
	v_mul_f64 v[112:113], v[86:87], v[16:17]
	s_waitcnt lgkmcnt(4)
	v_mul_f64 v[114:115], v[90:91], v[12:13]
	v_add_f64 v[2:3], v[2:3], v[4:5]
	v_mul_f64 v[4:5], v[84:85], v[10:11]
	s_waitcnt vmcnt(36) lgkmcnt(3)
	v_mul_f64 v[116:117], v[94:95], v[128:129]
	v_fmac_f64_e32 v[114:115], v[92:93], v[14:15]
	s_waitcnt vmcnt(35) lgkmcnt(2)
	v_mul_f64 v[118:119], v[98:99], v[74:75]
	s_waitcnt vmcnt(33)
	v_fmac_f64_e32 v[110:111], v[84:85], v[130:131]
	v_add_f64 v[106:107], v[106:107], v[110:111]
	s_waitcnt vmcnt(31)
	v_fmac_f64_e32 v[112:113], v[88:89], v[132:133]
	v_add_f64 v[106:107], v[106:107], v[112:113]
	v_fma_f64 v[4:5], v[82:83], v[130:131], -v[4:5]
	s_waitcnt vmcnt(29)
	v_fmac_f64_e32 v[116:117], v[96:97], v[134:135]
	v_add_f64 v[106:107], v[106:107], v[114:115]
	v_add_f64 v[2:3], v[2:3], v[4:5]
	v_mul_f64 v[4:5], v[88:89], v[16:17]
	s_waitcnt vmcnt(28)
	v_fmac_f64_e32 v[118:119], v[100:101], v[126:127]
	v_add_f64 v[106:107], v[106:107], v[116:117]
	v_fma_f64 v[4:5], v[86:87], v[132:133], -v[4:5]
	v_add_f64 v[110:111], v[106:107], v[118:119]
	ds_read_b128 v[106:109], v76 offset:752
	s_waitcnt vmcnt(24) lgkmcnt(2)
	v_mul_f64 v[112:113], v[102:103], v[140:141]
	v_add_f64 v[2:3], v[2:3], v[4:5]
	v_mul_f64 v[4:5], v[92:93], v[12:13]
	s_waitcnt vmcnt(22)
	v_fmac_f64_e32 v[112:113], v[104:105], v[142:143]
	v_fma_f64 v[4:5], v[90:91], v[14:15], -v[4:5]
	v_add_f64 v[114:115], v[110:111], v[112:113]
	ds_read_b128 v[110:113], v76 offset:768
	v_add_f64 v[2:3], v[2:3], v[4:5]
	v_mul_f64 v[4:5], v[96:97], v[128:129]
	v_fma_f64 v[4:5], v[94:95], v[134:135], -v[4:5]
	v_add_f64 v[2:3], v[2:3], v[4:5]
	v_mul_f64 v[4:5], v[100:101], v[74:75]
	s_waitcnt vmcnt(20) lgkmcnt(1)
	v_mul_f64 v[116:117], v[106:107], v[136:137]
	v_fma_f64 v[4:5], v[98:99], v[126:127], -v[4:5]
	v_fmac_f64_e32 v[116:117], v[108:109], v[138:139]
	v_add_f64 v[2:3], v[2:3], v[4:5]
	v_mul_f64 v[4:5], v[104:105], v[140:141]
	v_add_f64 v[118:119], v[114:115], v[116:117]
	ds_read_b128 v[114:117], v76 offset:784
	s_waitcnt vmcnt(16) lgkmcnt(1)
	v_mul_f64 v[120:121], v[110:111], v[148:149]
	v_fma_f64 v[4:5], v[102:103], v[142:143], -v[4:5]
	s_waitcnt vmcnt(14)
	v_fmac_f64_e32 v[120:121], v[112:113], v[152:153]
	v_add_f64 v[2:3], v[2:3], v[4:5]
	v_mul_f64 v[4:5], v[108:109], v[136:137]
	v_add_f64 v[188:189], v[118:119], v[120:121]
	ds_read_b128 v[118:121], v76 offset:800
	v_fma_f64 v[4:5], v[106:107], v[138:139], -v[4:5]
	v_add_f64 v[2:3], v[2:3], v[4:5]
	v_mul_f64 v[4:5], v[112:113], v[148:149]
	v_fma_f64 v[4:5], v[110:111], v[152:153], -v[4:5]
	v_add_f64 v[2:3], v[2:3], v[4:5]
	s_waitcnt vmcnt(12) lgkmcnt(1)
	v_mul_f64 v[4:5], v[116:117], v[144:145]
	v_mul_f64 v[190:191], v[114:115], v[144:145]
	v_fma_f64 v[4:5], v[114:115], v[146:147], -v[4:5]
	v_fmac_f64_e32 v[190:191], v[116:117], v[146:147]
	v_add_f64 v[2:3], v[2:3], v[4:5]
	s_waitcnt vmcnt(8) lgkmcnt(0)
	v_mul_f64 v[4:5], v[120:121], v[180:181]
	v_add_f64 v[188:189], v[188:189], v[190:191]
	v_mul_f64 v[190:191], v[118:119], v[180:181]
	s_waitcnt vmcnt(6)
	v_fma_f64 v[4:5], v[118:119], v[182:183], -v[4:5]
	v_fmac_f64_e32 v[190:191], v[120:121], v[182:183]
	v_add_f64 v[2:3], v[2:3], v[4:5]
	s_waitcnt vmcnt(5)
	v_mul_f64 v[4:5], v[124:125], v[154:155]
	v_add_f64 v[188:189], v[188:189], v[190:191]
	v_mul_f64 v[190:191], v[122:123], v[154:155]
	s_waitcnt vmcnt(4)
	v_fma_f64 v[4:5], v[122:123], v[156:157], -v[4:5]
	v_fmac_f64_e32 v[190:191], v[124:125], v[156:157]
	v_add_f64 v[2:3], v[2:3], v[4:5]
	v_add_f64 v[188:189], v[188:189], v[190:191]
	s_waitcnt vmcnt(2)
	v_add_f64 v[2:3], v[184:185], -v[2:3]
	s_waitcnt vmcnt(0)
	v_add_f64 v[4:5], v[186:187], -v[188:189]
	buffer_store_dword v3, off, s[0:3], 0 offset:196
	buffer_store_dword v2, off, s[0:3], 0 offset:192
	;; [unrolled: 1-line block ×4, first 2 shown]
	s_and_saveexec_b64 s[6:7], vcc
	s_cbranch_execz .LBB89_147
; %bb.146:
	v_accvgpr_read_b32 v5, a19
	buffer_load_dword v2, v5, s[0:3], 0 offen
	buffer_load_dword v3, v5, s[0:3], 0 offen offset:4
	buffer_load_dword v4, v5, s[0:3], 0 offen offset:8
	s_nop 0
	buffer_load_dword v5, v5, s[0:3], 0 offen offset:12
	s_nop 0
	buffer_store_dword v76, off, s[0:3], 0 offset:176
	buffer_store_dword v76, off, s[0:3], 0 offset:180
	;; [unrolled: 1-line block ×4, first 2 shown]
	s_waitcnt vmcnt(4)
	ds_write_b128 v150, v[2:5]
.LBB89_147:
	s_or_b64 exec, exec, s[6:7]
	s_waitcnt lgkmcnt(0)
	; wave barrier
	s_waitcnt lgkmcnt(0)
	buffer_load_dword v2, off, s[0:3], 0 offset:192
	buffer_load_dword v3, off, s[0:3], 0 offset:196
	;; [unrolled: 1-line block ×60, first 2 shown]
	ds_read_b128 v[78:81], v76 offset:608
	ds_read_b128 v[82:85], v76 offset:624
	;; [unrolled: 1-line block ×8, first 2 shown]
	v_cmp_lt_u32_e32 vcc, 10, v178
	ds_read_b128 v[130:133], v76 offset:816
	s_waitcnt vmcnt(56) lgkmcnt(8)
	v_mul_f64 v[110:111], v[78:79], v[6:7]
	v_fmac_f64_e32 v[110:111], v[80:81], v[2:3]
	v_add_f64 v[110:111], v[110:111], 0
	v_mul_f64 v[6:7], v[80:81], v[6:7]
	s_waitcnt vmcnt(52) lgkmcnt(7)
	v_mul_f64 v[112:113], v[82:83], v[8:9]
	v_fmac_f64_e32 v[112:113], v[84:85], v[4:5]
	s_waitcnt vmcnt(50) lgkmcnt(6)
	v_mul_f64 v[114:115], v[86:87], v[10:11]
	v_add_f64 v[110:111], v[110:111], v[112:113]
	s_waitcnt vmcnt(48) lgkmcnt(4)
	v_mul_f64 v[118:119], v[94:95], v[12:13]
	v_fma_f64 v[2:3], v[78:79], v[2:3], -v[6:7]
	s_waitcnt vmcnt(46)
	v_fmac_f64_e32 v[118:119], v[96:97], v[14:15]
	v_mul_f64 v[6:7], v[84:85], v[8:9]
	s_waitcnt vmcnt(44)
	v_mul_f64 v[116:117], v[90:91], v[16:17]
	v_add_f64 v[2:3], v[2:3], 0
	v_fma_f64 v[4:5], v[82:83], v[4:5], -v[6:7]
	v_add_f64 v[2:3], v[2:3], v[4:5]
	s_waitcnt vmcnt(40) lgkmcnt(3)
	v_mul_f64 v[120:121], v[98:99], v[74:75]
	v_mul_f64 v[4:5], v[88:89], v[10:11]
	s_waitcnt vmcnt(38)
	v_fmac_f64_e32 v[114:115], v[88:89], v[134:135]
	v_add_f64 v[110:111], v[110:111], v[114:115]
	s_waitcnt vmcnt(36)
	v_fmac_f64_e32 v[116:117], v[92:93], v[136:137]
	v_add_f64 v[110:111], v[110:111], v[116:117]
	;; [unrolled: 3-line block ×3, first 2 shown]
	s_waitcnt vmcnt(32) lgkmcnt(2)
	v_mul_f64 v[112:113], v[102:103], v[18:19]
	v_add_f64 v[110:111], v[110:111], v[120:121]
	v_fmac_f64_e32 v[112:113], v[104:105], v[20:21]
	v_add_f64 v[114:115], v[110:111], v[112:113]
	ds_read_b128 v[110:113], v76 offset:736
	v_fma_f64 v[4:5], v[86:87], v[134:135], -v[4:5]
	v_add_f64 v[2:3], v[2:3], v[4:5]
	v_mul_f64 v[4:5], v[92:93], v[16:17]
	v_fma_f64 v[4:5], v[90:91], v[136:137], -v[4:5]
	s_waitcnt vmcnt(28) lgkmcnt(2)
	v_mul_f64 v[116:117], v[106:107], v[144:145]
	v_add_f64 v[2:3], v[2:3], v[4:5]
	v_mul_f64 v[4:5], v[96:97], v[12:13]
	s_waitcnt vmcnt(26)
	v_fmac_f64_e32 v[116:117], v[108:109], v[146:147]
	v_fma_f64 v[4:5], v[94:95], v[14:15], -v[4:5]
	v_add_f64 v[118:119], v[114:115], v[116:117]
	ds_read_b128 v[114:117], v76 offset:752
	s_waitcnt vmcnt(24) lgkmcnt(1)
	v_mul_f64 v[120:121], v[110:111], v[140:141]
	v_add_f64 v[2:3], v[2:3], v[4:5]
	v_mul_f64 v[4:5], v[100:101], v[74:75]
	v_fmac_f64_e32 v[120:121], v[112:113], v[142:143]
	v_fma_f64 v[4:5], v[98:99], v[138:139], -v[4:5]
	v_add_f64 v[122:123], v[118:119], v[120:121]
	ds_read_b128 v[118:121], v76 offset:768
	v_add_f64 v[2:3], v[2:3], v[4:5]
	v_mul_f64 v[4:5], v[104:105], v[18:19]
	v_fma_f64 v[4:5], v[102:103], v[20:21], -v[4:5]
	v_add_f64 v[2:3], v[2:3], v[4:5]
	v_mul_f64 v[4:5], v[108:109], v[144:145]
	s_waitcnt vmcnt(20) lgkmcnt(1)
	v_mul_f64 v[124:125], v[114:115], v[154:155]
	v_fma_f64 v[4:5], v[106:107], v[146:147], -v[4:5]
	s_waitcnt vmcnt(18)
	v_fmac_f64_e32 v[124:125], v[116:117], v[156:157]
	v_add_f64 v[2:3], v[2:3], v[4:5]
	v_mul_f64 v[4:5], v[112:113], v[140:141]
	v_add_f64 v[126:127], v[122:123], v[124:125]
	ds_read_b128 v[122:125], v76 offset:784
	s_waitcnt vmcnt(16) lgkmcnt(1)
	v_mul_f64 v[128:129], v[118:119], v[148:149]
	v_fma_f64 v[4:5], v[110:111], v[142:143], -v[4:5]
	v_fmac_f64_e32 v[128:129], v[120:121], v[152:153]
	v_add_f64 v[2:3], v[2:3], v[4:5]
	v_mul_f64 v[4:5], v[116:117], v[154:155]
	v_add_f64 v[196:197], v[126:127], v[128:129]
	ds_read_b128 v[126:129], v76 offset:800
	v_fma_f64 v[4:5], v[114:115], v[156:157], -v[4:5]
	v_add_f64 v[2:3], v[2:3], v[4:5]
	v_mul_f64 v[4:5], v[120:121], v[148:149]
	v_fma_f64 v[4:5], v[118:119], v[152:153], -v[4:5]
	v_add_f64 v[2:3], v[2:3], v[4:5]
	s_waitcnt vmcnt(12) lgkmcnt(1)
	v_mul_f64 v[4:5], v[124:125], v[184:185]
	v_mul_f64 v[198:199], v[122:123], v[184:185]
	s_waitcnt vmcnt(10)
	v_fma_f64 v[4:5], v[122:123], v[186:187], -v[4:5]
	v_fmac_f64_e32 v[198:199], v[124:125], v[186:187]
	v_add_f64 v[2:3], v[2:3], v[4:5]
	s_waitcnt vmcnt(8) lgkmcnt(0)
	v_mul_f64 v[4:5], v[128:129], v[180:181]
	v_add_f64 v[76:77], v[196:197], v[198:199]
	v_mul_f64 v[196:197], v[126:127], v[180:181]
	v_fma_f64 v[4:5], v[126:127], v[182:183], -v[4:5]
	v_fmac_f64_e32 v[196:197], v[128:129], v[182:183]
	v_add_f64 v[2:3], v[2:3], v[4:5]
	s_waitcnt vmcnt(6)
	v_mul_f64 v[4:5], v[132:133], v[188:189]
	v_add_f64 v[76:77], v[76:77], v[196:197]
	v_mul_f64 v[196:197], v[130:131], v[188:189]
	s_waitcnt vmcnt(4)
	v_fma_f64 v[4:5], v[130:131], v[190:191], -v[4:5]
	v_fmac_f64_e32 v[196:197], v[132:133], v[190:191]
	v_add_f64 v[2:3], v[2:3], v[4:5]
	v_add_f64 v[76:77], v[76:77], v[196:197]
	s_waitcnt vmcnt(2)
	v_add_f64 v[2:3], v[192:193], -v[2:3]
	s_waitcnt vmcnt(0)
	v_add_f64 v[4:5], v[194:195], -v[76:77]
	buffer_store_dword v3, off, s[0:3], 0 offset:180
	buffer_store_dword v2, off, s[0:3], 0 offset:176
	buffer_store_dword v5, off, s[0:3], 0 offset:188
	buffer_store_dword v4, off, s[0:3], 0 offset:184
	s_and_saveexec_b64 s[6:7], vcc
	s_cbranch_execz .LBB89_149
; %bb.148:
	v_accvgpr_read_b32 v5, a26
	buffer_load_dword v2, v5, s[0:3], 0 offen
	buffer_load_dword v3, v5, s[0:3], 0 offen offset:4
	buffer_load_dword v4, v5, s[0:3], 0 offen offset:8
	s_nop 0
	buffer_load_dword v5, v5, s[0:3], 0 offen offset:12
	v_mov_b32_e32 v6, 0
	buffer_store_dword v6, off, s[0:3], 0 offset:160
	buffer_store_dword v6, off, s[0:3], 0 offset:164
	;; [unrolled: 1-line block ×4, first 2 shown]
	s_waitcnt vmcnt(4)
	ds_write_b128 v150, v[2:5]
.LBB89_149:
	s_or_b64 exec, exec, s[6:7]
	s_waitcnt lgkmcnt(0)
	; wave barrier
	s_waitcnt lgkmcnt(0)
	buffer_load_dword v2, off, s[0:3], 0 offset:176
	buffer_load_dword v3, off, s[0:3], 0 offset:180
	;; [unrolled: 1-line block ×64, first 2 shown]
	v_mov_b32_e32 v90, 0
	ds_read_b128 v[82:85], v90 offset:592
	ds_read_b128 v[86:89], v90 offset:608
	;; [unrolled: 1-line block ×7, first 2 shown]
	v_cmp_lt_u32_e32 vcc, 9, v178
	s_waitcnt vmcnt(60) lgkmcnt(6)
	v_mul_f64 v[108:109], v[82:83], v[6:7]
	v_fmac_f64_e32 v[108:109], v[84:85], v[2:3]
	v_add_f64 v[108:109], v[108:109], 0
	v_mul_f64 v[6:7], v[84:85], v[6:7]
	s_waitcnt vmcnt(56) lgkmcnt(5)
	v_mul_f64 v[110:111], v[86:87], v[8:9]
	v_fmac_f64_e32 v[110:111], v[88:89], v[4:5]
	s_waitcnt vmcnt(54) lgkmcnt(4)
	v_mul_f64 v[112:113], v[92:93], v[10:11]
	v_add_f64 v[108:109], v[108:109], v[110:111]
	v_fma_f64 v[2:3], v[82:83], v[2:3], -v[6:7]
	v_mul_f64 v[6:7], v[88:89], v[8:9]
	s_waitcnt vmcnt(50) lgkmcnt(3)
	v_mul_f64 v[114:115], v[96:97], v[16:17]
	s_waitcnt vmcnt(49) lgkmcnt(2)
	v_mul_f64 v[116:117], v[100:101], v[12:13]
	v_add_f64 v[2:3], v[2:3], 0
	s_waitcnt vmcnt(47)
	v_fmac_f64_e32 v[112:113], v[94:95], v[20:21]
	v_add_f64 v[108:109], v[108:109], v[112:113]
	s_waitcnt vmcnt(45)
	v_fmac_f64_e32 v[114:115], v[98:99], v[18:19]
	;; [unrolled: 3-line block ×3, first 2 shown]
	v_add_f64 v[112:113], v[108:109], v[116:117]
	ds_read_b128 v[108:111], v90 offset:688
	s_waitcnt vmcnt(40) lgkmcnt(2)
	v_mul_f64 v[114:115], v[104:105], v[78:79]
	v_fma_f64 v[4:5], v[86:87], v[4:5], -v[6:7]
	s_waitcnt vmcnt(38)
	v_fmac_f64_e32 v[114:115], v[106:107], v[80:81]
	v_add_f64 v[116:117], v[112:113], v[114:115]
	ds_read_b128 v[112:115], v90 offset:704
	s_waitcnt vmcnt(36) lgkmcnt(1)
	v_mul_f64 v[118:119], v[108:109], v[74:75]
	v_fmac_f64_e32 v[118:119], v[110:111], v[76:77]
	v_add_f64 v[2:3], v[2:3], v[4:5]
	v_mul_f64 v[4:5], v[94:95], v[10:11]
	v_add_f64 v[120:121], v[116:117], v[118:119]
	ds_read_b128 v[116:119], v90 offset:720
	s_waitcnt vmcnt(32) lgkmcnt(1)
	v_mul_f64 v[122:123], v[112:113], v[148:149]
	v_fma_f64 v[4:5], v[92:93], v[20:21], -v[4:5]
	s_waitcnt vmcnt(30)
	v_fmac_f64_e32 v[122:123], v[114:115], v[152:153]
	v_add_f64 v[2:3], v[2:3], v[4:5]
	v_mul_f64 v[4:5], v[98:99], v[16:17]
	v_add_f64 v[124:125], v[120:121], v[122:123]
	ds_read_b128 v[120:123], v90 offset:736
	v_fma_f64 v[4:5], v[96:97], v[18:19], -v[4:5]
	v_add_f64 v[2:3], v[2:3], v[4:5]
	v_mul_f64 v[4:5], v[102:103], v[12:13]
	v_fma_f64 v[4:5], v[100:101], v[14:15], -v[4:5]
	s_waitcnt vmcnt(28) lgkmcnt(1)
	v_mul_f64 v[126:127], v[116:117], v[144:145]
	v_add_f64 v[2:3], v[2:3], v[4:5]
	v_mul_f64 v[4:5], v[106:107], v[78:79]
	v_fmac_f64_e32 v[126:127], v[118:119], v[146:147]
	v_fma_f64 v[4:5], v[104:105], v[80:81], -v[4:5]
	v_add_f64 v[128:129], v[124:125], v[126:127]
	ds_read_b128 v[124:127], v90 offset:752
	s_waitcnt vmcnt(24) lgkmcnt(1)
	v_mul_f64 v[130:131], v[120:121], v[180:181]
	v_add_f64 v[2:3], v[2:3], v[4:5]
	v_mul_f64 v[4:5], v[110:111], v[74:75]
	s_waitcnt vmcnt(22)
	v_fmac_f64_e32 v[130:131], v[122:123], v[182:183]
	v_fma_f64 v[4:5], v[108:109], v[76:77], -v[4:5]
	v_add_f64 v[132:133], v[128:129], v[130:131]
	ds_read_b128 v[128:131], v90 offset:768
	v_add_f64 v[2:3], v[2:3], v[4:5]
	v_mul_f64 v[4:5], v[114:115], v[148:149]
	v_fma_f64 v[4:5], v[112:113], v[152:153], -v[4:5]
	v_add_f64 v[2:3], v[2:3], v[4:5]
	v_mul_f64 v[4:5], v[118:119], v[144:145]
	s_waitcnt vmcnt(20) lgkmcnt(1)
	v_mul_f64 v[134:135], v[124:125], v[154:155]
	v_fma_f64 v[4:5], v[116:117], v[146:147], -v[4:5]
	v_fmac_f64_e32 v[134:135], v[126:127], v[156:157]
	v_add_f64 v[2:3], v[2:3], v[4:5]
	v_mul_f64 v[4:5], v[122:123], v[180:181]
	v_add_f64 v[136:137], v[132:133], v[134:135]
	ds_read_b128 v[132:135], v90 offset:784
	s_waitcnt vmcnt(16) lgkmcnt(1)
	v_mul_f64 v[138:139], v[128:129], v[188:189]
	v_fma_f64 v[4:5], v[120:121], v[182:183], -v[4:5]
	s_waitcnt vmcnt(14)
	v_fmac_f64_e32 v[138:139], v[130:131], v[190:191]
	v_add_f64 v[2:3], v[2:3], v[4:5]
	v_mul_f64 v[4:5], v[126:127], v[154:155]
	v_add_f64 v[204:205], v[136:137], v[138:139]
	ds_read_b128 v[136:139], v90 offset:800
	v_fma_f64 v[4:5], v[124:125], v[156:157], -v[4:5]
	v_add_f64 v[2:3], v[2:3], v[4:5]
	v_mul_f64 v[4:5], v[130:131], v[188:189]
	v_fma_f64 v[4:5], v[128:129], v[190:191], -v[4:5]
	v_add_f64 v[2:3], v[2:3], v[4:5]
	s_waitcnt vmcnt(12) lgkmcnt(1)
	v_mul_f64 v[4:5], v[134:135], v[184:185]
	v_mul_f64 v[206:207], v[132:133], v[184:185]
	v_fma_f64 v[4:5], v[132:133], v[186:187], -v[4:5]
	v_fmac_f64_e32 v[206:207], v[134:135], v[186:187]
	v_add_f64 v[2:3], v[2:3], v[4:5]
	s_waitcnt vmcnt(8) lgkmcnt(0)
	v_mul_f64 v[4:5], v[138:139], v[196:197]
	v_add_f64 v[204:205], v[204:205], v[206:207]
	v_mul_f64 v[206:207], v[136:137], v[196:197]
	s_waitcnt vmcnt(6)
	v_fma_f64 v[4:5], v[136:137], v[198:199], -v[4:5]
	v_fmac_f64_e32 v[206:207], v[138:139], v[198:199]
	v_add_f64 v[2:3], v[2:3], v[4:5]
	s_waitcnt vmcnt(5)
	v_mul_f64 v[4:5], v[142:143], v[192:193]
	v_add_f64 v[204:205], v[204:205], v[206:207]
	v_mul_f64 v[206:207], v[140:141], v[192:193]
	s_waitcnt vmcnt(4)
	v_fma_f64 v[4:5], v[140:141], v[194:195], -v[4:5]
	v_fmac_f64_e32 v[206:207], v[142:143], v[194:195]
	v_add_f64 v[2:3], v[2:3], v[4:5]
	v_add_f64 v[204:205], v[204:205], v[206:207]
	s_waitcnt vmcnt(2)
	v_add_f64 v[2:3], v[200:201], -v[2:3]
	s_waitcnt vmcnt(0)
	v_add_f64 v[4:5], v[202:203], -v[204:205]
	buffer_store_dword v3, off, s[0:3], 0 offset:164
	buffer_store_dword v2, off, s[0:3], 0 offset:160
	;; [unrolled: 1-line block ×4, first 2 shown]
	s_and_saveexec_b64 s[6:7], vcc
	s_cbranch_execz .LBB89_151
; %bb.150:
	v_accvgpr_read_b32 v5, a24
	buffer_load_dword v2, v5, s[0:3], 0 offen
	buffer_load_dword v3, v5, s[0:3], 0 offen offset:4
	buffer_load_dword v4, v5, s[0:3], 0 offen offset:8
	s_nop 0
	buffer_load_dword v5, v5, s[0:3], 0 offen offset:12
	s_nop 0
	buffer_store_dword v90, off, s[0:3], 0 offset:144
	buffer_store_dword v90, off, s[0:3], 0 offset:148
	;; [unrolled: 1-line block ×4, first 2 shown]
	s_waitcnt vmcnt(4)
	ds_write_b128 v150, v[2:5]
.LBB89_151:
	s_or_b64 exec, exec, s[6:7]
	s_waitcnt lgkmcnt(0)
	; wave barrier
	s_waitcnt lgkmcnt(0)
	buffer_load_dword v2, off, s[0:3], 0 offset:160
	buffer_load_dword v3, off, s[0:3], 0 offset:164
	;; [unrolled: 1-line block ×64, first 2 shown]
	ds_read_b128 v[92:95], v90 offset:576
	ds_read_b128 v[96:99], v90 offset:592
	;; [unrolled: 1-line block ×4, first 2 shown]
	buffer_load_dword v208, off, s[0:3], 0 offset:144
	buffer_load_dword v209, off, s[0:3], 0 offset:148
	;; [unrolled: 1-line block ×4, first 2 shown]
	v_cmp_lt_u32_e32 vcc, 8, v178
	ds_read_b128 v[184:187], v90 offset:816
	s_waitcnt vmcnt(62) lgkmcnt(4)
	v_mul_f64 v[108:109], v[92:93], v[4:5]
	v_fmac_f64_e32 v[108:109], v[94:95], v[2:3]
	s_waitcnt lgkmcnt(3)
	v_mul_f64 v[110:111], v[96:97], v[6:7]
	v_add_f64 v[108:109], v[108:109], 0
	s_waitcnt vmcnt(60) lgkmcnt(2)
	v_mul_f64 v[112:113], v[100:101], v[8:9]
	v_mul_f64 v[4:5], v[94:95], v[4:5]
	v_fma_f64 v[2:3], v[92:93], v[2:3], -v[4:5]
	v_mul_f64 v[4:5], v[98:99], v[6:7]
	s_waitcnt vmcnt(56) lgkmcnt(1)
	v_mul_f64 v[114:115], v[104:105], v[14:15]
	v_add_f64 v[2:3], v[2:3], 0
	s_waitcnt vmcnt(54)
	v_fmac_f64_e32 v[110:111], v[98:99], v[20:21]
	v_add_f64 v[116:117], v[108:109], v[110:111]
	ds_read_b128 v[108:111], v90 offset:640
	s_waitcnt vmcnt(52)
	v_fmac_f64_e32 v[112:113], v[102:103], v[18:19]
	v_add_f64 v[112:113], v[116:117], v[112:113]
	s_waitcnt vmcnt(50)
	v_fmac_f64_e32 v[114:115], v[106:107], v[16:17]
	v_add_f64 v[116:117], v[112:113], v[114:115]
	ds_read_b128 v[112:115], v90 offset:656
	s_waitcnt vmcnt(48) lgkmcnt(1)
	v_mul_f64 v[118:119], v[108:109], v[10:11]
	v_fmac_f64_e32 v[118:119], v[110:111], v[12:13]
	v_add_f64 v[120:121], v[116:117], v[118:119]
	ds_read_b128 v[116:119], v90 offset:672
	s_waitcnt vmcnt(44) lgkmcnt(1)
	v_mul_f64 v[122:123], v[112:113], v[78:79]
	s_waitcnt vmcnt(42)
	v_fmac_f64_e32 v[122:123], v[114:115], v[80:81]
	v_add_f64 v[124:125], v[120:121], v[122:123]
	ds_read_b128 v[120:123], v90 offset:688
	s_waitcnt vmcnt(40) lgkmcnt(1)
	v_mul_f64 v[126:127], v[116:117], v[74:75]
	v_fmac_f64_e32 v[126:127], v[118:119], v[76:77]
	v_add_f64 v[128:129], v[124:125], v[126:127]
	ds_read_b128 v[124:127], v90 offset:704
	v_fma_f64 v[4:5], v[96:97], v[20:21], -v[4:5]
	v_add_f64 v[2:3], v[2:3], v[4:5]
	v_mul_f64 v[4:5], v[102:103], v[8:9]
	s_waitcnt vmcnt(36) lgkmcnt(1)
	v_mul_f64 v[130:131], v[120:121], v[86:87]
	v_fma_f64 v[4:5], v[100:101], v[18:19], -v[4:5]
	s_waitcnt vmcnt(34)
	v_fmac_f64_e32 v[130:131], v[122:123], v[88:89]
	v_add_f64 v[2:3], v[2:3], v[4:5]
	v_mul_f64 v[4:5], v[106:107], v[14:15]
	v_add_f64 v[132:133], v[128:129], v[130:131]
	ds_read_b128 v[128:131], v90 offset:720
	s_waitcnt vmcnt(32) lgkmcnt(1)
	v_mul_f64 v[134:135], v[124:125], v[82:83]
	v_fma_f64 v[4:5], v[104:105], v[16:17], -v[4:5]
	v_fmac_f64_e32 v[134:135], v[126:127], v[84:85]
	v_add_f64 v[2:3], v[2:3], v[4:5]
	v_mul_f64 v[4:5], v[110:111], v[10:11]
	v_add_f64 v[136:137], v[132:133], v[134:135]
	ds_read_b128 v[132:135], v90 offset:736
	v_fma_f64 v[4:5], v[108:109], v[12:13], -v[4:5]
	v_add_f64 v[2:3], v[2:3], v[4:5]
	v_mul_f64 v[4:5], v[114:115], v[78:79]
	v_fma_f64 v[4:5], v[112:113], v[80:81], -v[4:5]
	s_waitcnt vmcnt(28) lgkmcnt(1)
	v_mul_f64 v[138:139], v[128:129], v[154:155]
	v_add_f64 v[2:3], v[2:3], v[4:5]
	v_mul_f64 v[4:5], v[118:119], v[74:75]
	s_waitcnt vmcnt(26)
	v_fmac_f64_e32 v[138:139], v[130:131], v[156:157]
	v_fma_f64 v[4:5], v[116:117], v[76:77], -v[4:5]
	v_add_f64 v[140:141], v[136:137], v[138:139]
	ds_read_b128 v[136:139], v90 offset:752
	s_waitcnt vmcnt(24) lgkmcnt(1)
	v_mul_f64 v[142:143], v[132:133], v[148:149]
	v_add_f64 v[2:3], v[2:3], v[4:5]
	v_mul_f64 v[4:5], v[122:123], v[86:87]
	v_fmac_f64_e32 v[142:143], v[134:135], v[152:153]
	v_fma_f64 v[4:5], v[120:121], v[88:89], -v[4:5]
	v_add_f64 v[144:145], v[140:141], v[142:143]
	ds_read_b128 v[140:143], v90 offset:768
	v_add_f64 v[2:3], v[2:3], v[4:5]
	v_mul_f64 v[4:5], v[126:127], v[82:83]
	v_fma_f64 v[4:5], v[124:125], v[84:85], -v[4:5]
	v_add_f64 v[2:3], v[2:3], v[4:5]
	v_mul_f64 v[4:5], v[130:131], v[154:155]
	s_waitcnt vmcnt(20) lgkmcnt(1)
	v_mul_f64 v[146:147], v[136:137], v[192:193]
	v_fma_f64 v[4:5], v[128:129], v[156:157], -v[4:5]
	s_waitcnt vmcnt(18)
	v_fmac_f64_e32 v[146:147], v[138:139], v[194:195]
	v_add_f64 v[2:3], v[2:3], v[4:5]
	v_mul_f64 v[4:5], v[134:135], v[148:149]
	v_add_f64 v[180:181], v[144:145], v[146:147]
	ds_read_b128 v[144:147], v90 offset:784
	s_waitcnt vmcnt(16) lgkmcnt(1)
	v_mul_f64 v[182:183], v[140:141], v[188:189]
	v_fma_f64 v[4:5], v[132:133], v[152:153], -v[4:5]
	v_fmac_f64_e32 v[182:183], v[142:143], v[190:191]
	v_add_f64 v[2:3], v[2:3], v[4:5]
	v_mul_f64 v[4:5], v[138:139], v[192:193]
	v_add_f64 v[212:213], v[180:181], v[182:183]
	ds_read_b128 v[180:183], v90 offset:800
	v_fma_f64 v[4:5], v[136:137], v[194:195], -v[4:5]
	v_add_f64 v[2:3], v[2:3], v[4:5]
	v_mul_f64 v[4:5], v[142:143], v[188:189]
	v_fma_f64 v[4:5], v[140:141], v[190:191], -v[4:5]
	v_add_f64 v[2:3], v[2:3], v[4:5]
	s_waitcnt vmcnt(12) lgkmcnt(1)
	v_mul_f64 v[4:5], v[146:147], v[200:201]
	v_mul_f64 v[214:215], v[144:145], v[200:201]
	s_waitcnt vmcnt(10)
	v_fma_f64 v[4:5], v[144:145], v[202:203], -v[4:5]
	v_fmac_f64_e32 v[214:215], v[146:147], v[202:203]
	v_add_f64 v[2:3], v[2:3], v[4:5]
	s_waitcnt vmcnt(8) lgkmcnt(0)
	v_mul_f64 v[4:5], v[182:183], v[196:197]
	v_add_f64 v[90:91], v[212:213], v[214:215]
	v_mul_f64 v[212:213], v[180:181], v[196:197]
	v_fma_f64 v[4:5], v[180:181], v[198:199], -v[4:5]
	v_fmac_f64_e32 v[212:213], v[182:183], v[198:199]
	v_add_f64 v[2:3], v[2:3], v[4:5]
	s_waitcnt vmcnt(6)
	v_mul_f64 v[4:5], v[186:187], v[204:205]
	v_add_f64 v[90:91], v[90:91], v[212:213]
	v_mul_f64 v[212:213], v[184:185], v[204:205]
	s_waitcnt vmcnt(4)
	v_fma_f64 v[4:5], v[184:185], v[206:207], -v[4:5]
	v_fmac_f64_e32 v[212:213], v[186:187], v[206:207]
	v_add_f64 v[2:3], v[2:3], v[4:5]
	v_add_f64 v[90:91], v[90:91], v[212:213]
	s_waitcnt vmcnt(2)
	v_add_f64 v[2:3], v[208:209], -v[2:3]
	s_waitcnt vmcnt(0)
	v_add_f64 v[4:5], v[210:211], -v[90:91]
	buffer_store_dword v3, off, s[0:3], 0 offset:148
	buffer_store_dword v2, off, s[0:3], 0 offset:144
	;; [unrolled: 1-line block ×4, first 2 shown]
	s_and_saveexec_b64 s[6:7], vcc
	s_cbranch_execz .LBB89_153
; %bb.152:
	v_accvgpr_read_b32 v5, a25
	buffer_load_dword v2, v5, s[0:3], 0 offen
	buffer_load_dword v3, v5, s[0:3], 0 offen offset:4
	buffer_load_dword v4, v5, s[0:3], 0 offen offset:8
	s_nop 0
	buffer_load_dword v5, v5, s[0:3], 0 offen offset:12
	v_mov_b32_e32 v6, 0
	buffer_store_dword v6, off, s[0:3], 0 offset:128
	buffer_store_dword v6, off, s[0:3], 0 offset:132
	;; [unrolled: 1-line block ×4, first 2 shown]
	s_waitcnt vmcnt(4)
	ds_write_b128 v150, v[2:5]
.LBB89_153:
	s_or_b64 exec, exec, s[6:7]
	s_waitcnt lgkmcnt(0)
	; wave barrier
	s_waitcnt lgkmcnt(0)
	buffer_load_dword v2, off, s[0:3], 0 offset:144
	buffer_load_dword v3, off, s[0:3], 0 offset:148
	;; [unrolled: 1-line block ×68, first 2 shown]
	v_mov_b32_e32 v98, 0
	ds_read_b128 v[94:97], v98 offset:560
	ds_read_b128 v[100:103], v98 offset:576
	buffer_load_dword v216, off, s[0:3], 0 offset:128
	buffer_load_dword v217, off, s[0:3], 0 offset:132
	;; [unrolled: 1-line block ×4, first 2 shown]
	ds_read_b128 v[104:107], v98 offset:592
	ds_read_b128 v[108:111], v98 offset:608
	;; [unrolled: 1-line block ×3, first 2 shown]
	v_cmp_lt_u32_e32 vcc, 7, v178
	s_waitcnt vmcnt(62) lgkmcnt(4)
	v_mul_f64 v[112:113], v[94:95], v[8:9]
	v_fmac_f64_e32 v[112:113], v[96:97], v[2:3]
	v_add_f64 v[112:113], v[112:113], 0
	v_mul_f64 v[8:9], v[96:97], v[8:9]
	s_waitcnt lgkmcnt(3)
	v_mul_f64 v[114:115], v[100:101], v[10:11]
	v_fmac_f64_e32 v[114:115], v[102:103], v[4:5]
	v_add_f64 v[112:113], v[112:113], v[114:115]
	v_fma_f64 v[2:3], v[94:95], v[2:3], -v[8:9]
	s_waitcnt vmcnt(60) lgkmcnt(2)
	v_mul_f64 v[114:115], v[104:105], v[12:13]
	v_fmac_f64_e32 v[114:115], v[106:107], v[6:7]
	v_add_f64 v[116:117], v[112:113], v[114:115]
	ds_read_b128 v[112:115], v98 offset:624
	s_waitcnt vmcnt(56) lgkmcnt(2)
	v_mul_f64 v[118:119], v[108:109], v[18:19]
	v_mul_f64 v[8:9], v[102:103], v[10:11]
	s_waitcnt vmcnt(54)
	v_fmac_f64_e32 v[118:119], v[110:111], v[20:21]
	v_add_f64 v[120:121], v[116:117], v[118:119]
	ds_read_b128 v[116:119], v98 offset:640
	s_waitcnt vmcnt(52) lgkmcnt(1)
	v_mul_f64 v[122:123], v[112:113], v[14:15]
	v_fmac_f64_e32 v[122:123], v[114:115], v[16:17]
	v_add_f64 v[124:125], v[120:121], v[122:123]
	ds_read_b128 v[120:123], v98 offset:656
	s_waitcnt vmcnt(48) lgkmcnt(1)
	v_mul_f64 v[126:127], v[116:117], v[78:79]
	s_waitcnt vmcnt(46)
	v_fmac_f64_e32 v[126:127], v[118:119], v[80:81]
	v_add_f64 v[128:129], v[124:125], v[126:127]
	ds_read_b128 v[124:127], v98 offset:672
	s_waitcnt vmcnt(44) lgkmcnt(1)
	v_mul_f64 v[130:131], v[120:121], v[74:75]
	v_fmac_f64_e32 v[130:131], v[122:123], v[76:77]
	v_add_f64 v[132:133], v[128:129], v[130:131]
	ds_read_b128 v[128:131], v98 offset:688
	s_waitcnt vmcnt(40) lgkmcnt(1)
	v_mul_f64 v[134:135], v[124:125], v[86:87]
	s_waitcnt vmcnt(38)
	v_fmac_f64_e32 v[134:135], v[126:127], v[88:89]
	v_add_f64 v[2:3], v[2:3], 0
	v_fma_f64 v[4:5], v[100:101], v[4:5], -v[8:9]
	v_add_f64 v[136:137], v[132:133], v[134:135]
	ds_read_b128 v[132:135], v98 offset:704
	v_add_f64 v[2:3], v[2:3], v[4:5]
	v_mul_f64 v[4:5], v[106:107], v[12:13]
	v_fma_f64 v[4:5], v[104:105], v[6:7], -v[4:5]
	v_add_f64 v[2:3], v[2:3], v[4:5]
	v_mul_f64 v[4:5], v[110:111], v[18:19]
	s_waitcnt vmcnt(36) lgkmcnt(1)
	v_mul_f64 v[138:139], v[128:129], v[82:83]
	v_fma_f64 v[4:5], v[108:109], v[20:21], -v[4:5]
	v_fmac_f64_e32 v[138:139], v[130:131], v[84:85]
	v_add_f64 v[2:3], v[2:3], v[4:5]
	v_mul_f64 v[4:5], v[114:115], v[14:15]
	v_add_f64 v[140:141], v[136:137], v[138:139]
	ds_read_b128 v[136:139], v98 offset:720
	s_waitcnt vmcnt(32) lgkmcnt(1)
	v_mul_f64 v[142:143], v[132:133], v[148:149]
	v_fma_f64 v[4:5], v[112:113], v[16:17], -v[4:5]
	s_waitcnt vmcnt(30)
	v_fmac_f64_e32 v[142:143], v[134:135], v[152:153]
	v_add_f64 v[2:3], v[2:3], v[4:5]
	v_mul_f64 v[4:5], v[118:119], v[78:79]
	v_add_f64 v[144:145], v[140:141], v[142:143]
	ds_read_b128 v[140:143], v98 offset:736
	v_fma_f64 v[4:5], v[116:117], v[80:81], -v[4:5]
	v_add_f64 v[2:3], v[2:3], v[4:5]
	v_mul_f64 v[4:5], v[122:123], v[74:75]
	v_fma_f64 v[4:5], v[120:121], v[76:77], -v[4:5]
	s_waitcnt vmcnt(28) lgkmcnt(1)
	v_mul_f64 v[146:147], v[136:137], v[90:91]
	v_add_f64 v[2:3], v[2:3], v[4:5]
	v_mul_f64 v[4:5], v[126:127], v[86:87]
	v_fmac_f64_e32 v[146:147], v[138:139], v[92:93]
	v_fma_f64 v[4:5], v[124:125], v[88:89], -v[4:5]
	v_add_f64 v[180:181], v[144:145], v[146:147]
	ds_read_b128 v[144:147], v98 offset:752
	s_waitcnt vmcnt(24) lgkmcnt(1)
	v_mul_f64 v[182:183], v[140:141], v[196:197]
	v_add_f64 v[2:3], v[2:3], v[4:5]
	v_mul_f64 v[4:5], v[130:131], v[82:83]
	s_waitcnt vmcnt(22)
	v_fmac_f64_e32 v[182:183], v[142:143], v[198:199]
	v_fma_f64 v[4:5], v[128:129], v[84:85], -v[4:5]
	v_add_f64 v[184:185], v[180:181], v[182:183]
	ds_read_b128 v[180:183], v98 offset:768
	v_add_f64 v[2:3], v[2:3], v[4:5]
	v_mul_f64 v[4:5], v[134:135], v[148:149]
	v_fma_f64 v[4:5], v[132:133], v[152:153], -v[4:5]
	v_add_f64 v[2:3], v[2:3], v[4:5]
	v_mul_f64 v[4:5], v[138:139], v[90:91]
	s_waitcnt vmcnt(20) lgkmcnt(1)
	v_mul_f64 v[186:187], v[144:145], v[154:155]
	v_fma_f64 v[4:5], v[136:137], v[92:93], -v[4:5]
	v_fmac_f64_e32 v[186:187], v[146:147], v[156:157]
	v_add_f64 v[2:3], v[2:3], v[4:5]
	v_mul_f64 v[4:5], v[142:143], v[196:197]
	v_add_f64 v[188:189], v[184:185], v[186:187]
	ds_read_b128 v[184:187], v98 offset:784
	s_waitcnt vmcnt(16) lgkmcnt(1)
	v_mul_f64 v[190:191], v[180:181], v[204:205]
	v_fma_f64 v[4:5], v[140:141], v[198:199], -v[4:5]
	s_waitcnt vmcnt(14)
	v_fmac_f64_e32 v[190:191], v[182:183], v[206:207]
	v_add_f64 v[2:3], v[2:3], v[4:5]
	v_mul_f64 v[4:5], v[146:147], v[154:155]
	v_add_f64 v[220:221], v[188:189], v[190:191]
	ds_read_b128 v[188:191], v98 offset:800
	v_fma_f64 v[4:5], v[144:145], v[156:157], -v[4:5]
	v_add_f64 v[2:3], v[2:3], v[4:5]
	v_mul_f64 v[4:5], v[182:183], v[204:205]
	v_fma_f64 v[4:5], v[180:181], v[206:207], -v[4:5]
	v_add_f64 v[2:3], v[2:3], v[4:5]
	s_waitcnt vmcnt(12) lgkmcnt(1)
	v_mul_f64 v[4:5], v[186:187], v[200:201]
	v_mul_f64 v[222:223], v[184:185], v[200:201]
	v_fma_f64 v[4:5], v[184:185], v[202:203], -v[4:5]
	v_fmac_f64_e32 v[222:223], v[186:187], v[202:203]
	v_add_f64 v[2:3], v[2:3], v[4:5]
	s_waitcnt vmcnt(8) lgkmcnt(0)
	v_mul_f64 v[4:5], v[190:191], v[212:213]
	v_add_f64 v[220:221], v[220:221], v[222:223]
	v_mul_f64 v[222:223], v[188:189], v[212:213]
	s_waitcnt vmcnt(6)
	v_fma_f64 v[4:5], v[188:189], v[214:215], -v[4:5]
	v_fmac_f64_e32 v[222:223], v[190:191], v[214:215]
	v_add_f64 v[2:3], v[2:3], v[4:5]
	s_waitcnt vmcnt(5)
	v_mul_f64 v[4:5], v[194:195], v[208:209]
	v_add_f64 v[220:221], v[220:221], v[222:223]
	v_mul_f64 v[222:223], v[192:193], v[208:209]
	s_waitcnt vmcnt(4)
	v_fma_f64 v[4:5], v[192:193], v[210:211], -v[4:5]
	v_fmac_f64_e32 v[222:223], v[194:195], v[210:211]
	v_add_f64 v[2:3], v[2:3], v[4:5]
	v_add_f64 v[220:221], v[220:221], v[222:223]
	s_waitcnt vmcnt(2)
	v_add_f64 v[2:3], v[216:217], -v[2:3]
	s_waitcnt vmcnt(0)
	v_add_f64 v[4:5], v[218:219], -v[220:221]
	buffer_store_dword v3, off, s[0:3], 0 offset:132
	buffer_store_dword v2, off, s[0:3], 0 offset:128
	;; [unrolled: 1-line block ×4, first 2 shown]
	s_and_saveexec_b64 s[6:7], vcc
	s_cbranch_execz .LBB89_155
; %bb.154:
	v_accvgpr_read_b32 v5, a23
	buffer_load_dword v2, v5, s[0:3], 0 offen
	buffer_load_dword v3, v5, s[0:3], 0 offen offset:4
	buffer_load_dword v4, v5, s[0:3], 0 offen offset:8
	s_nop 0
	buffer_load_dword v5, v5, s[0:3], 0 offen offset:12
	s_nop 0
	buffer_store_dword v98, off, s[0:3], 0 offset:112
	buffer_store_dword v98, off, s[0:3], 0 offset:116
	;; [unrolled: 1-line block ×4, first 2 shown]
	s_waitcnt vmcnt(4)
	ds_write_b128 v150, v[2:5]
.LBB89_155:
	s_or_b64 exec, exec, s[6:7]
	s_waitcnt lgkmcnt(0)
	; wave barrier
	s_waitcnt lgkmcnt(0)
	buffer_load_dword v2, off, s[0:3], 0 offset:128
	buffer_load_dword v3, off, s[0:3], 0 offset:132
	;; [unrolled: 1-line block ×72, first 2 shown]
	ds_read_b128 v[100:103], v98 offset:544
	buffer_load_dword v224, off, s[0:3], 0 offset:112
	buffer_load_dword v225, off, s[0:3], 0 offset:116
	;; [unrolled: 1-line block ×4, first 2 shown]
	ds_read_b128 v[104:107], v98 offset:560
	ds_read_b128 v[108:111], v98 offset:576
	;; [unrolled: 1-line block ×3, first 2 shown]
	v_cmp_lt_u32_e32 vcc, 6, v178
	ds_read_b128 v[200:203], v98 offset:816
	s_waitcnt vmcnt(62) lgkmcnt(4)
	v_mul_f64 v[116:117], v[100:101], v[8:9]
	v_fmac_f64_e32 v[116:117], v[102:103], v[2:3]
	v_add_f64 v[116:117], v[116:117], 0
	v_mul_f64 v[8:9], v[102:103], v[8:9]
	s_waitcnt lgkmcnt(3)
	v_mul_f64 v[118:119], v[104:105], v[10:11]
	v_fmac_f64_e32 v[118:119], v[106:107], v[4:5]
	v_add_f64 v[116:117], v[116:117], v[118:119]
	v_fma_f64 v[2:3], v[100:101], v[2:3], -v[8:9]
	s_waitcnt lgkmcnt(2)
	v_mul_f64 v[118:119], v[108:109], v[12:13]
	v_fmac_f64_e32 v[118:119], v[110:111], v[6:7]
	v_add_f64 v[120:121], v[116:117], v[118:119]
	ds_read_b128 v[116:119], v98 offset:608
	s_waitcnt vmcnt(60) lgkmcnt(2)
	v_mul_f64 v[122:123], v[112:113], v[18:19]
	v_mul_f64 v[8:9], v[106:107], v[10:11]
	s_waitcnt vmcnt(58)
	v_fmac_f64_e32 v[122:123], v[114:115], v[20:21]
	v_add_f64 v[124:125], v[120:121], v[122:123]
	ds_read_b128 v[120:123], v98 offset:624
	s_waitcnt vmcnt(56) lgkmcnt(1)
	v_mul_f64 v[126:127], v[116:117], v[14:15]
	v_fmac_f64_e32 v[126:127], v[118:119], v[16:17]
	v_add_f64 v[128:129], v[124:125], v[126:127]
	ds_read_b128 v[124:127], v98 offset:640
	s_waitcnt vmcnt(52) lgkmcnt(1)
	v_mul_f64 v[130:131], v[120:121], v[78:79]
	s_waitcnt vmcnt(50)
	v_fmac_f64_e32 v[130:131], v[122:123], v[80:81]
	v_add_f64 v[132:133], v[128:129], v[130:131]
	ds_read_b128 v[128:131], v98 offset:656
	s_waitcnt vmcnt(48) lgkmcnt(1)
	v_mul_f64 v[134:135], v[124:125], v[74:75]
	v_fmac_f64_e32 v[134:135], v[126:127], v[76:77]
	v_add_f64 v[136:137], v[132:133], v[134:135]
	ds_read_b128 v[132:135], v98 offset:672
	s_waitcnt vmcnt(44) lgkmcnt(1)
	v_mul_f64 v[138:139], v[128:129], v[86:87]
	s_waitcnt vmcnt(42)
	v_fmac_f64_e32 v[138:139], v[130:131], v[88:89]
	v_add_f64 v[2:3], v[2:3], 0
	v_fma_f64 v[4:5], v[104:105], v[4:5], -v[8:9]
	v_add_f64 v[140:141], v[136:137], v[138:139]
	ds_read_b128 v[136:139], v98 offset:688
	s_waitcnt vmcnt(40) lgkmcnt(1)
	v_mul_f64 v[142:143], v[132:133], v[82:83]
	v_add_f64 v[2:3], v[2:3], v[4:5]
	v_mul_f64 v[4:5], v[110:111], v[12:13]
	v_fmac_f64_e32 v[142:143], v[134:135], v[84:85]
	v_fma_f64 v[4:5], v[108:109], v[6:7], -v[4:5]
	v_add_f64 v[144:145], v[140:141], v[142:143]
	ds_read_b128 v[140:143], v98 offset:704
	v_add_f64 v[2:3], v[2:3], v[4:5]
	v_mul_f64 v[4:5], v[114:115], v[18:19]
	v_fma_f64 v[4:5], v[112:113], v[20:21], -v[4:5]
	v_add_f64 v[2:3], v[2:3], v[4:5]
	v_mul_f64 v[4:5], v[118:119], v[14:15]
	s_waitcnt vmcnt(36) lgkmcnt(1)
	v_mul_f64 v[146:147], v[136:137], v[94:95]
	v_fma_f64 v[4:5], v[116:117], v[16:17], -v[4:5]
	s_waitcnt vmcnt(34)
	v_fmac_f64_e32 v[146:147], v[138:139], v[96:97]
	v_add_f64 v[2:3], v[2:3], v[4:5]
	v_mul_f64 v[4:5], v[122:123], v[78:79]
	v_add_f64 v[180:181], v[144:145], v[146:147]
	ds_read_b128 v[144:147], v98 offset:720
	s_waitcnt vmcnt(32) lgkmcnt(1)
	v_mul_f64 v[182:183], v[140:141], v[90:91]
	v_fma_f64 v[4:5], v[120:121], v[80:81], -v[4:5]
	v_fmac_f64_e32 v[182:183], v[142:143], v[92:93]
	v_add_f64 v[2:3], v[2:3], v[4:5]
	v_mul_f64 v[4:5], v[126:127], v[74:75]
	v_add_f64 v[184:185], v[180:181], v[182:183]
	ds_read_b128 v[180:183], v98 offset:736
	v_fma_f64 v[4:5], v[124:125], v[76:77], -v[4:5]
	v_add_f64 v[2:3], v[2:3], v[4:5]
	v_mul_f64 v[4:5], v[130:131], v[86:87]
	v_fma_f64 v[4:5], v[128:129], v[88:89], -v[4:5]
	s_waitcnt vmcnt(28) lgkmcnt(1)
	v_mul_f64 v[186:187], v[144:145], v[154:155]
	v_add_f64 v[2:3], v[2:3], v[4:5]
	v_mul_f64 v[4:5], v[134:135], v[82:83]
	s_waitcnt vmcnt(26)
	v_fmac_f64_e32 v[186:187], v[146:147], v[156:157]
	v_fma_f64 v[4:5], v[132:133], v[84:85], -v[4:5]
	v_add_f64 v[188:189], v[184:185], v[186:187]
	ds_read_b128 v[184:187], v98 offset:752
	s_waitcnt vmcnt(24) lgkmcnt(1)
	v_mul_f64 v[190:191], v[180:181], v[148:149]
	v_add_f64 v[2:3], v[2:3], v[4:5]
	v_mul_f64 v[4:5], v[138:139], v[94:95]
	v_fmac_f64_e32 v[190:191], v[182:183], v[152:153]
	v_fma_f64 v[4:5], v[136:137], v[96:97], -v[4:5]
	v_add_f64 v[192:193], v[188:189], v[190:191]
	ds_read_b128 v[188:191], v98 offset:768
	v_add_f64 v[2:3], v[2:3], v[4:5]
	v_mul_f64 v[4:5], v[142:143], v[90:91]
	v_fma_f64 v[4:5], v[140:141], v[92:93], -v[4:5]
	v_add_f64 v[2:3], v[2:3], v[4:5]
	v_mul_f64 v[4:5], v[146:147], v[154:155]
	s_waitcnt vmcnt(20) lgkmcnt(1)
	v_mul_f64 v[194:195], v[184:185], v[208:209]
	v_fma_f64 v[4:5], v[144:145], v[156:157], -v[4:5]
	s_waitcnt vmcnt(18)
	v_fmac_f64_e32 v[194:195], v[186:187], v[210:211]
	v_add_f64 v[2:3], v[2:3], v[4:5]
	v_mul_f64 v[4:5], v[182:183], v[148:149]
	v_add_f64 v[196:197], v[192:193], v[194:195]
	ds_read_b128 v[192:195], v98 offset:784
	s_waitcnt vmcnt(16) lgkmcnt(1)
	v_mul_f64 v[198:199], v[188:189], v[204:205]
	v_fma_f64 v[4:5], v[180:181], v[152:153], -v[4:5]
	v_fmac_f64_e32 v[198:199], v[190:191], v[206:207]
	v_add_f64 v[2:3], v[2:3], v[4:5]
	v_mul_f64 v[4:5], v[186:187], v[208:209]
	v_add_f64 v[228:229], v[196:197], v[198:199]
	ds_read_b128 v[196:199], v98 offset:800
	v_fma_f64 v[4:5], v[184:185], v[210:211], -v[4:5]
	v_add_f64 v[2:3], v[2:3], v[4:5]
	v_mul_f64 v[4:5], v[190:191], v[204:205]
	v_fma_f64 v[4:5], v[188:189], v[206:207], -v[4:5]
	v_add_f64 v[2:3], v[2:3], v[4:5]
	s_waitcnt vmcnt(12) lgkmcnt(1)
	v_mul_f64 v[4:5], v[194:195], v[216:217]
	v_mul_f64 v[230:231], v[192:193], v[216:217]
	s_waitcnt vmcnt(10)
	v_fma_f64 v[4:5], v[192:193], v[218:219], -v[4:5]
	v_fmac_f64_e32 v[230:231], v[194:195], v[218:219]
	v_add_f64 v[2:3], v[2:3], v[4:5]
	s_waitcnt vmcnt(8) lgkmcnt(0)
	v_mul_f64 v[4:5], v[198:199], v[212:213]
	v_add_f64 v[98:99], v[228:229], v[230:231]
	v_mul_f64 v[228:229], v[196:197], v[212:213]
	v_fma_f64 v[4:5], v[196:197], v[214:215], -v[4:5]
	v_fmac_f64_e32 v[228:229], v[198:199], v[214:215]
	v_add_f64 v[2:3], v[2:3], v[4:5]
	s_waitcnt vmcnt(6)
	v_mul_f64 v[4:5], v[202:203], v[220:221]
	v_add_f64 v[98:99], v[98:99], v[228:229]
	v_mul_f64 v[228:229], v[200:201], v[220:221]
	s_waitcnt vmcnt(4)
	v_fma_f64 v[4:5], v[200:201], v[222:223], -v[4:5]
	v_fmac_f64_e32 v[228:229], v[202:203], v[222:223]
	v_add_f64 v[2:3], v[2:3], v[4:5]
	v_add_f64 v[98:99], v[98:99], v[228:229]
	s_waitcnt vmcnt(2)
	v_add_f64 v[2:3], v[224:225], -v[2:3]
	s_waitcnt vmcnt(0)
	v_add_f64 v[4:5], v[226:227], -v[98:99]
	buffer_store_dword v3, off, s[0:3], 0 offset:116
	buffer_store_dword v2, off, s[0:3], 0 offset:112
	;; [unrolled: 1-line block ×4, first 2 shown]
	s_and_saveexec_b64 s[6:7], vcc
	s_cbranch_execz .LBB89_157
; %bb.156:
	v_accvgpr_read_b32 v5, a28
	buffer_load_dword v2, v5, s[0:3], 0 offen
	buffer_load_dword v3, v5, s[0:3], 0 offen offset:4
	buffer_load_dword v4, v5, s[0:3], 0 offen offset:8
	s_nop 0
	buffer_load_dword v5, v5, s[0:3], 0 offen offset:12
	v_mov_b32_e32 v6, 0
	buffer_store_dword v6, off, s[0:3], 0 offset:96
	buffer_store_dword v6, off, s[0:3], 0 offset:100
	;; [unrolled: 1-line block ×4, first 2 shown]
	s_waitcnt vmcnt(4)
	ds_write_b128 v150, v[2:5]
.LBB89_157:
	s_or_b64 exec, exec, s[6:7]
	s_waitcnt lgkmcnt(0)
	; wave barrier
	s_waitcnt lgkmcnt(0)
	buffer_load_dword v2, off, s[0:3], 0 offset:112
	buffer_load_dword v3, off, s[0:3], 0 offset:116
	;; [unrolled: 1-line block ×76, first 2 shown]
	v_mov_b32_e32 v106, 0
	ds_read_b128 v[108:111], v106 offset:528
	buffer_load_dword v232, off, s[0:3], 0 offset:96
	buffer_load_dword v233, off, s[0:3], 0 offset:100
	;; [unrolled: 1-line block ×4, first 2 shown]
	ds_read_b128 v[112:115], v106 offset:544
	ds_read_b128 v[116:119], v106 offset:560
	;; [unrolled: 1-line block ×4, first 2 shown]
	v_cmp_lt_u32_e32 vcc, 5, v178
	s_waitcnt vmcnt(62) lgkmcnt(4)
	v_mul_f64 v[124:125], v[108:109], v[8:9]
	v_fmac_f64_e32 v[124:125], v[110:111], v[2:3]
	v_add_f64 v[124:125], v[124:125], 0
	v_mul_f64 v[8:9], v[110:111], v[8:9]
	s_waitcnt lgkmcnt(3)
	v_mul_f64 v[126:127], v[112:113], v[10:11]
	v_fmac_f64_e32 v[126:127], v[114:115], v[4:5]
	v_add_f64 v[124:125], v[124:125], v[126:127]
	v_fma_f64 v[2:3], v[108:109], v[2:3], -v[8:9]
	s_waitcnt lgkmcnt(2)
	v_mul_f64 v[126:127], v[116:117], v[12:13]
	v_fmac_f64_e32 v[126:127], v[118:119], v[6:7]
	v_add_f64 v[128:129], v[124:125], v[126:127]
	ds_read_b128 v[124:127], v106 offset:592
	s_waitcnt lgkmcnt(2)
	v_mul_f64 v[130:131], v[120:121], v[18:19]
	v_mul_f64 v[8:9], v[114:115], v[10:11]
	v_fmac_f64_e32 v[130:131], v[122:123], v[20:21]
	v_add_f64 v[132:133], v[128:129], v[130:131]
	ds_read_b128 v[128:131], v106 offset:608
	s_waitcnt vmcnt(60) lgkmcnt(1)
	v_mul_f64 v[134:135], v[124:125], v[14:15]
	v_fmac_f64_e32 v[134:135], v[126:127], v[16:17]
	v_add_f64 v[136:137], v[132:133], v[134:135]
	ds_read_b128 v[132:135], v106 offset:624
	s_waitcnt vmcnt(56) lgkmcnt(1)
	v_mul_f64 v[138:139], v[128:129], v[78:79]
	s_waitcnt vmcnt(54)
	v_fmac_f64_e32 v[138:139], v[130:131], v[80:81]
	v_add_f64 v[140:141], v[136:137], v[138:139]
	ds_read_b128 v[136:139], v106 offset:640
	s_waitcnt vmcnt(52) lgkmcnt(1)
	v_mul_f64 v[142:143], v[132:133], v[74:75]
	v_fmac_f64_e32 v[142:143], v[134:135], v[76:77]
	v_add_f64 v[144:145], v[140:141], v[142:143]
	ds_read_b128 v[140:143], v106 offset:656
	s_waitcnt vmcnt(48) lgkmcnt(1)
	v_mul_f64 v[146:147], v[136:137], v[86:87]
	s_waitcnt vmcnt(46)
	v_fmac_f64_e32 v[146:147], v[138:139], v[88:89]
	v_add_f64 v[180:181], v[144:145], v[146:147]
	ds_read_b128 v[144:147], v106 offset:672
	v_add_f64 v[2:3], v[2:3], 0
	v_fma_f64 v[4:5], v[112:113], v[4:5], -v[8:9]
	s_waitcnt vmcnt(44) lgkmcnt(1)
	v_mul_f64 v[182:183], v[140:141], v[82:83]
	v_add_f64 v[2:3], v[2:3], v[4:5]
	v_mul_f64 v[4:5], v[118:119], v[12:13]
	v_fmac_f64_e32 v[182:183], v[142:143], v[84:85]
	v_fma_f64 v[4:5], v[116:117], v[6:7], -v[4:5]
	v_add_f64 v[184:185], v[180:181], v[182:183]
	ds_read_b128 v[180:183], v106 offset:688
	s_waitcnt vmcnt(40) lgkmcnt(1)
	v_mul_f64 v[186:187], v[144:145], v[94:95]
	v_add_f64 v[2:3], v[2:3], v[4:5]
	v_mul_f64 v[4:5], v[122:123], v[18:19]
	s_waitcnt vmcnt(38)
	v_fmac_f64_e32 v[186:187], v[146:147], v[96:97]
	v_fma_f64 v[4:5], v[120:121], v[20:21], -v[4:5]
	v_add_f64 v[188:189], v[184:185], v[186:187]
	ds_read_b128 v[184:187], v106 offset:704
	v_add_f64 v[2:3], v[2:3], v[4:5]
	v_mul_f64 v[4:5], v[126:127], v[14:15]
	v_fma_f64 v[4:5], v[124:125], v[16:17], -v[4:5]
	v_add_f64 v[2:3], v[2:3], v[4:5]
	v_mul_f64 v[4:5], v[130:131], v[78:79]
	s_waitcnt vmcnt(36) lgkmcnt(1)
	v_mul_f64 v[190:191], v[180:181], v[90:91]
	v_fma_f64 v[4:5], v[128:129], v[80:81], -v[4:5]
	v_fmac_f64_e32 v[190:191], v[182:183], v[92:93]
	v_add_f64 v[2:3], v[2:3], v[4:5]
	v_mul_f64 v[4:5], v[134:135], v[74:75]
	v_add_f64 v[192:193], v[188:189], v[190:191]
	ds_read_b128 v[188:191], v106 offset:720
	s_waitcnt vmcnt(32) lgkmcnt(1)
	v_mul_f64 v[194:195], v[184:185], v[102:103]
	v_fma_f64 v[4:5], v[132:133], v[76:77], -v[4:5]
	s_waitcnt vmcnt(30)
	v_fmac_f64_e32 v[194:195], v[186:187], v[104:105]
	v_add_f64 v[2:3], v[2:3], v[4:5]
	v_mul_f64 v[4:5], v[138:139], v[86:87]
	v_add_f64 v[196:197], v[192:193], v[194:195]
	ds_read_b128 v[192:195], v106 offset:736
	v_fma_f64 v[4:5], v[136:137], v[88:89], -v[4:5]
	v_add_f64 v[2:3], v[2:3], v[4:5]
	v_mul_f64 v[4:5], v[142:143], v[82:83]
	v_fma_f64 v[4:5], v[140:141], v[84:85], -v[4:5]
	s_waitcnt vmcnt(28) lgkmcnt(1)
	v_mul_f64 v[198:199], v[188:189], v[98:99]
	v_add_f64 v[2:3], v[2:3], v[4:5]
	v_mul_f64 v[4:5], v[146:147], v[94:95]
	v_fmac_f64_e32 v[198:199], v[190:191], v[100:101]
	v_fma_f64 v[4:5], v[144:145], v[96:97], -v[4:5]
	v_add_f64 v[200:201], v[196:197], v[198:199]
	ds_read_b128 v[196:199], v106 offset:752
	s_waitcnt vmcnt(24) lgkmcnt(1)
	v_mul_f64 v[202:203], v[192:193], v[154:155]
	v_add_f64 v[2:3], v[2:3], v[4:5]
	v_mul_f64 v[4:5], v[182:183], v[90:91]
	s_waitcnt vmcnt(22)
	v_fmac_f64_e32 v[202:203], v[194:195], v[156:157]
	v_fma_f64 v[4:5], v[180:181], v[92:93], -v[4:5]
	v_add_f64 v[204:205], v[200:201], v[202:203]
	ds_read_b128 v[200:203], v106 offset:768
	v_add_f64 v[2:3], v[2:3], v[4:5]
	v_mul_f64 v[4:5], v[186:187], v[102:103]
	v_fma_f64 v[4:5], v[184:185], v[104:105], -v[4:5]
	v_add_f64 v[2:3], v[2:3], v[4:5]
	v_mul_f64 v[4:5], v[190:191], v[98:99]
	s_waitcnt vmcnt(20) lgkmcnt(1)
	v_mul_f64 v[206:207], v[196:197], v[148:149]
	v_fma_f64 v[4:5], v[188:189], v[100:101], -v[4:5]
	v_fmac_f64_e32 v[206:207], v[198:199], v[152:153]
	v_add_f64 v[2:3], v[2:3], v[4:5]
	v_mul_f64 v[4:5], v[194:195], v[154:155]
	v_add_f64 v[208:209], v[204:205], v[206:207]
	ds_read_b128 v[204:207], v106 offset:784
	s_waitcnt vmcnt(16) lgkmcnt(1)
	v_mul_f64 v[210:211], v[200:201], v[220:221]
	v_fma_f64 v[4:5], v[192:193], v[156:157], -v[4:5]
	s_waitcnt vmcnt(14)
	v_fmac_f64_e32 v[210:211], v[202:203], v[222:223]
	v_add_f64 v[2:3], v[2:3], v[4:5]
	v_mul_f64 v[4:5], v[198:199], v[148:149]
	v_add_f64 v[236:237], v[208:209], v[210:211]
	ds_read_b128 v[208:211], v106 offset:800
	v_fma_f64 v[4:5], v[196:197], v[152:153], -v[4:5]
	v_add_f64 v[2:3], v[2:3], v[4:5]
	v_mul_f64 v[4:5], v[202:203], v[220:221]
	v_fma_f64 v[4:5], v[200:201], v[222:223], -v[4:5]
	v_add_f64 v[2:3], v[2:3], v[4:5]
	s_waitcnt vmcnt(12) lgkmcnt(1)
	v_mul_f64 v[4:5], v[206:207], v[216:217]
	v_mul_f64 v[238:239], v[204:205], v[216:217]
	v_fma_f64 v[4:5], v[204:205], v[218:219], -v[4:5]
	v_fmac_f64_e32 v[238:239], v[206:207], v[218:219]
	v_add_f64 v[2:3], v[2:3], v[4:5]
	s_waitcnt vmcnt(8) lgkmcnt(0)
	v_mul_f64 v[4:5], v[210:211], v[228:229]
	v_add_f64 v[236:237], v[236:237], v[238:239]
	v_mul_f64 v[238:239], v[208:209], v[228:229]
	s_waitcnt vmcnt(6)
	v_fma_f64 v[4:5], v[208:209], v[230:231], -v[4:5]
	v_fmac_f64_e32 v[238:239], v[210:211], v[230:231]
	v_add_f64 v[2:3], v[2:3], v[4:5]
	s_waitcnt vmcnt(5)
	v_mul_f64 v[4:5], v[214:215], v[224:225]
	v_add_f64 v[236:237], v[236:237], v[238:239]
	v_mul_f64 v[238:239], v[212:213], v[224:225]
	s_waitcnt vmcnt(4)
	v_fma_f64 v[4:5], v[212:213], v[226:227], -v[4:5]
	v_fmac_f64_e32 v[238:239], v[214:215], v[226:227]
	v_add_f64 v[2:3], v[2:3], v[4:5]
	v_add_f64 v[236:237], v[236:237], v[238:239]
	s_waitcnt vmcnt(2)
	v_add_f64 v[2:3], v[232:233], -v[2:3]
	s_waitcnt vmcnt(0)
	v_add_f64 v[4:5], v[234:235], -v[236:237]
	buffer_store_dword v3, off, s[0:3], 0 offset:100
	buffer_store_dword v2, off, s[0:3], 0 offset:96
	;; [unrolled: 1-line block ×4, first 2 shown]
	s_and_saveexec_b64 s[6:7], vcc
	s_cbranch_execz .LBB89_159
; %bb.158:
	v_accvgpr_read_b32 v5, a29
	buffer_load_dword v2, v5, s[0:3], 0 offen
	buffer_load_dword v3, v5, s[0:3], 0 offen offset:4
	buffer_load_dword v4, v5, s[0:3], 0 offen offset:8
	s_nop 0
	buffer_load_dword v5, v5, s[0:3], 0 offen offset:12
	s_nop 0
	buffer_store_dword v106, off, s[0:3], 0 offset:80
	buffer_store_dword v106, off, s[0:3], 0 offset:84
	;; [unrolled: 1-line block ×4, first 2 shown]
	s_waitcnt vmcnt(4)
	ds_write_b128 v150, v[2:5]
.LBB89_159:
	s_or_b64 exec, exec, s[6:7]
	s_waitcnt lgkmcnt(0)
	; wave barrier
	s_waitcnt lgkmcnt(0)
	buffer_load_dword v2, off, s[0:3], 0 offset:96
	buffer_load_dword v3, off, s[0:3], 0 offset:100
	;; [unrolled: 1-line block ×76, first 2 shown]
	ds_read_b128 v[108:111], v106 offset:512
	buffer_load_dword v237, off, s[0:3], 0 offset:412
	buffer_load_dword v236, off, s[0:3], 0 offset:408
	;; [unrolled: 1-line block ×8, first 2 shown]
	ds_read_b128 v[112:115], v106 offset:528
	ds_read_b128 v[116:119], v106 offset:544
	;; [unrolled: 1-line block ×3, first 2 shown]
	v_cmp_lt_u32_e32 vcc, 4, v178
	ds_read_b128 v[216:219], v106 offset:816
	s_waitcnt vmcnt(62) lgkmcnt(4)
	v_mul_f64 v[124:125], v[108:109], v[8:9]
	v_fmac_f64_e32 v[124:125], v[110:111], v[2:3]
	v_add_f64 v[124:125], v[124:125], 0
	v_mul_f64 v[8:9], v[110:111], v[8:9]
	s_waitcnt lgkmcnt(3)
	v_mul_f64 v[126:127], v[112:113], v[10:11]
	v_fmac_f64_e32 v[126:127], v[114:115], v[4:5]
	v_add_f64 v[124:125], v[124:125], v[126:127]
	v_fma_f64 v[2:3], v[108:109], v[2:3], -v[8:9]
	s_waitcnt lgkmcnt(2)
	v_mul_f64 v[126:127], v[116:117], v[12:13]
	v_fmac_f64_e32 v[126:127], v[118:119], v[6:7]
	v_add_f64 v[128:129], v[124:125], v[126:127]
	ds_read_b128 v[124:127], v106 offset:576
	v_mul_f64 v[8:9], v[114:115], v[10:11]
	v_add_f64 v[2:3], v[2:3], 0
	s_waitcnt lgkmcnt(2)
	v_mul_f64 v[130:131], v[120:121], v[18:19]
	v_fma_f64 v[4:5], v[112:113], v[4:5], -v[8:9]
	v_fmac_f64_e32 v[130:131], v[122:123], v[20:21]
	v_add_f64 v[132:133], v[128:129], v[130:131]
	ds_read_b128 v[128:131], v106 offset:592
	s_waitcnt lgkmcnt(1)
	v_mul_f64 v[134:135], v[124:125], v[14:15]
	v_fmac_f64_e32 v[134:135], v[126:127], v[16:17]
	v_add_f64 v[136:137], v[132:133], v[134:135]
	ds_read_b128 v[132:135], v106 offset:608
	s_waitcnt vmcnt(58) lgkmcnt(1)
	v_mul_f64 v[138:139], v[128:129], v[78:79]
	s_waitcnt vmcnt(56)
	v_fmac_f64_e32 v[138:139], v[130:131], v[80:81]
	v_add_f64 v[140:141], v[136:137], v[138:139]
	ds_read_b128 v[136:139], v106 offset:624
	s_waitcnt lgkmcnt(1)
	v_mul_f64 v[142:143], v[132:133], v[74:75]
	v_fmac_f64_e32 v[142:143], v[134:135], v[76:77]
	v_add_f64 v[144:145], v[140:141], v[142:143]
	ds_read_b128 v[140:143], v106 offset:640
	s_waitcnt vmcnt(50) lgkmcnt(1)
	v_mul_f64 v[146:147], v[136:137], v[86:87]
	s_waitcnt vmcnt(48)
	v_fmac_f64_e32 v[146:147], v[138:139], v[88:89]
	v_add_f64 v[180:181], v[144:145], v[146:147]
	ds_read_b128 v[144:147], v106 offset:656
	s_waitcnt lgkmcnt(1)
	v_mul_f64 v[182:183], v[140:141], v[82:83]
	v_fmac_f64_e32 v[182:183], v[142:143], v[84:85]
	v_add_f64 v[184:185], v[180:181], v[182:183]
	ds_read_b128 v[180:183], v106 offset:672
	v_add_f64 v[2:3], v[2:3], v[4:5]
	v_mul_f64 v[4:5], v[118:119], v[12:13]
	v_fma_f64 v[4:5], v[116:117], v[6:7], -v[4:5]
	s_waitcnt vmcnt(42) lgkmcnt(1)
	v_mul_f64 v[186:187], v[144:145], v[94:95]
	v_add_f64 v[2:3], v[2:3], v[4:5]
	v_mul_f64 v[4:5], v[122:123], v[18:19]
	s_waitcnt vmcnt(40)
	v_fmac_f64_e32 v[186:187], v[146:147], v[96:97]
	v_fma_f64 v[4:5], v[120:121], v[20:21], -v[4:5]
	v_add_f64 v[188:189], v[184:185], v[186:187]
	ds_read_b128 v[184:187], v106 offset:688
	s_waitcnt lgkmcnt(1)
	v_mul_f64 v[190:191], v[180:181], v[90:91]
	v_add_f64 v[2:3], v[2:3], v[4:5]
	v_mul_f64 v[4:5], v[126:127], v[14:15]
	v_fmac_f64_e32 v[190:191], v[182:183], v[92:93]
	v_fma_f64 v[4:5], v[124:125], v[16:17], -v[4:5]
	v_add_f64 v[192:193], v[188:189], v[190:191]
	ds_read_b128 v[188:191], v106 offset:704
	v_add_f64 v[2:3], v[2:3], v[4:5]
	v_mul_f64 v[4:5], v[130:131], v[78:79]
	v_fma_f64 v[4:5], v[128:129], v[80:81], -v[4:5]
	v_add_f64 v[2:3], v[2:3], v[4:5]
	v_mul_f64 v[4:5], v[134:135], v[74:75]
	s_waitcnt vmcnt(34) lgkmcnt(1)
	v_mul_f64 v[194:195], v[184:185], v[102:103]
	v_fma_f64 v[4:5], v[132:133], v[76:77], -v[4:5]
	s_waitcnt vmcnt(32)
	v_fmac_f64_e32 v[194:195], v[186:187], v[104:105]
	v_add_f64 v[2:3], v[2:3], v[4:5]
	v_mul_f64 v[4:5], v[138:139], v[86:87]
	v_add_f64 v[196:197], v[192:193], v[194:195]
	ds_read_b128 v[192:195], v106 offset:720
	s_waitcnt lgkmcnt(1)
	v_mul_f64 v[198:199], v[188:189], v[98:99]
	v_fma_f64 v[4:5], v[136:137], v[88:89], -v[4:5]
	v_fmac_f64_e32 v[198:199], v[190:191], v[100:101]
	v_add_f64 v[2:3], v[2:3], v[4:5]
	v_mul_f64 v[4:5], v[142:143], v[82:83]
	v_add_f64 v[200:201], v[196:197], v[198:199]
	ds_read_b128 v[196:199], v106 offset:736
	v_fma_f64 v[4:5], v[140:141], v[84:85], -v[4:5]
	v_add_f64 v[2:3], v[2:3], v[4:5]
	v_mul_f64 v[4:5], v[146:147], v[94:95]
	v_fma_f64 v[4:5], v[144:145], v[96:97], -v[4:5]
	s_waitcnt vmcnt(26) lgkmcnt(1)
	v_mul_f64 v[202:203], v[192:193], v[154:155]
	v_add_f64 v[2:3], v[2:3], v[4:5]
	v_mul_f64 v[4:5], v[182:183], v[90:91]
	s_waitcnt vmcnt(24)
	v_fmac_f64_e32 v[202:203], v[194:195], v[156:157]
	v_fma_f64 v[4:5], v[180:181], v[92:93], -v[4:5]
	v_add_f64 v[204:205], v[200:201], v[202:203]
	ds_read_b128 v[200:203], v106 offset:752
	s_waitcnt lgkmcnt(1)
	v_mul_f64 v[206:207], v[196:197], v[148:149]
	v_add_f64 v[2:3], v[2:3], v[4:5]
	v_mul_f64 v[4:5], v[186:187], v[102:103]
	v_fmac_f64_e32 v[206:207], v[198:199], v[152:153]
	v_fma_f64 v[4:5], v[184:185], v[104:105], -v[4:5]
	v_add_f64 v[208:209], v[204:205], v[206:207]
	ds_read_b128 v[204:207], v106 offset:768
	v_add_f64 v[2:3], v[2:3], v[4:5]
	v_mul_f64 v[4:5], v[190:191], v[98:99]
	v_fma_f64 v[4:5], v[188:189], v[100:101], -v[4:5]
	v_add_f64 v[2:3], v[2:3], v[4:5]
	v_mul_f64 v[4:5], v[194:195], v[154:155]
	s_waitcnt vmcnt(18) lgkmcnt(1)
	v_mul_f64 v[210:211], v[200:201], v[224:225]
	v_fma_f64 v[4:5], v[192:193], v[156:157], -v[4:5]
	s_waitcnt vmcnt(16)
	v_fmac_f64_e32 v[210:211], v[202:203], v[226:227]
	v_add_f64 v[2:3], v[2:3], v[4:5]
	v_mul_f64 v[4:5], v[198:199], v[148:149]
	v_add_f64 v[212:213], v[208:209], v[210:211]
	ds_read_b128 v[208:211], v106 offset:784
	s_waitcnt lgkmcnt(1)
	v_mul_f64 v[214:215], v[204:205], v[220:221]
	v_fma_f64 v[4:5], v[196:197], v[152:153], -v[4:5]
	v_fmac_f64_e32 v[214:215], v[206:207], v[222:223]
	v_add_f64 v[2:3], v[2:3], v[4:5]
	v_mul_f64 v[4:5], v[202:203], v[224:225]
	v_add_f64 v[244:245], v[212:213], v[214:215]
	ds_read_b128 v[212:215], v106 offset:800
	v_fma_f64 v[4:5], v[200:201], v[226:227], -v[4:5]
	v_add_f64 v[2:3], v[2:3], v[4:5]
	v_mul_f64 v[4:5], v[206:207], v[220:221]
	v_fma_f64 v[4:5], v[204:205], v[222:223], -v[4:5]
	v_add_f64 v[2:3], v[2:3], v[4:5]
	s_waitcnt vmcnt(10) lgkmcnt(1)
	v_mul_f64 v[4:5], v[210:211], v[232:233]
	v_mul_f64 v[246:247], v[208:209], v[232:233]
	s_waitcnt vmcnt(8)
	v_fma_f64 v[4:5], v[208:209], v[234:235], -v[4:5]
	v_fmac_f64_e32 v[246:247], v[210:211], v[234:235]
	v_add_f64 v[2:3], v[2:3], v[4:5]
	s_waitcnt lgkmcnt(0)
	v_mul_f64 v[4:5], v[214:215], v[228:229]
	v_add_f64 v[106:107], v[244:245], v[246:247]
	v_mul_f64 v[244:245], v[212:213], v[228:229]
	v_fma_f64 v[4:5], v[212:213], v[230:231], -v[4:5]
	v_fmac_f64_e32 v[244:245], v[214:215], v[230:231]
	v_add_f64 v[2:3], v[2:3], v[4:5]
	s_waitcnt vmcnt(6)
	v_mul_f64 v[4:5], v[218:219], v[236:237]
	v_add_f64 v[106:107], v[106:107], v[244:245]
	v_mul_f64 v[244:245], v[216:217], v[236:237]
	s_waitcnt vmcnt(4)
	v_fma_f64 v[4:5], v[216:217], v[238:239], -v[4:5]
	v_fmac_f64_e32 v[244:245], v[218:219], v[238:239]
	v_add_f64 v[2:3], v[2:3], v[4:5]
	v_add_f64 v[106:107], v[106:107], v[244:245]
	s_waitcnt vmcnt(2)
	v_add_f64 v[2:3], v[240:241], -v[2:3]
	s_waitcnt vmcnt(0)
	v_add_f64 v[4:5], v[242:243], -v[106:107]
	buffer_store_dword v3, off, s[0:3], 0 offset:84
	buffer_store_dword v2, off, s[0:3], 0 offset:80
	;; [unrolled: 1-line block ×4, first 2 shown]
	s_and_saveexec_b64 s[6:7], vcc
	s_cbranch_execz .LBB89_161
; %bb.160:
	v_accvgpr_read_b32 v5, a27
	buffer_load_dword v2, v5, s[0:3], 0 offen
	buffer_load_dword v3, v5, s[0:3], 0 offen offset:4
	buffer_load_dword v4, v5, s[0:3], 0 offen offset:8
	s_nop 0
	buffer_load_dword v5, v5, s[0:3], 0 offen offset:12
	v_mov_b32_e32 v6, 0
	buffer_store_dword v6, off, s[0:3], 0 offset:64
	buffer_store_dword v6, off, s[0:3], 0 offset:68
	;; [unrolled: 1-line block ×4, first 2 shown]
	s_waitcnt vmcnt(4)
	ds_write_b128 v150, v[2:5]
.LBB89_161:
	s_or_b64 exec, exec, s[6:7]
	s_waitcnt lgkmcnt(0)
	; wave barrier
	s_waitcnt lgkmcnt(0)
	buffer_load_dword v4, off, s[0:3], 0 offset:64
	buffer_load_dword v5, off, s[0:3], 0 offset:68
	;; [unrolled: 1-line block ×84, first 2 shown]
	v_mov_b32_e32 v138, 0
	ds_read_b128 v[118:121], v138 offset:496
	buffer_load_dword v249, off, s[0:3], 0 offset:412
	buffer_load_dword v248, off, s[0:3], 0 offset:408
	;; [unrolled: 1-line block ×4, first 2 shown]
	ds_read_b128 v[122:125], v138 offset:512
	ds_read_b128 v[126:129], v138 offset:528
	;; [unrolled: 1-line block ×4, first 2 shown]
	v_cmp_lt_u32_e32 vcc, 3, v178
	s_waitcnt vmcnt(62) lgkmcnt(4)
	v_mul_f64 v[134:135], v[118:119], v[12:13]
	v_fmac_f64_e32 v[134:135], v[120:121], v[6:7]
	s_waitcnt lgkmcnt(3)
	v_mul_f64 v[136:137], v[122:123], v[14:15]
	v_add_f64 v[134:135], v[134:135], 0
	v_fmac_f64_e32 v[136:137], v[124:125], v[8:9]
	v_add_f64 v[134:135], v[134:135], v[136:137]
	s_waitcnt lgkmcnt(2)
	v_mul_f64 v[136:137], v[126:127], v[16:17]
	v_fmac_f64_e32 v[136:137], v[128:129], v[10:11]
	v_add_f64 v[140:141], v[134:135], v[136:137]
	ds_read_b128 v[134:137], v138 offset:560
	v_mul_f64 v[12:13], v[120:121], v[12:13]
	s_waitcnt lgkmcnt(2)
	v_mul_f64 v[142:143], v[130:131], v[74:75]
	v_fma_f64 v[6:7], v[118:119], v[6:7], -v[12:13]
	v_fmac_f64_e32 v[142:143], v[132:133], v[76:77]
	v_add_f64 v[144:145], v[140:141], v[142:143]
	ds_read_b128 v[140:143], v138 offset:576
	s_waitcnt lgkmcnt(1)
	v_mul_f64 v[146:147], v[134:135], v[18:19]
	v_fmac_f64_e32 v[146:147], v[136:137], v[20:21]
	v_add_f64 v[180:181], v[144:145], v[146:147]
	ds_read_b128 v[144:147], v138 offset:592
	s_waitcnt vmcnt(58) lgkmcnt(1)
	v_mul_f64 v[182:183], v[140:141], v[82:83]
	s_waitcnt vmcnt(56)
	v_fmac_f64_e32 v[182:183], v[142:143], v[84:85]
	v_add_f64 v[184:185], v[180:181], v[182:183]
	ds_read_b128 v[180:183], v138 offset:608
	s_waitcnt lgkmcnt(1)
	v_mul_f64 v[186:187], v[144:145], v[78:79]
	v_fmac_f64_e32 v[186:187], v[146:147], v[80:81]
	v_add_f64 v[188:189], v[184:185], v[186:187]
	ds_read_b128 v[184:187], v138 offset:624
	s_waitcnt vmcnt(50) lgkmcnt(1)
	v_mul_f64 v[190:191], v[180:181], v[90:91]
	s_waitcnt vmcnt(48)
	v_fmac_f64_e32 v[190:191], v[182:183], v[92:93]
	v_add_f64 v[192:193], v[188:189], v[190:191]
	ds_read_b128 v[188:191], v138 offset:640
	s_waitcnt lgkmcnt(1)
	v_mul_f64 v[194:195], v[184:185], v[86:87]
	v_fmac_f64_e32 v[194:195], v[186:187], v[88:89]
	v_mul_f64 v[12:13], v[124:125], v[14:15]
	v_add_f64 v[196:197], v[192:193], v[194:195]
	ds_read_b128 v[192:195], v138 offset:656
	s_waitcnt vmcnt(42) lgkmcnt(1)
	v_mul_f64 v[198:199], v[188:189], v[98:99]
	v_add_f64 v[6:7], v[6:7], 0
	v_fma_f64 v[8:9], v[122:123], v[8:9], -v[12:13]
	s_waitcnt vmcnt(40)
	v_fmac_f64_e32 v[198:199], v[190:191], v[100:101]
	v_add_f64 v[6:7], v[6:7], v[8:9]
	v_mul_f64 v[8:9], v[128:129], v[16:17]
	v_add_f64 v[200:201], v[196:197], v[198:199]
	ds_read_b128 v[196:199], v138 offset:672
	v_fma_f64 v[8:9], v[126:127], v[10:11], -v[8:9]
	v_add_f64 v[6:7], v[6:7], v[8:9]
	v_mul_f64 v[8:9], v[132:133], v[74:75]
	v_fma_f64 v[8:9], v[130:131], v[76:77], -v[8:9]
	s_waitcnt lgkmcnt(1)
	v_mul_f64 v[202:203], v[192:193], v[94:95]
	v_add_f64 v[6:7], v[6:7], v[8:9]
	v_mul_f64 v[8:9], v[136:137], v[18:19]
	v_fmac_f64_e32 v[202:203], v[194:195], v[96:97]
	v_fma_f64 v[8:9], v[134:135], v[20:21], -v[8:9]
	v_add_f64 v[204:205], v[200:201], v[202:203]
	ds_read_b128 v[200:203], v138 offset:688
	s_waitcnt vmcnt(34) lgkmcnt(1)
	v_mul_f64 v[206:207], v[196:197], v[106:107]
	v_add_f64 v[6:7], v[6:7], v[8:9]
	v_mul_f64 v[8:9], v[142:143], v[82:83]
	s_waitcnt vmcnt(32)
	v_fmac_f64_e32 v[206:207], v[198:199], v[108:109]
	v_fma_f64 v[8:9], v[140:141], v[84:85], -v[8:9]
	v_add_f64 v[208:209], v[204:205], v[206:207]
	ds_read_b128 v[204:207], v138 offset:704
	v_add_f64 v[6:7], v[6:7], v[8:9]
	v_mul_f64 v[8:9], v[146:147], v[78:79]
	v_fma_f64 v[8:9], v[144:145], v[80:81], -v[8:9]
	v_add_f64 v[6:7], v[6:7], v[8:9]
	v_mul_f64 v[8:9], v[182:183], v[90:91]
	s_waitcnt lgkmcnt(1)
	v_mul_f64 v[210:211], v[200:201], v[102:103]
	v_fma_f64 v[8:9], v[180:181], v[92:93], -v[8:9]
	v_fmac_f64_e32 v[210:211], v[202:203], v[104:105]
	v_add_f64 v[6:7], v[6:7], v[8:9]
	v_mul_f64 v[8:9], v[186:187], v[86:87]
	v_add_f64 v[212:213], v[208:209], v[210:211]
	ds_read_b128 v[208:211], v138 offset:720
	s_waitcnt vmcnt(26) lgkmcnt(1)
	v_mul_f64 v[214:215], v[204:205], v[114:115]
	v_fma_f64 v[8:9], v[184:185], v[88:89], -v[8:9]
	s_waitcnt vmcnt(24)
	v_fmac_f64_e32 v[214:215], v[206:207], v[116:117]
	v_add_f64 v[6:7], v[6:7], v[8:9]
	v_mul_f64 v[8:9], v[190:191], v[98:99]
	v_add_f64 v[216:217], v[212:213], v[214:215]
	ds_read_b128 v[212:215], v138 offset:736
	v_fma_f64 v[8:9], v[188:189], v[100:101], -v[8:9]
	v_add_f64 v[6:7], v[6:7], v[8:9]
	v_mul_f64 v[8:9], v[194:195], v[94:95]
	v_fma_f64 v[8:9], v[192:193], v[96:97], -v[8:9]
	s_waitcnt lgkmcnt(1)
	v_mul_f64 v[218:219], v[208:209], v[110:111]
	v_add_f64 v[6:7], v[6:7], v[8:9]
	v_mul_f64 v[8:9], v[198:199], v[106:107]
	v_fmac_f64_e32 v[218:219], v[210:211], v[112:113]
	v_fma_f64 v[8:9], v[196:197], v[108:109], -v[8:9]
	v_add_f64 v[220:221], v[216:217], v[218:219]
	ds_read_b128 v[216:219], v138 offset:752
	s_waitcnt vmcnt(18) lgkmcnt(1)
	v_mul_f64 v[222:223], v[212:213], v[154:155]
	v_add_f64 v[6:7], v[6:7], v[8:9]
	v_mul_f64 v[8:9], v[202:203], v[102:103]
	s_waitcnt vmcnt(16)
	v_fmac_f64_e32 v[222:223], v[214:215], v[156:157]
	v_fma_f64 v[8:9], v[200:201], v[104:105], -v[8:9]
	v_add_f64 v[224:225], v[220:221], v[222:223]
	ds_read_b128 v[220:223], v138 offset:768
	v_add_f64 v[6:7], v[6:7], v[8:9]
	v_mul_f64 v[8:9], v[206:207], v[114:115]
	v_fma_f64 v[8:9], v[204:205], v[116:117], -v[8:9]
	v_add_f64 v[6:7], v[6:7], v[8:9]
	v_mul_f64 v[8:9], v[210:211], v[110:111]
	s_waitcnt lgkmcnt(1)
	v_mul_f64 v[226:227], v[216:217], v[148:149]
	v_fma_f64 v[8:9], v[208:209], v[112:113], -v[8:9]
	v_fmac_f64_e32 v[226:227], v[218:219], v[152:153]
	v_add_f64 v[6:7], v[6:7], v[8:9]
	v_mul_f64 v[8:9], v[214:215], v[154:155]
	v_add_f64 v[228:229], v[224:225], v[226:227]
	ds_read_b128 v[224:227], v138 offset:784
	s_waitcnt vmcnt(10) lgkmcnt(1)
	v_mul_f64 v[230:231], v[220:221], v[240:241]
	v_fma_f64 v[8:9], v[212:213], v[156:157], -v[8:9]
	s_waitcnt vmcnt(8)
	v_fmac_f64_e32 v[230:231], v[222:223], v[242:243]
	v_add_f64 v[6:7], v[6:7], v[8:9]
	v_mul_f64 v[8:9], v[218:219], v[148:149]
	v_add_f64 v[252:253], v[228:229], v[230:231]
	ds_read_b128 v[228:231], v138 offset:800
	v_fma_f64 v[8:9], v[216:217], v[152:153], -v[8:9]
	v_add_f64 v[6:7], v[6:7], v[8:9]
	v_mul_f64 v[8:9], v[222:223], v[240:241]
	v_fma_f64 v[8:9], v[220:221], v[242:243], -v[8:9]
	v_add_f64 v[6:7], v[6:7], v[8:9]
	s_waitcnt lgkmcnt(1)
	v_mul_f64 v[8:9], v[226:227], v[236:237]
	v_mul_f64 v[254:255], v[224:225], v[236:237]
	v_fma_f64 v[8:9], v[224:225], v[238:239], -v[8:9]
	v_fmac_f64_e32 v[254:255], v[226:227], v[238:239]
	v_add_f64 v[6:7], v[6:7], v[8:9]
	s_waitcnt vmcnt(6) lgkmcnt(0)
	v_mul_f64 v[8:9], v[230:231], v[244:245]
	v_add_f64 v[252:253], v[252:253], v[254:255]
	v_mul_f64 v[254:255], v[228:229], v[244:245]
	s_waitcnt vmcnt(4)
	v_fma_f64 v[8:9], v[228:229], v[246:247], -v[8:9]
	v_fmac_f64_e32 v[254:255], v[230:231], v[246:247]
	v_add_f64 v[6:7], v[6:7], v[8:9]
	s_waitcnt vmcnt(2)
	v_mul_f64 v[8:9], v[234:235], v[248:249]
	v_add_f64 v[252:253], v[252:253], v[254:255]
	v_mul_f64 v[254:255], v[232:233], v[248:249]
	s_waitcnt vmcnt(0)
	v_fma_f64 v[8:9], v[232:233], v[250:251], -v[8:9]
	v_fmac_f64_e32 v[254:255], v[234:235], v[250:251]
	v_add_f64 v[6:7], v[6:7], v[8:9]
	v_add_f64 v[252:253], v[252:253], v[254:255]
	v_add_f64 v[4:5], v[4:5], -v[6:7]
	v_add_f64 v[2:3], v[2:3], -v[252:253]
	buffer_store_dword v5, off, s[0:3], 0 offset:68
	buffer_store_dword v4, off, s[0:3], 0 offset:64
	;; [unrolled: 1-line block ×4, first 2 shown]
	s_and_saveexec_b64 s[6:7], vcc
	s_cbranch_execz .LBB89_163
; %bb.162:
	v_accvgpr_read_b32 v5, a31
	buffer_load_dword v2, v5, s[0:3], 0 offen
	buffer_load_dword v3, v5, s[0:3], 0 offen offset:4
	buffer_load_dword v4, v5, s[0:3], 0 offen offset:8
	s_nop 0
	buffer_load_dword v5, v5, s[0:3], 0 offen offset:12
	s_nop 0
	buffer_store_dword v138, off, s[0:3], 0 offset:48
	buffer_store_dword v138, off, s[0:3], 0 offset:52
	;; [unrolled: 1-line block ×4, first 2 shown]
	s_waitcnt vmcnt(4)
	ds_write_b128 v150, v[2:5]
.LBB89_163:
	s_or_b64 exec, exec, s[6:7]
	s_waitcnt lgkmcnt(0)
	; wave barrier
	s_waitcnt lgkmcnt(0)
	ds_read_b128 v[14:17], v138 offset:480
	ds_read_b128 v[10:13], v138 offset:496
	;; [unrolled: 1-line block ×4, first 2 shown]
	buffer_load_dword v20, off, s[0:3], 0 offset:48
	buffer_load_dword v21, off, s[0:3], 0 offset:52
	;; [unrolled: 1-line block ×92, first 2 shown]
	s_waitcnt vmcnt(62) lgkmcnt(3)
	v_mul_f64 v[140:141], v[14:15], v[80:81]
	v_fmac_f64_e32 v[140:141], v[16:17], v[74:75]
	s_waitcnt lgkmcnt(2)
	v_mul_f64 v[142:143], v[10:11], v[82:83]
	v_add_f64 v[140:141], v[140:141], 0
	v_fmac_f64_e32 v[142:143], v[12:13], v[76:77]
	v_add_f64 v[140:141], v[140:141], v[142:143]
	s_waitcnt lgkmcnt(1)
	v_mul_f64 v[142:143], v[6:7], v[84:85]
	v_fmac_f64_e32 v[142:143], v[8:9], v[78:79]
	v_add_f64 v[144:145], v[140:141], v[142:143]
	ds_read_b128 v[140:143], v138 offset:544
	v_mul_f64 v[16:17], v[16:17], v[80:81]
	v_fma_f64 v[14:15], v[14:15], v[74:75], -v[16:17]
	s_waitcnt lgkmcnt(1)
	v_mul_f64 v[146:147], v[2:3], v[90:91]
	v_mul_f64 v[12:13], v[12:13], v[82:83]
	v_fmac_f64_e32 v[146:147], v[4:5], v[92:93]
	v_add_f64 v[180:181], v[144:145], v[146:147]
	ds_read_b128 v[144:147], v138 offset:560
	s_waitcnt lgkmcnt(1)
	v_mul_f64 v[182:183], v[140:141], v[86:87]
	v_fmac_f64_e32 v[182:183], v[142:143], v[88:89]
	v_add_f64 v[184:185], v[180:181], v[182:183]
	ds_read_b128 v[180:183], v138 offset:576
	s_waitcnt lgkmcnt(1)
	v_mul_f64 v[186:187], v[144:145], v[98:99]
	s_waitcnt vmcnt(60)
	v_fmac_f64_e32 v[186:187], v[146:147], v[100:101]
	v_add_f64 v[188:189], v[184:185], v[186:187]
	ds_read_b128 v[184:187], v138 offset:592
	s_waitcnt lgkmcnt(1)
	v_mul_f64 v[190:191], v[180:181], v[94:95]
	v_fmac_f64_e32 v[190:191], v[182:183], v[96:97]
	v_add_f64 v[192:193], v[188:189], v[190:191]
	ds_read_b128 v[188:191], v138 offset:608
	s_waitcnt vmcnt(54) lgkmcnt(1)
	v_mul_f64 v[194:195], v[184:185], v[106:107]
	s_waitcnt vmcnt(52)
	v_fmac_f64_e32 v[194:195], v[186:187], v[108:109]
	v_add_f64 v[196:197], v[192:193], v[194:195]
	ds_read_b128 v[192:195], v138 offset:624
	s_waitcnt lgkmcnt(1)
	v_mul_f64 v[198:199], v[188:189], v[102:103]
	v_fmac_f64_e32 v[198:199], v[190:191], v[104:105]
	v_add_f64 v[200:201], v[196:197], v[198:199]
	ds_read_b128 v[196:199], v138 offset:640
	s_waitcnt vmcnt(46) lgkmcnt(1)
	v_mul_f64 v[202:203], v[192:193], v[114:115]
	s_waitcnt vmcnt(44)
	v_fmac_f64_e32 v[202:203], v[194:195], v[116:117]
	v_add_f64 v[204:205], v[200:201], v[202:203]
	ds_read_b128 v[200:203], v138 offset:656
	s_waitcnt lgkmcnt(1)
	v_mul_f64 v[206:207], v[196:197], v[110:111]
	v_fmac_f64_e32 v[206:207], v[198:199], v[112:113]
	v_add_f64 v[14:15], v[14:15], 0
	v_fma_f64 v[10:11], v[10:11], v[76:77], -v[12:13]
	v_mul_f64 v[8:9], v[8:9], v[84:85]
	v_add_f64 v[208:209], v[204:205], v[206:207]
	ds_read_b128 v[204:207], v138 offset:672
	v_add_f64 v[10:11], v[14:15], v[10:11]
	v_fma_f64 v[6:7], v[6:7], v[78:79], -v[8:9]
	v_mul_f64 v[4:5], v[4:5], v[90:91]
	v_add_f64 v[6:7], v[10:11], v[6:7]
	v_fma_f64 v[2:3], v[2:3], v[92:93], -v[4:5]
	v_mul_f64 v[4:5], v[142:143], v[86:87]
	v_add_f64 v[2:3], v[6:7], v[2:3]
	v_fma_f64 v[4:5], v[140:141], v[88:89], -v[4:5]
	s_waitcnt vmcnt(38) lgkmcnt(1)
	v_mul_f64 v[210:211], v[200:201], v[122:123]
	v_add_f64 v[2:3], v[2:3], v[4:5]
	v_mul_f64 v[4:5], v[146:147], v[98:99]
	s_waitcnt vmcnt(36)
	v_fmac_f64_e32 v[210:211], v[202:203], v[124:125]
	v_fma_f64 v[4:5], v[144:145], v[100:101], -v[4:5]
	v_add_f64 v[212:213], v[208:209], v[210:211]
	ds_read_b128 v[208:211], v138 offset:688
	s_waitcnt lgkmcnt(1)
	v_mul_f64 v[214:215], v[204:205], v[118:119]
	v_add_f64 v[2:3], v[2:3], v[4:5]
	v_mul_f64 v[4:5], v[182:183], v[94:95]
	v_fmac_f64_e32 v[214:215], v[206:207], v[120:121]
	v_fma_f64 v[4:5], v[180:181], v[96:97], -v[4:5]
	v_add_f64 v[216:217], v[212:213], v[214:215]
	ds_read_b128 v[212:215], v138 offset:704
	v_add_f64 v[2:3], v[2:3], v[4:5]
	v_mul_f64 v[4:5], v[186:187], v[106:107]
	v_fma_f64 v[4:5], v[184:185], v[108:109], -v[4:5]
	v_add_f64 v[2:3], v[2:3], v[4:5]
	v_mul_f64 v[4:5], v[190:191], v[102:103]
	s_waitcnt vmcnt(30) lgkmcnt(1)
	v_mul_f64 v[218:219], v[208:209], v[130:131]
	v_fma_f64 v[4:5], v[188:189], v[104:105], -v[4:5]
	s_waitcnt vmcnt(28)
	v_fmac_f64_e32 v[218:219], v[210:211], v[132:133]
	v_add_f64 v[2:3], v[2:3], v[4:5]
	v_mul_f64 v[4:5], v[194:195], v[114:115]
	v_add_f64 v[220:221], v[216:217], v[218:219]
	ds_read_b128 v[216:219], v138 offset:720
	s_waitcnt lgkmcnt(1)
	v_mul_f64 v[222:223], v[212:213], v[126:127]
	v_fma_f64 v[4:5], v[192:193], v[116:117], -v[4:5]
	v_fmac_f64_e32 v[222:223], v[214:215], v[128:129]
	v_add_f64 v[2:3], v[2:3], v[4:5]
	v_mul_f64 v[4:5], v[198:199], v[110:111]
	v_add_f64 v[224:225], v[220:221], v[222:223]
	ds_read_b128 v[220:223], v138 offset:736
	v_fma_f64 v[4:5], v[196:197], v[112:113], -v[4:5]
	v_add_f64 v[2:3], v[2:3], v[4:5]
	v_mul_f64 v[4:5], v[202:203], v[122:123]
	v_fma_f64 v[4:5], v[200:201], v[124:125], -v[4:5]
	s_waitcnt vmcnt(22) lgkmcnt(1)
	v_mul_f64 v[226:227], v[216:217], v[148:149]
	v_add_f64 v[2:3], v[2:3], v[4:5]
	v_mul_f64 v[4:5], v[206:207], v[118:119]
	s_waitcnt vmcnt(20)
	v_fmac_f64_e32 v[226:227], v[218:219], v[152:153]
	v_fma_f64 v[4:5], v[204:205], v[120:121], -v[4:5]
	v_add_f64 v[228:229], v[224:225], v[226:227]
	ds_read_b128 v[224:227], v138 offset:752
	s_waitcnt lgkmcnt(1)
	v_mul_f64 v[230:231], v[220:221], v[134:135]
	v_add_f64 v[2:3], v[2:3], v[4:5]
	v_mul_f64 v[4:5], v[210:211], v[130:131]
	v_fmac_f64_e32 v[230:231], v[222:223], v[136:137]
	v_fma_f64 v[4:5], v[208:209], v[132:133], -v[4:5]
	v_add_f64 v[232:233], v[228:229], v[230:231]
	ds_read_b128 v[228:231], v138 offset:768
	v_add_f64 v[2:3], v[2:3], v[4:5]
	v_mul_f64 v[4:5], v[214:215], v[126:127]
	v_fma_f64 v[4:5], v[212:213], v[128:129], -v[4:5]
	v_add_f64 v[2:3], v[2:3], v[4:5]
	v_mul_f64 v[4:5], v[218:219], v[148:149]
	s_waitcnt vmcnt(14) lgkmcnt(1)
	v_mul_f64 v[234:235], v[224:225], v[244:245]
	v_fma_f64 v[4:5], v[216:217], v[152:153], -v[4:5]
	s_waitcnt vmcnt(12)
	v_fmac_f64_e32 v[234:235], v[226:227], v[246:247]
	v_add_f64 v[2:3], v[2:3], v[4:5]
	v_mul_f64 v[4:5], v[222:223], v[134:135]
	v_add_f64 v[236:237], v[232:233], v[234:235]
	ds_read_b128 v[232:235], v138 offset:784
	s_waitcnt lgkmcnt(1)
	v_mul_f64 v[238:239], v[228:229], v[154:155]
	v_fma_f64 v[4:5], v[220:221], v[136:137], -v[4:5]
	v_fmac_f64_e32 v[238:239], v[230:231], v[156:157]
	v_add_f64 v[2:3], v[2:3], v[4:5]
	v_mul_f64 v[4:5], v[226:227], v[244:245]
	v_add_f64 v[162:163], v[236:237], v[238:239]
	ds_read_b128 v[236:239], v138 offset:800
	ds_read_b128 v[240:243], v138 offset:816
	v_fma_f64 v[4:5], v[224:225], v[246:247], -v[4:5]
	v_add_f64 v[2:3], v[2:3], v[4:5]
	v_mul_f64 v[4:5], v[230:231], v[154:155]
	v_fma_f64 v[4:5], v[228:229], v[156:157], -v[4:5]
	v_add_f64 v[2:3], v[2:3], v[4:5]
	s_waitcnt vmcnt(6) lgkmcnt(2)
	v_mul_f64 v[4:5], v[234:235], v[252:253]
	v_mul_f64 v[164:165], v[232:233], v[252:253]
	s_waitcnt vmcnt(4)
	v_fma_f64 v[4:5], v[232:233], v[254:255], -v[4:5]
	v_fmac_f64_e32 v[164:165], v[234:235], v[254:255]
	v_add_f64 v[2:3], v[2:3], v[4:5]
	s_waitcnt lgkmcnt(1)
	v_mul_f64 v[4:5], v[238:239], v[248:249]
	v_add_f64 v[138:139], v[162:163], v[164:165]
	v_mul_f64 v[162:163], v[236:237], v[248:249]
	v_fma_f64 v[4:5], v[236:237], v[250:251], -v[4:5]
	v_fmac_f64_e32 v[162:163], v[238:239], v[250:251]
	v_add_f64 v[2:3], v[2:3], v[4:5]
	s_waitcnt vmcnt(2) lgkmcnt(0)
	v_mul_f64 v[4:5], v[242:243], v[158:159]
	v_add_f64 v[138:139], v[138:139], v[162:163]
	v_mul_f64 v[162:163], v[240:241], v[158:159]
	s_waitcnt vmcnt(0)
	v_fma_f64 v[4:5], v[240:241], v[160:161], -v[4:5]
	v_fmac_f64_e32 v[162:163], v[242:243], v[160:161]
	v_add_f64 v[2:3], v[2:3], v[4:5]
	v_add_f64 v[138:139], v[138:139], v[162:163]
	v_add_f64 v[2:3], v[20:21], -v[2:3]
	v_cmp_lt_u32_e32 vcc, 2, v178
	v_add_f64 v[4:5], v[18:19], -v[138:139]
	buffer_store_dword v3, off, s[0:3], 0 offset:52
	buffer_store_dword v2, off, s[0:3], 0 offset:48
	;; [unrolled: 1-line block ×4, first 2 shown]
	s_and_saveexec_b64 s[6:7], vcc
	s_cbranch_execz .LBB89_165
; %bb.164:
	buffer_load_dword v2, v1, s[0:3], 0 offen
	buffer_load_dword v3, v1, s[0:3], 0 offen offset:4
	buffer_load_dword v4, v1, s[0:3], 0 offen offset:8
	buffer_load_dword v5, v1, s[0:3], 0 offen offset:12
	v_mov_b32_e32 v6, 0
	buffer_store_dword v6, off, s[0:3], 0 offset:32
	buffer_store_dword v6, off, s[0:3], 0 offset:36
	;; [unrolled: 1-line block ×4, first 2 shown]
	s_waitcnt vmcnt(4)
	ds_write_b128 v150, v[2:5]
.LBB89_165:
	s_or_b64 exec, exec, s[6:7]
	s_waitcnt lgkmcnt(0)
	; wave barrier
	s_waitcnt lgkmcnt(0)
	buffer_load_dword v9, off, s[0:3], 0 offset:60
	buffer_load_dword v6, off, s[0:3], 0 offset:72
	;; [unrolled: 1-line block ×64, first 2 shown]
	v_mov_b32_e32 v151, 0
	ds_read_b128 v[126:129], v151 offset:464
	ds_read_b128 v[130:133], v151 offset:480
	buffer_load_dword v119, off, s[0:3], 0 offset:316
	buffer_load_dword v118, off, s[0:3], 0 offset:312
	;; [unrolled: 1-line block ×8, first 2 shown]
	ds_read_b128 v[134:137], v151 offset:496
	ds_read_b128 v[138:141], v151 offset:512
	buffer_load_dword v153, off, s[0:3], 0 offset:348
	buffer_load_dword v152, off, s[0:3], 0 offset:344
	;; [unrolled: 1-line block ×24, first 2 shown]
	ds_read_b128 v[244:247], v151 offset:816
	v_cmp_lt_u32_e32 vcc, 1, v178
	s_waitcnt vmcnt(62) lgkmcnt(1)
	v_mul_f64 v[148:149], v[138:139], v[74:75]
	v_fmac_f64_e32 v[148:149], v[140:141], v[76:77]
	v_mul_f64 v[144:145], v[130:131], v[6:7]
	v_mul_f64 v[142:143], v[126:127], v[8:9]
	;; [unrolled: 1-line block ×3, first 2 shown]
	v_fmac_f64_e32 v[142:143], v[128:129], v[10:11]
	v_add_f64 v[142:143], v[142:143], 0
	v_fma_f64 v[8:9], v[126:127], v[10:11], -v[8:9]
	v_mul_f64 v[6:7], v[132:133], v[6:7]
	v_add_f64 v[8:9], v[8:9], 0
	v_fmac_f64_e32 v[144:145], v[132:133], v[14:15]
	v_add_f64 v[142:143], v[142:143], v[144:145]
	v_mul_f64 v[144:145], v[134:135], v[16:17]
	v_fmac_f64_e32 v[144:145], v[136:137], v[12:13]
	v_add_f64 v[146:147], v[142:143], v[144:145]
	ds_read_b128 v[142:145], v151 offset:528
	v_add_f64 v[180:181], v[146:147], v[148:149]
	ds_read_b128 v[146:149], v151 offset:544
	v_fma_f64 v[6:7], v[130:131], v[14:15], -v[6:7]
	v_add_f64 v[6:7], v[8:9], v[6:7]
	s_waitcnt lgkmcnt(1)
	v_mul_f64 v[182:183], v[142:143], v[18:19]
	v_fmac_f64_e32 v[182:183], v[144:145], v[20:21]
	v_add_f64 v[184:185], v[180:181], v[182:183]
	ds_read_b128 v[180:183], v151 offset:560
	s_waitcnt lgkmcnt(1)
	v_mul_f64 v[186:187], v[146:147], v[82:83]
	v_fmac_f64_e32 v[186:187], v[148:149], v[84:85]
	v_add_f64 v[188:189], v[184:185], v[186:187]
	ds_read_b128 v[184:187], v151 offset:576
	;; [unrolled: 5-line block ×3, first 2 shown]
	s_waitcnt vmcnt(58) lgkmcnt(1)
	v_mul_f64 v[194:195], v[184:185], v[90:91]
	s_waitcnt vmcnt(56)
	v_fmac_f64_e32 v[194:195], v[186:187], v[92:93]
	v_add_f64 v[196:197], v[192:193], v[194:195]
	ds_read_b128 v[192:195], v151 offset:608
	s_waitcnt lgkmcnt(1)
	v_mul_f64 v[198:199], v[188:189], v[86:87]
	v_fmac_f64_e32 v[198:199], v[190:191], v[88:89]
	v_add_f64 v[200:201], v[196:197], v[198:199]
	ds_read_b128 v[196:199], v151 offset:624
	s_waitcnt vmcnt(50) lgkmcnt(1)
	v_mul_f64 v[202:203], v[192:193], v[98:99]
	s_waitcnt vmcnt(48)
	v_fmac_f64_e32 v[202:203], v[194:195], v[100:101]
	v_add_f64 v[204:205], v[200:201], v[202:203]
	ds_read_b128 v[200:203], v151 offset:640
	v_mul_f64 v[8:9], v[136:137], v[16:17]
	s_waitcnt lgkmcnt(1)
	v_mul_f64 v[206:207], v[196:197], v[94:95]
	v_fma_f64 v[8:9], v[134:135], v[12:13], -v[8:9]
	v_fmac_f64_e32 v[206:207], v[198:199], v[96:97]
	v_add_f64 v[6:7], v[6:7], v[8:9]
	v_mul_f64 v[8:9], v[140:141], v[74:75]
	v_add_f64 v[208:209], v[204:205], v[206:207]
	ds_read_b128 v[204:207], v151 offset:656
	s_waitcnt vmcnt(42) lgkmcnt(1)
	v_mul_f64 v[210:211], v[200:201], v[106:107]
	v_fma_f64 v[8:9], v[138:139], v[76:77], -v[8:9]
	s_waitcnt vmcnt(40)
	v_fmac_f64_e32 v[210:211], v[202:203], v[108:109]
	v_add_f64 v[6:7], v[6:7], v[8:9]
	v_mul_f64 v[8:9], v[144:145], v[18:19]
	v_add_f64 v[212:213], v[208:209], v[210:211]
	ds_read_b128 v[208:211], v151 offset:672
	v_fma_f64 v[8:9], v[142:143], v[20:21], -v[8:9]
	v_add_f64 v[6:7], v[6:7], v[8:9]
	v_mul_f64 v[8:9], v[148:149], v[82:83]
	v_fma_f64 v[8:9], v[146:147], v[84:85], -v[8:9]
	s_waitcnt lgkmcnt(1)
	v_mul_f64 v[214:215], v[204:205], v[102:103]
	v_add_f64 v[6:7], v[6:7], v[8:9]
	v_mul_f64 v[8:9], v[182:183], v[78:79]
	v_fmac_f64_e32 v[214:215], v[206:207], v[104:105]
	v_fma_f64 v[8:9], v[180:181], v[80:81], -v[8:9]
	v_add_f64 v[216:217], v[212:213], v[214:215]
	ds_read_b128 v[212:215], v151 offset:688
	s_waitcnt vmcnt(34) lgkmcnt(1)
	v_mul_f64 v[218:219], v[208:209], v[114:115]
	v_add_f64 v[6:7], v[6:7], v[8:9]
	v_mul_f64 v[8:9], v[186:187], v[90:91]
	s_waitcnt vmcnt(32)
	v_fmac_f64_e32 v[218:219], v[210:211], v[116:117]
	v_fma_f64 v[8:9], v[184:185], v[92:93], -v[8:9]
	v_add_f64 v[220:221], v[216:217], v[218:219]
	ds_read_b128 v[216:219], v151 offset:704
	v_add_f64 v[6:7], v[6:7], v[8:9]
	v_mul_f64 v[8:9], v[190:191], v[86:87]
	v_fma_f64 v[8:9], v[188:189], v[88:89], -v[8:9]
	v_add_f64 v[6:7], v[6:7], v[8:9]
	v_mul_f64 v[8:9], v[194:195], v[98:99]
	s_waitcnt lgkmcnt(1)
	v_mul_f64 v[222:223], v[212:213], v[110:111]
	v_fma_f64 v[8:9], v[192:193], v[100:101], -v[8:9]
	v_fmac_f64_e32 v[222:223], v[214:215], v[112:113]
	v_add_f64 v[6:7], v[6:7], v[8:9]
	v_mul_f64 v[8:9], v[198:199], v[94:95]
	v_add_f64 v[224:225], v[220:221], v[222:223]
	ds_read_b128 v[220:223], v151 offset:720
	s_waitcnt vmcnt(26) lgkmcnt(1)
	v_mul_f64 v[226:227], v[216:217], v[122:123]
	v_fma_f64 v[8:9], v[196:197], v[96:97], -v[8:9]
	s_waitcnt vmcnt(24)
	v_fmac_f64_e32 v[226:227], v[218:219], v[124:125]
	v_add_f64 v[6:7], v[6:7], v[8:9]
	v_mul_f64 v[8:9], v[202:203], v[106:107]
	v_add_f64 v[228:229], v[224:225], v[226:227]
	ds_read_b128 v[224:227], v151 offset:736
	v_fma_f64 v[8:9], v[200:201], v[108:109], -v[8:9]
	v_add_f64 v[6:7], v[6:7], v[8:9]
	v_mul_f64 v[8:9], v[206:207], v[102:103]
	v_fma_f64 v[8:9], v[204:205], v[104:105], -v[8:9]
	s_waitcnt lgkmcnt(1)
	v_mul_f64 v[230:231], v[220:221], v[118:119]
	v_add_f64 v[6:7], v[6:7], v[8:9]
	v_mul_f64 v[8:9], v[210:211], v[114:115]
	v_fmac_f64_e32 v[230:231], v[222:223], v[120:121]
	v_fma_f64 v[8:9], v[208:209], v[116:117], -v[8:9]
	v_add_f64 v[232:233], v[228:229], v[230:231]
	ds_read_b128 v[228:231], v151 offset:752
	s_waitcnt vmcnt(18) lgkmcnt(1)
	v_mul_f64 v[234:235], v[224:225], v[156:157]
	v_add_f64 v[6:7], v[6:7], v[8:9]
	v_mul_f64 v[8:9], v[214:215], v[110:111]
	s_waitcnt vmcnt(16)
	v_fmac_f64_e32 v[234:235], v[226:227], v[158:159]
	v_fma_f64 v[8:9], v[212:213], v[112:113], -v[8:9]
	v_add_f64 v[236:237], v[232:233], v[234:235]
	ds_read_b128 v[232:235], v151 offset:768
	v_add_f64 v[6:7], v[6:7], v[8:9]
	v_mul_f64 v[8:9], v[218:219], v[122:123]
	v_fma_f64 v[8:9], v[216:217], v[124:125], -v[8:9]
	v_add_f64 v[6:7], v[6:7], v[8:9]
	v_mul_f64 v[8:9], v[222:223], v[118:119]
	s_waitcnt lgkmcnt(1)
	v_mul_f64 v[238:239], v[228:229], v[152:153]
	v_fma_f64 v[8:9], v[220:221], v[120:121], -v[8:9]
	v_fmac_f64_e32 v[238:239], v[230:231], v[154:155]
	v_add_f64 v[6:7], v[6:7], v[8:9]
	v_mul_f64 v[8:9], v[226:227], v[156:157]
	v_add_f64 v[240:241], v[236:237], v[238:239]
	ds_read_b128 v[236:239], v151 offset:784
	s_waitcnt vmcnt(10) lgkmcnt(1)
	v_mul_f64 v[242:243], v[232:233], v[164:165]
	v_fma_f64 v[8:9], v[224:225], v[158:159], -v[8:9]
	s_waitcnt vmcnt(8)
	v_fmac_f64_e32 v[242:243], v[234:235], v[248:249]
	v_add_f64 v[6:7], v[6:7], v[8:9]
	v_mul_f64 v[8:9], v[230:231], v[152:153]
	v_add_f64 v[168:169], v[240:241], v[242:243]
	ds_read_b128 v[240:243], v151 offset:800
	v_fma_f64 v[8:9], v[228:229], v[154:155], -v[8:9]
	v_add_f64 v[6:7], v[6:7], v[8:9]
	v_mul_f64 v[8:9], v[234:235], v[164:165]
	v_fma_f64 v[8:9], v[232:233], v[248:249], -v[8:9]
	v_add_f64 v[6:7], v[6:7], v[8:9]
	s_waitcnt lgkmcnt(1)
	v_mul_f64 v[8:9], v[238:239], v[160:161]
	v_mul_f64 v[170:171], v[236:237], v[160:161]
	v_fma_f64 v[8:9], v[236:237], v[162:163], -v[8:9]
	v_fmac_f64_e32 v[170:171], v[238:239], v[162:163]
	v_add_f64 v[6:7], v[6:7], v[8:9]
	s_waitcnt vmcnt(2) lgkmcnt(0)
	v_mul_f64 v[8:9], v[242:243], v[254:255]
	v_add_f64 v[168:169], v[168:169], v[170:171]
	v_mul_f64 v[170:171], v[240:241], v[254:255]
	s_waitcnt vmcnt(0)
	v_fma_f64 v[8:9], v[240:241], v[166:167], -v[8:9]
	v_fmac_f64_e32 v[170:171], v[242:243], v[166:167]
	v_add_f64 v[6:7], v[6:7], v[8:9]
	v_mul_f64 v[8:9], v[246:247], v[250:251]
	v_add_f64 v[168:169], v[168:169], v[170:171]
	v_mul_f64 v[170:171], v[244:245], v[250:251]
	v_fma_f64 v[8:9], v[244:245], v[252:253], -v[8:9]
	v_fmac_f64_e32 v[170:171], v[246:247], v[252:253]
	v_add_f64 v[6:7], v[6:7], v[8:9]
	v_add_f64 v[168:169], v[168:169], v[170:171]
	v_add_f64 v[4:5], v[4:5], -v[6:7]
	v_add_f64 v[2:3], v[2:3], -v[168:169]
	buffer_store_dword v5, off, s[0:3], 0 offset:36
	buffer_store_dword v4, off, s[0:3], 0 offset:32
	;; [unrolled: 1-line block ×4, first 2 shown]
	s_and_saveexec_b64 s[6:7], vcc
	s_cbranch_execz .LBB89_167
; %bb.166:
	v_accvgpr_read_b32 v5, a30
	buffer_load_dword v2, v5, s[0:3], 0 offen
	buffer_load_dword v3, v5, s[0:3], 0 offen offset:4
	buffer_load_dword v4, v5, s[0:3], 0 offen offset:8
	s_nop 0
	buffer_load_dword v5, v5, s[0:3], 0 offen offset:12
	s_nop 0
	buffer_store_dword v151, off, s[0:3], 0 offset:16
	buffer_store_dword v151, off, s[0:3], 0 offset:20
	;; [unrolled: 1-line block ×4, first 2 shown]
	s_waitcnt vmcnt(4)
	ds_write_b128 v150, v[2:5]
.LBB89_167:
	s_or_b64 exec, exec, s[6:7]
	s_waitcnt lgkmcnt(0)
	; wave barrier
	s_waitcnt lgkmcnt(0)
	buffer_load_dword v74, off, s[0:3], 0 offset:32
	buffer_load_dword v75, off, s[0:3], 0 offset:36
	;; [unrolled: 1-line block ×16, first 2 shown]
	ds_read_b128 v[2:5], v151 offset:448
	ds_read_b128 v[6:9], v151 offset:464
	ds_read_b128 v[10:13], v151 offset:480
	ds_read_b128 v[14:17], v151 offset:496
	buffer_load_dword v87, off, s[0:3], 0 offset:108
	buffer_load_dword v86, off, s[0:3], 0 offset:104
	;; [unrolled: 1-line block ×48, first 2 shown]
	v_cmp_ne_u32_e32 vcc, 0, v178
	s_waitcnt vmcnt(60) lgkmcnt(3)
	v_mul_f64 v[134:135], v[2:3], v[76:77]
	v_fmac_f64_e32 v[134:135], v[4:5], v[74:75]
	v_add_f64 v[134:135], v[134:135], 0
	v_mul_f64 v[4:5], v[4:5], v[76:77]
	s_waitcnt vmcnt(56) lgkmcnt(2)
	v_mul_f64 v[136:137], v[6:7], v[84:85]
	v_fma_f64 v[2:3], v[2:3], v[74:75], -v[4:5]
	v_mul_f64 v[4:5], v[8:9], v[84:85]
	s_waitcnt vmcnt(54) lgkmcnt(1)
	v_mul_f64 v[152:153], v[10:11], v[78:79]
	s_waitcnt vmcnt(52)
	v_fmac_f64_e32 v[136:137], v[8:9], v[80:81]
	v_add_f64 v[154:155], v[134:135], v[136:137]
	buffer_load_dword v135, off, s[0:3], 0 offset:300
	buffer_load_dword v134, off, s[0:3], 0 offset:296
	;; [unrolled: 1-line block ×32, first 2 shown]
	ds_read_b128 v[180:183], v151 offset:512
	buffer_load_dword v173, off, s[0:3], 0 offset:412
	buffer_load_dword v172, off, s[0:3], 0 offset:408
	buffer_load_dword v175, off, s[0:3], 0 offset:404
	buffer_load_dword v174, off, s[0:3], 0 offset:400
	v_add_f64 v[2:3], v[2:3], 0
	v_fma_f64 v[4:5], v[6:7], v[80:81], -v[4:5]
	v_fmac_f64_e32 v[152:153], v[12:13], v[82:83]
	ds_read_b128 v[184:187], v151 offset:528
	ds_read_b128 v[188:191], v151 offset:544
	v_add_f64 v[2:3], v[2:3], v[4:5]
	v_mul_f64 v[4:5], v[12:13], v[78:79]
	v_add_f64 v[152:153], v[154:155], v[152:153]
	s_waitcnt vmcnt(62) lgkmcnt(3)
	v_mul_f64 v[154:155], v[14:15], v[90:91]
	v_fma_f64 v[4:5], v[10:11], v[82:83], -v[4:5]
	v_fmac_f64_e32 v[154:155], v[16:17], v[92:93]
	v_add_f64 v[2:3], v[2:3], v[4:5]
	v_mul_f64 v[4:5], v[16:17], v[90:91]
	v_add_f64 v[152:153], v[152:153], v[154:155]
	s_waitcnt lgkmcnt(2)
	v_mul_f64 v[154:155], v[180:181], v[86:87]
	v_fma_f64 v[4:5], v[14:15], v[92:93], -v[4:5]
	v_fmac_f64_e32 v[154:155], v[182:183], v[88:89]
	ds_read_b128 v[192:195], v151 offset:560
	ds_read_b128 v[196:199], v151 offset:576
	v_add_f64 v[2:3], v[2:3], v[4:5]
	v_mul_f64 v[4:5], v[182:183], v[86:87]
	v_add_f64 v[152:153], v[152:153], v[154:155]
	s_waitcnt lgkmcnt(3)
	v_mul_f64 v[154:155], v[184:185], v[98:99]
	v_fma_f64 v[4:5], v[180:181], v[88:89], -v[4:5]
	v_fmac_f64_e32 v[154:155], v[186:187], v[100:101]
	v_add_f64 v[2:3], v[2:3], v[4:5]
	v_mul_f64 v[4:5], v[186:187], v[98:99]
	v_add_f64 v[152:153], v[152:153], v[154:155]
	s_waitcnt lgkmcnt(2)
	v_mul_f64 v[154:155], v[188:189], v[94:95]
	v_fma_f64 v[4:5], v[184:185], v[100:101], -v[4:5]
	v_fmac_f64_e32 v[154:155], v[190:191], v[96:97]
	ds_read_b128 v[200:203], v151 offset:592
	ds_read_b128 v[204:207], v151 offset:608
	v_add_f64 v[2:3], v[2:3], v[4:5]
	v_mul_f64 v[4:5], v[190:191], v[94:95]
	v_add_f64 v[152:153], v[152:153], v[154:155]
	s_waitcnt lgkmcnt(3)
	v_mul_f64 v[154:155], v[192:193], v[106:107]
	v_fma_f64 v[4:5], v[188:189], v[96:97], -v[4:5]
	s_waitcnt vmcnt(60)
	v_fmac_f64_e32 v[154:155], v[194:195], v[108:109]
	v_add_f64 v[2:3], v[2:3], v[4:5]
	v_mul_f64 v[4:5], v[194:195], v[106:107]
	v_add_f64 v[152:153], v[152:153], v[154:155]
	s_waitcnt lgkmcnt(2)
	v_mul_f64 v[154:155], v[196:197], v[102:103]
	v_fma_f64 v[4:5], v[192:193], v[108:109], -v[4:5]
	v_fmac_f64_e32 v[154:155], v[198:199], v[104:105]
	ds_read_b128 v[208:211], v151 offset:624
	ds_read_b128 v[212:215], v151 offset:640
	v_add_f64 v[2:3], v[2:3], v[4:5]
	v_mul_f64 v[4:5], v[198:199], v[102:103]
	v_add_f64 v[152:153], v[152:153], v[154:155]
	s_waitcnt vmcnt(54) lgkmcnt(3)
	v_mul_f64 v[154:155], v[200:201], v[114:115]
	v_fma_f64 v[4:5], v[196:197], v[104:105], -v[4:5]
	s_waitcnt vmcnt(52)
	v_fmac_f64_e32 v[154:155], v[202:203], v[116:117]
	v_add_f64 v[2:3], v[2:3], v[4:5]
	v_mul_f64 v[4:5], v[202:203], v[114:115]
	v_add_f64 v[152:153], v[152:153], v[154:155]
	s_waitcnt lgkmcnt(2)
	v_mul_f64 v[154:155], v[204:205], v[110:111]
	v_fma_f64 v[4:5], v[200:201], v[116:117], -v[4:5]
	v_fmac_f64_e32 v[154:155], v[206:207], v[112:113]
	ds_read_b128 v[216:219], v151 offset:656
	ds_read_b128 v[220:223], v151 offset:672
	v_add_f64 v[2:3], v[2:3], v[4:5]
	v_mul_f64 v[4:5], v[206:207], v[110:111]
	v_add_f64 v[152:153], v[152:153], v[154:155]
	s_waitcnt vmcnt(46) lgkmcnt(3)
	;; [unrolled: 17-line block ×5, first 2 shown]
	v_mul_f64 v[154:155], v[232:233], v[146:147]
	v_fma_f64 v[4:5], v[228:229], v[136:137], -v[4:5]
	s_waitcnt vmcnt(20)
	v_fmac_f64_e32 v[154:155], v[234:235], v[148:149]
	v_add_f64 v[2:3], v[2:3], v[4:5]
	v_mul_f64 v[4:5], v[234:235], v[146:147]
	v_add_f64 v[152:153], v[152:153], v[154:155]
	s_waitcnt lgkmcnt(2)
	v_mul_f64 v[154:155], v[236:237], v[142:143]
	v_fma_f64 v[4:5], v[232:233], v[148:149], -v[4:5]
	v_fmac_f64_e32 v[154:155], v[238:239], v[144:145]
	v_add_f64 v[2:3], v[2:3], v[4:5]
	v_mul_f64 v[4:5], v[238:239], v[142:143]
	v_add_f64 v[152:153], v[152:153], v[154:155]
	s_waitcnt vmcnt(14) lgkmcnt(1)
	v_mul_f64 v[154:155], v[240:241], v[160:161]
	ds_read_b128 v[248:251], v151 offset:784
	ds_read_b128 v[252:255], v151 offset:800
	v_fma_f64 v[4:5], v[236:237], v[144:145], -v[4:5]
	s_waitcnt vmcnt(12)
	v_fmac_f64_e32 v[154:155], v[242:243], v[162:163]
	v_add_f64 v[2:3], v[2:3], v[4:5]
	v_mul_f64 v[4:5], v[242:243], v[160:161]
	v_add_f64 v[152:153], v[152:153], v[154:155]
	s_waitcnt lgkmcnt(2)
	v_mul_f64 v[154:155], v[244:245], v[156:157]
	v_fma_f64 v[4:5], v[240:241], v[162:163], -v[4:5]
	v_fmac_f64_e32 v[154:155], v[246:247], v[158:159]
	v_add_f64 v[2:3], v[2:3], v[4:5]
	v_mul_f64 v[4:5], v[246:247], v[156:157]
	v_add_f64 v[176:177], v[152:153], v[154:155]
	ds_read_b128 v[152:155], v151 offset:816
	v_fma_f64 v[4:5], v[244:245], v[158:159], -v[4:5]
	v_add_f64 v[2:3], v[2:3], v[4:5]
	s_waitcnt vmcnt(6) lgkmcnt(2)
	v_mul_f64 v[4:5], v[250:251], v[168:169]
	v_mul_f64 v[24:25], v[248:249], v[168:169]
	s_waitcnt vmcnt(4)
	v_fma_f64 v[4:5], v[248:249], v[170:171], -v[4:5]
	v_fmac_f64_e32 v[24:25], v[250:251], v[170:171]
	v_add_f64 v[2:3], v[2:3], v[4:5]
	s_waitcnt lgkmcnt(1)
	v_mul_f64 v[4:5], v[254:255], v[164:165]
	v_add_f64 v[24:25], v[176:177], v[24:25]
	v_mul_f64 v[176:177], v[252:253], v[164:165]
	v_fma_f64 v[4:5], v[252:253], v[166:167], -v[4:5]
	v_fmac_f64_e32 v[176:177], v[254:255], v[166:167]
	v_add_f64 v[2:3], v[2:3], v[4:5]
	s_waitcnt vmcnt(2) lgkmcnt(0)
	v_mul_f64 v[4:5], v[154:155], v[172:173]
	v_add_f64 v[24:25], v[24:25], v[176:177]
	v_mul_f64 v[176:177], v[152:153], v[172:173]
	s_waitcnt vmcnt(0)
	v_fma_f64 v[4:5], v[152:153], v[174:175], -v[4:5]
	v_fmac_f64_e32 v[176:177], v[154:155], v[174:175]
	v_add_f64 v[2:3], v[2:3], v[4:5]
	v_add_f64 v[24:25], v[24:25], v[176:177]
	v_add_f64 v[2:3], v[20:21], -v[2:3]
	v_add_f64 v[4:5], v[18:19], -v[24:25]
	buffer_store_dword v3, off, s[0:3], 0 offset:20
	buffer_store_dword v2, off, s[0:3], 0 offset:16
	;; [unrolled: 1-line block ×4, first 2 shown]
	s_and_saveexec_b64 s[6:7], vcc
	s_cbranch_execz .LBB89_169
; %bb.168:
	buffer_load_dword v2, off, s[0:3], 0
	buffer_load_dword v3, off, s[0:3], 0 offset:4
	buffer_load_dword v4, off, s[0:3], 0 offset:8
	;; [unrolled: 1-line block ×3, first 2 shown]
	v_mov_b32_e32 v6, 0
	buffer_store_dword v6, off, s[0:3], 0
	buffer_store_dword v6, off, s[0:3], 0 offset:4
	buffer_store_dword v6, off, s[0:3], 0 offset:8
	;; [unrolled: 1-line block ×3, first 2 shown]
	s_waitcnt vmcnt(4)
	ds_write_b128 v150, v[2:5]
.LBB89_169:
	s_or_b64 exec, exec, s[6:7]
	s_waitcnt lgkmcnt(0)
	; wave barrier
	s_waitcnt lgkmcnt(0)
	buffer_load_dword v74, off, s[0:3], 0 offset:16
	buffer_load_dword v75, off, s[0:3], 0 offset:20
	;; [unrolled: 1-line block ×20, first 2 shown]
	buffer_load_dword v86, off, s[0:3], 0
	buffer_load_dword v87, off, s[0:3], 0 offset:4
	buffer_load_dword v84, off, s[0:3], 0 offset:8
	;; [unrolled: 1-line block ×43, first 2 shown]
	v_mov_b32_e32 v179, 0
	ds_read_b128 v[18:21], v179 offset:432
	ds_read_b128 v[14:17], v179 offset:448
	;; [unrolled: 1-line block ×5, first 2 shown]
	s_and_b64 vcc, exec, s[18:19]
	s_waitcnt vmcnt(60) lgkmcnt(4)
	v_mul_f64 v[24:25], v[18:19], v[78:79]
	v_fmac_f64_e32 v[24:25], v[20:21], v[74:75]
	v_add_f64 v[24:25], v[24:25], 0
	v_mul_f64 v[20:21], v[20:21], v[78:79]
	s_waitcnt vmcnt(56) lgkmcnt(3)
	v_mul_f64 v[138:139], v[14:15], v[80:81]
	v_fmac_f64_e32 v[138:139], v[16:17], v[76:77]
	s_waitcnt vmcnt(54) lgkmcnt(2)
	v_mul_f64 v[140:141], v[10:11], v[82:83]
	v_add_f64 v[24:25], v[24:25], v[138:139]
	v_fma_f64 v[18:19], v[18:19], v[74:75], -v[20:21]
	v_mul_f64 v[16:17], v[16:17], v[80:81]
	s_waitcnt vmcnt(50) lgkmcnt(1)
	v_mul_f64 v[154:155], v[6:7], v[92:93]
	v_add_f64 v[18:19], v[18:19], 0
	s_waitcnt vmcnt(48)
	v_fmac_f64_e32 v[140:141], v[12:13], v[96:97]
	v_add_f64 v[24:25], v[24:25], v[140:141]
	buffer_load_dword v139, off, s[0:3], 0 offset:284
	buffer_load_dword v138, off, s[0:3], 0 offset:280
	;; [unrolled: 1-line block ×40, first 2 shown]
	ds_read_b128 v[180:183], v179 offset:512
	ds_read_b128 v[184:187], v179 offset:528
	s_waitcnt vmcnt(62)
	v_fmac_f64_e32 v[154:155], v[8:9], v[94:95]
	v_add_f64 v[24:25], v[24:25], v[154:155]
	s_waitcnt lgkmcnt(2)
	v_mul_f64 v[154:155], v[2:3], v[88:89]
	v_fma_f64 v[14:15], v[14:15], v[76:77], -v[16:17]
	v_mul_f64 v[12:13], v[12:13], v[82:83]
	v_fmac_f64_e32 v[154:155], v[4:5], v[90:91]
	ds_read_b128 v[188:191], v179 offset:544
	ds_read_b128 v[192:195], v179 offset:560
	v_add_f64 v[14:15], v[18:19], v[14:15]
	v_fma_f64 v[10:11], v[10:11], v[96:97], -v[12:13]
	v_mul_f64 v[8:9], v[8:9], v[92:93]
	v_add_f64 v[24:25], v[24:25], v[154:155]
	s_waitcnt lgkmcnt(3)
	v_mul_f64 v[154:155], v[180:181], v[102:103]
	v_add_f64 v[10:11], v[14:15], v[10:11]
	v_fma_f64 v[6:7], v[6:7], v[94:95], -v[8:9]
	v_mul_f64 v[4:5], v[4:5], v[88:89]
	v_fmac_f64_e32 v[154:155], v[182:183], v[104:105]
	v_add_f64 v[6:7], v[10:11], v[6:7]
	v_fma_f64 v[2:3], v[2:3], v[90:91], -v[4:5]
	v_mul_f64 v[4:5], v[182:183], v[102:103]
	v_add_f64 v[24:25], v[24:25], v[154:155]
	s_waitcnt lgkmcnt(2)
	v_mul_f64 v[154:155], v[184:185], v[98:99]
	v_add_f64 v[2:3], v[6:7], v[2:3]
	v_fma_f64 v[4:5], v[180:181], v[104:105], -v[4:5]
	v_fmac_f64_e32 v[154:155], v[186:187], v[100:101]
	ds_read_b128 v[196:199], v179 offset:576
	ds_read_b128 v[200:203], v179 offset:592
	v_add_f64 v[2:3], v[2:3], v[4:5]
	v_mul_f64 v[4:5], v[186:187], v[98:99]
	v_add_f64 v[24:25], v[24:25], v[154:155]
	s_waitcnt lgkmcnt(3)
	v_mul_f64 v[154:155], v[188:189], v[110:111]
	v_fma_f64 v[4:5], v[184:185], v[100:101], -v[4:5]
	v_fmac_f64_e32 v[154:155], v[190:191], v[112:113]
	v_add_f64 v[2:3], v[2:3], v[4:5]
	v_mul_f64 v[4:5], v[190:191], v[110:111]
	v_add_f64 v[24:25], v[24:25], v[154:155]
	s_waitcnt lgkmcnt(2)
	v_mul_f64 v[154:155], v[192:193], v[106:107]
	v_fma_f64 v[4:5], v[188:189], v[112:113], -v[4:5]
	v_fmac_f64_e32 v[154:155], v[194:195], v[108:109]
	ds_read_b128 v[204:207], v179 offset:608
	ds_read_b128 v[208:211], v179 offset:624
	v_add_f64 v[2:3], v[2:3], v[4:5]
	v_mul_f64 v[4:5], v[194:195], v[106:107]
	v_add_f64 v[24:25], v[24:25], v[154:155]
	s_waitcnt vmcnt(58) lgkmcnt(3)
	v_mul_f64 v[154:155], v[196:197], v[118:119]
	v_fma_f64 v[4:5], v[192:193], v[108:109], -v[4:5]
	s_waitcnt vmcnt(56)
	v_fmac_f64_e32 v[154:155], v[198:199], v[120:121]
	v_add_f64 v[2:3], v[2:3], v[4:5]
	v_mul_f64 v[4:5], v[198:199], v[118:119]
	v_add_f64 v[24:25], v[24:25], v[154:155]
	s_waitcnt lgkmcnt(2)
	v_mul_f64 v[154:155], v[200:201], v[114:115]
	v_fma_f64 v[4:5], v[196:197], v[120:121], -v[4:5]
	v_fmac_f64_e32 v[154:155], v[202:203], v[116:117]
	ds_read_b128 v[212:215], v179 offset:640
	ds_read_b128 v[216:219], v179 offset:656
	v_add_f64 v[2:3], v[2:3], v[4:5]
	v_mul_f64 v[4:5], v[202:203], v[114:115]
	v_add_f64 v[24:25], v[24:25], v[154:155]
	s_waitcnt vmcnt(50) lgkmcnt(3)
	v_mul_f64 v[154:155], v[204:205], v[126:127]
	v_fma_f64 v[4:5], v[200:201], v[116:117], -v[4:5]
	s_waitcnt vmcnt(48)
	;; [unrolled: 17-line block ×6, first 2 shown]
	v_fmac_f64_e32 v[154:155], v[238:239], v[164:165]
	v_add_f64 v[2:3], v[2:3], v[4:5]
	v_mul_f64 v[4:5], v[238:239], v[162:163]
	v_add_f64 v[24:25], v[24:25], v[154:155]
	s_waitcnt lgkmcnt(2)
	v_mul_f64 v[154:155], v[240:241], v[158:159]
	v_fma_f64 v[4:5], v[236:237], v[164:165], -v[4:5]
	v_fmac_f64_e32 v[154:155], v[242:243], v[160:161]
	v_add_f64 v[2:3], v[2:3], v[4:5]
	v_mul_f64 v[4:5], v[242:243], v[158:159]
	v_add_f64 v[24:25], v[24:25], v[154:155]
	s_waitcnt vmcnt(10) lgkmcnt(1)
	v_mul_f64 v[154:155], v[244:245], v[170:171]
	ds_read_b128 v[252:255], v179 offset:800
	v_fma_f64 v[4:5], v[240:241], v[160:161], -v[4:5]
	s_waitcnt vmcnt(8)
	v_fmac_f64_e32 v[154:155], v[246:247], v[172:173]
	v_add_f64 v[2:3], v[2:3], v[4:5]
	v_mul_f64 v[4:5], v[246:247], v[170:171]
	v_add_f64 v[24:25], v[24:25], v[154:155]
	ds_read_b128 v[154:157], v179 offset:816
	v_fma_f64 v[4:5], v[244:245], v[172:173], -v[4:5]
	v_add_f64 v[2:3], v[2:3], v[4:5]
	s_waitcnt lgkmcnt(2)
	v_mul_f64 v[4:5], v[250:251], v[166:167]
	v_mul_f64 v[30:31], v[248:249], v[166:167]
	v_fma_f64 v[4:5], v[248:249], v[168:169], -v[4:5]
	v_fmac_f64_e32 v[30:31], v[250:251], v[168:169]
	v_add_f64 v[2:3], v[2:3], v[4:5]
	s_waitcnt vmcnt(2) lgkmcnt(1)
	v_mul_f64 v[4:5], v[254:255], v[26:27]
	v_add_f64 v[24:25], v[24:25], v[30:31]
	v_mul_f64 v[30:31], v[252:253], v[26:27]
	s_waitcnt vmcnt(0)
	v_fma_f64 v[4:5], v[252:253], v[28:29], -v[4:5]
	v_fmac_f64_e32 v[30:31], v[254:255], v[28:29]
	v_add_f64 v[2:3], v[2:3], v[4:5]
	s_waitcnt lgkmcnt(0)
	v_mul_f64 v[4:5], v[156:157], v[174:175]
	v_add_f64 v[24:25], v[24:25], v[30:31]
	v_mul_f64 v[30:31], v[154:155], v[174:175]
	v_fma_f64 v[4:5], v[154:155], v[176:177], -v[4:5]
	v_fmac_f64_e32 v[30:31], v[156:157], v[176:177]
	v_add_f64 v[2:3], v[2:3], v[4:5]
	v_add_f64 v[24:25], v[24:25], v[30:31]
	v_add_f64 v[2:3], v[86:87], -v[2:3]
	v_add_f64 v[4:5], v[84:85], -v[24:25]
	buffer_store_dword v3, off, s[0:3], 0 offset:4
	buffer_store_dword v2, off, s[0:3], 0
	buffer_store_dword v5, off, s[0:3], 0 offset:12
	buffer_store_dword v4, off, s[0:3], 0 offset:8
	s_cbranch_vccz .LBB89_221
; %bb.170:
	v_pk_mov_b32 v[2:3], s[16:17], s[16:17] op_sel:[0,1]
	flat_load_dword v2, v[2:3] offset:96
	s_load_dwordx2 s[4:5], s[4:5], 0x4
	v_bfe_u32 v4, v0, 10, 10
	v_bfe_u32 v0, v0, 20, 10
	s_waitcnt lgkmcnt(0)
	s_lshr_b32 s4, s4, 16
	s_mul_i32 s4, s4, s5
	v_mul_u32_u24_e32 v3, s4, v178
	v_mul_u32_u24_e32 v4, s5, v4
	v_add3_u32 v0, v3, v4, v0
	v_mov_b32_e32 v3, 0x348
	v_lshl_add_u32 v0, v0, 4, v3
	s_waitcnt vmcnt(0)
	v_add_u32_e32 v2, -1, v2
	v_cmp_ne_u32_e32 vcc, 24, v2
	s_and_saveexec_b64 s[4:5], vcc
	s_cbranch_execz .LBB89_172
; %bb.171:
	v_mov_b32_e32 v3, 0
	v_accvgpr_read_b32 v11, a9
	v_lshl_add_u32 v6, v2, 4, v3
	buffer_load_dword v2, v11, s[0:3], 0 offen
	buffer_load_dword v3, v11, s[0:3], 0 offen offset:4
	buffer_load_dword v4, v11, s[0:3], 0 offen offset:8
	buffer_load_dword v5, v11, s[0:3], 0 offen offset:12
	buffer_load_dword v7, v6, s[0:3], 0 offen
	buffer_load_dword v8, v6, s[0:3], 0 offen offset:4
	buffer_load_dword v9, v6, s[0:3], 0 offen offset:8
	buffer_load_dword v10, v6, s[0:3], 0 offen offset:12
	s_waitcnt vmcnt(4)
	ds_write2_b64 v0, v[2:3], v[4:5] offset1:1
	s_waitcnt vmcnt(3)
	buffer_store_dword v7, v11, s[0:3], 0 offen
	s_waitcnt vmcnt(3)
	buffer_store_dword v8, v11, s[0:3], 0 offen offset:4
	s_waitcnt vmcnt(3)
	buffer_store_dword v9, v11, s[0:3], 0 offen offset:8
	s_waitcnt vmcnt(3)
	buffer_store_dword v10, v11, s[0:3], 0 offen offset:12
	buffer_store_dword v5, v6, s[0:3], 0 offen offset:12
	buffer_store_dword v4, v6, s[0:3], 0 offen offset:8
	buffer_store_dword v3, v6, s[0:3], 0 offen offset:4
	buffer_store_dword v2, v6, s[0:3], 0 offen
.LBB89_172:
	s_or_b64 exec, exec, s[4:5]
	v_pk_mov_b32 v[2:3], s[16:17], s[16:17] op_sel:[0,1]
	flat_load_dword v2, v[2:3] offset:92
	s_waitcnt vmcnt(0) lgkmcnt(0)
	v_add_u32_e32 v2, -1, v2
	v_cmp_ne_u32_e32 vcc, 23, v2
	s_and_saveexec_b64 s[4:5], vcc
	s_cbranch_execz .LBB89_174
; %bb.173:
	v_mov_b32_e32 v3, 0
	v_accvgpr_read_b32 v11, a10
	v_lshl_add_u32 v6, v2, 4, v3
	buffer_load_dword v2, v11, s[0:3], 0 offen
	buffer_load_dword v3, v11, s[0:3], 0 offen offset:4
	buffer_load_dword v4, v11, s[0:3], 0 offen offset:8
	buffer_load_dword v5, v11, s[0:3], 0 offen offset:12
	buffer_load_dword v7, v6, s[0:3], 0 offen
	buffer_load_dword v8, v6, s[0:3], 0 offen offset:4
	buffer_load_dword v9, v6, s[0:3], 0 offen offset:8
	buffer_load_dword v10, v6, s[0:3], 0 offen offset:12
	s_waitcnt vmcnt(4)
	ds_write2_b64 v0, v[2:3], v[4:5] offset1:1
	s_waitcnt vmcnt(3)
	buffer_store_dword v7, v11, s[0:3], 0 offen
	s_waitcnt vmcnt(3)
	buffer_store_dword v8, v11, s[0:3], 0 offen offset:4
	s_waitcnt vmcnt(3)
	buffer_store_dword v9, v11, s[0:3], 0 offen offset:8
	s_waitcnt vmcnt(3)
	buffer_store_dword v10, v11, s[0:3], 0 offen offset:12
	buffer_store_dword v5, v6, s[0:3], 0 offen offset:12
	buffer_store_dword v4, v6, s[0:3], 0 offen offset:8
	buffer_store_dword v3, v6, s[0:3], 0 offen offset:4
	buffer_store_dword v2, v6, s[0:3], 0 offen
.LBB89_174:
	s_or_b64 exec, exec, s[4:5]
	v_pk_mov_b32 v[2:3], s[16:17], s[16:17] op_sel:[0,1]
	flat_load_dword v2, v[2:3] offset:88
	s_waitcnt vmcnt(0) lgkmcnt(0)
	;; [unrolled: 35-line block ×22, first 2 shown]
	v_add_u32_e32 v2, -1, v2
	v_cmp_ne_u32_e32 vcc, 2, v2
	s_and_saveexec_b64 s[4:5], vcc
	s_cbranch_execz .LBB89_216
; %bb.215:
	v_mov_b32_e32 v3, 0
	v_lshl_add_u32 v6, v2, 4, v3
	buffer_load_dword v2, v1, s[0:3], 0 offen
	buffer_load_dword v3, v1, s[0:3], 0 offen offset:4
	buffer_load_dword v4, v1, s[0:3], 0 offen offset:8
	;; [unrolled: 1-line block ×3, first 2 shown]
	buffer_load_dword v7, v6, s[0:3], 0 offen
	buffer_load_dword v8, v6, s[0:3], 0 offen offset:4
	buffer_load_dword v9, v6, s[0:3], 0 offen offset:8
	;; [unrolled: 1-line block ×3, first 2 shown]
	s_waitcnt vmcnt(4)
	ds_write2_b64 v0, v[2:3], v[4:5] offset1:1
	s_waitcnt vmcnt(3)
	buffer_store_dword v7, v1, s[0:3], 0 offen
	s_waitcnt vmcnt(3)
	buffer_store_dword v8, v1, s[0:3], 0 offen offset:4
	s_waitcnt vmcnt(3)
	buffer_store_dword v9, v1, s[0:3], 0 offen offset:8
	;; [unrolled: 2-line block ×3, first 2 shown]
	buffer_store_dword v5, v6, s[0:3], 0 offen offset:12
	buffer_store_dword v4, v6, s[0:3], 0 offen offset:8
	;; [unrolled: 1-line block ×3, first 2 shown]
	buffer_store_dword v2, v6, s[0:3], 0 offen
.LBB89_216:
	s_or_b64 exec, exec, s[4:5]
	v_pk_mov_b32 v[2:3], s[16:17], s[16:17] op_sel:[0,1]
	flat_load_dword v2, v[2:3] offset:4
	s_waitcnt vmcnt(0) lgkmcnt(0)
	v_add_u32_e32 v2, -1, v2
	v_cmp_ne_u32_e32 vcc, 1, v2
	s_and_saveexec_b64 s[4:5], vcc
	s_cbranch_execz .LBB89_218
; %bb.217:
	v_mov_b32_e32 v3, 0
	v_accvgpr_read_b32 v11, a30
	v_lshl_add_u32 v6, v2, 4, v3
	buffer_load_dword v2, v11, s[0:3], 0 offen
	buffer_load_dword v3, v11, s[0:3], 0 offen offset:4
	buffer_load_dword v4, v11, s[0:3], 0 offen offset:8
	;; [unrolled: 1-line block ×3, first 2 shown]
	buffer_load_dword v7, v6, s[0:3], 0 offen
	buffer_load_dword v8, v6, s[0:3], 0 offen offset:4
	buffer_load_dword v9, v6, s[0:3], 0 offen offset:8
	;; [unrolled: 1-line block ×3, first 2 shown]
	s_waitcnt vmcnt(4)
	ds_write2_b64 v0, v[2:3], v[4:5] offset1:1
	s_waitcnt vmcnt(3)
	buffer_store_dword v7, v11, s[0:3], 0 offen
	s_waitcnt vmcnt(3)
	buffer_store_dword v8, v11, s[0:3], 0 offen offset:4
	s_waitcnt vmcnt(3)
	buffer_store_dword v9, v11, s[0:3], 0 offen offset:8
	;; [unrolled: 2-line block ×3, first 2 shown]
	buffer_store_dword v5, v6, s[0:3], 0 offen offset:12
	buffer_store_dword v4, v6, s[0:3], 0 offen offset:8
	;; [unrolled: 1-line block ×3, first 2 shown]
	buffer_store_dword v2, v6, s[0:3], 0 offen
.LBB89_218:
	s_or_b64 exec, exec, s[4:5]
	v_pk_mov_b32 v[2:3], s[16:17], s[16:17] op_sel:[0,1]
	flat_load_dword v2, v[2:3]
	s_waitcnt vmcnt(0) lgkmcnt(0)
	v_add_u32_e32 v2, -1, v2
	v_cmp_ne_u32_e32 vcc, 0, v2
	s_and_saveexec_b64 s[4:5], vcc
	s_cbranch_execz .LBB89_220
; %bb.219:
	v_mov_b32_e32 v3, 0
	v_lshl_add_u32 v6, v2, 4, v3
	buffer_load_dword v2, off, s[0:3], 0
	buffer_load_dword v3, off, s[0:3], 0 offset:4
	buffer_load_dword v4, off, s[0:3], 0 offset:8
	;; [unrolled: 1-line block ×3, first 2 shown]
	buffer_load_dword v7, v6, s[0:3], 0 offen
	buffer_load_dword v8, v6, s[0:3], 0 offen offset:4
	buffer_load_dword v9, v6, s[0:3], 0 offen offset:8
	;; [unrolled: 1-line block ×3, first 2 shown]
	s_waitcnt vmcnt(4)
	ds_write2_b64 v0, v[2:3], v[4:5] offset1:1
	s_waitcnt vmcnt(3)
	buffer_store_dword v7, off, s[0:3], 0
	s_waitcnt vmcnt(3)
	buffer_store_dword v8, off, s[0:3], 0 offset:4
	s_waitcnt vmcnt(3)
	buffer_store_dword v9, off, s[0:3], 0 offset:8
	;; [unrolled: 2-line block ×3, first 2 shown]
	buffer_store_dword v5, v6, s[0:3], 0 offen offset:12
	buffer_store_dword v4, v6, s[0:3], 0 offen offset:8
	;; [unrolled: 1-line block ×3, first 2 shown]
	buffer_store_dword v2, v6, s[0:3], 0 offen
.LBB89_220:
	s_or_b64 exec, exec, s[4:5]
.LBB89_221:
	v_accvgpr_read_b32 v21, a30
	v_accvgpr_read_b32 v24, a31
	;; [unrolled: 1-line block ×3, first 2 shown]
	buffer_load_dword v2, off, s[0:3], 0
	buffer_load_dword v3, off, s[0:3], 0 offset:4
	buffer_load_dword v4, off, s[0:3], 0 offset:8
	;; [unrolled: 1-line block ×3, first 2 shown]
	buffer_load_dword v7, v21, s[0:3], 0 offen offset:4
	buffer_load_dword v8, v21, s[0:3], 0 offen offset:8
	;; [unrolled: 1-line block ×3, first 2 shown]
	buffer_load_dword v10, v1, s[0:3], 0 offen
	buffer_load_dword v11, v1, s[0:3], 0 offen offset:4
	buffer_load_dword v12, v1, s[0:3], 0 offen offset:8
	buffer_load_dword v6, v21, s[0:3], 0 offen
	buffer_load_dword v13, v1, s[0:3], 0 offen offset:12
	buffer_load_dword v15, v24, s[0:3], 0 offen offset:4
	;; [unrolled: 1-line block ×4, first 2 shown]
	buffer_load_dword v18, v0, s[0:3], 0 offen
	buffer_load_dword v19, v0, s[0:3], 0 offen offset:4
	buffer_load_dword v20, v0, s[0:3], 0 offen offset:8
	buffer_load_dword v14, v24, s[0:3], 0 offen
                                        ; kill: killed $vgpr21
                                        ; kill: killed $vgpr24
                                        ; kill: killed $vgpr1
	s_nop 0
	buffer_load_dword v21, v0, s[0:3], 0 offen offset:12
	v_accvgpr_read_b32 v25, a29
	v_accvgpr_read_b32 v24, a28
	;; [unrolled: 1-line block ×4, first 2 shown]
	buffer_load_dword v75, v25, s[0:3], 0 offen offset:4
	buffer_load_dword v76, v25, s[0:3], 0 offen offset:8
	;; [unrolled: 1-line block ×3, first 2 shown]
	buffer_load_dword v78, v24, s[0:3], 0 offen
	buffer_load_dword v79, v24, s[0:3], 0 offen offset:4
	buffer_load_dword v80, v24, s[0:3], 0 offen offset:8
	buffer_load_dword v74, v25, s[0:3], 0 offen
	buffer_load_dword v81, v24, s[0:3], 0 offen offset:12
	buffer_load_dword v83, v1, s[0:3], 0 offen offset:4
	;; [unrolled: 1-line block ×4, first 2 shown]
	buffer_load_dword v86, v26, s[0:3], 0 offen
	buffer_load_dword v87, v26, s[0:3], 0 offen offset:4
	buffer_load_dword v88, v26, s[0:3], 0 offen offset:8
                                        ; kill: killed $vgpr25
                                        ; kill: killed $vgpr0
                                        ; kill: killed $vgpr24
	buffer_load_dword v82, v1, s[0:3], 0 offen
	buffer_load_dword v89, v26, s[0:3], 0 offen offset:12
	v_accvgpr_read_b32 v25, a24
	v_accvgpr_read_b32 v27, a26
	v_accvgpr_read_b32 v0, a19
	v_accvgpr_read_b32 v24, a20
	buffer_load_dword v91, v25, s[0:3], 0 offen offset:4
	buffer_load_dword v92, v25, s[0:3], 0 offen offset:8
	;; [unrolled: 1-line block ×3, first 2 shown]
	buffer_load_dword v94, v27, s[0:3], 0 offen
	buffer_load_dword v95, v27, s[0:3], 0 offen offset:4
	buffer_load_dword v96, v27, s[0:3], 0 offen offset:8
	buffer_load_dword v90, v25, s[0:3], 0 offen
	buffer_load_dword v97, v27, s[0:3], 0 offen offset:12
	buffer_load_dword v99, v0, s[0:3], 0 offen offset:4
	;; [unrolled: 1-line block ×4, first 2 shown]
	buffer_load_dword v102, v24, s[0:3], 0 offen
	buffer_load_dword v103, v24, s[0:3], 0 offen offset:4
                                        ; kill: killed $vgpr26
                                        ; kill: killed $vgpr27
                                        ; kill: killed $vgpr1
                                        ; kill: killed $vgpr25
	buffer_load_dword v104, v24, s[0:3], 0 offen offset:8
	buffer_load_dword v98, v0, s[0:3], 0 offen
	buffer_load_dword v105, v24, s[0:3], 0 offen offset:12
	v_accvgpr_read_b32 v26, a22
	v_accvgpr_read_b32 v25, a21
	v_accvgpr_read_b32 v1, a18
	buffer_load_dword v107, v26, s[0:3], 0 offen offset:4
	buffer_load_dword v108, v26, s[0:3], 0 offen offset:8
	;; [unrolled: 1-line block ×3, first 2 shown]
	buffer_load_dword v110, v25, s[0:3], 0 offen
	buffer_load_dword v111, v25, s[0:3], 0 offen offset:4
	buffer_load_dword v112, v25, s[0:3], 0 offen offset:8
	buffer_load_dword v106, v26, s[0:3], 0 offen
	buffer_load_dword v113, v25, s[0:3], 0 offen offset:12
	buffer_load_dword v115, v1, s[0:3], 0 offen offset:4
                                        ; kill: killed $vgpr26
                                        ; kill: killed $vgpr24
                                        ; kill: killed $vgpr25
                                        ; kill: killed $vgpr0
	buffer_load_dword v116, v1, s[0:3], 0 offen offset:8
	buffer_load_dword v117, v1, s[0:3], 0 offen offset:12
	v_accvgpr_read_b32 v0, a17
	buffer_load_dword v118, v0, s[0:3], 0 offen
	buffer_load_dword v119, v0, s[0:3], 0 offen offset:4
	buffer_load_dword v120, v0, s[0:3], 0 offen offset:8
	buffer_load_dword v114, v1, s[0:3], 0 offen
	buffer_load_dword v121, v0, s[0:3], 0 offen offset:12
	v_accvgpr_read_b32 v1, a16
	v_accvgpr_read_b32 v0, a15
	buffer_load_dword v123, v1, s[0:3], 0 offen offset:4
	buffer_load_dword v124, v1, s[0:3], 0 offen offset:8
	buffer_load_dword v125, v1, s[0:3], 0 offen offset:12
	buffer_load_dword v126, v0, s[0:3], 0 offen
	buffer_load_dword v127, v0, s[0:3], 0 offen offset:4
	buffer_load_dword v128, v0, s[0:3], 0 offen offset:8
	buffer_load_dword v122, v1, s[0:3], 0 offen
	buffer_load_dword v129, v0, s[0:3], 0 offen offset:12
	v_accvgpr_read_b32 v1, a14
	v_accvgpr_read_b32 v0, a13
	buffer_load_dword v131, v1, s[0:3], 0 offen offset:4
	buffer_load_dword v132, v1, s[0:3], 0 offen offset:8
	buffer_load_dword v133, v1, s[0:3], 0 offen offset:12
	;; [unrolled: 10-line block ×4, first 2 shown]
	buffer_load_dword v150, v0, s[0:3], 0 offen
	buffer_load_dword v151, v0, s[0:3], 0 offen offset:4
	buffer_load_dword v152, v0, s[0:3], 0 offen offset:8
	buffer_load_dword v146, v1, s[0:3], 0 offen
	buffer_load_dword v153, v0, s[0:3], 0 offen offset:12
	v_accvgpr_read_b32 v0, a8
	buffer_load_dword v154, v0, s[0:3], 0 offen
	buffer_load_dword v155, v0, s[0:3], 0 offen offset:4
	buffer_load_dword v156, v0, s[0:3], 0 offen offset:8
	;; [unrolled: 1-line block ×3, first 2 shown]
	v_accvgpr_read_b32 v0, a2
	v_accvgpr_read_b32 v1, a3
	s_waitcnt vmcnt(62)
	global_store_dwordx4 v[22:23], v[2:5], off
	global_store_dwordx4 v[0:1], v[6:9], off
	v_accvgpr_read_b32 v0, a0
	v_accvgpr_read_b32 v1, a1
	global_store_dwordx4 v[0:1], v[10:13], off
	v_accvgpr_read_b32 v0, a4
	v_accvgpr_read_b32 v1, a5
	;; [unrolled: 3-line block ×3, first 2 shown]
	global_store_dwordx4 v[0:1], v[18:21], off
	global_store_dwordx4 v[34:35], v[74:77], off
	;; [unrolled: 1-line block ×5, first 2 shown]
	s_waitcnt vmcnt(62)
	global_store_dwordx4 v[42:43], v[90:93], off
	global_store_dwordx4 v[44:45], v[94:97], off
	;; [unrolled: 1-line block ×3, first 2 shown]
	s_waitcnt vmcnt(62)
	global_store_dwordx4 v[48:49], v[102:105], off
	s_waitcnt vmcnt(58)
	global_store_dwordx4 v[50:51], v[106:109], off
	;; [unrolled: 2-line block ×14, first 2 shown]
	s_endpgm
	.section	.rodata,"a",@progbits
	.p2align	6, 0x0
	.amdhsa_kernel _ZN9rocsolver6v33100L18getri_kernel_smallILi26E19rocblas_complex_numIdEPKPS3_EEvT1_iilPiilS8_bb
		.amdhsa_group_segment_fixed_size 1864
		.amdhsa_private_segment_fixed_size 432
		.amdhsa_kernarg_size 60
		.amdhsa_user_sgpr_count 10
		.amdhsa_user_sgpr_private_segment_buffer 1
		.amdhsa_user_sgpr_dispatch_ptr 1
		.amdhsa_user_sgpr_queue_ptr 0
		.amdhsa_user_sgpr_kernarg_segment_ptr 1
		.amdhsa_user_sgpr_dispatch_id 0
		.amdhsa_user_sgpr_flat_scratch_init 1
		.amdhsa_user_sgpr_kernarg_preload_length 0
		.amdhsa_user_sgpr_kernarg_preload_offset 0
		.amdhsa_user_sgpr_private_segment_size 0
		.amdhsa_uses_dynamic_stack 0
		.amdhsa_system_sgpr_private_segment_wavefront_offset 1
		.amdhsa_system_sgpr_workgroup_id_x 1
		.amdhsa_system_sgpr_workgroup_id_y 0
		.amdhsa_system_sgpr_workgroup_id_z 0
		.amdhsa_system_sgpr_workgroup_info 0
		.amdhsa_system_vgpr_workitem_id 2
		.amdhsa_next_free_vgpr 288
		.amdhsa_next_free_sgpr 24
		.amdhsa_accum_offset 256
		.amdhsa_reserve_vcc 1
		.amdhsa_reserve_flat_scratch 1
		.amdhsa_float_round_mode_32 0
		.amdhsa_float_round_mode_16_64 0
		.amdhsa_float_denorm_mode_32 3
		.amdhsa_float_denorm_mode_16_64 3
		.amdhsa_dx10_clamp 1
		.amdhsa_ieee_mode 1
		.amdhsa_fp16_overflow 0
		.amdhsa_tg_split 0
		.amdhsa_exception_fp_ieee_invalid_op 0
		.amdhsa_exception_fp_denorm_src 0
		.amdhsa_exception_fp_ieee_div_zero 0
		.amdhsa_exception_fp_ieee_overflow 0
		.amdhsa_exception_fp_ieee_underflow 0
		.amdhsa_exception_fp_ieee_inexact 0
		.amdhsa_exception_int_div_zero 0
	.end_amdhsa_kernel
	.section	.text._ZN9rocsolver6v33100L18getri_kernel_smallILi26E19rocblas_complex_numIdEPKPS3_EEvT1_iilPiilS8_bb,"axG",@progbits,_ZN9rocsolver6v33100L18getri_kernel_smallILi26E19rocblas_complex_numIdEPKPS3_EEvT1_iilPiilS8_bb,comdat
.Lfunc_end89:
	.size	_ZN9rocsolver6v33100L18getri_kernel_smallILi26E19rocblas_complex_numIdEPKPS3_EEvT1_iilPiilS8_bb, .Lfunc_end89-_ZN9rocsolver6v33100L18getri_kernel_smallILi26E19rocblas_complex_numIdEPKPS3_EEvT1_iilPiilS8_bb
                                        ; -- End function
	.section	.AMDGPU.csdata,"",@progbits
; Kernel info:
; codeLenInByte = 52416
; NumSgprs: 30
; NumVgprs: 256
; NumAgprs: 32
; TotalNumVgprs: 288
; ScratchSize: 432
; MemoryBound: 0
; FloatMode: 240
; IeeeMode: 1
; LDSByteSize: 1864 bytes/workgroup (compile time only)
; SGPRBlocks: 3
; VGPRBlocks: 35
; NumSGPRsForWavesPerEU: 30
; NumVGPRsForWavesPerEU: 288
; AccumOffset: 256
; Occupancy: 1
; WaveLimiterHint : 1
; COMPUTE_PGM_RSRC2:SCRATCH_EN: 1
; COMPUTE_PGM_RSRC2:USER_SGPR: 10
; COMPUTE_PGM_RSRC2:TRAP_HANDLER: 0
; COMPUTE_PGM_RSRC2:TGID_X_EN: 1
; COMPUTE_PGM_RSRC2:TGID_Y_EN: 0
; COMPUTE_PGM_RSRC2:TGID_Z_EN: 0
; COMPUTE_PGM_RSRC2:TIDIG_COMP_CNT: 2
; COMPUTE_PGM_RSRC3_GFX90A:ACCUM_OFFSET: 63
; COMPUTE_PGM_RSRC3_GFX90A:TG_SPLIT: 0
	.section	.text._ZN9rocsolver6v33100L18getri_kernel_smallILi27E19rocblas_complex_numIdEPKPS3_EEvT1_iilPiilS8_bb,"axG",@progbits,_ZN9rocsolver6v33100L18getri_kernel_smallILi27E19rocblas_complex_numIdEPKPS3_EEvT1_iilPiilS8_bb,comdat
	.globl	_ZN9rocsolver6v33100L18getri_kernel_smallILi27E19rocblas_complex_numIdEPKPS3_EEvT1_iilPiilS8_bb ; -- Begin function _ZN9rocsolver6v33100L18getri_kernel_smallILi27E19rocblas_complex_numIdEPKPS3_EEvT1_iilPiilS8_bb
	.p2align	8
	.type	_ZN9rocsolver6v33100L18getri_kernel_smallILi27E19rocblas_complex_numIdEPKPS3_EEvT1_iilPiilS8_bb,@function
_ZN9rocsolver6v33100L18getri_kernel_smallILi27E19rocblas_complex_numIdEPKPS3_EEvT1_iilPiilS8_bb: ; @_ZN9rocsolver6v33100L18getri_kernel_smallILi27E19rocblas_complex_numIdEPKPS3_EEvT1_iilPiilS8_bb
; %bb.0:
	s_add_u32 flat_scratch_lo, s8, s11
	s_addc_u32 flat_scratch_hi, s9, 0
	s_add_u32 s0, s0, s11
	v_and_b32_e32 v193, 0x3ff, v0
	s_addc_u32 s1, s1, 0
	v_cmp_gt_u32_e32 vcc, 27, v193
	s_and_saveexec_b64 s[8:9], vcc
	s_cbranch_execz .LBB90_122
; %bb.1:
	s_load_dword s20, s[6:7], 0x38
	s_load_dwordx2 s[8:9], s[6:7], 0x0
	s_load_dwordx4 s[12:15], s[6:7], 0x28
	s_waitcnt lgkmcnt(0)
	s_bitcmp1_b32 s20, 8
	s_cselect_b64 s[18:19], -1, 0
	s_ashr_i32 s11, s10, 31
	s_lshl_b64 s[16:17], s[10:11], 3
	s_add_u32 s8, s8, s16
	s_addc_u32 s9, s9, s17
	s_load_dwordx2 s[8:9], s[8:9], 0x0
	s_bfe_u32 s16, s20, 0x10008
	s_cmp_eq_u32 s16, 0
                                        ; implicit-def: $sgpr16_sgpr17
	s_cbranch_scc1 .LBB90_3
; %bb.2:
	s_load_dword s16, s[6:7], 0x20
	s_load_dwordx2 s[22:23], s[6:7], 0x18
	s_mul_i32 s13, s10, s13
	s_mul_hi_u32 s17, s10, s12
	s_add_i32 s13, s17, s13
	s_mul_i32 s21, s11, s12
	s_add_i32 s13, s13, s21
	s_mul_i32 s12, s10, s12
	s_waitcnt lgkmcnt(0)
	s_ashr_i32 s17, s16, 31
	s_lshl_b64 s[12:13], s[12:13], 2
	s_add_u32 s21, s22, s12
	s_addc_u32 s22, s23, s13
	s_lshl_b64 s[12:13], s[16:17], 2
	s_add_u32 s16, s21, s12
	s_addc_u32 s17, s22, s13
.LBB90_3:
	s_load_dwordx2 s[6:7], s[6:7], 0x8
	v_lshlrev_b32_e32 v100, 4, v193
	s_waitcnt lgkmcnt(0)
	s_ashr_i32 s13, s6, 31
	s_mov_b32 s12, s6
	s_lshl_b64 s[12:13], s[12:13], 4
	s_add_u32 s8, s8, s12
	s_addc_u32 s9, s9, s13
	v_mov_b32_e32 v1, s9
	v_add_co_u32_e32 v46, vcc, s8, v100
	s_ashr_i32 s13, s7, 31
	s_mov_b32 s12, s7
	s_add_i32 s6, s7, s7
	v_addc_co_u32_e32 v47, vcc, 0, v1, vcc
	s_lshl_b64 s[12:13], s[12:13], 4
	v_add_u32_e32 v2, s6, v193
	v_mov_b32_e32 v1, s13
	v_add_co_u32_e32 v10, vcc, s12, v46
	v_ashrrev_i32_e32 v3, 31, v2
	v_addc_co_u32_e32 v11, vcc, v47, v1, vcc
	v_lshlrev_b64 v[4:5], 4, v[2:3]
	global_load_dwordx4 v[6:9], v100, s[8:9]
	v_mov_b32_e32 v1, s9
	v_add_co_u32_e32 v4, vcc, s8, v4
	v_add_u32_e32 v2, s7, v2
	v_addc_co_u32_e32 v5, vcc, v1, v5, vcc
	v_accvgpr_write_b32 a2, v4
	v_ashrrev_i32_e32 v3, 31, v2
	v_accvgpr_write_b32 a3, v5
	global_load_dwordx4 v[14:17], v[4:5], off
	v_lshlrev_b64 v[4:5], 4, v[2:3]
	v_accvgpr_write_b32 a0, v10
	v_add_co_u32_e32 v4, vcc, s8, v4
	v_add_u32_e32 v2, s7, v2
	v_accvgpr_write_b32 a1, v11
	global_load_dwordx4 v[10:13], v[10:11], off
	v_addc_co_u32_e32 v5, vcc, v1, v5, vcc
	v_accvgpr_write_b32 a4, v4
	v_ashrrev_i32_e32 v3, 31, v2
	v_accvgpr_write_b32 a5, v5
	global_load_dwordx4 v[18:21], v[4:5], off
	v_add_u32_e32 v4, s7, v2
	v_lshlrev_b64 v[2:3], 4, v[2:3]
	v_add_co_u32_e32 v22, vcc, s8, v2
	v_addc_co_u32_e32 v23, vcc, v1, v3, vcc
	v_accvgpr_write_b32 a6, v22
	v_ashrrev_i32_e32 v5, 31, v4
	v_accvgpr_write_b32 a7, v23
	global_load_dwordx4 v[22:25], v[22:23], off
	v_lshlrev_b64 v[2:3], 4, v[4:5]
	v_mov_b32_e32 v26, s9
	v_add_co_u32_e32 v2, vcc, s8, v2
	v_addc_co_u32_e32 v3, vcc, v26, v3, vcc
	global_load_dwordx4 v[26:29], v[2:3], off
	v_add_u32_e32 v30, s7, v4
	v_accvgpr_write_b32 a9, v3
	v_ashrrev_i32_e32 v31, 31, v30
	v_accvgpr_write_b32 a8, v2
	v_lshlrev_b64 v[2:3], 4, v[30:31]
	v_add_co_u32_e32 v2, vcc, s8, v2
	v_addc_co_u32_e32 v3, vcc, v1, v3, vcc
	v_accvgpr_write_b32 a11, v3
	v_accvgpr_write_b32 a10, v2
	global_load_dwordx4 v[2:5], v[2:3], off
	v_add_u32_e32 v30, s7, v30
	v_ashrrev_i32_e32 v31, 31, v30
	v_add_u32_e32 v32, s7, v30
	v_lshlrev_b64 v[30:31], 4, v[30:31]
	v_ashrrev_i32_e32 v33, 31, v32
	v_add_co_u32_e32 v34, vcc, s8, v30
	v_addc_co_u32_e32 v35, vcc, v1, v31, vcc
	v_lshlrev_b64 v[30:31], 4, v[32:33]
	s_waitcnt vmcnt(6)
	buffer_store_dword v9, off, s[0:3], 0 offset:12
	buffer_store_dword v8, off, s[0:3], 0 offset:8
	;; [unrolled: 1-line block ×3, first 2 shown]
	buffer_store_dword v6, off, s[0:3], 0
	s_waitcnt vmcnt(8)
	buffer_store_dword v13, off, s[0:3], 0 offset:28
	buffer_store_dword v12, off, s[0:3], 0 offset:24
	;; [unrolled: 1-line block ×8, first 2 shown]
	s_waitcnt vmcnt(15)
	buffer_store_dword v21, off, s[0:3], 0 offset:60
	buffer_store_dword v20, off, s[0:3], 0 offset:56
	;; [unrolled: 1-line block ×4, first 2 shown]
	v_add_u32_e32 v14, s7, v32
	v_add_co_u32_e32 v10, vcc, s8, v30
	v_ashrrev_i32_e32 v15, 31, v14
	v_addc_co_u32_e32 v11, vcc, v1, v31, vcc
	v_lshlrev_b64 v[16:17], 4, v[14:15]
	v_add_u32_e32 v30, s7, v14
	v_add_co_u32_e32 v16, vcc, s8, v16
	v_ashrrev_i32_e32 v31, 31, v30
	v_addc_co_u32_e32 v17, vcc, v1, v17, vcc
	v_lshlrev_b64 v[14:15], 4, v[30:31]
	;; [unrolled: 5-line block ×3, first 2 shown]
	v_add_u32_e32 v30, s7, v30
	v_accvgpr_write_b32 a15, v11
	v_accvgpr_write_b32 a16, v16
	;; [unrolled: 1-line block ×3, first 2 shown]
	v_add_co_u32_e32 v68, vcc, s8, v32
	v_ashrrev_i32_e32 v31, 31, v30
	global_load_dwordx4 v[6:9], v[34:35], off
	v_accvgpr_write_b32 a14, v10
	global_load_dwordx4 v[10:13], v[10:11], off
	v_accvgpr_write_b32 a17, v17
	;; [unrolled: 2-line block ×3, first 2 shown]
	global_load_dwordx4 v[18:21], v[18:19], off
	v_addc_co_u32_e32 v69, vcc, v1, v33, vcc
	s_waitcnt vmcnt(22)
	buffer_store_dword v25, off, s[0:3], 0 offset:76
	buffer_store_dword v24, off, s[0:3], 0 offset:72
	buffer_store_dword v23, off, s[0:3], 0 offset:68
	buffer_store_dword v22, off, s[0:3], 0 offset:64
	s_waitcnt vmcnt(25)
	buffer_store_dword v29, off, s[0:3], 0 offset:92
	buffer_store_dword v28, off, s[0:3], 0 offset:88
	;; [unrolled: 1-line block ×4, first 2 shown]
	v_lshlrev_b64 v[22:23], 4, v[30:31]
	v_add_u32_e32 v30, s7, v30
	v_add_co_u32_e32 v70, vcc, s8, v22
	v_ashrrev_i32_e32 v31, 31, v30
	v_addc_co_u32_e32 v71, vcc, v1, v23, vcc
	v_lshlrev_b64 v[32:33], 4, v[30:31]
	v_add_u32_e32 v38, s7, v30
	v_add_co_u32_e32 v72, vcc, s8, v32
	v_ashrrev_i32_e32 v39, 31, v38
	v_addc_co_u32_e32 v73, vcc, v1, v33, vcc
	;; [unrolled: 5-line block ×12, first 2 shown]
	v_lshlrev_b64 v[94:95], 4, v[96:97]
	v_accvgpr_write_b32 a12, v34
	global_load_dwordx4 v[22:25], v[68:69], off
	global_load_dwordx4 v[26:29], v[70:71], off
	v_add_co_u32_e32 v94, vcc, s8, v94
	s_waitcnt vmcnt(30)
	buffer_store_dword v5, off, s[0:3], 0 offset:108
	v_accvgpr_write_b32 a13, v35
	global_load_dwordx4 v[30:33], v[72:73], off
	global_load_dwordx4 v[34:37], v[74:75], off
	;; [unrolled: 1-line block ×10, first 2 shown]
	v_addc_co_u32_e32 v95, vcc, v1, v95, vcc
	global_load_dwordx4 v[126:129], v[92:93], off
	global_load_dwordx4 v[130:133], v[94:95], off
	v_add_u32_e32 v98, s7, v96
	v_ashrrev_i32_e32 v99, 31, v98
	v_lshlrev_b64 v[96:97], 4, v[98:99]
	v_add_co_u32_e32 v96, vcc, s8, v96
	v_addc_co_u32_e32 v97, vcc, v1, v97, vcc
	v_add_u32_e32 v98, s7, v98
	v_ashrrev_i32_e32 v99, 31, v98
	global_load_dwordx4 v[134:137], v[96:97], off
	v_lshlrev_b64 v[98:99], 4, v[98:99]
	v_add_co_u32_e32 v98, vcc, s8, v98
	v_addc_co_u32_e32 v99, vcc, v1, v99, vcc
	global_load_dwordx4 v[138:141], v[98:99], off
	v_mov_b32_e32 v1, 0
	buffer_store_dword v4, off, s[0:3], 0 offset:104
	buffer_store_dword v3, off, s[0:3], 0 offset:100
	buffer_store_dword v2, off, s[0:3], 0 offset:96
	s_waitcnt vmcnt(31)
	buffer_store_dword v9, off, s[0:3], 0 offset:124
	buffer_store_dword v8, off, s[0:3], 0 offset:120
	buffer_store_dword v7, off, s[0:3], 0 offset:116
	buffer_store_dword v6, off, s[0:3], 0 offset:112
	s_waitcnt vmcnt(34)
	buffer_store_dword v13, off, s[0:3], 0 offset:140
	;; [unrolled: 5-line block ×15, first 2 shown]
	buffer_store_dword v120, off, s[0:3], 0 offset:344
	buffer_store_dword v119, off, s[0:3], 0 offset:340
	;; [unrolled: 1-line block ×11, first 2 shown]
	s_waitcnt vmcnt(62)
	buffer_store_dword v133, off, s[0:3], 0 offset:396
	buffer_store_dword v132, off, s[0:3], 0 offset:392
	;; [unrolled: 1-line block ×12, first 2 shown]
	v_add_u32_e32 v2, 16, v1
	v_accvgpr_write_b32 a43, v2
	v_add_u32_e32 v2, 48, v1
	v_accvgpr_write_b32 a44, v2
	;; [unrolled: 2-line block ×22, first 2 shown]
	v_add_u32_e32 v2, 0x180, v1
	v_add_u32_e32 v192, 32, v1
	v_accvgpr_write_b32 a22, v2
	v_add_u32_e32 v2, 0x190, v1
	v_add_u32_e32 v1, 0x1a0, v1
	v_accvgpr_write_b32 a21, v2
	v_accvgpr_write_b32 a20, v1
	s_bitcmp0_b32 s20, 0
	s_mov_b64 s[8:9], -1
	s_cbranch_scc1 .LBB90_120
; %bb.4:
	v_cmp_eq_u32_e64 s[6:7], 0, v193
	s_and_saveexec_b64 s[8:9], s[6:7]
	s_cbranch_execz .LBB90_6
; %bb.5:
	v_mov_b32_e32 v1, 0
	ds_write_b32 v1, v1 offset:864
.LBB90_6:
	s_or_b64 exec, exec, s[8:9]
	v_mov_b32_e32 v1, 0
	v_lshl_add_u32 v12, v193, 4, v1
	s_waitcnt lgkmcnt(0)
	; wave barrier
	s_waitcnt lgkmcnt(0)
	buffer_load_dword v2, v12, s[0:3], 0 offen
	buffer_load_dword v3, v12, s[0:3], 0 offen offset:4
	buffer_load_dword v4, v12, s[0:3], 0 offen offset:8
	;; [unrolled: 1-line block ×3, first 2 shown]
	s_waitcnt vmcnt(2)
	v_cmp_eq_f64_e32 vcc, 0, v[2:3]
	s_waitcnt vmcnt(0)
	v_cmp_eq_f64_e64 s[8:9], 0, v[4:5]
	s_and_b64 s[8:9], vcc, s[8:9]
	s_and_saveexec_b64 s[12:13], s[8:9]
	s_cbranch_execz .LBB90_10
; %bb.7:
	v_mov_b32_e32 v2, 0
	ds_read_b32 v1, v2 offset:864
	v_add_u32_e32 v3, 1, v193
	s_waitcnt lgkmcnt(0)
	v_readfirstlane_b32 s8, v1
	s_cmp_eq_u32 s8, 0
	s_cselect_b64 s[20:21], -1, 0
	v_cmp_gt_i32_e32 vcc, s8, v3
	s_or_b64 s[20:21], s[20:21], vcc
	s_and_b64 exec, exec, s[20:21]
	s_cbranch_execz .LBB90_10
; %bb.8:
	s_mov_b64 s[20:21], 0
	v_mov_b32_e32 v4, s8
.LBB90_9:                               ; =>This Inner Loop Header: Depth=1
	ds_cmpst_rtn_b32 v4, v2, v4, v3 offset:864
	s_waitcnt lgkmcnt(0)
	v_cmp_ne_u32_e32 vcc, 0, v4
	v_cmp_le_i32_e64 s[8:9], v4, v3
	s_and_b64 s[8:9], vcc, s[8:9]
	s_and_b64 s[8:9], exec, s[8:9]
	s_or_b64 s[20:21], s[8:9], s[20:21]
	s_andn2_b64 exec, exec, s[20:21]
	s_cbranch_execnz .LBB90_9
.LBB90_10:
	s_or_b64 exec, exec, s[12:13]
	v_mov_b32_e32 v3, 0
	s_waitcnt lgkmcnt(0)
	; wave barrier
	ds_read_b32 v2, v3 offset:864
	s_and_saveexec_b64 s[8:9], s[6:7]
	s_cbranch_execz .LBB90_12
; %bb.11:
	s_lshl_b64 s[12:13], s[10:11], 2
	s_add_u32 s12, s14, s12
	s_addc_u32 s13, s15, s13
	s_waitcnt lgkmcnt(0)
	global_store_dword v3, v2, s[12:13]
.LBB90_12:
	s_or_b64 exec, exec, s[8:9]
	s_waitcnt lgkmcnt(0)
	v_cmp_ne_u32_e32 vcc, 0, v2
	s_mov_b64 s[8:9], 0
	s_cbranch_vccnz .LBB90_120
; %bb.13:
	buffer_load_dword v7, v12, s[0:3], 0 offen offset:4
	buffer_load_dword v6, v12, s[0:3], 0 offen
	buffer_load_dword v9, v12, s[0:3], 0 offen offset:12
	buffer_load_dword v8, v12, s[0:3], 0 offen offset:8
                                        ; implicit-def: $vgpr10_vgpr11
	s_waitcnt vmcnt(3)
	v_xor_b32_e32 v1, 0x80000000, v7
	s_waitcnt vmcnt(2)
	v_cmp_gt_f64_e32 vcc, 0, v[6:7]
	s_waitcnt vmcnt(1)
	v_xor_b32_e32 v4, 0x80000000, v9
	v_cndmask_b32_e32 v3, v7, v1, vcc
	s_waitcnt vmcnt(0)
	v_cmp_gt_f64_e32 vcc, 0, v[8:9]
	v_mov_b32_e32 v2, v6
	v_cndmask_b32_e32 v5, v9, v4, vcc
	v_mov_b32_e32 v4, v8
	v_cmp_ngt_f64_e32 vcc, v[2:3], v[4:5]
                                        ; implicit-def: $vgpr4_vgpr5
	s_and_saveexec_b64 s[8:9], vcc
	s_xor_b64 s[8:9], exec, s[8:9]
	s_cbranch_execz .LBB90_15
; %bb.14:
	v_div_scale_f64 v[2:3], s[12:13], v[8:9], v[8:9], v[6:7]
	v_rcp_f64_e32 v[4:5], v[2:3]
	v_div_scale_f64 v[10:11], vcc, v[6:7], v[8:9], v[6:7]
	v_fma_f64 v[14:15], -v[2:3], v[4:5], 1.0
	v_fmac_f64_e32 v[4:5], v[4:5], v[14:15]
	v_fma_f64 v[14:15], -v[2:3], v[4:5], 1.0
	v_fmac_f64_e32 v[4:5], v[4:5], v[14:15]
	v_mul_f64 v[14:15], v[10:11], v[4:5]
	v_fma_f64 v[2:3], -v[2:3], v[14:15], v[10:11]
	v_div_fmas_f64 v[2:3], v[2:3], v[4:5], v[14:15]
	v_div_fixup_f64 v[2:3], v[2:3], v[8:9], v[6:7]
	v_fmac_f64_e32 v[8:9], v[6:7], v[2:3]
	v_div_scale_f64 v[4:5], s[12:13], v[8:9], v[8:9], 1.0
	v_rcp_f64_e32 v[6:7], v[4:5]
	v_fma_f64 v[10:11], -v[4:5], v[6:7], 1.0
	v_fmac_f64_e32 v[6:7], v[6:7], v[10:11]
	v_fma_f64 v[10:11], -v[4:5], v[6:7], 1.0
	v_fmac_f64_e32 v[6:7], v[6:7], v[10:11]
	v_div_scale_f64 v[10:11], vcc, 1.0, v[8:9], 1.0
	v_mul_f64 v[14:15], v[10:11], v[6:7]
	v_fma_f64 v[4:5], -v[4:5], v[14:15], v[10:11]
	s_nop 1
	v_div_fmas_f64 v[4:5], v[4:5], v[6:7], v[14:15]
	v_div_fixup_f64 v[4:5], v[4:5], v[8:9], 1.0
	v_mul_f64 v[10:11], v[2:3], v[4:5]
	v_xor_b32_e32 v5, 0x80000000, v5
	v_xor_b32_e32 v3, 0x80000000, v11
	v_mov_b32_e32 v2, v10
                                        ; implicit-def: $vgpr6_vgpr7
                                        ; implicit-def: $vgpr8_vgpr9
.LBB90_15:
	s_andn2_saveexec_b64 s[8:9], s[8:9]
	s_cbranch_execz .LBB90_17
; %bb.16:
	v_div_scale_f64 v[2:3], s[12:13], v[6:7], v[6:7], v[8:9]
	v_rcp_f64_e32 v[4:5], v[2:3]
	v_div_scale_f64 v[10:11], vcc, v[8:9], v[6:7], v[8:9]
	v_fma_f64 v[14:15], -v[2:3], v[4:5], 1.0
	v_fmac_f64_e32 v[4:5], v[4:5], v[14:15]
	v_fma_f64 v[14:15], -v[2:3], v[4:5], 1.0
	v_fmac_f64_e32 v[4:5], v[4:5], v[14:15]
	v_mul_f64 v[14:15], v[10:11], v[4:5]
	v_fma_f64 v[2:3], -v[2:3], v[14:15], v[10:11]
	v_div_fmas_f64 v[2:3], v[2:3], v[4:5], v[14:15]
	v_div_fixup_f64 v[4:5], v[2:3], v[6:7], v[8:9]
	v_fmac_f64_e32 v[6:7], v[8:9], v[4:5]
	v_div_scale_f64 v[2:3], s[12:13], v[6:7], v[6:7], 1.0
	v_rcp_f64_e32 v[8:9], v[2:3]
	v_fma_f64 v[10:11], -v[2:3], v[8:9], 1.0
	v_fmac_f64_e32 v[8:9], v[8:9], v[10:11]
	v_fma_f64 v[10:11], -v[2:3], v[8:9], 1.0
	v_fmac_f64_e32 v[8:9], v[8:9], v[10:11]
	v_div_scale_f64 v[10:11], vcc, 1.0, v[6:7], 1.0
	v_mul_f64 v[14:15], v[10:11], v[8:9]
	v_fma_f64 v[2:3], -v[2:3], v[14:15], v[10:11]
	s_nop 1
	v_div_fmas_f64 v[2:3], v[2:3], v[8:9], v[14:15]
	v_div_fixup_f64 v[10:11], v[2:3], v[6:7], 1.0
	v_xor_b32_e32 v3, 0x80000000, v11
	v_mov_b32_e32 v2, v10
	v_mul_f64 v[4:5], v[4:5], -v[10:11]
.LBB90_17:
	s_or_b64 exec, exec, s[8:9]
	buffer_store_dword v11, v12, s[0:3], 0 offen offset:4
	buffer_store_dword v10, v12, s[0:3], 0 offen
	buffer_store_dword v5, v12, s[0:3], 0 offen offset:12
	buffer_store_dword v4, v12, s[0:3], 0 offen offset:8
	v_accvgpr_read_b32 v1, a43
	buffer_load_dword v11, v1, s[0:3], 0 offen offset:12
	buffer_load_dword v10, v1, s[0:3], 0 offen offset:8
	;; [unrolled: 1-line block ×3, first 2 shown]
	buffer_load_dword v8, v1, s[0:3], 0 offen
	v_xor_b32_e32 v5, 0x80000000, v5
	v_add_u32_e32 v6, 0x1b0, v100
	ds_write_b128 v100, v[2:5]
	s_waitcnt vmcnt(0)
	ds_write_b128 v100, v[8:11] offset:432
	s_waitcnt lgkmcnt(0)
	; wave barrier
	s_waitcnt lgkmcnt(0)
	s_and_saveexec_b64 s[8:9], s[6:7]
	s_cbranch_execz .LBB90_19
; %bb.18:
	buffer_load_dword v14, v12, s[0:3], 0 offen offset:8
	buffer_load_dword v15, v12, s[0:3], 0 offen offset:12
	buffer_load_dword v16, v12, s[0:3], 0 offen
	buffer_load_dword v17, v12, s[0:3], 0 offen offset:4
	ds_read_b128 v[2:5], v6
	v_mov_b32_e32 v1, 0
	ds_read_b128 v[8:11], v1 offset:16
	s_waitcnt vmcnt(2) lgkmcnt(1)
	v_mul_f64 v[18:19], v[4:5], v[14:15]
	v_mul_f64 v[14:15], v[2:3], v[14:15]
	s_waitcnt vmcnt(0)
	v_fmac_f64_e32 v[14:15], v[4:5], v[16:17]
	v_fma_f64 v[2:3], v[2:3], v[16:17], -v[18:19]
	v_add_f64 v[4:5], v[14:15], 0
	v_add_f64 v[2:3], v[2:3], 0
	s_waitcnt lgkmcnt(0)
	v_mul_f64 v[14:15], v[4:5], v[10:11]
	v_mul_f64 v[10:11], v[2:3], v[10:11]
	v_fma_f64 v[2:3], v[2:3], v[8:9], -v[14:15]
	v_fmac_f64_e32 v[10:11], v[4:5], v[8:9]
	buffer_store_dword v2, off, s[0:3], 0 offset:16
	buffer_store_dword v3, off, s[0:3], 0 offset:20
	;; [unrolled: 1-line block ×4, first 2 shown]
.LBB90_19:
	s_or_b64 exec, exec, s[8:9]
	s_waitcnt lgkmcnt(0)
	; wave barrier
	buffer_load_dword v2, v192, s[0:3], 0 offen
	buffer_load_dword v3, v192, s[0:3], 0 offen offset:4
	buffer_load_dword v4, v192, s[0:3], 0 offen offset:8
	buffer_load_dword v5, v192, s[0:3], 0 offen offset:12
	v_cmp_gt_u32_e32 vcc, 2, v193
	s_waitcnt vmcnt(0)
	ds_write_b128 v6, v[2:5]
	s_waitcnt lgkmcnt(0)
	; wave barrier
	s_waitcnt lgkmcnt(0)
	s_and_saveexec_b64 s[8:9], vcc
	s_cbranch_execz .LBB90_23
; %bb.20:
	buffer_load_dword v8, v12, s[0:3], 0 offen offset:8
	buffer_load_dword v9, v12, s[0:3], 0 offen offset:12
	buffer_load_dword v10, v12, s[0:3], 0 offen
	buffer_load_dword v11, v12, s[0:3], 0 offen offset:4
	ds_read_b128 v[2:5], v6
	s_waitcnt vmcnt(2) lgkmcnt(0)
	v_mul_f64 v[12:13], v[4:5], v[8:9]
	v_mul_f64 v[8:9], v[2:3], v[8:9]
	s_waitcnt vmcnt(0)
	v_fma_f64 v[2:3], v[2:3], v[10:11], -v[12:13]
	v_fmac_f64_e32 v[8:9], v[4:5], v[10:11]
	v_add_f64 v[4:5], v[2:3], 0
	v_add_f64 v[2:3], v[8:9], 0
	s_and_saveexec_b64 s[12:13], s[6:7]
	s_cbranch_execz .LBB90_22
; %bb.21:
	buffer_load_dword v12, off, s[0:3], 0 offset:24
	buffer_load_dword v13, off, s[0:3], 0 offset:28
	;; [unrolled: 1-line block ×4, first 2 shown]
	v_mov_b32_e32 v1, 0
	ds_read_b128 v[8:11], v1 offset:448
	s_waitcnt vmcnt(2) lgkmcnt(0)
	v_mul_f64 v[16:17], v[8:9], v[12:13]
	v_mul_f64 v[12:13], v[10:11], v[12:13]
	s_waitcnt vmcnt(0)
	v_fmac_f64_e32 v[16:17], v[10:11], v[14:15]
	v_fma_f64 v[8:9], v[8:9], v[14:15], -v[12:13]
	v_add_f64 v[2:3], v[2:3], v[16:17]
	v_add_f64 v[4:5], v[4:5], v[8:9]
.LBB90_22:
	s_or_b64 exec, exec, s[12:13]
	v_mov_b32_e32 v1, 0
	ds_read_b128 v[8:11], v1 offset:32
	s_waitcnt lgkmcnt(0)
	v_mul_f64 v[12:13], v[2:3], v[10:11]
	v_mul_f64 v[10:11], v[4:5], v[10:11]
	v_fma_f64 v[4:5], v[4:5], v[8:9], -v[12:13]
	v_fmac_f64_e32 v[10:11], v[2:3], v[8:9]
	buffer_store_dword v5, off, s[0:3], 0 offset:36
	buffer_store_dword v4, off, s[0:3], 0 offset:32
	;; [unrolled: 1-line block ×4, first 2 shown]
.LBB90_23:
	s_or_b64 exec, exec, s[8:9]
	v_accvgpr_read_b32 v1, a44
	s_waitcnt lgkmcnt(0)
	; wave barrier
	buffer_load_dword v2, v1, s[0:3], 0 offen
	buffer_load_dword v3, v1, s[0:3], 0 offen offset:4
	buffer_load_dword v4, v1, s[0:3], 0 offen offset:8
	;; [unrolled: 1-line block ×3, first 2 shown]
	v_cmp_gt_u32_e32 vcc, 3, v193
	v_add_u32_e32 v7, -1, v193
	s_waitcnt vmcnt(0)
	ds_write_b128 v6, v[2:5]
	s_waitcnt lgkmcnt(0)
	; wave barrier
	s_waitcnt lgkmcnt(0)
	s_and_saveexec_b64 s[6:7], vcc
	s_cbranch_execz .LBB90_27
; %bb.24:
	v_pk_mov_b32 v[2:3], 0, 0
	v_add_u32_e32 v8, -1, v193
	v_add_u32_e32 v9, 0x1b0, v100
	v_add_u32_e32 v10, 0, v100
	s_mov_b64 s[8:9], 0
	v_pk_mov_b32 v[4:5], v[2:3], v[2:3] op_sel:[0,1]
.LBB90_25:                              ; =>This Inner Loop Header: Depth=1
	buffer_load_dword v16, v10, s[0:3], 0 offen offset:8
	buffer_load_dword v17, v10, s[0:3], 0 offen offset:12
	buffer_load_dword v18, v10, s[0:3], 0 offen
	buffer_load_dword v19, v10, s[0:3], 0 offen offset:4
	ds_read_b128 v[12:15], v9
	v_add_u32_e32 v8, 1, v8
	v_cmp_lt_u32_e32 vcc, 1, v8
	v_add_u32_e32 v9, 16, v9
	v_add_u32_e32 v10, 16, v10
	s_or_b64 s[8:9], vcc, s[8:9]
	s_waitcnt vmcnt(2) lgkmcnt(0)
	v_mul_f64 v[20:21], v[14:15], v[16:17]
	v_mul_f64 v[16:17], v[12:13], v[16:17]
	s_waitcnt vmcnt(0)
	v_fma_f64 v[12:13], v[12:13], v[18:19], -v[20:21]
	v_fmac_f64_e32 v[16:17], v[14:15], v[18:19]
	v_add_f64 v[4:5], v[4:5], v[12:13]
	v_add_f64 v[2:3], v[2:3], v[16:17]
	s_andn2_b64 exec, exec, s[8:9]
	s_cbranch_execnz .LBB90_25
; %bb.26:
	s_or_b64 exec, exec, s[8:9]
	v_mov_b32_e32 v1, 0
	ds_read_b128 v[8:11], v1 offset:48
	s_waitcnt lgkmcnt(0)
	v_mul_f64 v[12:13], v[2:3], v[10:11]
	v_mul_f64 v[10:11], v[4:5], v[10:11]
	v_fma_f64 v[4:5], v[4:5], v[8:9], -v[12:13]
	v_fmac_f64_e32 v[10:11], v[2:3], v[8:9]
	buffer_store_dword v5, off, s[0:3], 0 offset:52
	buffer_store_dword v4, off, s[0:3], 0 offset:48
	buffer_store_dword v11, off, s[0:3], 0 offset:60
	buffer_store_dword v10, off, s[0:3], 0 offset:56
.LBB90_27:
	s_or_b64 exec, exec, s[6:7]
	v_accvgpr_read_b32 v1, a41
	s_waitcnt lgkmcnt(0)
	; wave barrier
	buffer_load_dword v2, v1, s[0:3], 0 offen
	buffer_load_dword v3, v1, s[0:3], 0 offen offset:4
	buffer_load_dword v4, v1, s[0:3], 0 offen offset:8
	buffer_load_dword v5, v1, s[0:3], 0 offen offset:12
	v_cmp_gt_u32_e32 vcc, 4, v193
	s_waitcnt vmcnt(0)
	ds_write_b128 v6, v[2:5]
	s_waitcnt lgkmcnt(0)
	; wave barrier
	s_waitcnt lgkmcnt(0)
	s_and_saveexec_b64 s[6:7], vcc
	s_cbranch_execz .LBB90_31
; %bb.28:
	v_pk_mov_b32 v[2:3], 0, 0
	v_add_u32_e32 v8, -1, v193
	v_add_u32_e32 v9, 0x1b0, v100
	v_add_u32_e32 v10, 0, v100
	s_mov_b64 s[8:9], 0
	v_pk_mov_b32 v[4:5], v[2:3], v[2:3] op_sel:[0,1]
.LBB90_29:                              ; =>This Inner Loop Header: Depth=1
	buffer_load_dword v16, v10, s[0:3], 0 offen offset:8
	buffer_load_dword v17, v10, s[0:3], 0 offen offset:12
	buffer_load_dword v18, v10, s[0:3], 0 offen
	buffer_load_dword v19, v10, s[0:3], 0 offen offset:4
	ds_read_b128 v[12:15], v9
	v_add_u32_e32 v8, 1, v8
	v_cmp_lt_u32_e32 vcc, 2, v8
	v_add_u32_e32 v9, 16, v9
	v_add_u32_e32 v10, 16, v10
	s_or_b64 s[8:9], vcc, s[8:9]
	s_waitcnt vmcnt(2) lgkmcnt(0)
	v_mul_f64 v[20:21], v[14:15], v[16:17]
	v_mul_f64 v[16:17], v[12:13], v[16:17]
	s_waitcnt vmcnt(0)
	v_fma_f64 v[12:13], v[12:13], v[18:19], -v[20:21]
	v_fmac_f64_e32 v[16:17], v[14:15], v[18:19]
	v_add_f64 v[4:5], v[4:5], v[12:13]
	v_add_f64 v[2:3], v[2:3], v[16:17]
	s_andn2_b64 exec, exec, s[8:9]
	s_cbranch_execnz .LBB90_29
; %bb.30:
	s_or_b64 exec, exec, s[8:9]
	v_mov_b32_e32 v1, 0
	ds_read_b128 v[8:11], v1 offset:64
	s_waitcnt lgkmcnt(0)
	v_mul_f64 v[12:13], v[2:3], v[10:11]
	v_mul_f64 v[10:11], v[4:5], v[10:11]
	v_fma_f64 v[4:5], v[4:5], v[8:9], -v[12:13]
	v_fmac_f64_e32 v[10:11], v[2:3], v[8:9]
	buffer_store_dword v5, off, s[0:3], 0 offset:68
	buffer_store_dword v4, off, s[0:3], 0 offset:64
	buffer_store_dword v11, off, s[0:3], 0 offset:76
	buffer_store_dword v10, off, s[0:3], 0 offset:72
.LBB90_31:
	s_or_b64 exec, exec, s[6:7]
	v_accvgpr_read_b32 v1, a39
	s_waitcnt lgkmcnt(0)
	; wave barrier
	buffer_load_dword v2, v1, s[0:3], 0 offen
	buffer_load_dword v3, v1, s[0:3], 0 offen offset:4
	buffer_load_dword v4, v1, s[0:3], 0 offen offset:8
	buffer_load_dword v5, v1, s[0:3], 0 offen offset:12
	v_cmp_gt_u32_e32 vcc, 5, v193
	;; [unrolled: 58-line block ×19, first 2 shown]
	s_waitcnt vmcnt(0)
	ds_write_b128 v6, v[2:5]
	s_waitcnt lgkmcnt(0)
	; wave barrier
	s_waitcnt lgkmcnt(0)
	s_and_saveexec_b64 s[6:7], vcc
	s_cbranch_execz .LBB90_103
; %bb.100:
	v_pk_mov_b32 v[2:3], 0, 0
	v_add_u32_e32 v8, -1, v193
	v_add_u32_e32 v9, 0x1b0, v100
	v_add_u32_e32 v10, 0, v100
	s_mov_b64 s[8:9], 0
	v_pk_mov_b32 v[4:5], v[2:3], v[2:3] op_sel:[0,1]
.LBB90_101:                             ; =>This Inner Loop Header: Depth=1
	buffer_load_dword v16, v10, s[0:3], 0 offen offset:8
	buffer_load_dword v17, v10, s[0:3], 0 offen offset:12
	buffer_load_dword v18, v10, s[0:3], 0 offen
	buffer_load_dword v19, v10, s[0:3], 0 offen offset:4
	ds_read_b128 v[12:15], v9
	v_add_u32_e32 v8, 1, v8
	v_cmp_lt_u32_e32 vcc, 20, v8
	v_add_u32_e32 v9, 16, v9
	v_add_u32_e32 v10, 16, v10
	s_or_b64 s[8:9], vcc, s[8:9]
	s_waitcnt vmcnt(2) lgkmcnt(0)
	v_mul_f64 v[20:21], v[14:15], v[16:17]
	v_mul_f64 v[16:17], v[12:13], v[16:17]
	s_waitcnt vmcnt(0)
	v_fma_f64 v[12:13], v[12:13], v[18:19], -v[20:21]
	v_fmac_f64_e32 v[16:17], v[14:15], v[18:19]
	v_add_f64 v[4:5], v[4:5], v[12:13]
	v_add_f64 v[2:3], v[2:3], v[16:17]
	s_andn2_b64 exec, exec, s[8:9]
	s_cbranch_execnz .LBB90_101
; %bb.102:
	s_or_b64 exec, exec, s[8:9]
	v_mov_b32_e32 v1, 0
	ds_read_b128 v[8:11], v1 offset:352
	s_waitcnt lgkmcnt(0)
	v_mul_f64 v[12:13], v[2:3], v[10:11]
	v_mul_f64 v[10:11], v[4:5], v[10:11]
	v_fma_f64 v[4:5], v[4:5], v[8:9], -v[12:13]
	v_fmac_f64_e32 v[10:11], v[2:3], v[8:9]
	buffer_store_dword v5, off, s[0:3], 0 offset:356
	buffer_store_dword v4, off, s[0:3], 0 offset:352
	buffer_store_dword v11, off, s[0:3], 0 offset:364
	buffer_store_dword v10, off, s[0:3], 0 offset:360
.LBB90_103:
	s_or_b64 exec, exec, s[6:7]
	v_accvgpr_read_b32 v1, a23
	s_waitcnt lgkmcnt(0)
	; wave barrier
	buffer_load_dword v2, v1, s[0:3], 0 offen
	buffer_load_dword v3, v1, s[0:3], 0 offen offset:4
	buffer_load_dword v4, v1, s[0:3], 0 offen offset:8
	buffer_load_dword v5, v1, s[0:3], 0 offen offset:12
	v_cmp_gt_u32_e32 vcc, 23, v193
	s_waitcnt vmcnt(0)
	ds_write_b128 v6, v[2:5]
	s_waitcnt lgkmcnt(0)
	; wave barrier
	s_waitcnt lgkmcnt(0)
	s_and_saveexec_b64 s[6:7], vcc
	s_cbranch_execz .LBB90_107
; %bb.104:
	v_pk_mov_b32 v[2:3], 0, 0
	v_add_u32_e32 v8, -1, v193
	v_add_u32_e32 v9, 0x1b0, v100
	v_add_u32_e32 v10, 0, v100
	s_mov_b64 s[8:9], 0
	v_pk_mov_b32 v[4:5], v[2:3], v[2:3] op_sel:[0,1]
.LBB90_105:                             ; =>This Inner Loop Header: Depth=1
	buffer_load_dword v16, v10, s[0:3], 0 offen offset:8
	buffer_load_dword v17, v10, s[0:3], 0 offen offset:12
	buffer_load_dword v18, v10, s[0:3], 0 offen
	buffer_load_dword v19, v10, s[0:3], 0 offen offset:4
	ds_read_b128 v[12:15], v9
	v_add_u32_e32 v8, 1, v8
	v_cmp_lt_u32_e32 vcc, 21, v8
	v_add_u32_e32 v9, 16, v9
	v_add_u32_e32 v10, 16, v10
	s_or_b64 s[8:9], vcc, s[8:9]
	s_waitcnt vmcnt(2) lgkmcnt(0)
	v_mul_f64 v[20:21], v[14:15], v[16:17]
	v_mul_f64 v[16:17], v[12:13], v[16:17]
	s_waitcnt vmcnt(0)
	v_fma_f64 v[12:13], v[12:13], v[18:19], -v[20:21]
	v_fmac_f64_e32 v[16:17], v[14:15], v[18:19]
	v_add_f64 v[4:5], v[4:5], v[12:13]
	v_add_f64 v[2:3], v[2:3], v[16:17]
	s_andn2_b64 exec, exec, s[8:9]
	s_cbranch_execnz .LBB90_105
; %bb.106:
	s_or_b64 exec, exec, s[8:9]
	v_mov_b32_e32 v1, 0
	ds_read_b128 v[8:11], v1 offset:368
	s_waitcnt lgkmcnt(0)
	v_mul_f64 v[12:13], v[2:3], v[10:11]
	v_mul_f64 v[10:11], v[4:5], v[10:11]
	v_fma_f64 v[4:5], v[4:5], v[8:9], -v[12:13]
	v_fmac_f64_e32 v[10:11], v[2:3], v[8:9]
	buffer_store_dword v5, off, s[0:3], 0 offset:372
	buffer_store_dword v4, off, s[0:3], 0 offset:368
	buffer_store_dword v11, off, s[0:3], 0 offset:380
	buffer_store_dword v10, off, s[0:3], 0 offset:376
.LBB90_107:
	s_or_b64 exec, exec, s[6:7]
	v_accvgpr_read_b32 v1, a22
	s_waitcnt lgkmcnt(0)
	; wave barrier
	buffer_load_dword v2, v1, s[0:3], 0 offen
	buffer_load_dword v3, v1, s[0:3], 0 offen offset:4
	buffer_load_dword v4, v1, s[0:3], 0 offen offset:8
	buffer_load_dword v5, v1, s[0:3], 0 offen offset:12
	v_cmp_gt_u32_e32 vcc, 24, v193
	;; [unrolled: 58-line block ×3, first 2 shown]
	s_waitcnt vmcnt(0)
	ds_write_b128 v6, v[2:5]
	s_waitcnt lgkmcnt(0)
	; wave barrier
	s_waitcnt lgkmcnt(0)
	s_and_saveexec_b64 s[6:7], vcc
	s_cbranch_execz .LBB90_115
; %bb.112:
	v_pk_mov_b32 v[2:3], 0, 0
	v_add_u32_e32 v8, -1, v193
	v_add_u32_e32 v9, 0x1b0, v100
	v_add_u32_e32 v10, 0, v100
	s_mov_b64 s[8:9], 0
	v_pk_mov_b32 v[4:5], v[2:3], v[2:3] op_sel:[0,1]
.LBB90_113:                             ; =>This Inner Loop Header: Depth=1
	buffer_load_dword v16, v10, s[0:3], 0 offen offset:8
	buffer_load_dword v17, v10, s[0:3], 0 offen offset:12
	buffer_load_dword v18, v10, s[0:3], 0 offen
	buffer_load_dword v19, v10, s[0:3], 0 offen offset:4
	ds_read_b128 v[12:15], v9
	v_add_u32_e32 v8, 1, v8
	v_cmp_lt_u32_e32 vcc, 23, v8
	v_add_u32_e32 v9, 16, v9
	v_add_u32_e32 v10, 16, v10
	s_or_b64 s[8:9], vcc, s[8:9]
	s_waitcnt vmcnt(2) lgkmcnt(0)
	v_mul_f64 v[20:21], v[14:15], v[16:17]
	v_mul_f64 v[16:17], v[12:13], v[16:17]
	s_waitcnt vmcnt(0)
	v_fma_f64 v[12:13], v[12:13], v[18:19], -v[20:21]
	v_fmac_f64_e32 v[16:17], v[14:15], v[18:19]
	v_add_f64 v[4:5], v[4:5], v[12:13]
	v_add_f64 v[2:3], v[2:3], v[16:17]
	s_andn2_b64 exec, exec, s[8:9]
	s_cbranch_execnz .LBB90_113
; %bb.114:
	s_or_b64 exec, exec, s[8:9]
	v_mov_b32_e32 v1, 0
	ds_read_b128 v[8:11], v1 offset:400
	s_waitcnt lgkmcnt(0)
	v_mul_f64 v[12:13], v[2:3], v[10:11]
	v_mul_f64 v[10:11], v[4:5], v[10:11]
	v_fma_f64 v[4:5], v[4:5], v[8:9], -v[12:13]
	v_fmac_f64_e32 v[10:11], v[2:3], v[8:9]
	buffer_store_dword v5, off, s[0:3], 0 offset:404
	buffer_store_dword v4, off, s[0:3], 0 offset:400
	;; [unrolled: 1-line block ×4, first 2 shown]
.LBB90_115:
	s_or_b64 exec, exec, s[6:7]
	v_accvgpr_read_b32 v1, a20
	s_waitcnt lgkmcnt(0)
	; wave barrier
	buffer_load_dword v2, v1, s[0:3], 0 offen
	buffer_load_dword v3, v1, s[0:3], 0 offen offset:4
	buffer_load_dword v4, v1, s[0:3], 0 offen offset:8
	;; [unrolled: 1-line block ×3, first 2 shown]
	v_cmp_ne_u32_e32 vcc, 26, v193
	s_waitcnt vmcnt(0)
	ds_write_b128 v6, v[2:5]
	s_waitcnt lgkmcnt(0)
	; wave barrier
	s_waitcnt lgkmcnt(0)
	s_and_saveexec_b64 s[6:7], vcc
	s_cbranch_execz .LBB90_119
; %bb.116:
	v_pk_mov_b32 v[2:3], 0, 0
	v_add_u32_e32 v6, 0x1b0, v100
	v_add_u32_e32 v8, 0, v100
	s_mov_b64 s[8:9], 0
	v_pk_mov_b32 v[4:5], v[2:3], v[2:3] op_sel:[0,1]
.LBB90_117:                             ; =>This Inner Loop Header: Depth=1
	buffer_load_dword v14, v8, s[0:3], 0 offen offset:8
	buffer_load_dword v15, v8, s[0:3], 0 offen offset:12
	buffer_load_dword v16, v8, s[0:3], 0 offen
	buffer_load_dword v17, v8, s[0:3], 0 offen offset:4
	ds_read_b128 v[10:13], v6
	v_add_u32_e32 v7, 1, v7
	v_cmp_lt_u32_e32 vcc, 24, v7
	v_add_u32_e32 v6, 16, v6
	v_add_u32_e32 v8, 16, v8
	s_or_b64 s[8:9], vcc, s[8:9]
	s_waitcnt vmcnt(2) lgkmcnt(0)
	v_mul_f64 v[18:19], v[12:13], v[14:15]
	v_mul_f64 v[14:15], v[10:11], v[14:15]
	s_waitcnt vmcnt(0)
	v_fma_f64 v[10:11], v[10:11], v[16:17], -v[18:19]
	v_fmac_f64_e32 v[14:15], v[12:13], v[16:17]
	v_add_f64 v[4:5], v[4:5], v[10:11]
	v_add_f64 v[2:3], v[2:3], v[14:15]
	s_andn2_b64 exec, exec, s[8:9]
	s_cbranch_execnz .LBB90_117
; %bb.118:
	s_or_b64 exec, exec, s[8:9]
	v_mov_b32_e32 v1, 0
	ds_read_b128 v[6:9], v1 offset:416
	s_waitcnt lgkmcnt(0)
	v_mul_f64 v[10:11], v[2:3], v[8:9]
	v_mul_f64 v[8:9], v[4:5], v[8:9]
	v_fma_f64 v[4:5], v[4:5], v[6:7], -v[10:11]
	v_fmac_f64_e32 v[8:9], v[2:3], v[6:7]
	buffer_store_dword v5, off, s[0:3], 0 offset:420
	buffer_store_dword v4, off, s[0:3], 0 offset:416
	;; [unrolled: 1-line block ×4, first 2 shown]
.LBB90_119:
	s_or_b64 exec, exec, s[6:7]
	s_mov_b64 s[8:9], -1
	s_waitcnt lgkmcnt(0)
	; wave barrier
.LBB90_120:
	s_and_b64 vcc, exec, s[8:9]
	s_cbranch_vccz .LBB90_122
; %bb.121:
	s_lshl_b64 s[6:7], s[10:11], 2
	s_add_u32 s6, s14, s6
	s_addc_u32 s7, s15, s7
	v_mov_b32_e32 v1, 0
	global_load_dword v1, v1, s[6:7]
	s_waitcnt vmcnt(0)
	v_cmp_ne_u32_e32 vcc, 0, v1
	s_cbranch_vccz .LBB90_123
.LBB90_122:
	s_endpgm
.LBB90_123:
	v_mov_b32_e32 v1, 0x1b0
	v_lshl_add_u32 v1, v193, 4, v1
	v_cmp_eq_u32_e32 vcc, 26, v193
	s_and_saveexec_b64 s[6:7], vcc
	s_cbranch_execz .LBB90_125
; %bb.124:
	v_accvgpr_read_b32 v5, a21
	buffer_load_dword v2, v5, s[0:3], 0 offen
	buffer_load_dword v3, v5, s[0:3], 0 offen offset:4
	buffer_load_dword v4, v5, s[0:3], 0 offen offset:8
	s_nop 0
	buffer_load_dword v5, v5, s[0:3], 0 offen offset:12
	v_mov_b32_e32 v6, 0
	buffer_store_dword v6, off, s[0:3], 0 offset:400
	buffer_store_dword v6, off, s[0:3], 0 offset:404
	;; [unrolled: 1-line block ×4, first 2 shown]
	s_waitcnt vmcnt(4)
	ds_write_b128 v1, v[2:5]
.LBB90_125:
	s_or_b64 exec, exec, s[6:7]
	s_waitcnt lgkmcnt(0)
	; wave barrier
	s_waitcnt lgkmcnt(0)
	buffer_load_dword v8, off, s[0:3], 0 offset:424
	buffer_load_dword v9, off, s[0:3], 0 offset:428
	;; [unrolled: 1-line block ×8, first 2 shown]
	v_mov_b32_e32 v2, 0
	ds_read_b128 v[4:7], v2 offset:848
	v_cmp_lt_u32_e32 vcc, 24, v193
	s_waitcnt vmcnt(6) lgkmcnt(0)
	v_mul_f64 v[16:17], v[4:5], v[8:9]
	v_mul_f64 v[8:9], v[6:7], v[8:9]
	s_waitcnt vmcnt(4)
	v_fma_f64 v[4:5], v[4:5], v[10:11], -v[8:9]
	v_fmac_f64_e32 v[16:17], v[6:7], v[10:11]
	v_add_f64 v[4:5], v[4:5], 0
	v_add_f64 v[6:7], v[16:17], 0
	s_waitcnt vmcnt(2)
	v_add_f64 v[4:5], v[12:13], -v[4:5]
	s_waitcnt vmcnt(0)
	v_add_f64 v[6:7], v[14:15], -v[6:7]
	buffer_store_dword v4, off, s[0:3], 0 offset:400
	buffer_store_dword v5, off, s[0:3], 0 offset:404
	;; [unrolled: 1-line block ×4, first 2 shown]
	s_and_saveexec_b64 s[6:7], vcc
	s_cbranch_execz .LBB90_127
; %bb.126:
	v_accvgpr_read_b32 v3, a22
	buffer_load_dword v4, v3, s[0:3], 0 offen
	buffer_load_dword v5, v3, s[0:3], 0 offen offset:4
	buffer_load_dword v6, v3, s[0:3], 0 offen offset:8
	;; [unrolled: 1-line block ×3, first 2 shown]
	s_nop 0
	buffer_store_dword v2, off, s[0:3], 0 offset:384
	buffer_store_dword v2, off, s[0:3], 0 offset:388
	;; [unrolled: 1-line block ×4, first 2 shown]
	s_waitcnt vmcnt(4)
	ds_write_b128 v1, v[4:7]
.LBB90_127:
	s_or_b64 exec, exec, s[6:7]
	s_waitcnt lgkmcnt(0)
	; wave barrier
	s_waitcnt lgkmcnt(0)
	buffer_load_dword v12, off, s[0:3], 0 offset:408
	buffer_load_dword v13, off, s[0:3], 0 offset:412
	buffer_load_dword v14, off, s[0:3], 0 offset:424
	buffer_load_dword v15, off, s[0:3], 0 offset:428
	buffer_load_dword v16, off, s[0:3], 0 offset:400
	buffer_load_dword v17, off, s[0:3], 0 offset:404
	buffer_load_dword v18, off, s[0:3], 0 offset:416
	buffer_load_dword v19, off, s[0:3], 0 offset:420
	buffer_load_dword v20, off, s[0:3], 0 offset:384
	buffer_load_dword v21, off, s[0:3], 0 offset:388
	buffer_load_dword v22, off, s[0:3], 0 offset:392
	buffer_load_dword v23, off, s[0:3], 0 offset:396
	ds_read_b128 v[4:7], v2 offset:832
	ds_read_b128 v[8:11], v2 offset:848
	v_cmp_lt_u32_e32 vcc, 23, v193
	s_waitcnt vmcnt(10) lgkmcnt(1)
	v_mul_f64 v[2:3], v[4:5], v[12:13]
	v_mul_f64 v[12:13], v[6:7], v[12:13]
	s_waitcnt vmcnt(8) lgkmcnt(0)
	v_mul_f64 v[24:25], v[8:9], v[14:15]
	v_mul_f64 v[14:15], v[10:11], v[14:15]
	s_waitcnt vmcnt(6)
	v_fma_f64 v[4:5], v[4:5], v[16:17], -v[12:13]
	v_fmac_f64_e32 v[2:3], v[6:7], v[16:17]
	s_waitcnt vmcnt(4)
	v_fma_f64 v[6:7], v[8:9], v[18:19], -v[14:15]
	v_add_f64 v[4:5], v[4:5], 0
	v_fmac_f64_e32 v[24:25], v[10:11], v[18:19]
	v_add_f64 v[2:3], v[2:3], 0
	v_add_f64 v[4:5], v[4:5], v[6:7]
	;; [unrolled: 1-line block ×3, first 2 shown]
	s_waitcnt vmcnt(2)
	v_add_f64 v[4:5], v[20:21], -v[4:5]
	s_waitcnt vmcnt(0)
	v_add_f64 v[2:3], v[22:23], -v[2:3]
	buffer_store_dword v4, off, s[0:3], 0 offset:384
	buffer_store_dword v5, off, s[0:3], 0 offset:388
	;; [unrolled: 1-line block ×4, first 2 shown]
	s_and_saveexec_b64 s[6:7], vcc
	s_cbranch_execz .LBB90_129
; %bb.128:
	v_accvgpr_read_b32 v5, a23
	buffer_load_dword v2, v5, s[0:3], 0 offen
	buffer_load_dword v3, v5, s[0:3], 0 offen offset:4
	buffer_load_dword v4, v5, s[0:3], 0 offen offset:8
	s_nop 0
	buffer_load_dword v5, v5, s[0:3], 0 offen offset:12
	v_mov_b32_e32 v6, 0
	buffer_store_dword v6, off, s[0:3], 0 offset:368
	buffer_store_dword v6, off, s[0:3], 0 offset:372
	buffer_store_dword v6, off, s[0:3], 0 offset:376
	buffer_store_dword v6, off, s[0:3], 0 offset:380
	s_waitcnt vmcnt(4)
	ds_write_b128 v1, v[2:5]
.LBB90_129:
	s_or_b64 exec, exec, s[6:7]
	s_waitcnt lgkmcnt(0)
	; wave barrier
	s_waitcnt lgkmcnt(0)
	buffer_load_dword v16, off, s[0:3], 0 offset:392
	buffer_load_dword v17, off, s[0:3], 0 offset:396
	;; [unrolled: 1-line block ×16, first 2 shown]
	v_mov_b32_e32 v2, 0
	ds_read_b128 v[4:7], v2 offset:816
	ds_read_b128 v[8:11], v2 offset:832
	;; [unrolled: 1-line block ×3, first 2 shown]
	v_cmp_lt_u32_e32 vcc, 22, v193
	s_waitcnt vmcnt(14) lgkmcnt(2)
	v_mul_f64 v[32:33], v[4:5], v[16:17]
	v_mul_f64 v[16:17], v[6:7], v[16:17]
	s_waitcnt vmcnt(12) lgkmcnt(1)
	v_mul_f64 v[34:35], v[8:9], v[18:19]
	v_mul_f64 v[18:19], v[10:11], v[18:19]
	;; [unrolled: 3-line block ×3, first 2 shown]
	s_waitcnt vmcnt(8)
	v_fma_f64 v[4:5], v[4:5], v[22:23], -v[16:17]
	v_fmac_f64_e32 v[32:33], v[6:7], v[22:23]
	s_waitcnt vmcnt(6)
	v_fma_f64 v[6:7], v[8:9], v[24:25], -v[18:19]
	v_add_f64 v[4:5], v[4:5], 0
	v_fmac_f64_e32 v[34:35], v[10:11], v[24:25]
	s_waitcnt vmcnt(4)
	v_fma_f64 v[8:9], v[12:13], v[26:27], -v[20:21]
	v_add_f64 v[10:11], v[32:33], 0
	v_add_f64 v[4:5], v[4:5], v[6:7]
	v_fmac_f64_e32 v[36:37], v[14:15], v[26:27]
	v_add_f64 v[10:11], v[10:11], v[34:35]
	v_add_f64 v[4:5], v[4:5], v[8:9]
	;; [unrolled: 1-line block ×3, first 2 shown]
	s_waitcnt vmcnt(2)
	v_add_f64 v[4:5], v[28:29], -v[4:5]
	s_waitcnt vmcnt(0)
	v_add_f64 v[6:7], v[30:31], -v[6:7]
	buffer_store_dword v4, off, s[0:3], 0 offset:368
	buffer_store_dword v5, off, s[0:3], 0 offset:372
	;; [unrolled: 1-line block ×4, first 2 shown]
	s_and_saveexec_b64 s[6:7], vcc
	s_cbranch_execz .LBB90_131
; %bb.130:
	v_accvgpr_read_b32 v3, a24
	buffer_load_dword v4, v3, s[0:3], 0 offen
	buffer_load_dword v5, v3, s[0:3], 0 offen offset:4
	buffer_load_dword v6, v3, s[0:3], 0 offen offset:8
	;; [unrolled: 1-line block ×3, first 2 shown]
	s_nop 0
	buffer_store_dword v2, off, s[0:3], 0 offset:352
	buffer_store_dword v2, off, s[0:3], 0 offset:356
	;; [unrolled: 1-line block ×4, first 2 shown]
	s_waitcnt vmcnt(4)
	ds_write_b128 v1, v[4:7]
.LBB90_131:
	s_or_b64 exec, exec, s[6:7]
	s_waitcnt lgkmcnt(0)
	; wave barrier
	s_waitcnt lgkmcnt(0)
	ds_read_b128 v[4:7], v2 offset:800
	ds_read_b128 v[8:11], v2 offset:816
	;; [unrolled: 1-line block ×4, first 2 shown]
	buffer_load_dword v2, off, s[0:3], 0 offset:352
	buffer_load_dword v3, off, s[0:3], 0 offset:356
	;; [unrolled: 1-line block ×16, first 2 shown]
	v_cmp_lt_u32_e32 vcc, 21, v193
	s_waitcnt vmcnt(8) lgkmcnt(3)
	v_mul_f64 v[34:35], v[4:5], v[24:25]
	v_fmac_f64_e32 v[34:35], v[6:7], v[22:23]
	v_add_f64 v[34:35], v[34:35], 0
	v_mul_f64 v[6:7], v[6:7], v[24:25]
	s_waitcnt vmcnt(4) lgkmcnt(2)
	v_mul_f64 v[36:37], v[8:9], v[28:29]
	v_fmac_f64_e32 v[36:37], v[10:11], v[26:27]
	v_add_f64 v[34:35], v[34:35], v[36:37]
	v_fma_f64 v[4:5], v[4:5], v[22:23], -v[6:7]
	s_waitcnt vmcnt(0) lgkmcnt(1)
	v_mul_f64 v[36:37], v[12:13], v[32:33]
	v_fmac_f64_e32 v[36:37], v[14:15], v[30:31]
	v_add_f64 v[34:35], v[34:35], v[36:37]
	buffer_load_dword v37, off, s[0:3], 0 offset:420
	buffer_load_dword v36, off, s[0:3], 0 offset:416
	;; [unrolled: 1-line block ×4, first 2 shown]
	v_mul_f64 v[6:7], v[10:11], v[28:29]
	v_add_f64 v[4:5], v[4:5], 0
	v_fma_f64 v[6:7], v[8:9], v[26:27], -v[6:7]
	v_add_f64 v[4:5], v[4:5], v[6:7]
	v_mul_f64 v[6:7], v[14:15], v[32:33]
	v_fma_f64 v[6:7], v[12:13], v[30:31], -v[6:7]
	v_add_f64 v[4:5], v[4:5], v[6:7]
	s_waitcnt vmcnt(0) lgkmcnt(0)
	v_mul_f64 v[6:7], v[18:19], v[38:39]
	v_mul_f64 v[40:41], v[16:17], v[38:39]
	v_fma_f64 v[6:7], v[16:17], v[36:37], -v[6:7]
	v_fmac_f64_e32 v[40:41], v[18:19], v[36:37]
	v_add_f64 v[4:5], v[4:5], v[6:7]
	v_add_f64 v[34:35], v[34:35], v[40:41]
	v_add_f64 v[2:3], v[2:3], -v[4:5]
	v_add_f64 v[4:5], v[20:21], -v[34:35]
	buffer_store_dword v2, off, s[0:3], 0 offset:352
	buffer_store_dword v3, off, s[0:3], 0 offset:356
	buffer_store_dword v4, off, s[0:3], 0 offset:360
	buffer_store_dword v5, off, s[0:3], 0 offset:364
	s_and_saveexec_b64 s[6:7], vcc
	s_cbranch_execz .LBB90_133
; %bb.132:
	v_accvgpr_read_b32 v5, a25
	buffer_load_dword v2, v5, s[0:3], 0 offen
	buffer_load_dword v3, v5, s[0:3], 0 offen offset:4
	buffer_load_dword v4, v5, s[0:3], 0 offen offset:8
	s_nop 0
	buffer_load_dword v5, v5, s[0:3], 0 offen offset:12
	v_mov_b32_e32 v6, 0
	buffer_store_dword v6, off, s[0:3], 0 offset:336
	buffer_store_dword v6, off, s[0:3], 0 offset:340
	;; [unrolled: 1-line block ×4, first 2 shown]
	s_waitcnt vmcnt(4)
	ds_write_b128 v1, v[2:5]
.LBB90_133:
	s_or_b64 exec, exec, s[6:7]
	s_waitcnt lgkmcnt(0)
	; wave barrier
	s_waitcnt lgkmcnt(0)
	buffer_load_dword v24, off, s[0:3], 0 offset:360
	buffer_load_dword v25, off, s[0:3], 0 offset:364
	;; [unrolled: 1-line block ×24, first 2 shown]
	v_mov_b32_e32 v2, 0
	ds_read_b128 v[4:7], v2 offset:784
	ds_read_b128 v[8:11], v2 offset:800
	;; [unrolled: 1-line block ×5, first 2 shown]
	v_cmp_lt_u32_e32 vcc, 20, v193
	s_waitcnt vmcnt(22) lgkmcnt(4)
	v_mul_f64 v[102:103], v[4:5], v[24:25]
	v_mul_f64 v[24:25], v[6:7], v[24:25]
	s_waitcnt vmcnt(20) lgkmcnt(3)
	v_mul_f64 v[104:105], v[8:9], v[26:27]
	v_mul_f64 v[26:27], v[10:11], v[26:27]
	;; [unrolled: 3-line block ×4, first 2 shown]
	s_waitcnt vmcnt(13) lgkmcnt(0)
	v_mul_f64 v[110:111], v[20:21], v[30:31]
	s_waitcnt vmcnt(11)
	v_fma_f64 v[4:5], v[4:5], v[36:37], -v[24:25]
	v_fmac_f64_e32 v[102:103], v[6:7], v[36:37]
	s_waitcnt vmcnt(9)
	v_fma_f64 v[6:7], v[8:9], v[38:39], -v[26:27]
	v_add_f64 v[4:5], v[4:5], 0
	v_fmac_f64_e32 v[104:105], v[10:11], v[38:39]
	s_waitcnt vmcnt(7)
	v_fmac_f64_e32 v[106:107], v[14:15], v[40:41]
	v_fma_f64 v[8:9], v[12:13], v[40:41], -v[28:29]
	v_add_f64 v[14:15], v[102:103], 0
	v_add_f64 v[4:5], v[4:5], v[6:7]
	v_mul_f64 v[30:31], v[22:23], v[30:31]
	s_waitcnt vmcnt(5)
	v_fma_f64 v[10:11], v[16:17], v[42:43], -v[34:35]
	v_add_f64 v[14:15], v[14:15], v[104:105]
	v_add_f64 v[4:5], v[4:5], v[8:9]
	v_fmac_f64_e32 v[108:109], v[18:19], v[42:43]
	s_waitcnt vmcnt(4)
	v_fma_f64 v[12:13], v[20:21], v[32:33], -v[30:31]
	v_add_f64 v[6:7], v[14:15], v[106:107]
	v_add_f64 v[4:5], v[4:5], v[10:11]
	v_fmac_f64_e32 v[110:111], v[22:23], v[32:33]
	v_add_f64 v[6:7], v[6:7], v[108:109]
	v_add_f64 v[4:5], v[4:5], v[12:13]
	;; [unrolled: 1-line block ×3, first 2 shown]
	s_waitcnt vmcnt(2)
	v_add_f64 v[4:5], v[44:45], -v[4:5]
	s_waitcnt vmcnt(0)
	v_add_f64 v[6:7], v[100:101], -v[6:7]
	buffer_store_dword v5, off, s[0:3], 0 offset:340
	buffer_store_dword v4, off, s[0:3], 0 offset:336
	;; [unrolled: 1-line block ×4, first 2 shown]
	s_and_saveexec_b64 s[6:7], vcc
	s_cbranch_execz .LBB90_135
; %bb.134:
	v_accvgpr_read_b32 v3, a26
	buffer_load_dword v4, v3, s[0:3], 0 offen
	buffer_load_dword v5, v3, s[0:3], 0 offen offset:4
	buffer_load_dword v6, v3, s[0:3], 0 offen offset:8
	;; [unrolled: 1-line block ×3, first 2 shown]
	s_nop 0
	buffer_store_dword v2, off, s[0:3], 0 offset:320
	buffer_store_dword v2, off, s[0:3], 0 offset:324
	;; [unrolled: 1-line block ×4, first 2 shown]
	s_waitcnt vmcnt(4)
	ds_write_b128 v1, v[4:7]
.LBB90_135:
	s_or_b64 exec, exec, s[6:7]
	s_waitcnt lgkmcnt(0)
	; wave barrier
	s_waitcnt lgkmcnt(0)
	buffer_load_dword v28, off, s[0:3], 0 offset:344
	buffer_load_dword v29, off, s[0:3], 0 offset:348
	;; [unrolled: 1-line block ×28, first 2 shown]
	ds_read_b128 v[4:7], v2 offset:768
	ds_read_b128 v[8:11], v2 offset:784
	;; [unrolled: 1-line block ×6, first 2 shown]
	v_cmp_lt_u32_e32 vcc, 19, v193
	s_waitcnt vmcnt(26) lgkmcnt(5)
	v_mul_f64 v[2:3], v[4:5], v[28:29]
	v_mul_f64 v[28:29], v[6:7], v[28:29]
	s_waitcnt vmcnt(24) lgkmcnt(4)
	v_mul_f64 v[110:111], v[8:9], v[30:31]
	v_mul_f64 v[30:31], v[10:11], v[30:31]
	;; [unrolled: 3-line block ×4, first 2 shown]
	s_waitcnt vmcnt(17)
	v_mul_f64 v[114:115], v[16:17], v[38:39]
	v_mul_f64 v[38:39], v[18:19], v[38:39]
	s_waitcnt vmcnt(15) lgkmcnt(0)
	v_mul_f64 v[118:119], v[24:25], v[40:41]
	v_mul_f64 v[40:41], v[26:27], v[40:41]
	s_waitcnt vmcnt(14)
	v_fmac_f64_e32 v[116:117], v[22:23], v[36:37]
	s_waitcnt vmcnt(12)
	v_fma_f64 v[4:5], v[4:5], v[42:43], -v[28:29]
	v_fmac_f64_e32 v[2:3], v[6:7], v[42:43]
	s_waitcnt vmcnt(10)
	v_fma_f64 v[6:7], v[8:9], v[44:45], -v[30:31]
	v_add_f64 v[4:5], v[4:5], 0
	v_fmac_f64_e32 v[110:111], v[10:11], v[44:45]
	s_waitcnt vmcnt(8)
	v_fma_f64 v[8:9], v[12:13], v[100:101], -v[32:33]
	v_add_f64 v[2:3], v[2:3], 0
	v_add_f64 v[4:5], v[4:5], v[6:7]
	v_fmac_f64_e32 v[112:113], v[14:15], v[100:101]
	s_waitcnt vmcnt(6)
	v_fma_f64 v[10:11], v[16:17], v[102:103], -v[38:39]
	v_add_f64 v[2:3], v[2:3], v[110:111]
	v_add_f64 v[4:5], v[4:5], v[8:9]
	v_fmac_f64_e32 v[114:115], v[18:19], v[102:103]
	v_fma_f64 v[12:13], v[20:21], v[36:37], -v[34:35]
	v_add_f64 v[2:3], v[2:3], v[112:113]
	v_add_f64 v[4:5], v[4:5], v[10:11]
	s_waitcnt vmcnt(4)
	v_fma_f64 v[14:15], v[24:25], v[104:105], -v[40:41]
	v_add_f64 v[2:3], v[2:3], v[114:115]
	v_add_f64 v[4:5], v[4:5], v[12:13]
	v_fmac_f64_e32 v[118:119], v[26:27], v[104:105]
	v_add_f64 v[2:3], v[2:3], v[116:117]
	v_add_f64 v[4:5], v[4:5], v[14:15]
	;; [unrolled: 1-line block ×3, first 2 shown]
	s_waitcnt vmcnt(2)
	v_add_f64 v[4:5], v[106:107], -v[4:5]
	s_waitcnt vmcnt(0)
	v_add_f64 v[2:3], v[108:109], -v[2:3]
	buffer_store_dword v5, off, s[0:3], 0 offset:324
	buffer_store_dword v4, off, s[0:3], 0 offset:320
	;; [unrolled: 1-line block ×4, first 2 shown]
	s_and_saveexec_b64 s[6:7], vcc
	s_cbranch_execz .LBB90_137
; %bb.136:
	v_accvgpr_read_b32 v5, a27
	buffer_load_dword v2, v5, s[0:3], 0 offen
	buffer_load_dword v3, v5, s[0:3], 0 offen offset:4
	buffer_load_dword v4, v5, s[0:3], 0 offen offset:8
	s_nop 0
	buffer_load_dword v5, v5, s[0:3], 0 offen offset:12
	v_mov_b32_e32 v6, 0
	buffer_store_dword v6, off, s[0:3], 0 offset:304
	buffer_store_dword v6, off, s[0:3], 0 offset:308
	;; [unrolled: 1-line block ×4, first 2 shown]
	s_waitcnt vmcnt(4)
	ds_write_b128 v1, v[2:5]
.LBB90_137:
	s_or_b64 exec, exec, s[6:7]
	s_waitcnt lgkmcnt(0)
	; wave barrier
	s_waitcnt lgkmcnt(0)
	buffer_load_dword v22, off, s[0:3], 0 offset:328
	buffer_load_dword v23, off, s[0:3], 0 offset:332
	;; [unrolled: 1-line block ×32, first 2 shown]
	v_mov_b32_e32 v24, 0
	ds_read_b128 v[2:5], v24 offset:752
	ds_read_b128 v[6:9], v24 offset:768
	;; [unrolled: 1-line block ×7, first 2 shown]
	v_cmp_lt_u32_e32 vcc, 18, v193
	s_waitcnt vmcnt(30) lgkmcnt(6)
	v_mul_f64 v[118:119], v[2:3], v[22:23]
	v_mul_f64 v[22:23], v[4:5], v[22:23]
	s_waitcnt vmcnt(28) lgkmcnt(5)
	v_mul_f64 v[120:121], v[6:7], v[34:35]
	v_mul_f64 v[34:35], v[8:9], v[34:35]
	;; [unrolled: 3-line block ×4, first 2 shown]
	s_waitcnt vmcnt(21)
	v_mul_f64 v[124:125], v[14:15], v[42:43]
	v_mul_f64 v[42:43], v[16:17], v[42:43]
	s_waitcnt vmcnt(17) lgkmcnt(1)
	v_mul_f64 v[128:129], v[26:27], v[102:103]
	v_mul_f64 v[102:103], v[28:29], v[102:103]
	s_waitcnt vmcnt(16) lgkmcnt(0)
	v_mul_f64 v[130:131], v[30:31], v[44:45]
	v_mul_f64 v[44:45], v[32:33], v[44:45]
	s_waitcnt vmcnt(13)
	v_fma_f64 v[2:3], v[2:3], v[104:105], -v[22:23]
	v_fmac_f64_e32 v[118:119], v[4:5], v[104:105]
	s_waitcnt vmcnt(11)
	v_fma_f64 v[4:5], v[6:7], v[106:107], -v[34:35]
	v_add_f64 v[2:3], v[2:3], 0
	v_fmac_f64_e32 v[120:121], v[8:9], v[106:107]
	s_waitcnt vmcnt(9)
	v_fma_f64 v[6:7], v[10:11], v[108:109], -v[36:37]
	s_waitcnt vmcnt(7)
	v_fmac_f64_e32 v[124:125], v[16:17], v[110:111]
	v_add_f64 v[16:17], v[118:119], 0
	v_add_f64 v[2:3], v[2:3], v[4:5]
	v_fmac_f64_e32 v[122:123], v[12:13], v[108:109]
	v_fma_f64 v[8:9], v[14:15], v[110:111], -v[42:43]
	v_add_f64 v[16:17], v[16:17], v[120:121]
	v_add_f64 v[2:3], v[2:3], v[6:7]
	v_fma_f64 v[10:11], v[18:19], v[40:41], -v[38:39]
	v_add_f64 v[4:5], v[16:17], v[122:123]
	v_add_f64 v[2:3], v[2:3], v[8:9]
	v_fmac_f64_e32 v[126:127], v[20:21], v[40:41]
	s_waitcnt vmcnt(5)
	v_fma_f64 v[12:13], v[26:27], v[112:113], -v[102:103]
	v_add_f64 v[4:5], v[4:5], v[124:125]
	v_add_f64 v[2:3], v[2:3], v[10:11]
	v_fmac_f64_e32 v[128:129], v[28:29], v[112:113]
	s_waitcnt vmcnt(4)
	v_fma_f64 v[14:15], v[30:31], v[100:101], -v[44:45]
	v_add_f64 v[4:5], v[4:5], v[126:127]
	v_add_f64 v[2:3], v[2:3], v[12:13]
	v_fmac_f64_e32 v[130:131], v[32:33], v[100:101]
	v_add_f64 v[4:5], v[4:5], v[128:129]
	v_add_f64 v[2:3], v[2:3], v[14:15]
	;; [unrolled: 1-line block ×3, first 2 shown]
	s_waitcnt vmcnt(2)
	v_add_f64 v[2:3], v[114:115], -v[2:3]
	s_waitcnt vmcnt(0)
	v_add_f64 v[4:5], v[116:117], -v[4:5]
	buffer_store_dword v3, off, s[0:3], 0 offset:308
	buffer_store_dword v2, off, s[0:3], 0 offset:304
	;; [unrolled: 1-line block ×4, first 2 shown]
	s_and_saveexec_b64 s[6:7], vcc
	s_cbranch_execz .LBB90_139
; %bb.138:
	v_accvgpr_read_b32 v5, a28
	buffer_load_dword v2, v5, s[0:3], 0 offen
	buffer_load_dword v3, v5, s[0:3], 0 offen offset:4
	buffer_load_dword v4, v5, s[0:3], 0 offen offset:8
	s_nop 0
	buffer_load_dword v5, v5, s[0:3], 0 offen offset:12
	s_nop 0
	buffer_store_dword v24, off, s[0:3], 0 offset:288
	buffer_store_dword v24, off, s[0:3], 0 offset:292
	;; [unrolled: 1-line block ×4, first 2 shown]
	s_waitcnt vmcnt(4)
	ds_write_b128 v1, v[2:5]
.LBB90_139:
	s_or_b64 exec, exec, s[6:7]
	s_waitcnt lgkmcnt(0)
	; wave barrier
	s_waitcnt lgkmcnt(0)
	ds_read_b128 v[14:17], v24 offset:736
	ds_read_b128 v[10:13], v24 offset:752
	;; [unrolled: 1-line block ×4, first 2 shown]
	buffer_load_dword v20, off, s[0:3], 0 offset:288
	buffer_load_dword v21, off, s[0:3], 0 offset:292
	;; [unrolled: 1-line block ×20, first 2 shown]
	v_cmp_lt_u32_e32 vcc, 17, v193
	s_waitcnt vmcnt(12) lgkmcnt(3)
	v_mul_f64 v[26:27], v[14:15], v[42:43]
	v_fmac_f64_e32 v[26:27], v[16:17], v[22:23]
	v_add_f64 v[26:27], v[26:27], 0
	v_mul_f64 v[16:17], v[16:17], v[42:43]
	s_waitcnt vmcnt(8) lgkmcnt(2)
	v_mul_f64 v[28:29], v[10:11], v[100:101]
	v_fmac_f64_e32 v[28:29], v[12:13], v[44:45]
	v_add_f64 v[26:27], v[26:27], v[28:29]
	v_fma_f64 v[14:15], v[14:15], v[22:23], -v[16:17]
	s_waitcnt vmcnt(4) lgkmcnt(1)
	v_mul_f64 v[28:29], v[6:7], v[104:105]
	v_fmac_f64_e32 v[28:29], v[8:9], v[102:103]
	v_add_f64 v[26:27], v[26:27], v[28:29]
	s_waitcnt vmcnt(0) lgkmcnt(0)
	v_mul_f64 v[28:29], v[2:3], v[108:109]
	v_fmac_f64_e32 v[28:29], v[4:5], v[106:107]
	v_add_f64 v[30:31], v[26:27], v[28:29]
	ds_read_b128 v[26:29], v24 offset:800
	buffer_load_dword v111, off, s[0:3], 0 offset:372
	buffer_load_dword v110, off, s[0:3], 0 offset:368
	;; [unrolled: 1-line block ×4, first 2 shown]
	v_mul_f64 v[12:13], v[12:13], v[100:101]
	v_add_f64 v[14:15], v[14:15], 0
	v_fma_f64 v[10:11], v[10:11], v[44:45], -v[12:13]
	v_mul_f64 v[8:9], v[8:9], v[104:105]
	v_add_f64 v[10:11], v[14:15], v[10:11]
	v_fma_f64 v[6:7], v[6:7], v[102:103], -v[8:9]
	;; [unrolled: 3-line block ×3, first 2 shown]
	v_add_f64 v[2:3], v[6:7], v[2:3]
	s_waitcnt vmcnt(0) lgkmcnt(0)
	v_mul_f64 v[32:33], v[26:27], v[112:113]
	v_fmac_f64_e32 v[32:33], v[28:29], v[110:111]
	v_add_f64 v[34:35], v[30:31], v[32:33]
	ds_read_b128 v[30:33], v24 offset:816
	buffer_load_dword v115, off, s[0:3], 0 offset:388
	buffer_load_dword v114, off, s[0:3], 0 offset:384
	buffer_load_dword v117, off, s[0:3], 0 offset:396
	buffer_load_dword v116, off, s[0:3], 0 offset:392
	v_mul_f64 v[4:5], v[28:29], v[112:113]
	v_fma_f64 v[4:5], v[26:27], v[110:111], -v[4:5]
	v_add_f64 v[2:3], v[2:3], v[4:5]
	s_waitcnt vmcnt(0) lgkmcnt(0)
	v_mul_f64 v[36:37], v[30:31], v[116:117]
	v_fmac_f64_e32 v[36:37], v[32:33], v[114:115]
	v_add_f64 v[38:39], v[34:35], v[36:37]
	ds_read_b128 v[34:37], v24 offset:832
	buffer_load_dword v119, off, s[0:3], 0 offset:404
	buffer_load_dword v118, off, s[0:3], 0 offset:400
	buffer_load_dword v121, off, s[0:3], 0 offset:412
	buffer_load_dword v120, off, s[0:3], 0 offset:408
	v_mul_f64 v[4:5], v[32:33], v[116:117]
	v_fma_f64 v[4:5], v[30:31], v[114:115], -v[4:5]
	;; [unrolled: 12-line block ×3, first 2 shown]
	v_add_f64 v[2:3], v[2:3], v[4:5]
	s_waitcnt vmcnt(0) lgkmcnt(0)
	v_mul_f64 v[4:5], v[40:41], v[124:125]
	v_mul_f64 v[126:127], v[38:39], v[124:125]
	v_fma_f64 v[4:5], v[38:39], v[24:25], -v[4:5]
	v_fmac_f64_e32 v[126:127], v[40:41], v[24:25]
	v_add_f64 v[2:3], v[2:3], v[4:5]
	v_add_f64 v[122:123], v[122:123], v[126:127]
	v_add_f64 v[2:3], v[20:21], -v[2:3]
	v_add_f64 v[4:5], v[18:19], -v[122:123]
	buffer_store_dword v3, off, s[0:3], 0 offset:292
	buffer_store_dword v2, off, s[0:3], 0 offset:288
	;; [unrolled: 1-line block ×4, first 2 shown]
	s_and_saveexec_b64 s[6:7], vcc
	s_cbranch_execz .LBB90_141
; %bb.140:
	v_accvgpr_read_b32 v5, a29
	buffer_load_dword v2, v5, s[0:3], 0 offen
	buffer_load_dword v3, v5, s[0:3], 0 offen offset:4
	buffer_load_dword v4, v5, s[0:3], 0 offen offset:8
	s_nop 0
	buffer_load_dword v5, v5, s[0:3], 0 offen offset:12
	v_mov_b32_e32 v6, 0
	buffer_store_dword v6, off, s[0:3], 0 offset:272
	buffer_store_dword v6, off, s[0:3], 0 offset:276
	;; [unrolled: 1-line block ×4, first 2 shown]
	s_waitcnt vmcnt(4)
	ds_write_b128 v1, v[2:5]
.LBB90_141:
	s_or_b64 exec, exec, s[6:7]
	v_mov_b32_e32 v44, 0
	s_waitcnt lgkmcnt(0)
	; wave barrier
	s_waitcnt lgkmcnt(0)
	ds_read_b128 v[14:17], v44 offset:720
	ds_read_b128 v[10:13], v44 offset:736
	;; [unrolled: 1-line block ×4, first 2 shown]
	buffer_load_dword v24, off, s[0:3], 0 offset:272
	buffer_load_dword v25, off, s[0:3], 0 offset:276
	;; [unrolled: 1-line block ×20, first 2 shown]
	v_cmp_lt_u32_e32 vcc, 16, v193
	s_waitcnt vmcnt(12) lgkmcnt(3)
	v_mul_f64 v[18:19], v[14:15], v[36:37]
	v_fmac_f64_e32 v[18:19], v[16:17], v[26:27]
	v_add_f64 v[18:19], v[18:19], 0
	v_mul_f64 v[16:17], v[16:17], v[36:37]
	s_waitcnt vmcnt(8) lgkmcnt(2)
	v_mul_f64 v[20:21], v[10:11], v[38:39]
	v_fmac_f64_e32 v[20:21], v[12:13], v[32:33]
	v_add_f64 v[18:19], v[18:19], v[20:21]
	v_fma_f64 v[14:15], v[14:15], v[26:27], -v[16:17]
	s_waitcnt vmcnt(4) lgkmcnt(1)
	v_mul_f64 v[20:21], v[6:7], v[40:41]
	v_fmac_f64_e32 v[20:21], v[8:9], v[34:35]
	v_add_f64 v[18:19], v[18:19], v[20:21]
	s_waitcnt vmcnt(0) lgkmcnt(0)
	v_mul_f64 v[20:21], v[2:3], v[42:43]
	v_fmac_f64_e32 v[20:21], v[4:5], v[30:31]
	v_add_f64 v[100:101], v[18:19], v[20:21]
	ds_read_b128 v[18:21], v44 offset:784
	buffer_load_dword v29, off, s[0:3], 0 offset:356
	buffer_load_dword v28, off, s[0:3], 0 offset:352
	;; [unrolled: 1-line block ×4, first 2 shown]
	v_mul_f64 v[12:13], v[12:13], v[38:39]
	v_add_f64 v[14:15], v[14:15], 0
	v_fma_f64 v[10:11], v[10:11], v[32:33], -v[12:13]
	v_mul_f64 v[8:9], v[8:9], v[40:41]
	v_add_f64 v[10:11], v[14:15], v[10:11]
	v_fma_f64 v[6:7], v[6:7], v[34:35], -v[8:9]
	;; [unrolled: 3-line block ×3, first 2 shown]
	v_add_f64 v[2:3], v[6:7], v[2:3]
	s_waitcnt vmcnt(0) lgkmcnt(0)
	v_mul_f64 v[102:103], v[18:19], v[116:117]
	v_fmac_f64_e32 v[102:103], v[20:21], v[28:29]
	v_add_f64 v[104:105], v[100:101], v[102:103]
	ds_read_b128 v[100:103], v44 offset:800
	buffer_load_dword v119, off, s[0:3], 0 offset:372
	buffer_load_dword v118, off, s[0:3], 0 offset:368
	buffer_load_dword v121, off, s[0:3], 0 offset:380
	buffer_load_dword v120, off, s[0:3], 0 offset:376
	v_mul_f64 v[4:5], v[20:21], v[116:117]
	v_fma_f64 v[4:5], v[18:19], v[28:29], -v[4:5]
	v_add_f64 v[2:3], v[2:3], v[4:5]
	s_waitcnt vmcnt(0) lgkmcnt(0)
	v_mul_f64 v[106:107], v[100:101], v[120:121]
	v_fmac_f64_e32 v[106:107], v[102:103], v[118:119]
	v_add_f64 v[108:109], v[104:105], v[106:107]
	ds_read_b128 v[104:107], v44 offset:816
	buffer_load_dword v123, off, s[0:3], 0 offset:388
	buffer_load_dword v122, off, s[0:3], 0 offset:384
	buffer_load_dword v125, off, s[0:3], 0 offset:396
	buffer_load_dword v124, off, s[0:3], 0 offset:392
	v_mul_f64 v[4:5], v[102:103], v[120:121]
	v_fma_f64 v[4:5], v[100:101], v[118:119], -v[4:5]
	;; [unrolled: 12-line block ×4, first 2 shown]
	v_add_f64 v[2:3], v[2:3], v[4:5]
	s_waitcnt vmcnt(0) lgkmcnt(0)
	v_mul_f64 v[4:5], v[114:115], v[134:135]
	v_mul_f64 v[136:137], v[112:113], v[134:135]
	v_fma_f64 v[4:5], v[112:113], v[132:133], -v[4:5]
	v_fmac_f64_e32 v[136:137], v[114:115], v[132:133]
	v_add_f64 v[2:3], v[2:3], v[4:5]
	v_add_f64 v[130:131], v[130:131], v[136:137]
	v_add_f64 v[2:3], v[24:25], -v[2:3]
	v_add_f64 v[4:5], v[22:23], -v[130:131]
	buffer_store_dword v3, off, s[0:3], 0 offset:276
	buffer_store_dword v2, off, s[0:3], 0 offset:272
	;; [unrolled: 1-line block ×4, first 2 shown]
	s_and_saveexec_b64 s[6:7], vcc
	s_cbranch_execz .LBB90_143
; %bb.142:
	v_accvgpr_read_b32 v5, a30
	buffer_load_dword v2, v5, s[0:3], 0 offen
	buffer_load_dword v3, v5, s[0:3], 0 offen offset:4
	buffer_load_dword v4, v5, s[0:3], 0 offen offset:8
	s_nop 0
	buffer_load_dword v5, v5, s[0:3], 0 offen offset:12
	s_nop 0
	buffer_store_dword v44, off, s[0:3], 0 offset:256
	buffer_store_dword v44, off, s[0:3], 0 offset:260
	;; [unrolled: 1-line block ×4, first 2 shown]
	s_waitcnt vmcnt(4)
	ds_write_b128 v1, v[2:5]
.LBB90_143:
	s_or_b64 exec, exec, s[6:7]
	s_waitcnt lgkmcnt(0)
	; wave barrier
	s_waitcnt lgkmcnt(0)
	buffer_load_dword v4, off, s[0:3], 0 offset:272
	buffer_load_dword v5, off, s[0:3], 0 offset:276
	buffer_load_dword v100, off, s[0:3], 0 offset:280
	buffer_load_dword v101, off, s[0:3], 0 offset:284
	buffer_load_dword v102, off, s[0:3], 0 offset:296
	buffer_load_dword v103, off, s[0:3], 0 offset:300
	buffer_load_dword v2, off, s[0:3], 0 offset:312
	buffer_load_dword v3, off, s[0:3], 0 offset:316
	buffer_load_dword v105, off, s[0:3], 0 offset:348
	buffer_load_dword v104, off, s[0:3], 0 offset:344
	buffer_load_dword v107, off, s[0:3], 0 offset:340
	buffer_load_dword v106, off, s[0:3], 0 offset:336
	buffer_load_dword v109, off, s[0:3], 0 offset:332
	buffer_load_dword v108, off, s[0:3], 0 offset:328
	buffer_load_dword v111, off, s[0:3], 0 offset:380
	buffer_load_dword v110, off, s[0:3], 0 offset:376
	buffer_load_dword v113, off, s[0:3], 0 offset:372
	buffer_load_dword v112, off, s[0:3], 0 offset:368
	buffer_load_dword v115, off, s[0:3], 0 offset:364
	buffer_load_dword v114, off, s[0:3], 0 offset:360
	buffer_load_dword v117, off, s[0:3], 0 offset:412
	buffer_load_dword v116, off, s[0:3], 0 offset:408
	buffer_load_dword v119, off, s[0:3], 0 offset:404
	buffer_load_dword v118, off, s[0:3], 0 offset:400
	buffer_load_dword v121, off, s[0:3], 0 offset:396
	buffer_load_dword v120, off, s[0:3], 0 offset:392
	buffer_load_dword v123, off, s[0:3], 0 offset:428
	buffer_load_dword v122, off, s[0:3], 0 offset:424
	buffer_load_dword v124, off, s[0:3], 0 offset:288
	buffer_load_dword v125, off, s[0:3], 0 offset:292
	buffer_load_dword v126, off, s[0:3], 0 offset:304
	buffer_load_dword v127, off, s[0:3], 0 offset:308
	buffer_load_dword v129, off, s[0:3], 0 offset:324
	buffer_load_dword v128, off, s[0:3], 0 offset:320
	buffer_load_dword v131, off, s[0:3], 0 offset:356
	buffer_load_dword v130, off, s[0:3], 0 offset:352
	buffer_load_dword v133, off, s[0:3], 0 offset:388
	buffer_load_dword v132, off, s[0:3], 0 offset:384
	buffer_load_dword v135, off, s[0:3], 0 offset:420
	buffer_load_dword v134, off, s[0:3], 0 offset:416
	buffer_load_dword v136, off, s[0:3], 0 offset:256
	buffer_load_dword v137, off, s[0:3], 0 offset:260
	buffer_load_dword v138, off, s[0:3], 0 offset:264
	buffer_load_dword v139, off, s[0:3], 0 offset:268
	ds_read_b128 v[6:9], v44 offset:704
	ds_read_b128 v[10:13], v44 offset:720
	;; [unrolled: 1-line block ×10, first 2 shown]
	v_cmp_lt_u32_e32 vcc, 15, v193
	s_waitcnt vmcnt(40) lgkmcnt(9)
	v_mul_f64 v[140:141], v[6:7], v[100:101]
	v_mul_f64 v[100:101], v[8:9], v[100:101]
	s_waitcnt vmcnt(38) lgkmcnt(8)
	v_mul_f64 v[142:143], v[10:11], v[102:103]
	v_mul_f64 v[102:103], v[12:13], v[102:103]
	v_fmac_f64_e32 v[140:141], v[8:9], v[4:5]
	v_fma_f64 v[4:5], v[6:7], v[4:5], -v[100:101]
	s_waitcnt vmcnt(36) lgkmcnt(7)
	v_mul_f64 v[144:145], v[14:15], v[2:3]
	v_add_f64 v[4:5], v[4:5], 0
	v_mul_f64 v[2:3], v[16:17], v[2:3]
	v_add_f64 v[8:9], v[140:141], 0
	s_waitcnt vmcnt(30) lgkmcnt(6)
	v_mul_f64 v[146:147], v[18:19], v[108:109]
	s_waitcnt lgkmcnt(5)
	v_mul_f64 v[148:149], v[22:23], v[104:105]
	v_fmac_f64_e32 v[148:149], v[24:25], v[106:107]
	s_waitcnt vmcnt(28) lgkmcnt(3)
	v_mul_f64 v[152:153], v[30:31], v[110:111]
	s_waitcnt vmcnt(26)
	v_fmac_f64_e32 v[152:153], v[32:33], v[112:113]
	s_waitcnt vmcnt(24)
	v_mul_f64 v[150:151], v[26:27], v[114:115]
	s_waitcnt vmcnt(22) lgkmcnt(1)
	v_mul_f64 v[158:159], v[38:39], v[116:117]
	s_waitcnt vmcnt(20)
	v_fmac_f64_e32 v[158:159], v[40:41], v[118:119]
	s_waitcnt vmcnt(18)
	v_mul_f64 v[154:155], v[34:35], v[120:121]
	s_waitcnt vmcnt(16) lgkmcnt(0)
	v_mul_f64 v[160:161], v[42:43], v[122:123]
	s_waitcnt vmcnt(14)
	v_fma_f64 v[6:7], v[10:11], v[124:125], -v[102:103]
	v_add_f64 v[4:5], v[4:5], v[6:7]
	s_waitcnt vmcnt(12)
	v_fma_f64 v[2:3], v[14:15], v[126:127], -v[2:3]
	v_add_f64 v[2:3], v[4:5], v[2:3]
	v_mul_f64 v[4:5], v[20:21], v[108:109]
	s_waitcnt vmcnt(10)
	v_fma_f64 v[4:5], v[18:19], v[128:129], -v[4:5]
	v_add_f64 v[2:3], v[2:3], v[4:5]
	v_mul_f64 v[4:5], v[24:25], v[104:105]
	v_fma_f64 v[4:5], v[22:23], v[106:107], -v[4:5]
	v_add_f64 v[2:3], v[2:3], v[4:5]
	v_mul_f64 v[4:5], v[28:29], v[114:115]
	s_waitcnt vmcnt(8)
	v_fma_f64 v[4:5], v[26:27], v[130:131], -v[4:5]
	v_fmac_f64_e32 v[142:143], v[12:13], v[124:125]
	v_add_f64 v[2:3], v[2:3], v[4:5]
	v_mul_f64 v[4:5], v[32:33], v[110:111]
	v_fmac_f64_e32 v[144:145], v[16:17], v[126:127]
	v_add_f64 v[8:9], v[8:9], v[142:143]
	v_fma_f64 v[4:5], v[30:31], v[112:113], -v[4:5]
	v_fmac_f64_e32 v[146:147], v[20:21], v[128:129]
	v_add_f64 v[6:7], v[8:9], v[144:145]
	v_add_f64 v[2:3], v[2:3], v[4:5]
	v_mul_f64 v[4:5], v[36:37], v[120:121]
	v_add_f64 v[6:7], v[6:7], v[146:147]
	s_waitcnt vmcnt(6)
	v_fma_f64 v[4:5], v[34:35], v[132:133], -v[4:5]
	v_fmac_f64_e32 v[150:151], v[28:29], v[130:131]
	v_add_f64 v[6:7], v[6:7], v[148:149]
	v_add_f64 v[2:3], v[2:3], v[4:5]
	v_mul_f64 v[4:5], v[40:41], v[116:117]
	v_add_f64 v[6:7], v[6:7], v[150:151]
	v_fma_f64 v[4:5], v[38:39], v[118:119], -v[4:5]
	v_fmac_f64_e32 v[154:155], v[36:37], v[132:133]
	v_add_f64 v[6:7], v[6:7], v[152:153]
	v_add_f64 v[2:3], v[2:3], v[4:5]
	v_mul_f64 v[4:5], v[44:45], v[122:123]
	v_add_f64 v[6:7], v[6:7], v[154:155]
	s_waitcnt vmcnt(4)
	v_fma_f64 v[4:5], v[42:43], v[134:135], -v[4:5]
	v_fmac_f64_e32 v[160:161], v[44:45], v[134:135]
	v_add_f64 v[6:7], v[6:7], v[158:159]
	v_add_f64 v[2:3], v[2:3], v[4:5]
	;; [unrolled: 1-line block ×3, first 2 shown]
	s_waitcnt vmcnt(2)
	v_add_f64 v[2:3], v[136:137], -v[2:3]
	s_waitcnt vmcnt(0)
	v_add_f64 v[4:5], v[138:139], -v[6:7]
	buffer_store_dword v3, off, s[0:3], 0 offset:260
	buffer_store_dword v2, off, s[0:3], 0 offset:256
	;; [unrolled: 1-line block ×4, first 2 shown]
	s_and_saveexec_b64 s[6:7], vcc
	s_cbranch_execz .LBB90_145
; %bb.144:
	v_accvgpr_read_b32 v5, a31
	buffer_load_dword v2, v5, s[0:3], 0 offen
	buffer_load_dword v3, v5, s[0:3], 0 offen offset:4
	buffer_load_dword v4, v5, s[0:3], 0 offen offset:8
	s_nop 0
	buffer_load_dword v5, v5, s[0:3], 0 offen offset:12
	v_mov_b32_e32 v6, 0
	buffer_store_dword v6, off, s[0:3], 0 offset:240
	buffer_store_dword v6, off, s[0:3], 0 offset:244
	;; [unrolled: 1-line block ×4, first 2 shown]
	s_waitcnt vmcnt(4)
	ds_write_b128 v1, v[2:5]
.LBB90_145:
	s_or_b64 exec, exec, s[6:7]
	s_waitcnt lgkmcnt(0)
	; wave barrier
	s_waitcnt lgkmcnt(0)
	buffer_load_dword v2, off, s[0:3], 0 offset:256
	buffer_load_dword v3, off, s[0:3], 0 offset:260
	;; [unrolled: 1-line block ×48, first 2 shown]
	v_mov_b32_e32 v12, 0
	ds_read_b128 v[14:17], v12 offset:688
	ds_read_b128 v[18:21], v12 offset:704
	;; [unrolled: 1-line block ×11, first 2 shown]
	v_cmp_lt_u32_e32 vcc, 14, v193
	s_waitcnt vmcnt(44) lgkmcnt(10)
	v_mul_f64 v[150:151], v[14:15], v[6:7]
	v_mul_f64 v[6:7], v[16:17], v[6:7]
	v_fmac_f64_e32 v[150:151], v[16:17], v[2:3]
	v_fma_f64 v[2:3], v[14:15], v[2:3], -v[6:7]
	s_waitcnt vmcnt(40) lgkmcnt(9)
	v_mul_f64 v[152:153], v[18:19], v[8:9]
	v_mul_f64 v[6:7], v[20:21], v[8:9]
	v_fmac_f64_e32 v[152:153], v[20:21], v[4:5]
	v_add_f64 v[2:3], v[2:3], 0
	v_fma_f64 v[4:5], v[18:19], v[4:5], -v[6:7]
	v_add_f64 v[2:3], v[2:3], v[4:5]
	s_waitcnt vmcnt(38) lgkmcnt(8)
	v_mul_f64 v[4:5], v[24:25], v[10:11]
	v_mul_f64 v[154:155], v[22:23], v[10:11]
	v_add_f64 v[150:151], v[150:151], 0
	s_waitcnt vmcnt(32) lgkmcnt(7)
	v_mul_f64 v[158:159], v[26:27], v[116:117]
	v_add_f64 v[150:151], v[150:151], v[152:153]
	s_waitcnt lgkmcnt(6)
	v_mul_f64 v[160:161], v[30:31], v[112:113]
	v_fmac_f64_e32 v[160:161], v[32:33], v[114:115]
	s_waitcnt vmcnt(30) lgkmcnt(4)
	v_mul_f64 v[164:165], v[38:39], v[118:119]
	s_waitcnt vmcnt(26)
	v_mul_f64 v[162:163], v[34:35], v[122:123]
	v_fmac_f64_e32 v[164:165], v[40:41], v[120:121]
	s_waitcnt vmcnt(24) lgkmcnt(2)
	v_mul_f64 v[168:169], v[100:101], v[124:125]
	s_waitcnt vmcnt(22)
	v_fmac_f64_e32 v[168:169], v[102:103], v[126:127]
	s_waitcnt vmcnt(20)
	v_mul_f64 v[166:167], v[42:43], v[128:129]
	s_waitcnt vmcnt(16) lgkmcnt(1)
	v_mul_f64 v[170:171], v[104:105], v[134:135]
	s_waitcnt vmcnt(14)
	v_fma_f64 v[4:5], v[22:23], v[136:137], -v[4:5]
	v_add_f64 v[2:3], v[2:3], v[4:5]
	v_mul_f64 v[4:5], v[28:29], v[116:117]
	s_waitcnt vmcnt(12)
	v_fma_f64 v[4:5], v[26:27], v[138:139], -v[4:5]
	v_add_f64 v[2:3], v[2:3], v[4:5]
	v_mul_f64 v[4:5], v[32:33], v[112:113]
	v_fma_f64 v[4:5], v[30:31], v[114:115], -v[4:5]
	v_add_f64 v[2:3], v[2:3], v[4:5]
	v_mul_f64 v[4:5], v[36:37], v[122:123]
	s_waitcnt vmcnt(10)
	v_fma_f64 v[4:5], v[34:35], v[140:141], -v[4:5]
	v_add_f64 v[2:3], v[2:3], v[4:5]
	v_mul_f64 v[4:5], v[40:41], v[118:119]
	v_fma_f64 v[4:5], v[38:39], v[120:121], -v[4:5]
	v_fmac_f64_e32 v[154:155], v[24:25], v[136:137]
	v_add_f64 v[2:3], v[2:3], v[4:5]
	v_mul_f64 v[4:5], v[44:45], v[128:129]
	v_fmac_f64_e32 v[158:159], v[28:29], v[138:139]
	v_add_f64 v[150:151], v[150:151], v[154:155]
	s_waitcnt vmcnt(8)
	v_fma_f64 v[4:5], v[42:43], v[142:143], -v[4:5]
	v_add_f64 v[150:151], v[150:151], v[158:159]
	v_add_f64 v[2:3], v[2:3], v[4:5]
	v_mul_f64 v[4:5], v[102:103], v[124:125]
	v_fmac_f64_e32 v[162:163], v[36:37], v[140:141]
	v_add_f64 v[150:151], v[150:151], v[160:161]
	v_fma_f64 v[4:5], v[100:101], v[126:127], -v[4:5]
	v_add_f64 v[150:151], v[150:151], v[162:163]
	v_add_f64 v[2:3], v[2:3], v[4:5]
	v_mul_f64 v[4:5], v[106:107], v[134:135]
	v_fmac_f64_e32 v[166:167], v[44:45], v[142:143]
	v_add_f64 v[150:151], v[150:151], v[164:165]
	s_waitcnt vmcnt(6)
	v_fma_f64 v[4:5], v[104:105], v[144:145], -v[4:5]
	v_add_f64 v[150:151], v[150:151], v[166:167]
	v_add_f64 v[2:3], v[2:3], v[4:5]
	s_waitcnt vmcnt(5) lgkmcnt(0)
	v_mul_f64 v[4:5], v[110:111], v[130:131]
	v_fmac_f64_e32 v[170:171], v[106:107], v[144:145]
	v_add_f64 v[150:151], v[150:151], v[168:169]
	v_mul_f64 v[152:153], v[108:109], v[130:131]
	s_waitcnt vmcnt(4)
	v_fma_f64 v[4:5], v[108:109], v[132:133], -v[4:5]
	v_add_f64 v[150:151], v[150:151], v[170:171]
	v_fmac_f64_e32 v[152:153], v[110:111], v[132:133]
	v_add_f64 v[2:3], v[2:3], v[4:5]
	v_add_f64 v[150:151], v[150:151], v[152:153]
	s_waitcnt vmcnt(2)
	v_add_f64 v[2:3], v[146:147], -v[2:3]
	s_waitcnt vmcnt(0)
	v_add_f64 v[4:5], v[148:149], -v[150:151]
	buffer_store_dword v3, off, s[0:3], 0 offset:244
	buffer_store_dword v2, off, s[0:3], 0 offset:240
	buffer_store_dword v5, off, s[0:3], 0 offset:252
	buffer_store_dword v4, off, s[0:3], 0 offset:248
	s_and_saveexec_b64 s[6:7], vcc
	s_cbranch_execz .LBB90_147
; %bb.146:
	v_accvgpr_read_b32 v5, a32
	buffer_load_dword v2, v5, s[0:3], 0 offen
	buffer_load_dword v3, v5, s[0:3], 0 offen offset:4
	buffer_load_dword v4, v5, s[0:3], 0 offen offset:8
	s_nop 0
	buffer_load_dword v5, v5, s[0:3], 0 offen offset:12
	s_nop 0
	buffer_store_dword v12, off, s[0:3], 0 offset:224
	buffer_store_dword v12, off, s[0:3], 0 offset:228
	;; [unrolled: 1-line block ×4, first 2 shown]
	s_waitcnt vmcnt(4)
	ds_write_b128 v1, v[2:5]
.LBB90_147:
	s_or_b64 exec, exec, s[6:7]
	s_waitcnt lgkmcnt(0)
	; wave barrier
	s_waitcnt lgkmcnt(0)
	buffer_load_dword v2, off, s[0:3], 0 offset:240
	buffer_load_dword v3, off, s[0:3], 0 offset:244
	;; [unrolled: 1-line block ×52, first 2 shown]
	ds_read_b128 v[14:17], v12 offset:672
	ds_read_b128 v[18:21], v12 offset:688
	;; [unrolled: 1-line block ×10, first 2 shown]
	v_cmp_lt_u32_e32 vcc, 13, v193
	s_waitcnt vmcnt(48) lgkmcnt(9)
	v_mul_f64 v[108:109], v[14:15], v[6:7]
	v_mul_f64 v[6:7], v[16:17], v[6:7]
	v_fmac_f64_e32 v[108:109], v[16:17], v[2:3]
	v_fma_f64 v[2:3], v[14:15], v[2:3], -v[6:7]
	s_waitcnt vmcnt(44) lgkmcnt(8)
	v_mul_f64 v[110:111], v[18:19], v[8:9]
	v_mul_f64 v[6:7], v[20:21], v[8:9]
	v_fmac_f64_e32 v[110:111], v[20:21], v[4:5]
	v_add_f64 v[2:3], v[2:3], 0
	v_fma_f64 v[4:5], v[18:19], v[4:5], -v[6:7]
	v_add_f64 v[2:3], v[2:3], v[4:5]
	s_waitcnt vmcnt(42) lgkmcnt(7)
	v_mul_f64 v[4:5], v[24:25], v[10:11]
	v_mul_f64 v[112:113], v[22:23], v[10:11]
	v_add_f64 v[108:109], v[108:109], 0
	s_waitcnt vmcnt(36) lgkmcnt(6)
	v_mul_f64 v[114:115], v[26:27], v[120:121]
	v_add_f64 v[108:109], v[108:109], v[110:111]
	s_waitcnt lgkmcnt(5)
	v_mul_f64 v[160:161], v[30:31], v[116:117]
	v_fmac_f64_e32 v[160:161], v[32:33], v[118:119]
	s_waitcnt vmcnt(34) lgkmcnt(3)
	v_mul_f64 v[164:165], v[38:39], v[122:123]
	s_waitcnt vmcnt(30)
	v_mul_f64 v[162:163], v[34:35], v[126:127]
	v_fmac_f64_e32 v[164:165], v[40:41], v[124:125]
	s_waitcnt vmcnt(26) lgkmcnt(2)
	v_mul_f64 v[166:167], v[42:43], v[132:133]
	s_waitcnt vmcnt(25) lgkmcnt(1)
	v_mul_f64 v[168:169], v[100:101], v[128:129]
	s_waitcnt vmcnt(23)
	v_fma_f64 v[4:5], v[22:23], v[134:135], -v[4:5]
	v_add_f64 v[2:3], v[2:3], v[4:5]
	v_mul_f64 v[4:5], v[28:29], v[120:121]
	s_waitcnt vmcnt(21)
	v_fma_f64 v[4:5], v[26:27], v[136:137], -v[4:5]
	v_fmac_f64_e32 v[112:113], v[24:25], v[134:135]
	v_add_f64 v[2:3], v[2:3], v[4:5]
	v_mul_f64 v[4:5], v[32:33], v[116:117]
	v_fmac_f64_e32 v[114:115], v[28:29], v[136:137]
	v_add_f64 v[108:109], v[108:109], v[112:113]
	v_fma_f64 v[4:5], v[30:31], v[118:119], -v[4:5]
	v_add_f64 v[108:109], v[108:109], v[114:115]
	v_add_f64 v[2:3], v[2:3], v[4:5]
	v_mul_f64 v[4:5], v[36:37], v[126:127]
	s_waitcnt vmcnt(19)
	v_fmac_f64_e32 v[162:163], v[36:37], v[138:139]
	v_add_f64 v[108:109], v[108:109], v[160:161]
	v_fma_f64 v[4:5], v[34:35], v[138:139], -v[4:5]
	v_add_f64 v[108:109], v[108:109], v[162:163]
	v_add_f64 v[2:3], v[2:3], v[4:5]
	v_mul_f64 v[4:5], v[40:41], v[122:123]
	s_waitcnt vmcnt(17)
	v_fmac_f64_e32 v[166:167], v[44:45], v[140:141]
	v_add_f64 v[108:109], v[108:109], v[164:165]
	v_fma_f64 v[4:5], v[38:39], v[124:125], -v[4:5]
	s_waitcnt vmcnt(16)
	v_fmac_f64_e32 v[168:169], v[102:103], v[130:131]
	v_add_f64 v[108:109], v[108:109], v[166:167]
	v_add_f64 v[2:3], v[2:3], v[4:5]
	v_mul_f64 v[4:5], v[44:45], v[132:133]
	v_add_f64 v[160:161], v[108:109], v[168:169]
	ds_read_b128 v[108:111], v12 offset:832
	ds_read_b128 v[112:115], v12 offset:848
	v_fma_f64 v[4:5], v[42:43], v[140:141], -v[4:5]
	v_add_f64 v[2:3], v[2:3], v[4:5]
	v_mul_f64 v[4:5], v[102:103], v[128:129]
	v_fma_f64 v[4:5], v[100:101], v[130:131], -v[4:5]
	v_add_f64 v[2:3], v[2:3], v[4:5]
	s_waitcnt vmcnt(12) lgkmcnt(2)
	v_mul_f64 v[4:5], v[106:107], v[146:147]
	v_mul_f64 v[162:163], v[104:105], v[146:147]
	s_waitcnt vmcnt(10)
	v_fma_f64 v[4:5], v[104:105], v[148:149], -v[4:5]
	v_fmac_f64_e32 v[162:163], v[106:107], v[148:149]
	v_add_f64 v[2:3], v[2:3], v[4:5]
	s_waitcnt vmcnt(8) lgkmcnt(1)
	v_mul_f64 v[4:5], v[110:111], v[142:143]
	v_add_f64 v[12:13], v[160:161], v[162:163]
	v_mul_f64 v[160:161], v[108:109], v[142:143]
	v_fma_f64 v[4:5], v[108:109], v[144:145], -v[4:5]
	v_fmac_f64_e32 v[160:161], v[110:111], v[144:145]
	v_add_f64 v[2:3], v[2:3], v[4:5]
	s_waitcnt vmcnt(6) lgkmcnt(0)
	v_mul_f64 v[4:5], v[114:115], v[150:151]
	v_add_f64 v[12:13], v[12:13], v[160:161]
	v_mul_f64 v[160:161], v[112:113], v[150:151]
	s_waitcnt vmcnt(4)
	v_fma_f64 v[4:5], v[112:113], v[152:153], -v[4:5]
	v_fmac_f64_e32 v[160:161], v[114:115], v[152:153]
	v_add_f64 v[2:3], v[2:3], v[4:5]
	v_add_f64 v[12:13], v[12:13], v[160:161]
	s_waitcnt vmcnt(2)
	v_add_f64 v[2:3], v[154:155], -v[2:3]
	s_waitcnt vmcnt(0)
	v_add_f64 v[4:5], v[158:159], -v[12:13]
	buffer_store_dword v3, off, s[0:3], 0 offset:228
	buffer_store_dword v2, off, s[0:3], 0 offset:224
	;; [unrolled: 1-line block ×4, first 2 shown]
	s_and_saveexec_b64 s[6:7], vcc
	s_cbranch_execz .LBB90_149
; %bb.148:
	v_accvgpr_read_b32 v5, a34
	buffer_load_dword v2, v5, s[0:3], 0 offen
	buffer_load_dword v3, v5, s[0:3], 0 offen offset:4
	buffer_load_dword v4, v5, s[0:3], 0 offen offset:8
	s_nop 0
	buffer_load_dword v5, v5, s[0:3], 0 offen offset:12
	v_mov_b32_e32 v6, 0
	buffer_store_dword v6, off, s[0:3], 0 offset:208
	buffer_store_dword v6, off, s[0:3], 0 offset:212
	;; [unrolled: 1-line block ×4, first 2 shown]
	s_waitcnt vmcnt(4)
	ds_write_b128 v1, v[2:5]
.LBB90_149:
	s_or_b64 exec, exec, s[6:7]
	s_waitcnt lgkmcnt(0)
	; wave barrier
	s_waitcnt lgkmcnt(0)
	buffer_load_dword v2, off, s[0:3], 0 offset:224
	buffer_load_dword v3, off, s[0:3], 0 offset:228
	;; [unrolled: 1-line block ×56, first 2 shown]
	v_mov_b32_e32 v24, 0
	ds_read_b128 v[18:21], v24 offset:656
	ds_read_b128 v[26:29], v24 offset:672
	ds_read_b128 v[30:33], v24 offset:688
	ds_read_b128 v[34:37], v24 offset:704
	ds_read_b128 v[38:41], v24 offset:720
	ds_read_b128 v[42:45], v24 offset:736
	ds_read_b128 v[100:103], v24 offset:752
	ds_read_b128 v[104:107], v24 offset:768
	ds_read_b128 v[124:127], v24 offset:848
	v_cmp_lt_u32_e32 vcc, 12, v193
	s_waitcnt vmcnt(52) lgkmcnt(8)
	v_mul_f64 v[108:109], v[18:19], v[6:7]
	v_fmac_f64_e32 v[108:109], v[20:21], v[2:3]
	v_mul_f64 v[6:7], v[20:21], v[6:7]
	v_add_f64 v[108:109], v[108:109], 0
	s_waitcnt vmcnt(48) lgkmcnt(7)
	v_mul_f64 v[110:111], v[26:27], v[8:9]
	v_fmac_f64_e32 v[110:111], v[28:29], v[4:5]
	s_waitcnt vmcnt(46) lgkmcnt(6)
	v_mul_f64 v[112:113], v[30:31], v[10:11]
	v_fma_f64 v[2:3], v[18:19], v[2:3], -v[6:7]
	v_mul_f64 v[6:7], v[28:29], v[8:9]
	v_add_f64 v[108:109], v[108:109], v[110:111]
	v_add_f64 v[2:3], v[2:3], 0
	v_fma_f64 v[4:5], v[26:27], v[4:5], -v[6:7]
	s_waitcnt vmcnt(40) lgkmcnt(5)
	v_mul_f64 v[114:115], v[34:35], v[16:17]
	s_waitcnt lgkmcnt(4)
	v_mul_f64 v[116:117], v[38:39], v[12:13]
	v_add_f64 v[2:3], v[2:3], v[4:5]
	v_mul_f64 v[4:5], v[32:33], v[10:11]
	s_waitcnt vmcnt(36) lgkmcnt(3)
	v_mul_f64 v[118:119], v[42:43], v[130:131]
	v_fmac_f64_e32 v[116:117], v[40:41], v[14:15]
	s_waitcnt vmcnt(35) lgkmcnt(2)
	v_mul_f64 v[120:121], v[100:101], v[22:23]
	s_waitcnt vmcnt(33)
	v_fmac_f64_e32 v[112:113], v[32:33], v[132:133]
	v_add_f64 v[108:109], v[108:109], v[112:113]
	s_waitcnt vmcnt(31)
	v_fmac_f64_e32 v[114:115], v[36:37], v[134:135]
	v_add_f64 v[108:109], v[108:109], v[114:115]
	v_fma_f64 v[4:5], v[30:31], v[132:133], -v[4:5]
	s_waitcnt vmcnt(29)
	v_fmac_f64_e32 v[118:119], v[44:45], v[136:137]
	v_add_f64 v[108:109], v[108:109], v[116:117]
	v_add_f64 v[2:3], v[2:3], v[4:5]
	v_mul_f64 v[4:5], v[36:37], v[16:17]
	s_waitcnt vmcnt(28)
	v_fmac_f64_e32 v[120:121], v[102:103], v[128:129]
	v_add_f64 v[108:109], v[108:109], v[118:119]
	v_fma_f64 v[4:5], v[34:35], v[134:135], -v[4:5]
	v_add_f64 v[112:113], v[108:109], v[120:121]
	ds_read_b128 v[108:111], v24 offset:784
	s_waitcnt vmcnt(24) lgkmcnt(2)
	v_mul_f64 v[114:115], v[104:105], v[142:143]
	v_add_f64 v[2:3], v[2:3], v[4:5]
	v_mul_f64 v[4:5], v[40:41], v[12:13]
	s_waitcnt vmcnt(22)
	v_fmac_f64_e32 v[114:115], v[106:107], v[144:145]
	v_fma_f64 v[4:5], v[38:39], v[14:15], -v[4:5]
	v_add_f64 v[116:117], v[112:113], v[114:115]
	ds_read_b128 v[112:115], v24 offset:800
	v_add_f64 v[2:3], v[2:3], v[4:5]
	v_mul_f64 v[4:5], v[44:45], v[130:131]
	v_fma_f64 v[4:5], v[42:43], v[136:137], -v[4:5]
	v_add_f64 v[2:3], v[2:3], v[4:5]
	v_mul_f64 v[4:5], v[102:103], v[22:23]
	s_waitcnt vmcnt(20) lgkmcnt(1)
	v_mul_f64 v[118:119], v[108:109], v[138:139]
	v_fma_f64 v[4:5], v[100:101], v[128:129], -v[4:5]
	v_fmac_f64_e32 v[118:119], v[110:111], v[140:141]
	v_add_f64 v[2:3], v[2:3], v[4:5]
	v_mul_f64 v[4:5], v[106:107], v[142:143]
	v_add_f64 v[120:121], v[116:117], v[118:119]
	ds_read_b128 v[116:119], v24 offset:816
	s_waitcnt vmcnt(16) lgkmcnt(1)
	v_mul_f64 v[122:123], v[112:113], v[150:151]
	v_fma_f64 v[4:5], v[104:105], v[144:145], -v[4:5]
	s_waitcnt vmcnt(14)
	v_fmac_f64_e32 v[122:123], v[114:115], v[152:153]
	v_add_f64 v[2:3], v[2:3], v[4:5]
	v_mul_f64 v[4:5], v[110:111], v[138:139]
	v_add_f64 v[168:169], v[120:121], v[122:123]
	ds_read_b128 v[120:123], v24 offset:832
	v_fma_f64 v[4:5], v[108:109], v[140:141], -v[4:5]
	v_add_f64 v[2:3], v[2:3], v[4:5]
	v_mul_f64 v[4:5], v[114:115], v[150:151]
	v_fma_f64 v[4:5], v[112:113], v[152:153], -v[4:5]
	v_add_f64 v[2:3], v[2:3], v[4:5]
	s_waitcnt vmcnt(12) lgkmcnt(1)
	v_mul_f64 v[4:5], v[118:119], v[146:147]
	v_mul_f64 v[170:171], v[116:117], v[146:147]
	v_fma_f64 v[4:5], v[116:117], v[148:149], -v[4:5]
	v_fmac_f64_e32 v[170:171], v[118:119], v[148:149]
	v_add_f64 v[2:3], v[2:3], v[4:5]
	s_waitcnt vmcnt(8) lgkmcnt(0)
	v_mul_f64 v[4:5], v[122:123], v[160:161]
	v_add_f64 v[168:169], v[168:169], v[170:171]
	v_mul_f64 v[170:171], v[120:121], v[160:161]
	s_waitcnt vmcnt(6)
	v_fma_f64 v[4:5], v[120:121], v[162:163], -v[4:5]
	v_fmac_f64_e32 v[170:171], v[122:123], v[162:163]
	v_add_f64 v[2:3], v[2:3], v[4:5]
	s_waitcnt vmcnt(5)
	v_mul_f64 v[4:5], v[126:127], v[154:155]
	v_add_f64 v[168:169], v[168:169], v[170:171]
	v_mul_f64 v[170:171], v[124:125], v[154:155]
	s_waitcnt vmcnt(4)
	v_fma_f64 v[4:5], v[124:125], v[158:159], -v[4:5]
	v_fmac_f64_e32 v[170:171], v[126:127], v[158:159]
	v_add_f64 v[2:3], v[2:3], v[4:5]
	v_add_f64 v[168:169], v[168:169], v[170:171]
	s_waitcnt vmcnt(2)
	v_add_f64 v[2:3], v[164:165], -v[2:3]
	s_waitcnt vmcnt(0)
	v_add_f64 v[4:5], v[166:167], -v[168:169]
	buffer_store_dword v3, off, s[0:3], 0 offset:212
	buffer_store_dword v2, off, s[0:3], 0 offset:208
	;; [unrolled: 1-line block ×4, first 2 shown]
	s_and_saveexec_b64 s[6:7], vcc
	s_cbranch_execz .LBB90_151
; %bb.150:
	v_accvgpr_read_b32 v5, a33
	buffer_load_dword v2, v5, s[0:3], 0 offen
	buffer_load_dword v3, v5, s[0:3], 0 offen offset:4
	buffer_load_dword v4, v5, s[0:3], 0 offen offset:8
	s_nop 0
	buffer_load_dword v5, v5, s[0:3], 0 offen offset:12
	s_nop 0
	buffer_store_dword v24, off, s[0:3], 0 offset:192
	buffer_store_dword v24, off, s[0:3], 0 offset:196
	;; [unrolled: 1-line block ×4, first 2 shown]
	s_waitcnt vmcnt(4)
	ds_write_b128 v1, v[2:5]
.LBB90_151:
	s_or_b64 exec, exec, s[6:7]
	s_waitcnt lgkmcnt(0)
	; wave barrier
	s_waitcnt lgkmcnt(0)
	buffer_load_dword v2, off, s[0:3], 0 offset:208
	buffer_load_dword v3, off, s[0:3], 0 offset:212
	;; [unrolled: 1-line block ×60, first 2 shown]
	ds_read_b128 v[26:29], v24 offset:640
	ds_read_b128 v[30:33], v24 offset:656
	;; [unrolled: 1-line block ×8, first 2 shown]
	v_cmp_lt_u32_e32 vcc, 11, v193
	ds_read_b128 v[132:135], v24 offset:848
	s_waitcnt vmcnt(56) lgkmcnt(8)
	v_mul_f64 v[112:113], v[26:27], v[6:7]
	v_fmac_f64_e32 v[112:113], v[28:29], v[2:3]
	v_add_f64 v[112:113], v[112:113], 0
	v_mul_f64 v[6:7], v[28:29], v[6:7]
	s_waitcnt vmcnt(52) lgkmcnt(7)
	v_mul_f64 v[114:115], v[30:31], v[8:9]
	v_fmac_f64_e32 v[114:115], v[32:33], v[4:5]
	s_waitcnt vmcnt(50) lgkmcnt(6)
	v_mul_f64 v[116:117], v[34:35], v[10:11]
	v_add_f64 v[112:113], v[112:113], v[114:115]
	s_waitcnt vmcnt(48) lgkmcnt(4)
	v_mul_f64 v[120:121], v[42:43], v[12:13]
	v_fma_f64 v[2:3], v[26:27], v[2:3], -v[6:7]
	s_waitcnt vmcnt(46)
	v_fmac_f64_e32 v[120:121], v[44:45], v[14:15]
	v_mul_f64 v[6:7], v[32:33], v[8:9]
	s_waitcnt vmcnt(44)
	v_mul_f64 v[118:119], v[38:39], v[16:17]
	v_add_f64 v[2:3], v[2:3], 0
	v_fma_f64 v[4:5], v[30:31], v[4:5], -v[6:7]
	v_add_f64 v[2:3], v[2:3], v[4:5]
	s_waitcnt vmcnt(40) lgkmcnt(3)
	v_mul_f64 v[122:123], v[100:101], v[22:23]
	v_mul_f64 v[4:5], v[36:37], v[10:11]
	s_waitcnt vmcnt(38)
	v_fmac_f64_e32 v[116:117], v[36:37], v[136:137]
	v_add_f64 v[112:113], v[112:113], v[116:117]
	s_waitcnt vmcnt(36)
	v_fmac_f64_e32 v[118:119], v[40:41], v[138:139]
	v_add_f64 v[112:113], v[112:113], v[118:119]
	;; [unrolled: 3-line block ×3, first 2 shown]
	s_waitcnt vmcnt(32) lgkmcnt(2)
	v_mul_f64 v[114:115], v[104:105], v[18:19]
	v_add_f64 v[112:113], v[112:113], v[122:123]
	v_fmac_f64_e32 v[114:115], v[106:107], v[20:21]
	v_add_f64 v[116:117], v[112:113], v[114:115]
	ds_read_b128 v[112:115], v24 offset:768
	v_fma_f64 v[4:5], v[34:35], v[136:137], -v[4:5]
	v_add_f64 v[2:3], v[2:3], v[4:5]
	v_mul_f64 v[4:5], v[40:41], v[16:17]
	v_fma_f64 v[4:5], v[38:39], v[138:139], -v[4:5]
	s_waitcnt vmcnt(28) lgkmcnt(2)
	v_mul_f64 v[118:119], v[108:109], v[146:147]
	v_add_f64 v[2:3], v[2:3], v[4:5]
	v_mul_f64 v[4:5], v[44:45], v[12:13]
	s_waitcnt vmcnt(26)
	v_fmac_f64_e32 v[118:119], v[110:111], v[148:149]
	v_fma_f64 v[4:5], v[42:43], v[14:15], -v[4:5]
	v_add_f64 v[120:121], v[116:117], v[118:119]
	ds_read_b128 v[116:119], v24 offset:784
	s_waitcnt vmcnt(24) lgkmcnt(1)
	v_mul_f64 v[122:123], v[112:113], v[142:143]
	v_add_f64 v[2:3], v[2:3], v[4:5]
	v_mul_f64 v[4:5], v[102:103], v[22:23]
	v_fmac_f64_e32 v[122:123], v[114:115], v[144:145]
	v_fma_f64 v[4:5], v[100:101], v[140:141], -v[4:5]
	v_add_f64 v[124:125], v[120:121], v[122:123]
	ds_read_b128 v[120:123], v24 offset:800
	v_add_f64 v[2:3], v[2:3], v[4:5]
	v_mul_f64 v[4:5], v[106:107], v[18:19]
	v_fma_f64 v[4:5], v[104:105], v[20:21], -v[4:5]
	v_add_f64 v[2:3], v[2:3], v[4:5]
	v_mul_f64 v[4:5], v[110:111], v[146:147]
	s_waitcnt vmcnt(20) lgkmcnt(1)
	v_mul_f64 v[126:127], v[116:117], v[154:155]
	v_fma_f64 v[4:5], v[108:109], v[148:149], -v[4:5]
	s_waitcnt vmcnt(18)
	v_fmac_f64_e32 v[126:127], v[118:119], v[158:159]
	v_add_f64 v[2:3], v[2:3], v[4:5]
	v_mul_f64 v[4:5], v[114:115], v[142:143]
	v_add_f64 v[128:129], v[124:125], v[126:127]
	ds_read_b128 v[124:127], v24 offset:816
	s_waitcnt vmcnt(16) lgkmcnt(1)
	v_mul_f64 v[130:131], v[120:121], v[150:151]
	v_fma_f64 v[4:5], v[112:113], v[144:145], -v[4:5]
	v_fmac_f64_e32 v[130:131], v[122:123], v[152:153]
	v_add_f64 v[2:3], v[2:3], v[4:5]
	v_mul_f64 v[4:5], v[118:119], v[154:155]
	v_add_f64 v[176:177], v[128:129], v[130:131]
	ds_read_b128 v[128:131], v24 offset:832
	v_fma_f64 v[4:5], v[116:117], v[158:159], -v[4:5]
	v_add_f64 v[2:3], v[2:3], v[4:5]
	v_mul_f64 v[4:5], v[122:123], v[150:151]
	v_fma_f64 v[4:5], v[120:121], v[152:153], -v[4:5]
	v_add_f64 v[2:3], v[2:3], v[4:5]
	s_waitcnt vmcnt(12) lgkmcnt(1)
	v_mul_f64 v[4:5], v[126:127], v[164:165]
	v_mul_f64 v[178:179], v[124:125], v[164:165]
	s_waitcnt vmcnt(10)
	v_fma_f64 v[4:5], v[124:125], v[166:167], -v[4:5]
	v_fmac_f64_e32 v[178:179], v[126:127], v[166:167]
	v_add_f64 v[2:3], v[2:3], v[4:5]
	s_waitcnt vmcnt(8) lgkmcnt(0)
	v_mul_f64 v[4:5], v[130:131], v[160:161]
	v_add_f64 v[24:25], v[176:177], v[178:179]
	v_mul_f64 v[176:177], v[128:129], v[160:161]
	v_fma_f64 v[4:5], v[128:129], v[162:163], -v[4:5]
	v_fmac_f64_e32 v[176:177], v[130:131], v[162:163]
	v_add_f64 v[2:3], v[2:3], v[4:5]
	s_waitcnt vmcnt(6)
	v_mul_f64 v[4:5], v[134:135], v[168:169]
	v_add_f64 v[24:25], v[24:25], v[176:177]
	v_mul_f64 v[176:177], v[132:133], v[168:169]
	s_waitcnt vmcnt(4)
	v_fma_f64 v[4:5], v[132:133], v[170:171], -v[4:5]
	v_fmac_f64_e32 v[176:177], v[134:135], v[170:171]
	v_add_f64 v[2:3], v[2:3], v[4:5]
	v_add_f64 v[24:25], v[24:25], v[176:177]
	s_waitcnt vmcnt(2)
	v_add_f64 v[2:3], v[172:173], -v[2:3]
	s_waitcnt vmcnt(0)
	v_add_f64 v[4:5], v[174:175], -v[24:25]
	buffer_store_dword v3, off, s[0:3], 0 offset:196
	buffer_store_dword v2, off, s[0:3], 0 offset:192
	;; [unrolled: 1-line block ×4, first 2 shown]
	s_and_saveexec_b64 s[6:7], vcc
	s_cbranch_execz .LBB90_153
; %bb.152:
	v_accvgpr_read_b32 v5, a38
	buffer_load_dword v2, v5, s[0:3], 0 offen
	buffer_load_dword v3, v5, s[0:3], 0 offen offset:4
	buffer_load_dword v4, v5, s[0:3], 0 offen offset:8
	s_nop 0
	buffer_load_dword v5, v5, s[0:3], 0 offen offset:12
	v_mov_b32_e32 v6, 0
	buffer_store_dword v6, off, s[0:3], 0 offset:176
	buffer_store_dword v6, off, s[0:3], 0 offset:180
	buffer_store_dword v6, off, s[0:3], 0 offset:184
	buffer_store_dword v6, off, s[0:3], 0 offset:188
	s_waitcnt vmcnt(4)
	ds_write_b128 v1, v[2:5]
.LBB90_153:
	s_or_b64 exec, exec, s[6:7]
	s_waitcnt lgkmcnt(0)
	; wave barrier
	s_waitcnt lgkmcnt(0)
	buffer_load_dword v2, off, s[0:3], 0 offset:192
	buffer_load_dword v3, off, s[0:3], 0 offset:196
	;; [unrolled: 1-line block ×64, first 2 shown]
	v_mov_b32_e32 v38, 0
	ds_read_b128 v[30:33], v38 offset:624
	ds_read_b128 v[34:37], v38 offset:640
	;; [unrolled: 1-line block ×7, first 2 shown]
	v_cmp_lt_u32_e32 vcc, 10, v193
	s_waitcnt vmcnt(60) lgkmcnt(6)
	v_mul_f64 v[112:113], v[30:31], v[6:7]
	v_fmac_f64_e32 v[112:113], v[32:33], v[2:3]
	v_add_f64 v[112:113], v[112:113], 0
	v_mul_f64 v[6:7], v[32:33], v[6:7]
	s_waitcnt vmcnt(56) lgkmcnt(5)
	v_mul_f64 v[114:115], v[34:35], v[8:9]
	v_fmac_f64_e32 v[114:115], v[36:37], v[4:5]
	s_waitcnt vmcnt(54) lgkmcnt(4)
	v_mul_f64 v[116:117], v[40:41], v[10:11]
	v_add_f64 v[112:113], v[112:113], v[114:115]
	v_fma_f64 v[2:3], v[30:31], v[2:3], -v[6:7]
	v_mul_f64 v[6:7], v[36:37], v[8:9]
	s_waitcnt vmcnt(50) lgkmcnt(3)
	v_mul_f64 v[118:119], v[100:101], v[16:17]
	s_waitcnt vmcnt(49) lgkmcnt(2)
	v_mul_f64 v[120:121], v[104:105], v[12:13]
	v_add_f64 v[2:3], v[2:3], 0
	s_waitcnt vmcnt(47)
	v_fmac_f64_e32 v[116:117], v[42:43], v[20:21]
	v_add_f64 v[112:113], v[112:113], v[116:117]
	s_waitcnt vmcnt(45)
	v_fmac_f64_e32 v[118:119], v[102:103], v[18:19]
	;; [unrolled: 3-line block ×3, first 2 shown]
	v_add_f64 v[116:117], v[112:113], v[120:121]
	ds_read_b128 v[112:115], v38 offset:720
	s_waitcnt vmcnt(40) lgkmcnt(2)
	v_mul_f64 v[118:119], v[108:109], v[26:27]
	v_fma_f64 v[4:5], v[34:35], v[4:5], -v[6:7]
	s_waitcnt vmcnt(38)
	v_fmac_f64_e32 v[118:119], v[110:111], v[28:29]
	v_add_f64 v[120:121], v[116:117], v[118:119]
	ds_read_b128 v[116:119], v38 offset:736
	s_waitcnt vmcnt(36) lgkmcnt(1)
	v_mul_f64 v[122:123], v[112:113], v[22:23]
	v_fmac_f64_e32 v[122:123], v[114:115], v[24:25]
	v_add_f64 v[2:3], v[2:3], v[4:5]
	v_mul_f64 v[4:5], v[42:43], v[10:11]
	v_add_f64 v[124:125], v[120:121], v[122:123]
	ds_read_b128 v[120:123], v38 offset:752
	s_waitcnt vmcnt(32) lgkmcnt(1)
	v_mul_f64 v[126:127], v[116:117], v[150:151]
	v_fma_f64 v[4:5], v[40:41], v[20:21], -v[4:5]
	s_waitcnt vmcnt(30)
	v_fmac_f64_e32 v[126:127], v[118:119], v[152:153]
	v_add_f64 v[2:3], v[2:3], v[4:5]
	v_mul_f64 v[4:5], v[102:103], v[16:17]
	v_add_f64 v[128:129], v[124:125], v[126:127]
	ds_read_b128 v[124:127], v38 offset:768
	v_fma_f64 v[4:5], v[100:101], v[18:19], -v[4:5]
	v_add_f64 v[2:3], v[2:3], v[4:5]
	v_mul_f64 v[4:5], v[106:107], v[12:13]
	v_fma_f64 v[4:5], v[104:105], v[14:15], -v[4:5]
	s_waitcnt vmcnt(28) lgkmcnt(1)
	v_mul_f64 v[130:131], v[120:121], v[44:45]
	v_add_f64 v[2:3], v[2:3], v[4:5]
	v_mul_f64 v[4:5], v[110:111], v[26:27]
	v_fmac_f64_e32 v[130:131], v[122:123], v[148:149]
	v_fma_f64 v[4:5], v[108:109], v[28:29], -v[4:5]
	v_add_f64 v[132:133], v[128:129], v[130:131]
	ds_read_b128 v[128:131], v38 offset:784
	s_waitcnt vmcnt(24) lgkmcnt(1)
	v_mul_f64 v[134:135], v[124:125], v[160:161]
	v_add_f64 v[2:3], v[2:3], v[4:5]
	v_mul_f64 v[4:5], v[114:115], v[22:23]
	s_waitcnt vmcnt(22)
	v_fmac_f64_e32 v[134:135], v[126:127], v[162:163]
	v_fma_f64 v[4:5], v[112:113], v[24:25], -v[4:5]
	v_add_f64 v[136:137], v[132:133], v[134:135]
	ds_read_b128 v[132:135], v38 offset:800
	v_add_f64 v[2:3], v[2:3], v[4:5]
	v_mul_f64 v[4:5], v[118:119], v[150:151]
	v_fma_f64 v[4:5], v[116:117], v[152:153], -v[4:5]
	v_add_f64 v[2:3], v[2:3], v[4:5]
	v_mul_f64 v[4:5], v[122:123], v[44:45]
	s_waitcnt vmcnt(20) lgkmcnt(1)
	v_mul_f64 v[138:139], v[128:129], v[154:155]
	v_fma_f64 v[4:5], v[120:121], v[148:149], -v[4:5]
	v_fmac_f64_e32 v[138:139], v[130:131], v[158:159]
	v_add_f64 v[2:3], v[2:3], v[4:5]
	v_mul_f64 v[4:5], v[126:127], v[160:161]
	v_add_f64 v[140:141], v[136:137], v[138:139]
	ds_read_b128 v[136:139], v38 offset:816
	s_waitcnt vmcnt(16) lgkmcnt(1)
	v_mul_f64 v[142:143], v[132:133], v[168:169]
	v_fma_f64 v[4:5], v[124:125], v[162:163], -v[4:5]
	s_waitcnt vmcnt(14)
	v_fmac_f64_e32 v[142:143], v[134:135], v[170:171]
	v_add_f64 v[2:3], v[2:3], v[4:5]
	v_mul_f64 v[4:5], v[130:131], v[154:155]
	v_add_f64 v[184:185], v[140:141], v[142:143]
	ds_read_b128 v[140:143], v38 offset:832
	v_fma_f64 v[4:5], v[128:129], v[158:159], -v[4:5]
	v_add_f64 v[2:3], v[2:3], v[4:5]
	v_mul_f64 v[4:5], v[134:135], v[168:169]
	v_fma_f64 v[4:5], v[132:133], v[170:171], -v[4:5]
	v_add_f64 v[2:3], v[2:3], v[4:5]
	s_waitcnt vmcnt(12) lgkmcnt(1)
	v_mul_f64 v[4:5], v[138:139], v[164:165]
	v_mul_f64 v[186:187], v[136:137], v[164:165]
	v_fma_f64 v[4:5], v[136:137], v[166:167], -v[4:5]
	v_fmac_f64_e32 v[186:187], v[138:139], v[166:167]
	v_add_f64 v[2:3], v[2:3], v[4:5]
	s_waitcnt vmcnt(8) lgkmcnt(0)
	v_mul_f64 v[4:5], v[142:143], v[176:177]
	v_add_f64 v[184:185], v[184:185], v[186:187]
	v_mul_f64 v[186:187], v[140:141], v[176:177]
	s_waitcnt vmcnt(6)
	v_fma_f64 v[4:5], v[140:141], v[178:179], -v[4:5]
	v_fmac_f64_e32 v[186:187], v[142:143], v[178:179]
	v_add_f64 v[2:3], v[2:3], v[4:5]
	s_waitcnt vmcnt(5)
	v_mul_f64 v[4:5], v[146:147], v[172:173]
	v_add_f64 v[184:185], v[184:185], v[186:187]
	v_mul_f64 v[186:187], v[144:145], v[172:173]
	s_waitcnt vmcnt(4)
	v_fma_f64 v[4:5], v[144:145], v[174:175], -v[4:5]
	v_fmac_f64_e32 v[186:187], v[146:147], v[174:175]
	v_add_f64 v[2:3], v[2:3], v[4:5]
	v_add_f64 v[184:185], v[184:185], v[186:187]
	s_waitcnt vmcnt(2)
	v_add_f64 v[2:3], v[180:181], -v[2:3]
	s_waitcnt vmcnt(0)
	v_add_f64 v[4:5], v[182:183], -v[184:185]
	buffer_store_dword v3, off, s[0:3], 0 offset:180
	buffer_store_dword v2, off, s[0:3], 0 offset:176
	;; [unrolled: 1-line block ×4, first 2 shown]
	s_and_saveexec_b64 s[6:7], vcc
	s_cbranch_execz .LBB90_155
; %bb.154:
	v_accvgpr_read_b32 v5, a36
	buffer_load_dword v2, v5, s[0:3], 0 offen
	buffer_load_dword v3, v5, s[0:3], 0 offen offset:4
	buffer_load_dword v4, v5, s[0:3], 0 offen offset:8
	s_nop 0
	buffer_load_dword v5, v5, s[0:3], 0 offen offset:12
	s_nop 0
	buffer_store_dword v38, off, s[0:3], 0 offset:160
	buffer_store_dword v38, off, s[0:3], 0 offset:164
	;; [unrolled: 1-line block ×4, first 2 shown]
	s_waitcnt vmcnt(4)
	ds_write_b128 v1, v[2:5]
.LBB90_155:
	s_or_b64 exec, exec, s[6:7]
	s_waitcnt lgkmcnt(0)
	; wave barrier
	s_waitcnt lgkmcnt(0)
	buffer_load_dword v2, off, s[0:3], 0 offset:176
	buffer_load_dword v3, off, s[0:3], 0 offset:180
	;; [unrolled: 1-line block ×64, first 2 shown]
	ds_read_b128 v[40:43], v38 offset:608
	ds_read_b128 v[100:103], v38 offset:624
	;; [unrolled: 1-line block ×4, first 2 shown]
	buffer_load_dword v194, off, s[0:3], 0 offset:160
	buffer_load_dword v195, off, s[0:3], 0 offset:164
	;; [unrolled: 1-line block ×4, first 2 shown]
	v_cmp_lt_u32_e32 vcc, 9, v193
	ds_read_b128 v[158:161], v38 offset:848
	s_waitcnt vmcnt(62) lgkmcnt(4)
	v_mul_f64 v[112:113], v[40:41], v[4:5]
	v_fmac_f64_e32 v[112:113], v[42:43], v[2:3]
	s_waitcnt lgkmcnt(3)
	v_mul_f64 v[114:115], v[100:101], v[6:7]
	v_add_f64 v[112:113], v[112:113], 0
	s_waitcnt vmcnt(60) lgkmcnt(2)
	v_mul_f64 v[116:117], v[104:105], v[8:9]
	v_mul_f64 v[4:5], v[42:43], v[4:5]
	v_fma_f64 v[2:3], v[40:41], v[2:3], -v[4:5]
	v_mul_f64 v[4:5], v[102:103], v[6:7]
	s_waitcnt vmcnt(56) lgkmcnt(1)
	v_mul_f64 v[118:119], v[108:109], v[14:15]
	v_add_f64 v[2:3], v[2:3], 0
	s_waitcnt vmcnt(54)
	v_fmac_f64_e32 v[114:115], v[102:103], v[20:21]
	v_add_f64 v[120:121], v[112:113], v[114:115]
	ds_read_b128 v[112:115], v38 offset:672
	s_waitcnt vmcnt(52)
	v_fmac_f64_e32 v[116:117], v[106:107], v[18:19]
	v_add_f64 v[116:117], v[120:121], v[116:117]
	s_waitcnt vmcnt(50)
	v_fmac_f64_e32 v[118:119], v[110:111], v[16:17]
	v_add_f64 v[120:121], v[116:117], v[118:119]
	ds_read_b128 v[116:119], v38 offset:688
	s_waitcnt vmcnt(48) lgkmcnt(1)
	v_mul_f64 v[122:123], v[112:113], v[10:11]
	v_fmac_f64_e32 v[122:123], v[114:115], v[12:13]
	v_add_f64 v[124:125], v[120:121], v[122:123]
	ds_read_b128 v[120:123], v38 offset:704
	s_waitcnt vmcnt(44) lgkmcnt(1)
	v_mul_f64 v[126:127], v[116:117], v[26:27]
	s_waitcnt vmcnt(42)
	v_fmac_f64_e32 v[126:127], v[118:119], v[28:29]
	v_add_f64 v[128:129], v[124:125], v[126:127]
	ds_read_b128 v[124:127], v38 offset:720
	s_waitcnt vmcnt(40) lgkmcnt(1)
	v_mul_f64 v[130:131], v[120:121], v[22:23]
	v_fmac_f64_e32 v[130:131], v[122:123], v[24:25]
	v_add_f64 v[132:133], v[128:129], v[130:131]
	ds_read_b128 v[128:131], v38 offset:736
	v_fma_f64 v[4:5], v[100:101], v[20:21], -v[4:5]
	v_add_f64 v[2:3], v[2:3], v[4:5]
	v_mul_f64 v[4:5], v[106:107], v[8:9]
	s_waitcnt vmcnt(36) lgkmcnt(1)
	v_mul_f64 v[134:135], v[124:125], v[34:35]
	v_fma_f64 v[4:5], v[104:105], v[18:19], -v[4:5]
	s_waitcnt vmcnt(34)
	v_fmac_f64_e32 v[134:135], v[126:127], v[36:37]
	v_add_f64 v[2:3], v[2:3], v[4:5]
	v_mul_f64 v[4:5], v[110:111], v[14:15]
	v_add_f64 v[136:137], v[132:133], v[134:135]
	ds_read_b128 v[132:135], v38 offset:752
	s_waitcnt vmcnt(32) lgkmcnt(1)
	v_mul_f64 v[138:139], v[128:129], v[30:31]
	v_fma_f64 v[4:5], v[108:109], v[16:17], -v[4:5]
	v_fmac_f64_e32 v[138:139], v[130:131], v[32:33]
	v_add_f64 v[2:3], v[2:3], v[4:5]
	v_mul_f64 v[4:5], v[114:115], v[10:11]
	v_add_f64 v[140:141], v[136:137], v[138:139]
	ds_read_b128 v[136:139], v38 offset:768
	v_fma_f64 v[4:5], v[112:113], v[12:13], -v[4:5]
	v_add_f64 v[2:3], v[2:3], v[4:5]
	v_mul_f64 v[4:5], v[118:119], v[26:27]
	v_fma_f64 v[4:5], v[116:117], v[28:29], -v[4:5]
	s_waitcnt vmcnt(28) lgkmcnt(1)
	v_mul_f64 v[142:143], v[132:133], v[164:165]
	v_add_f64 v[2:3], v[2:3], v[4:5]
	v_mul_f64 v[4:5], v[122:123], v[22:23]
	s_waitcnt vmcnt(26)
	v_fmac_f64_e32 v[142:143], v[134:135], v[166:167]
	v_fma_f64 v[4:5], v[120:121], v[24:25], -v[4:5]
	v_add_f64 v[144:145], v[140:141], v[142:143]
	ds_read_b128 v[140:143], v38 offset:784
	s_waitcnt vmcnt(24) lgkmcnt(1)
	v_mul_f64 v[146:147], v[136:137], v[44:45]
	v_add_f64 v[2:3], v[2:3], v[4:5]
	v_mul_f64 v[4:5], v[126:127], v[34:35]
	v_fmac_f64_e32 v[146:147], v[138:139], v[162:163]
	v_fma_f64 v[4:5], v[124:125], v[36:37], -v[4:5]
	v_add_f64 v[148:149], v[144:145], v[146:147]
	ds_read_b128 v[144:147], v38 offset:800
	v_add_f64 v[2:3], v[2:3], v[4:5]
	v_mul_f64 v[4:5], v[130:131], v[30:31]
	v_fma_f64 v[4:5], v[128:129], v[32:33], -v[4:5]
	v_add_f64 v[2:3], v[2:3], v[4:5]
	v_mul_f64 v[4:5], v[134:135], v[164:165]
	s_waitcnt vmcnt(20) lgkmcnt(1)
	v_mul_f64 v[150:151], v[140:141], v[172:173]
	v_fma_f64 v[4:5], v[132:133], v[166:167], -v[4:5]
	s_waitcnt vmcnt(18)
	v_fmac_f64_e32 v[150:151], v[142:143], v[174:175]
	v_add_f64 v[2:3], v[2:3], v[4:5]
	v_mul_f64 v[4:5], v[138:139], v[44:45]
	v_add_f64 v[152:153], v[148:149], v[150:151]
	ds_read_b128 v[148:151], v38 offset:816
	s_waitcnt vmcnt(16) lgkmcnt(1)
	v_mul_f64 v[154:155], v[144:145], v[168:169]
	v_fma_f64 v[4:5], v[136:137], v[162:163], -v[4:5]
	v_fmac_f64_e32 v[154:155], v[146:147], v[170:171]
	v_add_f64 v[2:3], v[2:3], v[4:5]
	v_mul_f64 v[4:5], v[142:143], v[172:173]
	v_add_f64 v[198:199], v[152:153], v[154:155]
	ds_read_b128 v[152:155], v38 offset:832
	v_fma_f64 v[4:5], v[140:141], v[174:175], -v[4:5]
	v_add_f64 v[2:3], v[2:3], v[4:5]
	v_mul_f64 v[4:5], v[146:147], v[168:169]
	v_fma_f64 v[4:5], v[144:145], v[170:171], -v[4:5]
	v_add_f64 v[2:3], v[2:3], v[4:5]
	s_waitcnt vmcnt(12) lgkmcnt(1)
	v_mul_f64 v[4:5], v[150:151], v[180:181]
	v_mul_f64 v[200:201], v[148:149], v[180:181]
	s_waitcnt vmcnt(10)
	v_fma_f64 v[4:5], v[148:149], v[182:183], -v[4:5]
	v_fmac_f64_e32 v[200:201], v[150:151], v[182:183]
	v_add_f64 v[2:3], v[2:3], v[4:5]
	s_waitcnt vmcnt(8) lgkmcnt(0)
	v_mul_f64 v[4:5], v[154:155], v[176:177]
	v_add_f64 v[38:39], v[198:199], v[200:201]
	v_mul_f64 v[198:199], v[152:153], v[176:177]
	v_fma_f64 v[4:5], v[152:153], v[178:179], -v[4:5]
	v_fmac_f64_e32 v[198:199], v[154:155], v[178:179]
	v_add_f64 v[2:3], v[2:3], v[4:5]
	s_waitcnt vmcnt(6)
	v_mul_f64 v[4:5], v[160:161], v[184:185]
	v_add_f64 v[38:39], v[38:39], v[198:199]
	v_mul_f64 v[198:199], v[158:159], v[184:185]
	s_waitcnt vmcnt(4)
	v_fma_f64 v[4:5], v[158:159], v[186:187], -v[4:5]
	v_fmac_f64_e32 v[198:199], v[160:161], v[186:187]
	v_add_f64 v[2:3], v[2:3], v[4:5]
	v_add_f64 v[38:39], v[38:39], v[198:199]
	s_waitcnt vmcnt(2)
	v_add_f64 v[2:3], v[194:195], -v[2:3]
	s_waitcnt vmcnt(0)
	v_add_f64 v[4:5], v[196:197], -v[38:39]
	buffer_store_dword v3, off, s[0:3], 0 offset:164
	buffer_store_dword v2, off, s[0:3], 0 offset:160
	;; [unrolled: 1-line block ×4, first 2 shown]
	s_and_saveexec_b64 s[6:7], vcc
	s_cbranch_execz .LBB90_157
; %bb.156:
	v_accvgpr_read_b32 v5, a37
	buffer_load_dword v2, v5, s[0:3], 0 offen
	buffer_load_dword v3, v5, s[0:3], 0 offen offset:4
	buffer_load_dword v4, v5, s[0:3], 0 offen offset:8
	s_nop 0
	buffer_load_dword v5, v5, s[0:3], 0 offen offset:12
	v_mov_b32_e32 v6, 0
	buffer_store_dword v6, off, s[0:3], 0 offset:144
	buffer_store_dword v6, off, s[0:3], 0 offset:148
	;; [unrolled: 1-line block ×4, first 2 shown]
	s_waitcnt vmcnt(4)
	ds_write_b128 v1, v[2:5]
.LBB90_157:
	s_or_b64 exec, exec, s[6:7]
	s_waitcnt lgkmcnt(0)
	; wave barrier
	s_waitcnt lgkmcnt(0)
	buffer_load_dword v2, off, s[0:3], 0 offset:160
	buffer_load_dword v3, off, s[0:3], 0 offset:164
	;; [unrolled: 1-line block ×68, first 2 shown]
	v_mov_b32_e32 v100, 0
	ds_read_b128 v[42:45], v100 offset:592
	ds_read_b128 v[102:105], v100 offset:608
	buffer_load_dword v202, off, s[0:3], 0 offset:144
	buffer_load_dword v203, off, s[0:3], 0 offset:148
	;; [unrolled: 1-line block ×4, first 2 shown]
	ds_read_b128 v[106:109], v100 offset:624
	ds_read_b128 v[110:113], v100 offset:640
	;; [unrolled: 1-line block ×3, first 2 shown]
	v_cmp_lt_u32_e32 vcc, 8, v193
	s_waitcnt vmcnt(62) lgkmcnt(4)
	v_mul_f64 v[114:115], v[42:43], v[8:9]
	v_fmac_f64_e32 v[114:115], v[44:45], v[2:3]
	v_add_f64 v[114:115], v[114:115], 0
	v_mul_f64 v[8:9], v[44:45], v[8:9]
	s_waitcnt lgkmcnt(3)
	v_mul_f64 v[116:117], v[102:103], v[10:11]
	v_fmac_f64_e32 v[116:117], v[104:105], v[4:5]
	v_add_f64 v[114:115], v[114:115], v[116:117]
	v_fma_f64 v[2:3], v[42:43], v[2:3], -v[8:9]
	s_waitcnt vmcnt(60) lgkmcnt(2)
	v_mul_f64 v[116:117], v[106:107], v[12:13]
	v_fmac_f64_e32 v[116:117], v[108:109], v[6:7]
	v_add_f64 v[118:119], v[114:115], v[116:117]
	ds_read_b128 v[114:117], v100 offset:656
	s_waitcnt vmcnt(56) lgkmcnt(2)
	v_mul_f64 v[120:121], v[110:111], v[18:19]
	v_mul_f64 v[8:9], v[104:105], v[10:11]
	s_waitcnt vmcnt(54)
	v_fmac_f64_e32 v[120:121], v[112:113], v[20:21]
	v_add_f64 v[122:123], v[118:119], v[120:121]
	ds_read_b128 v[118:121], v100 offset:672
	s_waitcnt vmcnt(52) lgkmcnt(1)
	v_mul_f64 v[124:125], v[114:115], v[14:15]
	v_fmac_f64_e32 v[124:125], v[116:117], v[16:17]
	v_add_f64 v[126:127], v[122:123], v[124:125]
	ds_read_b128 v[122:125], v100 offset:688
	s_waitcnt vmcnt(48) lgkmcnt(1)
	v_mul_f64 v[128:129], v[118:119], v[26:27]
	s_waitcnt vmcnt(46)
	v_fmac_f64_e32 v[128:129], v[120:121], v[28:29]
	v_add_f64 v[130:131], v[126:127], v[128:129]
	ds_read_b128 v[126:129], v100 offset:704
	s_waitcnt vmcnt(44) lgkmcnt(1)
	v_mul_f64 v[132:133], v[122:123], v[22:23]
	v_fmac_f64_e32 v[132:133], v[124:125], v[24:25]
	v_add_f64 v[134:135], v[130:131], v[132:133]
	ds_read_b128 v[130:133], v100 offset:720
	s_waitcnt vmcnt(40) lgkmcnt(1)
	v_mul_f64 v[136:137], v[126:127], v[34:35]
	s_waitcnt vmcnt(38)
	v_fmac_f64_e32 v[136:137], v[128:129], v[36:37]
	v_add_f64 v[2:3], v[2:3], 0
	v_fma_f64 v[4:5], v[102:103], v[4:5], -v[8:9]
	v_add_f64 v[138:139], v[134:135], v[136:137]
	ds_read_b128 v[134:137], v100 offset:736
	v_add_f64 v[2:3], v[2:3], v[4:5]
	v_mul_f64 v[4:5], v[108:109], v[12:13]
	v_fma_f64 v[4:5], v[106:107], v[6:7], -v[4:5]
	v_add_f64 v[2:3], v[2:3], v[4:5]
	v_mul_f64 v[4:5], v[112:113], v[18:19]
	s_waitcnt vmcnt(36) lgkmcnt(1)
	v_mul_f64 v[140:141], v[130:131], v[30:31]
	v_fma_f64 v[4:5], v[110:111], v[20:21], -v[4:5]
	v_fmac_f64_e32 v[140:141], v[132:133], v[32:33]
	v_add_f64 v[2:3], v[2:3], v[4:5]
	v_mul_f64 v[4:5], v[116:117], v[14:15]
	v_add_f64 v[142:143], v[138:139], v[140:141]
	ds_read_b128 v[138:141], v100 offset:752
	s_waitcnt vmcnt(32) lgkmcnt(1)
	v_mul_f64 v[144:145], v[134:135], v[154:155]
	v_fma_f64 v[4:5], v[114:115], v[16:17], -v[4:5]
	s_waitcnt vmcnt(30)
	v_fmac_f64_e32 v[144:145], v[136:137], v[166:167]
	v_add_f64 v[2:3], v[2:3], v[4:5]
	v_mul_f64 v[4:5], v[120:121], v[26:27]
	v_add_f64 v[146:147], v[142:143], v[144:145]
	ds_read_b128 v[142:145], v100 offset:768
	v_fma_f64 v[4:5], v[118:119], v[28:29], -v[4:5]
	v_add_f64 v[2:3], v[2:3], v[4:5]
	v_mul_f64 v[4:5], v[124:125], v[22:23]
	v_fma_f64 v[4:5], v[122:123], v[24:25], -v[4:5]
	s_waitcnt vmcnt(28) lgkmcnt(1)
	v_mul_f64 v[148:149], v[138:139], v[38:39]
	v_add_f64 v[2:3], v[2:3], v[4:5]
	v_mul_f64 v[4:5], v[128:129], v[34:35]
	v_fmac_f64_e32 v[148:149], v[140:141], v[40:41]
	v_fma_f64 v[4:5], v[126:127], v[36:37], -v[4:5]
	v_add_f64 v[150:151], v[146:147], v[148:149]
	ds_read_b128 v[146:149], v100 offset:784
	s_waitcnt vmcnt(24) lgkmcnt(1)
	v_mul_f64 v[152:153], v[142:143], v[172:173]
	v_add_f64 v[2:3], v[2:3], v[4:5]
	v_mul_f64 v[4:5], v[132:133], v[30:31]
	s_waitcnt vmcnt(22)
	v_fmac_f64_e32 v[152:153], v[144:145], v[174:175]
	v_fma_f64 v[4:5], v[130:131], v[32:33], -v[4:5]
	v_add_f64 v[158:159], v[150:151], v[152:153]
	ds_read_b128 v[150:153], v100 offset:800
	v_add_f64 v[2:3], v[2:3], v[4:5]
	v_mul_f64 v[4:5], v[136:137], v[154:155]
	v_fma_f64 v[4:5], v[134:135], v[166:167], -v[4:5]
	v_add_f64 v[2:3], v[2:3], v[4:5]
	v_mul_f64 v[4:5], v[140:141], v[38:39]
	s_waitcnt vmcnt(20) lgkmcnt(1)
	v_mul_f64 v[160:161], v[146:147], v[168:169]
	v_fma_f64 v[4:5], v[138:139], v[40:41], -v[4:5]
	v_fmac_f64_e32 v[160:161], v[148:149], v[170:171]
	v_add_f64 v[2:3], v[2:3], v[4:5]
	v_mul_f64 v[4:5], v[144:145], v[172:173]
	v_add_f64 v[162:163], v[158:159], v[160:161]
	ds_read_b128 v[158:161], v100 offset:816
	s_waitcnt vmcnt(16) lgkmcnt(1)
	v_mul_f64 v[164:165], v[150:151], v[180:181]
	v_fma_f64 v[4:5], v[142:143], v[174:175], -v[4:5]
	s_waitcnt vmcnt(14)
	v_fmac_f64_e32 v[164:165], v[152:153], v[182:183]
	v_add_f64 v[2:3], v[2:3], v[4:5]
	v_mul_f64 v[4:5], v[148:149], v[168:169]
	v_add_f64 v[206:207], v[162:163], v[164:165]
	ds_read_b128 v[162:165], v100 offset:832
	v_fma_f64 v[4:5], v[146:147], v[170:171], -v[4:5]
	v_add_f64 v[2:3], v[2:3], v[4:5]
	v_mul_f64 v[4:5], v[152:153], v[180:181]
	v_fma_f64 v[4:5], v[150:151], v[182:183], -v[4:5]
	v_add_f64 v[2:3], v[2:3], v[4:5]
	s_waitcnt vmcnt(12) lgkmcnt(1)
	v_mul_f64 v[4:5], v[160:161], v[176:177]
	v_mul_f64 v[208:209], v[158:159], v[176:177]
	v_fma_f64 v[4:5], v[158:159], v[178:179], -v[4:5]
	v_fmac_f64_e32 v[208:209], v[160:161], v[178:179]
	v_add_f64 v[2:3], v[2:3], v[4:5]
	s_waitcnt vmcnt(8) lgkmcnt(0)
	v_mul_f64 v[4:5], v[164:165], v[198:199]
	v_add_f64 v[206:207], v[206:207], v[208:209]
	v_mul_f64 v[208:209], v[162:163], v[198:199]
	s_waitcnt vmcnt(6)
	v_fma_f64 v[4:5], v[162:163], v[200:201], -v[4:5]
	v_fmac_f64_e32 v[208:209], v[164:165], v[200:201]
	v_add_f64 v[2:3], v[2:3], v[4:5]
	s_waitcnt vmcnt(5)
	v_mul_f64 v[4:5], v[196:197], v[184:185]
	v_add_f64 v[206:207], v[206:207], v[208:209]
	v_mul_f64 v[208:209], v[194:195], v[184:185]
	s_waitcnt vmcnt(4)
	v_fma_f64 v[4:5], v[194:195], v[186:187], -v[4:5]
	v_fmac_f64_e32 v[208:209], v[196:197], v[186:187]
	v_add_f64 v[2:3], v[2:3], v[4:5]
	v_add_f64 v[206:207], v[206:207], v[208:209]
	s_waitcnt vmcnt(2)
	v_add_f64 v[2:3], v[202:203], -v[2:3]
	s_waitcnt vmcnt(0)
	v_add_f64 v[4:5], v[204:205], -v[206:207]
	buffer_store_dword v3, off, s[0:3], 0 offset:148
	buffer_store_dword v2, off, s[0:3], 0 offset:144
	;; [unrolled: 1-line block ×4, first 2 shown]
	s_and_saveexec_b64 s[6:7], vcc
	s_cbranch_execz .LBB90_159
; %bb.158:
	v_accvgpr_read_b32 v5, a35
	buffer_load_dword v2, v5, s[0:3], 0 offen
	buffer_load_dword v3, v5, s[0:3], 0 offen offset:4
	buffer_load_dword v4, v5, s[0:3], 0 offen offset:8
	s_nop 0
	buffer_load_dword v5, v5, s[0:3], 0 offen offset:12
	s_nop 0
	buffer_store_dword v100, off, s[0:3], 0 offset:128
	buffer_store_dword v100, off, s[0:3], 0 offset:132
	;; [unrolled: 1-line block ×4, first 2 shown]
	s_waitcnt vmcnt(4)
	ds_write_b128 v1, v[2:5]
.LBB90_159:
	s_or_b64 exec, exec, s[6:7]
	s_waitcnt lgkmcnt(0)
	; wave barrier
	s_waitcnt lgkmcnt(0)
	buffer_load_dword v2, off, s[0:3], 0 offset:144
	buffer_load_dword v3, off, s[0:3], 0 offset:148
	;; [unrolled: 1-line block ×72, first 2 shown]
	ds_read_b128 v[102:105], v100 offset:576
	buffer_load_dword v210, off, s[0:3], 0 offset:128
	buffer_load_dword v211, off, s[0:3], 0 offset:132
	;; [unrolled: 1-line block ×4, first 2 shown]
	ds_read_b128 v[106:109], v100 offset:592
	ds_read_b128 v[110:113], v100 offset:608
	;; [unrolled: 1-line block ×3, first 2 shown]
	v_cmp_lt_u32_e32 vcc, 7, v193
	ds_read_b128 v[202:205], v100 offset:848
	s_waitcnt vmcnt(62) lgkmcnt(4)
	v_mul_f64 v[118:119], v[102:103], v[8:9]
	v_fmac_f64_e32 v[118:119], v[104:105], v[2:3]
	v_add_f64 v[118:119], v[118:119], 0
	v_mul_f64 v[8:9], v[104:105], v[8:9]
	s_waitcnt lgkmcnt(3)
	v_mul_f64 v[120:121], v[106:107], v[10:11]
	v_fmac_f64_e32 v[120:121], v[108:109], v[4:5]
	v_add_f64 v[118:119], v[118:119], v[120:121]
	v_fma_f64 v[2:3], v[102:103], v[2:3], -v[8:9]
	s_waitcnt lgkmcnt(2)
	v_mul_f64 v[120:121], v[110:111], v[12:13]
	v_fmac_f64_e32 v[120:121], v[112:113], v[6:7]
	v_add_f64 v[122:123], v[118:119], v[120:121]
	ds_read_b128 v[118:121], v100 offset:640
	s_waitcnt vmcnt(60) lgkmcnt(2)
	v_mul_f64 v[124:125], v[114:115], v[18:19]
	v_mul_f64 v[8:9], v[108:109], v[10:11]
	s_waitcnt vmcnt(58)
	v_fmac_f64_e32 v[124:125], v[116:117], v[20:21]
	v_add_f64 v[126:127], v[122:123], v[124:125]
	ds_read_b128 v[122:125], v100 offset:656
	s_waitcnt vmcnt(56) lgkmcnt(1)
	v_mul_f64 v[128:129], v[118:119], v[14:15]
	v_fmac_f64_e32 v[128:129], v[120:121], v[16:17]
	v_add_f64 v[130:131], v[126:127], v[128:129]
	ds_read_b128 v[126:129], v100 offset:672
	s_waitcnt vmcnt(52) lgkmcnt(1)
	v_mul_f64 v[132:133], v[122:123], v[26:27]
	s_waitcnt vmcnt(50)
	v_fmac_f64_e32 v[132:133], v[124:125], v[28:29]
	v_add_f64 v[134:135], v[130:131], v[132:133]
	ds_read_b128 v[130:133], v100 offset:688
	s_waitcnt vmcnt(48) lgkmcnt(1)
	v_mul_f64 v[136:137], v[126:127], v[22:23]
	v_fmac_f64_e32 v[136:137], v[128:129], v[24:25]
	v_add_f64 v[138:139], v[134:135], v[136:137]
	ds_read_b128 v[134:137], v100 offset:704
	s_waitcnt vmcnt(44) lgkmcnt(1)
	v_mul_f64 v[140:141], v[130:131], v[34:35]
	s_waitcnt vmcnt(42)
	v_fmac_f64_e32 v[140:141], v[132:133], v[36:37]
	v_add_f64 v[2:3], v[2:3], 0
	v_fma_f64 v[4:5], v[106:107], v[4:5], -v[8:9]
	v_add_f64 v[142:143], v[138:139], v[140:141]
	ds_read_b128 v[138:141], v100 offset:720
	s_waitcnt vmcnt(40) lgkmcnt(1)
	v_mul_f64 v[144:145], v[134:135], v[30:31]
	v_add_f64 v[2:3], v[2:3], v[4:5]
	v_mul_f64 v[4:5], v[112:113], v[12:13]
	v_fmac_f64_e32 v[144:145], v[136:137], v[32:33]
	v_fma_f64 v[4:5], v[110:111], v[6:7], -v[4:5]
	v_add_f64 v[146:147], v[142:143], v[144:145]
	ds_read_b128 v[142:145], v100 offset:736
	v_add_f64 v[2:3], v[2:3], v[4:5]
	v_mul_f64 v[4:5], v[116:117], v[18:19]
	v_fma_f64 v[4:5], v[114:115], v[20:21], -v[4:5]
	v_add_f64 v[2:3], v[2:3], v[4:5]
	v_mul_f64 v[4:5], v[120:121], v[14:15]
	s_waitcnt vmcnt(36) lgkmcnt(1)
	v_mul_f64 v[148:149], v[138:139], v[42:43]
	v_fma_f64 v[4:5], v[118:119], v[16:17], -v[4:5]
	s_waitcnt vmcnt(34)
	v_fmac_f64_e32 v[148:149], v[140:141], v[44:45]
	v_add_f64 v[2:3], v[2:3], v[4:5]
	v_mul_f64 v[4:5], v[124:125], v[26:27]
	v_add_f64 v[150:151], v[146:147], v[148:149]
	ds_read_b128 v[146:149], v100 offset:752
	s_waitcnt vmcnt(32) lgkmcnt(1)
	v_mul_f64 v[152:153], v[142:143], v[38:39]
	v_fma_f64 v[4:5], v[122:123], v[28:29], -v[4:5]
	v_fmac_f64_e32 v[152:153], v[144:145], v[40:41]
	v_add_f64 v[2:3], v[2:3], v[4:5]
	v_mul_f64 v[4:5], v[128:129], v[22:23]
	v_add_f64 v[158:159], v[150:151], v[152:153]
	ds_read_b128 v[150:153], v100 offset:768
	v_fma_f64 v[4:5], v[126:127], v[24:25], -v[4:5]
	v_add_f64 v[2:3], v[2:3], v[4:5]
	v_mul_f64 v[4:5], v[132:133], v[34:35]
	v_fma_f64 v[4:5], v[130:131], v[36:37], -v[4:5]
	s_waitcnt vmcnt(28) lgkmcnt(1)
	v_mul_f64 v[160:161], v[146:147], v[168:169]
	v_add_f64 v[2:3], v[2:3], v[4:5]
	v_mul_f64 v[4:5], v[136:137], v[30:31]
	s_waitcnt vmcnt(26)
	v_fmac_f64_e32 v[160:161], v[148:149], v[170:171]
	v_fma_f64 v[4:5], v[134:135], v[32:33], -v[4:5]
	v_add_f64 v[162:163], v[158:159], v[160:161]
	ds_read_b128 v[158:161], v100 offset:784
	s_waitcnt vmcnt(24) lgkmcnt(1)
	v_mul_f64 v[164:165], v[150:151], v[154:155]
	v_add_f64 v[2:3], v[2:3], v[4:5]
	v_mul_f64 v[4:5], v[140:141], v[42:43]
	v_fmac_f64_e32 v[164:165], v[152:153], v[166:167]
	v_fma_f64 v[4:5], v[138:139], v[44:45], -v[4:5]
	v_add_f64 v[194:195], v[162:163], v[164:165]
	ds_read_b128 v[162:165], v100 offset:800
	v_add_f64 v[2:3], v[2:3], v[4:5]
	v_mul_f64 v[4:5], v[144:145], v[38:39]
	v_fma_f64 v[4:5], v[142:143], v[40:41], -v[4:5]
	v_add_f64 v[2:3], v[2:3], v[4:5]
	v_mul_f64 v[4:5], v[148:149], v[168:169]
	s_waitcnt vmcnt(20) lgkmcnt(1)
	v_mul_f64 v[196:197], v[158:159], v[176:177]
	v_fma_f64 v[4:5], v[146:147], v[170:171], -v[4:5]
	s_waitcnt vmcnt(18)
	v_fmac_f64_e32 v[196:197], v[160:161], v[178:179]
	v_add_f64 v[2:3], v[2:3], v[4:5]
	v_mul_f64 v[4:5], v[152:153], v[154:155]
	v_add_f64 v[198:199], v[194:195], v[196:197]
	ds_read_b128 v[194:197], v100 offset:816
	s_waitcnt vmcnt(16) lgkmcnt(1)
	v_mul_f64 v[200:201], v[162:163], v[172:173]
	v_fma_f64 v[4:5], v[150:151], v[166:167], -v[4:5]
	v_fmac_f64_e32 v[200:201], v[164:165], v[174:175]
	v_add_f64 v[2:3], v[2:3], v[4:5]
	v_mul_f64 v[4:5], v[160:161], v[176:177]
	v_add_f64 v[214:215], v[198:199], v[200:201]
	ds_read_b128 v[198:201], v100 offset:832
	v_fma_f64 v[4:5], v[158:159], v[178:179], -v[4:5]
	v_add_f64 v[2:3], v[2:3], v[4:5]
	v_mul_f64 v[4:5], v[164:165], v[172:173]
	v_fma_f64 v[4:5], v[162:163], v[174:175], -v[4:5]
	v_add_f64 v[2:3], v[2:3], v[4:5]
	s_waitcnt vmcnt(12) lgkmcnt(1)
	v_mul_f64 v[4:5], v[196:197], v[184:185]
	v_mul_f64 v[216:217], v[194:195], v[184:185]
	s_waitcnt vmcnt(10)
	v_fma_f64 v[4:5], v[194:195], v[186:187], -v[4:5]
	v_fmac_f64_e32 v[216:217], v[196:197], v[186:187]
	v_add_f64 v[2:3], v[2:3], v[4:5]
	s_waitcnt vmcnt(8) lgkmcnt(0)
	v_mul_f64 v[4:5], v[200:201], v[180:181]
	v_add_f64 v[100:101], v[214:215], v[216:217]
	v_mul_f64 v[214:215], v[198:199], v[180:181]
	v_fma_f64 v[4:5], v[198:199], v[182:183], -v[4:5]
	v_fmac_f64_e32 v[214:215], v[200:201], v[182:183]
	v_add_f64 v[2:3], v[2:3], v[4:5]
	s_waitcnt vmcnt(6)
	v_mul_f64 v[4:5], v[204:205], v[206:207]
	v_add_f64 v[100:101], v[100:101], v[214:215]
	v_mul_f64 v[214:215], v[202:203], v[206:207]
	s_waitcnt vmcnt(4)
	v_fma_f64 v[4:5], v[202:203], v[208:209], -v[4:5]
	v_fmac_f64_e32 v[214:215], v[204:205], v[208:209]
	v_add_f64 v[2:3], v[2:3], v[4:5]
	v_add_f64 v[100:101], v[100:101], v[214:215]
	s_waitcnt vmcnt(2)
	v_add_f64 v[2:3], v[210:211], -v[2:3]
	s_waitcnt vmcnt(0)
	v_add_f64 v[4:5], v[212:213], -v[100:101]
	buffer_store_dword v3, off, s[0:3], 0 offset:132
	buffer_store_dword v2, off, s[0:3], 0 offset:128
	;; [unrolled: 1-line block ×4, first 2 shown]
	s_and_saveexec_b64 s[6:7], vcc
	s_cbranch_execz .LBB90_161
; %bb.160:
	v_accvgpr_read_b32 v5, a40
	buffer_load_dword v2, v5, s[0:3], 0 offen
	buffer_load_dword v3, v5, s[0:3], 0 offen offset:4
	buffer_load_dword v4, v5, s[0:3], 0 offen offset:8
	s_nop 0
	buffer_load_dword v5, v5, s[0:3], 0 offen offset:12
	v_mov_b32_e32 v6, 0
	buffer_store_dword v6, off, s[0:3], 0 offset:112
	buffer_store_dword v6, off, s[0:3], 0 offset:116
	;; [unrolled: 1-line block ×4, first 2 shown]
	s_waitcnt vmcnt(4)
	ds_write_b128 v1, v[2:5]
.LBB90_161:
	s_or_b64 exec, exec, s[6:7]
	s_waitcnt lgkmcnt(0)
	; wave barrier
	s_waitcnt lgkmcnt(0)
	buffer_load_dword v2, off, s[0:3], 0 offset:128
	buffer_load_dword v3, off, s[0:3], 0 offset:132
	;; [unrolled: 1-line block ×76, first 2 shown]
	v_mov_b32_e32 v108, 0
	ds_read_b128 v[110:113], v108 offset:560
	buffer_load_dword v218, off, s[0:3], 0 offset:112
	buffer_load_dword v219, off, s[0:3], 0 offset:116
	;; [unrolled: 1-line block ×4, first 2 shown]
	ds_read_b128 v[114:117], v108 offset:576
	ds_read_b128 v[118:121], v108 offset:592
	;; [unrolled: 1-line block ×4, first 2 shown]
	v_cmp_lt_u32_e32 vcc, 6, v193
	s_waitcnt vmcnt(62) lgkmcnt(4)
	v_mul_f64 v[126:127], v[110:111], v[8:9]
	v_fmac_f64_e32 v[126:127], v[112:113], v[2:3]
	v_add_f64 v[126:127], v[126:127], 0
	v_mul_f64 v[8:9], v[112:113], v[8:9]
	s_waitcnt lgkmcnt(3)
	v_mul_f64 v[128:129], v[114:115], v[10:11]
	v_fmac_f64_e32 v[128:129], v[116:117], v[4:5]
	v_add_f64 v[126:127], v[126:127], v[128:129]
	v_fma_f64 v[2:3], v[110:111], v[2:3], -v[8:9]
	s_waitcnt lgkmcnt(2)
	v_mul_f64 v[128:129], v[118:119], v[12:13]
	v_fmac_f64_e32 v[128:129], v[120:121], v[6:7]
	v_add_f64 v[130:131], v[126:127], v[128:129]
	ds_read_b128 v[126:129], v108 offset:624
	s_waitcnt lgkmcnt(2)
	v_mul_f64 v[132:133], v[122:123], v[18:19]
	v_mul_f64 v[8:9], v[116:117], v[10:11]
	v_fmac_f64_e32 v[132:133], v[124:125], v[20:21]
	v_add_f64 v[134:135], v[130:131], v[132:133]
	ds_read_b128 v[130:133], v108 offset:640
	s_waitcnt vmcnt(60) lgkmcnt(1)
	v_mul_f64 v[136:137], v[126:127], v[14:15]
	v_fmac_f64_e32 v[136:137], v[128:129], v[16:17]
	v_add_f64 v[138:139], v[134:135], v[136:137]
	ds_read_b128 v[134:137], v108 offset:656
	s_waitcnt vmcnt(56) lgkmcnt(1)
	v_mul_f64 v[140:141], v[130:131], v[26:27]
	s_waitcnt vmcnt(54)
	v_fmac_f64_e32 v[140:141], v[132:133], v[28:29]
	v_add_f64 v[142:143], v[138:139], v[140:141]
	ds_read_b128 v[138:141], v108 offset:672
	s_waitcnt vmcnt(52) lgkmcnt(1)
	v_mul_f64 v[144:145], v[134:135], v[22:23]
	v_fmac_f64_e32 v[144:145], v[136:137], v[24:25]
	v_add_f64 v[146:147], v[142:143], v[144:145]
	ds_read_b128 v[142:145], v108 offset:688
	s_waitcnt vmcnt(48) lgkmcnt(1)
	v_mul_f64 v[148:149], v[138:139], v[34:35]
	s_waitcnt vmcnt(46)
	v_fmac_f64_e32 v[148:149], v[140:141], v[36:37]
	v_add_f64 v[150:151], v[146:147], v[148:149]
	ds_read_b128 v[146:149], v108 offset:704
	v_add_f64 v[2:3], v[2:3], 0
	v_fma_f64 v[4:5], v[114:115], v[4:5], -v[8:9]
	s_waitcnt vmcnt(44) lgkmcnt(1)
	v_mul_f64 v[152:153], v[142:143], v[30:31]
	v_add_f64 v[2:3], v[2:3], v[4:5]
	v_mul_f64 v[4:5], v[120:121], v[12:13]
	v_fmac_f64_e32 v[152:153], v[144:145], v[32:33]
	v_fma_f64 v[4:5], v[118:119], v[6:7], -v[4:5]
	v_add_f64 v[158:159], v[150:151], v[152:153]
	ds_read_b128 v[150:153], v108 offset:720
	s_waitcnt vmcnt(40) lgkmcnt(1)
	v_mul_f64 v[160:161], v[146:147], v[42:43]
	v_add_f64 v[2:3], v[2:3], v[4:5]
	v_mul_f64 v[4:5], v[124:125], v[18:19]
	s_waitcnt vmcnt(38)
	v_fmac_f64_e32 v[160:161], v[148:149], v[44:45]
	v_fma_f64 v[4:5], v[122:123], v[20:21], -v[4:5]
	v_add_f64 v[162:163], v[158:159], v[160:161]
	ds_read_b128 v[158:161], v108 offset:736
	v_add_f64 v[2:3], v[2:3], v[4:5]
	v_mul_f64 v[4:5], v[128:129], v[14:15]
	v_fma_f64 v[4:5], v[126:127], v[16:17], -v[4:5]
	v_add_f64 v[2:3], v[2:3], v[4:5]
	v_mul_f64 v[4:5], v[132:133], v[26:27]
	s_waitcnt vmcnt(36) lgkmcnt(1)
	v_mul_f64 v[164:165], v[150:151], v[38:39]
	v_fma_f64 v[4:5], v[130:131], v[28:29], -v[4:5]
	v_fmac_f64_e32 v[164:165], v[152:153], v[40:41]
	v_add_f64 v[2:3], v[2:3], v[4:5]
	v_mul_f64 v[4:5], v[136:137], v[22:23]
	v_add_f64 v[194:195], v[162:163], v[164:165]
	ds_read_b128 v[162:165], v108 offset:752
	s_waitcnt vmcnt(32) lgkmcnt(1)
	v_mul_f64 v[196:197], v[158:159], v[104:105]
	v_fma_f64 v[4:5], v[134:135], v[24:25], -v[4:5]
	s_waitcnt vmcnt(30)
	v_fmac_f64_e32 v[196:197], v[160:161], v[106:107]
	v_add_f64 v[2:3], v[2:3], v[4:5]
	v_mul_f64 v[4:5], v[140:141], v[34:35]
	v_add_f64 v[198:199], v[194:195], v[196:197]
	ds_read_b128 v[194:197], v108 offset:768
	v_fma_f64 v[4:5], v[138:139], v[36:37], -v[4:5]
	v_add_f64 v[2:3], v[2:3], v[4:5]
	v_mul_f64 v[4:5], v[144:145], v[30:31]
	v_fma_f64 v[4:5], v[142:143], v[32:33], -v[4:5]
	s_waitcnt vmcnt(28) lgkmcnt(1)
	v_mul_f64 v[200:201], v[162:163], v[100:101]
	v_add_f64 v[2:3], v[2:3], v[4:5]
	v_mul_f64 v[4:5], v[148:149], v[42:43]
	v_fmac_f64_e32 v[200:201], v[164:165], v[102:103]
	v_fma_f64 v[4:5], v[146:147], v[44:45], -v[4:5]
	v_add_f64 v[202:203], v[198:199], v[200:201]
	ds_read_b128 v[198:201], v108 offset:784
	s_waitcnt vmcnt(24) lgkmcnt(1)
	v_mul_f64 v[204:205], v[194:195], v[168:169]
	v_add_f64 v[2:3], v[2:3], v[4:5]
	v_mul_f64 v[4:5], v[152:153], v[38:39]
	s_waitcnt vmcnt(22)
	v_fmac_f64_e32 v[204:205], v[196:197], v[170:171]
	v_fma_f64 v[4:5], v[150:151], v[40:41], -v[4:5]
	v_add_f64 v[206:207], v[202:203], v[204:205]
	ds_read_b128 v[202:205], v108 offset:800
	v_add_f64 v[2:3], v[2:3], v[4:5]
	v_mul_f64 v[4:5], v[160:161], v[104:105]
	v_fma_f64 v[4:5], v[158:159], v[106:107], -v[4:5]
	v_add_f64 v[2:3], v[2:3], v[4:5]
	v_mul_f64 v[4:5], v[164:165], v[100:101]
	s_waitcnt vmcnt(20) lgkmcnt(1)
	v_mul_f64 v[208:209], v[198:199], v[154:155]
	v_fma_f64 v[4:5], v[162:163], v[102:103], -v[4:5]
	v_fmac_f64_e32 v[208:209], v[200:201], v[166:167]
	v_add_f64 v[2:3], v[2:3], v[4:5]
	v_mul_f64 v[4:5], v[196:197], v[168:169]
	v_add_f64 v[210:211], v[206:207], v[208:209]
	ds_read_b128 v[206:209], v108 offset:816
	s_waitcnt vmcnt(16) lgkmcnt(1)
	v_mul_f64 v[212:213], v[202:203], v[176:177]
	v_fma_f64 v[4:5], v[194:195], v[170:171], -v[4:5]
	s_waitcnt vmcnt(14)
	v_fmac_f64_e32 v[212:213], v[204:205], v[178:179]
	v_add_f64 v[2:3], v[2:3], v[4:5]
	v_mul_f64 v[4:5], v[200:201], v[154:155]
	v_add_f64 v[222:223], v[210:211], v[212:213]
	ds_read_b128 v[210:213], v108 offset:832
	v_fma_f64 v[4:5], v[198:199], v[166:167], -v[4:5]
	v_add_f64 v[2:3], v[2:3], v[4:5]
	v_mul_f64 v[4:5], v[204:205], v[176:177]
	v_fma_f64 v[4:5], v[202:203], v[178:179], -v[4:5]
	v_add_f64 v[2:3], v[2:3], v[4:5]
	s_waitcnt vmcnt(12) lgkmcnt(1)
	v_mul_f64 v[4:5], v[208:209], v[172:173]
	v_mul_f64 v[224:225], v[206:207], v[172:173]
	v_fma_f64 v[4:5], v[206:207], v[174:175], -v[4:5]
	v_fmac_f64_e32 v[224:225], v[208:209], v[174:175]
	v_add_f64 v[2:3], v[2:3], v[4:5]
	s_waitcnt vmcnt(8) lgkmcnt(0)
	v_mul_f64 v[4:5], v[212:213], v[184:185]
	v_add_f64 v[222:223], v[222:223], v[224:225]
	v_mul_f64 v[224:225], v[210:211], v[184:185]
	s_waitcnt vmcnt(6)
	v_fma_f64 v[4:5], v[210:211], v[186:187], -v[4:5]
	v_fmac_f64_e32 v[224:225], v[212:213], v[186:187]
	v_add_f64 v[2:3], v[2:3], v[4:5]
	s_waitcnt vmcnt(5)
	v_mul_f64 v[4:5], v[216:217], v[180:181]
	v_add_f64 v[222:223], v[222:223], v[224:225]
	v_mul_f64 v[224:225], v[214:215], v[180:181]
	s_waitcnt vmcnt(4)
	v_fma_f64 v[4:5], v[214:215], v[182:183], -v[4:5]
	v_fmac_f64_e32 v[224:225], v[216:217], v[182:183]
	v_add_f64 v[2:3], v[2:3], v[4:5]
	v_add_f64 v[222:223], v[222:223], v[224:225]
	s_waitcnt vmcnt(2)
	v_add_f64 v[2:3], v[218:219], -v[2:3]
	s_waitcnt vmcnt(0)
	v_add_f64 v[4:5], v[220:221], -v[222:223]
	buffer_store_dword v3, off, s[0:3], 0 offset:116
	buffer_store_dword v2, off, s[0:3], 0 offset:112
	;; [unrolled: 1-line block ×4, first 2 shown]
	s_and_saveexec_b64 s[6:7], vcc
	s_cbranch_execz .LBB90_163
; %bb.162:
	v_accvgpr_read_b32 v5, a42
	buffer_load_dword v2, v5, s[0:3], 0 offen
	buffer_load_dword v3, v5, s[0:3], 0 offen offset:4
	buffer_load_dword v4, v5, s[0:3], 0 offen offset:8
	s_nop 0
	buffer_load_dword v5, v5, s[0:3], 0 offen offset:12
	s_nop 0
	buffer_store_dword v108, off, s[0:3], 0 offset:96
	buffer_store_dword v108, off, s[0:3], 0 offset:100
	;; [unrolled: 1-line block ×4, first 2 shown]
	s_waitcnt vmcnt(4)
	ds_write_b128 v1, v[2:5]
.LBB90_163:
	s_or_b64 exec, exec, s[6:7]
	s_waitcnt lgkmcnt(0)
	; wave barrier
	s_waitcnt lgkmcnt(0)
	buffer_load_dword v2, off, s[0:3], 0 offset:112
	buffer_load_dword v3, off, s[0:3], 0 offset:116
	;; [unrolled: 1-line block ×76, first 2 shown]
	ds_read_b128 v[110:113], v108 offset:544
	buffer_load_dword v223, off, s[0:3], 0 offset:428
	buffer_load_dword v222, off, s[0:3], 0 offset:424
	;; [unrolled: 1-line block ×8, first 2 shown]
	ds_read_b128 v[114:117], v108 offset:560
	ds_read_b128 v[118:121], v108 offset:576
	;; [unrolled: 1-line block ×3, first 2 shown]
	v_cmp_lt_u32_e32 vcc, 5, v193
	ds_read_b128 v[218:221], v108 offset:848
	s_waitcnt vmcnt(62) lgkmcnt(4)
	v_mul_f64 v[126:127], v[110:111], v[8:9]
	v_fmac_f64_e32 v[126:127], v[112:113], v[2:3]
	v_add_f64 v[126:127], v[126:127], 0
	v_mul_f64 v[8:9], v[112:113], v[8:9]
	s_waitcnt lgkmcnt(3)
	v_mul_f64 v[128:129], v[114:115], v[10:11]
	v_fmac_f64_e32 v[128:129], v[116:117], v[4:5]
	v_add_f64 v[126:127], v[126:127], v[128:129]
	v_fma_f64 v[2:3], v[110:111], v[2:3], -v[8:9]
	s_waitcnt lgkmcnt(2)
	v_mul_f64 v[128:129], v[118:119], v[12:13]
	v_fmac_f64_e32 v[128:129], v[120:121], v[6:7]
	v_add_f64 v[130:131], v[126:127], v[128:129]
	ds_read_b128 v[126:129], v108 offset:608
	v_mul_f64 v[8:9], v[116:117], v[10:11]
	v_add_f64 v[2:3], v[2:3], 0
	s_waitcnt lgkmcnt(2)
	v_mul_f64 v[132:133], v[122:123], v[18:19]
	v_fma_f64 v[4:5], v[114:115], v[4:5], -v[8:9]
	v_fmac_f64_e32 v[132:133], v[124:125], v[20:21]
	v_add_f64 v[134:135], v[130:131], v[132:133]
	ds_read_b128 v[130:133], v108 offset:624
	s_waitcnt lgkmcnt(1)
	v_mul_f64 v[136:137], v[126:127], v[14:15]
	v_fmac_f64_e32 v[136:137], v[128:129], v[16:17]
	v_add_f64 v[138:139], v[134:135], v[136:137]
	ds_read_b128 v[134:137], v108 offset:640
	s_waitcnt vmcnt(58) lgkmcnt(1)
	v_mul_f64 v[140:141], v[130:131], v[26:27]
	s_waitcnt vmcnt(56)
	v_fmac_f64_e32 v[140:141], v[132:133], v[28:29]
	v_add_f64 v[142:143], v[138:139], v[140:141]
	ds_read_b128 v[138:141], v108 offset:656
	s_waitcnt lgkmcnt(1)
	v_mul_f64 v[144:145], v[134:135], v[22:23]
	v_fmac_f64_e32 v[144:145], v[136:137], v[24:25]
	v_add_f64 v[146:147], v[142:143], v[144:145]
	ds_read_b128 v[142:145], v108 offset:672
	s_waitcnt vmcnt(50) lgkmcnt(1)
	v_mul_f64 v[148:149], v[138:139], v[34:35]
	s_waitcnt vmcnt(48)
	v_fmac_f64_e32 v[148:149], v[140:141], v[36:37]
	v_add_f64 v[150:151], v[146:147], v[148:149]
	ds_read_b128 v[146:149], v108 offset:688
	s_waitcnt lgkmcnt(1)
	v_mul_f64 v[152:153], v[142:143], v[30:31]
	v_fmac_f64_e32 v[152:153], v[144:145], v[32:33]
	v_add_f64 v[158:159], v[150:151], v[152:153]
	ds_read_b128 v[150:153], v108 offset:704
	v_add_f64 v[2:3], v[2:3], v[4:5]
	v_mul_f64 v[4:5], v[120:121], v[12:13]
	v_fma_f64 v[4:5], v[118:119], v[6:7], -v[4:5]
	s_waitcnt vmcnt(42) lgkmcnt(1)
	v_mul_f64 v[160:161], v[146:147], v[42:43]
	v_add_f64 v[2:3], v[2:3], v[4:5]
	v_mul_f64 v[4:5], v[124:125], v[18:19]
	s_waitcnt vmcnt(40)
	v_fmac_f64_e32 v[160:161], v[148:149], v[44:45]
	v_fma_f64 v[4:5], v[122:123], v[20:21], -v[4:5]
	v_add_f64 v[162:163], v[158:159], v[160:161]
	ds_read_b128 v[158:161], v108 offset:720
	s_waitcnt lgkmcnt(1)
	v_mul_f64 v[164:165], v[150:151], v[38:39]
	v_add_f64 v[2:3], v[2:3], v[4:5]
	v_mul_f64 v[4:5], v[128:129], v[14:15]
	v_fmac_f64_e32 v[164:165], v[152:153], v[40:41]
	v_fma_f64 v[4:5], v[126:127], v[16:17], -v[4:5]
	v_add_f64 v[194:195], v[162:163], v[164:165]
	ds_read_b128 v[162:165], v108 offset:736
	v_add_f64 v[2:3], v[2:3], v[4:5]
	v_mul_f64 v[4:5], v[132:133], v[26:27]
	v_fma_f64 v[4:5], v[130:131], v[28:29], -v[4:5]
	v_add_f64 v[2:3], v[2:3], v[4:5]
	v_mul_f64 v[4:5], v[136:137], v[22:23]
	s_waitcnt vmcnt(34) lgkmcnt(1)
	v_mul_f64 v[196:197], v[158:159], v[104:105]
	v_fma_f64 v[4:5], v[134:135], v[24:25], -v[4:5]
	s_waitcnt vmcnt(32)
	v_fmac_f64_e32 v[196:197], v[160:161], v[106:107]
	v_add_f64 v[2:3], v[2:3], v[4:5]
	v_mul_f64 v[4:5], v[140:141], v[34:35]
	v_add_f64 v[198:199], v[194:195], v[196:197]
	ds_read_b128 v[194:197], v108 offset:752
	s_waitcnt lgkmcnt(1)
	v_mul_f64 v[200:201], v[162:163], v[100:101]
	v_fma_f64 v[4:5], v[138:139], v[36:37], -v[4:5]
	v_fmac_f64_e32 v[200:201], v[164:165], v[102:103]
	v_add_f64 v[2:3], v[2:3], v[4:5]
	v_mul_f64 v[4:5], v[144:145], v[30:31]
	v_add_f64 v[202:203], v[198:199], v[200:201]
	ds_read_b128 v[198:201], v108 offset:768
	v_fma_f64 v[4:5], v[142:143], v[32:33], -v[4:5]
	v_add_f64 v[2:3], v[2:3], v[4:5]
	v_mul_f64 v[4:5], v[148:149], v[42:43]
	v_fma_f64 v[4:5], v[146:147], v[44:45], -v[4:5]
	s_waitcnt vmcnt(26) lgkmcnt(1)
	v_mul_f64 v[204:205], v[194:195], v[168:169]
	v_add_f64 v[2:3], v[2:3], v[4:5]
	v_mul_f64 v[4:5], v[152:153], v[38:39]
	s_waitcnt vmcnt(24)
	v_fmac_f64_e32 v[204:205], v[196:197], v[170:171]
	v_fma_f64 v[4:5], v[150:151], v[40:41], -v[4:5]
	v_add_f64 v[206:207], v[202:203], v[204:205]
	ds_read_b128 v[202:205], v108 offset:784
	s_waitcnt lgkmcnt(1)
	v_mul_f64 v[208:209], v[198:199], v[154:155]
	v_add_f64 v[2:3], v[2:3], v[4:5]
	v_mul_f64 v[4:5], v[160:161], v[104:105]
	v_fmac_f64_e32 v[208:209], v[200:201], v[166:167]
	v_fma_f64 v[4:5], v[158:159], v[106:107], -v[4:5]
	v_add_f64 v[210:211], v[206:207], v[208:209]
	ds_read_b128 v[206:209], v108 offset:800
	v_add_f64 v[2:3], v[2:3], v[4:5]
	v_mul_f64 v[4:5], v[164:165], v[100:101]
	v_fma_f64 v[4:5], v[162:163], v[102:103], -v[4:5]
	v_add_f64 v[2:3], v[2:3], v[4:5]
	v_mul_f64 v[4:5], v[196:197], v[168:169]
	s_waitcnt vmcnt(18) lgkmcnt(1)
	v_mul_f64 v[212:213], v[202:203], v[176:177]
	v_fma_f64 v[4:5], v[194:195], v[170:171], -v[4:5]
	s_waitcnt vmcnt(16)
	v_fmac_f64_e32 v[212:213], v[204:205], v[178:179]
	v_add_f64 v[2:3], v[2:3], v[4:5]
	v_mul_f64 v[4:5], v[200:201], v[154:155]
	v_add_f64 v[214:215], v[210:211], v[212:213]
	ds_read_b128 v[210:213], v108 offset:816
	s_waitcnt lgkmcnt(1)
	v_mul_f64 v[216:217], v[206:207], v[172:173]
	v_fma_f64 v[4:5], v[198:199], v[166:167], -v[4:5]
	v_fmac_f64_e32 v[216:217], v[208:209], v[174:175]
	v_add_f64 v[2:3], v[2:3], v[4:5]
	v_mul_f64 v[4:5], v[204:205], v[176:177]
	v_add_f64 v[230:231], v[214:215], v[216:217]
	ds_read_b128 v[214:217], v108 offset:832
	v_fma_f64 v[4:5], v[202:203], v[178:179], -v[4:5]
	v_add_f64 v[2:3], v[2:3], v[4:5]
	v_mul_f64 v[4:5], v[208:209], v[172:173]
	v_fma_f64 v[4:5], v[206:207], v[174:175], -v[4:5]
	v_add_f64 v[2:3], v[2:3], v[4:5]
	s_waitcnt vmcnt(10) lgkmcnt(1)
	v_mul_f64 v[4:5], v[212:213], v[184:185]
	v_mul_f64 v[232:233], v[210:211], v[184:185]
	s_waitcnt vmcnt(8)
	v_fma_f64 v[4:5], v[210:211], v[186:187], -v[4:5]
	v_fmac_f64_e32 v[232:233], v[212:213], v[186:187]
	v_add_f64 v[2:3], v[2:3], v[4:5]
	s_waitcnt lgkmcnt(0)
	v_mul_f64 v[4:5], v[216:217], v[180:181]
	v_add_f64 v[108:109], v[230:231], v[232:233]
	v_mul_f64 v[230:231], v[214:215], v[180:181]
	v_fma_f64 v[4:5], v[214:215], v[182:183], -v[4:5]
	v_fmac_f64_e32 v[230:231], v[216:217], v[182:183]
	v_add_f64 v[2:3], v[2:3], v[4:5]
	s_waitcnt vmcnt(6)
	v_mul_f64 v[4:5], v[220:221], v[222:223]
	v_add_f64 v[108:109], v[108:109], v[230:231]
	v_mul_f64 v[230:231], v[218:219], v[222:223]
	s_waitcnt vmcnt(4)
	v_fma_f64 v[4:5], v[218:219], v[224:225], -v[4:5]
	v_fmac_f64_e32 v[230:231], v[220:221], v[224:225]
	v_add_f64 v[2:3], v[2:3], v[4:5]
	v_add_f64 v[108:109], v[108:109], v[230:231]
	s_waitcnt vmcnt(2)
	v_add_f64 v[2:3], v[226:227], -v[2:3]
	s_waitcnt vmcnt(0)
	v_add_f64 v[4:5], v[228:229], -v[108:109]
	buffer_store_dword v3, off, s[0:3], 0 offset:100
	buffer_store_dword v2, off, s[0:3], 0 offset:96
	;; [unrolled: 1-line block ×4, first 2 shown]
	s_and_saveexec_b64 s[6:7], vcc
	s_cbranch_execz .LBB90_165
; %bb.164:
	v_accvgpr_read_b32 v5, a39
	buffer_load_dword v2, v5, s[0:3], 0 offen
	buffer_load_dword v3, v5, s[0:3], 0 offen offset:4
	buffer_load_dword v4, v5, s[0:3], 0 offen offset:8
	s_nop 0
	buffer_load_dword v5, v5, s[0:3], 0 offen offset:12
	v_mov_b32_e32 v6, 0
	buffer_store_dword v6, off, s[0:3], 0 offset:80
	buffer_store_dword v6, off, s[0:3], 0 offset:84
	;; [unrolled: 1-line block ×4, first 2 shown]
	s_waitcnt vmcnt(4)
	ds_write_b128 v1, v[2:5]
.LBB90_165:
	s_or_b64 exec, exec, s[6:7]
	s_waitcnt lgkmcnt(0)
	; wave barrier
	s_waitcnt lgkmcnt(0)
	buffer_load_dword v4, off, s[0:3], 0 offset:80
	buffer_load_dword v5, off, s[0:3], 0 offset:84
	;; [unrolled: 1-line block ×84, first 2 shown]
	v_mov_b32_e32 v140, 0
	ds_read_b128 v[120:123], v140 offset:528
	buffer_load_dword v185, off, s[0:3], 0 offset:428
	buffer_load_dword v184, off, s[0:3], 0 offset:424
	;; [unrolled: 1-line block ×4, first 2 shown]
	ds_read_b128 v[124:127], v140 offset:544
	ds_read_b128 v[128:131], v140 offset:560
	ds_read_b128 v[132:135], v140 offset:576
	ds_read_b128 v[234:237], v140 offset:848
	v_cmp_lt_u32_e32 vcc, 4, v193
	s_waitcnt vmcnt(62) lgkmcnt(4)
	v_mul_f64 v[136:137], v[120:121], v[12:13]
	v_fmac_f64_e32 v[136:137], v[122:123], v[6:7]
	s_waitcnt lgkmcnt(3)
	v_mul_f64 v[138:139], v[124:125], v[14:15]
	v_add_f64 v[136:137], v[136:137], 0
	v_fmac_f64_e32 v[138:139], v[126:127], v[8:9]
	v_add_f64 v[136:137], v[136:137], v[138:139]
	s_waitcnt lgkmcnt(2)
	v_mul_f64 v[138:139], v[128:129], v[16:17]
	v_fmac_f64_e32 v[138:139], v[130:131], v[10:11]
	v_add_f64 v[142:143], v[136:137], v[138:139]
	ds_read_b128 v[136:139], v140 offset:592
	v_mul_f64 v[12:13], v[122:123], v[12:13]
	s_waitcnt lgkmcnt(2)
	v_mul_f64 v[144:145], v[132:133], v[22:23]
	v_fma_f64 v[6:7], v[120:121], v[6:7], -v[12:13]
	v_fmac_f64_e32 v[144:145], v[134:135], v[24:25]
	v_add_f64 v[146:147], v[142:143], v[144:145]
	ds_read_b128 v[142:145], v140 offset:608
	s_waitcnt lgkmcnt(1)
	v_mul_f64 v[148:149], v[136:137], v[18:19]
	v_fmac_f64_e32 v[148:149], v[138:139], v[20:21]
	v_add_f64 v[150:151], v[146:147], v[148:149]
	ds_read_b128 v[146:149], v140 offset:624
	s_waitcnt vmcnt(58) lgkmcnt(1)
	v_mul_f64 v[152:153], v[142:143], v[30:31]
	s_waitcnt vmcnt(56)
	v_fmac_f64_e32 v[152:153], v[144:145], v[32:33]
	v_add_f64 v[158:159], v[150:151], v[152:153]
	ds_read_b128 v[150:153], v140 offset:640
	s_waitcnt lgkmcnt(1)
	v_mul_f64 v[160:161], v[146:147], v[26:27]
	v_fmac_f64_e32 v[160:161], v[148:149], v[28:29]
	v_add_f64 v[162:163], v[158:159], v[160:161]
	ds_read_b128 v[158:161], v140 offset:656
	s_waitcnt vmcnt(50) lgkmcnt(1)
	v_mul_f64 v[164:165], v[150:151], v[38:39]
	s_waitcnt vmcnt(48)
	v_fmac_f64_e32 v[164:165], v[152:153], v[40:41]
	v_add_f64 v[194:195], v[162:163], v[164:165]
	ds_read_b128 v[162:165], v140 offset:672
	s_waitcnt lgkmcnt(1)
	v_mul_f64 v[196:197], v[158:159], v[34:35]
	v_fmac_f64_e32 v[196:197], v[160:161], v[36:37]
	v_mul_f64 v[12:13], v[126:127], v[14:15]
	v_add_f64 v[198:199], v[194:195], v[196:197]
	ds_read_b128 v[194:197], v140 offset:688
	s_waitcnt vmcnt(42) lgkmcnt(1)
	v_mul_f64 v[200:201], v[162:163], v[100:101]
	v_add_f64 v[6:7], v[6:7], 0
	v_fma_f64 v[8:9], v[124:125], v[8:9], -v[12:13]
	s_waitcnt vmcnt(40)
	v_fmac_f64_e32 v[200:201], v[164:165], v[102:103]
	v_add_f64 v[6:7], v[6:7], v[8:9]
	v_mul_f64 v[8:9], v[130:131], v[16:17]
	v_add_f64 v[202:203], v[198:199], v[200:201]
	ds_read_b128 v[198:201], v140 offset:704
	v_fma_f64 v[8:9], v[128:129], v[10:11], -v[8:9]
	v_add_f64 v[6:7], v[6:7], v[8:9]
	v_mul_f64 v[8:9], v[134:135], v[22:23]
	v_fma_f64 v[8:9], v[132:133], v[24:25], -v[8:9]
	s_waitcnt lgkmcnt(1)
	v_mul_f64 v[204:205], v[194:195], v[42:43]
	v_add_f64 v[6:7], v[6:7], v[8:9]
	v_mul_f64 v[8:9], v[138:139], v[18:19]
	v_fmac_f64_e32 v[204:205], v[196:197], v[44:45]
	v_fma_f64 v[8:9], v[136:137], v[20:21], -v[8:9]
	v_add_f64 v[206:207], v[202:203], v[204:205]
	ds_read_b128 v[202:205], v140 offset:720
	s_waitcnt vmcnt(34) lgkmcnt(1)
	v_mul_f64 v[208:209], v[198:199], v[108:109]
	v_add_f64 v[6:7], v[6:7], v[8:9]
	v_mul_f64 v[8:9], v[144:145], v[30:31]
	s_waitcnt vmcnt(32)
	v_fmac_f64_e32 v[208:209], v[200:201], v[110:111]
	v_fma_f64 v[8:9], v[142:143], v[32:33], -v[8:9]
	v_add_f64 v[210:211], v[206:207], v[208:209]
	ds_read_b128 v[206:209], v140 offset:736
	v_add_f64 v[6:7], v[6:7], v[8:9]
	v_mul_f64 v[8:9], v[148:149], v[26:27]
	v_fma_f64 v[8:9], v[146:147], v[28:29], -v[8:9]
	v_add_f64 v[6:7], v[6:7], v[8:9]
	v_mul_f64 v[8:9], v[152:153], v[38:39]
	s_waitcnt lgkmcnt(1)
	v_mul_f64 v[212:213], v[202:203], v[104:105]
	v_fma_f64 v[8:9], v[150:151], v[40:41], -v[8:9]
	v_fmac_f64_e32 v[212:213], v[204:205], v[106:107]
	v_add_f64 v[6:7], v[6:7], v[8:9]
	v_mul_f64 v[8:9], v[160:161], v[34:35]
	v_add_f64 v[214:215], v[210:211], v[212:213]
	ds_read_b128 v[210:213], v140 offset:752
	s_waitcnt vmcnt(26) lgkmcnt(1)
	v_mul_f64 v[216:217], v[206:207], v[116:117]
	v_fma_f64 v[8:9], v[158:159], v[36:37], -v[8:9]
	s_waitcnt vmcnt(24)
	v_fmac_f64_e32 v[216:217], v[208:209], v[118:119]
	v_add_f64 v[6:7], v[6:7], v[8:9]
	v_mul_f64 v[8:9], v[164:165], v[100:101]
	v_add_f64 v[218:219], v[214:215], v[216:217]
	ds_read_b128 v[214:217], v140 offset:768
	v_fma_f64 v[8:9], v[162:163], v[102:103], -v[8:9]
	v_add_f64 v[6:7], v[6:7], v[8:9]
	v_mul_f64 v[8:9], v[196:197], v[42:43]
	v_fma_f64 v[8:9], v[194:195], v[44:45], -v[8:9]
	s_waitcnt lgkmcnt(1)
	v_mul_f64 v[220:221], v[210:211], v[112:113]
	v_add_f64 v[6:7], v[6:7], v[8:9]
	v_mul_f64 v[8:9], v[200:201], v[108:109]
	v_fmac_f64_e32 v[220:221], v[212:213], v[114:115]
	v_fma_f64 v[8:9], v[198:199], v[110:111], -v[8:9]
	v_add_f64 v[222:223], v[218:219], v[220:221]
	ds_read_b128 v[218:221], v140 offset:784
	s_waitcnt vmcnt(18) lgkmcnt(1)
	v_mul_f64 v[224:225], v[214:215], v[168:169]
	v_add_f64 v[6:7], v[6:7], v[8:9]
	v_mul_f64 v[8:9], v[204:205], v[104:105]
	s_waitcnt vmcnt(16)
	v_fmac_f64_e32 v[224:225], v[216:217], v[170:171]
	v_fma_f64 v[8:9], v[202:203], v[106:107], -v[8:9]
	v_add_f64 v[226:227], v[222:223], v[224:225]
	ds_read_b128 v[222:225], v140 offset:800
	v_add_f64 v[6:7], v[6:7], v[8:9]
	v_mul_f64 v[8:9], v[208:209], v[116:117]
	v_fma_f64 v[8:9], v[206:207], v[118:119], -v[8:9]
	v_add_f64 v[6:7], v[6:7], v[8:9]
	v_mul_f64 v[8:9], v[212:213], v[112:113]
	s_waitcnt lgkmcnt(1)
	v_mul_f64 v[228:229], v[218:219], v[154:155]
	v_fma_f64 v[8:9], v[210:211], v[114:115], -v[8:9]
	v_fmac_f64_e32 v[228:229], v[220:221], v[166:167]
	v_add_f64 v[6:7], v[6:7], v[8:9]
	v_mul_f64 v[8:9], v[216:217], v[168:169]
	v_add_f64 v[230:231], v[226:227], v[228:229]
	ds_read_b128 v[226:229], v140 offset:816
	s_waitcnt vmcnt(10) lgkmcnt(1)
	v_mul_f64 v[232:233], v[222:223], v[176:177]
	v_fma_f64 v[8:9], v[214:215], v[170:171], -v[8:9]
	s_waitcnt vmcnt(8)
	v_fmac_f64_e32 v[232:233], v[224:225], v[178:179]
	v_add_f64 v[6:7], v[6:7], v[8:9]
	v_mul_f64 v[8:9], v[220:221], v[154:155]
	v_add_f64 v[238:239], v[230:231], v[232:233]
	ds_read_b128 v[230:233], v140 offset:832
	v_fma_f64 v[8:9], v[218:219], v[166:167], -v[8:9]
	v_add_f64 v[6:7], v[6:7], v[8:9]
	v_mul_f64 v[8:9], v[224:225], v[176:177]
	v_fma_f64 v[8:9], v[222:223], v[178:179], -v[8:9]
	v_add_f64 v[6:7], v[6:7], v[8:9]
	s_waitcnt lgkmcnt(1)
	v_mul_f64 v[8:9], v[228:229], v[172:173]
	v_mul_f64 v[240:241], v[226:227], v[172:173]
	v_fma_f64 v[8:9], v[226:227], v[174:175], -v[8:9]
	v_fmac_f64_e32 v[240:241], v[228:229], v[174:175]
	v_add_f64 v[6:7], v[6:7], v[8:9]
	s_waitcnt vmcnt(6) lgkmcnt(0)
	v_mul_f64 v[8:9], v[232:233], v[180:181]
	v_add_f64 v[238:239], v[238:239], v[240:241]
	v_mul_f64 v[240:241], v[230:231], v[180:181]
	s_waitcnt vmcnt(4)
	v_fma_f64 v[8:9], v[230:231], v[182:183], -v[8:9]
	v_fmac_f64_e32 v[240:241], v[232:233], v[182:183]
	v_add_f64 v[6:7], v[6:7], v[8:9]
	s_waitcnt vmcnt(2)
	v_mul_f64 v[8:9], v[236:237], v[184:185]
	v_add_f64 v[238:239], v[238:239], v[240:241]
	v_mul_f64 v[240:241], v[234:235], v[184:185]
	s_waitcnt vmcnt(0)
	v_fma_f64 v[8:9], v[234:235], v[186:187], -v[8:9]
	v_fmac_f64_e32 v[240:241], v[236:237], v[186:187]
	v_add_f64 v[6:7], v[6:7], v[8:9]
	v_add_f64 v[238:239], v[238:239], v[240:241]
	v_add_f64 v[4:5], v[4:5], -v[6:7]
	v_add_f64 v[2:3], v[2:3], -v[238:239]
	buffer_store_dword v5, off, s[0:3], 0 offset:84
	buffer_store_dword v4, off, s[0:3], 0 offset:80
	;; [unrolled: 1-line block ×4, first 2 shown]
	s_and_saveexec_b64 s[6:7], vcc
	s_cbranch_execz .LBB90_167
; %bb.166:
	v_accvgpr_read_b32 v5, a41
	buffer_load_dword v2, v5, s[0:3], 0 offen
	buffer_load_dword v3, v5, s[0:3], 0 offen offset:4
	buffer_load_dword v4, v5, s[0:3], 0 offen offset:8
	s_nop 0
	buffer_load_dword v5, v5, s[0:3], 0 offen offset:12
	s_nop 0
	buffer_store_dword v140, off, s[0:3], 0 offset:64
	buffer_store_dword v140, off, s[0:3], 0 offset:68
	;; [unrolled: 1-line block ×4, first 2 shown]
	s_waitcnt vmcnt(4)
	ds_write_b128 v1, v[2:5]
.LBB90_167:
	s_or_b64 exec, exec, s[6:7]
	s_waitcnt lgkmcnt(0)
	; wave barrier
	s_waitcnt lgkmcnt(0)
	ds_read_b128 v[14:17], v140 offset:512
	ds_read_b128 v[10:13], v140 offset:528
	;; [unrolled: 1-line block ×4, first 2 shown]
	buffer_load_dword v20, off, s[0:3], 0 offset:64
	buffer_load_dword v21, off, s[0:3], 0 offset:68
	;; [unrolled: 1-line block ×92, first 2 shown]
	s_waitcnt vmcnt(62) lgkmcnt(3)
	v_mul_f64 v[142:143], v[14:15], v[28:29]
	v_fmac_f64_e32 v[142:143], v[16:17], v[22:23]
	s_waitcnt lgkmcnt(2)
	v_mul_f64 v[144:145], v[10:11], v[30:31]
	v_add_f64 v[142:143], v[142:143], 0
	v_fmac_f64_e32 v[144:145], v[12:13], v[24:25]
	v_add_f64 v[142:143], v[142:143], v[144:145]
	s_waitcnt lgkmcnt(1)
	v_mul_f64 v[144:145], v[6:7], v[32:33]
	v_fmac_f64_e32 v[144:145], v[8:9], v[26:27]
	v_add_f64 v[146:147], v[142:143], v[144:145]
	ds_read_b128 v[142:145], v140 offset:576
	v_mul_f64 v[16:17], v[16:17], v[28:29]
	v_fma_f64 v[14:15], v[14:15], v[22:23], -v[16:17]
	s_waitcnt lgkmcnt(1)
	v_mul_f64 v[148:149], v[2:3], v[38:39]
	v_mul_f64 v[12:13], v[12:13], v[30:31]
	v_fmac_f64_e32 v[148:149], v[4:5], v[40:41]
	v_add_f64 v[150:151], v[146:147], v[148:149]
	ds_read_b128 v[146:149], v140 offset:592
	s_waitcnt lgkmcnt(1)
	v_mul_f64 v[152:153], v[142:143], v[34:35]
	v_fmac_f64_e32 v[152:153], v[144:145], v[36:37]
	v_add_f64 v[158:159], v[150:151], v[152:153]
	ds_read_b128 v[150:153], v140 offset:608
	s_waitcnt lgkmcnt(1)
	v_mul_f64 v[160:161], v[146:147], v[100:101]
	s_waitcnt vmcnt(60)
	v_fmac_f64_e32 v[160:161], v[148:149], v[102:103]
	v_add_f64 v[162:163], v[158:159], v[160:161]
	ds_read_b128 v[158:161], v140 offset:624
	s_waitcnt lgkmcnt(1)
	v_mul_f64 v[164:165], v[150:151], v[42:43]
	v_fmac_f64_e32 v[164:165], v[152:153], v[44:45]
	v_add_f64 v[194:195], v[162:163], v[164:165]
	ds_read_b128 v[162:165], v140 offset:640
	s_waitcnt vmcnt(54) lgkmcnt(1)
	v_mul_f64 v[196:197], v[158:159], v[108:109]
	s_waitcnt vmcnt(52)
	v_fmac_f64_e32 v[196:197], v[160:161], v[110:111]
	v_add_f64 v[198:199], v[194:195], v[196:197]
	ds_read_b128 v[194:197], v140 offset:656
	s_waitcnt lgkmcnt(1)
	v_mul_f64 v[200:201], v[162:163], v[104:105]
	v_fmac_f64_e32 v[200:201], v[164:165], v[106:107]
	v_add_f64 v[202:203], v[198:199], v[200:201]
	ds_read_b128 v[198:201], v140 offset:672
	s_waitcnt vmcnt(46) lgkmcnt(1)
	v_mul_f64 v[204:205], v[194:195], v[116:117]
	s_waitcnt vmcnt(44)
	v_fmac_f64_e32 v[204:205], v[196:197], v[118:119]
	v_add_f64 v[206:207], v[202:203], v[204:205]
	ds_read_b128 v[202:205], v140 offset:688
	s_waitcnt lgkmcnt(1)
	v_mul_f64 v[208:209], v[198:199], v[112:113]
	v_fmac_f64_e32 v[208:209], v[200:201], v[114:115]
	v_add_f64 v[14:15], v[14:15], 0
	v_fma_f64 v[10:11], v[10:11], v[24:25], -v[12:13]
	v_mul_f64 v[8:9], v[8:9], v[32:33]
	v_add_f64 v[210:211], v[206:207], v[208:209]
	ds_read_b128 v[206:209], v140 offset:704
	v_add_f64 v[10:11], v[14:15], v[10:11]
	v_fma_f64 v[6:7], v[6:7], v[26:27], -v[8:9]
	v_mul_f64 v[4:5], v[4:5], v[38:39]
	v_add_f64 v[6:7], v[10:11], v[6:7]
	v_fma_f64 v[2:3], v[2:3], v[40:41], -v[4:5]
	v_mul_f64 v[4:5], v[144:145], v[34:35]
	v_add_f64 v[2:3], v[6:7], v[2:3]
	v_fma_f64 v[4:5], v[142:143], v[36:37], -v[4:5]
	s_waitcnt vmcnt(38) lgkmcnt(1)
	v_mul_f64 v[212:213], v[202:203], v[124:125]
	v_add_f64 v[2:3], v[2:3], v[4:5]
	v_mul_f64 v[4:5], v[148:149], v[100:101]
	s_waitcnt vmcnt(36)
	v_fmac_f64_e32 v[212:213], v[204:205], v[126:127]
	v_fma_f64 v[4:5], v[146:147], v[102:103], -v[4:5]
	v_add_f64 v[214:215], v[210:211], v[212:213]
	ds_read_b128 v[210:213], v140 offset:720
	s_waitcnt lgkmcnt(1)
	v_mul_f64 v[216:217], v[206:207], v[120:121]
	v_add_f64 v[2:3], v[2:3], v[4:5]
	v_mul_f64 v[4:5], v[152:153], v[42:43]
	v_fmac_f64_e32 v[216:217], v[208:209], v[122:123]
	v_fma_f64 v[4:5], v[150:151], v[44:45], -v[4:5]
	v_add_f64 v[218:219], v[214:215], v[216:217]
	ds_read_b128 v[214:217], v140 offset:736
	v_add_f64 v[2:3], v[2:3], v[4:5]
	v_mul_f64 v[4:5], v[160:161], v[108:109]
	v_fma_f64 v[4:5], v[158:159], v[110:111], -v[4:5]
	v_add_f64 v[2:3], v[2:3], v[4:5]
	v_mul_f64 v[4:5], v[164:165], v[104:105]
	s_waitcnt vmcnt(30) lgkmcnt(1)
	v_mul_f64 v[220:221], v[210:211], v[132:133]
	v_fma_f64 v[4:5], v[162:163], v[106:107], -v[4:5]
	s_waitcnt vmcnt(28)
	v_fmac_f64_e32 v[220:221], v[212:213], v[134:135]
	v_add_f64 v[2:3], v[2:3], v[4:5]
	v_mul_f64 v[4:5], v[196:197], v[116:117]
	v_add_f64 v[222:223], v[218:219], v[220:221]
	ds_read_b128 v[218:221], v140 offset:752
	s_waitcnt lgkmcnt(1)
	v_mul_f64 v[224:225], v[214:215], v[128:129]
	v_fma_f64 v[4:5], v[194:195], v[118:119], -v[4:5]
	v_fmac_f64_e32 v[224:225], v[216:217], v[130:131]
	v_add_f64 v[2:3], v[2:3], v[4:5]
	v_mul_f64 v[4:5], v[200:201], v[112:113]
	v_add_f64 v[226:227], v[222:223], v[224:225]
	ds_read_b128 v[222:225], v140 offset:768
	v_fma_f64 v[4:5], v[198:199], v[114:115], -v[4:5]
	v_add_f64 v[2:3], v[2:3], v[4:5]
	v_mul_f64 v[4:5], v[204:205], v[124:125]
	v_fma_f64 v[4:5], v[202:203], v[126:127], -v[4:5]
	s_waitcnt vmcnt(22) lgkmcnt(1)
	v_mul_f64 v[228:229], v[218:219], v[154:155]
	v_add_f64 v[2:3], v[2:3], v[4:5]
	v_mul_f64 v[4:5], v[208:209], v[120:121]
	s_waitcnt vmcnt(20)
	v_fmac_f64_e32 v[228:229], v[220:221], v[166:167]
	v_fma_f64 v[4:5], v[206:207], v[122:123], -v[4:5]
	v_add_f64 v[230:231], v[226:227], v[228:229]
	ds_read_b128 v[226:229], v140 offset:784
	s_waitcnt lgkmcnt(1)
	v_mul_f64 v[232:233], v[222:223], v[136:137]
	v_add_f64 v[2:3], v[2:3], v[4:5]
	v_mul_f64 v[4:5], v[212:213], v[132:133]
	v_fmac_f64_e32 v[232:233], v[224:225], v[138:139]
	v_fma_f64 v[4:5], v[210:211], v[134:135], -v[4:5]
	v_add_f64 v[234:235], v[230:231], v[232:233]
	ds_read_b128 v[230:233], v140 offset:800
	v_add_f64 v[2:3], v[2:3], v[4:5]
	v_mul_f64 v[4:5], v[216:217], v[128:129]
	v_fma_f64 v[4:5], v[214:215], v[130:131], -v[4:5]
	v_add_f64 v[2:3], v[2:3], v[4:5]
	v_mul_f64 v[4:5], v[220:221], v[154:155]
	s_waitcnt vmcnt(14) lgkmcnt(1)
	v_mul_f64 v[236:237], v[226:227], v[172:173]
	v_fma_f64 v[4:5], v[218:219], v[166:167], -v[4:5]
	s_waitcnt vmcnt(12)
	v_fmac_f64_e32 v[236:237], v[228:229], v[174:175]
	v_add_f64 v[2:3], v[2:3], v[4:5]
	v_mul_f64 v[4:5], v[224:225], v[136:137]
	v_add_f64 v[238:239], v[234:235], v[236:237]
	ds_read_b128 v[234:237], v140 offset:816
	s_waitcnt lgkmcnt(1)
	v_mul_f64 v[240:241], v[230:231], v[168:169]
	v_fma_f64 v[4:5], v[222:223], v[138:139], -v[4:5]
	v_fmac_f64_e32 v[240:241], v[232:233], v[170:171]
	v_add_f64 v[2:3], v[2:3], v[4:5]
	v_mul_f64 v[4:5], v[228:229], v[172:173]
	v_add_f64 v[246:247], v[238:239], v[240:241]
	ds_read_b128 v[238:241], v140 offset:832
	ds_read_b128 v[242:245], v140 offset:848
	v_fma_f64 v[4:5], v[226:227], v[174:175], -v[4:5]
	v_add_f64 v[2:3], v[2:3], v[4:5]
	v_mul_f64 v[4:5], v[232:233], v[168:169]
	v_fma_f64 v[4:5], v[230:231], v[170:171], -v[4:5]
	v_add_f64 v[2:3], v[2:3], v[4:5]
	s_waitcnt vmcnt(6) lgkmcnt(2)
	v_mul_f64 v[4:5], v[236:237], v[180:181]
	v_mul_f64 v[248:249], v[234:235], v[180:181]
	s_waitcnt vmcnt(4)
	v_fma_f64 v[4:5], v[234:235], v[182:183], -v[4:5]
	v_fmac_f64_e32 v[248:249], v[236:237], v[182:183]
	v_add_f64 v[2:3], v[2:3], v[4:5]
	s_waitcnt lgkmcnt(1)
	v_mul_f64 v[4:5], v[240:241], v[176:177]
	v_add_f64 v[140:141], v[246:247], v[248:249]
	v_mul_f64 v[246:247], v[238:239], v[176:177]
	v_fma_f64 v[4:5], v[238:239], v[178:179], -v[4:5]
	v_fmac_f64_e32 v[246:247], v[240:241], v[178:179]
	v_add_f64 v[2:3], v[2:3], v[4:5]
	s_waitcnt vmcnt(2) lgkmcnt(0)
	v_mul_f64 v[4:5], v[244:245], v[184:185]
	v_add_f64 v[140:141], v[140:141], v[246:247]
	v_mul_f64 v[246:247], v[242:243], v[184:185]
	s_waitcnt vmcnt(0)
	v_fma_f64 v[4:5], v[242:243], v[186:187], -v[4:5]
	v_fmac_f64_e32 v[246:247], v[244:245], v[186:187]
	v_add_f64 v[2:3], v[2:3], v[4:5]
	v_add_f64 v[140:141], v[140:141], v[246:247]
	v_add_f64 v[2:3], v[20:21], -v[2:3]
	v_cmp_lt_u32_e32 vcc, 3, v193
	v_add_f64 v[4:5], v[18:19], -v[140:141]
	buffer_store_dword v3, off, s[0:3], 0 offset:68
	buffer_store_dword v2, off, s[0:3], 0 offset:64
	;; [unrolled: 1-line block ×4, first 2 shown]
	s_and_saveexec_b64 s[6:7], vcc
	s_cbranch_execz .LBB90_169
; %bb.168:
	v_accvgpr_read_b32 v5, a44
	buffer_load_dword v2, v5, s[0:3], 0 offen
	buffer_load_dword v3, v5, s[0:3], 0 offen offset:4
	buffer_load_dword v4, v5, s[0:3], 0 offen offset:8
	s_nop 0
	buffer_load_dword v5, v5, s[0:3], 0 offen offset:12
	v_mov_b32_e32 v6, 0
	buffer_store_dword v6, off, s[0:3], 0 offset:48
	buffer_store_dword v6, off, s[0:3], 0 offset:52
	;; [unrolled: 1-line block ×4, first 2 shown]
	s_waitcnt vmcnt(4)
	ds_write_b128 v1, v[2:5]
.LBB90_169:
	s_or_b64 exec, exec, s[6:7]
	s_waitcnt lgkmcnt(0)
	; wave barrier
	s_waitcnt lgkmcnt(0)
	buffer_load_dword v9, off, s[0:3], 0 offset:76
	buffer_load_dword v6, off, s[0:3], 0 offset:88
	;; [unrolled: 1-line block ×64, first 2 shown]
	v_mov_b32_e32 v152, 0
	ds_read_b128 v[128:131], v152 offset:496
	ds_read_b128 v[132:135], v152 offset:512
	buffer_load_dword v121, off, s[0:3], 0 offset:332
	buffer_load_dword v120, off, s[0:3], 0 offset:328
	;; [unrolled: 1-line block ×8, first 2 shown]
	ds_read_b128 v[136:139], v152 offset:528
	ds_read_b128 v[140:143], v152 offset:544
	buffer_load_dword v155, off, s[0:3], 0 offset:364
	buffer_load_dword v154, off, s[0:3], 0 offset:360
	;; [unrolled: 1-line block ×24, first 2 shown]
	ds_read_b128 v[250:253], v152 offset:848
	v_cmp_lt_u32_e32 vcc, 2, v193
	s_waitcnt vmcnt(62) lgkmcnt(1)
	v_mul_f64 v[150:151], v[140:141], v[22:23]
	v_fmac_f64_e32 v[150:151], v[142:143], v[24:25]
	v_mul_f64 v[146:147], v[132:133], v[6:7]
	v_mul_f64 v[144:145], v[128:129], v[8:9]
	;; [unrolled: 1-line block ×3, first 2 shown]
	v_fmac_f64_e32 v[144:145], v[130:131], v[10:11]
	v_add_f64 v[144:145], v[144:145], 0
	v_fma_f64 v[8:9], v[128:129], v[10:11], -v[8:9]
	v_mul_f64 v[6:7], v[134:135], v[6:7]
	v_add_f64 v[8:9], v[8:9], 0
	v_fmac_f64_e32 v[146:147], v[134:135], v[14:15]
	v_add_f64 v[144:145], v[144:145], v[146:147]
	v_mul_f64 v[146:147], v[136:137], v[16:17]
	v_fmac_f64_e32 v[146:147], v[138:139], v[12:13]
	v_add_f64 v[148:149], v[144:145], v[146:147]
	ds_read_b128 v[144:147], v152 offset:560
	v_add_f64 v[158:159], v[148:149], v[150:151]
	ds_read_b128 v[148:151], v152 offset:576
	v_fma_f64 v[6:7], v[132:133], v[14:15], -v[6:7]
	v_add_f64 v[6:7], v[8:9], v[6:7]
	s_waitcnt lgkmcnt(1)
	v_mul_f64 v[160:161], v[144:145], v[18:19]
	v_fmac_f64_e32 v[160:161], v[146:147], v[20:21]
	v_add_f64 v[162:163], v[158:159], v[160:161]
	ds_read_b128 v[158:161], v152 offset:592
	s_waitcnt lgkmcnt(1)
	v_mul_f64 v[164:165], v[148:149], v[30:31]
	v_fmac_f64_e32 v[164:165], v[150:151], v[32:33]
	v_add_f64 v[194:195], v[162:163], v[164:165]
	ds_read_b128 v[162:165], v152 offset:608
	;; [unrolled: 5-line block ×3, first 2 shown]
	s_waitcnt vmcnt(58) lgkmcnt(1)
	v_mul_f64 v[200:201], v[162:163], v[38:39]
	s_waitcnt vmcnt(56)
	v_fmac_f64_e32 v[200:201], v[164:165], v[40:41]
	v_add_f64 v[202:203], v[198:199], v[200:201]
	ds_read_b128 v[198:201], v152 offset:640
	s_waitcnt lgkmcnt(1)
	v_mul_f64 v[204:205], v[194:195], v[34:35]
	v_fmac_f64_e32 v[204:205], v[196:197], v[36:37]
	v_add_f64 v[206:207], v[202:203], v[204:205]
	ds_read_b128 v[202:205], v152 offset:656
	s_waitcnt vmcnt(50) lgkmcnt(1)
	v_mul_f64 v[208:209], v[198:199], v[100:101]
	s_waitcnt vmcnt(48)
	v_fmac_f64_e32 v[208:209], v[200:201], v[102:103]
	v_add_f64 v[210:211], v[206:207], v[208:209]
	ds_read_b128 v[206:209], v152 offset:672
	v_mul_f64 v[8:9], v[138:139], v[16:17]
	s_waitcnt lgkmcnt(1)
	v_mul_f64 v[212:213], v[202:203], v[42:43]
	v_fma_f64 v[8:9], v[136:137], v[12:13], -v[8:9]
	v_fmac_f64_e32 v[212:213], v[204:205], v[44:45]
	v_add_f64 v[6:7], v[6:7], v[8:9]
	v_mul_f64 v[8:9], v[142:143], v[22:23]
	v_add_f64 v[214:215], v[210:211], v[212:213]
	ds_read_b128 v[210:213], v152 offset:688
	s_waitcnt vmcnt(42) lgkmcnt(1)
	v_mul_f64 v[216:217], v[206:207], v[108:109]
	v_fma_f64 v[8:9], v[140:141], v[24:25], -v[8:9]
	s_waitcnt vmcnt(40)
	v_fmac_f64_e32 v[216:217], v[208:209], v[110:111]
	v_add_f64 v[6:7], v[6:7], v[8:9]
	v_mul_f64 v[8:9], v[146:147], v[18:19]
	v_add_f64 v[218:219], v[214:215], v[216:217]
	ds_read_b128 v[214:217], v152 offset:704
	v_fma_f64 v[8:9], v[144:145], v[20:21], -v[8:9]
	v_add_f64 v[6:7], v[6:7], v[8:9]
	v_mul_f64 v[8:9], v[150:151], v[30:31]
	v_fma_f64 v[8:9], v[148:149], v[32:33], -v[8:9]
	s_waitcnt lgkmcnt(1)
	v_mul_f64 v[220:221], v[210:211], v[104:105]
	v_add_f64 v[6:7], v[6:7], v[8:9]
	v_mul_f64 v[8:9], v[160:161], v[26:27]
	v_fmac_f64_e32 v[220:221], v[212:213], v[106:107]
	v_fma_f64 v[8:9], v[158:159], v[28:29], -v[8:9]
	v_add_f64 v[222:223], v[218:219], v[220:221]
	ds_read_b128 v[218:221], v152 offset:720
	s_waitcnt vmcnt(34) lgkmcnt(1)
	v_mul_f64 v[224:225], v[214:215], v[116:117]
	v_add_f64 v[6:7], v[6:7], v[8:9]
	v_mul_f64 v[8:9], v[164:165], v[38:39]
	s_waitcnt vmcnt(32)
	v_fmac_f64_e32 v[224:225], v[216:217], v[118:119]
	v_fma_f64 v[8:9], v[162:163], v[40:41], -v[8:9]
	v_add_f64 v[226:227], v[222:223], v[224:225]
	ds_read_b128 v[222:225], v152 offset:736
	v_add_f64 v[6:7], v[6:7], v[8:9]
	v_mul_f64 v[8:9], v[196:197], v[34:35]
	v_fma_f64 v[8:9], v[194:195], v[36:37], -v[8:9]
	v_add_f64 v[6:7], v[6:7], v[8:9]
	v_mul_f64 v[8:9], v[200:201], v[100:101]
	s_waitcnt lgkmcnt(1)
	v_mul_f64 v[228:229], v[218:219], v[112:113]
	v_fma_f64 v[8:9], v[198:199], v[102:103], -v[8:9]
	v_fmac_f64_e32 v[228:229], v[220:221], v[114:115]
	v_add_f64 v[6:7], v[6:7], v[8:9]
	v_mul_f64 v[8:9], v[204:205], v[42:43]
	v_add_f64 v[230:231], v[226:227], v[228:229]
	ds_read_b128 v[226:229], v152 offset:752
	s_waitcnt vmcnt(26) lgkmcnt(1)
	v_mul_f64 v[232:233], v[222:223], v[124:125]
	v_fma_f64 v[8:9], v[202:203], v[44:45], -v[8:9]
	s_waitcnt vmcnt(24)
	v_fmac_f64_e32 v[232:233], v[224:225], v[126:127]
	v_add_f64 v[6:7], v[6:7], v[8:9]
	v_mul_f64 v[8:9], v[208:209], v[108:109]
	v_add_f64 v[234:235], v[230:231], v[232:233]
	ds_read_b128 v[230:233], v152 offset:768
	v_fma_f64 v[8:9], v[206:207], v[110:111], -v[8:9]
	v_add_f64 v[6:7], v[6:7], v[8:9]
	v_mul_f64 v[8:9], v[212:213], v[104:105]
	v_fma_f64 v[8:9], v[210:211], v[106:107], -v[8:9]
	s_waitcnt lgkmcnt(1)
	v_mul_f64 v[236:237], v[226:227], v[120:121]
	v_add_f64 v[6:7], v[6:7], v[8:9]
	v_mul_f64 v[8:9], v[216:217], v[116:117]
	v_fmac_f64_e32 v[236:237], v[228:229], v[122:123]
	v_fma_f64 v[8:9], v[214:215], v[118:119], -v[8:9]
	v_add_f64 v[238:239], v[234:235], v[236:237]
	ds_read_b128 v[234:237], v152 offset:784
	s_waitcnt vmcnt(18) lgkmcnt(1)
	v_mul_f64 v[240:241], v[230:231], v[168:169]
	v_add_f64 v[6:7], v[6:7], v[8:9]
	v_mul_f64 v[8:9], v[220:221], v[112:113]
	s_waitcnt vmcnt(16)
	v_fmac_f64_e32 v[240:241], v[232:233], v[170:171]
	v_fma_f64 v[8:9], v[218:219], v[114:115], -v[8:9]
	v_add_f64 v[242:243], v[238:239], v[240:241]
	ds_read_b128 v[238:241], v152 offset:800
	v_add_f64 v[6:7], v[6:7], v[8:9]
	v_mul_f64 v[8:9], v[224:225], v[124:125]
	v_fma_f64 v[8:9], v[222:223], v[126:127], -v[8:9]
	v_add_f64 v[6:7], v[6:7], v[8:9]
	v_mul_f64 v[8:9], v[228:229], v[120:121]
	s_waitcnt lgkmcnt(1)
	v_mul_f64 v[244:245], v[234:235], v[154:155]
	v_fma_f64 v[8:9], v[226:227], v[122:123], -v[8:9]
	v_fmac_f64_e32 v[244:245], v[236:237], v[166:167]
	v_add_f64 v[6:7], v[6:7], v[8:9]
	v_mul_f64 v[8:9], v[232:233], v[168:169]
	v_add_f64 v[246:247], v[242:243], v[244:245]
	ds_read_b128 v[242:245], v152 offset:816
	s_waitcnt vmcnt(10) lgkmcnt(1)
	v_mul_f64 v[248:249], v[238:239], v[176:177]
	v_fma_f64 v[8:9], v[230:231], v[170:171], -v[8:9]
	s_waitcnt vmcnt(8)
	v_fmac_f64_e32 v[248:249], v[240:241], v[178:179]
	v_add_f64 v[6:7], v[6:7], v[8:9]
	v_mul_f64 v[8:9], v[236:237], v[154:155]
	v_add_f64 v[254:255], v[246:247], v[248:249]
	ds_read_b128 v[246:249], v152 offset:832
	v_fma_f64 v[8:9], v[234:235], v[166:167], -v[8:9]
	v_add_f64 v[6:7], v[6:7], v[8:9]
	v_mul_f64 v[8:9], v[240:241], v[176:177]
	v_fma_f64 v[8:9], v[238:239], v[178:179], -v[8:9]
	v_add_f64 v[6:7], v[6:7], v[8:9]
	s_waitcnt lgkmcnt(1)
	v_mul_f64 v[8:9], v[244:245], v[172:173]
	v_mul_f64 v[188:189], v[242:243], v[172:173]
	v_fma_f64 v[8:9], v[242:243], v[174:175], -v[8:9]
	v_fmac_f64_e32 v[188:189], v[244:245], v[174:175]
	v_add_f64 v[6:7], v[6:7], v[8:9]
	s_waitcnt vmcnt(2) lgkmcnt(0)
	v_mul_f64 v[8:9], v[248:249], v[184:185]
	v_add_f64 v[188:189], v[254:255], v[188:189]
	v_mul_f64 v[254:255], v[246:247], v[184:185]
	s_waitcnt vmcnt(0)
	v_fma_f64 v[8:9], v[246:247], v[186:187], -v[8:9]
	v_fmac_f64_e32 v[254:255], v[248:249], v[186:187]
	v_add_f64 v[6:7], v[6:7], v[8:9]
	v_mul_f64 v[8:9], v[252:253], v[180:181]
	v_add_f64 v[188:189], v[188:189], v[254:255]
	v_mul_f64 v[254:255], v[250:251], v[180:181]
	v_fma_f64 v[8:9], v[250:251], v[182:183], -v[8:9]
	v_fmac_f64_e32 v[254:255], v[252:253], v[182:183]
	v_add_f64 v[6:7], v[6:7], v[8:9]
	v_add_f64 v[188:189], v[188:189], v[254:255]
	v_add_f64 v[4:5], v[4:5], -v[6:7]
	v_add_f64 v[2:3], v[2:3], -v[188:189]
	buffer_store_dword v5, off, s[0:3], 0 offset:52
	buffer_store_dword v4, off, s[0:3], 0 offset:48
	;; [unrolled: 1-line block ×4, first 2 shown]
	s_and_saveexec_b64 s[6:7], vcc
	s_cbranch_execz .LBB90_171
; %bb.170:
	buffer_load_dword v2, v192, s[0:3], 0 offen
	buffer_load_dword v3, v192, s[0:3], 0 offen offset:4
	buffer_load_dword v4, v192, s[0:3], 0 offen offset:8
	;; [unrolled: 1-line block ×3, first 2 shown]
	s_nop 0
	buffer_store_dword v152, off, s[0:3], 0 offset:32
	buffer_store_dword v152, off, s[0:3], 0 offset:36
	;; [unrolled: 1-line block ×4, first 2 shown]
	s_waitcnt vmcnt(4)
	ds_write_b128 v1, v[2:5]
.LBB90_171:
	s_or_b64 exec, exec, s[6:7]
	s_waitcnt lgkmcnt(0)
	; wave barrier
	s_waitcnt lgkmcnt(0)
	buffer_load_dword v22, off, s[0:3], 0 offset:48
	buffer_load_dword v23, off, s[0:3], 0 offset:52
	;; [unrolled: 1-line block ×16, first 2 shown]
	ds_read_b128 v[2:5], v152 offset:480
	ds_read_b128 v[6:9], v152 offset:496
	;; [unrolled: 1-line block ×4, first 2 shown]
	buffer_load_dword v35, off, s[0:3], 0 offset:124
	buffer_load_dword v34, off, s[0:3], 0 offset:120
	;; [unrolled: 1-line block ×48, first 2 shown]
	v_cmp_lt_u32_e32 vcc, 1, v193
	s_waitcnt vmcnt(42) lgkmcnt(0)
	v_mul_f64 v[162:163], v[14:15], v[38:39]
	s_waitcnt vmcnt(40)
	v_fmac_f64_e32 v[162:163], v[16:17], v[40:41]
	v_mul_f64 v[136:137], v[2:3], v[24:25]
	v_fmac_f64_e32 v[136:137], v[4:5], v[22:23]
	v_add_f64 v[136:137], v[136:137], 0
	v_mul_f64 v[4:5], v[4:5], v[24:25]
	v_mul_f64 v[138:139], v[6:7], v[32:33]
	v_fma_f64 v[2:3], v[2:3], v[22:23], -v[4:5]
	v_mul_f64 v[154:155], v[10:11], v[26:27]
	v_fmac_f64_e32 v[154:155], v[12:13], v[30:31]
	v_fmac_f64_e32 v[138:139], v[8:9], v[28:29]
	v_add_f64 v[158:159], v[136:137], v[138:139]
	buffer_load_dword v137, off, s[0:3], 0 offset:316
	buffer_load_dword v136, off, s[0:3], 0 offset:312
	;; [unrolled: 1-line block ×32, first 2 shown]
	v_add_f64 v[154:155], v[158:159], v[154:155]
	ds_read_b128 v[158:161], v152 offset:544
	buffer_load_dword v255, off, s[0:3], 0 offset:428
	buffer_load_dword v254, off, s[0:3], 0 offset:424
	;; [unrolled: 1-line block ×4, first 2 shown]
	v_add_f64 v[154:155], v[154:155], v[162:163]
	ds_read_b128 v[162:165], v152 offset:560
	ds_read_b128 v[194:197], v152 offset:576
	v_mul_f64 v[4:5], v[8:9], v[32:33]
	v_add_f64 v[2:3], v[2:3], 0
	v_fma_f64 v[4:5], v[6:7], v[28:29], -v[4:5]
	v_add_f64 v[2:3], v[2:3], v[4:5]
	v_mul_f64 v[4:5], v[12:13], v[26:27]
	s_waitcnt lgkmcnt(2)
	v_mul_f64 v[166:167], v[158:159], v[34:35]
	v_fma_f64 v[4:5], v[10:11], v[30:31], -v[4:5]
	v_fmac_f64_e32 v[166:167], v[160:161], v[36:37]
	ds_read_b128 v[198:201], v152 offset:592
	ds_read_b128 v[202:205], v152 offset:608
	v_add_f64 v[2:3], v[2:3], v[4:5]
	v_mul_f64 v[4:5], v[16:17], v[38:39]
	v_add_f64 v[154:155], v[154:155], v[166:167]
	s_waitcnt vmcnt(62) lgkmcnt(3)
	v_mul_f64 v[166:167], v[162:163], v[100:101]
	v_fma_f64 v[4:5], v[14:15], v[40:41], -v[4:5]
	v_fmac_f64_e32 v[166:167], v[164:165], v[102:103]
	v_add_f64 v[2:3], v[2:3], v[4:5]
	v_mul_f64 v[4:5], v[160:161], v[34:35]
	v_add_f64 v[154:155], v[154:155], v[166:167]
	s_waitcnt lgkmcnt(2)
	v_mul_f64 v[166:167], v[194:195], v[42:43]
	v_fma_f64 v[4:5], v[158:159], v[36:37], -v[4:5]
	v_fmac_f64_e32 v[166:167], v[196:197], v[44:45]
	ds_read_b128 v[206:209], v152 offset:624
	ds_read_b128 v[210:213], v152 offset:640
	v_add_f64 v[2:3], v[2:3], v[4:5]
	v_mul_f64 v[4:5], v[164:165], v[100:101]
	v_add_f64 v[154:155], v[154:155], v[166:167]
	s_waitcnt lgkmcnt(3)
	v_mul_f64 v[166:167], v[198:199], v[108:109]
	v_fma_f64 v[4:5], v[162:163], v[102:103], -v[4:5]
	s_waitcnt vmcnt(60)
	v_fmac_f64_e32 v[166:167], v[200:201], v[110:111]
	v_add_f64 v[2:3], v[2:3], v[4:5]
	v_mul_f64 v[4:5], v[196:197], v[42:43]
	v_add_f64 v[154:155], v[154:155], v[166:167]
	s_waitcnt lgkmcnt(2)
	v_mul_f64 v[166:167], v[202:203], v[104:105]
	v_fma_f64 v[4:5], v[194:195], v[44:45], -v[4:5]
	v_fmac_f64_e32 v[166:167], v[204:205], v[106:107]
	ds_read_b128 v[214:217], v152 offset:656
	ds_read_b128 v[218:221], v152 offset:672
	v_add_f64 v[2:3], v[2:3], v[4:5]
	v_mul_f64 v[4:5], v[200:201], v[108:109]
	v_add_f64 v[154:155], v[154:155], v[166:167]
	s_waitcnt vmcnt(54) lgkmcnt(3)
	v_mul_f64 v[166:167], v[206:207], v[116:117]
	v_fma_f64 v[4:5], v[198:199], v[110:111], -v[4:5]
	s_waitcnt vmcnt(52)
	v_fmac_f64_e32 v[166:167], v[208:209], v[118:119]
	v_add_f64 v[2:3], v[2:3], v[4:5]
	v_mul_f64 v[4:5], v[204:205], v[104:105]
	v_add_f64 v[154:155], v[154:155], v[166:167]
	s_waitcnt lgkmcnt(2)
	v_mul_f64 v[166:167], v[210:211], v[112:113]
	v_fma_f64 v[4:5], v[202:203], v[106:107], -v[4:5]
	v_fmac_f64_e32 v[166:167], v[212:213], v[114:115]
	ds_read_b128 v[222:225], v152 offset:688
	ds_read_b128 v[226:229], v152 offset:704
	v_add_f64 v[2:3], v[2:3], v[4:5]
	v_mul_f64 v[4:5], v[208:209], v[116:117]
	v_add_f64 v[154:155], v[154:155], v[166:167]
	s_waitcnt vmcnt(46) lgkmcnt(3)
	;; [unrolled: 17-line block ×5, first 2 shown]
	v_mul_f64 v[166:167], v[238:239], v[148:149]
	v_fma_f64 v[4:5], v[230:231], v[142:143], -v[4:5]
	s_waitcnt vmcnt(20)
	v_fmac_f64_e32 v[166:167], v[240:241], v[150:151]
	v_add_f64 v[2:3], v[2:3], v[4:5]
	v_mul_f64 v[4:5], v[236:237], v[136:137]
	v_add_f64 v[154:155], v[154:155], v[166:167]
	s_waitcnt lgkmcnt(2)
	v_mul_f64 v[166:167], v[242:243], v[144:145]
	v_fma_f64 v[4:5], v[234:235], v[138:139], -v[4:5]
	v_fmac_f64_e32 v[166:167], v[244:245], v[146:147]
	v_add_f64 v[2:3], v[2:3], v[4:5]
	v_mul_f64 v[4:5], v[240:241], v[148:149]
	v_add_f64 v[154:155], v[154:155], v[166:167]
	s_waitcnt vmcnt(14) lgkmcnt(1)
	v_mul_f64 v[166:167], v[246:247], v[178:179]
	v_fma_f64 v[4:5], v[238:239], v[150:151], -v[4:5]
	s_waitcnt vmcnt(12)
	v_fmac_f64_e32 v[166:167], v[248:249], v[180:181]
	v_add_f64 v[2:3], v[2:3], v[4:5]
	v_mul_f64 v[4:5], v[244:245], v[144:145]
	v_add_f64 v[154:155], v[154:155], v[166:167]
	ds_read_b128 v[166:169], v152 offset:816
	s_waitcnt lgkmcnt(1)
	v_mul_f64 v[170:171], v[250:251], v[174:175]
	v_fma_f64 v[4:5], v[242:243], v[146:147], -v[4:5]
	v_fmac_f64_e32 v[170:171], v[252:253], v[176:177]
	v_add_f64 v[2:3], v[2:3], v[4:5]
	v_mul_f64 v[4:5], v[248:249], v[178:179]
	v_add_f64 v[156:157], v[154:155], v[170:171]
	ds_read_b128 v[170:173], v152 offset:832
	v_fma_f64 v[4:5], v[246:247], v[180:181], -v[4:5]
	v_add_f64 v[2:3], v[2:3], v[4:5]
	v_mul_f64 v[4:5], v[252:253], v[174:175]
	ds_read_b128 v[152:155], v152 offset:848
	v_fma_f64 v[4:5], v[250:251], v[176:177], -v[4:5]
	v_add_f64 v[2:3], v[2:3], v[4:5]
	s_waitcnt vmcnt(6) lgkmcnt(2)
	v_mul_f64 v[4:5], v[168:169], v[186:187]
	v_mul_f64 v[48:49], v[166:167], v[186:187]
	s_waitcnt vmcnt(4)
	v_fma_f64 v[4:5], v[166:167], v[188:189], -v[4:5]
	v_fmac_f64_e32 v[48:49], v[168:169], v[188:189]
	v_add_f64 v[2:3], v[2:3], v[4:5]
	s_waitcnt lgkmcnt(1)
	v_mul_f64 v[4:5], v[172:173], v[182:183]
	v_add_f64 v[48:49], v[156:157], v[48:49]
	v_mul_f64 v[156:157], v[170:171], v[182:183]
	v_fma_f64 v[4:5], v[170:171], v[184:185], -v[4:5]
	v_fmac_f64_e32 v[156:157], v[172:173], v[184:185]
	v_add_f64 v[2:3], v[2:3], v[4:5]
	s_waitcnt vmcnt(2) lgkmcnt(0)
	v_mul_f64 v[4:5], v[154:155], v[254:255]
	v_add_f64 v[48:49], v[48:49], v[156:157]
	v_mul_f64 v[156:157], v[152:153], v[254:255]
	s_waitcnt vmcnt(0)
	v_fma_f64 v[4:5], v[152:153], v[190:191], -v[4:5]
	v_fmac_f64_e32 v[156:157], v[154:155], v[190:191]
	v_add_f64 v[2:3], v[2:3], v[4:5]
	v_add_f64 v[48:49], v[48:49], v[156:157]
	v_add_f64 v[2:3], v[20:21], -v[2:3]
	v_add_f64 v[4:5], v[18:19], -v[48:49]
	buffer_store_dword v3, off, s[0:3], 0 offset:36
	buffer_store_dword v2, off, s[0:3], 0 offset:32
	;; [unrolled: 1-line block ×4, first 2 shown]
	s_and_saveexec_b64 s[6:7], vcc
	s_cbranch_execz .LBB90_173
; %bb.172:
	v_accvgpr_read_b32 v5, a43
	buffer_load_dword v2, v5, s[0:3], 0 offen
	buffer_load_dword v3, v5, s[0:3], 0 offen offset:4
	buffer_load_dword v4, v5, s[0:3], 0 offen offset:8
	s_nop 0
	buffer_load_dword v5, v5, s[0:3], 0 offen offset:12
	v_mov_b32_e32 v6, 0
	buffer_store_dword v6, off, s[0:3], 0 offset:16
	buffer_store_dword v6, off, s[0:3], 0 offset:20
	;; [unrolled: 1-line block ×4, first 2 shown]
	s_waitcnt vmcnt(4)
	ds_write_b128 v1, v[2:5]
.LBB90_173:
	s_or_b64 exec, exec, s[6:7]
	s_waitcnt lgkmcnt(0)
	; wave barrier
	s_waitcnt lgkmcnt(0)
	buffer_load_dword v22, off, s[0:3], 0 offset:32
	buffer_load_dword v23, off, s[0:3], 0 offset:36
	;; [unrolled: 1-line block ×64, first 2 shown]
	v_mov_b32_e32 v194, 0
	ds_read_b128 v[18:21], v194 offset:464
	ds_read_b128 v[14:17], v194 offset:480
	;; [unrolled: 1-line block ×5, first 2 shown]
	v_cmp_ne_u32_e32 vcc, 0, v193
	s_waitcnt vmcnt(60) lgkmcnt(4)
	v_mul_f64 v[48:49], v[18:19], v[26:27]
	v_fmac_f64_e32 v[48:49], v[20:21], v[22:23]
	v_add_f64 v[48:49], v[48:49], 0
	v_mul_f64 v[20:21], v[20:21], v[26:27]
	s_waitcnt vmcnt(56) lgkmcnt(3)
	v_mul_f64 v[140:141], v[14:15], v[28:29]
	v_fmac_f64_e32 v[140:141], v[16:17], v[24:25]
	s_waitcnt vmcnt(54) lgkmcnt(2)
	v_mul_f64 v[142:143], v[10:11], v[30:31]
	v_add_f64 v[48:49], v[48:49], v[140:141]
	v_fma_f64 v[18:19], v[18:19], v[22:23], -v[20:21]
	v_mul_f64 v[16:17], v[16:17], v[28:29]
	s_waitcnt vmcnt(50) lgkmcnt(1)
	v_mul_f64 v[156:157], v[6:7], v[40:41]
	v_add_f64 v[18:19], v[18:19], 0
	s_waitcnt vmcnt(48)
	v_fmac_f64_e32 v[142:143], v[12:13], v[44:45]
	v_add_f64 v[48:49], v[48:49], v[142:143]
	buffer_load_dword v141, off, s[0:3], 0 offset:300
	buffer_load_dword v140, off, s[0:3], 0 offset:296
	;; [unrolled: 1-line block ×40, first 2 shown]
	ds_read_b128 v[158:161], v194 offset:544
	ds_read_b128 v[162:165], v194 offset:560
	s_waitcnt vmcnt(62)
	v_fmac_f64_e32 v[156:157], v[8:9], v[42:43]
	v_fma_f64 v[14:15], v[14:15], v[24:25], -v[16:17]
	v_mul_f64 v[12:13], v[12:13], v[30:31]
	v_add_f64 v[48:49], v[48:49], v[156:157]
	s_waitcnt lgkmcnt(2)
	v_mul_f64 v[156:157], v[2:3], v[36:37]
	v_add_f64 v[14:15], v[18:19], v[14:15]
	v_fma_f64 v[10:11], v[10:11], v[44:45], -v[12:13]
	v_mul_f64 v[8:9], v[8:9], v[40:41]
	v_fmac_f64_e32 v[156:157], v[4:5], v[38:39]
	ds_read_b128 v[166:169], v194 offset:576
	ds_read_b128 v[170:173], v194 offset:592
	v_add_f64 v[10:11], v[14:15], v[10:11]
	v_fma_f64 v[6:7], v[6:7], v[42:43], -v[8:9]
	v_mul_f64 v[4:5], v[4:5], v[36:37]
	v_add_f64 v[6:7], v[10:11], v[6:7]
	v_fma_f64 v[2:3], v[2:3], v[38:39], -v[4:5]
	s_waitcnt lgkmcnt(3)
	v_mul_f64 v[4:5], v[160:161], v[104:105]
	v_add_f64 v[48:49], v[48:49], v[156:157]
	v_mul_f64 v[156:157], v[158:159], v[104:105]
	v_add_f64 v[2:3], v[6:7], v[2:3]
	v_fma_f64 v[4:5], v[158:159], v[106:107], -v[4:5]
	v_fmac_f64_e32 v[156:157], v[160:161], v[106:107]
	v_add_f64 v[2:3], v[2:3], v[4:5]
	s_waitcnt lgkmcnt(2)
	v_mul_f64 v[4:5], v[164:165], v[100:101]
	v_add_f64 v[48:49], v[48:49], v[156:157]
	v_mul_f64 v[156:157], v[162:163], v[100:101]
	ds_read_b128 v[196:199], v194 offset:608
	ds_read_b128 v[200:203], v194 offset:624
	v_fma_f64 v[4:5], v[162:163], v[102:103], -v[4:5]
	v_fmac_f64_e32 v[156:157], v[164:165], v[102:103]
	v_add_f64 v[2:3], v[2:3], v[4:5]
	s_waitcnt lgkmcnt(3)
	v_mul_f64 v[4:5], v[168:169], v[112:113]
	v_add_f64 v[48:49], v[48:49], v[156:157]
	v_mul_f64 v[156:157], v[166:167], v[112:113]
	v_fma_f64 v[4:5], v[166:167], v[114:115], -v[4:5]
	v_fmac_f64_e32 v[156:157], v[168:169], v[114:115]
	v_add_f64 v[2:3], v[2:3], v[4:5]
	s_waitcnt lgkmcnt(2)
	v_mul_f64 v[4:5], v[172:173], v[108:109]
	v_add_f64 v[48:49], v[48:49], v[156:157]
	v_mul_f64 v[156:157], v[170:171], v[108:109]
	ds_read_b128 v[204:207], v194 offset:640
	ds_read_b128 v[208:211], v194 offset:656
	v_fma_f64 v[4:5], v[170:171], v[110:111], -v[4:5]
	v_fmac_f64_e32 v[156:157], v[172:173], v[110:111]
	v_add_f64 v[2:3], v[2:3], v[4:5]
	s_waitcnt vmcnt(58) lgkmcnt(3)
	v_mul_f64 v[4:5], v[198:199], v[120:121]
	v_add_f64 v[48:49], v[48:49], v[156:157]
	v_mul_f64 v[156:157], v[196:197], v[120:121]
	s_waitcnt vmcnt(56)
	v_fma_f64 v[4:5], v[196:197], v[122:123], -v[4:5]
	v_fmac_f64_e32 v[156:157], v[198:199], v[122:123]
	v_add_f64 v[2:3], v[2:3], v[4:5]
	s_waitcnt lgkmcnt(2)
	v_mul_f64 v[4:5], v[202:203], v[116:117]
	v_add_f64 v[48:49], v[48:49], v[156:157]
	v_mul_f64 v[156:157], v[200:201], v[116:117]
	ds_read_b128 v[212:215], v194 offset:672
	ds_read_b128 v[216:219], v194 offset:688
	v_fma_f64 v[4:5], v[200:201], v[118:119], -v[4:5]
	v_fmac_f64_e32 v[156:157], v[202:203], v[118:119]
	v_add_f64 v[2:3], v[2:3], v[4:5]
	s_waitcnt vmcnt(50) lgkmcnt(3)
	v_mul_f64 v[4:5], v[206:207], v[128:129]
	v_add_f64 v[48:49], v[48:49], v[156:157]
	v_mul_f64 v[156:157], v[204:205], v[128:129]
	s_waitcnt vmcnt(48)
	;; [unrolled: 17-line block ×7, first 2 shown]
	v_fma_f64 v[4:5], v[244:245], v[50:51], -v[4:5]
	v_fmac_f64_e32 v[156:157], v[246:247], v[50:51]
	v_add_f64 v[2:3], v[2:3], v[4:5]
	s_waitcnt lgkmcnt(2)
	v_mul_f64 v[4:5], v[250:251], v[186:187]
	v_add_f64 v[48:49], v[48:49], v[156:157]
	v_mul_f64 v[156:157], v[248:249], v[186:187]
	v_fma_f64 v[4:5], v[248:249], v[188:189], -v[4:5]
	v_fmac_f64_e32 v[156:157], v[250:251], v[188:189]
	v_add_f64 v[2:3], v[2:3], v[4:5]
	s_waitcnt vmcnt(2) lgkmcnt(1)
	v_mul_f64 v[4:5], v[254:255], v[56:57]
	v_add_f64 v[48:49], v[48:49], v[156:157]
	v_mul_f64 v[156:157], v[252:253], v[56:57]
	s_waitcnt vmcnt(0)
	v_fma_f64 v[4:5], v[252:253], v[58:59], -v[4:5]
	v_fmac_f64_e32 v[156:157], v[254:255], v[58:59]
	v_add_f64 v[2:3], v[2:3], v[4:5]
	s_waitcnt lgkmcnt(0)
	v_mul_f64 v[4:5], v[176:177], v[52:53]
	v_add_f64 v[48:49], v[48:49], v[156:157]
	v_mul_f64 v[156:157], v[174:175], v[52:53]
	v_fma_f64 v[4:5], v[174:175], v[54:55], -v[4:5]
	v_fmac_f64_e32 v[156:157], v[176:177], v[54:55]
	v_add_f64 v[2:3], v[2:3], v[4:5]
	v_add_f64 v[48:49], v[48:49], v[156:157]
	v_add_f64 v[2:3], v[34:35], -v[2:3]
	v_add_f64 v[4:5], v[32:33], -v[48:49]
	buffer_store_dword v3, off, s[0:3], 0 offset:20
	buffer_store_dword v2, off, s[0:3], 0 offset:16
	buffer_store_dword v5, off, s[0:3], 0 offset:28
	buffer_store_dword v4, off, s[0:3], 0 offset:24
	s_and_saveexec_b64 s[6:7], vcc
	s_cbranch_execz .LBB90_175
; %bb.174:
	buffer_load_dword v2, off, s[0:3], 0
	buffer_load_dword v3, off, s[0:3], 0 offset:4
	buffer_load_dword v4, off, s[0:3], 0 offset:8
	;; [unrolled: 1-line block ×3, first 2 shown]
	s_nop 0
	buffer_store_dword v194, off, s[0:3], 0
	buffer_store_dword v194, off, s[0:3], 0 offset:4
	buffer_store_dword v194, off, s[0:3], 0 offset:8
	;; [unrolled: 1-line block ×3, first 2 shown]
	s_waitcnt vmcnt(4)
	ds_write_b128 v1, v[2:5]
.LBB90_175:
	s_or_b64 exec, exec, s[6:7]
	s_waitcnt lgkmcnt(0)
	; wave barrier
	s_waitcnt lgkmcnt(0)
	buffer_load_dword v26, off, s[0:3], 0 offset:16
	buffer_load_dword v27, off, s[0:3], 0 offset:20
	;; [unrolled: 1-line block ×20, first 2 shown]
	buffer_load_dword v36, off, s[0:3], 0
	buffer_load_dword v37, off, s[0:3], 0 offset:4
	buffer_load_dword v34, off, s[0:3], 0 offset:8
	;; [unrolled: 1-line block ×3, first 2 shown]
	ds_read_b128 v[22:25], v194 offset:448
	ds_read_b128 v[18:21], v194 offset:464
	ds_read_b128 v[10:13], v194 offset:480
	ds_read_b128 v[6:9], v194 offset:496
	ds_read_b128 v[2:5], v194 offset:512
	ds_read_b128 v[14:17], v194 offset:528
	buffer_load_dword v105, off, s[0:3], 0 offset:124
	buffer_load_dword v104, off, s[0:3], 0 offset:120
	;; [unrolled: 1-line block ×40, first 2 shown]
	s_and_b64 vcc, exec, s[18:19]
	s_waitcnt vmcnt(60) lgkmcnt(5)
	v_mul_f64 v[48:49], v[22:23], v[28:29]
	v_fmac_f64_e32 v[48:49], v[24:25], v[26:27]
	s_waitcnt vmcnt(58) lgkmcnt(4)
	v_mul_f64 v[50:51], v[18:19], v[30:31]
	v_add_f64 v[48:49], v[48:49], 0
	s_waitcnt vmcnt(56) lgkmcnt(3)
	v_mul_f64 v[52:53], v[10:11], v[32:33]
	v_mul_f64 v[24:25], v[24:25], v[28:29]
	v_fma_f64 v[22:23], v[22:23], v[26:27], -v[24:25]
	v_add_f64 v[22:23], v[22:23], 0
	s_waitcnt vmcnt(54) lgkmcnt(1)
	v_mul_f64 v[56:57], v[2:3], v[38:39]
	s_waitcnt vmcnt(51)
	v_mul_f64 v[54:55], v[6:7], v[42:43]
	s_waitcnt vmcnt(49)
	v_fmac_f64_e32 v[50:51], v[20:21], v[102:103]
	v_add_f64 v[48:49], v[48:49], v[50:51]
	s_waitcnt vmcnt(47)
	v_fmac_f64_e32 v[52:53], v[12:13], v[100:101]
	v_add_f64 v[48:49], v[48:49], v[52:53]
	;; [unrolled: 3-line block ×3, first 2 shown]
	buffer_load_dword v145, off, s[0:3], 0 offset:284
	buffer_load_dword v144, off, s[0:3], 0 offset:280
	;; [unrolled: 1-line block ×40, first 2 shown]
	ds_read_b128 v[168:171], v194 offset:544
	buffer_load_dword v65, off, s[0:3], 0 offset:428
	buffer_load_dword v64, off, s[0:3], 0 offset:424
	buffer_load_dword v67, off, s[0:3], 0 offset:420
	buffer_load_dword v66, off, s[0:3], 0 offset:416
	v_mul_f64 v[20:21], v[20:21], v[30:31]
	v_fma_f64 v[18:19], v[18:19], v[102:103], -v[20:21]
	v_mul_f64 v[12:13], v[12:13], v[32:33]
	v_add_f64 v[18:19], v[22:23], v[18:19]
	v_fma_f64 v[10:11], v[10:11], v[100:101], -v[12:13]
	v_mul_f64 v[8:9], v[8:9], v[42:43]
	s_waitcnt vmcnt(62)
	v_fmac_f64_e32 v[56:57], v[4:5], v[40:41]
	ds_read_b128 v[172:175], v194 offset:560
	ds_read_b128 v[196:199], v194 offset:576
	v_add_f64 v[10:11], v[18:19], v[10:11]
	v_fma_f64 v[6:7], v[6:7], v[44:45], -v[8:9]
	v_mul_f64 v[4:5], v[4:5], v[38:39]
	v_add_f64 v[6:7], v[10:11], v[6:7]
	v_fma_f64 v[2:3], v[2:3], v[40:41], -v[4:5]
	s_waitcnt lgkmcnt(3)
	v_mul_f64 v[4:5], v[16:17], v[108:109]
	v_add_f64 v[48:49], v[48:49], v[56:57]
	v_mul_f64 v[56:57], v[14:15], v[108:109]
	v_add_f64 v[2:3], v[6:7], v[2:3]
	v_fma_f64 v[4:5], v[14:15], v[110:111], -v[4:5]
	v_fmac_f64_e32 v[56:57], v[16:17], v[110:111]
	v_add_f64 v[2:3], v[2:3], v[4:5]
	s_waitcnt lgkmcnt(2)
	v_mul_f64 v[4:5], v[170:171], v[104:105]
	v_add_f64 v[48:49], v[48:49], v[56:57]
	v_mul_f64 v[56:57], v[168:169], v[104:105]
	ds_read_b128 v[200:203], v194 offset:592
	ds_read_b128 v[204:207], v194 offset:608
	v_fma_f64 v[4:5], v[168:169], v[106:107], -v[4:5]
	v_fmac_f64_e32 v[56:57], v[170:171], v[106:107]
	v_add_f64 v[2:3], v[2:3], v[4:5]
	s_waitcnt lgkmcnt(3)
	v_mul_f64 v[4:5], v[174:175], v[116:117]
	v_add_f64 v[48:49], v[48:49], v[56:57]
	v_mul_f64 v[56:57], v[172:173], v[116:117]
	v_fma_f64 v[4:5], v[172:173], v[118:119], -v[4:5]
	v_fmac_f64_e32 v[56:57], v[174:175], v[118:119]
	v_add_f64 v[2:3], v[2:3], v[4:5]
	s_waitcnt lgkmcnt(2)
	v_mul_f64 v[4:5], v[198:199], v[112:113]
	v_add_f64 v[48:49], v[48:49], v[56:57]
	v_mul_f64 v[56:57], v[196:197], v[112:113]
	ds_read_b128 v[208:211], v194 offset:624
	ds_read_b128 v[212:215], v194 offset:640
	v_fma_f64 v[4:5], v[196:197], v[114:115], -v[4:5]
	v_fmac_f64_e32 v[56:57], v[198:199], v[114:115]
	v_add_f64 v[2:3], v[2:3], v[4:5]
	s_waitcnt lgkmcnt(3)
	v_mul_f64 v[4:5], v[202:203], v[124:125]
	v_add_f64 v[48:49], v[48:49], v[56:57]
	v_mul_f64 v[56:57], v[200:201], v[124:125]
	s_waitcnt vmcnt(60)
	v_fma_f64 v[4:5], v[200:201], v[126:127], -v[4:5]
	v_fmac_f64_e32 v[56:57], v[202:203], v[126:127]
	v_add_f64 v[2:3], v[2:3], v[4:5]
	s_waitcnt lgkmcnt(2)
	v_mul_f64 v[4:5], v[206:207], v[120:121]
	v_add_f64 v[48:49], v[48:49], v[56:57]
	v_mul_f64 v[56:57], v[204:205], v[120:121]
	ds_read_b128 v[216:219], v194 offset:656
	ds_read_b128 v[220:223], v194 offset:672
	v_fma_f64 v[4:5], v[204:205], v[122:123], -v[4:5]
	v_fmac_f64_e32 v[56:57], v[206:207], v[122:123]
	v_add_f64 v[2:3], v[2:3], v[4:5]
	s_waitcnt vmcnt(54) lgkmcnt(3)
	v_mul_f64 v[4:5], v[210:211], v[132:133]
	v_add_f64 v[48:49], v[48:49], v[56:57]
	v_mul_f64 v[56:57], v[208:209], v[132:133]
	s_waitcnt vmcnt(52)
	v_fma_f64 v[4:5], v[208:209], v[134:135], -v[4:5]
	v_fmac_f64_e32 v[56:57], v[210:211], v[134:135]
	v_add_f64 v[2:3], v[2:3], v[4:5]
	s_waitcnt lgkmcnt(2)
	v_mul_f64 v[4:5], v[214:215], v[128:129]
	v_add_f64 v[48:49], v[48:49], v[56:57]
	v_mul_f64 v[56:57], v[212:213], v[128:129]
	ds_read_b128 v[224:227], v194 offset:688
	ds_read_b128 v[228:231], v194 offset:704
	v_fma_f64 v[4:5], v[212:213], v[130:131], -v[4:5]
	v_fmac_f64_e32 v[56:57], v[214:215], v[130:131]
	v_add_f64 v[2:3], v[2:3], v[4:5]
	s_waitcnt vmcnt(46) lgkmcnt(3)
	;; [unrolled: 17-line block ×6, first 2 shown]
	v_mul_f64 v[4:5], v[250:251], v[54:55]
	v_add_f64 v[48:49], v[48:49], v[56:57]
	v_mul_f64 v[56:57], v[248:249], v[54:55]
	s_waitcnt vmcnt(12)
	v_fma_f64 v[4:5], v[248:249], v[58:59], -v[4:5]
	v_fmac_f64_e32 v[56:57], v[250:251], v[58:59]
	v_add_f64 v[2:3], v[2:3], v[4:5]
	s_waitcnt lgkmcnt(2)
	v_mul_f64 v[4:5], v[254:255], v[50:51]
	v_add_f64 v[48:49], v[48:49], v[56:57]
	v_mul_f64 v[56:57], v[252:253], v[50:51]
	ds_read_b128 v[184:187], v194 offset:848
	v_fma_f64 v[4:5], v[252:253], v[52:53], -v[4:5]
	v_fmac_f64_e32 v[56:57], v[254:255], v[52:53]
	v_add_f64 v[2:3], v[2:3], v[4:5]
	s_waitcnt vmcnt(6) lgkmcnt(2)
	v_mul_f64 v[4:5], v[178:179], v[60:61]
	v_add_f64 v[48:49], v[48:49], v[56:57]
	v_mul_f64 v[56:57], v[176:177], v[60:61]
	s_waitcnt vmcnt(4)
	v_fma_f64 v[4:5], v[176:177], v[62:63], -v[4:5]
	v_fmac_f64_e32 v[56:57], v[178:179], v[62:63]
	v_add_f64 v[2:3], v[2:3], v[4:5]
	s_waitcnt lgkmcnt(1)
	v_mul_f64 v[4:5], v[182:183], v[188:189]
	v_add_f64 v[48:49], v[48:49], v[56:57]
	v_mul_f64 v[56:57], v[180:181], v[188:189]
	v_fma_f64 v[4:5], v[180:181], v[190:191], -v[4:5]
	v_fmac_f64_e32 v[56:57], v[182:183], v[190:191]
	v_add_f64 v[2:3], v[2:3], v[4:5]
	s_waitcnt vmcnt(2) lgkmcnt(0)
	v_mul_f64 v[4:5], v[186:187], v[64:65]
	v_add_f64 v[48:49], v[48:49], v[56:57]
	v_mul_f64 v[56:57], v[184:185], v[64:65]
	s_waitcnt vmcnt(0)
	v_fma_f64 v[4:5], v[184:185], v[66:67], -v[4:5]
	v_fmac_f64_e32 v[56:57], v[186:187], v[66:67]
	v_add_f64 v[2:3], v[2:3], v[4:5]
	v_add_f64 v[48:49], v[48:49], v[56:57]
	v_add_f64 v[2:3], v[36:37], -v[2:3]
	v_add_f64 v[4:5], v[34:35], -v[48:49]
	buffer_store_dword v3, off, s[0:3], 0 offset:4
	buffer_store_dword v2, off, s[0:3], 0
	buffer_store_dword v5, off, s[0:3], 0 offset:12
	buffer_store_dword v4, off, s[0:3], 0 offset:8
	s_cbranch_vccz .LBB90_229
; %bb.176:
	v_pk_mov_b32 v[2:3], s[16:17], s[16:17] op_sel:[0,1]
	flat_load_dword v1, v[2:3] offset:100
	s_load_dwordx2 s[4:5], s[4:5], 0x4
	v_bfe_u32 v3, v0, 10, 10
	v_bfe_u32 v0, v0, 20, 10
	s_waitcnt lgkmcnt(0)
	s_lshr_b32 s4, s4, 16
	s_mul_i32 s4, s4, s5
	v_mul_u32_u24_e32 v2, s4, v193
	v_mul_u32_u24_e32 v3, s5, v3
	v_add3_u32 v0, v2, v3, v0
	v_mov_b32_e32 v2, 0x368
	v_lshl_add_u32 v0, v0, 4, v2
	s_waitcnt vmcnt(0)
	v_add_u32_e32 v2, -1, v1
	v_cmp_ne_u32_e32 vcc, 25, v2
	s_and_saveexec_b64 s[4:5], vcc
	s_cbranch_execz .LBB90_178
; %bb.177:
	v_mov_b32_e32 v1, 0
	v_accvgpr_read_b32 v10, a21
	v_lshl_add_u32 v1, v2, 4, v1
	buffer_load_dword v2, v10, s[0:3], 0 offen
	buffer_load_dword v3, v10, s[0:3], 0 offen offset:4
	buffer_load_dword v4, v10, s[0:3], 0 offen offset:8
	buffer_load_dword v5, v10, s[0:3], 0 offen offset:12
	buffer_load_dword v6, v1, s[0:3], 0 offen
	buffer_load_dword v7, v1, s[0:3], 0 offen offset:4
	buffer_load_dword v8, v1, s[0:3], 0 offen offset:8
	buffer_load_dword v9, v1, s[0:3], 0 offen offset:12
	s_waitcnt vmcnt(4)
	ds_write2_b64 v0, v[2:3], v[4:5] offset1:1
	s_waitcnt vmcnt(3)
	buffer_store_dword v6, v10, s[0:3], 0 offen
	s_waitcnt vmcnt(3)
	buffer_store_dword v7, v10, s[0:3], 0 offen offset:4
	s_waitcnt vmcnt(3)
	buffer_store_dword v8, v10, s[0:3], 0 offen offset:8
	s_waitcnt vmcnt(3)
	buffer_store_dword v9, v10, s[0:3], 0 offen offset:12
	buffer_store_dword v5, v1, s[0:3], 0 offen offset:12
	buffer_store_dword v4, v1, s[0:3], 0 offen offset:8
	buffer_store_dword v3, v1, s[0:3], 0 offen offset:4
	buffer_store_dword v2, v1, s[0:3], 0 offen
.LBB90_178:
	s_or_b64 exec, exec, s[4:5]
	v_pk_mov_b32 v[2:3], s[16:17], s[16:17] op_sel:[0,1]
	flat_load_dword v1, v[2:3] offset:96
	s_waitcnt vmcnt(0) lgkmcnt(0)
	v_add_u32_e32 v2, -1, v1
	v_cmp_ne_u32_e32 vcc, 24, v2
	s_and_saveexec_b64 s[4:5], vcc
	s_cbranch_execz .LBB90_180
; %bb.179:
	v_mov_b32_e32 v1, 0
	v_accvgpr_read_b32 v10, a22
	v_lshl_add_u32 v1, v2, 4, v1
	buffer_load_dword v2, v10, s[0:3], 0 offen
	buffer_load_dword v3, v10, s[0:3], 0 offen offset:4
	buffer_load_dword v4, v10, s[0:3], 0 offen offset:8
	buffer_load_dword v5, v10, s[0:3], 0 offen offset:12
	buffer_load_dword v6, v1, s[0:3], 0 offen
	buffer_load_dword v7, v1, s[0:3], 0 offen offset:4
	buffer_load_dword v8, v1, s[0:3], 0 offen offset:8
	buffer_load_dword v9, v1, s[0:3], 0 offen offset:12
	s_waitcnt vmcnt(4)
	ds_write2_b64 v0, v[2:3], v[4:5] offset1:1
	s_waitcnt vmcnt(3)
	buffer_store_dword v6, v10, s[0:3], 0 offen
	s_waitcnt vmcnt(3)
	buffer_store_dword v7, v10, s[0:3], 0 offen offset:4
	s_waitcnt vmcnt(3)
	buffer_store_dword v8, v10, s[0:3], 0 offen offset:8
	s_waitcnt vmcnt(3)
	buffer_store_dword v9, v10, s[0:3], 0 offen offset:12
	buffer_store_dword v5, v1, s[0:3], 0 offen offset:12
	buffer_store_dword v4, v1, s[0:3], 0 offen offset:8
	buffer_store_dword v3, v1, s[0:3], 0 offen offset:4
	buffer_store_dword v2, v1, s[0:3], 0 offen
.LBB90_180:
	s_or_b64 exec, exec, s[4:5]
	v_pk_mov_b32 v[2:3], s[16:17], s[16:17] op_sel:[0,1]
	flat_load_dword v1, v[2:3] offset:92
	s_waitcnt vmcnt(0) lgkmcnt(0)
	;; [unrolled: 35-line block ×23, first 2 shown]
	v_add_u32_e32 v2, -1, v1
	v_cmp_ne_u32_e32 vcc, 2, v2
	s_and_saveexec_b64 s[4:5], vcc
	s_cbranch_execz .LBB90_224
; %bb.223:
	v_mov_b32_e32 v1, 0
	v_lshl_add_u32 v1, v2, 4, v1
	buffer_load_dword v2, v192, s[0:3], 0 offen
	buffer_load_dword v3, v192, s[0:3], 0 offen offset:4
	buffer_load_dword v4, v192, s[0:3], 0 offen offset:8
	;; [unrolled: 1-line block ×3, first 2 shown]
	buffer_load_dword v6, v1, s[0:3], 0 offen
	buffer_load_dword v7, v1, s[0:3], 0 offen offset:4
	buffer_load_dword v8, v1, s[0:3], 0 offen offset:8
	;; [unrolled: 1-line block ×3, first 2 shown]
	s_waitcnt vmcnt(4)
	ds_write2_b64 v0, v[2:3], v[4:5] offset1:1
	s_waitcnt vmcnt(3)
	buffer_store_dword v6, v192, s[0:3], 0 offen
	s_waitcnt vmcnt(3)
	buffer_store_dword v7, v192, s[0:3], 0 offen offset:4
	s_waitcnt vmcnt(3)
	buffer_store_dword v8, v192, s[0:3], 0 offen offset:8
	;; [unrolled: 2-line block ×3, first 2 shown]
	buffer_store_dword v5, v1, s[0:3], 0 offen offset:12
	buffer_store_dword v4, v1, s[0:3], 0 offen offset:8
	;; [unrolled: 1-line block ×3, first 2 shown]
	buffer_store_dword v2, v1, s[0:3], 0 offen
.LBB90_224:
	s_or_b64 exec, exec, s[4:5]
	v_pk_mov_b32 v[2:3], s[16:17], s[16:17] op_sel:[0,1]
	flat_load_dword v1, v[2:3] offset:4
	s_waitcnt vmcnt(0) lgkmcnt(0)
	v_add_u32_e32 v2, -1, v1
	v_cmp_ne_u32_e32 vcc, 1, v2
	s_and_saveexec_b64 s[4:5], vcc
	s_cbranch_execz .LBB90_226
; %bb.225:
	v_mov_b32_e32 v1, 0
	v_accvgpr_read_b32 v10, a43
	v_lshl_add_u32 v1, v2, 4, v1
	buffer_load_dword v2, v10, s[0:3], 0 offen
	buffer_load_dword v3, v10, s[0:3], 0 offen offset:4
	buffer_load_dword v4, v10, s[0:3], 0 offen offset:8
	;; [unrolled: 1-line block ×3, first 2 shown]
	buffer_load_dword v6, v1, s[0:3], 0 offen
	buffer_load_dword v7, v1, s[0:3], 0 offen offset:4
	buffer_load_dword v8, v1, s[0:3], 0 offen offset:8
	;; [unrolled: 1-line block ×3, first 2 shown]
	s_waitcnt vmcnt(4)
	ds_write2_b64 v0, v[2:3], v[4:5] offset1:1
	s_waitcnt vmcnt(3)
	buffer_store_dword v6, v10, s[0:3], 0 offen
	s_waitcnt vmcnt(3)
	buffer_store_dword v7, v10, s[0:3], 0 offen offset:4
	s_waitcnt vmcnt(3)
	buffer_store_dword v8, v10, s[0:3], 0 offen offset:8
	;; [unrolled: 2-line block ×3, first 2 shown]
	buffer_store_dword v5, v1, s[0:3], 0 offen offset:12
	buffer_store_dword v4, v1, s[0:3], 0 offen offset:8
	;; [unrolled: 1-line block ×3, first 2 shown]
	buffer_store_dword v2, v1, s[0:3], 0 offen
.LBB90_226:
	s_or_b64 exec, exec, s[4:5]
	v_pk_mov_b32 v[2:3], s[16:17], s[16:17] op_sel:[0,1]
	flat_load_dword v1, v[2:3]
	s_waitcnt vmcnt(0) lgkmcnt(0)
	v_add_u32_e32 v2, -1, v1
	v_cmp_ne_u32_e32 vcc, 0, v2
	s_and_saveexec_b64 s[4:5], vcc
	s_cbranch_execz .LBB90_228
; %bb.227:
	v_mov_b32_e32 v1, 0
	v_lshl_add_u32 v1, v2, 4, v1
	buffer_load_dword v2, off, s[0:3], 0
	buffer_load_dword v3, off, s[0:3], 0 offset:4
	buffer_load_dword v4, off, s[0:3], 0 offset:8
	;; [unrolled: 1-line block ×3, first 2 shown]
	buffer_load_dword v6, v1, s[0:3], 0 offen
	buffer_load_dword v7, v1, s[0:3], 0 offen offset:4
	buffer_load_dword v8, v1, s[0:3], 0 offen offset:8
	buffer_load_dword v9, v1, s[0:3], 0 offen offset:12
	s_waitcnt vmcnt(4)
	ds_write2_b64 v0, v[2:3], v[4:5] offset1:1
	s_waitcnt vmcnt(3)
	buffer_store_dword v6, off, s[0:3], 0
	s_waitcnt vmcnt(3)
	buffer_store_dword v7, off, s[0:3], 0 offset:4
	s_waitcnt vmcnt(3)
	buffer_store_dword v8, off, s[0:3], 0 offset:8
	;; [unrolled: 2-line block ×3, first 2 shown]
	buffer_store_dword v5, v1, s[0:3], 0 offen offset:12
	buffer_store_dword v4, v1, s[0:3], 0 offen offset:8
	;; [unrolled: 1-line block ×3, first 2 shown]
	buffer_store_dword v2, v1, s[0:3], 0 offen
.LBB90_228:
	s_or_b64 exec, exec, s[4:5]
.LBB90_229:
	buffer_load_dword v2, off, s[0:3], 0
	buffer_load_dword v3, off, s[0:3], 0 offset:4
	buffer_load_dword v4, off, s[0:3], 0 offset:8
	;; [unrolled: 1-line block ×3, first 2 shown]
	v_accvgpr_read_b32 v0, a43
	buffer_load_dword v6, v0, s[0:3], 0 offen
	buffer_load_dword v7, v0, s[0:3], 0 offen offset:4
	buffer_load_dword v8, v0, s[0:3], 0 offen offset:8
	;; [unrolled: 1-line block ×6, first 2 shown]
	v_accvgpr_read_b32 v1, a44
	buffer_load_dword v14, v1, s[0:3], 0 offen
	buffer_load_dword v15, v1, s[0:3], 0 offen offset:4
	buffer_load_dword v16, v1, s[0:3], 0 offen offset:8
	buffer_load_dword v10, v192, s[0:3], 0 offen
	buffer_load_dword v17, v1, s[0:3], 0 offen offset:12
	v_accvgpr_read_b32 v37, a41
	buffer_load_dword v19, v37, s[0:3], 0 offen offset:4
	buffer_load_dword v20, v37, s[0:3], 0 offen offset:8
	;; [unrolled: 1-line block ×3, first 2 shown]
                                        ; kill: killed $vgpr0
	v_accvgpr_read_b32 v0, a39
	buffer_load_dword v22, v0, s[0:3], 0 offen
	buffer_load_dword v23, v0, s[0:3], 0 offen offset:4
	buffer_load_dword v24, v0, s[0:3], 0 offen offset:8
	buffer_load_dword v18, v37, s[0:3], 0 offen
	buffer_load_dword v25, v0, s[0:3], 0 offen offset:12
                                        ; kill: killed $vgpr1
	v_accvgpr_read_b32 v38, a42
	v_accvgpr_read_b32 v34, a40
	;; [unrolled: 1-line block ×3, first 2 shown]
	buffer_load_dword v27, v38, s[0:3], 0 offen offset:4
	buffer_load_dword v28, v38, s[0:3], 0 offen offset:8
	;; [unrolled: 1-line block ×3, first 2 shown]
	buffer_load_dword v30, v34, s[0:3], 0 offen
	buffer_load_dword v31, v34, s[0:3], 0 offen offset:4
	buffer_load_dword v32, v34, s[0:3], 0 offen offset:8
	buffer_load_dword v26, v38, s[0:3], 0 offen
	buffer_load_dword v33, v34, s[0:3], 0 offen offset:12
	buffer_load_dword v35, v1, s[0:3], 0 offen offset:4
	;; [unrolled: 1-line block ×3, first 2 shown]
                                        ; kill: killed $vgpr37
                                        ; kill: killed $vgpr38
                                        ; kill: killed $vgpr0
                                        ; kill: killed $vgpr34
	buffer_load_dword v37, v1, s[0:3], 0 offen offset:12
	v_accvgpr_read_b32 v49, a37
	v_accvgpr_read_b32 v48, a36
	;; [unrolled: 1-line block ×4, first 2 shown]
	buffer_load_dword v38, v49, s[0:3], 0 offen
	buffer_load_dword v39, v49, s[0:3], 0 offen offset:4
	buffer_load_dword v40, v49, s[0:3], 0 offen offset:8
	buffer_load_dword v34, v1, s[0:3], 0 offen
	buffer_load_dword v41, v49, s[0:3], 0 offen offset:12
	buffer_load_dword v43, v48, s[0:3], 0 offen offset:4
	buffer_load_dword v44, v48, s[0:3], 0 offen offset:8
	buffer_load_dword v45, v48, s[0:3], 0 offen offset:12
	buffer_load_dword v100, v50, s[0:3], 0 offen
	buffer_load_dword v101, v50, s[0:3], 0 offen offset:4
	buffer_load_dword v102, v50, s[0:3], 0 offen offset:8
	buffer_load_dword v42, v48, s[0:3], 0 offen
	buffer_load_dword v103, v50, s[0:3], 0 offen offset:12
	buffer_load_dword v105, v0, s[0:3], 0 offen offset:4
                                        ; kill: killed $vgpr49
                                        ; kill: killed $vgpr50
                                        ; kill: killed $vgpr1
                                        ; kill: killed $vgpr48
	buffer_load_dword v106, v0, s[0:3], 0 offen offset:8
	buffer_load_dword v107, v0, s[0:3], 0 offen offset:12
	v_accvgpr_read_b32 v48, a34
	buffer_load_dword v108, v48, s[0:3], 0 offen
	buffer_load_dword v109, v48, s[0:3], 0 offen offset:4
	buffer_load_dword v110, v48, s[0:3], 0 offen offset:8
	buffer_load_dword v104, v0, s[0:3], 0 offen
	buffer_load_dword v111, v48, s[0:3], 0 offen offset:12
	v_accvgpr_read_b32 v1, a32
                                        ; kill: killed $vgpr0
	v_accvgpr_read_b32 v0, a31
	buffer_load_dword v113, v1, s[0:3], 0 offen offset:4
	buffer_load_dword v114, v1, s[0:3], 0 offen offset:8
	buffer_load_dword v115, v1, s[0:3], 0 offen offset:12
	buffer_load_dword v116, v0, s[0:3], 0 offen
	buffer_load_dword v117, v0, s[0:3], 0 offen offset:4
	buffer_load_dword v118, v0, s[0:3], 0 offen offset:8
	buffer_load_dword v112, v1, s[0:3], 0 offen
	buffer_load_dword v119, v0, s[0:3], 0 offen offset:12
	v_accvgpr_read_b32 v1, a30
	v_accvgpr_read_b32 v0, a29
	buffer_load_dword v121, v1, s[0:3], 0 offen offset:4
	buffer_load_dword v122, v1, s[0:3], 0 offen offset:8
	buffer_load_dword v123, v1, s[0:3], 0 offen offset:12
	buffer_load_dword v124, v0, s[0:3], 0 offen
	buffer_load_dword v125, v0, s[0:3], 0 offen offset:4
	buffer_load_dword v126, v0, s[0:3], 0 offen offset:8
	buffer_load_dword v120, v1, s[0:3], 0 offen
	buffer_load_dword v127, v0, s[0:3], 0 offen offset:12
	v_accvgpr_read_b32 v1, a28
	;; [unrolled: 10-line block ×6, first 2 shown]
	buffer_load_dword v160, v0, s[0:3], 0 offen
	buffer_load_dword v161, v0, s[0:3], 0 offen offset:4
	buffer_load_dword v162, v0, s[0:3], 0 offen offset:8
	;; [unrolled: 1-line block ×3, first 2 shown]
	v_accvgpr_read_b32 v0, a0
	v_accvgpr_read_b32 v1, a1
                                        ; kill: killed $vgpr192
                                        ; kill: killed $vgpr48
	s_waitcnt vmcnt(62)
	global_store_dwordx4 v[46:47], v[2:5], off
	global_store_dwordx4 v[0:1], v[6:9], off
	v_accvgpr_read_b32 v0, a2
	v_accvgpr_read_b32 v1, a3
	global_store_dwordx4 v[0:1], v[10:13], off
	v_accvgpr_read_b32 v0, a4
	v_accvgpr_read_b32 v1, a5
	;; [unrolled: 3-line block ×9, first 2 shown]
	s_waitcnt vmcnt(62)
	global_store_dwordx4 v[0:1], v[42:45], off
	global_store_dwordx4 v[68:69], v[100:103], off
	global_store_dwordx4 v[70:71], v[104:107], off
	global_store_dwordx4 v[72:73], v[108:111], off
	s_waitcnt vmcnt(59)
	global_store_dwordx4 v[74:75], v[112:115], off
	s_waitcnt vmcnt(59)
	global_store_dwordx4 v[76:77], v[116:119], off
	;; [unrolled: 2-line block ×13, first 2 shown]
	s_endpgm
	.section	.rodata,"a",@progbits
	.p2align	6, 0x0
	.amdhsa_kernel _ZN9rocsolver6v33100L18getri_kernel_smallILi27E19rocblas_complex_numIdEPKPS3_EEvT1_iilPiilS8_bb
		.amdhsa_group_segment_fixed_size 1896
		.amdhsa_private_segment_fixed_size 448
		.amdhsa_kernarg_size 60
		.amdhsa_user_sgpr_count 10
		.amdhsa_user_sgpr_private_segment_buffer 1
		.amdhsa_user_sgpr_dispatch_ptr 1
		.amdhsa_user_sgpr_queue_ptr 0
		.amdhsa_user_sgpr_kernarg_segment_ptr 1
		.amdhsa_user_sgpr_dispatch_id 0
		.amdhsa_user_sgpr_flat_scratch_init 1
		.amdhsa_user_sgpr_kernarg_preload_length 0
		.amdhsa_user_sgpr_kernarg_preload_offset 0
		.amdhsa_user_sgpr_private_segment_size 0
		.amdhsa_uses_dynamic_stack 0
		.amdhsa_system_sgpr_private_segment_wavefront_offset 1
		.amdhsa_system_sgpr_workgroup_id_x 1
		.amdhsa_system_sgpr_workgroup_id_y 0
		.amdhsa_system_sgpr_workgroup_id_z 0
		.amdhsa_system_sgpr_workgroup_info 0
		.amdhsa_system_vgpr_workitem_id 2
		.amdhsa_next_free_vgpr 301
		.amdhsa_next_free_sgpr 24
		.amdhsa_accum_offset 256
		.amdhsa_reserve_vcc 1
		.amdhsa_reserve_flat_scratch 1
		.amdhsa_float_round_mode_32 0
		.amdhsa_float_round_mode_16_64 0
		.amdhsa_float_denorm_mode_32 3
		.amdhsa_float_denorm_mode_16_64 3
		.amdhsa_dx10_clamp 1
		.amdhsa_ieee_mode 1
		.amdhsa_fp16_overflow 0
		.amdhsa_tg_split 0
		.amdhsa_exception_fp_ieee_invalid_op 0
		.amdhsa_exception_fp_denorm_src 0
		.amdhsa_exception_fp_ieee_div_zero 0
		.amdhsa_exception_fp_ieee_overflow 0
		.amdhsa_exception_fp_ieee_underflow 0
		.amdhsa_exception_fp_ieee_inexact 0
		.amdhsa_exception_int_div_zero 0
	.end_amdhsa_kernel
	.section	.text._ZN9rocsolver6v33100L18getri_kernel_smallILi27E19rocblas_complex_numIdEPKPS3_EEvT1_iilPiilS8_bb,"axG",@progbits,_ZN9rocsolver6v33100L18getri_kernel_smallILi27E19rocblas_complex_numIdEPKPS3_EEvT1_iilPiilS8_bb,comdat
.Lfunc_end90:
	.size	_ZN9rocsolver6v33100L18getri_kernel_smallILi27E19rocblas_complex_numIdEPKPS3_EEvT1_iilPiilS8_bb, .Lfunc_end90-_ZN9rocsolver6v33100L18getri_kernel_smallILi27E19rocblas_complex_numIdEPKPS3_EEvT1_iilPiilS8_bb
                                        ; -- End function
	.section	.AMDGPU.csdata,"",@progbits
; Kernel info:
; codeLenInByte = 55644
; NumSgprs: 30
; NumVgprs: 256
; NumAgprs: 45
; TotalNumVgprs: 301
; ScratchSize: 448
; MemoryBound: 0
; FloatMode: 240
; IeeeMode: 1
; LDSByteSize: 1896 bytes/workgroup (compile time only)
; SGPRBlocks: 3
; VGPRBlocks: 37
; NumSGPRsForWavesPerEU: 30
; NumVGPRsForWavesPerEU: 301
; AccumOffset: 256
; Occupancy: 1
; WaveLimiterHint : 1
; COMPUTE_PGM_RSRC2:SCRATCH_EN: 1
; COMPUTE_PGM_RSRC2:USER_SGPR: 10
; COMPUTE_PGM_RSRC2:TRAP_HANDLER: 0
; COMPUTE_PGM_RSRC2:TGID_X_EN: 1
; COMPUTE_PGM_RSRC2:TGID_Y_EN: 0
; COMPUTE_PGM_RSRC2:TGID_Z_EN: 0
; COMPUTE_PGM_RSRC2:TIDIG_COMP_CNT: 2
; COMPUTE_PGM_RSRC3_GFX90A:ACCUM_OFFSET: 63
; COMPUTE_PGM_RSRC3_GFX90A:TG_SPLIT: 0
	.section	.text._ZN9rocsolver6v33100L18getri_kernel_smallILi28E19rocblas_complex_numIdEPKPS3_EEvT1_iilPiilS8_bb,"axG",@progbits,_ZN9rocsolver6v33100L18getri_kernel_smallILi28E19rocblas_complex_numIdEPKPS3_EEvT1_iilPiilS8_bb,comdat
	.globl	_ZN9rocsolver6v33100L18getri_kernel_smallILi28E19rocblas_complex_numIdEPKPS3_EEvT1_iilPiilS8_bb ; -- Begin function _ZN9rocsolver6v33100L18getri_kernel_smallILi28E19rocblas_complex_numIdEPKPS3_EEvT1_iilPiilS8_bb
	.p2align	8
	.type	_ZN9rocsolver6v33100L18getri_kernel_smallILi28E19rocblas_complex_numIdEPKPS3_EEvT1_iilPiilS8_bb,@function
_ZN9rocsolver6v33100L18getri_kernel_smallILi28E19rocblas_complex_numIdEPKPS3_EEvT1_iilPiilS8_bb: ; @_ZN9rocsolver6v33100L18getri_kernel_smallILi28E19rocblas_complex_numIdEPKPS3_EEvT1_iilPiilS8_bb
; %bb.0:
	s_add_u32 flat_scratch_lo, s8, s11
	s_addc_u32 flat_scratch_hi, s9, 0
	s_add_u32 s0, s0, s11
	v_and_b32_e32 v206, 0x3ff, v0
	s_addc_u32 s1, s1, 0
	v_cmp_gt_u32_e32 vcc, 28, v206
	s_and_saveexec_b64 s[8:9], vcc
	s_cbranch_execz .LBB91_126
; %bb.1:
	s_load_dword s22, s[6:7], 0x38
	s_load_dwordx2 s[8:9], s[6:7], 0x0
	s_load_dwordx4 s[12:15], s[6:7], 0x28
	s_waitcnt lgkmcnt(0)
	s_bitcmp1_b32 s22, 8
	s_cselect_b64 s[18:19], -1, 0
	s_ashr_i32 s11, s10, 31
	s_lshl_b64 s[16:17], s[10:11], 3
	s_add_u32 s8, s8, s16
	s_addc_u32 s9, s9, s17
	s_load_dwordx2 s[20:21], s[8:9], 0x0
	s_bfe_u32 s8, s22, 0x10008
	s_cmp_eq_u32 s8, 0
                                        ; implicit-def: $sgpr16_sgpr17
	s_cbranch_scc1 .LBB91_3
; %bb.2:
	s_load_dword s8, s[6:7], 0x20
	s_load_dwordx2 s[16:17], s[6:7], 0x18
	s_mul_i32 s9, s10, s13
	s_mul_hi_u32 s13, s10, s12
	s_add_i32 s13, s13, s9
	s_mul_i32 s23, s11, s12
	s_add_i32 s13, s13, s23
	s_mul_i32 s12, s10, s12
	s_waitcnt lgkmcnt(0)
	s_ashr_i32 s9, s8, 31
	s_lshl_b64 s[12:13], s[12:13], 2
	s_add_u32 s12, s16, s12
	s_addc_u32 s13, s17, s13
	s_lshl_b64 s[8:9], s[8:9], 2
	s_add_u32 s16, s12, s8
	s_addc_u32 s17, s13, s9
.LBB91_3:
	s_load_dwordx2 s[8:9], s[6:7], 0x8
	v_lshlrev_b32_e32 v12, 4, v206
	s_waitcnt lgkmcnt(0)
	s_ashr_i32 s7, s8, 31
	s_mov_b32 s6, s8
	s_lshl_b64 s[6:7], s[6:7], 4
	s_add_u32 s6, s20, s6
	s_addc_u32 s7, s21, s7
	s_add_i32 s8, s9, s9
	v_add_u32_e32 v2, s8, v206
	v_ashrrev_i32_e32 v3, 31, v2
	v_add_u32_e32 v4, s9, v2
	v_lshlrev_b64 v[2:3], 4, v[2:3]
	v_mov_b32_e32 v1, s7
	v_add_co_u32_e32 v2, vcc, s6, v2
	v_addc_co_u32_e32 v3, vcc, v1, v3, vcc
	global_load_dwordx4 v[6:9], v12, s[6:7]
	global_load_dwordx4 v[18:21], v[2:3], off
	v_add_co_u32_e32 v32, vcc, s6, v12
	s_mov_b32 s12, s9
	s_ashr_i32 s13, s9, 31
	v_addc_co_u32_e32 v33, vcc, 0, v1, vcc
	s_lshl_b64 s[12:13], s[12:13], 4
	v_mov_b32_e32 v1, s13
	v_add_co_u32_e32 v14, vcc, s12, v32
	v_addc_co_u32_e32 v15, vcc, v33, v1, vcc
	v_accvgpr_write_b32 a2, v14
	v_accvgpr_write_b32 a3, v15
	global_load_dwordx4 v[14:17], v[14:15], off
	v_accvgpr_write_b32 a0, v2
	v_ashrrev_i32_e32 v5, 31, v4
	v_accvgpr_write_b32 a1, v3
	v_lshlrev_b64 v[2:3], 4, v[4:5]
	v_add_u32_e32 v10, s9, v4
	v_mov_b32_e32 v1, s7
	v_add_co_u32_e32 v4, vcc, s6, v2
	v_addc_co_u32_e32 v5, vcc, v1, v3, vcc
	v_ashrrev_i32_e32 v11, 31, v10
	global_load_dwordx4 v[22:25], v[4:5], off
	v_lshlrev_b64 v[2:3], 4, v[10:11]
	v_add_co_u32_e32 v2, vcc, s6, v2
	v_add_u32_e32 v30, s9, v10
	v_addc_co_u32_e32 v3, vcc, v1, v3, vcc
	global_load_dwordx4 v[26:29], v[2:3], off
	v_accvgpr_write_b32 a7, v3
	v_ashrrev_i32_e32 v31, 31, v30
	v_accvgpr_write_b32 a4, v4
	v_accvgpr_write_b32 a6, v2
	v_lshlrev_b64 v[2:3], 4, v[30:31]
	v_accvgpr_write_b32 a5, v5
	v_add_co_u32_e32 v4, vcc, s6, v2
	v_add_u32_e32 v34, s9, v30
	v_addc_co_u32_e32 v5, vcc, v1, v3, vcc
	v_ashrrev_i32_e32 v35, 31, v34
	global_load_dwordx4 v[46:49], v[4:5], off
	v_lshlrev_b64 v[2:3], 4, v[34:35]
	v_add_co_u32_e32 v2, vcc, s6, v2
	v_addc_co_u32_e32 v3, vcc, v1, v3, vcc
	global_load_dwordx4 v[86:89], v[2:3], off
	v_add_u32_e32 v10, s9, v34
	v_add_u32_e32 v34, s9, v10
	v_add_u32_e32 v36, s9, v34
	v_add_u32_e32 v38, s9, v36
	v_add_u32_e32 v40, s9, v38
	v_add_u32_e32 v56, s9, v40
	v_add_u32_e32 v58, s9, v56
	v_add_u32_e32 v60, s9, v58
	v_add_u32_e32 v62, s9, v60
	v_add_u32_e32 v64, s9, v62
	v_add_u32_e32 v66, s9, v64
	v_add_u32_e32 v68, s9, v66
	v_add_u32_e32 v70, s9, v68
	v_add_u32_e32 v72, s9, v70
	v_add_u32_e32 v74, s9, v72
	v_add_u32_e32 v76, s9, v74
	v_add_u32_e32 v78, s9, v76
	v_add_u32_e32 v80, s9, v78
	v_add_u32_e32 v82, s9, v80
	v_accvgpr_write_b32 a11, v3
	v_add_u32_e32 v84, s9, v82
	v_accvgpr_write_b32 a10, v2
	v_add_u32_e32 v2, s9, v84
	v_ashrrev_i32_e32 v3, 31, v2
	v_lshlrev_b64 v[2:3], 4, v[2:3]
	v_add_co_u32_e32 v2, vcc, s6, v2
	v_addc_co_u32_e32 v3, vcc, v1, v3, vcc
	v_accvgpr_write_b32 a9, v5
	v_accvgpr_write_b32 a13, v3
	v_ashrrev_i32_e32 v11, 31, v10
	v_accvgpr_write_b32 a8, v4
	v_accvgpr_write_b32 a12, v2
	global_load_dwordx4 v[2:5], v[2:3], off
	s_waitcnt vmcnt(7)
	buffer_store_dword v9, off, s[0:3], 0 offset:12
	buffer_store_dword v8, off, s[0:3], 0 offset:8
	;; [unrolled: 1-line block ×3, first 2 shown]
	buffer_store_dword v6, off, s[0:3], 0
	s_waitcnt vmcnt(9)
	buffer_store_dword v17, off, s[0:3], 0 offset:28
	buffer_store_dword v16, off, s[0:3], 0 offset:24
	;; [unrolled: 1-line block ×8, first 2 shown]
	s_waitcnt vmcnt(16)
	buffer_store_dword v25, off, s[0:3], 0 offset:60
	buffer_store_dword v24, off, s[0:3], 0 offset:56
	buffer_store_dword v23, off, s[0:3], 0 offset:52
	buffer_store_dword v22, off, s[0:3], 0 offset:48
	s_waitcnt vmcnt(19)
	buffer_store_dword v29, off, s[0:3], 0 offset:76
	buffer_store_dword v28, off, s[0:3], 0 offset:72
	buffer_store_dword v27, off, s[0:3], 0 offset:68
	buffer_store_dword v26, off, s[0:3], 0 offset:64
	;; [unrolled: 5-line block ×3, first 2 shown]
	s_waitcnt vmcnt(25)
	buffer_store_dword v89, off, s[0:3], 0 offset:108
	v_lshlrev_b64 v[6:7], 4, v[10:11]
	v_add_co_u32_e32 v8, vcc, s6, v6
	v_ashrrev_i32_e32 v35, 31, v34
	v_addc_co_u32_e32 v9, vcc, v1, v7, vcc
	v_lshlrev_b64 v[6:7], 4, v[34:35]
	v_add_co_u32_e32 v10, vcc, s6, v6
	v_addc_co_u32_e32 v11, vcc, v1, v7, vcc
	v_accvgpr_write_b32 a15, v9
	v_accvgpr_write_b32 a17, v11
	v_ashrrev_i32_e32 v37, 31, v36
	v_accvgpr_write_b32 a14, v8
	global_load_dwordx4 v[6:9], v[8:9], off
	v_accvgpr_write_b32 a16, v10
	global_load_dwordx4 v[14:17], v[10:11], off
	v_lshlrev_b64 v[10:11], 4, v[36:37]
	v_add_co_u32_e32 v18, vcc, s6, v10
	v_ashrrev_i32_e32 v39, 31, v38
	v_addc_co_u32_e32 v19, vcc, v1, v11, vcc
	v_lshlrev_b64 v[10:11], 4, v[38:39]
	v_add_co_u32_e32 v10, vcc, s6, v10
	v_addc_co_u32_e32 v11, vcc, v1, v11, vcc
	v_accvgpr_write_b32 a18, v18
	v_accvgpr_write_b32 a21, v11
	v_ashrrev_i32_e32 v41, 31, v40
	v_accvgpr_write_b32 a19, v19
	global_load_dwordx4 v[18:21], v[18:19], off
	v_accvgpr_write_b32 a20, v10
	global_load_dwordx4 v[22:25], v[10:11], off
	;; [unrolled: 14-line block ×3, first 2 shown]
	v_lshlrev_b64 v[10:11], 4, v[58:59]
	v_add_co_u32_e32 v30, vcc, s6, v10
	v_ashrrev_i32_e32 v61, 31, v60
	v_addc_co_u32_e32 v31, vcc, v1, v11, vcc
	v_lshlrev_b64 v[10:11], 4, v[60:61]
	v_add_co_u32_e32 v60, vcc, s6, v10
	v_ashrrev_i32_e32 v63, 31, v62
	v_addc_co_u32_e32 v61, vcc, v1, v11, vcc
	;; [unrolled: 4-line block ×11, first 2 shown]
	v_lshlrev_b64 v[10:11], 4, v[80:81]
	v_add_co_u32_e32 v80, vcc, s6, v10
	global_load_dwordx4 v[94:97], v[30:31], off
	global_load_dwordx4 v[98:101], v[60:61], off
	;; [unrolled: 1-line block ×10, first 2 shown]
	v_addc_co_u32_e32 v81, vcc, v1, v11, vcc
	global_load_dwordx4 v[134:137], v[78:79], off
	global_load_dwordx4 v[138:141], v[80:81], off
	v_ashrrev_i32_e32 v83, 31, v82
	v_lshlrev_b64 v[10:11], 4, v[82:83]
	v_add_co_u32_e32 v82, vcc, s6, v10
	v_addc_co_u32_e32 v83, vcc, v1, v11, vcc
	v_ashrrev_i32_e32 v85, 31, v84
	global_load_dwordx4 v[142:145], v[82:83], off
	v_lshlrev_b64 v[10:11], 4, v[84:85]
	v_add_co_u32_e32 v84, vcc, s6, v10
	v_addc_co_u32_e32 v85, vcc, v1, v11, vcc
	global_load_dwordx4 v[146:149], v[84:85], off
	s_nop 0
	buffer_store_dword v88, off, s[0:3], 0 offset:104
	buffer_store_dword v87, off, s[0:3], 0 offset:100
	buffer_store_dword v86, off, s[0:3], 0 offset:96
	s_waitcnt vmcnt(22)
	buffer_store_dword v9, off, s[0:3], 0 offset:124
	buffer_store_dword v8, off, s[0:3], 0 offset:120
	buffer_store_dword v7, off, s[0:3], 0 offset:116
	buffer_store_dword v6, off, s[0:3], 0 offset:112
	s_waitcnt vmcnt(25)
	buffer_store_dword v17, off, s[0:3], 0 offset:140
	;; [unrolled: 5-line block ×15, first 2 shown]
	buffer_store_dword v128, off, s[0:3], 0 offset:344
	buffer_store_dword v127, off, s[0:3], 0 offset:340
	;; [unrolled: 1-line block ×11, first 2 shown]
	s_waitcnt vmcnt(62)
	buffer_store_dword v141, off, s[0:3], 0 offset:396
	buffer_store_dword v140, off, s[0:3], 0 offset:392
	;; [unrolled: 1-line block ×16, first 2 shown]
	v_mov_b32_e32 v2, 0
	v_add_u32_e32 v3, 64, v2
	v_accvgpr_write_b32 a50, v3
	v_add_u32_e32 v3, 0x50, v2
	v_accvgpr_write_b32 a49, v3
	;; [unrolled: 2-line block ×19, first 2 shown]
	v_add_u32_e32 v3, 0x170, v2
	v_add_u32_e32 v1, 16, v2
	v_accvgpr_write_b32 a32, v3
	v_add_u32_e32 v3, 0x180, v2
	v_accvgpr_write_b32 a52, v1
	;; [unrolled: 2-line block ×4, first 2 shown]
	v_accvgpr_write_b32 a53, v1
	v_add_u32_e32 v1, 48, v2
	v_accvgpr_write_b32 a30, v3
	v_add_u32_e32 v3, 0x1a0, v2
	v_add_u32_e32 v2, 0x1b0, v2
	v_accvgpr_write_b32 a27, v31
	v_accvgpr_write_b32 a29, v3
	;; [unrolled: 1-line block ×3, first 2 shown]
	s_bitcmp0_b32 s22, 0
	s_mov_b64 s[8:9], -1
	s_cbranch_scc1 .LBB91_124
; %bb.4:
	v_cmp_eq_u32_e64 s[6:7], 0, v206
	s_and_saveexec_b64 s[8:9], s[6:7]
	s_cbranch_execz .LBB91_6
; %bb.5:
	v_mov_b32_e32 v2, 0
	ds_write_b32 v2, v2 offset:896
.LBB91_6:
	s_or_b64 exec, exec, s[8:9]
	v_mov_b32_e32 v2, 0
	v_lshl_add_u32 v13, v206, 4, v2
	s_waitcnt lgkmcnt(0)
	; wave barrier
	s_waitcnt lgkmcnt(0)
	buffer_load_dword v2, v13, s[0:3], 0 offen
	buffer_load_dword v3, v13, s[0:3], 0 offen offset:4
	buffer_load_dword v4, v13, s[0:3], 0 offen offset:8
	;; [unrolled: 1-line block ×3, first 2 shown]
	s_waitcnt vmcnt(2)
	v_cmp_eq_f64_e32 vcc, 0, v[2:3]
	s_waitcnt vmcnt(0)
	v_cmp_eq_f64_e64 s[8:9], 0, v[4:5]
	s_and_b64 s[8:9], vcc, s[8:9]
	s_and_saveexec_b64 s[12:13], s[8:9]
	s_cbranch_execz .LBB91_10
; %bb.7:
	v_mov_b32_e32 v2, 0
	ds_read_b32 v4, v2 offset:896
	v_add_u32_e32 v3, 1, v206
	s_waitcnt lgkmcnt(0)
	v_readfirstlane_b32 s8, v4
	s_cmp_eq_u32 s8, 0
	s_cselect_b64 s[20:21], -1, 0
	v_cmp_gt_i32_e32 vcc, s8, v3
	s_or_b64 s[20:21], s[20:21], vcc
	s_and_b64 exec, exec, s[20:21]
	s_cbranch_execz .LBB91_10
; %bb.8:
	s_mov_b64 s[20:21], 0
	v_mov_b32_e32 v4, s8
.LBB91_9:                               ; =>This Inner Loop Header: Depth=1
	ds_cmpst_rtn_b32 v4, v2, v4, v3 offset:896
	s_waitcnt lgkmcnt(0)
	v_cmp_ne_u32_e32 vcc, 0, v4
	v_cmp_le_i32_e64 s[8:9], v4, v3
	s_and_b64 s[8:9], vcc, s[8:9]
	s_and_b64 s[8:9], exec, s[8:9]
	s_or_b64 s[20:21], s[8:9], s[20:21]
	s_andn2_b64 exec, exec, s[20:21]
	s_cbranch_execnz .LBB91_9
.LBB91_10:
	s_or_b64 exec, exec, s[12:13]
	v_mov_b32_e32 v3, 0
	s_waitcnt lgkmcnt(0)
	; wave barrier
	ds_read_b32 v2, v3 offset:896
	s_and_saveexec_b64 s[8:9], s[6:7]
	s_cbranch_execz .LBB91_12
; %bb.11:
	s_lshl_b64 s[12:13], s[10:11], 2
	s_add_u32 s12, s14, s12
	s_addc_u32 s13, s15, s13
	s_waitcnt lgkmcnt(0)
	global_store_dword v3, v2, s[12:13]
.LBB91_12:
	s_or_b64 exec, exec, s[8:9]
	s_waitcnt lgkmcnt(0)
	v_cmp_ne_u32_e32 vcc, 0, v2
	s_mov_b64 s[8:9], 0
	s_cbranch_vccnz .LBB91_124
; %bb.13:
	buffer_load_dword v7, v13, s[0:3], 0 offen offset:4
	buffer_load_dword v6, v13, s[0:3], 0 offen
	buffer_load_dword v9, v13, s[0:3], 0 offen offset:12
	buffer_load_dword v8, v13, s[0:3], 0 offen offset:8
                                        ; implicit-def: $vgpr10_vgpr11
	s_waitcnt vmcnt(3)
	v_xor_b32_e32 v3, 0x80000000, v7
	s_waitcnt vmcnt(2)
	v_cmp_gt_f64_e32 vcc, 0, v[6:7]
	s_waitcnt vmcnt(1)
	v_xor_b32_e32 v4, 0x80000000, v9
	v_cndmask_b32_e32 v3, v7, v3, vcc
	s_waitcnt vmcnt(0)
	v_cmp_gt_f64_e32 vcc, 0, v[8:9]
	v_mov_b32_e32 v2, v6
	v_cndmask_b32_e32 v5, v9, v4, vcc
	v_mov_b32_e32 v4, v8
	v_cmp_ngt_f64_e32 vcc, v[2:3], v[4:5]
                                        ; implicit-def: $vgpr4_vgpr5
	s_and_saveexec_b64 s[8:9], vcc
	s_xor_b64 s[8:9], exec, s[8:9]
	s_cbranch_execz .LBB91_15
; %bb.14:
	v_div_scale_f64 v[2:3], s[12:13], v[8:9], v[8:9], v[6:7]
	v_rcp_f64_e32 v[4:5], v[2:3]
	v_div_scale_f64 v[10:11], vcc, v[6:7], v[8:9], v[6:7]
	v_fma_f64 v[14:15], -v[2:3], v[4:5], 1.0
	v_fmac_f64_e32 v[4:5], v[4:5], v[14:15]
	v_fma_f64 v[14:15], -v[2:3], v[4:5], 1.0
	v_fmac_f64_e32 v[4:5], v[4:5], v[14:15]
	v_mul_f64 v[14:15], v[10:11], v[4:5]
	v_fma_f64 v[2:3], -v[2:3], v[14:15], v[10:11]
	v_div_fmas_f64 v[2:3], v[2:3], v[4:5], v[14:15]
	v_div_fixup_f64 v[2:3], v[2:3], v[8:9], v[6:7]
	v_fmac_f64_e32 v[8:9], v[6:7], v[2:3]
	v_div_scale_f64 v[4:5], s[12:13], v[8:9], v[8:9], 1.0
	v_rcp_f64_e32 v[6:7], v[4:5]
	v_fma_f64 v[10:11], -v[4:5], v[6:7], 1.0
	v_fmac_f64_e32 v[6:7], v[6:7], v[10:11]
	v_fma_f64 v[10:11], -v[4:5], v[6:7], 1.0
	v_fmac_f64_e32 v[6:7], v[6:7], v[10:11]
	v_div_scale_f64 v[10:11], vcc, 1.0, v[8:9], 1.0
	v_mul_f64 v[14:15], v[10:11], v[6:7]
	v_fma_f64 v[4:5], -v[4:5], v[14:15], v[10:11]
	s_nop 1
	v_div_fmas_f64 v[4:5], v[4:5], v[6:7], v[14:15]
	v_div_fixup_f64 v[4:5], v[4:5], v[8:9], 1.0
	v_mul_f64 v[10:11], v[2:3], v[4:5]
	v_xor_b32_e32 v5, 0x80000000, v5
	v_xor_b32_e32 v3, 0x80000000, v11
	v_mov_b32_e32 v2, v10
                                        ; implicit-def: $vgpr6_vgpr7
                                        ; implicit-def: $vgpr8_vgpr9
.LBB91_15:
	s_andn2_saveexec_b64 s[8:9], s[8:9]
	s_cbranch_execz .LBB91_17
; %bb.16:
	v_div_scale_f64 v[2:3], s[12:13], v[6:7], v[6:7], v[8:9]
	v_rcp_f64_e32 v[4:5], v[2:3]
	v_div_scale_f64 v[10:11], vcc, v[8:9], v[6:7], v[8:9]
	v_fma_f64 v[14:15], -v[2:3], v[4:5], 1.0
	v_fmac_f64_e32 v[4:5], v[4:5], v[14:15]
	v_fma_f64 v[14:15], -v[2:3], v[4:5], 1.0
	v_fmac_f64_e32 v[4:5], v[4:5], v[14:15]
	v_mul_f64 v[14:15], v[10:11], v[4:5]
	v_fma_f64 v[2:3], -v[2:3], v[14:15], v[10:11]
	v_div_fmas_f64 v[2:3], v[2:3], v[4:5], v[14:15]
	v_div_fixup_f64 v[4:5], v[2:3], v[6:7], v[8:9]
	v_fmac_f64_e32 v[6:7], v[8:9], v[4:5]
	v_div_scale_f64 v[2:3], s[12:13], v[6:7], v[6:7], 1.0
	v_rcp_f64_e32 v[8:9], v[2:3]
	v_fma_f64 v[10:11], -v[2:3], v[8:9], 1.0
	v_fmac_f64_e32 v[8:9], v[8:9], v[10:11]
	v_fma_f64 v[10:11], -v[2:3], v[8:9], 1.0
	v_fmac_f64_e32 v[8:9], v[8:9], v[10:11]
	v_div_scale_f64 v[10:11], vcc, 1.0, v[6:7], 1.0
	v_mul_f64 v[14:15], v[10:11], v[8:9]
	v_fma_f64 v[2:3], -v[2:3], v[14:15], v[10:11]
	s_nop 1
	v_div_fmas_f64 v[2:3], v[2:3], v[8:9], v[14:15]
	v_div_fixup_f64 v[10:11], v[2:3], v[6:7], 1.0
	v_xor_b32_e32 v3, 0x80000000, v11
	v_mov_b32_e32 v2, v10
	v_mul_f64 v[4:5], v[4:5], -v[10:11]
.LBB91_17:
	s_or_b64 exec, exec, s[8:9]
	buffer_store_dword v11, v13, s[0:3], 0 offen offset:4
	buffer_store_dword v10, v13, s[0:3], 0 offen
	buffer_store_dword v5, v13, s[0:3], 0 offen offset:12
	buffer_store_dword v4, v13, s[0:3], 0 offen offset:8
	v_accvgpr_read_b32 v6, a52
	buffer_load_dword v11, v6, s[0:3], 0 offen offset:12
	buffer_load_dword v10, v6, s[0:3], 0 offen offset:8
	;; [unrolled: 1-line block ×3, first 2 shown]
	buffer_load_dword v8, v6, s[0:3], 0 offen
	v_xor_b32_e32 v5, 0x80000000, v5
	v_add_u32_e32 v6, 0x1c0, v12
	ds_write_b128 v12, v[2:5]
	s_waitcnt vmcnt(0)
	ds_write_b128 v12, v[8:11] offset:448
	s_waitcnt lgkmcnt(0)
	; wave barrier
	s_waitcnt lgkmcnt(0)
	s_and_saveexec_b64 s[8:9], s[6:7]
	s_cbranch_execz .LBB91_19
; %bb.18:
	buffer_load_dword v14, v13, s[0:3], 0 offen offset:8
	buffer_load_dword v15, v13, s[0:3], 0 offen offset:12
	buffer_load_dword v16, v13, s[0:3], 0 offen
	buffer_load_dword v17, v13, s[0:3], 0 offen offset:4
	ds_read_b128 v[2:5], v6
	v_mov_b32_e32 v7, 0
	ds_read_b128 v[8:11], v7 offset:16
	s_waitcnt vmcnt(2) lgkmcnt(1)
	v_mul_f64 v[18:19], v[4:5], v[14:15]
	v_mul_f64 v[14:15], v[2:3], v[14:15]
	s_waitcnt vmcnt(0)
	v_fmac_f64_e32 v[14:15], v[4:5], v[16:17]
	v_fma_f64 v[2:3], v[2:3], v[16:17], -v[18:19]
	v_add_f64 v[4:5], v[14:15], 0
	v_add_f64 v[2:3], v[2:3], 0
	s_waitcnt lgkmcnt(0)
	v_mul_f64 v[14:15], v[4:5], v[10:11]
	v_mul_f64 v[10:11], v[2:3], v[10:11]
	v_fma_f64 v[2:3], v[2:3], v[8:9], -v[14:15]
	v_fmac_f64_e32 v[10:11], v[4:5], v[8:9]
	buffer_store_dword v2, off, s[0:3], 0 offset:16
	buffer_store_dword v3, off, s[0:3], 0 offset:20
	;; [unrolled: 1-line block ×4, first 2 shown]
.LBB91_19:
	s_or_b64 exec, exec, s[8:9]
	v_accvgpr_read_b32 v5, a53
	s_waitcnt lgkmcnt(0)
	; wave barrier
	buffer_load_dword v2, v5, s[0:3], 0 offen
	buffer_load_dword v3, v5, s[0:3], 0 offen offset:4
	buffer_load_dword v4, v5, s[0:3], 0 offen offset:8
	s_nop 0
	buffer_load_dword v5, v5, s[0:3], 0 offen offset:12
	v_cmp_gt_u32_e32 vcc, 2, v206
	s_waitcnt vmcnt(0)
	ds_write_b128 v6, v[2:5]
	s_waitcnt lgkmcnt(0)
	; wave barrier
	s_waitcnt lgkmcnt(0)
	s_and_saveexec_b64 s[8:9], vcc
	s_cbranch_execz .LBB91_23
; %bb.20:
	buffer_load_dword v8, v13, s[0:3], 0 offen offset:8
	buffer_load_dword v9, v13, s[0:3], 0 offen offset:12
	buffer_load_dword v10, v13, s[0:3], 0 offen
	buffer_load_dword v11, v13, s[0:3], 0 offen offset:4
	ds_read_b128 v[2:5], v6
	s_waitcnt vmcnt(2) lgkmcnt(0)
	v_mul_f64 v[14:15], v[4:5], v[8:9]
	v_mul_f64 v[8:9], v[2:3], v[8:9]
	s_waitcnt vmcnt(0)
	v_fma_f64 v[2:3], v[2:3], v[10:11], -v[14:15]
	v_fmac_f64_e32 v[8:9], v[4:5], v[10:11]
	v_add_f64 v[4:5], v[2:3], 0
	v_add_f64 v[2:3], v[8:9], 0
	s_and_saveexec_b64 s[12:13], s[6:7]
	s_cbranch_execz .LBB91_22
; %bb.21:
	buffer_load_dword v14, off, s[0:3], 0 offset:24
	buffer_load_dword v15, off, s[0:3], 0 offset:28
	;; [unrolled: 1-line block ×4, first 2 shown]
	v_mov_b32_e32 v7, 0
	ds_read_b128 v[8:11], v7 offset:464
	s_waitcnt vmcnt(2) lgkmcnt(0)
	v_mul_f64 v[18:19], v[8:9], v[14:15]
	v_mul_f64 v[14:15], v[10:11], v[14:15]
	s_waitcnt vmcnt(0)
	v_fmac_f64_e32 v[18:19], v[10:11], v[16:17]
	v_fma_f64 v[8:9], v[8:9], v[16:17], -v[14:15]
	v_add_f64 v[2:3], v[2:3], v[18:19]
	v_add_f64 v[4:5], v[4:5], v[8:9]
.LBB91_22:
	s_or_b64 exec, exec, s[12:13]
	v_mov_b32_e32 v7, 0
	ds_read_b128 v[8:11], v7 offset:32
	s_waitcnt lgkmcnt(0)
	v_mul_f64 v[14:15], v[2:3], v[10:11]
	v_mul_f64 v[10:11], v[4:5], v[10:11]
	v_fma_f64 v[4:5], v[4:5], v[8:9], -v[14:15]
	v_fmac_f64_e32 v[10:11], v[2:3], v[8:9]
	buffer_store_dword v5, off, s[0:3], 0 offset:36
	buffer_store_dword v4, off, s[0:3], 0 offset:32
	;; [unrolled: 1-line block ×4, first 2 shown]
.LBB91_23:
	s_or_b64 exec, exec, s[8:9]
	s_waitcnt lgkmcnt(0)
	; wave barrier
	buffer_load_dword v2, v1, s[0:3], 0 offen
	buffer_load_dword v3, v1, s[0:3], 0 offen offset:4
	buffer_load_dword v4, v1, s[0:3], 0 offen offset:8
	;; [unrolled: 1-line block ×3, first 2 shown]
	v_cmp_gt_u32_e32 vcc, 3, v206
	v_add_u32_e32 v7, -1, v206
	s_waitcnt vmcnt(0)
	ds_write_b128 v6, v[2:5]
	s_waitcnt lgkmcnt(0)
	; wave barrier
	s_waitcnt lgkmcnt(0)
	s_and_saveexec_b64 s[6:7], vcc
	s_cbranch_execz .LBB91_27
; %bb.24:
	v_pk_mov_b32 v[2:3], 0, 0
	v_add_u32_e32 v8, -1, v206
	v_add_u32_e32 v9, 0x1c0, v12
	v_add_u32_e32 v10, 0, v12
	s_mov_b64 s[8:9], 0
	v_pk_mov_b32 v[4:5], v[2:3], v[2:3] op_sel:[0,1]
.LBB91_25:                              ; =>This Inner Loop Header: Depth=1
	buffer_load_dword v18, v10, s[0:3], 0 offen offset:8
	buffer_load_dword v19, v10, s[0:3], 0 offen offset:12
	buffer_load_dword v20, v10, s[0:3], 0 offen
	buffer_load_dword v21, v10, s[0:3], 0 offen offset:4
	ds_read_b128 v[14:17], v9
	v_add_u32_e32 v8, 1, v8
	v_cmp_lt_u32_e32 vcc, 1, v8
	v_add_u32_e32 v9, 16, v9
	v_add_u32_e32 v10, 16, v10
	s_or_b64 s[8:9], vcc, s[8:9]
	s_waitcnt vmcnt(2) lgkmcnt(0)
	v_mul_f64 v[22:23], v[16:17], v[18:19]
	v_mul_f64 v[18:19], v[14:15], v[18:19]
	s_waitcnt vmcnt(0)
	v_fma_f64 v[14:15], v[14:15], v[20:21], -v[22:23]
	v_fmac_f64_e32 v[18:19], v[16:17], v[20:21]
	v_add_f64 v[4:5], v[4:5], v[14:15]
	v_add_f64 v[2:3], v[2:3], v[18:19]
	s_andn2_b64 exec, exec, s[8:9]
	s_cbranch_execnz .LBB91_25
; %bb.26:
	s_or_b64 exec, exec, s[8:9]
	v_mov_b32_e32 v8, 0
	ds_read_b128 v[8:11], v8 offset:48
	s_waitcnt lgkmcnt(0)
	v_mul_f64 v[14:15], v[2:3], v[10:11]
	v_mul_f64 v[10:11], v[4:5], v[10:11]
	v_fma_f64 v[4:5], v[4:5], v[8:9], -v[14:15]
	v_fmac_f64_e32 v[10:11], v[2:3], v[8:9]
	buffer_store_dword v5, off, s[0:3], 0 offset:52
	buffer_store_dword v4, off, s[0:3], 0 offset:48
	buffer_store_dword v11, off, s[0:3], 0 offset:60
	buffer_store_dword v10, off, s[0:3], 0 offset:56
.LBB91_27:
	s_or_b64 exec, exec, s[6:7]
	v_accvgpr_read_b32 v5, a50
	s_waitcnt lgkmcnt(0)
	; wave barrier
	buffer_load_dword v2, v5, s[0:3], 0 offen
	buffer_load_dword v3, v5, s[0:3], 0 offen offset:4
	buffer_load_dword v4, v5, s[0:3], 0 offen offset:8
	s_nop 0
	buffer_load_dword v5, v5, s[0:3], 0 offen offset:12
	v_cmp_gt_u32_e32 vcc, 4, v206
	s_waitcnt vmcnt(0)
	ds_write_b128 v6, v[2:5]
	s_waitcnt lgkmcnt(0)
	; wave barrier
	s_waitcnt lgkmcnt(0)
	s_and_saveexec_b64 s[6:7], vcc
	s_cbranch_execz .LBB91_31
; %bb.28:
	v_pk_mov_b32 v[2:3], 0, 0
	v_add_u32_e32 v8, -1, v206
	v_add_u32_e32 v9, 0x1c0, v12
	v_add_u32_e32 v10, 0, v12
	s_mov_b64 s[8:9], 0
	v_pk_mov_b32 v[4:5], v[2:3], v[2:3] op_sel:[0,1]
.LBB91_29:                              ; =>This Inner Loop Header: Depth=1
	buffer_load_dword v18, v10, s[0:3], 0 offen offset:8
	buffer_load_dword v19, v10, s[0:3], 0 offen offset:12
	buffer_load_dword v20, v10, s[0:3], 0 offen
	buffer_load_dword v21, v10, s[0:3], 0 offen offset:4
	ds_read_b128 v[14:17], v9
	v_add_u32_e32 v8, 1, v8
	v_cmp_lt_u32_e32 vcc, 2, v8
	v_add_u32_e32 v9, 16, v9
	v_add_u32_e32 v10, 16, v10
	s_or_b64 s[8:9], vcc, s[8:9]
	s_waitcnt vmcnt(2) lgkmcnt(0)
	v_mul_f64 v[22:23], v[16:17], v[18:19]
	v_mul_f64 v[18:19], v[14:15], v[18:19]
	s_waitcnt vmcnt(0)
	v_fma_f64 v[14:15], v[14:15], v[20:21], -v[22:23]
	v_fmac_f64_e32 v[18:19], v[16:17], v[20:21]
	v_add_f64 v[4:5], v[4:5], v[14:15]
	v_add_f64 v[2:3], v[2:3], v[18:19]
	s_andn2_b64 exec, exec, s[8:9]
	s_cbranch_execnz .LBB91_29
; %bb.30:
	s_or_b64 exec, exec, s[8:9]
	v_mov_b32_e32 v8, 0
	ds_read_b128 v[8:11], v8 offset:64
	s_waitcnt lgkmcnt(0)
	v_mul_f64 v[14:15], v[2:3], v[10:11]
	v_mul_f64 v[10:11], v[4:5], v[10:11]
	v_fma_f64 v[4:5], v[4:5], v[8:9], -v[14:15]
	v_fmac_f64_e32 v[10:11], v[2:3], v[8:9]
	buffer_store_dword v5, off, s[0:3], 0 offset:68
	buffer_store_dword v4, off, s[0:3], 0 offset:64
	buffer_store_dword v11, off, s[0:3], 0 offset:76
	buffer_store_dword v10, off, s[0:3], 0 offset:72
.LBB91_31:
	s_or_b64 exec, exec, s[6:7]
	v_accvgpr_read_b32 v5, a49
	s_waitcnt lgkmcnt(0)
	; wave barrier
	buffer_load_dword v2, v5, s[0:3], 0 offen
	buffer_load_dword v3, v5, s[0:3], 0 offen offset:4
	buffer_load_dword v4, v5, s[0:3], 0 offen offset:8
	s_nop 0
	buffer_load_dword v5, v5, s[0:3], 0 offen offset:12
	v_cmp_gt_u32_e32 vcc, 5, v206
	;; [unrolled: 59-line block ×19, first 2 shown]
	s_waitcnt vmcnt(0)
	ds_write_b128 v6, v[2:5]
	s_waitcnt lgkmcnt(0)
	; wave barrier
	s_waitcnt lgkmcnt(0)
	s_and_saveexec_b64 s[6:7], vcc
	s_cbranch_execz .LBB91_103
; %bb.100:
	v_pk_mov_b32 v[2:3], 0, 0
	v_add_u32_e32 v8, -1, v206
	v_add_u32_e32 v9, 0x1c0, v12
	v_add_u32_e32 v10, 0, v12
	s_mov_b64 s[8:9], 0
	v_pk_mov_b32 v[4:5], v[2:3], v[2:3] op_sel:[0,1]
.LBB91_101:                             ; =>This Inner Loop Header: Depth=1
	buffer_load_dword v18, v10, s[0:3], 0 offen offset:8
	buffer_load_dword v19, v10, s[0:3], 0 offen offset:12
	buffer_load_dword v20, v10, s[0:3], 0 offen
	buffer_load_dword v21, v10, s[0:3], 0 offen offset:4
	ds_read_b128 v[14:17], v9
	v_add_u32_e32 v8, 1, v8
	v_cmp_lt_u32_e32 vcc, 20, v8
	v_add_u32_e32 v9, 16, v9
	v_add_u32_e32 v10, 16, v10
	s_or_b64 s[8:9], vcc, s[8:9]
	s_waitcnt vmcnt(2) lgkmcnt(0)
	v_mul_f64 v[22:23], v[16:17], v[18:19]
	v_mul_f64 v[18:19], v[14:15], v[18:19]
	s_waitcnt vmcnt(0)
	v_fma_f64 v[14:15], v[14:15], v[20:21], -v[22:23]
	v_fmac_f64_e32 v[18:19], v[16:17], v[20:21]
	v_add_f64 v[4:5], v[4:5], v[14:15]
	v_add_f64 v[2:3], v[2:3], v[18:19]
	s_andn2_b64 exec, exec, s[8:9]
	s_cbranch_execnz .LBB91_101
; %bb.102:
	s_or_b64 exec, exec, s[8:9]
	v_mov_b32_e32 v8, 0
	ds_read_b128 v[8:11], v8 offset:352
	s_waitcnt lgkmcnt(0)
	v_mul_f64 v[14:15], v[2:3], v[10:11]
	v_mul_f64 v[10:11], v[4:5], v[10:11]
	v_fma_f64 v[4:5], v[4:5], v[8:9], -v[14:15]
	v_fmac_f64_e32 v[10:11], v[2:3], v[8:9]
	buffer_store_dword v5, off, s[0:3], 0 offset:356
	buffer_store_dword v4, off, s[0:3], 0 offset:352
	buffer_store_dword v11, off, s[0:3], 0 offset:364
	buffer_store_dword v10, off, s[0:3], 0 offset:360
.LBB91_103:
	s_or_b64 exec, exec, s[6:7]
	v_accvgpr_read_b32 v5, a32
	s_waitcnt lgkmcnt(0)
	; wave barrier
	buffer_load_dword v2, v5, s[0:3], 0 offen
	buffer_load_dword v3, v5, s[0:3], 0 offen offset:4
	buffer_load_dword v4, v5, s[0:3], 0 offen offset:8
	s_nop 0
	buffer_load_dword v5, v5, s[0:3], 0 offen offset:12
	v_cmp_gt_u32_e32 vcc, 23, v206
	s_waitcnt vmcnt(0)
	ds_write_b128 v6, v[2:5]
	s_waitcnt lgkmcnt(0)
	; wave barrier
	s_waitcnt lgkmcnt(0)
	s_and_saveexec_b64 s[6:7], vcc
	s_cbranch_execz .LBB91_107
; %bb.104:
	v_pk_mov_b32 v[2:3], 0, 0
	v_add_u32_e32 v8, -1, v206
	v_add_u32_e32 v9, 0x1c0, v12
	v_add_u32_e32 v10, 0, v12
	s_mov_b64 s[8:9], 0
	v_pk_mov_b32 v[4:5], v[2:3], v[2:3] op_sel:[0,1]
.LBB91_105:                             ; =>This Inner Loop Header: Depth=1
	buffer_load_dword v18, v10, s[0:3], 0 offen offset:8
	buffer_load_dword v19, v10, s[0:3], 0 offen offset:12
	buffer_load_dword v20, v10, s[0:3], 0 offen
	buffer_load_dword v21, v10, s[0:3], 0 offen offset:4
	ds_read_b128 v[14:17], v9
	v_add_u32_e32 v8, 1, v8
	v_cmp_lt_u32_e32 vcc, 21, v8
	v_add_u32_e32 v9, 16, v9
	v_add_u32_e32 v10, 16, v10
	s_or_b64 s[8:9], vcc, s[8:9]
	s_waitcnt vmcnt(2) lgkmcnt(0)
	v_mul_f64 v[22:23], v[16:17], v[18:19]
	v_mul_f64 v[18:19], v[14:15], v[18:19]
	s_waitcnt vmcnt(0)
	v_fma_f64 v[14:15], v[14:15], v[20:21], -v[22:23]
	v_fmac_f64_e32 v[18:19], v[16:17], v[20:21]
	v_add_f64 v[4:5], v[4:5], v[14:15]
	v_add_f64 v[2:3], v[2:3], v[18:19]
	s_andn2_b64 exec, exec, s[8:9]
	s_cbranch_execnz .LBB91_105
; %bb.106:
	s_or_b64 exec, exec, s[8:9]
	v_mov_b32_e32 v8, 0
	ds_read_b128 v[8:11], v8 offset:368
	s_waitcnt lgkmcnt(0)
	v_mul_f64 v[14:15], v[2:3], v[10:11]
	v_mul_f64 v[10:11], v[4:5], v[10:11]
	v_fma_f64 v[4:5], v[4:5], v[8:9], -v[14:15]
	v_fmac_f64_e32 v[10:11], v[2:3], v[8:9]
	buffer_store_dword v5, off, s[0:3], 0 offset:372
	buffer_store_dword v4, off, s[0:3], 0 offset:368
	buffer_store_dword v11, off, s[0:3], 0 offset:380
	buffer_store_dword v10, off, s[0:3], 0 offset:376
.LBB91_107:
	s_or_b64 exec, exec, s[6:7]
	v_accvgpr_read_b32 v5, a31
	s_waitcnt lgkmcnt(0)
	; wave barrier
	buffer_load_dword v2, v5, s[0:3], 0 offen
	buffer_load_dword v3, v5, s[0:3], 0 offen offset:4
	buffer_load_dword v4, v5, s[0:3], 0 offen offset:8
	s_nop 0
	buffer_load_dword v5, v5, s[0:3], 0 offen offset:12
	v_cmp_gt_u32_e32 vcc, 24, v206
	;; [unrolled: 59-line block ×4, first 2 shown]
	s_waitcnt vmcnt(0)
	ds_write_b128 v6, v[2:5]
	s_waitcnt lgkmcnt(0)
	; wave barrier
	s_waitcnt lgkmcnt(0)
	s_and_saveexec_b64 s[6:7], vcc
	s_cbranch_execz .LBB91_119
; %bb.116:
	v_pk_mov_b32 v[2:3], 0, 0
	v_add_u32_e32 v8, -1, v206
	v_add_u32_e32 v9, 0x1c0, v12
	v_add_u32_e32 v10, 0, v12
	s_mov_b64 s[8:9], 0
	v_pk_mov_b32 v[4:5], v[2:3], v[2:3] op_sel:[0,1]
.LBB91_117:                             ; =>This Inner Loop Header: Depth=1
	buffer_load_dword v18, v10, s[0:3], 0 offen offset:8
	buffer_load_dword v19, v10, s[0:3], 0 offen offset:12
	buffer_load_dword v20, v10, s[0:3], 0 offen
	buffer_load_dword v21, v10, s[0:3], 0 offen offset:4
	ds_read_b128 v[14:17], v9
	v_add_u32_e32 v8, 1, v8
	v_cmp_lt_u32_e32 vcc, 24, v8
	v_add_u32_e32 v9, 16, v9
	v_add_u32_e32 v10, 16, v10
	s_or_b64 s[8:9], vcc, s[8:9]
	s_waitcnt vmcnt(2) lgkmcnt(0)
	v_mul_f64 v[22:23], v[16:17], v[18:19]
	v_mul_f64 v[18:19], v[14:15], v[18:19]
	s_waitcnt vmcnt(0)
	v_fma_f64 v[14:15], v[14:15], v[20:21], -v[22:23]
	v_fmac_f64_e32 v[18:19], v[16:17], v[20:21]
	v_add_f64 v[4:5], v[4:5], v[14:15]
	v_add_f64 v[2:3], v[2:3], v[18:19]
	s_andn2_b64 exec, exec, s[8:9]
	s_cbranch_execnz .LBB91_117
; %bb.118:
	s_or_b64 exec, exec, s[8:9]
	v_mov_b32_e32 v8, 0
	ds_read_b128 v[8:11], v8 offset:416
	s_waitcnt lgkmcnt(0)
	v_mul_f64 v[14:15], v[2:3], v[10:11]
	v_mul_f64 v[10:11], v[4:5], v[10:11]
	v_fma_f64 v[4:5], v[4:5], v[8:9], -v[14:15]
	v_fmac_f64_e32 v[10:11], v[2:3], v[8:9]
	buffer_store_dword v5, off, s[0:3], 0 offset:420
	buffer_store_dword v4, off, s[0:3], 0 offset:416
	;; [unrolled: 1-line block ×4, first 2 shown]
.LBB91_119:
	s_or_b64 exec, exec, s[6:7]
	v_accvgpr_read_b32 v5, a28
	s_waitcnt lgkmcnt(0)
	; wave barrier
	buffer_load_dword v2, v5, s[0:3], 0 offen
	buffer_load_dword v3, v5, s[0:3], 0 offen offset:4
	buffer_load_dword v4, v5, s[0:3], 0 offen offset:8
	s_nop 0
	buffer_load_dword v5, v5, s[0:3], 0 offen offset:12
	v_cmp_ne_u32_e32 vcc, 27, v206
	s_waitcnt vmcnt(0)
	ds_write_b128 v6, v[2:5]
	s_waitcnt lgkmcnt(0)
	; wave barrier
	s_waitcnt lgkmcnt(0)
	s_and_saveexec_b64 s[6:7], vcc
	s_cbranch_execz .LBB91_123
; %bb.120:
	v_pk_mov_b32 v[2:3], 0, 0
	v_add_u32_e32 v6, 0x1c0, v12
	v_add_u32_e32 v8, 0, v12
	s_mov_b64 s[8:9], 0
	v_pk_mov_b32 v[4:5], v[2:3], v[2:3] op_sel:[0,1]
.LBB91_121:                             ; =>This Inner Loop Header: Depth=1
	buffer_load_dword v14, v8, s[0:3], 0 offen offset:8
	buffer_load_dword v15, v8, s[0:3], 0 offen offset:12
	buffer_load_dword v16, v8, s[0:3], 0 offen
	buffer_load_dword v17, v8, s[0:3], 0 offen offset:4
	ds_read_b128 v[10:13], v6
	v_add_u32_e32 v7, 1, v7
	v_cmp_lt_u32_e32 vcc, 25, v7
	v_add_u32_e32 v6, 16, v6
	v_add_u32_e32 v8, 16, v8
	s_or_b64 s[8:9], vcc, s[8:9]
	s_waitcnt vmcnt(2) lgkmcnt(0)
	v_mul_f64 v[18:19], v[12:13], v[14:15]
	v_mul_f64 v[14:15], v[10:11], v[14:15]
	s_waitcnt vmcnt(0)
	v_fma_f64 v[10:11], v[10:11], v[16:17], -v[18:19]
	v_fmac_f64_e32 v[14:15], v[12:13], v[16:17]
	v_add_f64 v[4:5], v[4:5], v[10:11]
	v_add_f64 v[2:3], v[2:3], v[14:15]
	s_andn2_b64 exec, exec, s[8:9]
	s_cbranch_execnz .LBB91_121
; %bb.122:
	s_or_b64 exec, exec, s[8:9]
	v_mov_b32_e32 v6, 0
	ds_read_b128 v[6:9], v6 offset:432
	s_waitcnt lgkmcnt(0)
	v_mul_f64 v[10:11], v[2:3], v[8:9]
	v_mul_f64 v[8:9], v[4:5], v[8:9]
	v_fma_f64 v[4:5], v[4:5], v[6:7], -v[10:11]
	v_fmac_f64_e32 v[8:9], v[2:3], v[6:7]
	buffer_store_dword v5, off, s[0:3], 0 offset:436
	buffer_store_dword v4, off, s[0:3], 0 offset:432
	;; [unrolled: 1-line block ×4, first 2 shown]
.LBB91_123:
	s_or_b64 exec, exec, s[6:7]
	s_mov_b64 s[8:9], -1
	s_waitcnt lgkmcnt(0)
	; wave barrier
.LBB91_124:
	s_and_b64 vcc, exec, s[8:9]
	s_cbranch_vccz .LBB91_126
; %bb.125:
	s_lshl_b64 s[6:7], s[10:11], 2
	s_add_u32 s6, s14, s6
	s_addc_u32 s7, s15, s7
	v_mov_b32_e32 v2, 0
	global_load_dword v2, v2, s[6:7]
	s_waitcnt vmcnt(0)
	v_cmp_ne_u32_e32 vcc, 0, v2
	s_cbranch_vccz .LBB91_127
.LBB91_126:
	s_endpgm
.LBB91_127:
	v_mov_b32_e32 v2, 0x1c0
	v_lshl_add_u32 v207, v206, 4, v2
	v_cmp_eq_u32_e32 vcc, 27, v206
	s_and_saveexec_b64 s[6:7], vcc
	s_cbranch_execz .LBB91_129
; %bb.128:
	v_accvgpr_read_b32 v5, a29
	buffer_load_dword v2, v5, s[0:3], 0 offen
	buffer_load_dword v3, v5, s[0:3], 0 offen offset:4
	buffer_load_dword v4, v5, s[0:3], 0 offen offset:8
	s_nop 0
	buffer_load_dword v5, v5, s[0:3], 0 offen offset:12
	v_mov_b32_e32 v6, 0
	buffer_store_dword v6, off, s[0:3], 0 offset:416
	buffer_store_dword v6, off, s[0:3], 0 offset:420
	buffer_store_dword v6, off, s[0:3], 0 offset:424
	buffer_store_dword v6, off, s[0:3], 0 offset:428
	s_waitcnt vmcnt(4)
	ds_write_b128 v207, v[2:5]
.LBB91_129:
	s_or_b64 exec, exec, s[6:7]
	s_waitcnt lgkmcnt(0)
	; wave barrier
	s_waitcnt lgkmcnt(0)
	buffer_load_dword v8, off, s[0:3], 0 offset:440
	buffer_load_dword v9, off, s[0:3], 0 offset:444
	;; [unrolled: 1-line block ×8, first 2 shown]
	v_mov_b32_e32 v2, 0
	ds_read_b128 v[4:7], v2 offset:880
	v_cmp_lt_u32_e32 vcc, 25, v206
	s_waitcnt vmcnt(6) lgkmcnt(0)
	v_mul_f64 v[16:17], v[4:5], v[8:9]
	v_mul_f64 v[8:9], v[6:7], v[8:9]
	s_waitcnt vmcnt(4)
	v_fma_f64 v[4:5], v[4:5], v[10:11], -v[8:9]
	v_fmac_f64_e32 v[16:17], v[6:7], v[10:11]
	v_add_f64 v[4:5], v[4:5], 0
	v_add_f64 v[6:7], v[16:17], 0
	s_waitcnt vmcnt(2)
	v_add_f64 v[4:5], v[12:13], -v[4:5]
	s_waitcnt vmcnt(0)
	v_add_f64 v[6:7], v[14:15], -v[6:7]
	buffer_store_dword v4, off, s[0:3], 0 offset:416
	buffer_store_dword v5, off, s[0:3], 0 offset:420
	;; [unrolled: 1-line block ×4, first 2 shown]
	s_and_saveexec_b64 s[6:7], vcc
	s_cbranch_execz .LBB91_131
; %bb.130:
	v_accvgpr_read_b32 v3, a30
	buffer_load_dword v4, v3, s[0:3], 0 offen
	buffer_load_dword v5, v3, s[0:3], 0 offen offset:4
	buffer_load_dword v6, v3, s[0:3], 0 offen offset:8
	;; [unrolled: 1-line block ×3, first 2 shown]
	s_nop 0
	buffer_store_dword v2, off, s[0:3], 0 offset:400
	buffer_store_dword v2, off, s[0:3], 0 offset:404
	;; [unrolled: 1-line block ×4, first 2 shown]
	s_waitcnt vmcnt(4)
	ds_write_b128 v207, v[4:7]
.LBB91_131:
	s_or_b64 exec, exec, s[6:7]
	s_waitcnt lgkmcnt(0)
	; wave barrier
	s_waitcnt lgkmcnt(0)
	buffer_load_dword v12, off, s[0:3], 0 offset:424
	buffer_load_dword v13, off, s[0:3], 0 offset:428
	;; [unrolled: 1-line block ×12, first 2 shown]
	ds_read_b128 v[4:7], v2 offset:864
	ds_read_b128 v[8:11], v2 offset:880
	v_cmp_lt_u32_e32 vcc, 24, v206
	s_waitcnt vmcnt(10) lgkmcnt(1)
	v_mul_f64 v[2:3], v[4:5], v[12:13]
	v_mul_f64 v[12:13], v[6:7], v[12:13]
	s_waitcnt vmcnt(8) lgkmcnt(0)
	v_mul_f64 v[24:25], v[8:9], v[14:15]
	v_mul_f64 v[14:15], v[10:11], v[14:15]
	s_waitcnt vmcnt(6)
	v_fma_f64 v[4:5], v[4:5], v[16:17], -v[12:13]
	v_fmac_f64_e32 v[2:3], v[6:7], v[16:17]
	s_waitcnt vmcnt(4)
	v_fma_f64 v[6:7], v[8:9], v[18:19], -v[14:15]
	v_add_f64 v[4:5], v[4:5], 0
	v_fmac_f64_e32 v[24:25], v[10:11], v[18:19]
	v_add_f64 v[2:3], v[2:3], 0
	v_add_f64 v[4:5], v[4:5], v[6:7]
	;; [unrolled: 1-line block ×3, first 2 shown]
	s_waitcnt vmcnt(2)
	v_add_f64 v[4:5], v[20:21], -v[4:5]
	s_waitcnt vmcnt(0)
	v_add_f64 v[2:3], v[22:23], -v[2:3]
	buffer_store_dword v4, off, s[0:3], 0 offset:400
	buffer_store_dword v5, off, s[0:3], 0 offset:404
	;; [unrolled: 1-line block ×4, first 2 shown]
	s_and_saveexec_b64 s[6:7], vcc
	s_cbranch_execz .LBB91_133
; %bb.132:
	v_accvgpr_read_b32 v5, a31
	buffer_load_dword v2, v5, s[0:3], 0 offen
	buffer_load_dword v3, v5, s[0:3], 0 offen offset:4
	buffer_load_dword v4, v5, s[0:3], 0 offen offset:8
	s_nop 0
	buffer_load_dword v5, v5, s[0:3], 0 offen offset:12
	v_mov_b32_e32 v6, 0
	buffer_store_dword v6, off, s[0:3], 0 offset:384
	buffer_store_dword v6, off, s[0:3], 0 offset:388
	;; [unrolled: 1-line block ×4, first 2 shown]
	s_waitcnt vmcnt(4)
	ds_write_b128 v207, v[2:5]
.LBB91_133:
	s_or_b64 exec, exec, s[6:7]
	s_waitcnt lgkmcnt(0)
	; wave barrier
	s_waitcnt lgkmcnt(0)
	buffer_load_dword v16, off, s[0:3], 0 offset:408
	buffer_load_dword v17, off, s[0:3], 0 offset:412
	;; [unrolled: 1-line block ×16, first 2 shown]
	v_mov_b32_e32 v2, 0
	ds_read_b128 v[4:7], v2 offset:848
	ds_read_b128 v[8:11], v2 offset:864
	;; [unrolled: 1-line block ×3, first 2 shown]
	v_cmp_lt_u32_e32 vcc, 23, v206
	s_waitcnt vmcnt(14) lgkmcnt(2)
	v_mul_f64 v[36:37], v[4:5], v[16:17]
	v_mul_f64 v[16:17], v[6:7], v[16:17]
	s_waitcnt vmcnt(12) lgkmcnt(1)
	v_mul_f64 v[38:39], v[8:9], v[18:19]
	v_mul_f64 v[18:19], v[10:11], v[18:19]
	;; [unrolled: 3-line block ×3, first 2 shown]
	s_waitcnt vmcnt(8)
	v_fma_f64 v[4:5], v[4:5], v[22:23], -v[16:17]
	v_fmac_f64_e32 v[36:37], v[6:7], v[22:23]
	s_waitcnt vmcnt(6)
	v_fma_f64 v[6:7], v[8:9], v[24:25], -v[18:19]
	v_add_f64 v[4:5], v[4:5], 0
	v_fmac_f64_e32 v[38:39], v[10:11], v[24:25]
	s_waitcnt vmcnt(4)
	v_fma_f64 v[8:9], v[12:13], v[26:27], -v[20:21]
	v_add_f64 v[10:11], v[36:37], 0
	v_add_f64 v[4:5], v[4:5], v[6:7]
	v_fmac_f64_e32 v[40:41], v[14:15], v[26:27]
	v_add_f64 v[10:11], v[10:11], v[38:39]
	v_add_f64 v[4:5], v[4:5], v[8:9]
	;; [unrolled: 1-line block ×3, first 2 shown]
	s_waitcnt vmcnt(2)
	v_add_f64 v[4:5], v[28:29], -v[4:5]
	s_waitcnt vmcnt(0)
	v_add_f64 v[6:7], v[34:35], -v[6:7]
	buffer_store_dword v4, off, s[0:3], 0 offset:384
	buffer_store_dword v5, off, s[0:3], 0 offset:388
	;; [unrolled: 1-line block ×4, first 2 shown]
	s_and_saveexec_b64 s[6:7], vcc
	s_cbranch_execz .LBB91_135
; %bb.134:
	v_accvgpr_read_b32 v3, a32
	buffer_load_dword v4, v3, s[0:3], 0 offen
	buffer_load_dword v5, v3, s[0:3], 0 offen offset:4
	buffer_load_dword v6, v3, s[0:3], 0 offen offset:8
	;; [unrolled: 1-line block ×3, first 2 shown]
	s_nop 0
	buffer_store_dword v2, off, s[0:3], 0 offset:368
	buffer_store_dword v2, off, s[0:3], 0 offset:372
	buffer_store_dword v2, off, s[0:3], 0 offset:376
	buffer_store_dword v2, off, s[0:3], 0 offset:380
	s_waitcnt vmcnt(4)
	ds_write_b128 v207, v[4:7]
.LBB91_135:
	s_or_b64 exec, exec, s[6:7]
	s_waitcnt lgkmcnt(0)
	; wave barrier
	s_waitcnt lgkmcnt(0)
	ds_read_b128 v[4:7], v2 offset:832
	ds_read_b128 v[8:11], v2 offset:848
	;; [unrolled: 1-line block ×4, first 2 shown]
	buffer_load_dword v2, off, s[0:3], 0 offset:368
	buffer_load_dword v3, off, s[0:3], 0 offset:372
	;; [unrolled: 1-line block ×16, first 2 shown]
	v_cmp_lt_u32_e32 vcc, 22, v206
	s_waitcnt vmcnt(8) lgkmcnt(3)
	v_mul_f64 v[38:39], v[4:5], v[24:25]
	v_fmac_f64_e32 v[38:39], v[6:7], v[22:23]
	v_add_f64 v[38:39], v[38:39], 0
	v_mul_f64 v[6:7], v[6:7], v[24:25]
	s_waitcnt vmcnt(4) lgkmcnt(2)
	v_mul_f64 v[40:41], v[8:9], v[28:29]
	v_fmac_f64_e32 v[40:41], v[10:11], v[26:27]
	v_add_f64 v[38:39], v[38:39], v[40:41]
	v_fma_f64 v[4:5], v[4:5], v[22:23], -v[6:7]
	s_waitcnt vmcnt(0) lgkmcnt(1)
	v_mul_f64 v[40:41], v[12:13], v[36:37]
	v_fmac_f64_e32 v[40:41], v[14:15], v[34:35]
	v_add_f64 v[38:39], v[38:39], v[40:41]
	buffer_load_dword v41, off, s[0:3], 0 offset:436
	buffer_load_dword v40, off, s[0:3], 0 offset:432
	buffer_load_dword v87, off, s[0:3], 0 offset:444
	buffer_load_dword v86, off, s[0:3], 0 offset:440
	v_mul_f64 v[6:7], v[10:11], v[28:29]
	v_add_f64 v[4:5], v[4:5], 0
	v_fma_f64 v[6:7], v[8:9], v[26:27], -v[6:7]
	v_add_f64 v[4:5], v[4:5], v[6:7]
	v_mul_f64 v[6:7], v[14:15], v[36:37]
	v_fma_f64 v[6:7], v[12:13], v[34:35], -v[6:7]
	v_add_f64 v[4:5], v[4:5], v[6:7]
	s_waitcnt vmcnt(0) lgkmcnt(0)
	v_mul_f64 v[6:7], v[18:19], v[86:87]
	v_mul_f64 v[88:89], v[16:17], v[86:87]
	v_fma_f64 v[6:7], v[16:17], v[40:41], -v[6:7]
	v_fmac_f64_e32 v[88:89], v[18:19], v[40:41]
	v_add_f64 v[4:5], v[4:5], v[6:7]
	v_add_f64 v[38:39], v[38:39], v[88:89]
	v_add_f64 v[2:3], v[2:3], -v[4:5]
	v_add_f64 v[4:5], v[20:21], -v[38:39]
	buffer_store_dword v2, off, s[0:3], 0 offset:368
	buffer_store_dword v3, off, s[0:3], 0 offset:372
	;; [unrolled: 1-line block ×4, first 2 shown]
	s_and_saveexec_b64 s[6:7], vcc
	s_cbranch_execz .LBB91_137
; %bb.136:
	v_accvgpr_read_b32 v5, a33
	buffer_load_dword v2, v5, s[0:3], 0 offen
	buffer_load_dword v3, v5, s[0:3], 0 offen offset:4
	buffer_load_dword v4, v5, s[0:3], 0 offen offset:8
	s_nop 0
	buffer_load_dword v5, v5, s[0:3], 0 offen offset:12
	v_mov_b32_e32 v6, 0
	buffer_store_dword v6, off, s[0:3], 0 offset:352
	buffer_store_dword v6, off, s[0:3], 0 offset:356
	;; [unrolled: 1-line block ×4, first 2 shown]
	s_waitcnt vmcnt(4)
	ds_write_b128 v207, v[2:5]
.LBB91_137:
	s_or_b64 exec, exec, s[6:7]
	s_waitcnt lgkmcnt(0)
	; wave barrier
	s_waitcnt lgkmcnt(0)
	buffer_load_dword v24, off, s[0:3], 0 offset:376
	buffer_load_dword v25, off, s[0:3], 0 offset:380
	;; [unrolled: 1-line block ×24, first 2 shown]
	v_mov_b32_e32 v2, 0
	ds_read_b128 v[4:7], v2 offset:816
	ds_read_b128 v[8:11], v2 offset:832
	ds_read_b128 v[12:15], v2 offset:848
	ds_read_b128 v[16:19], v2 offset:864
	ds_read_b128 v[20:23], v2 offset:880
	v_cmp_lt_u32_e32 vcc, 21, v206
	s_waitcnt vmcnt(22) lgkmcnt(4)
	v_mul_f64 v[96:97], v[4:5], v[24:25]
	v_mul_f64 v[24:25], v[6:7], v[24:25]
	s_waitcnt vmcnt(20) lgkmcnt(3)
	v_mul_f64 v[98:99], v[8:9], v[26:27]
	v_mul_f64 v[26:27], v[10:11], v[26:27]
	;; [unrolled: 3-line block ×4, first 2 shown]
	s_waitcnt vmcnt(13) lgkmcnt(0)
	v_mul_f64 v[104:105], v[20:21], v[34:35]
	s_waitcnt vmcnt(11)
	v_fma_f64 v[4:5], v[4:5], v[40:41], -v[24:25]
	v_fmac_f64_e32 v[96:97], v[6:7], v[40:41]
	s_waitcnt vmcnt(9)
	v_fma_f64 v[6:7], v[8:9], v[86:87], -v[26:27]
	v_add_f64 v[4:5], v[4:5], 0
	v_fmac_f64_e32 v[98:99], v[10:11], v[86:87]
	s_waitcnt vmcnt(7)
	v_fmac_f64_e32 v[100:101], v[14:15], v[88:89]
	v_fma_f64 v[8:9], v[12:13], v[88:89], -v[28:29]
	v_add_f64 v[14:15], v[96:97], 0
	v_add_f64 v[4:5], v[4:5], v[6:7]
	v_mul_f64 v[34:35], v[22:23], v[34:35]
	s_waitcnt vmcnt(5)
	v_fma_f64 v[10:11], v[16:17], v[90:91], -v[38:39]
	v_add_f64 v[14:15], v[14:15], v[98:99]
	v_add_f64 v[4:5], v[4:5], v[8:9]
	v_fmac_f64_e32 v[102:103], v[18:19], v[90:91]
	s_waitcnt vmcnt(4)
	v_fma_f64 v[12:13], v[20:21], v[36:37], -v[34:35]
	v_add_f64 v[6:7], v[14:15], v[100:101]
	v_add_f64 v[4:5], v[4:5], v[10:11]
	v_fmac_f64_e32 v[104:105], v[22:23], v[36:37]
	v_add_f64 v[6:7], v[6:7], v[102:103]
	v_add_f64 v[4:5], v[4:5], v[12:13]
	;; [unrolled: 1-line block ×3, first 2 shown]
	s_waitcnt vmcnt(2)
	v_add_f64 v[4:5], v[92:93], -v[4:5]
	s_waitcnt vmcnt(0)
	v_add_f64 v[6:7], v[94:95], -v[6:7]
	buffer_store_dword v5, off, s[0:3], 0 offset:356
	buffer_store_dword v4, off, s[0:3], 0 offset:352
	buffer_store_dword v7, off, s[0:3], 0 offset:364
	buffer_store_dword v6, off, s[0:3], 0 offset:360
	s_and_saveexec_b64 s[6:7], vcc
	s_cbranch_execz .LBB91_139
; %bb.138:
	v_accvgpr_read_b32 v3, a34
	buffer_load_dword v4, v3, s[0:3], 0 offen
	buffer_load_dword v5, v3, s[0:3], 0 offen offset:4
	buffer_load_dword v6, v3, s[0:3], 0 offen offset:8
	;; [unrolled: 1-line block ×3, first 2 shown]
	s_nop 0
	buffer_store_dword v2, off, s[0:3], 0 offset:336
	buffer_store_dword v2, off, s[0:3], 0 offset:340
	;; [unrolled: 1-line block ×4, first 2 shown]
	s_waitcnt vmcnt(4)
	ds_write_b128 v207, v[4:7]
.LBB91_139:
	s_or_b64 exec, exec, s[6:7]
	s_waitcnt lgkmcnt(0)
	; wave barrier
	s_waitcnt lgkmcnt(0)
	buffer_load_dword v28, off, s[0:3], 0 offset:360
	buffer_load_dword v29, off, s[0:3], 0 offset:364
	;; [unrolled: 1-line block ×28, first 2 shown]
	ds_read_b128 v[4:7], v2 offset:800
	ds_read_b128 v[8:11], v2 offset:816
	;; [unrolled: 1-line block ×6, first 2 shown]
	v_cmp_lt_u32_e32 vcc, 20, v206
	s_waitcnt vmcnt(26) lgkmcnt(5)
	v_mul_f64 v[2:3], v[4:5], v[28:29]
	v_mul_f64 v[28:29], v[6:7], v[28:29]
	s_waitcnt vmcnt(24) lgkmcnt(4)
	v_mul_f64 v[104:105], v[8:9], v[34:35]
	v_mul_f64 v[34:35], v[10:11], v[34:35]
	s_waitcnt vmcnt(22) lgkmcnt(3)
	v_mul_f64 v[106:107], v[12:13], v[36:37]
	v_mul_f64 v[36:37], v[14:15], v[36:37]
	s_waitcnt vmcnt(20) lgkmcnt(1)
	v_mul_f64 v[110:111], v[20:21], v[38:39]
	v_mul_f64 v[38:39], v[22:23], v[38:39]
	s_waitcnt vmcnt(17)
	v_mul_f64 v[108:109], v[16:17], v[86:87]
	v_mul_f64 v[86:87], v[18:19], v[86:87]
	s_waitcnt vmcnt(15) lgkmcnt(0)
	v_mul_f64 v[112:113], v[24:25], v[88:89]
	v_mul_f64 v[88:89], v[26:27], v[88:89]
	s_waitcnt vmcnt(14)
	v_fmac_f64_e32 v[110:111], v[22:23], v[40:41]
	s_waitcnt vmcnt(12)
	v_fma_f64 v[4:5], v[4:5], v[90:91], -v[28:29]
	v_fmac_f64_e32 v[2:3], v[6:7], v[90:91]
	s_waitcnt vmcnt(10)
	v_fma_f64 v[6:7], v[8:9], v[92:93], -v[34:35]
	v_add_f64 v[4:5], v[4:5], 0
	v_fmac_f64_e32 v[104:105], v[10:11], v[92:93]
	s_waitcnt vmcnt(8)
	v_fma_f64 v[8:9], v[12:13], v[94:95], -v[36:37]
	v_add_f64 v[2:3], v[2:3], 0
	v_add_f64 v[4:5], v[4:5], v[6:7]
	v_fmac_f64_e32 v[106:107], v[14:15], v[94:95]
	s_waitcnt vmcnt(6)
	v_fma_f64 v[10:11], v[16:17], v[96:97], -v[86:87]
	v_add_f64 v[2:3], v[2:3], v[104:105]
	v_add_f64 v[4:5], v[4:5], v[8:9]
	v_fmac_f64_e32 v[108:109], v[18:19], v[96:97]
	v_fma_f64 v[12:13], v[20:21], v[40:41], -v[38:39]
	v_add_f64 v[2:3], v[2:3], v[106:107]
	v_add_f64 v[4:5], v[4:5], v[10:11]
	s_waitcnt vmcnt(4)
	v_fma_f64 v[14:15], v[24:25], v[98:99], -v[88:89]
	v_add_f64 v[2:3], v[2:3], v[108:109]
	v_add_f64 v[4:5], v[4:5], v[12:13]
	v_fmac_f64_e32 v[112:113], v[26:27], v[98:99]
	v_add_f64 v[2:3], v[2:3], v[110:111]
	v_add_f64 v[4:5], v[4:5], v[14:15]
	;; [unrolled: 1-line block ×3, first 2 shown]
	s_waitcnt vmcnt(2)
	v_add_f64 v[4:5], v[100:101], -v[4:5]
	s_waitcnt vmcnt(0)
	v_add_f64 v[2:3], v[102:103], -v[2:3]
	buffer_store_dword v5, off, s[0:3], 0 offset:340
	buffer_store_dword v4, off, s[0:3], 0 offset:336
	;; [unrolled: 1-line block ×4, first 2 shown]
	s_and_saveexec_b64 s[6:7], vcc
	s_cbranch_execz .LBB91_141
; %bb.140:
	v_accvgpr_read_b32 v5, a35
	buffer_load_dword v2, v5, s[0:3], 0 offen
	buffer_load_dword v3, v5, s[0:3], 0 offen offset:4
	buffer_load_dword v4, v5, s[0:3], 0 offen offset:8
	s_nop 0
	buffer_load_dword v5, v5, s[0:3], 0 offen offset:12
	v_mov_b32_e32 v6, 0
	buffer_store_dword v6, off, s[0:3], 0 offset:320
	buffer_store_dword v6, off, s[0:3], 0 offset:324
	buffer_store_dword v6, off, s[0:3], 0 offset:328
	buffer_store_dword v6, off, s[0:3], 0 offset:332
	s_waitcnt vmcnt(4)
	ds_write_b128 v207, v[2:5]
.LBB91_141:
	s_or_b64 exec, exec, s[6:7]
	s_waitcnt lgkmcnt(0)
	; wave barrier
	s_waitcnt lgkmcnt(0)
	buffer_load_dword v22, off, s[0:3], 0 offset:344
	buffer_load_dword v23, off, s[0:3], 0 offset:348
	;; [unrolled: 1-line block ×32, first 2 shown]
	v_mov_b32_e32 v24, 0
	ds_read_b128 v[2:5], v24 offset:784
	ds_read_b128 v[6:9], v24 offset:800
	ds_read_b128 v[10:13], v24 offset:816
	ds_read_b128 v[14:17], v24 offset:832
	ds_read_b128 v[18:21], v24 offset:848
	ds_read_b128 v[26:29], v24 offset:864
	ds_read_b128 v[86:89], v24 offset:880
	v_cmp_lt_u32_e32 vcc, 19, v206
	s_waitcnt vmcnt(30) lgkmcnt(6)
	v_mul_f64 v[112:113], v[2:3], v[22:23]
	v_mul_f64 v[22:23], v[4:5], v[22:23]
	s_waitcnt vmcnt(28) lgkmcnt(5)
	v_mul_f64 v[114:115], v[6:7], v[34:35]
	v_mul_f64 v[34:35], v[8:9], v[34:35]
	;; [unrolled: 3-line block ×4, first 2 shown]
	s_waitcnt vmcnt(21)
	v_mul_f64 v[118:119], v[14:15], v[90:91]
	v_mul_f64 v[90:91], v[16:17], v[90:91]
	s_waitcnt vmcnt(17) lgkmcnt(1)
	v_mul_f64 v[122:123], v[26:27], v[96:97]
	v_mul_f64 v[96:97], v[28:29], v[96:97]
	s_waitcnt vmcnt(16) lgkmcnt(0)
	v_mul_f64 v[124:125], v[86:87], v[92:93]
	v_mul_f64 v[92:93], v[88:89], v[92:93]
	s_waitcnt vmcnt(13)
	v_fma_f64 v[2:3], v[2:3], v[98:99], -v[22:23]
	v_fmac_f64_e32 v[112:113], v[4:5], v[98:99]
	s_waitcnt vmcnt(11)
	v_fma_f64 v[4:5], v[6:7], v[100:101], -v[34:35]
	v_add_f64 v[2:3], v[2:3], 0
	v_fmac_f64_e32 v[114:115], v[8:9], v[100:101]
	s_waitcnt vmcnt(9)
	v_fma_f64 v[6:7], v[10:11], v[102:103], -v[36:37]
	s_waitcnt vmcnt(7)
	v_fmac_f64_e32 v[118:119], v[16:17], v[104:105]
	v_add_f64 v[16:17], v[112:113], 0
	v_add_f64 v[2:3], v[2:3], v[4:5]
	v_fmac_f64_e32 v[116:117], v[12:13], v[102:103]
	v_fma_f64 v[8:9], v[14:15], v[104:105], -v[90:91]
	v_add_f64 v[16:17], v[16:17], v[114:115]
	v_add_f64 v[2:3], v[2:3], v[6:7]
	v_fma_f64 v[10:11], v[18:19], v[40:41], -v[38:39]
	v_add_f64 v[4:5], v[16:17], v[116:117]
	v_add_f64 v[2:3], v[2:3], v[8:9]
	v_fmac_f64_e32 v[120:121], v[20:21], v[40:41]
	s_waitcnt vmcnt(5)
	v_fma_f64 v[12:13], v[26:27], v[106:107], -v[96:97]
	v_add_f64 v[4:5], v[4:5], v[118:119]
	v_add_f64 v[2:3], v[2:3], v[10:11]
	v_fmac_f64_e32 v[122:123], v[28:29], v[106:107]
	s_waitcnt vmcnt(4)
	v_fma_f64 v[14:15], v[86:87], v[94:95], -v[92:93]
	v_add_f64 v[4:5], v[4:5], v[120:121]
	v_add_f64 v[2:3], v[2:3], v[12:13]
	v_fmac_f64_e32 v[124:125], v[88:89], v[94:95]
	v_add_f64 v[4:5], v[4:5], v[122:123]
	v_add_f64 v[2:3], v[2:3], v[14:15]
	;; [unrolled: 1-line block ×3, first 2 shown]
	s_waitcnt vmcnt(2)
	v_add_f64 v[2:3], v[108:109], -v[2:3]
	s_waitcnt vmcnt(0)
	v_add_f64 v[4:5], v[110:111], -v[4:5]
	buffer_store_dword v3, off, s[0:3], 0 offset:324
	buffer_store_dword v2, off, s[0:3], 0 offset:320
	;; [unrolled: 1-line block ×4, first 2 shown]
	s_and_saveexec_b64 s[6:7], vcc
	s_cbranch_execz .LBB91_143
; %bb.142:
	v_accvgpr_read_b32 v5, a36
	buffer_load_dword v2, v5, s[0:3], 0 offen
	buffer_load_dword v3, v5, s[0:3], 0 offen offset:4
	buffer_load_dword v4, v5, s[0:3], 0 offen offset:8
	s_nop 0
	buffer_load_dword v5, v5, s[0:3], 0 offen offset:12
	s_nop 0
	buffer_store_dword v24, off, s[0:3], 0 offset:304
	buffer_store_dword v24, off, s[0:3], 0 offset:308
	;; [unrolled: 1-line block ×4, first 2 shown]
	s_waitcnt vmcnt(4)
	ds_write_b128 v207, v[2:5]
.LBB91_143:
	s_or_b64 exec, exec, s[6:7]
	s_waitcnt lgkmcnt(0)
	; wave barrier
	s_waitcnt lgkmcnt(0)
	ds_read_b128 v[14:17], v24 offset:768
	ds_read_b128 v[10:13], v24 offset:784
	;; [unrolled: 1-line block ×4, first 2 shown]
	buffer_load_dword v20, off, s[0:3], 0 offset:304
	buffer_load_dword v21, off, s[0:3], 0 offset:308
	;; [unrolled: 1-line block ×20, first 2 shown]
	v_cmp_lt_u32_e32 vcc, 18, v206
	s_waitcnt vmcnt(12) lgkmcnt(3)
	v_mul_f64 v[26:27], v[14:15], v[34:35]
	v_fmac_f64_e32 v[26:27], v[16:17], v[22:23]
	v_add_f64 v[26:27], v[26:27], 0
	v_mul_f64 v[16:17], v[16:17], v[34:35]
	s_waitcnt vmcnt(8) lgkmcnt(2)
	v_mul_f64 v[28:29], v[10:11], v[38:39]
	v_fmac_f64_e32 v[28:29], v[12:13], v[36:37]
	v_add_f64 v[26:27], v[26:27], v[28:29]
	v_fma_f64 v[14:15], v[14:15], v[22:23], -v[16:17]
	s_waitcnt vmcnt(4) lgkmcnt(1)
	v_mul_f64 v[28:29], v[6:7], v[98:99]
	v_fmac_f64_e32 v[28:29], v[8:9], v[40:41]
	v_add_f64 v[26:27], v[26:27], v[28:29]
	s_waitcnt vmcnt(0) lgkmcnt(0)
	v_mul_f64 v[28:29], v[2:3], v[102:103]
	v_fmac_f64_e32 v[28:29], v[4:5], v[100:101]
	v_add_f64 v[86:87], v[26:27], v[28:29]
	ds_read_b128 v[26:29], v24 offset:832
	buffer_load_dword v105, off, s[0:3], 0 offset:388
	buffer_load_dword v104, off, s[0:3], 0 offset:384
	;; [unrolled: 1-line block ×4, first 2 shown]
	v_mul_f64 v[12:13], v[12:13], v[38:39]
	v_add_f64 v[14:15], v[14:15], 0
	v_fma_f64 v[10:11], v[10:11], v[36:37], -v[12:13]
	v_mul_f64 v[8:9], v[8:9], v[98:99]
	v_add_f64 v[10:11], v[14:15], v[10:11]
	v_fma_f64 v[6:7], v[6:7], v[40:41], -v[8:9]
	;; [unrolled: 3-line block ×3, first 2 shown]
	v_add_f64 v[2:3], v[6:7], v[2:3]
	s_waitcnt vmcnt(0) lgkmcnt(0)
	v_mul_f64 v[88:89], v[26:27], v[106:107]
	v_fmac_f64_e32 v[88:89], v[28:29], v[104:105]
	v_add_f64 v[90:91], v[86:87], v[88:89]
	ds_read_b128 v[86:89], v24 offset:848
	buffer_load_dword v109, off, s[0:3], 0 offset:404
	buffer_load_dword v108, off, s[0:3], 0 offset:400
	buffer_load_dword v111, off, s[0:3], 0 offset:412
	buffer_load_dword v110, off, s[0:3], 0 offset:408
	v_mul_f64 v[4:5], v[28:29], v[106:107]
	v_fma_f64 v[4:5], v[26:27], v[104:105], -v[4:5]
	v_add_f64 v[2:3], v[2:3], v[4:5]
	s_waitcnt vmcnt(0) lgkmcnt(0)
	v_mul_f64 v[92:93], v[86:87], v[110:111]
	v_fmac_f64_e32 v[92:93], v[88:89], v[108:109]
	v_add_f64 v[94:95], v[90:91], v[92:93]
	ds_read_b128 v[90:93], v24 offset:864
	buffer_load_dword v113, off, s[0:3], 0 offset:420
	buffer_load_dword v112, off, s[0:3], 0 offset:416
	buffer_load_dword v115, off, s[0:3], 0 offset:428
	buffer_load_dword v114, off, s[0:3], 0 offset:424
	v_mul_f64 v[4:5], v[88:89], v[110:111]
	v_fma_f64 v[4:5], v[86:87], v[108:109], -v[4:5]
	;; [unrolled: 12-line block ×3, first 2 shown]
	v_add_f64 v[2:3], v[2:3], v[4:5]
	s_waitcnt vmcnt(0) lgkmcnt(0)
	v_mul_f64 v[4:5], v[96:97], v[118:119]
	v_mul_f64 v[120:121], v[94:95], v[118:119]
	v_fma_f64 v[4:5], v[94:95], v[24:25], -v[4:5]
	v_fmac_f64_e32 v[120:121], v[96:97], v[24:25]
	v_add_f64 v[2:3], v[2:3], v[4:5]
	v_add_f64 v[116:117], v[116:117], v[120:121]
	v_add_f64 v[2:3], v[20:21], -v[2:3]
	v_add_f64 v[4:5], v[18:19], -v[116:117]
	buffer_store_dword v3, off, s[0:3], 0 offset:308
	buffer_store_dword v2, off, s[0:3], 0 offset:304
	;; [unrolled: 1-line block ×4, first 2 shown]
	s_and_saveexec_b64 s[6:7], vcc
	s_cbranch_execz .LBB91_145
; %bb.144:
	v_accvgpr_read_b32 v5, a37
	buffer_load_dword v2, v5, s[0:3], 0 offen
	buffer_load_dword v3, v5, s[0:3], 0 offen offset:4
	buffer_load_dword v4, v5, s[0:3], 0 offen offset:8
	s_nop 0
	buffer_load_dword v5, v5, s[0:3], 0 offen offset:12
	v_mov_b32_e32 v6, 0
	buffer_store_dword v6, off, s[0:3], 0 offset:288
	buffer_store_dword v6, off, s[0:3], 0 offset:292
	;; [unrolled: 1-line block ×4, first 2 shown]
	s_waitcnt vmcnt(4)
	ds_write_b128 v207, v[2:5]
.LBB91_145:
	s_or_b64 exec, exec, s[6:7]
	s_waitcnt lgkmcnt(0)
	; wave barrier
	s_waitcnt lgkmcnt(0)
	buffer_load_dword v28, off, s[0:3], 0 offset:312
	buffer_load_dword v29, off, s[0:3], 0 offset:316
	;; [unrolled: 1-line block ×40, first 2 shown]
	v_mov_b32_e32 v6, 0
	ds_read_b128 v[2:5], v6 offset:752
	ds_read_b128 v[8:11], v6 offset:768
	;; [unrolled: 1-line block ×9, first 2 shown]
	v_cmp_lt_u32_e32 vcc, 17, v206
	s_waitcnt vmcnt(38) lgkmcnt(8)
	v_mul_f64 v[128:129], v[2:3], v[28:29]
	v_mul_f64 v[28:29], v[4:5], v[28:29]
	s_waitcnt vmcnt(36) lgkmcnt(7)
	v_mul_f64 v[130:131], v[8:9], v[34:35]
	v_mul_f64 v[34:35], v[10:11], v[34:35]
	;; [unrolled: 3-line block ×3, first 2 shown]
	s_waitcnt vmcnt(32) lgkmcnt(4)
	v_mul_f64 v[136:137], v[20:21], v[38:39]
	s_waitcnt vmcnt(30)
	v_fmac_f64_e32 v[136:137], v[22:23], v[40:41]
	s_waitcnt vmcnt(28)
	v_mul_f64 v[134:135], v[16:17], v[98:99]
	v_mul_f64 v[98:99], v[18:19], v[98:99]
	s_waitcnt vmcnt(26) lgkmcnt(2)
	v_mul_f64 v[140:141], v[86:87], v[100:101]
	s_waitcnt vmcnt(24)
	v_fmac_f64_e32 v[140:141], v[88:89], v[102:103]
	s_waitcnt vmcnt(22)
	v_mul_f64 v[138:139], v[24:25], v[104:105]
	s_waitcnt vmcnt(18) lgkmcnt(1)
	v_mul_f64 v[142:143], v[90:91], v[110:111]
	s_waitcnt vmcnt(17) lgkmcnt(0)
	v_mul_f64 v[144:145], v[94:95], v[106:107]
	s_waitcnt vmcnt(15)
	v_fma_f64 v[2:3], v[2:3], v[112:113], -v[28:29]
	v_fmac_f64_e32 v[128:129], v[4:5], v[112:113]
	s_waitcnt vmcnt(13)
	v_fma_f64 v[4:5], v[8:9], v[114:115], -v[34:35]
	v_add_f64 v[2:3], v[2:3], 0
	s_waitcnt vmcnt(11)
	v_fma_f64 v[8:9], v[12:13], v[116:117], -v[36:37]
	v_add_f64 v[2:3], v[2:3], v[4:5]
	v_fmac_f64_e32 v[130:131], v[10:11], v[114:115]
	s_waitcnt vmcnt(9)
	v_fma_f64 v[10:11], v[16:17], v[118:119], -v[98:99]
	v_add_f64 v[2:3], v[2:3], v[8:9]
	v_mul_f64 v[8:9], v[22:23], v[38:39]
	v_add_f64 v[2:3], v[2:3], v[10:11]
	v_fma_f64 v[8:9], v[20:21], v[40:41], -v[8:9]
	v_add_f64 v[2:3], v[2:3], v[8:9]
	v_mul_f64 v[8:9], v[26:27], v[104:105]
	v_add_f64 v[12:13], v[128:129], 0
	s_waitcnt vmcnt(7)
	v_fma_f64 v[8:9], v[24:25], v[120:121], -v[8:9]
	v_fmac_f64_e32 v[132:133], v[14:15], v[116:117]
	v_add_f64 v[12:13], v[12:13], v[130:131]
	v_add_f64 v[2:3], v[2:3], v[8:9]
	v_mul_f64 v[8:9], v[88:89], v[100:101]
	v_fmac_f64_e32 v[134:135], v[18:19], v[118:119]
	v_add_f64 v[4:5], v[12:13], v[132:133]
	v_fma_f64 v[8:9], v[86:87], v[102:103], -v[8:9]
	v_add_f64 v[4:5], v[4:5], v[134:135]
	v_add_f64 v[2:3], v[2:3], v[8:9]
	v_mul_f64 v[8:9], v[92:93], v[110:111]
	v_fmac_f64_e32 v[138:139], v[26:27], v[120:121]
	v_add_f64 v[4:5], v[4:5], v[136:137]
	s_waitcnt vmcnt(5)
	v_fma_f64 v[8:9], v[90:91], v[122:123], -v[8:9]
	v_add_f64 v[4:5], v[4:5], v[138:139]
	v_add_f64 v[2:3], v[2:3], v[8:9]
	v_mul_f64 v[8:9], v[96:97], v[106:107]
	v_fmac_f64_e32 v[142:143], v[92:93], v[122:123]
	v_add_f64 v[4:5], v[4:5], v[140:141]
	s_waitcnt vmcnt(4)
	v_fma_f64 v[8:9], v[94:95], v[108:109], -v[8:9]
	v_fmac_f64_e32 v[144:145], v[96:97], v[108:109]
	v_add_f64 v[4:5], v[4:5], v[142:143]
	v_add_f64 v[2:3], v[2:3], v[8:9]
	;; [unrolled: 1-line block ×3, first 2 shown]
	s_waitcnt vmcnt(2)
	v_add_f64 v[2:3], v[124:125], -v[2:3]
	s_waitcnt vmcnt(0)
	v_add_f64 v[4:5], v[126:127], -v[4:5]
	buffer_store_dword v3, off, s[0:3], 0 offset:292
	buffer_store_dword v2, off, s[0:3], 0 offset:288
	buffer_store_dword v5, off, s[0:3], 0 offset:300
	buffer_store_dword v4, off, s[0:3], 0 offset:296
	s_and_saveexec_b64 s[6:7], vcc
	s_cbranch_execz .LBB91_147
; %bb.146:
	v_accvgpr_read_b32 v5, a38
	buffer_load_dword v2, v5, s[0:3], 0 offen
	buffer_load_dword v3, v5, s[0:3], 0 offen offset:4
	buffer_load_dword v4, v5, s[0:3], 0 offen offset:8
	s_nop 0
	buffer_load_dword v5, v5, s[0:3], 0 offen offset:12
	s_nop 0
	buffer_store_dword v6, off, s[0:3], 0 offset:272
	buffer_store_dword v6, off, s[0:3], 0 offset:276
	;; [unrolled: 1-line block ×4, first 2 shown]
	s_waitcnt vmcnt(4)
	ds_write_b128 v207, v[2:5]
.LBB91_147:
	s_or_b64 exec, exec, s[6:7]
	s_waitcnt lgkmcnt(0)
	; wave barrier
	s_waitcnt lgkmcnt(0)
	buffer_load_dword v4, off, s[0:3], 0 offset:288
	buffer_load_dword v5, off, s[0:3], 0 offset:292
	;; [unrolled: 1-line block ×44, first 2 shown]
	ds_read_b128 v[8:11], v6 offset:736
	ds_read_b128 v[12:15], v6 offset:752
	;; [unrolled: 1-line block ×10, first 2 shown]
	v_cmp_lt_u32_e32 vcc, 16, v206
	s_waitcnt vmcnt(40) lgkmcnt(9)
	v_mul_f64 v[6:7], v[8:9], v[28:29]
	v_mul_f64 v[28:29], v[10:11], v[28:29]
	s_waitcnt vmcnt(38) lgkmcnt(8)
	v_mul_f64 v[136:137], v[12:13], v[34:35]
	v_mul_f64 v[34:35], v[14:15], v[34:35]
	v_fmac_f64_e32 v[6:7], v[10:11], v[4:5]
	v_fma_f64 v[4:5], v[8:9], v[4:5], -v[28:29]
	s_waitcnt vmcnt(36) lgkmcnt(7)
	v_mul_f64 v[138:139], v[16:17], v[2:3]
	v_add_f64 v[4:5], v[4:5], 0
	v_mul_f64 v[2:3], v[18:19], v[2:3]
	v_add_f64 v[6:7], v[6:7], 0
	s_waitcnt vmcnt(30) lgkmcnt(6)
	v_mul_f64 v[140:141], v[20:21], v[40:41]
	s_waitcnt lgkmcnt(5)
	v_mul_f64 v[142:143], v[24:25], v[36:37]
	v_fmac_f64_e32 v[142:143], v[26:27], v[38:39]
	s_waitcnt vmcnt(28) lgkmcnt(3)
	v_mul_f64 v[146:147], v[90:91], v[106:107]
	s_waitcnt vmcnt(26)
	v_fmac_f64_e32 v[146:147], v[92:93], v[108:109]
	s_waitcnt vmcnt(24)
	v_mul_f64 v[144:145], v[86:87], v[110:111]
	s_waitcnt vmcnt(22) lgkmcnt(1)
	v_mul_f64 v[150:151], v[98:99], v[112:113]
	s_waitcnt vmcnt(20)
	v_fmac_f64_e32 v[150:151], v[100:101], v[114:115]
	s_waitcnt vmcnt(18)
	v_mul_f64 v[148:149], v[94:95], v[116:117]
	s_waitcnt vmcnt(16) lgkmcnt(0)
	v_mul_f64 v[152:153], v[102:103], v[118:119]
	s_waitcnt vmcnt(14)
	v_fma_f64 v[8:9], v[12:13], v[120:121], -v[34:35]
	v_add_f64 v[4:5], v[4:5], v[8:9]
	s_waitcnt vmcnt(12)
	v_fma_f64 v[2:3], v[16:17], v[122:123], -v[2:3]
	v_add_f64 v[2:3], v[4:5], v[2:3]
	v_mul_f64 v[4:5], v[22:23], v[40:41]
	s_waitcnt vmcnt(10)
	v_fma_f64 v[4:5], v[20:21], v[124:125], -v[4:5]
	v_add_f64 v[2:3], v[2:3], v[4:5]
	v_mul_f64 v[4:5], v[26:27], v[36:37]
	v_fma_f64 v[4:5], v[24:25], v[38:39], -v[4:5]
	v_add_f64 v[2:3], v[2:3], v[4:5]
	v_mul_f64 v[4:5], v[88:89], v[110:111]
	s_waitcnt vmcnt(8)
	v_fma_f64 v[4:5], v[86:87], v[126:127], -v[4:5]
	v_fmac_f64_e32 v[136:137], v[14:15], v[120:121]
	v_add_f64 v[2:3], v[2:3], v[4:5]
	v_mul_f64 v[4:5], v[92:93], v[106:107]
	v_fmac_f64_e32 v[138:139], v[18:19], v[122:123]
	v_add_f64 v[6:7], v[6:7], v[136:137]
	v_fma_f64 v[4:5], v[90:91], v[108:109], -v[4:5]
	v_fmac_f64_e32 v[140:141], v[22:23], v[124:125]
	v_add_f64 v[6:7], v[6:7], v[138:139]
	v_add_f64 v[2:3], v[2:3], v[4:5]
	v_mul_f64 v[4:5], v[96:97], v[116:117]
	v_add_f64 v[6:7], v[6:7], v[140:141]
	s_waitcnt vmcnt(6)
	v_fma_f64 v[4:5], v[94:95], v[128:129], -v[4:5]
	v_fmac_f64_e32 v[144:145], v[88:89], v[126:127]
	v_add_f64 v[6:7], v[6:7], v[142:143]
	v_add_f64 v[2:3], v[2:3], v[4:5]
	v_mul_f64 v[4:5], v[100:101], v[112:113]
	v_add_f64 v[6:7], v[6:7], v[144:145]
	v_fma_f64 v[4:5], v[98:99], v[114:115], -v[4:5]
	v_fmac_f64_e32 v[148:149], v[96:97], v[128:129]
	v_add_f64 v[6:7], v[6:7], v[146:147]
	v_add_f64 v[2:3], v[2:3], v[4:5]
	v_mul_f64 v[4:5], v[104:105], v[118:119]
	v_add_f64 v[6:7], v[6:7], v[148:149]
	s_waitcnt vmcnt(4)
	v_fma_f64 v[4:5], v[102:103], v[130:131], -v[4:5]
	v_fmac_f64_e32 v[152:153], v[104:105], v[130:131]
	v_add_f64 v[6:7], v[6:7], v[150:151]
	v_add_f64 v[2:3], v[2:3], v[4:5]
	;; [unrolled: 1-line block ×3, first 2 shown]
	s_waitcnt vmcnt(2)
	v_add_f64 v[2:3], v[132:133], -v[2:3]
	s_waitcnt vmcnt(0)
	v_add_f64 v[4:5], v[134:135], -v[6:7]
	buffer_store_dword v3, off, s[0:3], 0 offset:276
	buffer_store_dword v2, off, s[0:3], 0 offset:272
	;; [unrolled: 1-line block ×4, first 2 shown]
	s_and_saveexec_b64 s[6:7], vcc
	s_cbranch_execz .LBB91_149
; %bb.148:
	v_accvgpr_read_b32 v5, a39
	buffer_load_dword v2, v5, s[0:3], 0 offen
	buffer_load_dword v3, v5, s[0:3], 0 offen offset:4
	buffer_load_dword v4, v5, s[0:3], 0 offen offset:8
	s_nop 0
	buffer_load_dword v5, v5, s[0:3], 0 offen offset:12
	v_mov_b32_e32 v6, 0
	buffer_store_dword v6, off, s[0:3], 0 offset:256
	buffer_store_dword v6, off, s[0:3], 0 offset:260
	;; [unrolled: 1-line block ×4, first 2 shown]
	s_waitcnt vmcnt(4)
	ds_write_b128 v207, v[2:5]
.LBB91_149:
	s_or_b64 exec, exec, s[6:7]
	s_waitcnt lgkmcnt(0)
	; wave barrier
	s_waitcnt lgkmcnt(0)
	buffer_load_dword v2, off, s[0:3], 0 offset:272
	buffer_load_dword v3, off, s[0:3], 0 offset:276
	;; [unrolled: 1-line block ×48, first 2 shown]
	v_mov_b32_e32 v12, 0
	ds_read_b128 v[14:17], v12 offset:720
	ds_read_b128 v[18:21], v12 offset:736
	;; [unrolled: 1-line block ×11, first 2 shown]
	v_cmp_lt_u32_e32 vcc, 15, v206
	s_waitcnt vmcnt(44) lgkmcnt(10)
	v_mul_f64 v[144:145], v[14:15], v[6:7]
	v_mul_f64 v[6:7], v[16:17], v[6:7]
	v_fmac_f64_e32 v[144:145], v[16:17], v[2:3]
	v_fma_f64 v[2:3], v[14:15], v[2:3], -v[6:7]
	s_waitcnt vmcnt(40) lgkmcnt(9)
	v_mul_f64 v[146:147], v[18:19], v[8:9]
	v_mul_f64 v[6:7], v[20:21], v[8:9]
	v_fmac_f64_e32 v[146:147], v[20:21], v[4:5]
	v_add_f64 v[2:3], v[2:3], 0
	v_fma_f64 v[4:5], v[18:19], v[4:5], -v[6:7]
	v_add_f64 v[2:3], v[2:3], v[4:5]
	s_waitcnt vmcnt(38) lgkmcnt(8)
	v_mul_f64 v[4:5], v[24:25], v[10:11]
	v_mul_f64 v[148:149], v[22:23], v[10:11]
	v_add_f64 v[144:145], v[144:145], 0
	s_waitcnt vmcnt(32) lgkmcnt(7)
	v_mul_f64 v[150:151], v[26:27], v[38:39]
	v_add_f64 v[144:145], v[144:145], v[146:147]
	s_waitcnt lgkmcnt(6)
	v_mul_f64 v[152:153], v[86:87], v[34:35]
	v_fmac_f64_e32 v[152:153], v[88:89], v[36:37]
	s_waitcnt vmcnt(30) lgkmcnt(4)
	v_mul_f64 v[156:157], v[94:95], v[40:41]
	s_waitcnt vmcnt(26)
	v_mul_f64 v[154:155], v[90:91], v[116:117]
	v_fmac_f64_e32 v[156:157], v[96:97], v[114:115]
	s_waitcnt vmcnt(24) lgkmcnt(2)
	v_mul_f64 v[160:161], v[102:103], v[118:119]
	s_waitcnt vmcnt(22)
	v_fmac_f64_e32 v[160:161], v[104:105], v[120:121]
	s_waitcnt vmcnt(20)
	v_mul_f64 v[158:159], v[98:99], v[122:123]
	s_waitcnt vmcnt(16) lgkmcnt(1)
	v_mul_f64 v[162:163], v[106:107], v[128:129]
	s_waitcnt vmcnt(14)
	v_fma_f64 v[4:5], v[22:23], v[130:131], -v[4:5]
	v_add_f64 v[2:3], v[2:3], v[4:5]
	v_mul_f64 v[4:5], v[28:29], v[38:39]
	s_waitcnt vmcnt(12)
	v_fma_f64 v[4:5], v[26:27], v[132:133], -v[4:5]
	v_add_f64 v[2:3], v[2:3], v[4:5]
	v_mul_f64 v[4:5], v[88:89], v[34:35]
	v_fma_f64 v[4:5], v[86:87], v[36:37], -v[4:5]
	v_add_f64 v[2:3], v[2:3], v[4:5]
	v_mul_f64 v[4:5], v[92:93], v[116:117]
	s_waitcnt vmcnt(10)
	v_fma_f64 v[4:5], v[90:91], v[134:135], -v[4:5]
	v_add_f64 v[2:3], v[2:3], v[4:5]
	v_mul_f64 v[4:5], v[96:97], v[40:41]
	v_fma_f64 v[4:5], v[94:95], v[114:115], -v[4:5]
	v_fmac_f64_e32 v[148:149], v[24:25], v[130:131]
	v_add_f64 v[2:3], v[2:3], v[4:5]
	v_mul_f64 v[4:5], v[100:101], v[122:123]
	v_fmac_f64_e32 v[150:151], v[28:29], v[132:133]
	v_add_f64 v[144:145], v[144:145], v[148:149]
	s_waitcnt vmcnt(8)
	v_fma_f64 v[4:5], v[98:99], v[136:137], -v[4:5]
	v_add_f64 v[144:145], v[144:145], v[150:151]
	v_add_f64 v[2:3], v[2:3], v[4:5]
	v_mul_f64 v[4:5], v[104:105], v[118:119]
	v_fmac_f64_e32 v[154:155], v[92:93], v[134:135]
	v_add_f64 v[144:145], v[144:145], v[152:153]
	v_fma_f64 v[4:5], v[102:103], v[120:121], -v[4:5]
	v_add_f64 v[144:145], v[144:145], v[154:155]
	v_add_f64 v[2:3], v[2:3], v[4:5]
	v_mul_f64 v[4:5], v[108:109], v[128:129]
	v_fmac_f64_e32 v[158:159], v[100:101], v[136:137]
	v_add_f64 v[144:145], v[144:145], v[156:157]
	s_waitcnt vmcnt(6)
	v_fma_f64 v[4:5], v[106:107], v[138:139], -v[4:5]
	v_add_f64 v[144:145], v[144:145], v[158:159]
	v_add_f64 v[2:3], v[2:3], v[4:5]
	s_waitcnt vmcnt(5) lgkmcnt(0)
	v_mul_f64 v[4:5], v[112:113], v[124:125]
	v_fmac_f64_e32 v[162:163], v[108:109], v[138:139]
	v_add_f64 v[144:145], v[144:145], v[160:161]
	v_mul_f64 v[146:147], v[110:111], v[124:125]
	s_waitcnt vmcnt(4)
	v_fma_f64 v[4:5], v[110:111], v[126:127], -v[4:5]
	v_add_f64 v[144:145], v[144:145], v[162:163]
	v_fmac_f64_e32 v[146:147], v[112:113], v[126:127]
	v_add_f64 v[2:3], v[2:3], v[4:5]
	v_add_f64 v[144:145], v[144:145], v[146:147]
	s_waitcnt vmcnt(2)
	v_add_f64 v[2:3], v[140:141], -v[2:3]
	s_waitcnt vmcnt(0)
	v_add_f64 v[4:5], v[142:143], -v[144:145]
	buffer_store_dword v3, off, s[0:3], 0 offset:260
	buffer_store_dword v2, off, s[0:3], 0 offset:256
	;; [unrolled: 1-line block ×4, first 2 shown]
	s_and_saveexec_b64 s[6:7], vcc
	s_cbranch_execz .LBB91_151
; %bb.150:
	v_accvgpr_read_b32 v5, a40
	buffer_load_dword v2, v5, s[0:3], 0 offen
	buffer_load_dword v3, v5, s[0:3], 0 offen offset:4
	buffer_load_dword v4, v5, s[0:3], 0 offen offset:8
	s_nop 0
	buffer_load_dword v5, v5, s[0:3], 0 offen offset:12
	s_nop 0
	buffer_store_dword v12, off, s[0:3], 0 offset:240
	buffer_store_dword v12, off, s[0:3], 0 offset:244
	;; [unrolled: 1-line block ×4, first 2 shown]
	s_waitcnt vmcnt(4)
	ds_write_b128 v207, v[2:5]
.LBB91_151:
	s_or_b64 exec, exec, s[6:7]
	s_waitcnt lgkmcnt(0)
	; wave barrier
	s_waitcnt lgkmcnt(0)
	buffer_load_dword v2, off, s[0:3], 0 offset:256
	buffer_load_dword v3, off, s[0:3], 0 offset:260
	;; [unrolled: 1-line block ×52, first 2 shown]
	ds_read_b128 v[14:17], v12 offset:704
	ds_read_b128 v[18:21], v12 offset:720
	;; [unrolled: 1-line block ×10, first 2 shown]
	v_cmp_lt_u32_e32 vcc, 14, v206
	s_waitcnt vmcnt(48) lgkmcnt(9)
	v_mul_f64 v[110:111], v[14:15], v[6:7]
	v_mul_f64 v[6:7], v[16:17], v[6:7]
	v_fmac_f64_e32 v[110:111], v[16:17], v[2:3]
	v_fma_f64 v[2:3], v[14:15], v[2:3], -v[6:7]
	s_waitcnt vmcnt(44) lgkmcnt(8)
	v_mul_f64 v[112:113], v[18:19], v[8:9]
	v_mul_f64 v[6:7], v[20:21], v[8:9]
	v_fmac_f64_e32 v[112:113], v[20:21], v[4:5]
	v_add_f64 v[2:3], v[2:3], 0
	v_fma_f64 v[4:5], v[18:19], v[4:5], -v[6:7]
	v_add_f64 v[2:3], v[2:3], v[4:5]
	s_waitcnt vmcnt(42) lgkmcnt(7)
	v_mul_f64 v[4:5], v[24:25], v[10:11]
	v_mul_f64 v[114:115], v[22:23], v[10:11]
	v_add_f64 v[110:111], v[110:111], 0
	s_waitcnt vmcnt(36) lgkmcnt(6)
	v_mul_f64 v[116:117], v[26:27], v[38:39]
	v_add_f64 v[110:111], v[110:111], v[112:113]
	s_waitcnt lgkmcnt(5)
	v_mul_f64 v[152:153], v[86:87], v[34:35]
	v_fmac_f64_e32 v[152:153], v[88:89], v[36:37]
	s_waitcnt vmcnt(34) lgkmcnt(3)
	v_mul_f64 v[156:157], v[94:95], v[40:41]
	s_waitcnt vmcnt(30)
	v_mul_f64 v[154:155], v[90:91], v[120:121]
	v_fmac_f64_e32 v[156:157], v[96:97], v[118:119]
	s_waitcnt vmcnt(26) lgkmcnt(2)
	v_mul_f64 v[158:159], v[98:99], v[126:127]
	s_waitcnt vmcnt(25) lgkmcnt(1)
	v_mul_f64 v[160:161], v[102:103], v[122:123]
	s_waitcnt vmcnt(23)
	v_fma_f64 v[4:5], v[22:23], v[128:129], -v[4:5]
	v_add_f64 v[2:3], v[2:3], v[4:5]
	v_mul_f64 v[4:5], v[28:29], v[38:39]
	s_waitcnt vmcnt(21)
	v_fma_f64 v[4:5], v[26:27], v[130:131], -v[4:5]
	v_fmac_f64_e32 v[114:115], v[24:25], v[128:129]
	v_add_f64 v[2:3], v[2:3], v[4:5]
	v_mul_f64 v[4:5], v[88:89], v[34:35]
	v_fmac_f64_e32 v[116:117], v[28:29], v[130:131]
	v_add_f64 v[110:111], v[110:111], v[114:115]
	v_fma_f64 v[4:5], v[86:87], v[36:37], -v[4:5]
	v_add_f64 v[110:111], v[110:111], v[116:117]
	v_add_f64 v[2:3], v[2:3], v[4:5]
	v_mul_f64 v[4:5], v[92:93], v[120:121]
	s_waitcnt vmcnt(19)
	v_fmac_f64_e32 v[154:155], v[92:93], v[132:133]
	v_add_f64 v[110:111], v[110:111], v[152:153]
	v_fma_f64 v[4:5], v[90:91], v[132:133], -v[4:5]
	v_add_f64 v[110:111], v[110:111], v[154:155]
	v_add_f64 v[2:3], v[2:3], v[4:5]
	v_mul_f64 v[4:5], v[96:97], v[40:41]
	s_waitcnt vmcnt(17)
	v_fmac_f64_e32 v[158:159], v[100:101], v[134:135]
	v_add_f64 v[110:111], v[110:111], v[156:157]
	v_fma_f64 v[4:5], v[94:95], v[118:119], -v[4:5]
	s_waitcnt vmcnt(16)
	v_fmac_f64_e32 v[160:161], v[104:105], v[124:125]
	v_add_f64 v[110:111], v[110:111], v[158:159]
	v_add_f64 v[2:3], v[2:3], v[4:5]
	v_mul_f64 v[4:5], v[100:101], v[126:127]
	v_add_f64 v[152:153], v[110:111], v[160:161]
	ds_read_b128 v[110:113], v12 offset:864
	ds_read_b128 v[114:117], v12 offset:880
	v_fma_f64 v[4:5], v[98:99], v[134:135], -v[4:5]
	v_add_f64 v[2:3], v[2:3], v[4:5]
	v_mul_f64 v[4:5], v[104:105], v[122:123]
	v_fma_f64 v[4:5], v[102:103], v[124:125], -v[4:5]
	v_add_f64 v[2:3], v[2:3], v[4:5]
	s_waitcnt vmcnt(12) lgkmcnt(2)
	v_mul_f64 v[4:5], v[108:109], v[140:141]
	v_mul_f64 v[154:155], v[106:107], v[140:141]
	s_waitcnt vmcnt(10)
	v_fma_f64 v[4:5], v[106:107], v[142:143], -v[4:5]
	v_fmac_f64_e32 v[154:155], v[108:109], v[142:143]
	v_add_f64 v[2:3], v[2:3], v[4:5]
	s_waitcnt vmcnt(8) lgkmcnt(1)
	v_mul_f64 v[4:5], v[112:113], v[136:137]
	v_add_f64 v[12:13], v[152:153], v[154:155]
	v_mul_f64 v[152:153], v[110:111], v[136:137]
	v_fma_f64 v[4:5], v[110:111], v[138:139], -v[4:5]
	v_fmac_f64_e32 v[152:153], v[112:113], v[138:139]
	v_add_f64 v[2:3], v[2:3], v[4:5]
	s_waitcnt vmcnt(6) lgkmcnt(0)
	v_mul_f64 v[4:5], v[116:117], v[144:145]
	v_add_f64 v[12:13], v[12:13], v[152:153]
	v_mul_f64 v[152:153], v[114:115], v[144:145]
	s_waitcnt vmcnt(4)
	v_fma_f64 v[4:5], v[114:115], v[146:147], -v[4:5]
	v_fmac_f64_e32 v[152:153], v[116:117], v[146:147]
	v_add_f64 v[2:3], v[2:3], v[4:5]
	v_add_f64 v[12:13], v[12:13], v[152:153]
	s_waitcnt vmcnt(2)
	v_add_f64 v[2:3], v[148:149], -v[2:3]
	s_waitcnt vmcnt(0)
	v_add_f64 v[4:5], v[150:151], -v[12:13]
	buffer_store_dword v3, off, s[0:3], 0 offset:244
	buffer_store_dword v2, off, s[0:3], 0 offset:240
	;; [unrolled: 1-line block ×4, first 2 shown]
	s_and_saveexec_b64 s[6:7], vcc
	s_cbranch_execz .LBB91_153
; %bb.152:
	v_accvgpr_read_b32 v5, a41
	buffer_load_dword v2, v5, s[0:3], 0 offen
	buffer_load_dword v3, v5, s[0:3], 0 offen offset:4
	buffer_load_dword v4, v5, s[0:3], 0 offen offset:8
	s_nop 0
	buffer_load_dword v5, v5, s[0:3], 0 offen offset:12
	v_mov_b32_e32 v6, 0
	buffer_store_dword v6, off, s[0:3], 0 offset:224
	buffer_store_dword v6, off, s[0:3], 0 offset:228
	;; [unrolled: 1-line block ×4, first 2 shown]
	s_waitcnt vmcnt(4)
	ds_write_b128 v207, v[2:5]
.LBB91_153:
	s_or_b64 exec, exec, s[6:7]
	s_waitcnt lgkmcnt(0)
	; wave barrier
	s_waitcnt lgkmcnt(0)
	buffer_load_dword v2, off, s[0:3], 0 offset:240
	buffer_load_dword v3, off, s[0:3], 0 offset:244
	;; [unrolled: 1-line block ×56, first 2 shown]
	v_mov_b32_e32 v24, 0
	ds_read_b128 v[18:21], v24 offset:688
	ds_read_b128 v[26:29], v24 offset:704
	ds_read_b128 v[86:89], v24 offset:720
	ds_read_b128 v[90:93], v24 offset:736
	ds_read_b128 v[94:97], v24 offset:752
	ds_read_b128 v[98:101], v24 offset:768
	ds_read_b128 v[102:105], v24 offset:784
	ds_read_b128 v[106:109], v24 offset:800
	ds_read_b128 v[126:129], v24 offset:880
	v_cmp_lt_u32_e32 vcc, 13, v206
	s_waitcnt vmcnt(52) lgkmcnt(8)
	v_mul_f64 v[110:111], v[18:19], v[6:7]
	v_fmac_f64_e32 v[110:111], v[20:21], v[2:3]
	v_mul_f64 v[6:7], v[20:21], v[6:7]
	v_add_f64 v[110:111], v[110:111], 0
	s_waitcnt vmcnt(48) lgkmcnt(7)
	v_mul_f64 v[112:113], v[26:27], v[8:9]
	v_fmac_f64_e32 v[112:113], v[28:29], v[4:5]
	s_waitcnt vmcnt(46) lgkmcnt(6)
	v_mul_f64 v[114:115], v[86:87], v[10:11]
	v_fma_f64 v[2:3], v[18:19], v[2:3], -v[6:7]
	v_mul_f64 v[6:7], v[28:29], v[8:9]
	v_add_f64 v[110:111], v[110:111], v[112:113]
	v_add_f64 v[2:3], v[2:3], 0
	v_fma_f64 v[4:5], v[26:27], v[4:5], -v[6:7]
	s_waitcnt vmcnt(40) lgkmcnt(5)
	v_mul_f64 v[116:117], v[90:91], v[16:17]
	s_waitcnt lgkmcnt(4)
	v_mul_f64 v[118:119], v[94:95], v[12:13]
	v_add_f64 v[2:3], v[2:3], v[4:5]
	v_mul_f64 v[4:5], v[88:89], v[10:11]
	s_waitcnt vmcnt(36) lgkmcnt(3)
	v_mul_f64 v[120:121], v[98:99], v[36:37]
	v_fmac_f64_e32 v[118:119], v[96:97], v[14:15]
	s_waitcnt vmcnt(35) lgkmcnt(2)
	v_mul_f64 v[122:123], v[102:103], v[22:23]
	s_waitcnt vmcnt(33)
	v_fmac_f64_e32 v[114:115], v[88:89], v[38:39]
	v_add_f64 v[110:111], v[110:111], v[114:115]
	s_waitcnt vmcnt(31)
	v_fmac_f64_e32 v[116:117], v[92:93], v[40:41]
	v_add_f64 v[110:111], v[110:111], v[116:117]
	v_fma_f64 v[4:5], v[86:87], v[38:39], -v[4:5]
	s_waitcnt vmcnt(29)
	v_fmac_f64_e32 v[120:121], v[100:101], v[130:131]
	v_add_f64 v[110:111], v[110:111], v[118:119]
	v_add_f64 v[2:3], v[2:3], v[4:5]
	v_mul_f64 v[4:5], v[92:93], v[16:17]
	s_waitcnt vmcnt(28)
	v_fmac_f64_e32 v[122:123], v[104:105], v[34:35]
	v_add_f64 v[110:111], v[110:111], v[120:121]
	v_fma_f64 v[4:5], v[90:91], v[40:41], -v[4:5]
	v_add_f64 v[114:115], v[110:111], v[122:123]
	ds_read_b128 v[110:113], v24 offset:816
	s_waitcnt vmcnt(24) lgkmcnt(2)
	v_mul_f64 v[116:117], v[106:107], v[136:137]
	v_add_f64 v[2:3], v[2:3], v[4:5]
	v_mul_f64 v[4:5], v[96:97], v[12:13]
	s_waitcnt vmcnt(22)
	v_fmac_f64_e32 v[116:117], v[108:109], v[138:139]
	v_fma_f64 v[4:5], v[94:95], v[14:15], -v[4:5]
	v_add_f64 v[118:119], v[114:115], v[116:117]
	ds_read_b128 v[114:117], v24 offset:832
	v_add_f64 v[2:3], v[2:3], v[4:5]
	v_mul_f64 v[4:5], v[100:101], v[36:37]
	v_fma_f64 v[4:5], v[98:99], v[130:131], -v[4:5]
	v_add_f64 v[2:3], v[2:3], v[4:5]
	v_mul_f64 v[4:5], v[104:105], v[22:23]
	s_waitcnt vmcnt(20) lgkmcnt(1)
	v_mul_f64 v[120:121], v[110:111], v[132:133]
	v_fma_f64 v[4:5], v[102:103], v[34:35], -v[4:5]
	v_fmac_f64_e32 v[120:121], v[112:113], v[134:135]
	v_add_f64 v[2:3], v[2:3], v[4:5]
	v_mul_f64 v[4:5], v[108:109], v[136:137]
	v_add_f64 v[122:123], v[118:119], v[120:121]
	ds_read_b128 v[118:121], v24 offset:848
	s_waitcnt vmcnt(16) lgkmcnt(1)
	v_mul_f64 v[124:125], v[114:115], v[144:145]
	v_fma_f64 v[4:5], v[106:107], v[138:139], -v[4:5]
	s_waitcnt vmcnt(14)
	v_fmac_f64_e32 v[124:125], v[116:117], v[146:147]
	v_add_f64 v[2:3], v[2:3], v[4:5]
	v_mul_f64 v[4:5], v[112:113], v[132:133]
	v_add_f64 v[160:161], v[122:123], v[124:125]
	ds_read_b128 v[122:125], v24 offset:864
	v_fma_f64 v[4:5], v[110:111], v[134:135], -v[4:5]
	v_add_f64 v[2:3], v[2:3], v[4:5]
	v_mul_f64 v[4:5], v[116:117], v[144:145]
	v_fma_f64 v[4:5], v[114:115], v[146:147], -v[4:5]
	v_add_f64 v[2:3], v[2:3], v[4:5]
	s_waitcnt vmcnt(12) lgkmcnt(1)
	v_mul_f64 v[4:5], v[120:121], v[140:141]
	v_mul_f64 v[162:163], v[118:119], v[140:141]
	v_fma_f64 v[4:5], v[118:119], v[142:143], -v[4:5]
	v_fmac_f64_e32 v[162:163], v[120:121], v[142:143]
	v_add_f64 v[2:3], v[2:3], v[4:5]
	s_waitcnt vmcnt(8) lgkmcnt(0)
	v_mul_f64 v[4:5], v[124:125], v[152:153]
	v_add_f64 v[160:161], v[160:161], v[162:163]
	v_mul_f64 v[162:163], v[122:123], v[152:153]
	s_waitcnt vmcnt(6)
	v_fma_f64 v[4:5], v[122:123], v[154:155], -v[4:5]
	v_fmac_f64_e32 v[162:163], v[124:125], v[154:155]
	v_add_f64 v[2:3], v[2:3], v[4:5]
	s_waitcnt vmcnt(5)
	v_mul_f64 v[4:5], v[128:129], v[148:149]
	v_add_f64 v[160:161], v[160:161], v[162:163]
	v_mul_f64 v[162:163], v[126:127], v[148:149]
	s_waitcnt vmcnt(4)
	v_fma_f64 v[4:5], v[126:127], v[150:151], -v[4:5]
	v_fmac_f64_e32 v[162:163], v[128:129], v[150:151]
	v_add_f64 v[2:3], v[2:3], v[4:5]
	v_add_f64 v[160:161], v[160:161], v[162:163]
	s_waitcnt vmcnt(2)
	v_add_f64 v[2:3], v[156:157], -v[2:3]
	s_waitcnt vmcnt(0)
	v_add_f64 v[4:5], v[158:159], -v[160:161]
	buffer_store_dword v3, off, s[0:3], 0 offset:228
	buffer_store_dword v2, off, s[0:3], 0 offset:224
	;; [unrolled: 1-line block ×4, first 2 shown]
	s_and_saveexec_b64 s[6:7], vcc
	s_cbranch_execz .LBB91_155
; %bb.154:
	v_accvgpr_read_b32 v5, a42
	buffer_load_dword v2, v5, s[0:3], 0 offen
	buffer_load_dword v3, v5, s[0:3], 0 offen offset:4
	buffer_load_dword v4, v5, s[0:3], 0 offen offset:8
	s_nop 0
	buffer_load_dword v5, v5, s[0:3], 0 offen offset:12
	s_nop 0
	buffer_store_dword v24, off, s[0:3], 0 offset:208
	buffer_store_dword v24, off, s[0:3], 0 offset:212
	;; [unrolled: 1-line block ×4, first 2 shown]
	s_waitcnt vmcnt(4)
	ds_write_b128 v207, v[2:5]
.LBB91_155:
	s_or_b64 exec, exec, s[6:7]
	s_waitcnt lgkmcnt(0)
	; wave barrier
	s_waitcnt lgkmcnt(0)
	buffer_load_dword v2, off, s[0:3], 0 offset:224
	buffer_load_dword v3, off, s[0:3], 0 offset:228
	;; [unrolled: 1-line block ×60, first 2 shown]
	ds_read_b128 v[26:29], v24 offset:672
	ds_read_b128 v[86:89], v24 offset:688
	;; [unrolled: 1-line block ×8, first 2 shown]
	v_cmp_lt_u32_e32 vcc, 12, v206
	ds_read_b128 v[134:137], v24 offset:880
	s_waitcnt vmcnt(56) lgkmcnt(8)
	v_mul_f64 v[114:115], v[26:27], v[6:7]
	v_fmac_f64_e32 v[114:115], v[28:29], v[2:3]
	v_add_f64 v[114:115], v[114:115], 0
	v_mul_f64 v[6:7], v[28:29], v[6:7]
	s_waitcnt vmcnt(52) lgkmcnt(7)
	v_mul_f64 v[116:117], v[86:87], v[8:9]
	v_fmac_f64_e32 v[116:117], v[88:89], v[4:5]
	s_waitcnt vmcnt(50) lgkmcnt(6)
	v_mul_f64 v[118:119], v[90:91], v[10:11]
	v_add_f64 v[114:115], v[114:115], v[116:117]
	s_waitcnt vmcnt(48) lgkmcnt(4)
	v_mul_f64 v[122:123], v[98:99], v[12:13]
	v_fma_f64 v[2:3], v[26:27], v[2:3], -v[6:7]
	s_waitcnt vmcnt(46)
	v_fmac_f64_e32 v[122:123], v[100:101], v[14:15]
	v_mul_f64 v[6:7], v[88:89], v[8:9]
	s_waitcnt vmcnt(44)
	v_mul_f64 v[120:121], v[94:95], v[16:17]
	v_add_f64 v[2:3], v[2:3], 0
	v_fma_f64 v[4:5], v[86:87], v[4:5], -v[6:7]
	v_add_f64 v[2:3], v[2:3], v[4:5]
	s_waitcnt vmcnt(40) lgkmcnt(3)
	v_mul_f64 v[124:125], v[102:103], v[22:23]
	v_mul_f64 v[4:5], v[92:93], v[10:11]
	s_waitcnt vmcnt(38)
	v_fmac_f64_e32 v[118:119], v[92:93], v[34:35]
	v_add_f64 v[114:115], v[114:115], v[118:119]
	s_waitcnt vmcnt(36)
	v_fmac_f64_e32 v[120:121], v[96:97], v[36:37]
	v_add_f64 v[114:115], v[114:115], v[120:121]
	;; [unrolled: 3-line block ×3, first 2 shown]
	s_waitcnt vmcnt(32) lgkmcnt(2)
	v_mul_f64 v[116:117], v[106:107], v[18:19]
	v_add_f64 v[114:115], v[114:115], v[124:125]
	v_fmac_f64_e32 v[116:117], v[108:109], v[20:21]
	v_add_f64 v[118:119], v[114:115], v[116:117]
	ds_read_b128 v[114:117], v24 offset:800
	v_fma_f64 v[4:5], v[90:91], v[34:35], -v[4:5]
	v_add_f64 v[2:3], v[2:3], v[4:5]
	v_mul_f64 v[4:5], v[96:97], v[16:17]
	v_fma_f64 v[4:5], v[94:95], v[36:37], -v[4:5]
	s_waitcnt vmcnt(28) lgkmcnt(2)
	v_mul_f64 v[120:121], v[110:111], v[140:141]
	v_add_f64 v[2:3], v[2:3], v[4:5]
	v_mul_f64 v[4:5], v[100:101], v[12:13]
	s_waitcnt vmcnt(26)
	v_fmac_f64_e32 v[120:121], v[112:113], v[142:143]
	v_fma_f64 v[4:5], v[98:99], v[14:15], -v[4:5]
	v_add_f64 v[122:123], v[118:119], v[120:121]
	ds_read_b128 v[118:121], v24 offset:816
	s_waitcnt vmcnt(24) lgkmcnt(1)
	v_mul_f64 v[124:125], v[114:115], v[40:41]
	v_add_f64 v[2:3], v[2:3], v[4:5]
	v_mul_f64 v[4:5], v[104:105], v[22:23]
	v_fmac_f64_e32 v[124:125], v[116:117], v[138:139]
	v_fma_f64 v[4:5], v[102:103], v[38:39], -v[4:5]
	v_add_f64 v[126:127], v[122:123], v[124:125]
	ds_read_b128 v[122:125], v24 offset:832
	v_add_f64 v[2:3], v[2:3], v[4:5]
	v_mul_f64 v[4:5], v[108:109], v[18:19]
	v_fma_f64 v[4:5], v[106:107], v[20:21], -v[4:5]
	v_add_f64 v[2:3], v[2:3], v[4:5]
	v_mul_f64 v[4:5], v[112:113], v[140:141]
	s_waitcnt vmcnt(20) lgkmcnt(1)
	v_mul_f64 v[128:129], v[118:119], v[148:149]
	v_fma_f64 v[4:5], v[110:111], v[142:143], -v[4:5]
	s_waitcnt vmcnt(18)
	v_fmac_f64_e32 v[128:129], v[120:121], v[150:151]
	v_add_f64 v[2:3], v[2:3], v[4:5]
	v_mul_f64 v[4:5], v[116:117], v[40:41]
	v_add_f64 v[130:131], v[126:127], v[128:129]
	ds_read_b128 v[126:129], v24 offset:848
	s_waitcnt vmcnt(16) lgkmcnt(1)
	v_mul_f64 v[132:133], v[122:123], v[144:145]
	v_fma_f64 v[4:5], v[114:115], v[138:139], -v[4:5]
	v_fmac_f64_e32 v[132:133], v[124:125], v[146:147]
	v_add_f64 v[2:3], v[2:3], v[4:5]
	v_mul_f64 v[4:5], v[120:121], v[148:149]
	v_add_f64 v[168:169], v[130:131], v[132:133]
	ds_read_b128 v[130:133], v24 offset:864
	v_fma_f64 v[4:5], v[118:119], v[150:151], -v[4:5]
	v_add_f64 v[2:3], v[2:3], v[4:5]
	v_mul_f64 v[4:5], v[124:125], v[144:145]
	v_fma_f64 v[4:5], v[122:123], v[146:147], -v[4:5]
	v_add_f64 v[2:3], v[2:3], v[4:5]
	s_waitcnt vmcnt(12) lgkmcnt(1)
	v_mul_f64 v[4:5], v[128:129], v[156:157]
	v_mul_f64 v[172:173], v[126:127], v[156:157]
	s_waitcnt vmcnt(10)
	v_fma_f64 v[4:5], v[126:127], v[158:159], -v[4:5]
	v_fmac_f64_e32 v[172:173], v[128:129], v[158:159]
	v_add_f64 v[2:3], v[2:3], v[4:5]
	s_waitcnt vmcnt(8) lgkmcnt(0)
	v_mul_f64 v[4:5], v[132:133], v[152:153]
	v_add_f64 v[24:25], v[168:169], v[172:173]
	v_mul_f64 v[168:169], v[130:131], v[152:153]
	v_fma_f64 v[4:5], v[130:131], v[154:155], -v[4:5]
	v_fmac_f64_e32 v[168:169], v[132:133], v[154:155]
	v_add_f64 v[2:3], v[2:3], v[4:5]
	s_waitcnt vmcnt(6)
	v_mul_f64 v[4:5], v[136:137], v[160:161]
	v_add_f64 v[24:25], v[24:25], v[168:169]
	v_mul_f64 v[168:169], v[134:135], v[160:161]
	s_waitcnt vmcnt(4)
	v_fma_f64 v[4:5], v[134:135], v[162:163], -v[4:5]
	v_fmac_f64_e32 v[168:169], v[136:137], v[162:163]
	v_add_f64 v[2:3], v[2:3], v[4:5]
	v_add_f64 v[24:25], v[24:25], v[168:169]
	s_waitcnt vmcnt(2)
	v_add_f64 v[2:3], v[164:165], -v[2:3]
	s_waitcnt vmcnt(0)
	v_add_f64 v[4:5], v[166:167], -v[24:25]
	buffer_store_dword v3, off, s[0:3], 0 offset:212
	buffer_store_dword v2, off, s[0:3], 0 offset:208
	;; [unrolled: 1-line block ×4, first 2 shown]
	s_and_saveexec_b64 s[6:7], vcc
	s_cbranch_execz .LBB91_157
; %bb.156:
	v_accvgpr_read_b32 v5, a43
	buffer_load_dword v2, v5, s[0:3], 0 offen
	buffer_load_dword v3, v5, s[0:3], 0 offen offset:4
	buffer_load_dword v4, v5, s[0:3], 0 offen offset:8
	s_nop 0
	buffer_load_dword v5, v5, s[0:3], 0 offen offset:12
	v_mov_b32_e32 v6, 0
	buffer_store_dword v6, off, s[0:3], 0 offset:192
	buffer_store_dword v6, off, s[0:3], 0 offset:196
	;; [unrolled: 1-line block ×4, first 2 shown]
	s_waitcnt vmcnt(4)
	ds_write_b128 v207, v[2:5]
.LBB91_157:
	s_or_b64 exec, exec, s[6:7]
	s_waitcnt lgkmcnt(0)
	; wave barrier
	s_waitcnt lgkmcnt(0)
	buffer_load_dword v2, off, s[0:3], 0 offset:208
	buffer_load_dword v3, off, s[0:3], 0 offset:212
	;; [unrolled: 1-line block ×64, first 2 shown]
	v_mov_b32_e32 v94, 0
	ds_read_b128 v[86:89], v94 offset:656
	ds_read_b128 v[90:93], v94 offset:672
	;; [unrolled: 1-line block ×7, first 2 shown]
	v_cmp_lt_u32_e32 vcc, 11, v206
	s_waitcnt vmcnt(60) lgkmcnt(6)
	v_mul_f64 v[112:113], v[86:87], v[6:7]
	v_fmac_f64_e32 v[112:113], v[88:89], v[2:3]
	v_add_f64 v[112:113], v[112:113], 0
	v_mul_f64 v[6:7], v[88:89], v[6:7]
	s_waitcnt vmcnt(56) lgkmcnt(5)
	v_mul_f64 v[114:115], v[90:91], v[8:9]
	v_fmac_f64_e32 v[114:115], v[92:93], v[4:5]
	s_waitcnt vmcnt(54) lgkmcnt(4)
	v_mul_f64 v[116:117], v[96:97], v[10:11]
	v_add_f64 v[112:113], v[112:113], v[114:115]
	v_fma_f64 v[2:3], v[86:87], v[2:3], -v[6:7]
	v_mul_f64 v[6:7], v[92:93], v[8:9]
	s_waitcnt vmcnt(50) lgkmcnt(3)
	v_mul_f64 v[118:119], v[100:101], v[16:17]
	s_waitcnt vmcnt(49) lgkmcnt(2)
	v_mul_f64 v[120:121], v[104:105], v[12:13]
	v_add_f64 v[2:3], v[2:3], 0
	s_waitcnt vmcnt(47)
	v_fmac_f64_e32 v[116:117], v[98:99], v[20:21]
	v_add_f64 v[112:113], v[112:113], v[116:117]
	s_waitcnt vmcnt(45)
	v_fmac_f64_e32 v[118:119], v[102:103], v[18:19]
	;; [unrolled: 3-line block ×3, first 2 shown]
	v_add_f64 v[116:117], v[112:113], v[120:121]
	ds_read_b128 v[112:115], v94 offset:752
	s_waitcnt vmcnt(40) lgkmcnt(2)
	v_mul_f64 v[118:119], v[108:109], v[26:27]
	v_fma_f64 v[4:5], v[90:91], v[4:5], -v[6:7]
	s_waitcnt vmcnt(38)
	v_fmac_f64_e32 v[118:119], v[110:111], v[28:29]
	v_add_f64 v[120:121], v[116:117], v[118:119]
	ds_read_b128 v[116:119], v94 offset:768
	s_waitcnt vmcnt(36) lgkmcnt(1)
	v_mul_f64 v[122:123], v[112:113], v[22:23]
	v_fmac_f64_e32 v[122:123], v[114:115], v[24:25]
	v_add_f64 v[2:3], v[2:3], v[4:5]
	v_mul_f64 v[4:5], v[98:99], v[10:11]
	v_add_f64 v[124:125], v[120:121], v[122:123]
	ds_read_b128 v[120:123], v94 offset:784
	s_waitcnt vmcnt(32) lgkmcnt(1)
	v_mul_f64 v[126:127], v[116:117], v[38:39]
	v_fma_f64 v[4:5], v[96:97], v[20:21], -v[4:5]
	s_waitcnt vmcnt(30)
	v_fmac_f64_e32 v[126:127], v[118:119], v[40:41]
	v_add_f64 v[2:3], v[2:3], v[4:5]
	v_mul_f64 v[4:5], v[102:103], v[16:17]
	v_add_f64 v[128:129], v[124:125], v[126:127]
	ds_read_b128 v[124:127], v94 offset:800
	v_fma_f64 v[4:5], v[100:101], v[18:19], -v[4:5]
	v_add_f64 v[2:3], v[2:3], v[4:5]
	v_mul_f64 v[4:5], v[106:107], v[12:13]
	v_fma_f64 v[4:5], v[104:105], v[14:15], -v[4:5]
	s_waitcnt vmcnt(28) lgkmcnt(1)
	v_mul_f64 v[130:131], v[120:121], v[34:35]
	v_add_f64 v[2:3], v[2:3], v[4:5]
	v_mul_f64 v[4:5], v[110:111], v[26:27]
	v_fmac_f64_e32 v[130:131], v[122:123], v[36:37]
	v_fma_f64 v[4:5], v[108:109], v[28:29], -v[4:5]
	v_add_f64 v[132:133], v[128:129], v[130:131]
	ds_read_b128 v[128:131], v94 offset:816
	s_waitcnt vmcnt(24) lgkmcnt(1)
	v_mul_f64 v[134:135], v[124:125], v[152:153]
	v_add_f64 v[2:3], v[2:3], v[4:5]
	v_mul_f64 v[4:5], v[114:115], v[22:23]
	s_waitcnt vmcnt(22)
	v_fmac_f64_e32 v[134:135], v[126:127], v[154:155]
	v_fma_f64 v[4:5], v[112:113], v[24:25], -v[4:5]
	v_add_f64 v[136:137], v[132:133], v[134:135]
	ds_read_b128 v[132:135], v94 offset:832
	v_add_f64 v[2:3], v[2:3], v[4:5]
	v_mul_f64 v[4:5], v[118:119], v[38:39]
	v_fma_f64 v[4:5], v[116:117], v[40:41], -v[4:5]
	v_add_f64 v[2:3], v[2:3], v[4:5]
	v_mul_f64 v[4:5], v[122:123], v[34:35]
	s_waitcnt vmcnt(20) lgkmcnt(1)
	v_mul_f64 v[138:139], v[128:129], v[148:149]
	v_fma_f64 v[4:5], v[120:121], v[36:37], -v[4:5]
	v_fmac_f64_e32 v[138:139], v[130:131], v[150:151]
	v_add_f64 v[2:3], v[2:3], v[4:5]
	v_mul_f64 v[4:5], v[126:127], v[152:153]
	v_add_f64 v[140:141], v[136:137], v[138:139]
	ds_read_b128 v[136:139], v94 offset:848
	s_waitcnt vmcnt(16) lgkmcnt(1)
	v_mul_f64 v[142:143], v[132:133], v[160:161]
	v_fma_f64 v[4:5], v[124:125], v[154:155], -v[4:5]
	s_waitcnt vmcnt(14)
	v_fmac_f64_e32 v[142:143], v[134:135], v[162:163]
	v_add_f64 v[2:3], v[2:3], v[4:5]
	v_mul_f64 v[4:5], v[130:131], v[148:149]
	v_add_f64 v[178:179], v[140:141], v[142:143]
	ds_read_b128 v[140:143], v94 offset:864
	v_fma_f64 v[4:5], v[128:129], v[150:151], -v[4:5]
	v_add_f64 v[2:3], v[2:3], v[4:5]
	v_mul_f64 v[4:5], v[134:135], v[160:161]
	v_fma_f64 v[4:5], v[132:133], v[162:163], -v[4:5]
	v_add_f64 v[2:3], v[2:3], v[4:5]
	s_waitcnt vmcnt(12) lgkmcnt(1)
	v_mul_f64 v[4:5], v[138:139], v[156:157]
	v_mul_f64 v[180:181], v[136:137], v[156:157]
	v_fma_f64 v[4:5], v[136:137], v[158:159], -v[4:5]
	v_fmac_f64_e32 v[180:181], v[138:139], v[158:159]
	v_add_f64 v[2:3], v[2:3], v[4:5]
	s_waitcnt vmcnt(8) lgkmcnt(0)
	v_mul_f64 v[4:5], v[142:143], v[168:169]
	v_add_f64 v[178:179], v[178:179], v[180:181]
	v_mul_f64 v[180:181], v[140:141], v[168:169]
	s_waitcnt vmcnt(6)
	v_fma_f64 v[4:5], v[140:141], v[172:173], -v[4:5]
	v_fmac_f64_e32 v[180:181], v[142:143], v[172:173]
	v_add_f64 v[2:3], v[2:3], v[4:5]
	s_waitcnt vmcnt(5)
	v_mul_f64 v[4:5], v[146:147], v[164:165]
	v_add_f64 v[178:179], v[178:179], v[180:181]
	v_mul_f64 v[180:181], v[144:145], v[164:165]
	s_waitcnt vmcnt(4)
	v_fma_f64 v[4:5], v[144:145], v[166:167], -v[4:5]
	v_fmac_f64_e32 v[180:181], v[146:147], v[166:167]
	v_add_f64 v[2:3], v[2:3], v[4:5]
	v_add_f64 v[178:179], v[178:179], v[180:181]
	s_waitcnt vmcnt(2)
	v_add_f64 v[2:3], v[174:175], -v[2:3]
	s_waitcnt vmcnt(0)
	v_add_f64 v[4:5], v[176:177], -v[178:179]
	buffer_store_dword v3, off, s[0:3], 0 offset:196
	buffer_store_dword v2, off, s[0:3], 0 offset:192
	;; [unrolled: 1-line block ×4, first 2 shown]
	s_and_saveexec_b64 s[6:7], vcc
	s_cbranch_execz .LBB91_159
; %bb.158:
	v_accvgpr_read_b32 v5, a44
	buffer_load_dword v2, v5, s[0:3], 0 offen
	buffer_load_dword v3, v5, s[0:3], 0 offen offset:4
	buffer_load_dword v4, v5, s[0:3], 0 offen offset:8
	s_nop 0
	buffer_load_dword v5, v5, s[0:3], 0 offen offset:12
	s_nop 0
	buffer_store_dword v94, off, s[0:3], 0 offset:176
	buffer_store_dword v94, off, s[0:3], 0 offset:180
	;; [unrolled: 1-line block ×4, first 2 shown]
	s_waitcnt vmcnt(4)
	ds_write_b128 v207, v[2:5]
.LBB91_159:
	s_or_b64 exec, exec, s[6:7]
	s_waitcnt lgkmcnt(0)
	; wave barrier
	s_waitcnt lgkmcnt(0)
	buffer_load_dword v2, off, s[0:3], 0 offset:192
	buffer_load_dword v3, off, s[0:3], 0 offset:196
	;; [unrolled: 1-line block ×64, first 2 shown]
	ds_read_b128 v[96:99], v94 offset:640
	ds_read_b128 v[100:103], v94 offset:656
	;; [unrolled: 1-line block ×4, first 2 shown]
	buffer_load_dword v182, off, s[0:3], 0 offset:176
	buffer_load_dword v183, off, s[0:3], 0 offset:180
	;; [unrolled: 1-line block ×4, first 2 shown]
	v_cmp_lt_u32_e32 vcc, 10, v206
	ds_read_b128 v[156:159], v94 offset:880
	s_waitcnt vmcnt(62) lgkmcnt(4)
	v_mul_f64 v[112:113], v[96:97], v[4:5]
	v_fmac_f64_e32 v[112:113], v[98:99], v[2:3]
	s_waitcnt lgkmcnt(3)
	v_mul_f64 v[114:115], v[100:101], v[6:7]
	v_add_f64 v[112:113], v[112:113], 0
	s_waitcnt vmcnt(60) lgkmcnt(2)
	v_mul_f64 v[116:117], v[104:105], v[8:9]
	v_mul_f64 v[4:5], v[98:99], v[4:5]
	v_fma_f64 v[2:3], v[96:97], v[2:3], -v[4:5]
	v_mul_f64 v[4:5], v[102:103], v[6:7]
	s_waitcnt vmcnt(56) lgkmcnt(1)
	v_mul_f64 v[118:119], v[108:109], v[14:15]
	v_add_f64 v[2:3], v[2:3], 0
	s_waitcnt vmcnt(54)
	v_fmac_f64_e32 v[114:115], v[102:103], v[20:21]
	v_add_f64 v[120:121], v[112:113], v[114:115]
	ds_read_b128 v[112:115], v94 offset:704
	s_waitcnt vmcnt(52)
	v_fmac_f64_e32 v[116:117], v[106:107], v[18:19]
	v_add_f64 v[116:117], v[120:121], v[116:117]
	s_waitcnt vmcnt(50)
	v_fmac_f64_e32 v[118:119], v[110:111], v[16:17]
	v_add_f64 v[120:121], v[116:117], v[118:119]
	ds_read_b128 v[116:119], v94 offset:720
	s_waitcnt vmcnt(48) lgkmcnt(1)
	v_mul_f64 v[122:123], v[112:113], v[10:11]
	v_fmac_f64_e32 v[122:123], v[114:115], v[12:13]
	v_add_f64 v[124:125], v[120:121], v[122:123]
	ds_read_b128 v[120:123], v94 offset:736
	s_waitcnt vmcnt(44) lgkmcnt(1)
	v_mul_f64 v[126:127], v[116:117], v[26:27]
	s_waitcnt vmcnt(42)
	v_fmac_f64_e32 v[126:127], v[118:119], v[28:29]
	v_add_f64 v[128:129], v[124:125], v[126:127]
	ds_read_b128 v[124:127], v94 offset:752
	s_waitcnt vmcnt(40) lgkmcnt(1)
	v_mul_f64 v[130:131], v[120:121], v[22:23]
	v_fmac_f64_e32 v[130:131], v[122:123], v[24:25]
	v_add_f64 v[132:133], v[128:129], v[130:131]
	ds_read_b128 v[128:131], v94 offset:768
	v_fma_f64 v[4:5], v[100:101], v[20:21], -v[4:5]
	v_add_f64 v[2:3], v[2:3], v[4:5]
	v_mul_f64 v[4:5], v[106:107], v[8:9]
	s_waitcnt vmcnt(36) lgkmcnt(1)
	v_mul_f64 v[134:135], v[124:125], v[90:91]
	v_fma_f64 v[4:5], v[104:105], v[18:19], -v[4:5]
	s_waitcnt vmcnt(34)
	v_fmac_f64_e32 v[134:135], v[126:127], v[92:93]
	v_add_f64 v[2:3], v[2:3], v[4:5]
	v_mul_f64 v[4:5], v[110:111], v[14:15]
	v_add_f64 v[136:137], v[132:133], v[134:135]
	ds_read_b128 v[132:135], v94 offset:784
	s_waitcnt vmcnt(32) lgkmcnt(1)
	v_mul_f64 v[138:139], v[128:129], v[86:87]
	v_fma_f64 v[4:5], v[108:109], v[16:17], -v[4:5]
	v_fmac_f64_e32 v[138:139], v[130:131], v[88:89]
	v_add_f64 v[2:3], v[2:3], v[4:5]
	v_mul_f64 v[4:5], v[114:115], v[10:11]
	v_add_f64 v[140:141], v[136:137], v[138:139]
	ds_read_b128 v[136:139], v94 offset:800
	v_fma_f64 v[4:5], v[112:113], v[12:13], -v[4:5]
	v_add_f64 v[2:3], v[2:3], v[4:5]
	v_mul_f64 v[4:5], v[118:119], v[26:27]
	v_fma_f64 v[4:5], v[116:117], v[28:29], -v[4:5]
	s_waitcnt vmcnt(28) lgkmcnt(1)
	v_mul_f64 v[142:143], v[132:133], v[38:39]
	v_add_f64 v[2:3], v[2:3], v[4:5]
	v_mul_f64 v[4:5], v[122:123], v[22:23]
	s_waitcnt vmcnt(26)
	v_fmac_f64_e32 v[142:143], v[134:135], v[40:41]
	v_fma_f64 v[4:5], v[120:121], v[24:25], -v[4:5]
	v_add_f64 v[144:145], v[140:141], v[142:143]
	ds_read_b128 v[140:143], v94 offset:816
	s_waitcnt vmcnt(24) lgkmcnt(1)
	v_mul_f64 v[146:147], v[136:137], v[34:35]
	v_add_f64 v[2:3], v[2:3], v[4:5]
	v_mul_f64 v[4:5], v[126:127], v[90:91]
	v_fmac_f64_e32 v[146:147], v[138:139], v[36:37]
	v_fma_f64 v[4:5], v[124:125], v[92:93], -v[4:5]
	v_add_f64 v[148:149], v[144:145], v[146:147]
	ds_read_b128 v[144:147], v94 offset:832
	v_add_f64 v[2:3], v[2:3], v[4:5]
	v_mul_f64 v[4:5], v[130:131], v[86:87]
	v_fma_f64 v[4:5], v[128:129], v[88:89], -v[4:5]
	v_add_f64 v[2:3], v[2:3], v[4:5]
	v_mul_f64 v[4:5], v[134:135], v[38:39]
	s_waitcnt vmcnt(20) lgkmcnt(1)
	v_mul_f64 v[150:151], v[140:141], v[164:165]
	v_fma_f64 v[4:5], v[132:133], v[40:41], -v[4:5]
	s_waitcnt vmcnt(18)
	v_fmac_f64_e32 v[150:151], v[142:143], v[166:167]
	v_add_f64 v[2:3], v[2:3], v[4:5]
	v_mul_f64 v[4:5], v[138:139], v[34:35]
	v_add_f64 v[152:153], v[148:149], v[150:151]
	ds_read_b128 v[148:151], v94 offset:848
	s_waitcnt vmcnt(16) lgkmcnt(1)
	v_mul_f64 v[154:155], v[144:145], v[160:161]
	v_fma_f64 v[4:5], v[136:137], v[36:37], -v[4:5]
	v_fmac_f64_e32 v[154:155], v[146:147], v[162:163]
	v_add_f64 v[2:3], v[2:3], v[4:5]
	v_mul_f64 v[4:5], v[142:143], v[164:165]
	v_add_f64 v[186:187], v[152:153], v[154:155]
	ds_read_b128 v[152:155], v94 offset:864
	v_fma_f64 v[4:5], v[140:141], v[166:167], -v[4:5]
	v_add_f64 v[2:3], v[2:3], v[4:5]
	v_mul_f64 v[4:5], v[146:147], v[160:161]
	v_fma_f64 v[4:5], v[144:145], v[162:163], -v[4:5]
	v_add_f64 v[2:3], v[2:3], v[4:5]
	s_waitcnt vmcnt(12) lgkmcnt(1)
	v_mul_f64 v[4:5], v[150:151], v[174:175]
	v_mul_f64 v[188:189], v[148:149], v[174:175]
	s_waitcnt vmcnt(10)
	v_fma_f64 v[4:5], v[148:149], v[176:177], -v[4:5]
	v_fmac_f64_e32 v[188:189], v[150:151], v[176:177]
	v_add_f64 v[2:3], v[2:3], v[4:5]
	s_waitcnt vmcnt(8) lgkmcnt(0)
	v_mul_f64 v[4:5], v[154:155], v[168:169]
	v_add_f64 v[94:95], v[186:187], v[188:189]
	v_mul_f64 v[186:187], v[152:153], v[168:169]
	v_fma_f64 v[4:5], v[152:153], v[172:173], -v[4:5]
	v_fmac_f64_e32 v[186:187], v[154:155], v[172:173]
	v_add_f64 v[2:3], v[2:3], v[4:5]
	s_waitcnt vmcnt(6)
	v_mul_f64 v[4:5], v[158:159], v[178:179]
	v_add_f64 v[94:95], v[94:95], v[186:187]
	v_mul_f64 v[186:187], v[156:157], v[178:179]
	s_waitcnt vmcnt(4)
	v_fma_f64 v[4:5], v[156:157], v[180:181], -v[4:5]
	v_fmac_f64_e32 v[186:187], v[158:159], v[180:181]
	v_add_f64 v[2:3], v[2:3], v[4:5]
	v_add_f64 v[94:95], v[94:95], v[186:187]
	s_waitcnt vmcnt(2)
	v_add_f64 v[2:3], v[182:183], -v[2:3]
	s_waitcnt vmcnt(0)
	v_add_f64 v[4:5], v[184:185], -v[94:95]
	buffer_store_dword v3, off, s[0:3], 0 offset:180
	buffer_store_dword v2, off, s[0:3], 0 offset:176
	;; [unrolled: 1-line block ×4, first 2 shown]
	s_and_saveexec_b64 s[6:7], vcc
	s_cbranch_execz .LBB91_161
; %bb.160:
	v_accvgpr_read_b32 v5, a46
	buffer_load_dword v2, v5, s[0:3], 0 offen
	buffer_load_dword v3, v5, s[0:3], 0 offen offset:4
	buffer_load_dword v4, v5, s[0:3], 0 offen offset:8
	s_nop 0
	buffer_load_dword v5, v5, s[0:3], 0 offen offset:12
	v_mov_b32_e32 v6, 0
	buffer_store_dword v6, off, s[0:3], 0 offset:160
	buffer_store_dword v6, off, s[0:3], 0 offset:164
	buffer_store_dword v6, off, s[0:3], 0 offset:168
	buffer_store_dword v6, off, s[0:3], 0 offset:172
	s_waitcnt vmcnt(4)
	ds_write_b128 v207, v[2:5]
.LBB91_161:
	s_or_b64 exec, exec, s[6:7]
	s_waitcnt lgkmcnt(0)
	; wave barrier
	s_waitcnt lgkmcnt(0)
	buffer_load_dword v2, off, s[0:3], 0 offset:176
	buffer_load_dword v3, off, s[0:3], 0 offset:180
	;; [unrolled: 1-line block ×68, first 2 shown]
	v_mov_b32_e32 v102, 0
	ds_read_b128 v[98:101], v102 offset:624
	ds_read_b128 v[104:107], v102 offset:640
	buffer_load_dword v190, off, s[0:3], 0 offset:160
	buffer_load_dword v191, off, s[0:3], 0 offset:164
	;; [unrolled: 1-line block ×4, first 2 shown]
	ds_read_b128 v[108:111], v102 offset:656
	ds_read_b128 v[112:115], v102 offset:672
	;; [unrolled: 1-line block ×3, first 2 shown]
	v_cmp_lt_u32_e32 vcc, 9, v206
	s_waitcnt vmcnt(62) lgkmcnt(4)
	v_mul_f64 v[116:117], v[98:99], v[8:9]
	v_fmac_f64_e32 v[116:117], v[100:101], v[2:3]
	v_add_f64 v[116:117], v[116:117], 0
	v_mul_f64 v[8:9], v[100:101], v[8:9]
	s_waitcnt lgkmcnt(3)
	v_mul_f64 v[118:119], v[104:105], v[10:11]
	v_fmac_f64_e32 v[118:119], v[106:107], v[4:5]
	v_add_f64 v[116:117], v[116:117], v[118:119]
	v_fma_f64 v[2:3], v[98:99], v[2:3], -v[8:9]
	s_waitcnt vmcnt(60) lgkmcnt(2)
	v_mul_f64 v[118:119], v[108:109], v[12:13]
	v_fmac_f64_e32 v[118:119], v[110:111], v[6:7]
	v_add_f64 v[120:121], v[116:117], v[118:119]
	ds_read_b128 v[116:119], v102 offset:688
	s_waitcnt vmcnt(56) lgkmcnt(2)
	v_mul_f64 v[122:123], v[112:113], v[18:19]
	v_mul_f64 v[8:9], v[106:107], v[10:11]
	s_waitcnt vmcnt(54)
	v_fmac_f64_e32 v[122:123], v[114:115], v[20:21]
	v_add_f64 v[124:125], v[120:121], v[122:123]
	ds_read_b128 v[120:123], v102 offset:704
	s_waitcnt vmcnt(52) lgkmcnt(1)
	v_mul_f64 v[126:127], v[116:117], v[14:15]
	v_fmac_f64_e32 v[126:127], v[118:119], v[16:17]
	v_add_f64 v[128:129], v[124:125], v[126:127]
	ds_read_b128 v[124:127], v102 offset:720
	s_waitcnt vmcnt(48) lgkmcnt(1)
	v_mul_f64 v[130:131], v[120:121], v[26:27]
	s_waitcnt vmcnt(46)
	v_fmac_f64_e32 v[130:131], v[122:123], v[28:29]
	v_add_f64 v[132:133], v[128:129], v[130:131]
	ds_read_b128 v[128:131], v102 offset:736
	s_waitcnt vmcnt(44) lgkmcnt(1)
	v_mul_f64 v[134:135], v[124:125], v[22:23]
	v_fmac_f64_e32 v[134:135], v[126:127], v[24:25]
	v_add_f64 v[136:137], v[132:133], v[134:135]
	ds_read_b128 v[132:135], v102 offset:752
	s_waitcnt vmcnt(40) lgkmcnt(1)
	v_mul_f64 v[138:139], v[128:129], v[90:91]
	s_waitcnt vmcnt(38)
	v_fmac_f64_e32 v[138:139], v[130:131], v[92:93]
	v_add_f64 v[2:3], v[2:3], 0
	v_fma_f64 v[4:5], v[104:105], v[4:5], -v[8:9]
	v_add_f64 v[140:141], v[136:137], v[138:139]
	ds_read_b128 v[136:139], v102 offset:768
	v_add_f64 v[2:3], v[2:3], v[4:5]
	v_mul_f64 v[4:5], v[110:111], v[12:13]
	v_fma_f64 v[4:5], v[108:109], v[6:7], -v[4:5]
	v_add_f64 v[2:3], v[2:3], v[4:5]
	v_mul_f64 v[4:5], v[114:115], v[18:19]
	s_waitcnt vmcnt(36) lgkmcnt(1)
	v_mul_f64 v[142:143], v[132:133], v[86:87]
	v_fma_f64 v[4:5], v[112:113], v[20:21], -v[4:5]
	v_fmac_f64_e32 v[142:143], v[134:135], v[88:89]
	v_add_f64 v[2:3], v[2:3], v[4:5]
	v_mul_f64 v[4:5], v[118:119], v[14:15]
	v_add_f64 v[144:145], v[140:141], v[142:143]
	ds_read_b128 v[140:143], v102 offset:784
	s_waitcnt vmcnt(32) lgkmcnt(1)
	v_mul_f64 v[146:147], v[136:137], v[34:35]
	v_fma_f64 v[4:5], v[116:117], v[16:17], -v[4:5]
	s_waitcnt vmcnt(30)
	v_fmac_f64_e32 v[146:147], v[138:139], v[36:37]
	v_add_f64 v[2:3], v[2:3], v[4:5]
	v_mul_f64 v[4:5], v[122:123], v[26:27]
	v_add_f64 v[148:149], v[144:145], v[146:147]
	ds_read_b128 v[144:147], v102 offset:800
	v_fma_f64 v[4:5], v[120:121], v[28:29], -v[4:5]
	v_add_f64 v[2:3], v[2:3], v[4:5]
	v_mul_f64 v[4:5], v[126:127], v[22:23]
	v_fma_f64 v[4:5], v[124:125], v[24:25], -v[4:5]
	s_waitcnt vmcnt(28) lgkmcnt(1)
	v_mul_f64 v[150:151], v[140:141], v[94:95]
	v_add_f64 v[2:3], v[2:3], v[4:5]
	v_mul_f64 v[4:5], v[130:131], v[90:91]
	v_fmac_f64_e32 v[150:151], v[142:143], v[96:97]
	v_fma_f64 v[4:5], v[128:129], v[92:93], -v[4:5]
	v_add_f64 v[152:153], v[148:149], v[150:151]
	ds_read_b128 v[148:151], v102 offset:816
	s_waitcnt vmcnt(24) lgkmcnt(1)
	v_mul_f64 v[154:155], v[144:145], v[168:169]
	v_add_f64 v[2:3], v[2:3], v[4:5]
	v_mul_f64 v[4:5], v[134:135], v[86:87]
	s_waitcnt vmcnt(22)
	v_fmac_f64_e32 v[154:155], v[146:147], v[172:173]
	v_fma_f64 v[4:5], v[132:133], v[88:89], -v[4:5]
	v_add_f64 v[156:157], v[152:153], v[154:155]
	ds_read_b128 v[152:155], v102 offset:832
	v_add_f64 v[2:3], v[2:3], v[4:5]
	v_mul_f64 v[4:5], v[138:139], v[34:35]
	v_fma_f64 v[4:5], v[136:137], v[36:37], -v[4:5]
	v_add_f64 v[2:3], v[2:3], v[4:5]
	v_mul_f64 v[4:5], v[142:143], v[94:95]
	s_waitcnt vmcnt(20) lgkmcnt(1)
	v_mul_f64 v[158:159], v[148:149], v[38:39]
	v_fma_f64 v[4:5], v[140:141], v[96:97], -v[4:5]
	v_fmac_f64_e32 v[158:159], v[150:151], v[40:41]
	v_add_f64 v[2:3], v[2:3], v[4:5]
	v_mul_f64 v[4:5], v[146:147], v[168:169]
	v_add_f64 v[160:161], v[156:157], v[158:159]
	ds_read_b128 v[156:159], v102 offset:848
	s_waitcnt vmcnt(16) lgkmcnt(1)
	v_mul_f64 v[162:163], v[152:153], v[178:179]
	v_fma_f64 v[4:5], v[144:145], v[172:173], -v[4:5]
	s_waitcnt vmcnt(14)
	v_fmac_f64_e32 v[162:163], v[154:155], v[180:181]
	v_add_f64 v[2:3], v[2:3], v[4:5]
	v_mul_f64 v[4:5], v[150:151], v[38:39]
	v_add_f64 v[194:195], v[160:161], v[162:163]
	ds_read_b128 v[160:163], v102 offset:864
	v_fma_f64 v[4:5], v[148:149], v[40:41], -v[4:5]
	v_add_f64 v[2:3], v[2:3], v[4:5]
	v_mul_f64 v[4:5], v[154:155], v[178:179]
	v_fma_f64 v[4:5], v[152:153], v[180:181], -v[4:5]
	v_add_f64 v[2:3], v[2:3], v[4:5]
	s_waitcnt vmcnt(12) lgkmcnt(1)
	v_mul_f64 v[4:5], v[158:159], v[174:175]
	v_mul_f64 v[196:197], v[156:157], v[174:175]
	v_fma_f64 v[4:5], v[156:157], v[176:177], -v[4:5]
	v_fmac_f64_e32 v[196:197], v[158:159], v[176:177]
	v_add_f64 v[2:3], v[2:3], v[4:5]
	s_waitcnt vmcnt(8) lgkmcnt(0)
	v_mul_f64 v[4:5], v[162:163], v[186:187]
	v_add_f64 v[194:195], v[194:195], v[196:197]
	v_mul_f64 v[196:197], v[160:161], v[186:187]
	s_waitcnt vmcnt(6)
	v_fma_f64 v[4:5], v[160:161], v[188:189], -v[4:5]
	v_fmac_f64_e32 v[196:197], v[162:163], v[188:189]
	v_add_f64 v[2:3], v[2:3], v[4:5]
	s_waitcnt vmcnt(5)
	v_mul_f64 v[4:5], v[166:167], v[182:183]
	v_add_f64 v[194:195], v[194:195], v[196:197]
	v_mul_f64 v[196:197], v[164:165], v[182:183]
	s_waitcnt vmcnt(4)
	v_fma_f64 v[4:5], v[164:165], v[184:185], -v[4:5]
	v_fmac_f64_e32 v[196:197], v[166:167], v[184:185]
	v_add_f64 v[2:3], v[2:3], v[4:5]
	v_add_f64 v[194:195], v[194:195], v[196:197]
	s_waitcnt vmcnt(2)
	v_add_f64 v[2:3], v[190:191], -v[2:3]
	s_waitcnt vmcnt(0)
	v_add_f64 v[4:5], v[192:193], -v[194:195]
	buffer_store_dword v3, off, s[0:3], 0 offset:164
	buffer_store_dword v2, off, s[0:3], 0 offset:160
	;; [unrolled: 1-line block ×4, first 2 shown]
	s_and_saveexec_b64 s[6:7], vcc
	s_cbranch_execz .LBB91_163
; %bb.162:
	v_accvgpr_read_b32 v5, a48
	buffer_load_dword v2, v5, s[0:3], 0 offen
	buffer_load_dword v3, v5, s[0:3], 0 offen offset:4
	buffer_load_dword v4, v5, s[0:3], 0 offen offset:8
	s_nop 0
	buffer_load_dword v5, v5, s[0:3], 0 offen offset:12
	s_nop 0
	buffer_store_dword v102, off, s[0:3], 0 offset:144
	buffer_store_dword v102, off, s[0:3], 0 offset:148
	;; [unrolled: 1-line block ×4, first 2 shown]
	s_waitcnt vmcnt(4)
	ds_write_b128 v207, v[2:5]
.LBB91_163:
	s_or_b64 exec, exec, s[6:7]
	s_waitcnt lgkmcnt(0)
	; wave barrier
	s_waitcnt lgkmcnt(0)
	buffer_load_dword v2, off, s[0:3], 0 offset:160
	buffer_load_dword v3, off, s[0:3], 0 offset:164
	;; [unrolled: 1-line block ×72, first 2 shown]
	ds_read_b128 v[104:107], v102 offset:608
	buffer_load_dword v198, off, s[0:3], 0 offset:144
	buffer_load_dword v199, off, s[0:3], 0 offset:148
	;; [unrolled: 1-line block ×4, first 2 shown]
	ds_read_b128 v[108:111], v102 offset:624
	ds_read_b128 v[112:115], v102 offset:640
	;; [unrolled: 1-line block ×3, first 2 shown]
	v_cmp_lt_u32_e32 vcc, 8, v206
	ds_read_b128 v[176:179], v102 offset:880
	s_waitcnt vmcnt(62) lgkmcnt(4)
	v_mul_f64 v[120:121], v[104:105], v[8:9]
	v_fmac_f64_e32 v[120:121], v[106:107], v[2:3]
	v_add_f64 v[120:121], v[120:121], 0
	v_mul_f64 v[8:9], v[106:107], v[8:9]
	s_waitcnt lgkmcnt(3)
	v_mul_f64 v[122:123], v[108:109], v[10:11]
	v_fmac_f64_e32 v[122:123], v[110:111], v[4:5]
	v_add_f64 v[120:121], v[120:121], v[122:123]
	v_fma_f64 v[2:3], v[104:105], v[2:3], -v[8:9]
	s_waitcnt lgkmcnt(2)
	v_mul_f64 v[122:123], v[112:113], v[12:13]
	v_fmac_f64_e32 v[122:123], v[114:115], v[6:7]
	v_add_f64 v[124:125], v[120:121], v[122:123]
	ds_read_b128 v[120:123], v102 offset:672
	s_waitcnt vmcnt(60) lgkmcnt(2)
	v_mul_f64 v[126:127], v[116:117], v[18:19]
	v_mul_f64 v[8:9], v[110:111], v[10:11]
	s_waitcnt vmcnt(58)
	v_fmac_f64_e32 v[126:127], v[118:119], v[20:21]
	v_add_f64 v[128:129], v[124:125], v[126:127]
	ds_read_b128 v[124:127], v102 offset:688
	s_waitcnt vmcnt(56) lgkmcnt(1)
	v_mul_f64 v[130:131], v[120:121], v[14:15]
	v_fmac_f64_e32 v[130:131], v[122:123], v[16:17]
	v_add_f64 v[132:133], v[128:129], v[130:131]
	ds_read_b128 v[128:131], v102 offset:704
	s_waitcnt vmcnt(52) lgkmcnt(1)
	v_mul_f64 v[134:135], v[124:125], v[26:27]
	s_waitcnt vmcnt(50)
	v_fmac_f64_e32 v[134:135], v[126:127], v[28:29]
	v_add_f64 v[136:137], v[132:133], v[134:135]
	ds_read_b128 v[132:135], v102 offset:720
	s_waitcnt vmcnt(48) lgkmcnt(1)
	v_mul_f64 v[138:139], v[128:129], v[22:23]
	v_fmac_f64_e32 v[138:139], v[130:131], v[24:25]
	v_add_f64 v[140:141], v[136:137], v[138:139]
	ds_read_b128 v[136:139], v102 offset:736
	s_waitcnt vmcnt(44) lgkmcnt(1)
	v_mul_f64 v[142:143], v[132:133], v[90:91]
	s_waitcnt vmcnt(42)
	v_fmac_f64_e32 v[142:143], v[134:135], v[92:93]
	v_add_f64 v[2:3], v[2:3], 0
	v_fma_f64 v[4:5], v[108:109], v[4:5], -v[8:9]
	v_add_f64 v[144:145], v[140:141], v[142:143]
	ds_read_b128 v[140:143], v102 offset:752
	s_waitcnt vmcnt(40) lgkmcnt(1)
	v_mul_f64 v[146:147], v[136:137], v[86:87]
	v_add_f64 v[2:3], v[2:3], v[4:5]
	v_mul_f64 v[4:5], v[114:115], v[12:13]
	v_fmac_f64_e32 v[146:147], v[138:139], v[88:89]
	v_fma_f64 v[4:5], v[112:113], v[6:7], -v[4:5]
	v_add_f64 v[148:149], v[144:145], v[146:147]
	ds_read_b128 v[144:147], v102 offset:768
	v_add_f64 v[2:3], v[2:3], v[4:5]
	v_mul_f64 v[4:5], v[118:119], v[18:19]
	v_fma_f64 v[4:5], v[116:117], v[20:21], -v[4:5]
	v_add_f64 v[2:3], v[2:3], v[4:5]
	v_mul_f64 v[4:5], v[122:123], v[14:15]
	s_waitcnt vmcnt(36) lgkmcnt(1)
	v_mul_f64 v[150:151], v[140:141], v[98:99]
	v_fma_f64 v[4:5], v[120:121], v[16:17], -v[4:5]
	s_waitcnt vmcnt(34)
	v_fmac_f64_e32 v[150:151], v[142:143], v[100:101]
	v_add_f64 v[2:3], v[2:3], v[4:5]
	v_mul_f64 v[4:5], v[126:127], v[26:27]
	v_add_f64 v[152:153], v[148:149], v[150:151]
	ds_read_b128 v[148:151], v102 offset:784
	s_waitcnt vmcnt(32) lgkmcnt(1)
	v_mul_f64 v[154:155], v[144:145], v[94:95]
	v_fma_f64 v[4:5], v[124:125], v[28:29], -v[4:5]
	v_fmac_f64_e32 v[154:155], v[146:147], v[96:97]
	v_add_f64 v[2:3], v[2:3], v[4:5]
	v_mul_f64 v[4:5], v[130:131], v[22:23]
	v_add_f64 v[156:157], v[152:153], v[154:155]
	ds_read_b128 v[152:155], v102 offset:800
	v_fma_f64 v[4:5], v[128:129], v[24:25], -v[4:5]
	v_add_f64 v[2:3], v[2:3], v[4:5]
	v_mul_f64 v[4:5], v[134:135], v[90:91]
	v_fma_f64 v[4:5], v[132:133], v[92:93], -v[4:5]
	s_waitcnt vmcnt(28) lgkmcnt(1)
	v_mul_f64 v[158:159], v[148:149], v[38:39]
	v_add_f64 v[2:3], v[2:3], v[4:5]
	v_mul_f64 v[4:5], v[138:139], v[86:87]
	s_waitcnt vmcnt(26)
	v_fmac_f64_e32 v[158:159], v[150:151], v[40:41]
	v_fma_f64 v[4:5], v[136:137], v[88:89], -v[4:5]
	v_add_f64 v[160:161], v[156:157], v[158:159]
	ds_read_b128 v[156:159], v102 offset:816
	s_waitcnt vmcnt(24) lgkmcnt(1)
	v_mul_f64 v[162:163], v[152:153], v[34:35]
	v_add_f64 v[2:3], v[2:3], v[4:5]
	v_mul_f64 v[4:5], v[142:143], v[98:99]
	v_fmac_f64_e32 v[162:163], v[154:155], v[36:37]
	v_fma_f64 v[4:5], v[140:141], v[100:101], -v[4:5]
	v_add_f64 v[164:165], v[160:161], v[162:163]
	ds_read_b128 v[160:163], v102 offset:832
	v_add_f64 v[2:3], v[2:3], v[4:5]
	v_mul_f64 v[4:5], v[146:147], v[94:95]
	v_fma_f64 v[4:5], v[144:145], v[96:97], -v[4:5]
	v_add_f64 v[2:3], v[2:3], v[4:5]
	v_mul_f64 v[4:5], v[150:151], v[38:39]
	s_waitcnt vmcnt(20) lgkmcnt(1)
	v_mul_f64 v[166:167], v[156:157], v[182:183]
	v_fma_f64 v[4:5], v[148:149], v[40:41], -v[4:5]
	s_waitcnt vmcnt(18)
	v_fmac_f64_e32 v[166:167], v[158:159], v[184:185]
	v_add_f64 v[2:3], v[2:3], v[4:5]
	v_mul_f64 v[4:5], v[154:155], v[34:35]
	v_add_f64 v[172:173], v[164:165], v[166:167]
	ds_read_b128 v[164:167], v102 offset:848
	s_waitcnt vmcnt(16) lgkmcnt(1)
	v_mul_f64 v[174:175], v[160:161], v[168:169]
	v_fma_f64 v[4:5], v[152:153], v[36:37], -v[4:5]
	v_fmac_f64_e32 v[174:175], v[162:163], v[180:181]
	v_add_f64 v[2:3], v[2:3], v[4:5]
	v_mul_f64 v[4:5], v[158:159], v[182:183]
	v_add_f64 v[202:203], v[172:173], v[174:175]
	ds_read_b128 v[172:175], v102 offset:864
	v_fma_f64 v[4:5], v[156:157], v[184:185], -v[4:5]
	v_add_f64 v[2:3], v[2:3], v[4:5]
	v_mul_f64 v[4:5], v[162:163], v[168:169]
	v_fma_f64 v[4:5], v[160:161], v[180:181], -v[4:5]
	v_add_f64 v[2:3], v[2:3], v[4:5]
	s_waitcnt vmcnt(12) lgkmcnt(1)
	v_mul_f64 v[4:5], v[166:167], v[190:191]
	v_mul_f64 v[208:209], v[164:165], v[190:191]
	s_waitcnt vmcnt(10)
	v_fma_f64 v[4:5], v[164:165], v[192:193], -v[4:5]
	v_fmac_f64_e32 v[208:209], v[166:167], v[192:193]
	v_add_f64 v[2:3], v[2:3], v[4:5]
	s_waitcnt vmcnt(8) lgkmcnt(0)
	v_mul_f64 v[4:5], v[174:175], v[186:187]
	v_add_f64 v[102:103], v[202:203], v[208:209]
	v_mul_f64 v[202:203], v[172:173], v[186:187]
	v_fma_f64 v[4:5], v[172:173], v[188:189], -v[4:5]
	v_fmac_f64_e32 v[202:203], v[174:175], v[188:189]
	v_add_f64 v[2:3], v[2:3], v[4:5]
	s_waitcnt vmcnt(6)
	v_mul_f64 v[4:5], v[178:179], v[194:195]
	v_add_f64 v[102:103], v[102:103], v[202:203]
	v_mul_f64 v[202:203], v[176:177], v[194:195]
	s_waitcnt vmcnt(4)
	v_fma_f64 v[4:5], v[176:177], v[196:197], -v[4:5]
	v_fmac_f64_e32 v[202:203], v[178:179], v[196:197]
	v_add_f64 v[2:3], v[2:3], v[4:5]
	v_add_f64 v[102:103], v[102:103], v[202:203]
	s_waitcnt vmcnt(2)
	v_add_f64 v[2:3], v[198:199], -v[2:3]
	s_waitcnt vmcnt(0)
	v_add_f64 v[4:5], v[200:201], -v[102:103]
	buffer_store_dword v3, off, s[0:3], 0 offset:148
	buffer_store_dword v2, off, s[0:3], 0 offset:144
	buffer_store_dword v5, off, s[0:3], 0 offset:156
	buffer_store_dword v4, off, s[0:3], 0 offset:152
	s_and_saveexec_b64 s[6:7], vcc
	s_cbranch_execz .LBB91_165
; %bb.164:
	v_accvgpr_read_b32 v5, a45
	buffer_load_dword v2, v5, s[0:3], 0 offen
	buffer_load_dword v3, v5, s[0:3], 0 offen offset:4
	buffer_load_dword v4, v5, s[0:3], 0 offen offset:8
	s_nop 0
	buffer_load_dword v5, v5, s[0:3], 0 offen offset:12
	v_mov_b32_e32 v6, 0
	buffer_store_dword v6, off, s[0:3], 0 offset:128
	buffer_store_dword v6, off, s[0:3], 0 offset:132
	;; [unrolled: 1-line block ×4, first 2 shown]
	s_waitcnt vmcnt(4)
	ds_write_b128 v207, v[2:5]
.LBB91_165:
	s_or_b64 exec, exec, s[6:7]
	s_waitcnt lgkmcnt(0)
	; wave barrier
	s_waitcnt lgkmcnt(0)
	buffer_load_dword v2, off, s[0:3], 0 offset:144
	buffer_load_dword v3, off, s[0:3], 0 offset:148
	;; [unrolled: 1-line block ×76, first 2 shown]
	v_mov_b32_e32 v110, 0
	ds_read_b128 v[112:115], v110 offset:592
	buffer_load_dword v194, off, s[0:3], 0 offset:128
	buffer_load_dword v195, off, s[0:3], 0 offset:132
	;; [unrolled: 1-line block ×4, first 2 shown]
	ds_read_b128 v[116:119], v110 offset:608
	ds_read_b128 v[120:123], v110 offset:624
	;; [unrolled: 1-line block ×6, first 2 shown]
	s_waitcnt vmcnt(62) lgkmcnt(6)
	v_mul_f64 v[128:129], v[112:113], v[8:9]
	v_fmac_f64_e32 v[128:129], v[114:115], v[2:3]
	v_add_f64 v[128:129], v[128:129], 0
	v_mul_f64 v[8:9], v[114:115], v[8:9]
	s_waitcnt lgkmcnt(5)
	v_mul_f64 v[130:131], v[116:117], v[10:11]
	v_fmac_f64_e32 v[130:131], v[118:119], v[4:5]
	v_add_f64 v[128:129], v[128:129], v[130:131]
	v_fma_f64 v[2:3], v[112:113], v[2:3], -v[8:9]
	s_waitcnt lgkmcnt(4)
	v_mul_f64 v[130:131], v[120:121], v[12:13]
	v_fmac_f64_e32 v[130:131], v[122:123], v[6:7]
	v_add_f64 v[132:133], v[128:129], v[130:131]
	ds_read_b128 v[128:131], v110 offset:656
	s_waitcnt lgkmcnt(4)
	v_mul_f64 v[134:135], v[124:125], v[18:19]
	v_mul_f64 v[8:9], v[118:119], v[10:11]
	v_fmac_f64_e32 v[134:135], v[126:127], v[20:21]
	v_add_f64 v[136:137], v[132:133], v[134:135]
	ds_read_b128 v[132:135], v110 offset:672
	s_waitcnt vmcnt(60) lgkmcnt(1)
	v_mul_f64 v[138:139], v[128:129], v[14:15]
	v_fmac_f64_e32 v[138:139], v[130:131], v[16:17]
	v_add_f64 v[140:141], v[136:137], v[138:139]
	ds_read_b128 v[136:139], v110 offset:688
	s_waitcnt vmcnt(56) lgkmcnt(1)
	v_mul_f64 v[142:143], v[132:133], v[26:27]
	s_waitcnt vmcnt(54)
	v_fmac_f64_e32 v[142:143], v[134:135], v[28:29]
	v_add_f64 v[144:145], v[140:141], v[142:143]
	ds_read_b128 v[140:143], v110 offset:704
	s_waitcnt vmcnt(52) lgkmcnt(1)
	v_mul_f64 v[146:147], v[136:137], v[22:23]
	v_fmac_f64_e32 v[146:147], v[138:139], v[24:25]
	v_add_f64 v[148:149], v[144:145], v[146:147]
	ds_read_b128 v[144:147], v110 offset:720
	s_waitcnt vmcnt(48) lgkmcnt(1)
	v_mul_f64 v[150:151], v[140:141], v[90:91]
	s_waitcnt vmcnt(46)
	v_fmac_f64_e32 v[150:151], v[142:143], v[92:93]
	v_add_f64 v[2:3], v[2:3], 0
	v_fma_f64 v[4:5], v[116:117], v[4:5], -v[8:9]
	v_add_f64 v[152:153], v[148:149], v[150:151]
	ds_read_b128 v[148:151], v110 offset:736
	v_add_f64 v[2:3], v[2:3], v[4:5]
	v_mul_f64 v[4:5], v[122:123], v[12:13]
	v_fma_f64 v[4:5], v[120:121], v[6:7], -v[4:5]
	v_add_f64 v[2:3], v[2:3], v[4:5]
	v_mul_f64 v[4:5], v[126:127], v[18:19]
	s_waitcnt vmcnt(44) lgkmcnt(1)
	v_mul_f64 v[154:155], v[144:145], v[86:87]
	v_fma_f64 v[4:5], v[124:125], v[20:21], -v[4:5]
	v_fmac_f64_e32 v[154:155], v[146:147], v[88:89]
	v_add_f64 v[2:3], v[2:3], v[4:5]
	v_mul_f64 v[4:5], v[130:131], v[14:15]
	v_add_f64 v[156:157], v[152:153], v[154:155]
	ds_read_b128 v[152:155], v110 offset:752
	s_waitcnt vmcnt(40) lgkmcnt(1)
	v_mul_f64 v[158:159], v[148:149], v[98:99]
	v_fma_f64 v[4:5], v[128:129], v[16:17], -v[4:5]
	s_waitcnt vmcnt(38)
	v_fmac_f64_e32 v[158:159], v[150:151], v[100:101]
	v_add_f64 v[2:3], v[2:3], v[4:5]
	v_mul_f64 v[4:5], v[134:135], v[26:27]
	v_add_f64 v[160:161], v[156:157], v[158:159]
	ds_read_b128 v[156:159], v110 offset:768
	v_fma_f64 v[4:5], v[132:133], v[28:29], -v[4:5]
	v_add_f64 v[2:3], v[2:3], v[4:5]
	v_mul_f64 v[4:5], v[138:139], v[22:23]
	v_fma_f64 v[4:5], v[136:137], v[24:25], -v[4:5]
	s_waitcnt vmcnt(36) lgkmcnt(1)
	v_mul_f64 v[162:163], v[152:153], v[94:95]
	v_add_f64 v[2:3], v[2:3], v[4:5]
	v_mul_f64 v[4:5], v[142:143], v[90:91]
	v_fmac_f64_e32 v[162:163], v[154:155], v[96:97]
	v_fma_f64 v[4:5], v[140:141], v[92:93], -v[4:5]
	v_add_f64 v[164:165], v[160:161], v[162:163]
	ds_read_b128 v[160:163], v110 offset:784
	s_waitcnt vmcnt(32) lgkmcnt(1)
	v_mul_f64 v[166:167], v[156:157], v[106:107]
	v_add_f64 v[2:3], v[2:3], v[4:5]
	v_mul_f64 v[4:5], v[146:147], v[86:87]
	s_waitcnt vmcnt(30)
	v_fmac_f64_e32 v[166:167], v[158:159], v[108:109]
	v_fma_f64 v[4:5], v[144:145], v[88:89], -v[4:5]
	v_add_f64 v[172:173], v[164:165], v[166:167]
	ds_read_b128 v[164:167], v110 offset:800
	v_add_f64 v[2:3], v[2:3], v[4:5]
	v_mul_f64 v[4:5], v[150:151], v[98:99]
	v_fma_f64 v[4:5], v[148:149], v[100:101], -v[4:5]
	v_add_f64 v[2:3], v[2:3], v[4:5]
	v_mul_f64 v[4:5], v[154:155], v[94:95]
	s_waitcnt vmcnt(28) lgkmcnt(1)
	v_mul_f64 v[174:175], v[160:161], v[102:103]
	v_fma_f64 v[4:5], v[152:153], v[96:97], -v[4:5]
	v_fmac_f64_e32 v[174:175], v[162:163], v[104:105]
	v_add_f64 v[2:3], v[2:3], v[4:5]
	v_mul_f64 v[4:5], v[158:159], v[106:107]
	v_add_f64 v[176:177], v[172:173], v[174:175]
	ds_read_b128 v[172:175], v110 offset:816
	s_waitcnt vmcnt(24) lgkmcnt(1)
	v_mul_f64 v[178:179], v[164:165], v[38:39]
	v_fma_f64 v[4:5], v[156:157], v[108:109], -v[4:5]
	s_waitcnt vmcnt(22)
	v_fmac_f64_e32 v[178:179], v[166:167], v[40:41]
	v_add_f64 v[2:3], v[2:3], v[4:5]
	v_mul_f64 v[4:5], v[162:163], v[102:103]
	v_add_f64 v[198:199], v[176:177], v[178:179]
	ds_read_b128 v[176:179], v110 offset:832
	v_fma_f64 v[4:5], v[160:161], v[104:105], -v[4:5]
	v_add_f64 v[2:3], v[2:3], v[4:5]
	v_mul_f64 v[4:5], v[166:167], v[38:39]
	v_fma_f64 v[4:5], v[164:165], v[40:41], -v[4:5]
	v_add_f64 v[2:3], v[2:3], v[4:5]
	s_waitcnt vmcnt(20) lgkmcnt(1)
	v_mul_f64 v[4:5], v[174:175], v[34:35]
	v_mul_f64 v[200:201], v[172:173], v[34:35]
	v_fma_f64 v[4:5], v[172:173], v[36:37], -v[4:5]
	v_fmac_f64_e32 v[200:201], v[174:175], v[36:37]
	v_add_f64 v[2:3], v[2:3], v[4:5]
	s_waitcnt vmcnt(16) lgkmcnt(0)
	v_mul_f64 v[4:5], v[178:179], v[182:183]
	v_add_f64 v[198:199], v[198:199], v[200:201]
	v_mul_f64 v[200:201], v[176:177], v[182:183]
	s_waitcnt vmcnt(14)
	v_fma_f64 v[4:5], v[176:177], v[184:185], -v[4:5]
	v_fmac_f64_e32 v[200:201], v[178:179], v[184:185]
	v_add_f64 v[2:3], v[2:3], v[4:5]
	s_waitcnt vmcnt(12)
	v_mul_f64 v[4:5], v[210:211], v[168:169]
	v_add_f64 v[198:199], v[198:199], v[200:201]
	v_mul_f64 v[200:201], v[208:209], v[168:169]
	v_fma_f64 v[4:5], v[208:209], v[180:181], -v[4:5]
	v_fmac_f64_e32 v[200:201], v[210:211], v[180:181]
	v_add_f64 v[2:3], v[2:3], v[4:5]
	s_waitcnt vmcnt(8)
	v_mul_f64 v[4:5], v[214:215], v[190:191]
	v_add_f64 v[198:199], v[198:199], v[200:201]
	v_mul_f64 v[200:201], v[212:213], v[190:191]
	s_waitcnt vmcnt(6)
	v_fma_f64 v[4:5], v[212:213], v[192:193], -v[4:5]
	v_fmac_f64_e32 v[200:201], v[214:215], v[192:193]
	v_add_f64 v[2:3], v[2:3], v[4:5]
	s_waitcnt vmcnt(5)
	v_mul_f64 v[4:5], v[218:219], v[186:187]
	v_add_f64 v[198:199], v[198:199], v[200:201]
	v_mul_f64 v[200:201], v[216:217], v[186:187]
	s_waitcnt vmcnt(4)
	v_fma_f64 v[4:5], v[216:217], v[188:189], -v[4:5]
	v_fmac_f64_e32 v[200:201], v[218:219], v[188:189]
	v_add_f64 v[2:3], v[2:3], v[4:5]
	v_add_f64 v[198:199], v[198:199], v[200:201]
	s_waitcnt vmcnt(2)
	v_add_f64 v[2:3], v[194:195], -v[2:3]
	v_cmp_lt_u32_e32 vcc, 7, v206
	s_waitcnt vmcnt(0)
	v_add_f64 v[4:5], v[196:197], -v[198:199]
	buffer_store_dword v3, off, s[0:3], 0 offset:132
	buffer_store_dword v2, off, s[0:3], 0 offset:128
	;; [unrolled: 1-line block ×4, first 2 shown]
	s_and_saveexec_b64 s[6:7], vcc
	s_cbranch_execz .LBB91_167
; %bb.166:
	v_accvgpr_read_b32 v5, a47
	buffer_load_dword v2, v5, s[0:3], 0 offen
	buffer_load_dword v3, v5, s[0:3], 0 offen offset:4
	buffer_load_dword v4, v5, s[0:3], 0 offen offset:8
	s_nop 0
	buffer_load_dword v5, v5, s[0:3], 0 offen offset:12
	s_nop 0
	buffer_store_dword v110, off, s[0:3], 0 offset:112
	buffer_store_dword v110, off, s[0:3], 0 offset:116
	;; [unrolled: 1-line block ×4, first 2 shown]
	s_waitcnt vmcnt(4)
	ds_write_b128 v207, v[2:5]
.LBB91_167:
	s_or_b64 exec, exec, s[6:7]
	s_waitcnt lgkmcnt(0)
	; wave barrier
	s_waitcnt lgkmcnt(0)
	buffer_load_dword v2, off, s[0:3], 0 offset:128
	buffer_load_dword v3, off, s[0:3], 0 offset:132
	;; [unrolled: 1-line block ×76, first 2 shown]
	ds_read_b128 v[112:115], v110 offset:576
	buffer_load_dword v195, off, s[0:3], 0 offset:444
	buffer_load_dword v194, off, s[0:3], 0 offset:440
	;; [unrolled: 1-line block ×8, first 2 shown]
	ds_read_b128 v[116:119], v110 offset:592
	ds_read_b128 v[120:123], v110 offset:608
	;; [unrolled: 1-line block ×3, first 2 shown]
	v_cmp_lt_u32_e32 vcc, 6, v206
	ds_read_b128 v[220:223], v110 offset:880
	s_waitcnt vmcnt(62) lgkmcnt(4)
	v_mul_f64 v[128:129], v[112:113], v[8:9]
	v_fmac_f64_e32 v[128:129], v[114:115], v[2:3]
	v_add_f64 v[128:129], v[128:129], 0
	v_mul_f64 v[8:9], v[114:115], v[8:9]
	s_waitcnt lgkmcnt(3)
	v_mul_f64 v[130:131], v[116:117], v[10:11]
	v_fmac_f64_e32 v[130:131], v[118:119], v[4:5]
	v_add_f64 v[128:129], v[128:129], v[130:131]
	v_fma_f64 v[2:3], v[112:113], v[2:3], -v[8:9]
	s_waitcnt lgkmcnt(2)
	v_mul_f64 v[130:131], v[120:121], v[12:13]
	v_fmac_f64_e32 v[130:131], v[122:123], v[6:7]
	v_add_f64 v[132:133], v[128:129], v[130:131]
	ds_read_b128 v[128:131], v110 offset:640
	v_mul_f64 v[8:9], v[118:119], v[10:11]
	v_add_f64 v[2:3], v[2:3], 0
	s_waitcnt lgkmcnt(2)
	v_mul_f64 v[134:135], v[124:125], v[18:19]
	v_fma_f64 v[4:5], v[116:117], v[4:5], -v[8:9]
	v_fmac_f64_e32 v[134:135], v[126:127], v[20:21]
	v_add_f64 v[136:137], v[132:133], v[134:135]
	ds_read_b128 v[132:135], v110 offset:656
	s_waitcnt lgkmcnt(1)
	v_mul_f64 v[138:139], v[128:129], v[14:15]
	v_fmac_f64_e32 v[138:139], v[130:131], v[16:17]
	v_add_f64 v[140:141], v[136:137], v[138:139]
	ds_read_b128 v[136:139], v110 offset:672
	s_waitcnt vmcnt(58) lgkmcnt(1)
	v_mul_f64 v[142:143], v[132:133], v[26:27]
	s_waitcnt vmcnt(56)
	v_fmac_f64_e32 v[142:143], v[134:135], v[28:29]
	v_add_f64 v[144:145], v[140:141], v[142:143]
	ds_read_b128 v[140:143], v110 offset:688
	s_waitcnt lgkmcnt(1)
	v_mul_f64 v[146:147], v[136:137], v[22:23]
	v_fmac_f64_e32 v[146:147], v[138:139], v[24:25]
	v_add_f64 v[148:149], v[144:145], v[146:147]
	ds_read_b128 v[144:147], v110 offset:704
	s_waitcnt vmcnt(50) lgkmcnt(1)
	v_mul_f64 v[150:151], v[140:141], v[90:91]
	s_waitcnt vmcnt(48)
	v_fmac_f64_e32 v[150:151], v[142:143], v[92:93]
	v_add_f64 v[152:153], v[148:149], v[150:151]
	ds_read_b128 v[148:151], v110 offset:720
	s_waitcnt lgkmcnt(1)
	v_mul_f64 v[154:155], v[144:145], v[86:87]
	v_fmac_f64_e32 v[154:155], v[146:147], v[88:89]
	v_add_f64 v[156:157], v[152:153], v[154:155]
	ds_read_b128 v[152:155], v110 offset:736
	v_add_f64 v[2:3], v[2:3], v[4:5]
	v_mul_f64 v[4:5], v[122:123], v[12:13]
	v_fma_f64 v[4:5], v[120:121], v[6:7], -v[4:5]
	s_waitcnt vmcnt(42) lgkmcnt(1)
	v_mul_f64 v[158:159], v[148:149], v[98:99]
	v_add_f64 v[2:3], v[2:3], v[4:5]
	v_mul_f64 v[4:5], v[126:127], v[18:19]
	s_waitcnt vmcnt(40)
	v_fmac_f64_e32 v[158:159], v[150:151], v[100:101]
	v_fma_f64 v[4:5], v[124:125], v[20:21], -v[4:5]
	v_add_f64 v[160:161], v[156:157], v[158:159]
	ds_read_b128 v[156:159], v110 offset:752
	s_waitcnt lgkmcnt(1)
	v_mul_f64 v[162:163], v[152:153], v[94:95]
	v_add_f64 v[2:3], v[2:3], v[4:5]
	v_mul_f64 v[4:5], v[130:131], v[14:15]
	v_fmac_f64_e32 v[162:163], v[154:155], v[96:97]
	v_fma_f64 v[4:5], v[128:129], v[16:17], -v[4:5]
	v_add_f64 v[164:165], v[160:161], v[162:163]
	ds_read_b128 v[160:163], v110 offset:768
	v_add_f64 v[2:3], v[2:3], v[4:5]
	v_mul_f64 v[4:5], v[134:135], v[26:27]
	v_fma_f64 v[4:5], v[132:133], v[28:29], -v[4:5]
	v_add_f64 v[2:3], v[2:3], v[4:5]
	v_mul_f64 v[4:5], v[138:139], v[22:23]
	s_waitcnt vmcnt(34) lgkmcnt(1)
	v_mul_f64 v[166:167], v[156:157], v[106:107]
	v_fma_f64 v[4:5], v[136:137], v[24:25], -v[4:5]
	s_waitcnt vmcnt(32)
	v_fmac_f64_e32 v[166:167], v[158:159], v[108:109]
	v_add_f64 v[2:3], v[2:3], v[4:5]
	v_mul_f64 v[4:5], v[142:143], v[90:91]
	v_add_f64 v[172:173], v[164:165], v[166:167]
	ds_read_b128 v[164:167], v110 offset:784
	s_waitcnt lgkmcnt(1)
	v_mul_f64 v[174:175], v[160:161], v[102:103]
	v_fma_f64 v[4:5], v[140:141], v[92:93], -v[4:5]
	v_fmac_f64_e32 v[174:175], v[162:163], v[104:105]
	v_add_f64 v[2:3], v[2:3], v[4:5]
	v_mul_f64 v[4:5], v[146:147], v[86:87]
	v_add_f64 v[176:177], v[172:173], v[174:175]
	ds_read_b128 v[172:175], v110 offset:800
	v_fma_f64 v[4:5], v[144:145], v[88:89], -v[4:5]
	v_add_f64 v[2:3], v[2:3], v[4:5]
	v_mul_f64 v[4:5], v[150:151], v[98:99]
	v_fma_f64 v[4:5], v[148:149], v[100:101], -v[4:5]
	s_waitcnt vmcnt(26) lgkmcnt(1)
	v_mul_f64 v[178:179], v[164:165], v[38:39]
	v_add_f64 v[2:3], v[2:3], v[4:5]
	v_mul_f64 v[4:5], v[154:155], v[94:95]
	s_waitcnt vmcnt(24)
	v_fmac_f64_e32 v[178:179], v[166:167], v[40:41]
	v_fma_f64 v[4:5], v[152:153], v[96:97], -v[4:5]
	v_add_f64 v[202:203], v[176:177], v[178:179]
	ds_read_b128 v[176:179], v110 offset:816
	s_waitcnt lgkmcnt(1)
	v_mul_f64 v[208:209], v[172:173], v[34:35]
	v_add_f64 v[2:3], v[2:3], v[4:5]
	v_mul_f64 v[4:5], v[158:159], v[106:107]
	v_fmac_f64_e32 v[208:209], v[174:175], v[36:37]
	v_fma_f64 v[4:5], v[156:157], v[108:109], -v[4:5]
	v_add_f64 v[202:203], v[202:203], v[208:209]
	ds_read_b128 v[208:211], v110 offset:832
	v_add_f64 v[2:3], v[2:3], v[4:5]
	v_mul_f64 v[4:5], v[162:163], v[102:103]
	v_fma_f64 v[4:5], v[160:161], v[104:105], -v[4:5]
	v_add_f64 v[2:3], v[2:3], v[4:5]
	v_mul_f64 v[4:5], v[166:167], v[38:39]
	s_waitcnt vmcnt(18) lgkmcnt(1)
	v_mul_f64 v[212:213], v[176:177], v[182:183]
	v_fma_f64 v[4:5], v[164:165], v[40:41], -v[4:5]
	s_waitcnt vmcnt(16)
	v_fmac_f64_e32 v[212:213], v[178:179], v[184:185]
	v_add_f64 v[2:3], v[2:3], v[4:5]
	v_mul_f64 v[4:5], v[174:175], v[34:35]
	v_add_f64 v[202:203], v[202:203], v[212:213]
	ds_read_b128 v[212:215], v110 offset:848
	s_waitcnt lgkmcnt(1)
	v_mul_f64 v[216:217], v[208:209], v[168:169]
	v_fma_f64 v[4:5], v[172:173], v[36:37], -v[4:5]
	v_fmac_f64_e32 v[216:217], v[210:211], v[180:181]
	v_add_f64 v[2:3], v[2:3], v[4:5]
	v_mul_f64 v[4:5], v[178:179], v[182:183]
	v_add_f64 v[202:203], v[202:203], v[216:217]
	ds_read_b128 v[216:219], v110 offset:864
	v_fma_f64 v[4:5], v[176:177], v[184:185], -v[4:5]
	v_add_f64 v[2:3], v[2:3], v[4:5]
	v_mul_f64 v[4:5], v[210:211], v[168:169]
	v_fma_f64 v[4:5], v[208:209], v[180:181], -v[4:5]
	v_add_f64 v[2:3], v[2:3], v[4:5]
	s_waitcnt vmcnt(10) lgkmcnt(1)
	v_mul_f64 v[4:5], v[214:215], v[190:191]
	v_mul_f64 v[224:225], v[212:213], v[190:191]
	s_waitcnt vmcnt(8)
	v_fma_f64 v[4:5], v[212:213], v[192:193], -v[4:5]
	v_fmac_f64_e32 v[224:225], v[214:215], v[192:193]
	v_add_f64 v[2:3], v[2:3], v[4:5]
	s_waitcnt lgkmcnt(0)
	v_mul_f64 v[4:5], v[218:219], v[186:187]
	v_add_f64 v[110:111], v[202:203], v[224:225]
	v_mul_f64 v[202:203], v[216:217], v[186:187]
	v_fma_f64 v[4:5], v[216:217], v[188:189], -v[4:5]
	v_fmac_f64_e32 v[202:203], v[218:219], v[188:189]
	v_add_f64 v[2:3], v[2:3], v[4:5]
	s_waitcnt vmcnt(6)
	v_mul_f64 v[4:5], v[222:223], v[194:195]
	v_add_f64 v[110:111], v[110:111], v[202:203]
	v_mul_f64 v[202:203], v[220:221], v[194:195]
	s_waitcnt vmcnt(4)
	v_fma_f64 v[4:5], v[220:221], v[196:197], -v[4:5]
	v_fmac_f64_e32 v[202:203], v[222:223], v[196:197]
	v_add_f64 v[2:3], v[2:3], v[4:5]
	v_add_f64 v[110:111], v[110:111], v[202:203]
	s_waitcnt vmcnt(2)
	v_add_f64 v[2:3], v[198:199], -v[2:3]
	s_waitcnt vmcnt(0)
	v_add_f64 v[4:5], v[200:201], -v[110:111]
	buffer_store_dword v3, off, s[0:3], 0 offset:116
	buffer_store_dword v2, off, s[0:3], 0 offset:112
	;; [unrolled: 1-line block ×4, first 2 shown]
	s_and_saveexec_b64 s[6:7], vcc
	s_cbranch_execz .LBB91_169
; %bb.168:
	v_accvgpr_read_b32 v5, a51
	buffer_load_dword v2, v5, s[0:3], 0 offen
	buffer_load_dword v3, v5, s[0:3], 0 offen offset:4
	buffer_load_dword v4, v5, s[0:3], 0 offen offset:8
	s_nop 0
	buffer_load_dword v5, v5, s[0:3], 0 offen offset:12
	v_mov_b32_e32 v6, 0
	buffer_store_dword v6, off, s[0:3], 0 offset:96
	buffer_store_dword v6, off, s[0:3], 0 offset:100
	buffer_store_dword v6, off, s[0:3], 0 offset:104
	buffer_store_dword v6, off, s[0:3], 0 offset:108
	s_waitcnt vmcnt(4)
	ds_write_b128 v207, v[2:5]
.LBB91_169:
	s_or_b64 exec, exec, s[6:7]
	s_waitcnt lgkmcnt(0)
	; wave barrier
	s_waitcnt lgkmcnt(0)
	buffer_load_dword v4, off, s[0:3], 0 offset:96
	buffer_load_dword v5, off, s[0:3], 0 offset:100
	;; [unrolled: 1-line block ×84, first 2 shown]
	v_mov_b32_e32 v142, 0
	ds_read_b128 v[122:125], v142 offset:560
	buffer_load_dword v191, off, s[0:3], 0 offset:444
	buffer_load_dword v190, off, s[0:3], 0 offset:440
	;; [unrolled: 1-line block ×4, first 2 shown]
	ds_read_b128 v[126:129], v142 offset:576
	ds_read_b128 v[130:133], v142 offset:592
	;; [unrolled: 1-line block ×5, first 2 shown]
	s_waitcnt vmcnt(62) lgkmcnt(5)
	v_mul_f64 v[138:139], v[122:123], v[12:13]
	v_fmac_f64_e32 v[138:139], v[124:125], v[6:7]
	s_waitcnt lgkmcnt(4)
	v_mul_f64 v[140:141], v[126:127], v[14:15]
	v_add_f64 v[138:139], v[138:139], 0
	v_fmac_f64_e32 v[140:141], v[128:129], v[8:9]
	v_add_f64 v[138:139], v[138:139], v[140:141]
	s_waitcnt lgkmcnt(3)
	v_mul_f64 v[140:141], v[130:131], v[16:17]
	v_fmac_f64_e32 v[140:141], v[132:133], v[10:11]
	v_add_f64 v[144:145], v[138:139], v[140:141]
	ds_read_b128 v[138:141], v142 offset:624
	v_mul_f64 v[12:13], v[124:125], v[12:13]
	s_waitcnt lgkmcnt(3)
	v_mul_f64 v[146:147], v[134:135], v[22:23]
	v_fma_f64 v[6:7], v[122:123], v[6:7], -v[12:13]
	v_fmac_f64_e32 v[146:147], v[136:137], v[24:25]
	v_add_f64 v[148:149], v[144:145], v[146:147]
	ds_read_b128 v[144:147], v142 offset:640
	s_waitcnt lgkmcnt(1)
	v_mul_f64 v[150:151], v[138:139], v[18:19]
	v_fmac_f64_e32 v[150:151], v[140:141], v[20:21]
	v_add_f64 v[152:153], v[148:149], v[150:151]
	ds_read_b128 v[148:151], v142 offset:656
	s_waitcnt vmcnt(58) lgkmcnt(1)
	v_mul_f64 v[154:155], v[144:145], v[86:87]
	s_waitcnt vmcnt(56)
	v_fmac_f64_e32 v[154:155], v[146:147], v[88:89]
	v_mul_f64 v[12:13], v[128:129], v[14:15]
	v_add_f64 v[156:157], v[152:153], v[154:155]
	ds_read_b128 v[152:155], v142 offset:672
	s_waitcnt lgkmcnt(1)
	v_mul_f64 v[158:159], v[148:149], v[26:27]
	v_add_f64 v[6:7], v[6:7], 0
	v_fma_f64 v[8:9], v[126:127], v[8:9], -v[12:13]
	v_fmac_f64_e32 v[158:159], v[150:151], v[28:29]
	v_add_f64 v[6:7], v[6:7], v[8:9]
	v_mul_f64 v[8:9], v[132:133], v[16:17]
	v_add_f64 v[160:161], v[156:157], v[158:159]
	ds_read_b128 v[156:159], v142 offset:688
	v_fma_f64 v[8:9], v[130:131], v[10:11], -v[8:9]
	v_add_f64 v[6:7], v[6:7], v[8:9]
	v_mul_f64 v[8:9], v[136:137], v[22:23]
	v_fma_f64 v[8:9], v[134:135], v[24:25], -v[8:9]
	s_waitcnt vmcnt(50) lgkmcnt(1)
	v_mul_f64 v[162:163], v[152:153], v[94:95]
	v_add_f64 v[6:7], v[6:7], v[8:9]
	v_mul_f64 v[8:9], v[140:141], v[18:19]
	s_waitcnt vmcnt(48)
	v_fmac_f64_e32 v[162:163], v[154:155], v[96:97]
	v_fma_f64 v[8:9], v[138:139], v[20:21], -v[8:9]
	v_add_f64 v[164:165], v[160:161], v[162:163]
	ds_read_b128 v[160:163], v142 offset:704
	s_waitcnt lgkmcnt(1)
	v_mul_f64 v[166:167], v[156:157], v[90:91]
	v_add_f64 v[6:7], v[6:7], v[8:9]
	v_mul_f64 v[8:9], v[146:147], v[86:87]
	v_fmac_f64_e32 v[166:167], v[158:159], v[92:93]
	v_fma_f64 v[8:9], v[144:145], v[88:89], -v[8:9]
	v_add_f64 v[172:173], v[164:165], v[166:167]
	ds_read_b128 v[164:167], v142 offset:720
	v_add_f64 v[6:7], v[6:7], v[8:9]
	v_mul_f64 v[8:9], v[150:151], v[26:27]
	v_fma_f64 v[8:9], v[148:149], v[28:29], -v[8:9]
	v_add_f64 v[6:7], v[6:7], v[8:9]
	v_mul_f64 v[8:9], v[154:155], v[94:95]
	s_waitcnt vmcnt(42) lgkmcnt(1)
	v_mul_f64 v[174:175], v[160:161], v[102:103]
	v_fma_f64 v[8:9], v[152:153], v[96:97], -v[8:9]
	s_waitcnt vmcnt(40)
	v_fmac_f64_e32 v[174:175], v[162:163], v[104:105]
	v_add_f64 v[6:7], v[6:7], v[8:9]
	v_mul_f64 v[8:9], v[158:159], v[90:91]
	v_add_f64 v[176:177], v[172:173], v[174:175]
	ds_read_b128 v[172:175], v142 offset:736
	s_waitcnt lgkmcnt(1)
	v_mul_f64 v[178:179], v[164:165], v[98:99]
	v_fma_f64 v[8:9], v[156:157], v[92:93], -v[8:9]
	v_fmac_f64_e32 v[178:179], v[166:167], v[100:101]
	v_add_f64 v[6:7], v[6:7], v[8:9]
	v_mul_f64 v[8:9], v[162:163], v[102:103]
	v_add_f64 v[194:195], v[176:177], v[178:179]
	ds_read_b128 v[176:179], v142 offset:752
	ds_read_b128 v[208:211], v142 offset:768
	v_fma_f64 v[8:9], v[160:161], v[104:105], -v[8:9]
	v_add_f64 v[6:7], v[6:7], v[8:9]
	v_mul_f64 v[8:9], v[166:167], v[98:99]
	v_fma_f64 v[8:9], v[164:165], v[100:101], -v[8:9]
	v_add_f64 v[6:7], v[6:7], v[8:9]
	s_waitcnt vmcnt(34) lgkmcnt(2)
	v_mul_f64 v[8:9], v[174:175], v[110:111]
	v_mul_f64 v[196:197], v[172:173], v[110:111]
	s_waitcnt vmcnt(32)
	v_fma_f64 v[8:9], v[172:173], v[112:113], -v[8:9]
	v_fmac_f64_e32 v[196:197], v[174:175], v[112:113]
	v_add_f64 v[6:7], v[6:7], v[8:9]
	s_waitcnt lgkmcnt(1)
	v_mul_f64 v[8:9], v[178:179], v[106:107]
	v_add_f64 v[194:195], v[194:195], v[196:197]
	v_mul_f64 v[196:197], v[176:177], v[106:107]
	v_fma_f64 v[8:9], v[176:177], v[108:109], -v[8:9]
	v_fmac_f64_e32 v[196:197], v[178:179], v[108:109]
	v_add_f64 v[6:7], v[6:7], v[8:9]
	s_waitcnt vmcnt(26) lgkmcnt(0)
	v_mul_f64 v[8:9], v[210:211], v[118:119]
	v_add_f64 v[194:195], v[194:195], v[196:197]
	v_mul_f64 v[196:197], v[208:209], v[118:119]
	ds_read_b128 v[220:223], v142 offset:816
	ds_read_b128 v[224:227], v142 offset:832
	s_waitcnt vmcnt(24)
	v_fma_f64 v[8:9], v[208:209], v[120:121], -v[8:9]
	v_fmac_f64_e32 v[196:197], v[210:211], v[120:121]
	v_add_f64 v[6:7], v[6:7], v[8:9]
	v_mul_f64 v[8:9], v[214:215], v[114:115]
	v_add_f64 v[194:195], v[194:195], v[196:197]
	v_mul_f64 v[196:197], v[212:213], v[114:115]
	v_fma_f64 v[8:9], v[212:213], v[116:117], -v[8:9]
	v_fmac_f64_e32 v[196:197], v[214:215], v[116:117]
	v_add_f64 v[6:7], v[6:7], v[8:9]
	s_waitcnt vmcnt(18)
	v_mul_f64 v[8:9], v[218:219], v[38:39]
	v_add_f64 v[194:195], v[194:195], v[196:197]
	v_mul_f64 v[196:197], v[216:217], v[38:39]
	ds_read_b128 v[228:231], v142 offset:848
	ds_read_b128 v[232:235], v142 offset:864
	s_waitcnt vmcnt(16)
	v_fma_f64 v[8:9], v[216:217], v[40:41], -v[8:9]
	v_fmac_f64_e32 v[196:197], v[218:219], v[40:41]
	v_add_f64 v[6:7], v[6:7], v[8:9]
	s_waitcnt lgkmcnt(3)
	v_mul_f64 v[8:9], v[222:223], v[34:35]
	v_add_f64 v[194:195], v[194:195], v[196:197]
	v_mul_f64 v[196:197], v[220:221], v[34:35]
	v_fma_f64 v[8:9], v[220:221], v[36:37], -v[8:9]
	v_fmac_f64_e32 v[196:197], v[222:223], v[36:37]
	v_add_f64 v[6:7], v[6:7], v[8:9]
	s_waitcnt vmcnt(10) lgkmcnt(2)
	v_mul_f64 v[8:9], v[226:227], v[182:183]
	v_add_f64 v[194:195], v[194:195], v[196:197]
	v_mul_f64 v[196:197], v[224:225], v[182:183]
	ds_read_b128 v[236:239], v142 offset:880
	s_waitcnt vmcnt(8)
	v_fma_f64 v[8:9], v[224:225], v[184:185], -v[8:9]
	v_fmac_f64_e32 v[196:197], v[226:227], v[184:185]
	v_add_f64 v[6:7], v[6:7], v[8:9]
	s_waitcnt lgkmcnt(2)
	v_mul_f64 v[8:9], v[230:231], v[168:169]
	v_add_f64 v[194:195], v[194:195], v[196:197]
	v_mul_f64 v[196:197], v[228:229], v[168:169]
	v_fma_f64 v[8:9], v[228:229], v[180:181], -v[8:9]
	v_fmac_f64_e32 v[196:197], v[230:231], v[180:181]
	v_add_f64 v[6:7], v[6:7], v[8:9]
	s_waitcnt vmcnt(6) lgkmcnt(1)
	v_mul_f64 v[8:9], v[234:235], v[186:187]
	v_add_f64 v[194:195], v[194:195], v[196:197]
	v_mul_f64 v[196:197], v[232:233], v[186:187]
	s_waitcnt vmcnt(4)
	v_fma_f64 v[8:9], v[232:233], v[188:189], -v[8:9]
	v_fmac_f64_e32 v[196:197], v[234:235], v[188:189]
	v_add_f64 v[6:7], v[6:7], v[8:9]
	s_waitcnt vmcnt(2) lgkmcnt(0)
	v_mul_f64 v[8:9], v[238:239], v[190:191]
	v_add_f64 v[194:195], v[194:195], v[196:197]
	v_mul_f64 v[196:197], v[236:237], v[190:191]
	s_waitcnt vmcnt(0)
	v_fma_f64 v[8:9], v[236:237], v[192:193], -v[8:9]
	v_fmac_f64_e32 v[196:197], v[238:239], v[192:193]
	v_add_f64 v[6:7], v[6:7], v[8:9]
	v_add_f64 v[194:195], v[194:195], v[196:197]
	v_add_f64 v[4:5], v[4:5], -v[6:7]
	v_cmp_lt_u32_e32 vcc, 5, v206
	v_add_f64 v[2:3], v[2:3], -v[194:195]
	buffer_store_dword v5, off, s[0:3], 0 offset:100
	buffer_store_dword v4, off, s[0:3], 0 offset:96
	;; [unrolled: 1-line block ×4, first 2 shown]
	s_and_saveexec_b64 s[6:7], vcc
	s_cbranch_execz .LBB91_171
; %bb.170:
	v_accvgpr_read_b32 v5, a49
	buffer_load_dword v2, v5, s[0:3], 0 offen
	buffer_load_dword v3, v5, s[0:3], 0 offen offset:4
	buffer_load_dword v4, v5, s[0:3], 0 offen offset:8
	s_nop 0
	buffer_load_dword v5, v5, s[0:3], 0 offen offset:12
	s_nop 0
	buffer_store_dword v142, off, s[0:3], 0 offset:80
	buffer_store_dword v142, off, s[0:3], 0 offset:84
	;; [unrolled: 1-line block ×4, first 2 shown]
	s_waitcnt vmcnt(4)
	ds_write_b128 v207, v[2:5]
.LBB91_171:
	s_or_b64 exec, exec, s[6:7]
	s_waitcnt lgkmcnt(0)
	; wave barrier
	s_waitcnt lgkmcnt(0)
	ds_read_b128 v[14:17], v142 offset:544
	ds_read_b128 v[10:13], v142 offset:560
	;; [unrolled: 1-line block ×4, first 2 shown]
	buffer_load_dword v20, off, s[0:3], 0 offset:80
	buffer_load_dword v21, off, s[0:3], 0 offset:84
	;; [unrolled: 1-line block ×92, first 2 shown]
	s_waitcnt vmcnt(62) lgkmcnt(3)
	v_mul_f64 v[144:145], v[14:15], v[28:29]
	v_fmac_f64_e32 v[144:145], v[16:17], v[22:23]
	s_waitcnt lgkmcnt(2)
	v_mul_f64 v[146:147], v[10:11], v[86:87]
	v_add_f64 v[144:145], v[144:145], 0
	v_fmac_f64_e32 v[146:147], v[12:13], v[24:25]
	v_add_f64 v[144:145], v[144:145], v[146:147]
	s_waitcnt lgkmcnt(1)
	v_mul_f64 v[146:147], v[6:7], v[88:89]
	v_fmac_f64_e32 v[146:147], v[8:9], v[26:27]
	v_add_f64 v[148:149], v[144:145], v[146:147]
	ds_read_b128 v[144:147], v142 offset:608
	v_mul_f64 v[16:17], v[16:17], v[28:29]
	v_fma_f64 v[14:15], v[14:15], v[22:23], -v[16:17]
	s_waitcnt lgkmcnt(1)
	v_mul_f64 v[150:151], v[2:3], v[94:95]
	v_mul_f64 v[12:13], v[12:13], v[86:87]
	v_fmac_f64_e32 v[150:151], v[4:5], v[96:97]
	v_add_f64 v[152:153], v[148:149], v[150:151]
	ds_read_b128 v[148:151], v142 offset:624
	s_waitcnt lgkmcnt(1)
	v_mul_f64 v[154:155], v[144:145], v[90:91]
	v_fmac_f64_e32 v[154:155], v[146:147], v[92:93]
	v_add_f64 v[156:157], v[152:153], v[154:155]
	ds_read_b128 v[152:155], v142 offset:640
	s_waitcnt lgkmcnt(1)
	v_mul_f64 v[158:159], v[148:149], v[102:103]
	s_waitcnt vmcnt(60)
	v_fmac_f64_e32 v[158:159], v[150:151], v[104:105]
	v_add_f64 v[160:161], v[156:157], v[158:159]
	ds_read_b128 v[156:159], v142 offset:656
	s_waitcnt lgkmcnt(1)
	v_mul_f64 v[162:163], v[152:153], v[98:99]
	v_add_f64 v[14:15], v[14:15], 0
	v_fma_f64 v[10:11], v[10:11], v[24:25], -v[12:13]
	v_mul_f64 v[8:9], v[8:9], v[88:89]
	v_fmac_f64_e32 v[162:163], v[154:155], v[100:101]
	v_add_f64 v[10:11], v[14:15], v[10:11]
	v_fma_f64 v[6:7], v[6:7], v[26:27], -v[8:9]
	v_mul_f64 v[4:5], v[4:5], v[94:95]
	v_add_f64 v[164:165], v[160:161], v[162:163]
	ds_read_b128 v[160:163], v142 offset:672
	s_waitcnt vmcnt(54) lgkmcnt(1)
	v_mul_f64 v[166:167], v[156:157], v[110:111]
	v_add_f64 v[6:7], v[10:11], v[6:7]
	v_fma_f64 v[2:3], v[2:3], v[96:97], -v[4:5]
	v_mul_f64 v[4:5], v[146:147], v[90:91]
	s_waitcnt vmcnt(52)
	v_fmac_f64_e32 v[166:167], v[158:159], v[112:113]
	v_add_f64 v[2:3], v[6:7], v[2:3]
	v_fma_f64 v[4:5], v[144:145], v[92:93], -v[4:5]
	v_add_f64 v[172:173], v[164:165], v[166:167]
	ds_read_b128 v[164:167], v142 offset:688
	v_add_f64 v[2:3], v[2:3], v[4:5]
	v_mul_f64 v[4:5], v[150:151], v[102:103]
	v_fma_f64 v[4:5], v[148:149], v[104:105], -v[4:5]
	v_add_f64 v[2:3], v[2:3], v[4:5]
	v_mul_f64 v[4:5], v[154:155], v[98:99]
	s_waitcnt lgkmcnt(1)
	v_mul_f64 v[174:175], v[160:161], v[106:107]
	v_fma_f64 v[4:5], v[152:153], v[100:101], -v[4:5]
	v_fmac_f64_e32 v[174:175], v[162:163], v[108:109]
	v_add_f64 v[2:3], v[2:3], v[4:5]
	v_mul_f64 v[4:5], v[158:159], v[110:111]
	v_add_f64 v[176:177], v[172:173], v[174:175]
	ds_read_b128 v[172:175], v142 offset:704
	s_waitcnt vmcnt(46) lgkmcnt(1)
	v_mul_f64 v[178:179], v[164:165], v[118:119]
	v_fma_f64 v[4:5], v[156:157], v[112:113], -v[4:5]
	s_waitcnt vmcnt(44)
	v_fmac_f64_e32 v[178:179], v[166:167], v[120:121]
	v_add_f64 v[2:3], v[2:3], v[4:5]
	v_mul_f64 v[4:5], v[162:163], v[106:107]
	v_add_f64 v[194:195], v[176:177], v[178:179]
	ds_read_b128 v[176:179], v142 offset:720
	v_fma_f64 v[4:5], v[160:161], v[108:109], -v[4:5]
	v_add_f64 v[2:3], v[2:3], v[4:5]
	v_mul_f64 v[4:5], v[166:167], v[118:119]
	ds_read_b128 v[208:211], v142 offset:736
	ds_read_b128 v[212:215], v142 offset:752
	v_fma_f64 v[4:5], v[164:165], v[120:121], -v[4:5]
	v_add_f64 v[2:3], v[2:3], v[4:5]
	s_waitcnt lgkmcnt(3)
	v_mul_f64 v[4:5], v[174:175], v[114:115]
	v_mul_f64 v[196:197], v[172:173], v[114:115]
	v_fma_f64 v[4:5], v[172:173], v[116:117], -v[4:5]
	v_fmac_f64_e32 v[196:197], v[174:175], v[116:117]
	v_add_f64 v[2:3], v[2:3], v[4:5]
	s_waitcnt vmcnt(38) lgkmcnt(2)
	v_mul_f64 v[4:5], v[178:179], v[126:127]
	v_add_f64 v[194:195], v[194:195], v[196:197]
	v_mul_f64 v[196:197], v[176:177], v[126:127]
	ds_read_b128 v[216:219], v142 offset:768
	ds_read_b128 v[220:223], v142 offset:784
	s_waitcnt vmcnt(36)
	v_fma_f64 v[4:5], v[176:177], v[128:129], -v[4:5]
	v_fmac_f64_e32 v[196:197], v[178:179], v[128:129]
	v_add_f64 v[2:3], v[2:3], v[4:5]
	s_waitcnt lgkmcnt(3)
	v_mul_f64 v[4:5], v[210:211], v[122:123]
	v_add_f64 v[194:195], v[194:195], v[196:197]
	v_mul_f64 v[196:197], v[208:209], v[122:123]
	v_fma_f64 v[4:5], v[208:209], v[124:125], -v[4:5]
	v_fmac_f64_e32 v[196:197], v[210:211], v[124:125]
	v_add_f64 v[2:3], v[2:3], v[4:5]
	s_waitcnt vmcnt(30) lgkmcnt(2)
	v_mul_f64 v[4:5], v[214:215], v[134:135]
	v_add_f64 v[194:195], v[194:195], v[196:197]
	v_mul_f64 v[196:197], v[212:213], v[134:135]
	ds_read_b128 v[224:227], v142 offset:800
	ds_read_b128 v[228:231], v142 offset:816
	s_waitcnt vmcnt(28)
	v_fma_f64 v[4:5], v[212:213], v[136:137], -v[4:5]
	v_fmac_f64_e32 v[196:197], v[214:215], v[136:137]
	v_add_f64 v[2:3], v[2:3], v[4:5]
	s_waitcnt lgkmcnt(3)
	v_mul_f64 v[4:5], v[218:219], v[130:131]
	v_add_f64 v[194:195], v[194:195], v[196:197]
	;; [unrolled: 17-line block ×4, first 2 shown]
	v_mul_f64 v[196:197], v[232:233], v[38:39]
	v_fma_f64 v[4:5], v[232:233], v[40:41], -v[4:5]
	v_fmac_f64_e32 v[196:197], v[234:235], v[40:41]
	v_add_f64 v[2:3], v[2:3], v[4:5]
	s_waitcnt vmcnt(6) lgkmcnt(2)
	v_mul_f64 v[4:5], v[238:239], v[186:187]
	v_add_f64 v[194:195], v[194:195], v[196:197]
	v_mul_f64 v[196:197], v[236:237], v[186:187]
	s_waitcnt vmcnt(4)
	v_fma_f64 v[4:5], v[236:237], v[188:189], -v[4:5]
	v_fmac_f64_e32 v[196:197], v[238:239], v[188:189]
	v_add_f64 v[2:3], v[2:3], v[4:5]
	s_waitcnt lgkmcnt(1)
	v_mul_f64 v[4:5], v[242:243], v[182:183]
	v_add_f64 v[142:143], v[194:195], v[196:197]
	v_mul_f64 v[194:195], v[240:241], v[182:183]
	v_fma_f64 v[4:5], v[240:241], v[184:185], -v[4:5]
	v_fmac_f64_e32 v[194:195], v[242:243], v[184:185]
	v_add_f64 v[2:3], v[2:3], v[4:5]
	s_waitcnt vmcnt(2) lgkmcnt(0)
	v_mul_f64 v[4:5], v[246:247], v[190:191]
	v_add_f64 v[142:143], v[142:143], v[194:195]
	v_mul_f64 v[194:195], v[244:245], v[190:191]
	s_waitcnt vmcnt(0)
	v_fma_f64 v[4:5], v[244:245], v[192:193], -v[4:5]
	v_fmac_f64_e32 v[194:195], v[246:247], v[192:193]
	v_add_f64 v[2:3], v[2:3], v[4:5]
	v_add_f64 v[142:143], v[142:143], v[194:195]
	v_add_f64 v[2:3], v[20:21], -v[2:3]
	v_cmp_lt_u32_e32 vcc, 4, v206
	v_add_f64 v[4:5], v[18:19], -v[142:143]
	buffer_store_dword v3, off, s[0:3], 0 offset:84
	buffer_store_dword v2, off, s[0:3], 0 offset:80
	;; [unrolled: 1-line block ×4, first 2 shown]
	s_and_saveexec_b64 s[6:7], vcc
	s_cbranch_execz .LBB91_173
; %bb.172:
	v_accvgpr_read_b32 v5, a50
	buffer_load_dword v2, v5, s[0:3], 0 offen
	buffer_load_dword v3, v5, s[0:3], 0 offen offset:4
	buffer_load_dword v4, v5, s[0:3], 0 offen offset:8
	s_nop 0
	buffer_load_dword v5, v5, s[0:3], 0 offen offset:12
	v_mov_b32_e32 v6, 0
	buffer_store_dword v6, off, s[0:3], 0 offset:64
	buffer_store_dword v6, off, s[0:3], 0 offset:68
	;; [unrolled: 1-line block ×4, first 2 shown]
	s_waitcnt vmcnt(4)
	ds_write_b128 v207, v[2:5]
.LBB91_173:
	s_or_b64 exec, exec, s[6:7]
	s_waitcnt lgkmcnt(0)
	; wave barrier
	s_waitcnt lgkmcnt(0)
	buffer_load_dword v9, off, s[0:3], 0 offset:92
	buffer_load_dword v6, off, s[0:3], 0 offset:104
	;; [unrolled: 1-line block ×64, first 2 shown]
	v_mov_b32_e32 v154, 0
	ds_read_b128 v[130:133], v154 offset:528
	ds_read_b128 v[134:137], v154 offset:544
	buffer_load_dword v123, off, s[0:3], 0 offset:348
	buffer_load_dword v122, off, s[0:3], 0 offset:344
	;; [unrolled: 1-line block ×8, first 2 shown]
	ds_read_b128 v[138:141], v154 offset:560
	ds_read_b128 v[142:145], v154 offset:576
	buffer_load_dword v39, off, s[0:3], 0 offset:380
	buffer_load_dword v38, off, s[0:3], 0 offset:376
	;; [unrolled: 1-line block ×24, first 2 shown]
	ds_read_b128 v[146:149], v154 offset:592
	ds_read_b128 v[150:153], v154 offset:608
	;; [unrolled: 1-line block ×19, first 2 shown]
	v_cmp_lt_u32_e32 vcc, 3, v206
	s_waitcnt vmcnt(62) lgkmcnt(14)
	v_mul_f64 v[36:37], v[134:135], v[6:7]
	v_mul_f64 v[34:35], v[130:131], v[8:9]
	;; [unrolled: 1-line block ×3, first 2 shown]
	v_fma_f64 v[8:9], v[130:131], v[10:11], -v[8:9]
	v_mul_f64 v[6:7], v[136:137], v[6:7]
	v_fmac_f64_e32 v[34:35], v[132:133], v[10:11]
	v_add_f64 v[8:9], v[8:9], 0
	v_add_f64 v[34:35], v[34:35], 0
	v_fma_f64 v[6:7], v[134:135], v[14:15], -v[6:7]
	v_fmac_f64_e32 v[36:37], v[136:137], v[14:15]
	v_add_f64 v[6:7], v[8:9], v[6:7]
	v_mul_f64 v[8:9], v[140:141], v[16:17]
	v_add_f64 v[34:35], v[34:35], v[36:37]
	v_mul_f64 v[36:37], v[138:139], v[16:17]
	v_fma_f64 v[8:9], v[138:139], v[12:13], -v[8:9]
	v_fmac_f64_e32 v[36:37], v[140:141], v[12:13]
	v_add_f64 v[6:7], v[6:7], v[8:9]
	v_mul_f64 v[8:9], v[144:145], v[22:23]
	v_add_f64 v[34:35], v[34:35], v[36:37]
	v_mul_f64 v[36:37], v[142:143], v[22:23]
	;; [unrolled: 6-line block ×5, first 2 shown]
	v_fma_f64 v[8:9], v[156:157], v[28:29], -v[8:9]
	v_fmac_f64_e32 v[36:37], v[158:159], v[28:29]
	v_add_f64 v[6:7], v[6:7], v[8:9]
	s_waitcnt vmcnt(58)
	v_mul_f64 v[8:9], v[162:163], v[94:95]
	v_add_f64 v[34:35], v[34:35], v[36:37]
	v_mul_f64 v[36:37], v[160:161], v[94:95]
	s_waitcnt vmcnt(56)
	v_fma_f64 v[8:9], v[160:161], v[96:97], -v[8:9]
	v_fmac_f64_e32 v[36:37], v[162:163], v[96:97]
	v_add_f64 v[6:7], v[6:7], v[8:9]
	v_mul_f64 v[8:9], v[166:167], v[90:91]
	v_add_f64 v[34:35], v[34:35], v[36:37]
	v_mul_f64 v[36:37], v[164:165], v[90:91]
	v_fma_f64 v[8:9], v[164:165], v[92:93], -v[8:9]
	v_fmac_f64_e32 v[36:37], v[166:167], v[92:93]
	v_add_f64 v[6:7], v[6:7], v[8:9]
	s_waitcnt vmcnt(50) lgkmcnt(13)
	v_mul_f64 v[8:9], v[174:175], v[102:103]
	v_add_f64 v[34:35], v[34:35], v[36:37]
	v_mul_f64 v[36:37], v[172:173], v[102:103]
	s_waitcnt vmcnt(48)
	v_fma_f64 v[8:9], v[172:173], v[104:105], -v[8:9]
	v_fmac_f64_e32 v[36:37], v[174:175], v[104:105]
	v_add_f64 v[6:7], v[6:7], v[8:9]
	s_waitcnt lgkmcnt(12)
	v_mul_f64 v[8:9], v[178:179], v[98:99]
	v_add_f64 v[34:35], v[34:35], v[36:37]
	v_mul_f64 v[36:37], v[176:177], v[98:99]
	v_fma_f64 v[8:9], v[176:177], v[100:101], -v[8:9]
	v_fmac_f64_e32 v[36:37], v[178:179], v[100:101]
	v_add_f64 v[6:7], v[6:7], v[8:9]
	s_waitcnt vmcnt(42) lgkmcnt(11)
	v_mul_f64 v[8:9], v[210:211], v[110:111]
	v_add_f64 v[34:35], v[34:35], v[36:37]
	v_mul_f64 v[36:37], v[208:209], v[110:111]
	s_waitcnt vmcnt(40)
	v_fma_f64 v[8:9], v[208:209], v[112:113], -v[8:9]
	v_fmac_f64_e32 v[36:37], v[210:211], v[112:113]
	v_add_f64 v[6:7], v[6:7], v[8:9]
	s_waitcnt lgkmcnt(10)
	;; [unrolled: 15-line block ×7, first 2 shown]
	v_mul_f64 v[8:9], v[254:255], v[190:191]
	v_add_f64 v[34:35], v[34:35], v[36:37]
	v_mul_f64 v[36:37], v[252:253], v[190:191]
	v_fma_f64 v[8:9], v[252:253], v[192:193], -v[8:9]
	v_fmac_f64_e32 v[36:37], v[254:255], v[192:193]
	v_add_f64 v[6:7], v[6:7], v[8:9]
	v_add_f64 v[34:35], v[34:35], v[36:37]
	v_add_f64 v[4:5], v[4:5], -v[6:7]
	v_add_f64 v[2:3], v[2:3], -v[34:35]
	buffer_store_dword v5, off, s[0:3], 0 offset:68
	buffer_store_dword v4, off, s[0:3], 0 offset:64
	;; [unrolled: 1-line block ×4, first 2 shown]
	s_and_saveexec_b64 s[6:7], vcc
	s_cbranch_execz .LBB91_175
; %bb.174:
	buffer_load_dword v2, v1, s[0:3], 0 offen
	buffer_load_dword v3, v1, s[0:3], 0 offen offset:4
	buffer_load_dword v4, v1, s[0:3], 0 offen offset:8
	;; [unrolled: 1-line block ×3, first 2 shown]
	s_nop 0
	buffer_store_dword v154, off, s[0:3], 0 offset:48
	buffer_store_dword v154, off, s[0:3], 0 offset:52
	;; [unrolled: 1-line block ×4, first 2 shown]
	s_waitcnt vmcnt(4)
	ds_write_b128 v207, v[2:5]
.LBB91_175:
	s_or_b64 exec, exec, s[6:7]
	s_waitcnt lgkmcnt(0)
	; wave barrier
	s_waitcnt lgkmcnt(0)
	buffer_load_dword v22, off, s[0:3], 0 offset:64
	buffer_load_dword v23, off, s[0:3], 0 offset:68
	;; [unrolled: 1-line block ×16, first 2 shown]
	ds_read_b128 v[2:5], v154 offset:512
	ds_read_b128 v[6:9], v154 offset:528
	;; [unrolled: 1-line block ×4, first 2 shown]
	buffer_load_dword v91, off, s[0:3], 0 offset:140
	buffer_load_dword v90, off, s[0:3], 0 offset:136
	;; [unrolled: 1-line block ×48, first 2 shown]
	v_cmp_lt_u32_e32 vcc, 2, v206
	s_waitcnt vmcnt(60) lgkmcnt(3)
	v_mul_f64 v[34:35], v[2:3], v[24:25]
	v_fmac_f64_e32 v[34:35], v[4:5], v[22:23]
	v_add_f64 v[34:35], v[34:35], 0
	v_mul_f64 v[4:5], v[4:5], v[24:25]
	s_waitcnt vmcnt(56) lgkmcnt(2)
	v_mul_f64 v[36:37], v[6:7], v[88:89]
	v_fma_f64 v[2:3], v[2:3], v[22:23], -v[4:5]
	v_mul_f64 v[4:5], v[8:9], v[88:89]
	v_add_f64 v[2:3], v[2:3], 0
	s_waitcnt vmcnt(52)
	v_fmac_f64_e32 v[36:37], v[8:9], v[28:29]
	v_add_f64 v[34:35], v[34:35], v[36:37]
	buffer_load_dword v139, off, s[0:3], 0 offset:332
	buffer_load_dword v138, off, s[0:3], 0 offset:328
	;; [unrolled: 1-line block ×32, first 2 shown]
	ds_read_b128 v[156:159], v154 offset:576
	buffer_load_dword v203, off, s[0:3], 0 offset:444
	buffer_load_dword v202, off, s[0:3], 0 offset:440
	;; [unrolled: 1-line block ×4, first 2 shown]
	v_fma_f64 v[4:5], v[6:7], v[28:29], -v[4:5]
	v_add_f64 v[2:3], v[2:3], v[4:5]
	s_waitcnt lgkmcnt(2)
	v_mul_f64 v[4:5], v[12:13], v[26:27]
	v_mul_f64 v[38:39], v[10:11], v[26:27]
	ds_read_b128 v[160:163], v154 offset:592
	ds_read_b128 v[164:167], v154 offset:608
	v_fma_f64 v[4:5], v[10:11], v[86:87], -v[4:5]
	v_fmac_f64_e32 v[38:39], v[12:13], v[86:87]
	v_add_f64 v[2:3], v[2:3], v[4:5]
	s_waitcnt vmcnt(62) lgkmcnt(3)
	v_mul_f64 v[4:5], v[16:17], v[94:95]
	v_add_f64 v[34:35], v[34:35], v[38:39]
	v_mul_f64 v[38:39], v[14:15], v[94:95]
	v_fma_f64 v[4:5], v[14:15], v[96:97], -v[4:5]
	v_fmac_f64_e32 v[38:39], v[16:17], v[96:97]
	v_add_f64 v[2:3], v[2:3], v[4:5]
	s_waitcnt lgkmcnt(2)
	v_mul_f64 v[4:5], v[158:159], v[90:91]
	v_add_f64 v[34:35], v[34:35], v[38:39]
	v_mul_f64 v[38:39], v[156:157], v[90:91]
	ds_read_b128 v[172:175], v154 offset:624
	ds_read_b128 v[176:179], v154 offset:640
	v_fma_f64 v[4:5], v[156:157], v[92:93], -v[4:5]
	v_fmac_f64_e32 v[38:39], v[158:159], v[92:93]
	v_add_f64 v[2:3], v[2:3], v[4:5]
	s_waitcnt lgkmcnt(3)
	v_mul_f64 v[4:5], v[162:163], v[102:103]
	v_add_f64 v[34:35], v[34:35], v[38:39]
	v_mul_f64 v[38:39], v[160:161], v[102:103]
	v_fma_f64 v[4:5], v[160:161], v[104:105], -v[4:5]
	v_fmac_f64_e32 v[38:39], v[162:163], v[104:105]
	v_add_f64 v[2:3], v[2:3], v[4:5]
	s_waitcnt lgkmcnt(2)
	v_mul_f64 v[4:5], v[166:167], v[98:99]
	v_add_f64 v[34:35], v[34:35], v[38:39]
	v_mul_f64 v[38:39], v[164:165], v[98:99]
	ds_read_b128 v[208:211], v154 offset:656
	ds_read_b128 v[212:215], v154 offset:672
	v_fma_f64 v[4:5], v[164:165], v[100:101], -v[4:5]
	v_fmac_f64_e32 v[38:39], v[166:167], v[100:101]
	v_add_f64 v[2:3], v[2:3], v[4:5]
	s_waitcnt lgkmcnt(3)
	v_mul_f64 v[4:5], v[174:175], v[110:111]
	v_add_f64 v[34:35], v[34:35], v[38:39]
	v_mul_f64 v[38:39], v[172:173], v[110:111]
	s_waitcnt vmcnt(60)
	v_fma_f64 v[4:5], v[172:173], v[112:113], -v[4:5]
	v_fmac_f64_e32 v[38:39], v[174:175], v[112:113]
	v_add_f64 v[2:3], v[2:3], v[4:5]
	s_waitcnt lgkmcnt(2)
	v_mul_f64 v[4:5], v[178:179], v[106:107]
	v_add_f64 v[34:35], v[34:35], v[38:39]
	v_mul_f64 v[38:39], v[176:177], v[106:107]
	ds_read_b128 v[216:219], v154 offset:688
	ds_read_b128 v[220:223], v154 offset:704
	v_fma_f64 v[4:5], v[176:177], v[108:109], -v[4:5]
	v_fmac_f64_e32 v[38:39], v[178:179], v[108:109]
	v_add_f64 v[2:3], v[2:3], v[4:5]
	s_waitcnt vmcnt(54) lgkmcnt(3)
	v_mul_f64 v[4:5], v[210:211], v[118:119]
	v_add_f64 v[34:35], v[34:35], v[38:39]
	v_mul_f64 v[38:39], v[208:209], v[118:119]
	s_waitcnt vmcnt(52)
	v_fma_f64 v[4:5], v[208:209], v[120:121], -v[4:5]
	v_fmac_f64_e32 v[38:39], v[210:211], v[120:121]
	v_add_f64 v[2:3], v[2:3], v[4:5]
	s_waitcnt lgkmcnt(2)
	v_mul_f64 v[4:5], v[214:215], v[114:115]
	v_add_f64 v[34:35], v[34:35], v[38:39]
	v_mul_f64 v[38:39], v[212:213], v[114:115]
	ds_read_b128 v[224:227], v154 offset:720
	ds_read_b128 v[228:231], v154 offset:736
	v_fma_f64 v[4:5], v[212:213], v[116:117], -v[4:5]
	v_fmac_f64_e32 v[38:39], v[214:215], v[116:117]
	v_add_f64 v[2:3], v[2:3], v[4:5]
	s_waitcnt vmcnt(46) lgkmcnt(3)
	;; [unrolled: 17-line block ×6, first 2 shown]
	v_mul_f64 v[4:5], v[250:251], v[168:169]
	v_add_f64 v[34:35], v[34:35], v[38:39]
	v_mul_f64 v[38:39], v[248:249], v[168:169]
	s_waitcnt vmcnt(12)
	v_fma_f64 v[4:5], v[248:249], v[192:193], -v[4:5]
	v_fmac_f64_e32 v[38:39], v[250:251], v[192:193]
	v_add_f64 v[2:3], v[2:3], v[4:5]
	s_waitcnt lgkmcnt(2)
	v_mul_f64 v[4:5], v[254:255], v[36:37]
	v_add_f64 v[34:35], v[34:35], v[38:39]
	v_mul_f64 v[38:39], v[252:253], v[36:37]
	ds_read_b128 v[188:191], v154 offset:880
	v_fma_f64 v[4:5], v[252:253], v[40:41], -v[4:5]
	v_fmac_f64_e32 v[38:39], v[254:255], v[40:41]
	v_add_f64 v[2:3], v[2:3], v[4:5]
	s_waitcnt vmcnt(6) lgkmcnt(2)
	v_mul_f64 v[4:5], v[182:183], v[198:199]
	v_add_f64 v[34:35], v[34:35], v[38:39]
	v_mul_f64 v[38:39], v[180:181], v[198:199]
	s_waitcnt vmcnt(4)
	v_fma_f64 v[4:5], v[180:181], v[200:201], -v[4:5]
	v_fmac_f64_e32 v[38:39], v[182:183], v[200:201]
	v_add_f64 v[2:3], v[2:3], v[4:5]
	s_waitcnt lgkmcnt(1)
	v_mul_f64 v[4:5], v[186:187], v[194:195]
	v_add_f64 v[34:35], v[34:35], v[38:39]
	v_mul_f64 v[38:39], v[184:185], v[194:195]
	v_fma_f64 v[4:5], v[184:185], v[196:197], -v[4:5]
	v_fmac_f64_e32 v[38:39], v[186:187], v[196:197]
	v_add_f64 v[2:3], v[2:3], v[4:5]
	s_waitcnt vmcnt(2) lgkmcnt(0)
	v_mul_f64 v[4:5], v[190:191], v[202:203]
	v_add_f64 v[34:35], v[34:35], v[38:39]
	v_mul_f64 v[38:39], v[188:189], v[202:203]
	s_waitcnt vmcnt(0)
	v_fma_f64 v[4:5], v[188:189], v[170:171], -v[4:5]
	v_fmac_f64_e32 v[38:39], v[190:191], v[170:171]
	v_add_f64 v[2:3], v[2:3], v[4:5]
	v_add_f64 v[34:35], v[34:35], v[38:39]
	v_add_f64 v[2:3], v[20:21], -v[2:3]
	v_add_f64 v[4:5], v[18:19], -v[34:35]
	buffer_store_dword v3, off, s[0:3], 0 offset:52
	buffer_store_dword v2, off, s[0:3], 0 offset:48
	;; [unrolled: 1-line block ×4, first 2 shown]
	s_and_saveexec_b64 s[6:7], vcc
	s_cbranch_execz .LBB91_177
; %bb.176:
	v_accvgpr_read_b32 v5, a53
	buffer_load_dword v2, v5, s[0:3], 0 offen
	buffer_load_dword v3, v5, s[0:3], 0 offen offset:4
	buffer_load_dword v4, v5, s[0:3], 0 offen offset:8
	s_nop 0
	buffer_load_dword v5, v5, s[0:3], 0 offen offset:12
	v_mov_b32_e32 v6, 0
	buffer_store_dword v6, off, s[0:3], 0 offset:32
	buffer_store_dword v6, off, s[0:3], 0 offset:36
	;; [unrolled: 1-line block ×4, first 2 shown]
	s_waitcnt vmcnt(4)
	ds_write_b128 v207, v[2:5]
.LBB91_177:
	s_or_b64 exec, exec, s[6:7]
	s_waitcnt lgkmcnt(0)
	; wave barrier
	s_waitcnt lgkmcnt(0)
	buffer_load_dword v22, off, s[0:3], 0 offset:48
	buffer_load_dword v23, off, s[0:3], 0 offset:52
	;; [unrolled: 1-line block ×64, first 2 shown]
	v_mov_b32_e32 v171, 0
	ds_read_b128 v[18:21], v171 offset:496
	ds_read_b128 v[14:17], v171 offset:512
	;; [unrolled: 1-line block ×5, first 2 shown]
	v_cmp_lt_u32_e32 vcc, 1, v206
	s_waitcnt vmcnt(60) lgkmcnt(4)
	v_mul_f64 v[34:35], v[18:19], v[26:27]
	v_fmac_f64_e32 v[34:35], v[20:21], v[22:23]
	v_add_f64 v[34:35], v[34:35], 0
	v_mul_f64 v[20:21], v[20:21], v[26:27]
	s_waitcnt vmcnt(56) lgkmcnt(3)
	v_mul_f64 v[36:37], v[14:15], v[28:29]
	v_fmac_f64_e32 v[36:37], v[16:17], v[24:25]
	s_waitcnt vmcnt(54) lgkmcnt(2)
	v_mul_f64 v[38:39], v[10:11], v[86:87]
	v_add_f64 v[34:35], v[34:35], v[36:37]
	v_fma_f64 v[18:19], v[18:19], v[22:23], -v[20:21]
	v_mul_f64 v[16:17], v[16:17], v[28:29]
	s_waitcnt vmcnt(50) lgkmcnt(1)
	v_mul_f64 v[40:41], v[6:7], v[96:97]
	v_add_f64 v[18:19], v[18:19], 0
	s_waitcnt vmcnt(48)
	v_fmac_f64_e32 v[38:39], v[12:13], v[100:101]
	v_add_f64 v[34:35], v[34:35], v[38:39]
	buffer_load_dword v143, off, s[0:3], 0 offset:316
	buffer_load_dword v142, off, s[0:3], 0 offset:312
	;; [unrolled: 1-line block ×40, first 2 shown]
	ds_read_b128 v[158:161], v171 offset:576
	ds_read_b128 v[162:165], v171 offset:592
	s_waitcnt vmcnt(62)
	v_fmac_f64_e32 v[40:41], v[8:9], v[98:99]
	v_fma_f64 v[14:15], v[14:15], v[24:25], -v[16:17]
	v_mul_f64 v[12:13], v[12:13], v[86:87]
	v_add_f64 v[34:35], v[34:35], v[40:41]
	s_waitcnt lgkmcnt(2)
	v_mul_f64 v[40:41], v[2:3], v[92:93]
	v_add_f64 v[14:15], v[18:19], v[14:15]
	v_fma_f64 v[10:11], v[10:11], v[100:101], -v[12:13]
	v_mul_f64 v[8:9], v[8:9], v[96:97]
	v_fmac_f64_e32 v[40:41], v[4:5], v[94:95]
	ds_read_b128 v[166:169], v171 offset:608
	ds_read_b128 v[172:175], v171 offset:624
	v_add_f64 v[10:11], v[14:15], v[10:11]
	v_fma_f64 v[6:7], v[6:7], v[98:99], -v[8:9]
	v_mul_f64 v[4:5], v[4:5], v[92:93]
	v_add_f64 v[6:7], v[10:11], v[6:7]
	v_fma_f64 v[2:3], v[2:3], v[94:95], -v[4:5]
	s_waitcnt lgkmcnt(3)
	v_mul_f64 v[4:5], v[160:161], v[106:107]
	v_add_f64 v[34:35], v[34:35], v[40:41]
	v_mul_f64 v[40:41], v[158:159], v[106:107]
	v_add_f64 v[2:3], v[6:7], v[2:3]
	v_fma_f64 v[4:5], v[158:159], v[108:109], -v[4:5]
	v_fmac_f64_e32 v[40:41], v[160:161], v[108:109]
	v_add_f64 v[2:3], v[2:3], v[4:5]
	s_waitcnt lgkmcnt(2)
	v_mul_f64 v[4:5], v[164:165], v[102:103]
	v_add_f64 v[34:35], v[34:35], v[40:41]
	v_mul_f64 v[40:41], v[162:163], v[102:103]
	ds_read_b128 v[176:179], v171 offset:640
	ds_read_b128 v[180:183], v171 offset:656
	v_fma_f64 v[4:5], v[162:163], v[104:105], -v[4:5]
	v_fmac_f64_e32 v[40:41], v[164:165], v[104:105]
	v_add_f64 v[2:3], v[2:3], v[4:5]
	s_waitcnt lgkmcnt(3)
	v_mul_f64 v[4:5], v[168:169], v[114:115]
	v_add_f64 v[34:35], v[34:35], v[40:41]
	v_mul_f64 v[40:41], v[166:167], v[114:115]
	v_fma_f64 v[4:5], v[166:167], v[116:117], -v[4:5]
	v_fmac_f64_e32 v[40:41], v[168:169], v[116:117]
	v_add_f64 v[2:3], v[2:3], v[4:5]
	s_waitcnt lgkmcnt(2)
	v_mul_f64 v[4:5], v[174:175], v[110:111]
	v_add_f64 v[34:35], v[34:35], v[40:41]
	v_mul_f64 v[40:41], v[172:173], v[110:111]
	ds_read_b128 v[184:187], v171 offset:672
	ds_read_b128 v[188:191], v171 offset:688
	v_fma_f64 v[4:5], v[172:173], v[112:113], -v[4:5]
	v_fmac_f64_e32 v[40:41], v[174:175], v[112:113]
	v_add_f64 v[2:3], v[2:3], v[4:5]
	s_waitcnt vmcnt(58) lgkmcnt(3)
	v_mul_f64 v[4:5], v[178:179], v[122:123]
	v_add_f64 v[34:35], v[34:35], v[40:41]
	v_mul_f64 v[40:41], v[176:177], v[122:123]
	s_waitcnt vmcnt(56)
	v_fma_f64 v[4:5], v[176:177], v[124:125], -v[4:5]
	v_fmac_f64_e32 v[40:41], v[178:179], v[124:125]
	v_add_f64 v[2:3], v[2:3], v[4:5]
	s_waitcnt lgkmcnt(2)
	v_mul_f64 v[4:5], v[182:183], v[118:119]
	v_add_f64 v[34:35], v[34:35], v[40:41]
	v_mul_f64 v[40:41], v[180:181], v[118:119]
	ds_read_b128 v[208:211], v171 offset:704
	ds_read_b128 v[212:215], v171 offset:720
	v_fma_f64 v[4:5], v[180:181], v[120:121], -v[4:5]
	v_fmac_f64_e32 v[40:41], v[182:183], v[120:121]
	v_add_f64 v[2:3], v[2:3], v[4:5]
	s_waitcnt vmcnt(50) lgkmcnt(3)
	v_mul_f64 v[4:5], v[186:187], v[130:131]
	v_add_f64 v[34:35], v[34:35], v[40:41]
	v_mul_f64 v[40:41], v[184:185], v[130:131]
	s_waitcnt vmcnt(48)
	;; [unrolled: 17-line block ×7, first 2 shown]
	v_fma_f64 v[4:5], v[240:241], v[202:203], -v[4:5]
	v_fmac_f64_e32 v[40:41], v[242:243], v[202:203]
	v_add_f64 v[2:3], v[2:3], v[4:5]
	s_waitcnt lgkmcnt(2)
	v_mul_f64 v[4:5], v[246:247], v[196:197]
	v_add_f64 v[34:35], v[34:35], v[40:41]
	v_mul_f64 v[40:41], v[244:245], v[196:197]
	v_fma_f64 v[4:5], v[244:245], v[198:199], -v[4:5]
	v_fmac_f64_e32 v[40:41], v[246:247], v[198:199]
	v_add_f64 v[2:3], v[2:3], v[4:5]
	s_waitcnt vmcnt(2) lgkmcnt(1)
	v_mul_f64 v[4:5], v[250:251], v[42:43]
	v_add_f64 v[34:35], v[34:35], v[40:41]
	v_mul_f64 v[40:41], v[248:249], v[42:43]
	s_waitcnt vmcnt(0)
	v_fma_f64 v[4:5], v[248:249], v[44:45], -v[4:5]
	v_fmac_f64_e32 v[40:41], v[250:251], v[44:45]
	v_add_f64 v[2:3], v[2:3], v[4:5]
	s_waitcnt lgkmcnt(0)
	v_mul_f64 v[4:5], v[254:255], v[204:205]
	v_add_f64 v[34:35], v[34:35], v[40:41]
	v_mul_f64 v[40:41], v[252:253], v[204:205]
	v_fma_f64 v[4:5], v[252:253], v[30:31], -v[4:5]
	v_fmac_f64_e32 v[40:41], v[254:255], v[30:31]
	v_add_f64 v[2:3], v[2:3], v[4:5]
	v_add_f64 v[34:35], v[34:35], v[40:41]
	v_add_f64 v[2:3], v[90:91], -v[2:3]
	v_add_f64 v[4:5], v[88:89], -v[34:35]
	buffer_store_dword v3, off, s[0:3], 0 offset:36
	buffer_store_dword v2, off, s[0:3], 0 offset:32
	;; [unrolled: 1-line block ×4, first 2 shown]
	s_and_saveexec_b64 s[6:7], vcc
	s_cbranch_execz .LBB91_179
; %bb.178:
	v_accvgpr_read_b32 v5, a52
	buffer_load_dword v2, v5, s[0:3], 0 offen
	buffer_load_dword v3, v5, s[0:3], 0 offen offset:4
	buffer_load_dword v4, v5, s[0:3], 0 offen offset:8
	s_nop 0
	buffer_load_dword v5, v5, s[0:3], 0 offen offset:12
	s_nop 0
	buffer_store_dword v171, off, s[0:3], 0 offset:16
	buffer_store_dword v171, off, s[0:3], 0 offset:20
	;; [unrolled: 1-line block ×4, first 2 shown]
	s_waitcnt vmcnt(4)
	ds_write_b128 v207, v[2:5]
.LBB91_179:
	s_or_b64 exec, exec, s[6:7]
	s_waitcnt lgkmcnt(0)
	; wave barrier
	s_waitcnt lgkmcnt(0)
	buffer_load_dword v26, off, s[0:3], 0 offset:32
	buffer_load_dword v27, off, s[0:3], 0 offset:36
	buffer_load_dword v28, off, s[0:3], 0 offset:40
	buffer_load_dword v29, off, s[0:3], 0 offset:44
	buffer_load_dword v86, off, s[0:3], 0 offset:56
	buffer_load_dword v87, off, s[0:3], 0 offset:60
	buffer_load_dword v88, off, s[0:3], 0 offset:72
	buffer_load_dword v89, off, s[0:3], 0 offset:76
	buffer_load_dword v95, off, s[0:3], 0 offset:108
	buffer_load_dword v94, off, s[0:3], 0 offset:104
	buffer_load_dword v97, off, s[0:3], 0 offset:100
	buffer_load_dword v99, off, s[0:3], 0 offset:92
	buffer_load_dword v98, off, s[0:3], 0 offset:88
	buffer_load_dword v104, off, s[0:3], 0 offset:48
	buffer_load_dword v105, off, s[0:3], 0 offset:52
	buffer_load_dword v102, off, s[0:3], 0 offset:64
	buffer_load_dword v103, off, s[0:3], 0 offset:68
	buffer_load_dword v101, off, s[0:3], 0 offset:84
	buffer_load_dword v100, off, s[0:3], 0 offset:80
	buffer_load_dword v96, off, s[0:3], 0 offset:96
	buffer_load_dword v92, off, s[0:3], 0 offset:16
	buffer_load_dword v93, off, s[0:3], 0 offset:20
	buffer_load_dword v90, off, s[0:3], 0 offset:24
	buffer_load_dword v91, off, s[0:3], 0 offset:28
	ds_read_b128 v[22:25], v171 offset:480
	ds_read_b128 v[18:21], v171 offset:496
	;; [unrolled: 1-line block ×6, first 2 shown]
	buffer_load_dword v107, off, s[0:3], 0 offset:140
	buffer_load_dword v106, off, s[0:3], 0 offset:136
	;; [unrolled: 1-line block ×40, first 2 shown]
	v_cmp_ne_u32_e32 vcc, 0, v206
	s_waitcnt vmcnt(60) lgkmcnt(5)
	v_mul_f64 v[30:31], v[22:23], v[28:29]
	v_fmac_f64_e32 v[30:31], v[24:25], v[26:27]
	s_waitcnt vmcnt(58) lgkmcnt(4)
	v_mul_f64 v[34:35], v[18:19], v[86:87]
	v_add_f64 v[30:31], v[30:31], 0
	s_waitcnt vmcnt(56) lgkmcnt(3)
	v_mul_f64 v[36:37], v[10:11], v[88:89]
	v_mul_f64 v[24:25], v[24:25], v[28:29]
	v_fma_f64 v[22:23], v[22:23], v[26:27], -v[24:25]
	v_add_f64 v[22:23], v[22:23], 0
	s_waitcnt vmcnt(54) lgkmcnt(1)
	v_mul_f64 v[40:41], v[2:3], v[94:95]
	s_waitcnt vmcnt(51)
	v_mul_f64 v[38:39], v[6:7], v[98:99]
	s_waitcnt vmcnt(49)
	v_fmac_f64_e32 v[34:35], v[20:21], v[104:105]
	v_add_f64 v[30:31], v[30:31], v[34:35]
	s_waitcnt vmcnt(47)
	v_fmac_f64_e32 v[36:37], v[12:13], v[102:103]
	v_add_f64 v[30:31], v[30:31], v[36:37]
	;; [unrolled: 3-line block ×3, first 2 shown]
	buffer_load_dword v147, off, s[0:3], 0 offset:300
	buffer_load_dword v146, off, s[0:3], 0 offset:296
	;; [unrolled: 1-line block ×40, first 2 shown]
	ds_read_b128 v[172:175], v171 offset:576
	buffer_load_dword v51, off, s[0:3], 0 offset:444
	buffer_load_dword v50, off, s[0:3], 0 offset:440
	buffer_load_dword v53, off, s[0:3], 0 offset:436
	buffer_load_dword v52, off, s[0:3], 0 offset:432
	v_mul_f64 v[20:21], v[20:21], v[86:87]
	v_fma_f64 v[18:19], v[18:19], v[104:105], -v[20:21]
	v_mul_f64 v[12:13], v[12:13], v[88:89]
	v_add_f64 v[18:19], v[22:23], v[18:19]
	v_fma_f64 v[10:11], v[10:11], v[102:103], -v[12:13]
	v_mul_f64 v[8:9], v[8:9], v[98:99]
	s_waitcnt vmcnt(62)
	v_fmac_f64_e32 v[40:41], v[4:5], v[96:97]
	ds_read_b128 v[176:179], v171 offset:592
	ds_read_b128 v[180:183], v171 offset:608
	v_add_f64 v[10:11], v[18:19], v[10:11]
	v_fma_f64 v[6:7], v[6:7], v[100:101], -v[8:9]
	v_mul_f64 v[4:5], v[4:5], v[94:95]
	v_add_f64 v[6:7], v[10:11], v[6:7]
	v_fma_f64 v[2:3], v[2:3], v[96:97], -v[4:5]
	s_waitcnt lgkmcnt(3)
	v_mul_f64 v[4:5], v[16:17], v[110:111]
	v_add_f64 v[30:31], v[30:31], v[40:41]
	v_mul_f64 v[40:41], v[14:15], v[110:111]
	v_add_f64 v[2:3], v[6:7], v[2:3]
	v_fma_f64 v[4:5], v[14:15], v[112:113], -v[4:5]
	v_fmac_f64_e32 v[40:41], v[16:17], v[112:113]
	v_add_f64 v[2:3], v[2:3], v[4:5]
	s_waitcnt lgkmcnt(2)
	v_mul_f64 v[4:5], v[174:175], v[106:107]
	v_add_f64 v[30:31], v[30:31], v[40:41]
	v_mul_f64 v[40:41], v[172:173], v[106:107]
	ds_read_b128 v[184:187], v171 offset:624
	ds_read_b128 v[188:191], v171 offset:640
	v_fma_f64 v[4:5], v[172:173], v[108:109], -v[4:5]
	v_fmac_f64_e32 v[40:41], v[174:175], v[108:109]
	v_add_f64 v[2:3], v[2:3], v[4:5]
	s_waitcnt lgkmcnt(3)
	v_mul_f64 v[4:5], v[178:179], v[118:119]
	v_add_f64 v[30:31], v[30:31], v[40:41]
	v_mul_f64 v[40:41], v[176:177], v[118:119]
	v_fma_f64 v[4:5], v[176:177], v[120:121], -v[4:5]
	v_fmac_f64_e32 v[40:41], v[178:179], v[120:121]
	v_add_f64 v[2:3], v[2:3], v[4:5]
	s_waitcnt lgkmcnt(2)
	v_mul_f64 v[4:5], v[182:183], v[114:115]
	v_add_f64 v[30:31], v[30:31], v[40:41]
	v_mul_f64 v[40:41], v[180:181], v[114:115]
	ds_read_b128 v[208:211], v171 offset:656
	ds_read_b128 v[212:215], v171 offset:672
	v_fma_f64 v[4:5], v[180:181], v[116:117], -v[4:5]
	v_fmac_f64_e32 v[40:41], v[182:183], v[116:117]
	v_add_f64 v[2:3], v[2:3], v[4:5]
	s_waitcnt lgkmcnt(3)
	v_mul_f64 v[4:5], v[186:187], v[126:127]
	v_add_f64 v[30:31], v[30:31], v[40:41]
	v_mul_f64 v[40:41], v[184:185], v[126:127]
	s_waitcnt vmcnt(60)
	v_fma_f64 v[4:5], v[184:185], v[128:129], -v[4:5]
	v_fmac_f64_e32 v[40:41], v[186:187], v[128:129]
	v_add_f64 v[2:3], v[2:3], v[4:5]
	s_waitcnt lgkmcnt(2)
	v_mul_f64 v[4:5], v[190:191], v[122:123]
	v_add_f64 v[30:31], v[30:31], v[40:41]
	v_mul_f64 v[40:41], v[188:189], v[122:123]
	ds_read_b128 v[216:219], v171 offset:688
	ds_read_b128 v[220:223], v171 offset:704
	v_fma_f64 v[4:5], v[188:189], v[124:125], -v[4:5]
	v_fmac_f64_e32 v[40:41], v[190:191], v[124:125]
	v_add_f64 v[2:3], v[2:3], v[4:5]
	s_waitcnt vmcnt(54) lgkmcnt(3)
	v_mul_f64 v[4:5], v[210:211], v[134:135]
	v_add_f64 v[30:31], v[30:31], v[40:41]
	v_mul_f64 v[40:41], v[208:209], v[134:135]
	s_waitcnt vmcnt(52)
	v_fma_f64 v[4:5], v[208:209], v[136:137], -v[4:5]
	v_fmac_f64_e32 v[40:41], v[210:211], v[136:137]
	v_add_f64 v[2:3], v[2:3], v[4:5]
	s_waitcnt lgkmcnt(2)
	v_mul_f64 v[4:5], v[214:215], v[130:131]
	v_add_f64 v[30:31], v[30:31], v[40:41]
	v_mul_f64 v[40:41], v[212:213], v[130:131]
	ds_read_b128 v[224:227], v171 offset:720
	ds_read_b128 v[228:231], v171 offset:736
	v_fma_f64 v[4:5], v[212:213], v[132:133], -v[4:5]
	v_fmac_f64_e32 v[40:41], v[214:215], v[132:133]
	v_add_f64 v[2:3], v[2:3], v[4:5]
	s_waitcnt vmcnt(46) lgkmcnt(3)
	;; [unrolled: 17-line block ×6, first 2 shown]
	v_mul_f64 v[4:5], v[250:251], v[38:39]
	v_add_f64 v[30:31], v[30:31], v[40:41]
	v_mul_f64 v[40:41], v[248:249], v[38:39]
	s_waitcnt vmcnt(12)
	v_fma_f64 v[4:5], v[248:249], v[42:43], -v[4:5]
	v_fmac_f64_e32 v[40:41], v[250:251], v[42:43]
	v_add_f64 v[2:3], v[2:3], v[4:5]
	s_waitcnt lgkmcnt(2)
	v_mul_f64 v[4:5], v[254:255], v[34:35]
	v_add_f64 v[30:31], v[30:31], v[40:41]
	v_mul_f64 v[40:41], v[252:253], v[34:35]
	ds_read_b128 v[200:203], v171 offset:880
	v_fma_f64 v[4:5], v[252:253], v[36:37], -v[4:5]
	v_fmac_f64_e32 v[40:41], v[254:255], v[36:37]
	v_add_f64 v[2:3], v[2:3], v[4:5]
	s_waitcnt vmcnt(6) lgkmcnt(2)
	v_mul_f64 v[4:5], v[194:195], v[46:47]
	v_add_f64 v[30:31], v[30:31], v[40:41]
	v_mul_f64 v[40:41], v[192:193], v[46:47]
	s_waitcnt vmcnt(4)
	v_fma_f64 v[4:5], v[192:193], v[48:49], -v[4:5]
	v_fmac_f64_e32 v[40:41], v[194:195], v[48:49]
	v_add_f64 v[2:3], v[2:3], v[4:5]
	s_waitcnt lgkmcnt(1)
	v_mul_f64 v[4:5], v[198:199], v[44:45]
	v_add_f64 v[30:31], v[30:31], v[40:41]
	v_mul_f64 v[40:41], v[196:197], v[44:45]
	v_fma_f64 v[4:5], v[196:197], v[204:205], -v[4:5]
	v_fmac_f64_e32 v[40:41], v[198:199], v[204:205]
	v_add_f64 v[2:3], v[2:3], v[4:5]
	s_waitcnt vmcnt(2) lgkmcnt(0)
	v_mul_f64 v[4:5], v[202:203], v[50:51]
	v_add_f64 v[30:31], v[30:31], v[40:41]
	v_mul_f64 v[40:41], v[200:201], v[50:51]
	s_waitcnt vmcnt(0)
	v_fma_f64 v[4:5], v[200:201], v[52:53], -v[4:5]
	v_fmac_f64_e32 v[40:41], v[202:203], v[52:53]
	v_add_f64 v[2:3], v[2:3], v[4:5]
	v_add_f64 v[30:31], v[30:31], v[40:41]
	v_add_f64 v[2:3], v[92:93], -v[2:3]
	v_add_f64 v[4:5], v[90:91], -v[30:31]
	buffer_store_dword v3, off, s[0:3], 0 offset:20
	buffer_store_dword v2, off, s[0:3], 0 offset:16
	;; [unrolled: 1-line block ×4, first 2 shown]
	s_and_saveexec_b64 s[6:7], vcc
	s_cbranch_execz .LBB91_181
; %bb.180:
	buffer_load_dword v2, off, s[0:3], 0
	buffer_load_dword v3, off, s[0:3], 0 offset:4
	buffer_load_dword v4, off, s[0:3], 0 offset:8
	;; [unrolled: 1-line block ×3, first 2 shown]
	v_mov_b32_e32 v6, 0
	buffer_store_dword v6, off, s[0:3], 0
	buffer_store_dword v6, off, s[0:3], 0 offset:4
	buffer_store_dword v6, off, s[0:3], 0 offset:8
	;; [unrolled: 1-line block ×3, first 2 shown]
	s_waitcnt vmcnt(4)
	ds_write_b128 v207, v[2:5]
.LBB91_181:
	s_or_b64 exec, exec, s[6:7]
	s_waitcnt lgkmcnt(0)
	; wave barrier
	s_waitcnt lgkmcnt(0)
	buffer_load_dword v86, off, s[0:3], 0 offset:16
	buffer_load_dword v87, off, s[0:3], 0 offset:20
	;; [unrolled: 1-line block ×28, first 2 shown]
	buffer_load_dword v102, off, s[0:3], 0
	buffer_load_dword v103, off, s[0:3], 0 offset:4
	buffer_load_dword v100, off, s[0:3], 0 offset:8
	buffer_load_dword v101, off, s[0:3], 0 offset:12
	buffer_load_dword v119, off, s[0:3], 0 offset:156
	buffer_load_dword v118, off, s[0:3], 0 offset:152
	buffer_load_dword v121, off, s[0:3], 0 offset:148
	buffer_load_dword v120, off, s[0:3], 0 offset:144
	buffer_load_dword v123, off, s[0:3], 0 offset:140
	buffer_load_dword v122, off, s[0:3], 0 offset:136
	buffer_load_dword v125, off, s[0:3], 0 offset:132
	buffer_load_dword v124, off, s[0:3], 0 offset:128
	buffer_load_dword v127, off, s[0:3], 0 offset:188
	buffer_load_dword v126, off, s[0:3], 0 offset:184
	buffer_load_dword v129, off, s[0:3], 0 offset:180
	buffer_load_dword v128, off, s[0:3], 0 offset:176
	buffer_load_dword v131, off, s[0:3], 0 offset:172
	buffer_load_dword v130, off, s[0:3], 0 offset:168
	buffer_load_dword v133, off, s[0:3], 0 offset:164
	buffer_load_dword v132, off, s[0:3], 0 offset:160
	buffer_load_dword v135, off, s[0:3], 0 offset:220
	buffer_load_dword v134, off, s[0:3], 0 offset:216
	buffer_load_dword v137, off, s[0:3], 0 offset:212
	buffer_load_dword v136, off, s[0:3], 0 offset:208
	buffer_load_dword v139, off, s[0:3], 0 offset:204
	buffer_load_dword v138, off, s[0:3], 0 offset:200
	buffer_load_dword v141, off, s[0:3], 0 offset:196
	buffer_load_dword v140, off, s[0:3], 0 offset:192
	v_mov_b32_e32 v207, 0
	ds_read_b128 v[26:29], v207 offset:464
	ds_read_b128 v[22:25], v207 offset:480
	;; [unrolled: 1-line block ×7, first 2 shown]
	s_and_b64 vcc, exec, s[18:19]
	s_waitcnt vmcnt(52) lgkmcnt(6)
	v_mul_f64 v[30:31], v[26:27], v[90:91]
	v_fmac_f64_e32 v[30:31], v[28:29], v[86:87]
	v_add_f64 v[30:31], v[30:31], 0
	v_mul_f64 v[28:29], v[28:29], v[90:91]
	s_waitcnt vmcnt(48) lgkmcnt(5)
	v_mul_f64 v[34:35], v[22:23], v[92:93]
	v_fmac_f64_e32 v[34:35], v[24:25], v[88:89]
	s_waitcnt vmcnt(46) lgkmcnt(4)
	v_mul_f64 v[36:37], v[18:19], v[94:95]
	v_add_f64 v[30:31], v[30:31], v[34:35]
	s_waitcnt vmcnt(44) lgkmcnt(2)
	v_mul_f64 v[40:41], v[10:11], v[96:97]
	v_fma_f64 v[26:27], v[26:27], v[86:87], -v[28:29]
	s_waitcnt vmcnt(42)
	v_fmac_f64_e32 v[40:41], v[12:13], v[98:99]
	v_mul_f64 v[24:25], v[24:25], v[92:93]
	s_waitcnt vmcnt(40)
	v_mul_f64 v[38:39], v[14:15], v[104:105]
	v_add_f64 v[26:27], v[26:27], 0
	v_fma_f64 v[22:23], v[22:23], v[88:89], -v[24:25]
	v_add_f64 v[22:23], v[26:27], v[22:23]
	s_waitcnt vmcnt(36) lgkmcnt(1)
	v_mul_f64 v[166:167], v[6:7], v[110:111]
	v_mul_f64 v[12:13], v[12:13], v[96:97]
	s_waitcnt vmcnt(34)
	v_fmac_f64_e32 v[36:37], v[20:21], v[116:117]
	v_add_f64 v[30:31], v[30:31], v[36:37]
	s_waitcnt vmcnt(32)
	v_fmac_f64_e32 v[38:39], v[16:17], v[114:115]
	v_add_f64 v[30:31], v[30:31], v[38:39]
	v_add_f64 v[172:173], v[30:31], v[40:41]
	buffer_load_dword v143, off, s[0:3], 0 offset:252
	buffer_load_dword v142, off, s[0:3], 0 offset:248
	;; [unrolled: 1-line block ×56, first 2 shown]
	ds_read_b128 v[180:183], v207 offset:576
	ds_read_b128 v[184:187], v207 offset:592
	s_waitcnt vmcnt(62)
	v_fmac_f64_e32 v[166:167], v[8:9], v[112:113]
	s_waitcnt lgkmcnt(2)
	v_mul_f64 v[36:37], v[2:3], v[106:107]
	v_mul_f64 v[20:21], v[20:21], v[94:95]
	v_add_f64 v[34:35], v[172:173], v[166:167]
	v_fmac_f64_e32 v[36:37], v[4:5], v[108:109]
	ds_read_b128 v[188:191], v207 offset:608
	ds_read_b128 v[192:195], v207 offset:624
	v_fma_f64 v[18:19], v[18:19], v[116:117], -v[20:21]
	v_mul_f64 v[16:17], v[16:17], v[104:105]
	v_add_f64 v[34:35], v[34:35], v[36:37]
	s_waitcnt lgkmcnt(3)
	v_mul_f64 v[36:37], v[180:181], v[122:123]
	v_add_f64 v[18:19], v[22:23], v[18:19]
	v_fma_f64 v[14:15], v[14:15], v[114:115], -v[16:17]
	v_fmac_f64_e32 v[36:37], v[182:183], v[124:125]
	v_add_f64 v[14:15], v[18:19], v[14:15]
	v_fma_f64 v[10:11], v[10:11], v[98:99], -v[12:13]
	v_mul_f64 v[8:9], v[8:9], v[110:111]
	v_add_f64 v[34:35], v[34:35], v[36:37]
	s_waitcnt lgkmcnt(2)
	v_mul_f64 v[36:37], v[184:185], v[118:119]
	v_add_f64 v[10:11], v[14:15], v[10:11]
	v_fma_f64 v[6:7], v[6:7], v[112:113], -v[8:9]
	v_mul_f64 v[4:5], v[4:5], v[106:107]
	v_fmac_f64_e32 v[36:37], v[186:187], v[120:121]
	ds_read_b128 v[196:199], v207 offset:640
	ds_read_b128 v[200:203], v207 offset:656
	v_add_f64 v[6:7], v[10:11], v[6:7]
	v_fma_f64 v[2:3], v[2:3], v[108:109], -v[4:5]
	v_mul_f64 v[4:5], v[182:183], v[122:123]
	v_add_f64 v[34:35], v[34:35], v[36:37]
	s_waitcnt lgkmcnt(3)
	v_mul_f64 v[36:37], v[188:189], v[130:131]
	v_add_f64 v[2:3], v[6:7], v[2:3]
	v_fma_f64 v[4:5], v[180:181], v[124:125], -v[4:5]
	v_fmac_f64_e32 v[36:37], v[190:191], v[132:133]
	v_add_f64 v[2:3], v[2:3], v[4:5]
	v_mul_f64 v[4:5], v[186:187], v[118:119]
	v_add_f64 v[34:35], v[34:35], v[36:37]
	s_waitcnt lgkmcnt(2)
	v_mul_f64 v[36:37], v[192:193], v[126:127]
	v_fma_f64 v[4:5], v[184:185], v[120:121], -v[4:5]
	v_fmac_f64_e32 v[36:37], v[194:195], v[128:129]
	ds_read_b128 v[208:211], v207 offset:672
	ds_read_b128 v[212:215], v207 offset:688
	v_add_f64 v[2:3], v[2:3], v[4:5]
	v_mul_f64 v[4:5], v[190:191], v[130:131]
	v_add_f64 v[34:35], v[34:35], v[36:37]
	s_waitcnt vmcnt(58) lgkmcnt(3)
	v_mul_f64 v[36:37], v[196:197], v[138:139]
	v_fma_f64 v[4:5], v[188:189], v[132:133], -v[4:5]
	s_waitcnt vmcnt(56)
	v_fmac_f64_e32 v[36:37], v[198:199], v[140:141]
	v_add_f64 v[2:3], v[2:3], v[4:5]
	v_mul_f64 v[4:5], v[194:195], v[126:127]
	v_add_f64 v[34:35], v[34:35], v[36:37]
	s_waitcnt lgkmcnt(2)
	v_mul_f64 v[36:37], v[200:201], v[134:135]
	v_fma_f64 v[4:5], v[192:193], v[128:129], -v[4:5]
	v_fmac_f64_e32 v[36:37], v[202:203], v[136:137]
	ds_read_b128 v[216:219], v207 offset:704
	ds_read_b128 v[220:223], v207 offset:720
	v_add_f64 v[2:3], v[2:3], v[4:5]
	v_mul_f64 v[4:5], v[198:199], v[138:139]
	v_add_f64 v[34:35], v[34:35], v[36:37]
	s_waitcnt vmcnt(50) lgkmcnt(3)
	v_mul_f64 v[36:37], v[208:209], v[146:147]
	v_fma_f64 v[4:5], v[196:197], v[140:141], -v[4:5]
	s_waitcnt vmcnt(48)
	;; [unrolled: 17-line block ×6, first 2 shown]
	v_fmac_f64_e32 v[36:37], v[242:243], v[44:45]
	v_add_f64 v[2:3], v[2:3], v[4:5]
	v_mul_f64 v[4:5], v[238:239], v[168:169]
	v_add_f64 v[34:35], v[34:35], v[36:37]
	s_waitcnt lgkmcnt(2)
	v_mul_f64 v[36:37], v[244:245], v[178:179]
	v_fma_f64 v[4:5], v[236:237], v[170:171], -v[4:5]
	v_fmac_f64_e32 v[36:37], v[246:247], v[30:31]
	v_add_f64 v[2:3], v[2:3], v[4:5]
	v_mul_f64 v[4:5], v[242:243], v[42:43]
	v_add_f64 v[34:35], v[34:35], v[36:37]
	s_waitcnt vmcnt(10) lgkmcnt(1)
	v_mul_f64 v[36:37], v[248:249], v[50:51]
	v_fma_f64 v[4:5], v[240:241], v[44:45], -v[4:5]
	s_waitcnt vmcnt(8)
	v_fmac_f64_e32 v[36:37], v[250:251], v[52:53]
	v_add_f64 v[2:3], v[2:3], v[4:5]
	v_mul_f64 v[4:5], v[246:247], v[178:179]
	v_add_f64 v[166:167], v[34:35], v[36:37]
	ds_read_b128 v[34:37], v207 offset:864
	ds_read_b128 v[38:41], v207 offset:880
	v_fma_f64 v[4:5], v[244:245], v[30:31], -v[4:5]
	v_add_f64 v[2:3], v[2:3], v[4:5]
	v_mul_f64 v[4:5], v[250:251], v[50:51]
	v_fma_f64 v[4:5], v[248:249], v[52:53], -v[4:5]
	v_add_f64 v[2:3], v[2:3], v[4:5]
	s_waitcnt lgkmcnt(2)
	v_mul_f64 v[4:5], v[254:255], v[46:47]
	v_mul_f64 v[172:173], v[252:253], v[46:47]
	v_fma_f64 v[4:5], v[252:253], v[48:49], -v[4:5]
	v_fmac_f64_e32 v[172:173], v[254:255], v[48:49]
	v_add_f64 v[2:3], v[2:3], v[4:5]
	s_waitcnt vmcnt(2) lgkmcnt(1)
	v_mul_f64 v[4:5], v[36:37], v[56:57]
	v_add_f64 v[166:167], v[166:167], v[172:173]
	v_mul_f64 v[172:173], v[34:35], v[56:57]
	s_waitcnt vmcnt(0)
	v_fma_f64 v[4:5], v[34:35], v[58:59], -v[4:5]
	v_fmac_f64_e32 v[172:173], v[36:37], v[58:59]
	v_add_f64 v[2:3], v[2:3], v[4:5]
	s_waitcnt lgkmcnt(0)
	v_mul_f64 v[4:5], v[40:41], v[204:205]
	v_add_f64 v[166:167], v[166:167], v[172:173]
	v_mul_f64 v[172:173], v[38:39], v[204:205]
	v_fma_f64 v[4:5], v[38:39], v[54:55], -v[4:5]
	v_fmac_f64_e32 v[172:173], v[40:41], v[54:55]
	v_add_f64 v[2:3], v[2:3], v[4:5]
	v_add_f64 v[166:167], v[166:167], v[172:173]
	v_add_f64 v[2:3], v[102:103], -v[2:3]
	v_add_f64 v[4:5], v[100:101], -v[166:167]
	buffer_store_dword v3, off, s[0:3], 0 offset:4
	buffer_store_dword v2, off, s[0:3], 0
	buffer_store_dword v5, off, s[0:3], 0 offset:12
	buffer_store_dword v4, off, s[0:3], 0 offset:8
	s_cbranch_vccz .LBB91_237
; %bb.182:
	v_pk_mov_b32 v[2:3], s[16:17], s[16:17] op_sel:[0,1]
	flat_load_dword v2, v[2:3] offset:104
	s_load_dwordx2 s[4:5], s[4:5], 0x4
	v_bfe_u32 v4, v0, 10, 10
	v_bfe_u32 v0, v0, 20, 10
	s_waitcnt lgkmcnt(0)
	s_lshr_b32 s4, s4, 16
	s_mul_i32 s4, s4, s5
	v_mul_u32_u24_e32 v3, s4, v206
	v_mul_u32_u24_e32 v4, s5, v4
	v_add3_u32 v0, v3, v4, v0
	v_mov_b32_e32 v3, 0x388
	v_lshl_add_u32 v0, v0, 4, v3
	s_waitcnt vmcnt(0)
	v_add_u32_e32 v2, -1, v2
	v_cmp_ne_u32_e32 vcc, 26, v2
	s_and_saveexec_b64 s[4:5], vcc
	s_cbranch_execz .LBB91_184
; %bb.183:
	v_mov_b32_e32 v3, 0
	v_accvgpr_read_b32 v11, a29
	v_lshl_add_u32 v6, v2, 4, v3
	buffer_load_dword v2, v11, s[0:3], 0 offen
	buffer_load_dword v3, v11, s[0:3], 0 offen offset:4
	buffer_load_dword v4, v11, s[0:3], 0 offen offset:8
	buffer_load_dword v5, v11, s[0:3], 0 offen offset:12
	buffer_load_dword v7, v6, s[0:3], 0 offen
	buffer_load_dword v8, v6, s[0:3], 0 offen offset:4
	buffer_load_dword v9, v6, s[0:3], 0 offen offset:8
	buffer_load_dword v10, v6, s[0:3], 0 offen offset:12
	s_waitcnt vmcnt(4)
	ds_write2_b64 v0, v[2:3], v[4:5] offset1:1
	s_waitcnt vmcnt(3)
	buffer_store_dword v7, v11, s[0:3], 0 offen
	s_waitcnt vmcnt(3)
	buffer_store_dword v8, v11, s[0:3], 0 offen offset:4
	s_waitcnt vmcnt(3)
	buffer_store_dword v9, v11, s[0:3], 0 offen offset:8
	s_waitcnt vmcnt(3)
	buffer_store_dword v10, v11, s[0:3], 0 offen offset:12
	buffer_store_dword v5, v6, s[0:3], 0 offen offset:12
	buffer_store_dword v4, v6, s[0:3], 0 offen offset:8
	buffer_store_dword v3, v6, s[0:3], 0 offen offset:4
	buffer_store_dword v2, v6, s[0:3], 0 offen
.LBB91_184:
	s_or_b64 exec, exec, s[4:5]
	v_pk_mov_b32 v[2:3], s[16:17], s[16:17] op_sel:[0,1]
	flat_load_dword v2, v[2:3] offset:100
	s_waitcnt vmcnt(0) lgkmcnt(0)
	v_add_u32_e32 v2, -1, v2
	v_cmp_ne_u32_e32 vcc, 25, v2
	s_and_saveexec_b64 s[4:5], vcc
	s_cbranch_execz .LBB91_186
; %bb.185:
	v_mov_b32_e32 v3, 0
	v_accvgpr_read_b32 v11, a30
	v_lshl_add_u32 v6, v2, 4, v3
	buffer_load_dword v2, v11, s[0:3], 0 offen
	buffer_load_dword v3, v11, s[0:3], 0 offen offset:4
	buffer_load_dword v4, v11, s[0:3], 0 offen offset:8
	buffer_load_dword v5, v11, s[0:3], 0 offen offset:12
	buffer_load_dword v7, v6, s[0:3], 0 offen
	buffer_load_dword v8, v6, s[0:3], 0 offen offset:4
	buffer_load_dword v9, v6, s[0:3], 0 offen offset:8
	buffer_load_dword v10, v6, s[0:3], 0 offen offset:12
	s_waitcnt vmcnt(4)
	ds_write2_b64 v0, v[2:3], v[4:5] offset1:1
	s_waitcnt vmcnt(3)
	buffer_store_dword v7, v11, s[0:3], 0 offen
	s_waitcnt vmcnt(3)
	buffer_store_dword v8, v11, s[0:3], 0 offen offset:4
	s_waitcnt vmcnt(3)
	buffer_store_dword v9, v11, s[0:3], 0 offen offset:8
	s_waitcnt vmcnt(3)
	buffer_store_dword v10, v11, s[0:3], 0 offen offset:12
	buffer_store_dword v5, v6, s[0:3], 0 offen offset:12
	buffer_store_dword v4, v6, s[0:3], 0 offen offset:8
	buffer_store_dword v3, v6, s[0:3], 0 offen offset:4
	buffer_store_dword v2, v6, s[0:3], 0 offen
.LBB91_186:
	s_or_b64 exec, exec, s[4:5]
	v_pk_mov_b32 v[2:3], s[16:17], s[16:17] op_sel:[0,1]
	flat_load_dword v2, v[2:3] offset:96
	s_waitcnt vmcnt(0) lgkmcnt(0)
	;; [unrolled: 35-line block ×23, first 2 shown]
	v_add_u32_e32 v2, -1, v2
	v_cmp_ne_u32_e32 vcc, 3, v2
	s_and_saveexec_b64 s[4:5], vcc
	s_cbranch_execz .LBB91_230
; %bb.229:
	v_mov_b32_e32 v3, 0
	v_lshl_add_u32 v6, v2, 4, v3
	buffer_load_dword v2, v1, s[0:3], 0 offen
	buffer_load_dword v3, v1, s[0:3], 0 offen offset:4
	buffer_load_dword v4, v1, s[0:3], 0 offen offset:8
	;; [unrolled: 1-line block ×3, first 2 shown]
	buffer_load_dword v7, v6, s[0:3], 0 offen
	buffer_load_dword v8, v6, s[0:3], 0 offen offset:4
	buffer_load_dword v9, v6, s[0:3], 0 offen offset:8
	;; [unrolled: 1-line block ×3, first 2 shown]
	s_waitcnt vmcnt(4)
	ds_write2_b64 v0, v[2:3], v[4:5] offset1:1
	s_waitcnt vmcnt(3)
	buffer_store_dword v7, v1, s[0:3], 0 offen
	s_waitcnt vmcnt(3)
	buffer_store_dword v8, v1, s[0:3], 0 offen offset:4
	s_waitcnt vmcnt(3)
	buffer_store_dword v9, v1, s[0:3], 0 offen offset:8
	;; [unrolled: 2-line block ×3, first 2 shown]
	buffer_store_dword v5, v6, s[0:3], 0 offen offset:12
	buffer_store_dword v4, v6, s[0:3], 0 offen offset:8
	;; [unrolled: 1-line block ×3, first 2 shown]
	buffer_store_dword v2, v6, s[0:3], 0 offen
.LBB91_230:
	s_or_b64 exec, exec, s[4:5]
	v_pk_mov_b32 v[2:3], s[16:17], s[16:17] op_sel:[0,1]
	flat_load_dword v2, v[2:3] offset:8
	s_waitcnt vmcnt(0) lgkmcnt(0)
	v_add_u32_e32 v2, -1, v2
	v_cmp_ne_u32_e32 vcc, 2, v2
	s_and_saveexec_b64 s[4:5], vcc
	s_cbranch_execz .LBB91_232
; %bb.231:
	v_mov_b32_e32 v3, 0
	v_accvgpr_read_b32 v11, a53
	v_lshl_add_u32 v6, v2, 4, v3
	buffer_load_dword v2, v11, s[0:3], 0 offen
	buffer_load_dword v3, v11, s[0:3], 0 offen offset:4
	buffer_load_dword v4, v11, s[0:3], 0 offen offset:8
	;; [unrolled: 1-line block ×3, first 2 shown]
	buffer_load_dword v7, v6, s[0:3], 0 offen
	buffer_load_dword v8, v6, s[0:3], 0 offen offset:4
	buffer_load_dword v9, v6, s[0:3], 0 offen offset:8
	;; [unrolled: 1-line block ×3, first 2 shown]
	s_waitcnt vmcnt(4)
	ds_write2_b64 v0, v[2:3], v[4:5] offset1:1
	s_waitcnt vmcnt(3)
	buffer_store_dword v7, v11, s[0:3], 0 offen
	s_waitcnt vmcnt(3)
	buffer_store_dword v8, v11, s[0:3], 0 offen offset:4
	s_waitcnt vmcnt(3)
	buffer_store_dword v9, v11, s[0:3], 0 offen offset:8
	;; [unrolled: 2-line block ×3, first 2 shown]
	buffer_store_dword v5, v6, s[0:3], 0 offen offset:12
	buffer_store_dword v4, v6, s[0:3], 0 offen offset:8
	;; [unrolled: 1-line block ×3, first 2 shown]
	buffer_store_dword v2, v6, s[0:3], 0 offen
.LBB91_232:
	s_or_b64 exec, exec, s[4:5]
	v_pk_mov_b32 v[2:3], s[16:17], s[16:17] op_sel:[0,1]
	flat_load_dword v2, v[2:3] offset:4
	s_waitcnt vmcnt(0) lgkmcnt(0)
	v_add_u32_e32 v2, -1, v2
	v_cmp_ne_u32_e32 vcc, 1, v2
	s_and_saveexec_b64 s[4:5], vcc
	s_cbranch_execz .LBB91_234
; %bb.233:
	v_mov_b32_e32 v3, 0
	v_accvgpr_read_b32 v11, a52
	v_lshl_add_u32 v6, v2, 4, v3
	buffer_load_dword v2, v11, s[0:3], 0 offen
	buffer_load_dword v3, v11, s[0:3], 0 offen offset:4
	buffer_load_dword v4, v11, s[0:3], 0 offen offset:8
	;; [unrolled: 1-line block ×3, first 2 shown]
	buffer_load_dword v7, v6, s[0:3], 0 offen
	buffer_load_dword v8, v6, s[0:3], 0 offen offset:4
	buffer_load_dword v9, v6, s[0:3], 0 offen offset:8
	buffer_load_dword v10, v6, s[0:3], 0 offen offset:12
	s_waitcnt vmcnt(4)
	ds_write2_b64 v0, v[2:3], v[4:5] offset1:1
	s_waitcnt vmcnt(3)
	buffer_store_dword v7, v11, s[0:3], 0 offen
	s_waitcnt vmcnt(3)
	buffer_store_dword v8, v11, s[0:3], 0 offen offset:4
	s_waitcnt vmcnt(3)
	buffer_store_dword v9, v11, s[0:3], 0 offen offset:8
	;; [unrolled: 2-line block ×3, first 2 shown]
	buffer_store_dword v5, v6, s[0:3], 0 offen offset:12
	buffer_store_dword v4, v6, s[0:3], 0 offen offset:8
	;; [unrolled: 1-line block ×3, first 2 shown]
	buffer_store_dword v2, v6, s[0:3], 0 offen
.LBB91_234:
	s_or_b64 exec, exec, s[4:5]
	v_pk_mov_b32 v[2:3], s[16:17], s[16:17] op_sel:[0,1]
	flat_load_dword v2, v[2:3]
	s_waitcnt vmcnt(0) lgkmcnt(0)
	v_add_u32_e32 v2, -1, v2
	v_cmp_ne_u32_e32 vcc, 0, v2
	s_and_saveexec_b64 s[4:5], vcc
	s_cbranch_execz .LBB91_236
; %bb.235:
	v_mov_b32_e32 v3, 0
	v_lshl_add_u32 v6, v2, 4, v3
	buffer_load_dword v2, off, s[0:3], 0
	buffer_load_dword v3, off, s[0:3], 0 offset:4
	buffer_load_dword v4, off, s[0:3], 0 offset:8
	;; [unrolled: 1-line block ×3, first 2 shown]
	buffer_load_dword v7, v6, s[0:3], 0 offen
	buffer_load_dword v8, v6, s[0:3], 0 offen offset:4
	buffer_load_dword v9, v6, s[0:3], 0 offen offset:8
	;; [unrolled: 1-line block ×3, first 2 shown]
	s_waitcnt vmcnt(4)
	ds_write2_b64 v0, v[2:3], v[4:5] offset1:1
	s_waitcnt vmcnt(3)
	buffer_store_dword v7, off, s[0:3], 0
	s_waitcnt vmcnt(3)
	buffer_store_dword v8, off, s[0:3], 0 offset:4
	s_waitcnt vmcnt(3)
	buffer_store_dword v9, off, s[0:3], 0 offset:8
	;; [unrolled: 2-line block ×3, first 2 shown]
	buffer_store_dword v5, v6, s[0:3], 0 offen offset:12
	buffer_store_dword v4, v6, s[0:3], 0 offen offset:8
	buffer_store_dword v3, v6, s[0:3], 0 offen offset:4
	buffer_store_dword v2, v6, s[0:3], 0 offen
.LBB91_236:
	s_or_b64 exec, exec, s[4:5]
.LBB91_237:
	v_accvgpr_read_b32 v0, a52
	buffer_load_dword v2, off, s[0:3], 0
	buffer_load_dword v3, off, s[0:3], 0 offset:4
	buffer_load_dword v4, off, s[0:3], 0 offset:8
	;; [unrolled: 1-line block ×3, first 2 shown]
	buffer_load_dword v7, v0, s[0:3], 0 offen offset:4
	buffer_load_dword v8, v0, s[0:3], 0 offen offset:8
	;; [unrolled: 1-line block ×3, first 2 shown]
	v_accvgpr_read_b32 v21, a53
	buffer_load_dword v10, v21, s[0:3], 0 offen
	buffer_load_dword v11, v21, s[0:3], 0 offen offset:4
	buffer_load_dword v12, v21, s[0:3], 0 offen offset:8
	buffer_load_dword v6, v0, s[0:3], 0 offen
	buffer_load_dword v13, v21, s[0:3], 0 offen offset:12
	buffer_load_dword v15, v1, s[0:3], 0 offen offset:4
	;; [unrolled: 1-line block ×4, first 2 shown]
	v_accvgpr_read_b32 v30, a50
	buffer_load_dword v18, v30, s[0:3], 0 offen
	buffer_load_dword v19, v30, s[0:3], 0 offen offset:4
	buffer_load_dword v20, v30, s[0:3], 0 offen offset:8
	buffer_load_dword v14, v1, s[0:3], 0 offen
                                        ; kill: killed $vgpr21
                                        ; kill: killed $vgpr0
                                        ; kill: killed $vgpr1
	buffer_load_dword v21, v30, s[0:3], 0 offen offset:12
	v_accvgpr_read_b32 v0, a49
	buffer_load_dword v23, v0, s[0:3], 0 offen offset:4
	buffer_load_dword v24, v0, s[0:3], 0 offen offset:8
	;; [unrolled: 1-line block ×3, first 2 shown]
	v_accvgpr_read_b32 v31, a51
	buffer_load_dword v26, v31, s[0:3], 0 offen
	buffer_load_dword v27, v31, s[0:3], 0 offen offset:4
	buffer_load_dword v28, v31, s[0:3], 0 offen offset:8
	buffer_load_dword v22, v0, s[0:3], 0 offen
	buffer_load_dword v29, v31, s[0:3], 0 offen offset:12
	v_accvgpr_read_b32 v42, a47
	buffer_load_dword v35, v42, s[0:3], 0 offen offset:4
	buffer_load_dword v36, v42, s[0:3], 0 offen offset:8
	;; [unrolled: 1-line block ×3, first 2 shown]
	v_accvgpr_read_b32 v1, a45
	buffer_load_dword v38, v1, s[0:3], 0 offen
	buffer_load_dword v39, v1, s[0:3], 0 offen offset:4
	buffer_load_dword v40, v1, s[0:3], 0 offen offset:8
                                        ; kill: killed $vgpr30
                                        ; kill: killed $vgpr31
                                        ; kill: killed $vgpr0
	buffer_load_dword v34, v42, s[0:3], 0 offen
	buffer_load_dword v41, v1, s[0:3], 0 offen offset:12
	v_accvgpr_read_b32 v43, a48
	buffer_load_dword v87, v43, s[0:3], 0 offen offset:4
	buffer_load_dword v88, v43, s[0:3], 0 offen offset:8
	;; [unrolled: 1-line block ×3, first 2 shown]
	v_accvgpr_read_b32 v31, a46
	v_accvgpr_read_b32 v30, a44
	;; [unrolled: 1-line block ×3, first 2 shown]
	buffer_load_dword v90, v31, s[0:3], 0 offen
	buffer_load_dword v91, v31, s[0:3], 0 offen offset:4
	buffer_load_dword v92, v31, s[0:3], 0 offen offset:8
	buffer_load_dword v86, v43, s[0:3], 0 offen
	buffer_load_dword v93, v31, s[0:3], 0 offen offset:12
	buffer_load_dword v95, v30, s[0:3], 0 offen offset:4
	;; [unrolled: 1-line block ×4, first 2 shown]
	buffer_load_dword v98, v0, s[0:3], 0 offen
	buffer_load_dword v99, v0, s[0:3], 0 offen offset:4
                                        ; kill: killed $vgpr42
                                        ; kill: killed $vgpr43
                                        ; kill: killed $vgpr1
                                        ; kill: killed $vgpr31
	buffer_load_dword v100, v0, s[0:3], 0 offen offset:8
	buffer_load_dword v94, v30, s[0:3], 0 offen
	buffer_load_dword v101, v0, s[0:3], 0 offen offset:12
	v_accvgpr_read_b32 v1, a42
                                        ; kill: killed $vgpr0
	v_accvgpr_read_b32 v0, a41
	buffer_load_dword v103, v1, s[0:3], 0 offen offset:4
	buffer_load_dword v104, v1, s[0:3], 0 offen offset:8
	buffer_load_dword v105, v1, s[0:3], 0 offen offset:12
	buffer_load_dword v106, v0, s[0:3], 0 offen
	buffer_load_dword v107, v0, s[0:3], 0 offen offset:4
	buffer_load_dword v108, v0, s[0:3], 0 offen offset:8
	buffer_load_dword v102, v1, s[0:3], 0 offen
	buffer_load_dword v109, v0, s[0:3], 0 offen offset:12
	v_accvgpr_read_b32 v1, a40
	v_accvgpr_read_b32 v0, a39
	buffer_load_dword v111, v1, s[0:3], 0 offen offset:4
	buffer_load_dword v112, v1, s[0:3], 0 offen offset:8
	buffer_load_dword v113, v1, s[0:3], 0 offen offset:12
	buffer_load_dword v114, v0, s[0:3], 0 offen
	buffer_load_dword v115, v0, s[0:3], 0 offen offset:4
	buffer_load_dword v116, v0, s[0:3], 0 offen offset:8
	buffer_load_dword v110, v1, s[0:3], 0 offen
	buffer_load_dword v117, v0, s[0:3], 0 offen offset:12
	v_accvgpr_read_b32 v1, a38
	;; [unrolled: 10-line block ×7, first 2 shown]
	buffer_load_dword v158, v0, s[0:3], 0 offen
	buffer_load_dword v159, v0, s[0:3], 0 offen offset:4
	buffer_load_dword v160, v0, s[0:3], 0 offen offset:8
	;; [unrolled: 1-line block ×3, first 2 shown]
	v_accvgpr_read_b32 v0, a2
	v_accvgpr_read_b32 v1, a3
                                        ; kill: killed $vgpr30
	s_waitcnt vmcnt(62)
	global_store_dwordx4 v[32:33], v[2:5], off
	global_store_dwordx4 v[0:1], v[6:9], off
	v_accvgpr_read_b32 v0, a0
	v_accvgpr_read_b32 v1, a1
	global_store_dwordx4 v[0:1], v[10:13], off
	v_accvgpr_read_b32 v0, a4
	v_accvgpr_read_b32 v1, a5
	global_store_dwordx4 v[0:1], v[14:17], off
	v_accvgpr_read_b32 v0, a6
	v_accvgpr_read_b32 v1, a7
	global_store_dwordx4 v[0:1], v[18:21], off
	v_accvgpr_read_b32 v0, a8
	v_accvgpr_read_b32 v1, a9
	global_store_dwordx4 v[0:1], v[22:25], off
	v_accvgpr_read_b32 v0, a10
	v_accvgpr_read_b32 v1, a11
	global_store_dwordx4 v[0:1], v[26:29], off
	v_accvgpr_read_b32 v0, a14
	v_accvgpr_read_b32 v1, a15
	global_store_dwordx4 v[0:1], v[34:37], off
	v_accvgpr_read_b32 v0, a16
	v_accvgpr_read_b32 v1, a17
	global_store_dwordx4 v[0:1], v[38:41], off
	v_accvgpr_read_b32 v0, a18
	v_accvgpr_read_b32 v1, a19
	global_store_dwordx4 v[0:1], v[86:89], off
	v_accvgpr_read_b32 v0, a20
	v_accvgpr_read_b32 v1, a21
	global_store_dwordx4 v[0:1], v[90:93], off
	v_accvgpr_read_b32 v0, a22
	v_accvgpr_read_b32 v1, a23
	s_waitcnt vmcnt(62)
	global_store_dwordx4 v[0:1], v[94:97], off
	v_accvgpr_read_b32 v0, a24
	v_accvgpr_read_b32 v1, a25
	global_store_dwordx4 v[0:1], v[98:101], off
	v_accvgpr_read_b32 v0, a26
	v_accvgpr_read_b32 v1, a27
	global_store_dwordx4 v[0:1], v[102:105], off
	global_store_dwordx4 v[60:61], v[106:109], off
	s_waitcnt vmcnt(60)
	global_store_dwordx4 v[62:63], v[110:113], off
	s_waitcnt vmcnt(60)
	;; [unrolled: 2-line block ×12, first 2 shown]
	global_store_dwordx4 v[84:85], v[154:157], off
	v_accvgpr_read_b32 v0, a12
	v_accvgpr_read_b32 v1, a13
	s_waitcnt vmcnt(27)
	global_store_dwordx4 v[0:1], v[158:161], off
	s_endpgm
	.section	.rodata,"a",@progbits
	.p2align	6, 0x0
	.amdhsa_kernel _ZN9rocsolver6v33100L18getri_kernel_smallILi28E19rocblas_complex_numIdEPKPS3_EEvT1_iilPiilS8_bb
		.amdhsa_group_segment_fixed_size 1928
		.amdhsa_private_segment_fixed_size 464
		.amdhsa_kernarg_size 60
		.amdhsa_user_sgpr_count 10
		.amdhsa_user_sgpr_private_segment_buffer 1
		.amdhsa_user_sgpr_dispatch_ptr 1
		.amdhsa_user_sgpr_queue_ptr 0
		.amdhsa_user_sgpr_kernarg_segment_ptr 1
		.amdhsa_user_sgpr_dispatch_id 0
		.amdhsa_user_sgpr_flat_scratch_init 1
		.amdhsa_user_sgpr_kernarg_preload_length 0
		.amdhsa_user_sgpr_kernarg_preload_offset 0
		.amdhsa_user_sgpr_private_segment_size 0
		.amdhsa_uses_dynamic_stack 0
		.amdhsa_system_sgpr_private_segment_wavefront_offset 1
		.amdhsa_system_sgpr_workgroup_id_x 1
		.amdhsa_system_sgpr_workgroup_id_y 0
		.amdhsa_system_sgpr_workgroup_id_z 0
		.amdhsa_system_sgpr_workgroup_info 0
		.amdhsa_system_vgpr_workitem_id 2
		.amdhsa_next_free_vgpr 310
		.amdhsa_next_free_sgpr 24
		.amdhsa_accum_offset 256
		.amdhsa_reserve_vcc 1
		.amdhsa_reserve_flat_scratch 1
		.amdhsa_float_round_mode_32 0
		.amdhsa_float_round_mode_16_64 0
		.amdhsa_float_denorm_mode_32 3
		.amdhsa_float_denorm_mode_16_64 3
		.amdhsa_dx10_clamp 1
		.amdhsa_ieee_mode 1
		.amdhsa_fp16_overflow 0
		.amdhsa_tg_split 0
		.amdhsa_exception_fp_ieee_invalid_op 0
		.amdhsa_exception_fp_denorm_src 0
		.amdhsa_exception_fp_ieee_div_zero 0
		.amdhsa_exception_fp_ieee_overflow 0
		.amdhsa_exception_fp_ieee_underflow 0
		.amdhsa_exception_fp_ieee_inexact 0
		.amdhsa_exception_int_div_zero 0
	.end_amdhsa_kernel
	.section	.text._ZN9rocsolver6v33100L18getri_kernel_smallILi28E19rocblas_complex_numIdEPKPS3_EEvT1_iilPiilS8_bb,"axG",@progbits,_ZN9rocsolver6v33100L18getri_kernel_smallILi28E19rocblas_complex_numIdEPKPS3_EEvT1_iilPiilS8_bb,comdat
.Lfunc_end91:
	.size	_ZN9rocsolver6v33100L18getri_kernel_smallILi28E19rocblas_complex_numIdEPKPS3_EEvT1_iilPiilS8_bb, .Lfunc_end91-_ZN9rocsolver6v33100L18getri_kernel_smallILi28E19rocblas_complex_numIdEPKPS3_EEvT1_iilPiilS8_bb
                                        ; -- End function
	.section	.AMDGPU.csdata,"",@progbits
; Kernel info:
; codeLenInByte = 59196
; NumSgprs: 30
; NumVgprs: 256
; NumAgprs: 54
; TotalNumVgprs: 310
; ScratchSize: 464
; MemoryBound: 0
; FloatMode: 240
; IeeeMode: 1
; LDSByteSize: 1928 bytes/workgroup (compile time only)
; SGPRBlocks: 3
; VGPRBlocks: 38
; NumSGPRsForWavesPerEU: 30
; NumVGPRsForWavesPerEU: 310
; AccumOffset: 256
; Occupancy: 1
; WaveLimiterHint : 1
; COMPUTE_PGM_RSRC2:SCRATCH_EN: 1
; COMPUTE_PGM_RSRC2:USER_SGPR: 10
; COMPUTE_PGM_RSRC2:TRAP_HANDLER: 0
; COMPUTE_PGM_RSRC2:TGID_X_EN: 1
; COMPUTE_PGM_RSRC2:TGID_Y_EN: 0
; COMPUTE_PGM_RSRC2:TGID_Z_EN: 0
; COMPUTE_PGM_RSRC2:TIDIG_COMP_CNT: 2
; COMPUTE_PGM_RSRC3_GFX90A:ACCUM_OFFSET: 63
; COMPUTE_PGM_RSRC3_GFX90A:TG_SPLIT: 0
	.section	.text._ZN9rocsolver6v33100L18getri_kernel_smallILi29E19rocblas_complex_numIdEPKPS3_EEvT1_iilPiilS8_bb,"axG",@progbits,_ZN9rocsolver6v33100L18getri_kernel_smallILi29E19rocblas_complex_numIdEPKPS3_EEvT1_iilPiilS8_bb,comdat
	.globl	_ZN9rocsolver6v33100L18getri_kernel_smallILi29E19rocblas_complex_numIdEPKPS3_EEvT1_iilPiilS8_bb ; -- Begin function _ZN9rocsolver6v33100L18getri_kernel_smallILi29E19rocblas_complex_numIdEPKPS3_EEvT1_iilPiilS8_bb
	.p2align	8
	.type	_ZN9rocsolver6v33100L18getri_kernel_smallILi29E19rocblas_complex_numIdEPKPS3_EEvT1_iilPiilS8_bb,@function
_ZN9rocsolver6v33100L18getri_kernel_smallILi29E19rocblas_complex_numIdEPKPS3_EEvT1_iilPiilS8_bb: ; @_ZN9rocsolver6v33100L18getri_kernel_smallILi29E19rocblas_complex_numIdEPKPS3_EEvT1_iilPiilS8_bb
; %bb.0:
	s_add_u32 flat_scratch_lo, s8, s11
	s_addc_u32 flat_scratch_hi, s9, 0
	s_add_u32 s0, s0, s11
	v_and_b32_e32 v219, 0x3ff, v0
	s_addc_u32 s1, s1, 0
	v_cmp_gt_u32_e32 vcc, 29, v219
	s_and_saveexec_b64 s[8:9], vcc
	s_cbranch_execz .LBB92_130
; %bb.1:
	s_load_dword s20, s[6:7], 0x38
	s_load_dwordx2 s[8:9], s[6:7], 0x0
	s_load_dwordx4 s[12:15], s[6:7], 0x28
	s_waitcnt lgkmcnt(0)
	s_bitcmp1_b32 s20, 8
	s_cselect_b64 s[18:19], -1, 0
	s_ashr_i32 s11, s10, 31
	s_lshl_b64 s[16:17], s[10:11], 3
	s_add_u32 s8, s8, s16
	s_addc_u32 s9, s9, s17
	s_load_dwordx2 s[8:9], s[8:9], 0x0
	s_bfe_u32 s16, s20, 0x10008
	s_cmp_eq_u32 s16, 0
                                        ; implicit-def: $sgpr16_sgpr17
	s_cbranch_scc1 .LBB92_3
; %bb.2:
	s_load_dword s16, s[6:7], 0x20
	s_load_dwordx2 s[22:23], s[6:7], 0x18
	s_mul_i32 s13, s10, s13
	s_mul_hi_u32 s17, s10, s12
	s_add_i32 s13, s17, s13
	s_mul_i32 s21, s11, s12
	s_add_i32 s13, s13, s21
	s_mul_i32 s12, s10, s12
	s_waitcnt lgkmcnt(0)
	s_ashr_i32 s17, s16, 31
	s_lshl_b64 s[12:13], s[12:13], 2
	s_add_u32 s21, s22, s12
	s_addc_u32 s22, s23, s13
	s_lshl_b64 s[12:13], s[16:17], 2
	s_add_u32 s16, s21, s12
	s_addc_u32 s17, s22, s13
.LBB92_3:
	s_load_dwordx2 s[6:7], s[6:7], 0x8
	v_lshlrev_b32_e32 v96, 4, v219
	s_waitcnt lgkmcnt(0)
	s_ashr_i32 s13, s6, 31
	s_mov_b32 s12, s6
	s_lshl_b64 s[12:13], s[12:13], 4
	s_add_u32 s8, s8, s12
	s_addc_u32 s9, s9, s13
	v_mov_b32_e32 v1, s9
	v_add_co_u32_e32 v38, vcc, s8, v96
	s_ashr_i32 s13, s7, 31
	s_mov_b32 s12, s7
	s_add_i32 s6, s7, s7
	v_addc_co_u32_e32 v39, vcc, 0, v1, vcc
	s_lshl_b64 s[12:13], s[12:13], 4
	v_add_u32_e32 v2, s6, v219
	v_mov_b32_e32 v1, s13
	v_add_co_u32_e32 v10, vcc, s12, v38
	v_ashrrev_i32_e32 v3, 31, v2
	v_addc_co_u32_e32 v11, vcc, v39, v1, vcc
	v_lshlrev_b64 v[4:5], 4, v[2:3]
	global_load_dwordx4 v[6:9], v96, s[8:9]
	v_mov_b32_e32 v1, s9
	v_add_co_u32_e32 v4, vcc, s8, v4
	v_add_u32_e32 v2, s7, v2
	v_addc_co_u32_e32 v5, vcc, v1, v5, vcc
	v_accvgpr_write_b32 a2, v4
	v_ashrrev_i32_e32 v3, 31, v2
	v_accvgpr_write_b32 a3, v5
	global_load_dwordx4 v[14:17], v[4:5], off
	v_lshlrev_b64 v[4:5], 4, v[2:3]
	v_accvgpr_write_b32 a0, v10
	v_add_co_u32_e32 v4, vcc, s8, v4
	v_add_u32_e32 v2, s7, v2
	v_accvgpr_write_b32 a1, v11
	global_load_dwordx4 v[10:13], v[10:11], off
	v_addc_co_u32_e32 v5, vcc, v1, v5, vcc
	v_accvgpr_write_b32 a4, v4
	v_ashrrev_i32_e32 v3, 31, v2
	v_accvgpr_write_b32 a5, v5
	global_load_dwordx4 v[18:21], v[4:5], off
	v_add_u32_e32 v4, s7, v2
	v_lshlrev_b64 v[2:3], 4, v[2:3]
	v_ashrrev_i32_e32 v5, 31, v4
	v_add_co_u32_e32 v22, vcc, s8, v2
	v_addc_co_u32_e32 v23, vcc, v1, v3, vcc
	v_lshlrev_b64 v[2:3], 4, v[4:5]
	v_accvgpr_write_b32 a6, v22
	v_mov_b32_e32 v26, s9
	v_accvgpr_write_b32 a7, v23
	global_load_dwordx4 v[22:25], v[22:23], off
	v_add_co_u32_e32 v2, vcc, s8, v2
	v_add_u32_e32 v30, s7, v4
	v_addc_co_u32_e32 v3, vcc, v26, v3, vcc
	v_ashrrev_i32_e32 v31, 31, v30
	v_accvgpr_write_b32 a9, v3
	v_accvgpr_write_b32 a8, v2
	global_load_dwordx4 v[26:29], v[2:3], off
	v_lshlrev_b64 v[2:3], 4, v[30:31]
	v_mov_b32_e32 v32, s9
	v_add_u32_e32 v4, s7, v30
	v_add_co_u32_e32 v30, vcc, s8, v2
	v_addc_co_u32_e32 v31, vcc, v32, v3, vcc
	v_accvgpr_write_b32 a10, v30
	v_ashrrev_i32_e32 v5, 31, v4
	v_accvgpr_write_b32 a11, v31
	global_load_dwordx4 v[30:33], v[30:31], off
	v_lshlrev_b64 v[2:3], 4, v[4:5]
	v_mov_b32_e32 v34, s9
	v_add_u32_e32 v40, s7, v4
	v_add_co_u32_e32 v4, vcc, s8, v2
	v_ashrrev_i32_e32 v41, 31, v40
	v_addc_co_u32_e32 v5, vcc, v34, v3, vcc
	global_load_dwordx4 v[34:37], v[4:5], off
	v_lshlrev_b64 v[2:3], 4, v[40:41]
	v_add_co_u32_e32 v2, vcc, s8, v2
	v_addc_co_u32_e32 v3, vcc, v1, v3, vcc
	v_accvgpr_write_b32 a13, v5
	v_accvgpr_write_b32 a15, v3
	;; [unrolled: 1-line block ×4, first 2 shown]
	global_load_dwordx4 v[2:5], v[2:3], off
	s_waitcnt vmcnt(8)
	buffer_store_dword v9, off, s[0:3], 0 offset:12
	buffer_store_dword v8, off, s[0:3], 0 offset:8
	buffer_store_dword v7, off, s[0:3], 0 offset:4
	buffer_store_dword v6, off, s[0:3], 0
	s_waitcnt vmcnt(10)
	buffer_store_dword v13, off, s[0:3], 0 offset:28
	buffer_store_dword v12, off, s[0:3], 0 offset:24
	;; [unrolled: 1-line block ×8, first 2 shown]
	s_waitcnt vmcnt(17)
	buffer_store_dword v21, off, s[0:3], 0 offset:60
	buffer_store_dword v20, off, s[0:3], 0 offset:56
	;; [unrolled: 1-line block ×4, first 2 shown]
	v_add_u32_e32 v6, s7, v40
	v_ashrrev_i32_e32 v7, 31, v6
	v_lshlrev_b64 v[8:9], 4, v[6:7]
	v_add_u32_e32 v14, s7, v6
	v_add_co_u32_e32 v8, vcc, s8, v8
	v_ashrrev_i32_e32 v15, 31, v14
	v_addc_co_u32_e32 v9, vcc, v1, v9, vcc
	v_lshlrev_b64 v[6:7], 4, v[14:15]
	v_add_co_u32_e32 v10, vcc, s8, v6
	v_addc_co_u32_e32 v11, vcc, v1, v7, vcc
	v_add_u32_e32 v14, s7, v14
	v_accvgpr_write_b32 a17, v9
	v_accvgpr_write_b32 a19, v11
	v_ashrrev_i32_e32 v15, 31, v14
	v_accvgpr_write_b32 a16, v8
	global_load_dwordx4 v[6:9], v[8:9], off
	v_accvgpr_write_b32 a18, v10
	global_load_dwordx4 v[10:13], v[10:11], off
	v_lshlrev_b64 v[16:17], 4, v[14:15]
	s_waitcnt vmcnt(22)
	buffer_store_dword v25, off, s[0:3], 0 offset:76
	buffer_store_dword v24, off, s[0:3], 0 offset:72
	;; [unrolled: 1-line block ×4, first 2 shown]
	s_waitcnt vmcnt(25)
	buffer_store_dword v29, off, s[0:3], 0 offset:92
	buffer_store_dword v28, off, s[0:3], 0 offset:88
	;; [unrolled: 1-line block ×4, first 2 shown]
	v_add_u32_e32 v22, s7, v14
	v_add_co_u32_e32 v16, vcc, s8, v16
	v_ashrrev_i32_e32 v23, 31, v22
	v_addc_co_u32_e32 v17, vcc, v1, v17, vcc
	v_lshlrev_b64 v[14:15], 4, v[22:23]
	v_add_co_u32_e32 v18, vcc, s8, v14
	v_addc_co_u32_e32 v19, vcc, v1, v15, vcc
	v_add_u32_e32 v22, s7, v22
	v_accvgpr_write_b32 a21, v17
	v_accvgpr_write_b32 a23, v19
	v_ashrrev_i32_e32 v23, 31, v22
	v_accvgpr_write_b32 a20, v16
	global_load_dwordx4 v[14:17], v[16:17], off
	v_accvgpr_write_b32 a22, v18
	global_load_dwordx4 v[18:21], v[18:19], off
	s_waitcnt vmcnt(30)
	buffer_store_dword v33, off, s[0:3], 0 offset:108
	buffer_store_dword v32, off, s[0:3], 0 offset:104
	;; [unrolled: 1-line block ×4, first 2 shown]
	s_waitcnt vmcnt(33)
	buffer_store_dword v37, off, s[0:3], 0 offset:124
	buffer_store_dword v36, off, s[0:3], 0 offset:120
	;; [unrolled: 1-line block ×4, first 2 shown]
	s_waitcnt vmcnt(36)
	buffer_store_dword v5, off, s[0:3], 0 offset:140
	v_lshlrev_b64 v[24:25], 4, v[22:23]
	v_add_u32_e32 v30, s7, v22
	v_add_co_u32_e32 v24, vcc, s8, v24
	v_ashrrev_i32_e32 v31, 31, v30
	v_addc_co_u32_e32 v25, vcc, v1, v25, vcc
	v_lshlrev_b64 v[22:23], 4, v[30:31]
	v_add_u32_e32 v30, s7, v30
	v_add_co_u32_e32 v26, vcc, s8, v22
	v_ashrrev_i32_e32 v31, 31, v30
	v_addc_co_u32_e32 v27, vcc, v1, v23, vcc
	;; [unrolled: 5-line block ×5, first 2 shown]
	v_lshlrev_b64 v[42:43], 4, v[40:41]
	v_add_co_u32_e32 v42, vcc, s8, v42
	v_add_u32_e32 v40, s7, v40
	v_addc_co_u32_e32 v43, vcc, v1, v43, vcc
	v_accvgpr_write_b32 a34, v42
	v_ashrrev_i32_e32 v41, 31, v40
	v_accvgpr_write_b32 a32, v44
	global_load_dwordx4 v[98:101], v[44:45], off
	global_load_dwordx4 v[102:105], v[42:43], off
	v_accvgpr_write_b32 a35, v43
	v_lshlrev_b64 v[42:43], 4, v[40:41]
	v_add_u32_e32 v40, s7, v40
	v_accvgpr_write_b32 a33, v45
	v_add_co_u32_e32 v44, vcc, s8, v42
	v_ashrrev_i32_e32 v41, 31, v40
	v_addc_co_u32_e32 v45, vcc, v1, v43, vcc
	v_lshlrev_b64 v[42:43], 4, v[40:41]
	v_add_co_u32_e32 v42, vcc, s8, v42
	v_add_u32_e32 v40, s7, v40
	v_addc_co_u32_e32 v43, vcc, v1, v43, vcc
	v_accvgpr_write_b32 a38, v42
	v_ashrrev_i32_e32 v41, 31, v40
	global_load_dwordx4 v[106:109], v[44:45], off
	global_load_dwordx4 v[110:113], v[42:43], off
	v_accvgpr_write_b32 a39, v43
	v_lshlrev_b64 v[42:43], 4, v[40:41]
	v_add_u32_e32 v40, s7, v40
	v_add_co_u32_e32 v80, vcc, s8, v42
	v_ashrrev_i32_e32 v41, 31, v40
	v_addc_co_u32_e32 v81, vcc, v1, v43, vcc
	v_lshlrev_b64 v[42:43], 4, v[40:41]
	v_add_u32_e32 v40, s7, v40
	v_add_co_u32_e32 v82, vcc, s8, v42
	v_ashrrev_i32_e32 v41, 31, v40
	v_addc_co_u32_e32 v83, vcc, v1, v43, vcc
	;; [unrolled: 5-line block ×5, first 2 shown]
	v_lshlrev_b64 v[42:43], 4, v[40:41]
	v_accvgpr_write_b32 a24, v24
	v_accvgpr_write_b32 a26, v26
	;; [unrolled: 1-line block ×4, first 2 shown]
	v_add_co_u32_e32 v90, vcc, s8, v42
	v_accvgpr_write_b32 a25, v25
	global_load_dwordx4 v[22:25], v[24:25], off
	v_accvgpr_write_b32 a27, v27
	global_load_dwordx4 v[26:29], v[26:27], off
	;; [unrolled: 2-line block ×4, first 2 shown]
	s_nop 0
	global_load_dwordx4 v[114:117], v[80:81], off
	global_load_dwordx4 v[118:121], v[82:83], off
	;; [unrolled: 1-line block ×4, first 2 shown]
	v_addc_co_u32_e32 v91, vcc, v1, v43, vcc
	global_load_dwordx4 v[130:133], v[88:89], off
	global_load_dwordx4 v[134:137], v[90:91], off
	v_add_u32_e32 v40, s7, v40
	v_ashrrev_i32_e32 v41, 31, v40
	v_lshlrev_b64 v[42:43], 4, v[40:41]
	v_add_co_u32_e32 v92, vcc, s8, v42
	v_addc_co_u32_e32 v93, vcc, v1, v43, vcc
	v_add_u32_e32 v40, s7, v40
	v_ashrrev_i32_e32 v41, 31, v40
	global_load_dwordx4 v[138:141], v[92:93], off
	v_lshlrev_b64 v[40:41], 4, v[40:41]
	v_add_co_u32_e32 v94, vcc, s8, v40
	v_addc_co_u32_e32 v95, vcc, v1, v41, vcc
	global_load_dwordx4 v[142:145], v[94:95], off
	v_mov_b32_e32 v1, 0
	buffer_store_dword v4, off, s[0:3], 0 offset:136
	buffer_store_dword v3, off, s[0:3], 0 offset:132
	buffer_store_dword v2, off, s[0:3], 0 offset:128
	s_waitcnt vmcnt(39)
	buffer_store_dword v6, off, s[0:3], 0 offset:144
	buffer_store_dword v7, off, s[0:3], 0 offset:148
	buffer_store_dword v8, off, s[0:3], 0 offset:152
	buffer_store_dword v9, off, s[0:3], 0 offset:156
	s_waitcnt vmcnt(42)
	buffer_store_dword v10, off, s[0:3], 0 offset:160
	;; [unrolled: 5-line block ×8, first 2 shown]
	buffer_store_dword v36, off, s[0:3], 0 offset:264
	buffer_store_dword v35, off, s[0:3], 0 offset:260
	;; [unrolled: 1-line block ×19, first 2 shown]
	s_waitcnt vmcnt(58)
	buffer_store_dword v117, off, s[0:3], 0 offset:348
	buffer_store_dword v116, off, s[0:3], 0 offset:344
	buffer_store_dword v115, off, s[0:3], 0 offset:340
	buffer_store_dword v114, off, s[0:3], 0 offset:336
	s_waitcnt vmcnt(61)
	buffer_store_dword v121, off, s[0:3], 0 offset:364
	buffer_store_dword v120, off, s[0:3], 0 offset:360
	buffer_store_dword v119, off, s[0:3], 0 offset:356
	buffer_store_dword v118, off, s[0:3], 0 offset:352
	;; [unrolled: 5-line block ×3, first 2 shown]
	buffer_store_dword v129, off, s[0:3], 0 offset:396
	buffer_store_dword v128, off, s[0:3], 0 offset:392
	;; [unrolled: 1-line block ×8, first 2 shown]
	s_waitcnt vmcnt(62)
	buffer_store_dword v137, off, s[0:3], 0 offset:428
	buffer_store_dword v136, off, s[0:3], 0 offset:424
	;; [unrolled: 1-line block ×12, first 2 shown]
	v_add_u32_e32 v2, 16, v1
	v_accvgpr_write_b32 a65, v2
	v_add_u32_e32 v2, 48, v1
	v_accvgpr_write_b32 a66, v2
	;; [unrolled: 2-line block ×26, first 2 shown]
	v_add_u32_e32 v2, 0x1b0, v1
	v_add_u32_e32 v1, 0x1c0, v1
	v_accvgpr_write_b32 a37, v45
	v_accvgpr_write_b32 a41, v2
	;; [unrolled: 1-line block ×3, first 2 shown]
	s_bitcmp0_b32 s20, 0
	s_mov_b64 s[8:9], -1
	s_cbranch_scc1 .LBB92_128
; %bb.4:
	v_cmp_eq_u32_e64 s[6:7], 0, v219
	s_and_saveexec_b64 s[8:9], s[6:7]
	s_cbranch_execz .LBB92_6
; %bb.5:
	v_mov_b32_e32 v1, 0
	ds_write_b32 v1, v1 offset:928
.LBB92_6:
	s_or_b64 exec, exec, s[8:9]
	v_mov_b32_e32 v1, 0
	v_lshl_add_u32 v12, v219, 4, v1
	s_waitcnt lgkmcnt(0)
	; wave barrier
	s_waitcnt lgkmcnt(0)
	buffer_load_dword v2, v12, s[0:3], 0 offen
	buffer_load_dword v3, v12, s[0:3], 0 offen offset:4
	buffer_load_dword v4, v12, s[0:3], 0 offen offset:8
	buffer_load_dword v5, v12, s[0:3], 0 offen offset:12
	s_waitcnt vmcnt(2)
	v_cmp_eq_f64_e32 vcc, 0, v[2:3]
	s_waitcnt vmcnt(0)
	v_cmp_eq_f64_e64 s[8:9], 0, v[4:5]
	s_and_b64 s[8:9], vcc, s[8:9]
	s_and_saveexec_b64 s[12:13], s[8:9]
	s_cbranch_execz .LBB92_10
; %bb.7:
	v_mov_b32_e32 v2, 0
	ds_read_b32 v1, v2 offset:928
	v_add_u32_e32 v3, 1, v219
	s_waitcnt lgkmcnt(0)
	v_readfirstlane_b32 s8, v1
	s_cmp_eq_u32 s8, 0
	s_cselect_b64 s[20:21], -1, 0
	v_cmp_gt_i32_e32 vcc, s8, v3
	s_or_b64 s[20:21], s[20:21], vcc
	s_and_b64 exec, exec, s[20:21]
	s_cbranch_execz .LBB92_10
; %bb.8:
	s_mov_b64 s[20:21], 0
	v_mov_b32_e32 v4, s8
.LBB92_9:                               ; =>This Inner Loop Header: Depth=1
	ds_cmpst_rtn_b32 v4, v2, v4, v3 offset:928
	s_waitcnt lgkmcnt(0)
	v_cmp_ne_u32_e32 vcc, 0, v4
	v_cmp_le_i32_e64 s[8:9], v4, v3
	s_and_b64 s[8:9], vcc, s[8:9]
	s_and_b64 s[8:9], exec, s[8:9]
	s_or_b64 s[20:21], s[8:9], s[20:21]
	s_andn2_b64 exec, exec, s[20:21]
	s_cbranch_execnz .LBB92_9
.LBB92_10:
	s_or_b64 exec, exec, s[12:13]
	v_mov_b32_e32 v3, 0
	s_waitcnt lgkmcnt(0)
	; wave barrier
	ds_read_b32 v2, v3 offset:928
	s_and_saveexec_b64 s[8:9], s[6:7]
	s_cbranch_execz .LBB92_12
; %bb.11:
	s_lshl_b64 s[12:13], s[10:11], 2
	s_add_u32 s12, s14, s12
	s_addc_u32 s13, s15, s13
	s_waitcnt lgkmcnt(0)
	global_store_dword v3, v2, s[12:13]
.LBB92_12:
	s_or_b64 exec, exec, s[8:9]
	s_waitcnt lgkmcnt(0)
	v_cmp_ne_u32_e32 vcc, 0, v2
	s_mov_b64 s[8:9], 0
	s_cbranch_vccnz .LBB92_128
; %bb.13:
	buffer_load_dword v7, v12, s[0:3], 0 offen offset:4
	buffer_load_dword v6, v12, s[0:3], 0 offen
	buffer_load_dword v9, v12, s[0:3], 0 offen offset:12
	buffer_load_dword v8, v12, s[0:3], 0 offen offset:8
                                        ; implicit-def: $vgpr10_vgpr11
	s_waitcnt vmcnt(3)
	v_xor_b32_e32 v1, 0x80000000, v7
	s_waitcnt vmcnt(2)
	v_cmp_gt_f64_e32 vcc, 0, v[6:7]
	s_waitcnt vmcnt(1)
	v_xor_b32_e32 v4, 0x80000000, v9
	v_cndmask_b32_e32 v3, v7, v1, vcc
	s_waitcnt vmcnt(0)
	v_cmp_gt_f64_e32 vcc, 0, v[8:9]
	v_mov_b32_e32 v2, v6
	v_cndmask_b32_e32 v5, v9, v4, vcc
	v_mov_b32_e32 v4, v8
	v_cmp_ngt_f64_e32 vcc, v[2:3], v[4:5]
                                        ; implicit-def: $vgpr4_vgpr5
	s_and_saveexec_b64 s[8:9], vcc
	s_xor_b64 s[8:9], exec, s[8:9]
	s_cbranch_execz .LBB92_15
; %bb.14:
	v_div_scale_f64 v[2:3], s[12:13], v[8:9], v[8:9], v[6:7]
	v_rcp_f64_e32 v[4:5], v[2:3]
	v_div_scale_f64 v[10:11], vcc, v[6:7], v[8:9], v[6:7]
	v_fma_f64 v[14:15], -v[2:3], v[4:5], 1.0
	v_fmac_f64_e32 v[4:5], v[4:5], v[14:15]
	v_fma_f64 v[14:15], -v[2:3], v[4:5], 1.0
	v_fmac_f64_e32 v[4:5], v[4:5], v[14:15]
	v_mul_f64 v[14:15], v[10:11], v[4:5]
	v_fma_f64 v[2:3], -v[2:3], v[14:15], v[10:11]
	v_div_fmas_f64 v[2:3], v[2:3], v[4:5], v[14:15]
	v_div_fixup_f64 v[2:3], v[2:3], v[8:9], v[6:7]
	v_fmac_f64_e32 v[8:9], v[6:7], v[2:3]
	v_div_scale_f64 v[4:5], s[12:13], v[8:9], v[8:9], 1.0
	v_rcp_f64_e32 v[6:7], v[4:5]
	v_fma_f64 v[10:11], -v[4:5], v[6:7], 1.0
	v_fmac_f64_e32 v[6:7], v[6:7], v[10:11]
	v_fma_f64 v[10:11], -v[4:5], v[6:7], 1.0
	v_fmac_f64_e32 v[6:7], v[6:7], v[10:11]
	v_div_scale_f64 v[10:11], vcc, 1.0, v[8:9], 1.0
	v_mul_f64 v[14:15], v[10:11], v[6:7]
	v_fma_f64 v[4:5], -v[4:5], v[14:15], v[10:11]
	s_nop 1
	v_div_fmas_f64 v[4:5], v[4:5], v[6:7], v[14:15]
	v_div_fixup_f64 v[4:5], v[4:5], v[8:9], 1.0
	v_mul_f64 v[10:11], v[2:3], v[4:5]
	v_xor_b32_e32 v5, 0x80000000, v5
	v_xor_b32_e32 v3, 0x80000000, v11
	v_mov_b32_e32 v2, v10
                                        ; implicit-def: $vgpr6_vgpr7
                                        ; implicit-def: $vgpr8_vgpr9
.LBB92_15:
	s_andn2_saveexec_b64 s[8:9], s[8:9]
	s_cbranch_execz .LBB92_17
; %bb.16:
	v_div_scale_f64 v[2:3], s[12:13], v[6:7], v[6:7], v[8:9]
	v_rcp_f64_e32 v[4:5], v[2:3]
	v_div_scale_f64 v[10:11], vcc, v[8:9], v[6:7], v[8:9]
	v_fma_f64 v[14:15], -v[2:3], v[4:5], 1.0
	v_fmac_f64_e32 v[4:5], v[4:5], v[14:15]
	v_fma_f64 v[14:15], -v[2:3], v[4:5], 1.0
	v_fmac_f64_e32 v[4:5], v[4:5], v[14:15]
	v_mul_f64 v[14:15], v[10:11], v[4:5]
	v_fma_f64 v[2:3], -v[2:3], v[14:15], v[10:11]
	v_div_fmas_f64 v[2:3], v[2:3], v[4:5], v[14:15]
	v_div_fixup_f64 v[4:5], v[2:3], v[6:7], v[8:9]
	v_fmac_f64_e32 v[6:7], v[8:9], v[4:5]
	v_div_scale_f64 v[2:3], s[12:13], v[6:7], v[6:7], 1.0
	v_rcp_f64_e32 v[8:9], v[2:3]
	v_fma_f64 v[10:11], -v[2:3], v[8:9], 1.0
	v_fmac_f64_e32 v[8:9], v[8:9], v[10:11]
	v_fma_f64 v[10:11], -v[2:3], v[8:9], 1.0
	v_fmac_f64_e32 v[8:9], v[8:9], v[10:11]
	v_div_scale_f64 v[10:11], vcc, 1.0, v[6:7], 1.0
	v_mul_f64 v[14:15], v[10:11], v[8:9]
	v_fma_f64 v[2:3], -v[2:3], v[14:15], v[10:11]
	s_nop 1
	v_div_fmas_f64 v[2:3], v[2:3], v[8:9], v[14:15]
	v_div_fixup_f64 v[10:11], v[2:3], v[6:7], 1.0
	v_xor_b32_e32 v3, 0x80000000, v11
	v_mov_b32_e32 v2, v10
	v_mul_f64 v[4:5], v[4:5], -v[10:11]
.LBB92_17:
	s_or_b64 exec, exec, s[8:9]
	buffer_store_dword v11, v12, s[0:3], 0 offen offset:4
	buffer_store_dword v10, v12, s[0:3], 0 offen
	buffer_store_dword v5, v12, s[0:3], 0 offen offset:12
	buffer_store_dword v4, v12, s[0:3], 0 offen offset:8
	v_accvgpr_read_b32 v1, a65
	buffer_load_dword v11, v1, s[0:3], 0 offen offset:12
	buffer_load_dword v10, v1, s[0:3], 0 offen offset:8
	;; [unrolled: 1-line block ×3, first 2 shown]
	buffer_load_dword v8, v1, s[0:3], 0 offen
	v_xor_b32_e32 v5, 0x80000000, v5
	v_add_u32_e32 v6, 0x1d0, v96
	ds_write_b128 v96, v[2:5]
	s_waitcnt vmcnt(0)
	ds_write_b128 v96, v[8:11] offset:464
	s_waitcnt lgkmcnt(0)
	; wave barrier
	s_waitcnt lgkmcnt(0)
	s_and_saveexec_b64 s[8:9], s[6:7]
	s_cbranch_execz .LBB92_19
; %bb.18:
	buffer_load_dword v14, v12, s[0:3], 0 offen offset:8
	buffer_load_dword v15, v12, s[0:3], 0 offen offset:12
	buffer_load_dword v16, v12, s[0:3], 0 offen
	buffer_load_dword v17, v12, s[0:3], 0 offen offset:4
	ds_read_b128 v[2:5], v6
	v_mov_b32_e32 v1, 0
	ds_read_b128 v[8:11], v1 offset:16
	s_waitcnt vmcnt(2) lgkmcnt(1)
	v_mul_f64 v[18:19], v[4:5], v[14:15]
	v_mul_f64 v[14:15], v[2:3], v[14:15]
	s_waitcnt vmcnt(0)
	v_fmac_f64_e32 v[14:15], v[4:5], v[16:17]
	v_fma_f64 v[2:3], v[2:3], v[16:17], -v[18:19]
	v_add_f64 v[4:5], v[14:15], 0
	v_add_f64 v[2:3], v[2:3], 0
	s_waitcnt lgkmcnt(0)
	v_mul_f64 v[14:15], v[4:5], v[10:11]
	v_mul_f64 v[10:11], v[2:3], v[10:11]
	v_fma_f64 v[2:3], v[2:3], v[8:9], -v[14:15]
	v_fmac_f64_e32 v[10:11], v[4:5], v[8:9]
	buffer_store_dword v2, off, s[0:3], 0 offset:16
	buffer_store_dword v3, off, s[0:3], 0 offset:20
	buffer_store_dword v10, off, s[0:3], 0 offset:24
	buffer_store_dword v11, off, s[0:3], 0 offset:28
.LBB92_19:
	s_or_b64 exec, exec, s[8:9]
	s_waitcnt lgkmcnt(0)
	; wave barrier
	buffer_load_dword v2, v218, s[0:3], 0 offen
	buffer_load_dword v3, v218, s[0:3], 0 offen offset:4
	buffer_load_dword v4, v218, s[0:3], 0 offen offset:8
	;; [unrolled: 1-line block ×3, first 2 shown]
	v_cmp_gt_u32_e32 vcc, 2, v219
	s_waitcnt vmcnt(0)
	ds_write_b128 v6, v[2:5]
	s_waitcnt lgkmcnt(0)
	; wave barrier
	s_waitcnt lgkmcnt(0)
	s_and_saveexec_b64 s[8:9], vcc
	s_cbranch_execz .LBB92_23
; %bb.20:
	buffer_load_dword v8, v12, s[0:3], 0 offen offset:8
	buffer_load_dword v9, v12, s[0:3], 0 offen offset:12
	buffer_load_dword v10, v12, s[0:3], 0 offen
	buffer_load_dword v11, v12, s[0:3], 0 offen offset:4
	ds_read_b128 v[2:5], v6
	s_waitcnt vmcnt(2) lgkmcnt(0)
	v_mul_f64 v[12:13], v[4:5], v[8:9]
	v_mul_f64 v[8:9], v[2:3], v[8:9]
	s_waitcnt vmcnt(0)
	v_fma_f64 v[2:3], v[2:3], v[10:11], -v[12:13]
	v_fmac_f64_e32 v[8:9], v[4:5], v[10:11]
	v_add_f64 v[4:5], v[2:3], 0
	v_add_f64 v[2:3], v[8:9], 0
	s_and_saveexec_b64 s[12:13], s[6:7]
	s_cbranch_execz .LBB92_22
; %bb.21:
	buffer_load_dword v12, off, s[0:3], 0 offset:24
	buffer_load_dword v13, off, s[0:3], 0 offset:28
	;; [unrolled: 1-line block ×4, first 2 shown]
	v_mov_b32_e32 v1, 0
	ds_read_b128 v[8:11], v1 offset:480
	s_waitcnt vmcnt(2) lgkmcnt(0)
	v_mul_f64 v[16:17], v[8:9], v[12:13]
	v_mul_f64 v[12:13], v[10:11], v[12:13]
	s_waitcnt vmcnt(0)
	v_fmac_f64_e32 v[16:17], v[10:11], v[14:15]
	v_fma_f64 v[8:9], v[8:9], v[14:15], -v[12:13]
	v_add_f64 v[2:3], v[2:3], v[16:17]
	v_add_f64 v[4:5], v[4:5], v[8:9]
.LBB92_22:
	s_or_b64 exec, exec, s[12:13]
	v_mov_b32_e32 v1, 0
	ds_read_b128 v[8:11], v1 offset:32
	s_waitcnt lgkmcnt(0)
	v_mul_f64 v[12:13], v[2:3], v[10:11]
	v_mul_f64 v[10:11], v[4:5], v[10:11]
	v_fma_f64 v[4:5], v[4:5], v[8:9], -v[12:13]
	v_fmac_f64_e32 v[10:11], v[2:3], v[8:9]
	buffer_store_dword v5, off, s[0:3], 0 offset:36
	buffer_store_dword v4, off, s[0:3], 0 offset:32
	;; [unrolled: 1-line block ×4, first 2 shown]
.LBB92_23:
	s_or_b64 exec, exec, s[8:9]
	v_accvgpr_read_b32 v1, a66
	s_waitcnt lgkmcnt(0)
	; wave barrier
	buffer_load_dword v2, v1, s[0:3], 0 offen
	buffer_load_dword v3, v1, s[0:3], 0 offen offset:4
	buffer_load_dword v4, v1, s[0:3], 0 offen offset:8
	;; [unrolled: 1-line block ×3, first 2 shown]
	v_cmp_gt_u32_e32 vcc, 3, v219
	v_add_u32_e32 v7, -1, v219
	s_waitcnt vmcnt(0)
	ds_write_b128 v6, v[2:5]
	s_waitcnt lgkmcnt(0)
	; wave barrier
	s_waitcnt lgkmcnt(0)
	s_and_saveexec_b64 s[6:7], vcc
	s_cbranch_execz .LBB92_27
; %bb.24:
	v_pk_mov_b32 v[2:3], 0, 0
	v_add_u32_e32 v8, -1, v219
	v_add_u32_e32 v9, 0x1d0, v96
	v_add_u32_e32 v10, 0, v96
	s_mov_b64 s[8:9], 0
	v_pk_mov_b32 v[4:5], v[2:3], v[2:3] op_sel:[0,1]
.LBB92_25:                              ; =>This Inner Loop Header: Depth=1
	buffer_load_dword v16, v10, s[0:3], 0 offen offset:8
	buffer_load_dword v17, v10, s[0:3], 0 offen offset:12
	buffer_load_dword v18, v10, s[0:3], 0 offen
	buffer_load_dword v19, v10, s[0:3], 0 offen offset:4
	ds_read_b128 v[12:15], v9
	v_add_u32_e32 v8, 1, v8
	v_cmp_lt_u32_e32 vcc, 1, v8
	v_add_u32_e32 v9, 16, v9
	v_add_u32_e32 v10, 16, v10
	s_or_b64 s[8:9], vcc, s[8:9]
	s_waitcnt vmcnt(2) lgkmcnt(0)
	v_mul_f64 v[20:21], v[14:15], v[16:17]
	v_mul_f64 v[16:17], v[12:13], v[16:17]
	s_waitcnt vmcnt(0)
	v_fma_f64 v[12:13], v[12:13], v[18:19], -v[20:21]
	v_fmac_f64_e32 v[16:17], v[14:15], v[18:19]
	v_add_f64 v[4:5], v[4:5], v[12:13]
	v_add_f64 v[2:3], v[2:3], v[16:17]
	s_andn2_b64 exec, exec, s[8:9]
	s_cbranch_execnz .LBB92_25
; %bb.26:
	s_or_b64 exec, exec, s[8:9]
	v_mov_b32_e32 v1, 0
	ds_read_b128 v[8:11], v1 offset:48
	s_waitcnt lgkmcnt(0)
	v_mul_f64 v[12:13], v[2:3], v[10:11]
	v_mul_f64 v[10:11], v[4:5], v[10:11]
	v_fma_f64 v[4:5], v[4:5], v[8:9], -v[12:13]
	v_fmac_f64_e32 v[10:11], v[2:3], v[8:9]
	buffer_store_dword v5, off, s[0:3], 0 offset:52
	buffer_store_dword v4, off, s[0:3], 0 offset:48
	buffer_store_dword v11, off, s[0:3], 0 offset:60
	buffer_store_dword v10, off, s[0:3], 0 offset:56
.LBB92_27:
	s_or_b64 exec, exec, s[6:7]
	v_accvgpr_read_b32 v1, a62
	s_waitcnt lgkmcnt(0)
	; wave barrier
	buffer_load_dword v2, v1, s[0:3], 0 offen
	buffer_load_dword v3, v1, s[0:3], 0 offen offset:4
	buffer_load_dword v4, v1, s[0:3], 0 offen offset:8
	buffer_load_dword v5, v1, s[0:3], 0 offen offset:12
	v_cmp_gt_u32_e32 vcc, 4, v219
	s_waitcnt vmcnt(0)
	ds_write_b128 v6, v[2:5]
	s_waitcnt lgkmcnt(0)
	; wave barrier
	s_waitcnt lgkmcnt(0)
	s_and_saveexec_b64 s[6:7], vcc
	s_cbranch_execz .LBB92_31
; %bb.28:
	v_pk_mov_b32 v[2:3], 0, 0
	v_add_u32_e32 v8, -1, v219
	v_add_u32_e32 v9, 0x1d0, v96
	v_add_u32_e32 v10, 0, v96
	s_mov_b64 s[8:9], 0
	v_pk_mov_b32 v[4:5], v[2:3], v[2:3] op_sel:[0,1]
.LBB92_29:                              ; =>This Inner Loop Header: Depth=1
	buffer_load_dword v16, v10, s[0:3], 0 offen offset:8
	buffer_load_dword v17, v10, s[0:3], 0 offen offset:12
	buffer_load_dword v18, v10, s[0:3], 0 offen
	buffer_load_dword v19, v10, s[0:3], 0 offen offset:4
	ds_read_b128 v[12:15], v9
	v_add_u32_e32 v8, 1, v8
	v_cmp_lt_u32_e32 vcc, 2, v8
	v_add_u32_e32 v9, 16, v9
	v_add_u32_e32 v10, 16, v10
	s_or_b64 s[8:9], vcc, s[8:9]
	s_waitcnt vmcnt(2) lgkmcnt(0)
	v_mul_f64 v[20:21], v[14:15], v[16:17]
	v_mul_f64 v[16:17], v[12:13], v[16:17]
	s_waitcnt vmcnt(0)
	v_fma_f64 v[12:13], v[12:13], v[18:19], -v[20:21]
	v_fmac_f64_e32 v[16:17], v[14:15], v[18:19]
	v_add_f64 v[4:5], v[4:5], v[12:13]
	v_add_f64 v[2:3], v[2:3], v[16:17]
	s_andn2_b64 exec, exec, s[8:9]
	s_cbranch_execnz .LBB92_29
; %bb.30:
	s_or_b64 exec, exec, s[8:9]
	v_mov_b32_e32 v1, 0
	ds_read_b128 v[8:11], v1 offset:64
	s_waitcnt lgkmcnt(0)
	v_mul_f64 v[12:13], v[2:3], v[10:11]
	v_mul_f64 v[10:11], v[4:5], v[10:11]
	v_fma_f64 v[4:5], v[4:5], v[8:9], -v[12:13]
	v_fmac_f64_e32 v[10:11], v[2:3], v[8:9]
	buffer_store_dword v5, off, s[0:3], 0 offset:68
	buffer_store_dword v4, off, s[0:3], 0 offset:64
	buffer_store_dword v11, off, s[0:3], 0 offset:76
	buffer_store_dword v10, off, s[0:3], 0 offset:72
.LBB92_31:
	s_or_b64 exec, exec, s[6:7]
	v_accvgpr_read_b32 v1, a61
	s_waitcnt lgkmcnt(0)
	; wave barrier
	buffer_load_dword v2, v1, s[0:3], 0 offen
	buffer_load_dword v3, v1, s[0:3], 0 offen offset:4
	buffer_load_dword v4, v1, s[0:3], 0 offen offset:8
	buffer_load_dword v5, v1, s[0:3], 0 offen offset:12
	v_cmp_gt_u32_e32 vcc, 5, v219
	;; [unrolled: 58-line block ×19, first 2 shown]
	s_waitcnt vmcnt(0)
	ds_write_b128 v6, v[2:5]
	s_waitcnt lgkmcnt(0)
	; wave barrier
	s_waitcnt lgkmcnt(0)
	s_and_saveexec_b64 s[6:7], vcc
	s_cbranch_execz .LBB92_103
; %bb.100:
	v_pk_mov_b32 v[2:3], 0, 0
	v_add_u32_e32 v8, -1, v219
	v_add_u32_e32 v9, 0x1d0, v96
	v_add_u32_e32 v10, 0, v96
	s_mov_b64 s[8:9], 0
	v_pk_mov_b32 v[4:5], v[2:3], v[2:3] op_sel:[0,1]
.LBB92_101:                             ; =>This Inner Loop Header: Depth=1
	buffer_load_dword v16, v10, s[0:3], 0 offen offset:8
	buffer_load_dword v17, v10, s[0:3], 0 offen offset:12
	buffer_load_dword v18, v10, s[0:3], 0 offen
	buffer_load_dword v19, v10, s[0:3], 0 offen offset:4
	ds_read_b128 v[12:15], v9
	v_add_u32_e32 v8, 1, v8
	v_cmp_lt_u32_e32 vcc, 20, v8
	v_add_u32_e32 v9, 16, v9
	v_add_u32_e32 v10, 16, v10
	s_or_b64 s[8:9], vcc, s[8:9]
	s_waitcnt vmcnt(2) lgkmcnt(0)
	v_mul_f64 v[20:21], v[14:15], v[16:17]
	v_mul_f64 v[16:17], v[12:13], v[16:17]
	s_waitcnt vmcnt(0)
	v_fma_f64 v[12:13], v[12:13], v[18:19], -v[20:21]
	v_fmac_f64_e32 v[16:17], v[14:15], v[18:19]
	v_add_f64 v[4:5], v[4:5], v[12:13]
	v_add_f64 v[2:3], v[2:3], v[16:17]
	s_andn2_b64 exec, exec, s[8:9]
	s_cbranch_execnz .LBB92_101
; %bb.102:
	s_or_b64 exec, exec, s[8:9]
	v_mov_b32_e32 v1, 0
	ds_read_b128 v[8:11], v1 offset:352
	s_waitcnt lgkmcnt(0)
	v_mul_f64 v[12:13], v[2:3], v[10:11]
	v_mul_f64 v[10:11], v[4:5], v[10:11]
	v_fma_f64 v[4:5], v[4:5], v[8:9], -v[12:13]
	v_fmac_f64_e32 v[10:11], v[2:3], v[8:9]
	buffer_store_dword v5, off, s[0:3], 0 offset:356
	buffer_store_dword v4, off, s[0:3], 0 offset:352
	buffer_store_dword v11, off, s[0:3], 0 offset:364
	buffer_store_dword v10, off, s[0:3], 0 offset:360
.LBB92_103:
	s_or_b64 exec, exec, s[6:7]
	v_accvgpr_read_b32 v1, a45
	s_waitcnt lgkmcnt(0)
	; wave barrier
	buffer_load_dword v2, v1, s[0:3], 0 offen
	buffer_load_dword v3, v1, s[0:3], 0 offen offset:4
	buffer_load_dword v4, v1, s[0:3], 0 offen offset:8
	buffer_load_dword v5, v1, s[0:3], 0 offen offset:12
	v_cmp_gt_u32_e32 vcc, 23, v219
	s_waitcnt vmcnt(0)
	ds_write_b128 v6, v[2:5]
	s_waitcnt lgkmcnt(0)
	; wave barrier
	s_waitcnt lgkmcnt(0)
	s_and_saveexec_b64 s[6:7], vcc
	s_cbranch_execz .LBB92_107
; %bb.104:
	v_pk_mov_b32 v[2:3], 0, 0
	v_add_u32_e32 v8, -1, v219
	v_add_u32_e32 v9, 0x1d0, v96
	v_add_u32_e32 v10, 0, v96
	s_mov_b64 s[8:9], 0
	v_pk_mov_b32 v[4:5], v[2:3], v[2:3] op_sel:[0,1]
.LBB92_105:                             ; =>This Inner Loop Header: Depth=1
	buffer_load_dword v16, v10, s[0:3], 0 offen offset:8
	buffer_load_dword v17, v10, s[0:3], 0 offen offset:12
	buffer_load_dword v18, v10, s[0:3], 0 offen
	buffer_load_dword v19, v10, s[0:3], 0 offen offset:4
	ds_read_b128 v[12:15], v9
	v_add_u32_e32 v8, 1, v8
	v_cmp_lt_u32_e32 vcc, 21, v8
	v_add_u32_e32 v9, 16, v9
	v_add_u32_e32 v10, 16, v10
	s_or_b64 s[8:9], vcc, s[8:9]
	s_waitcnt vmcnt(2) lgkmcnt(0)
	v_mul_f64 v[20:21], v[14:15], v[16:17]
	v_mul_f64 v[16:17], v[12:13], v[16:17]
	s_waitcnt vmcnt(0)
	v_fma_f64 v[12:13], v[12:13], v[18:19], -v[20:21]
	v_fmac_f64_e32 v[16:17], v[14:15], v[18:19]
	v_add_f64 v[4:5], v[4:5], v[12:13]
	v_add_f64 v[2:3], v[2:3], v[16:17]
	s_andn2_b64 exec, exec, s[8:9]
	s_cbranch_execnz .LBB92_105
; %bb.106:
	s_or_b64 exec, exec, s[8:9]
	v_mov_b32_e32 v1, 0
	ds_read_b128 v[8:11], v1 offset:368
	s_waitcnt lgkmcnt(0)
	v_mul_f64 v[12:13], v[2:3], v[10:11]
	v_mul_f64 v[10:11], v[4:5], v[10:11]
	v_fma_f64 v[4:5], v[4:5], v[8:9], -v[12:13]
	v_fmac_f64_e32 v[10:11], v[2:3], v[8:9]
	buffer_store_dword v5, off, s[0:3], 0 offset:372
	buffer_store_dword v4, off, s[0:3], 0 offset:368
	buffer_store_dword v11, off, s[0:3], 0 offset:380
	buffer_store_dword v10, off, s[0:3], 0 offset:376
.LBB92_107:
	s_or_b64 exec, exec, s[6:7]
	v_accvgpr_read_b32 v1, a44
	s_waitcnt lgkmcnt(0)
	; wave barrier
	buffer_load_dword v2, v1, s[0:3], 0 offen
	buffer_load_dword v3, v1, s[0:3], 0 offen offset:4
	buffer_load_dword v4, v1, s[0:3], 0 offen offset:8
	buffer_load_dword v5, v1, s[0:3], 0 offen offset:12
	v_cmp_gt_u32_e32 vcc, 24, v219
	;; [unrolled: 58-line block ×5, first 2 shown]
	s_waitcnt vmcnt(0)
	ds_write_b128 v6, v[2:5]
	s_waitcnt lgkmcnt(0)
	; wave barrier
	s_waitcnt lgkmcnt(0)
	s_and_saveexec_b64 s[6:7], vcc
	s_cbranch_execz .LBB92_123
; %bb.120:
	v_pk_mov_b32 v[2:3], 0, 0
	v_add_u32_e32 v8, -1, v219
	v_add_u32_e32 v9, 0x1d0, v96
	v_add_u32_e32 v10, 0, v96
	s_mov_b64 s[8:9], 0
	v_pk_mov_b32 v[4:5], v[2:3], v[2:3] op_sel:[0,1]
.LBB92_121:                             ; =>This Inner Loop Header: Depth=1
	buffer_load_dword v16, v10, s[0:3], 0 offen offset:8
	buffer_load_dword v17, v10, s[0:3], 0 offen offset:12
	buffer_load_dword v18, v10, s[0:3], 0 offen
	buffer_load_dword v19, v10, s[0:3], 0 offen offset:4
	ds_read_b128 v[12:15], v9
	v_add_u32_e32 v8, 1, v8
	v_cmp_lt_u32_e32 vcc, 25, v8
	v_add_u32_e32 v9, 16, v9
	v_add_u32_e32 v10, 16, v10
	s_or_b64 s[8:9], vcc, s[8:9]
	s_waitcnt vmcnt(2) lgkmcnt(0)
	v_mul_f64 v[20:21], v[14:15], v[16:17]
	v_mul_f64 v[16:17], v[12:13], v[16:17]
	s_waitcnt vmcnt(0)
	v_fma_f64 v[12:13], v[12:13], v[18:19], -v[20:21]
	v_fmac_f64_e32 v[16:17], v[14:15], v[18:19]
	v_add_f64 v[4:5], v[4:5], v[12:13]
	v_add_f64 v[2:3], v[2:3], v[16:17]
	s_andn2_b64 exec, exec, s[8:9]
	s_cbranch_execnz .LBB92_121
; %bb.122:
	s_or_b64 exec, exec, s[8:9]
	v_mov_b32_e32 v1, 0
	ds_read_b128 v[8:11], v1 offset:432
	s_waitcnt lgkmcnt(0)
	v_mul_f64 v[12:13], v[2:3], v[10:11]
	v_mul_f64 v[10:11], v[4:5], v[10:11]
	v_fma_f64 v[4:5], v[4:5], v[8:9], -v[12:13]
	v_fmac_f64_e32 v[10:11], v[2:3], v[8:9]
	buffer_store_dword v5, off, s[0:3], 0 offset:436
	buffer_store_dword v4, off, s[0:3], 0 offset:432
	;; [unrolled: 1-line block ×4, first 2 shown]
.LBB92_123:
	s_or_b64 exec, exec, s[6:7]
	v_accvgpr_read_b32 v1, a40
	s_waitcnt lgkmcnt(0)
	; wave barrier
	buffer_load_dword v2, v1, s[0:3], 0 offen
	buffer_load_dword v3, v1, s[0:3], 0 offen offset:4
	buffer_load_dword v4, v1, s[0:3], 0 offen offset:8
	;; [unrolled: 1-line block ×3, first 2 shown]
	v_cmp_ne_u32_e32 vcc, 28, v219
	s_waitcnt vmcnt(0)
	ds_write_b128 v6, v[2:5]
	s_waitcnt lgkmcnt(0)
	; wave barrier
	s_waitcnt lgkmcnt(0)
	s_and_saveexec_b64 s[6:7], vcc
	s_cbranch_execz .LBB92_127
; %bb.124:
	v_pk_mov_b32 v[2:3], 0, 0
	v_add_u32_e32 v6, 0x1d0, v96
	v_add_u32_e32 v8, 0, v96
	s_mov_b64 s[8:9], 0
	v_pk_mov_b32 v[4:5], v[2:3], v[2:3] op_sel:[0,1]
.LBB92_125:                             ; =>This Inner Loop Header: Depth=1
	buffer_load_dword v14, v8, s[0:3], 0 offen offset:8
	buffer_load_dword v15, v8, s[0:3], 0 offen offset:12
	buffer_load_dword v16, v8, s[0:3], 0 offen
	buffer_load_dword v17, v8, s[0:3], 0 offen offset:4
	ds_read_b128 v[10:13], v6
	v_add_u32_e32 v7, 1, v7
	v_cmp_lt_u32_e32 vcc, 26, v7
	v_add_u32_e32 v6, 16, v6
	v_add_u32_e32 v8, 16, v8
	s_or_b64 s[8:9], vcc, s[8:9]
	s_waitcnt vmcnt(2) lgkmcnt(0)
	v_mul_f64 v[18:19], v[12:13], v[14:15]
	v_mul_f64 v[14:15], v[10:11], v[14:15]
	s_waitcnt vmcnt(0)
	v_fma_f64 v[10:11], v[10:11], v[16:17], -v[18:19]
	v_fmac_f64_e32 v[14:15], v[12:13], v[16:17]
	v_add_f64 v[4:5], v[4:5], v[10:11]
	v_add_f64 v[2:3], v[2:3], v[14:15]
	s_andn2_b64 exec, exec, s[8:9]
	s_cbranch_execnz .LBB92_125
; %bb.126:
	s_or_b64 exec, exec, s[8:9]
	v_mov_b32_e32 v1, 0
	ds_read_b128 v[6:9], v1 offset:448
	s_waitcnt lgkmcnt(0)
	v_mul_f64 v[10:11], v[2:3], v[8:9]
	v_mul_f64 v[8:9], v[4:5], v[8:9]
	v_fma_f64 v[4:5], v[4:5], v[6:7], -v[10:11]
	v_fmac_f64_e32 v[8:9], v[2:3], v[6:7]
	buffer_store_dword v5, off, s[0:3], 0 offset:452
	buffer_store_dword v4, off, s[0:3], 0 offset:448
	;; [unrolled: 1-line block ×4, first 2 shown]
.LBB92_127:
	s_or_b64 exec, exec, s[6:7]
	s_mov_b64 s[8:9], -1
	s_waitcnt lgkmcnt(0)
	; wave barrier
.LBB92_128:
	s_and_b64 vcc, exec, s[8:9]
	s_cbranch_vccz .LBB92_130
; %bb.129:
	s_lshl_b64 s[6:7], s[10:11], 2
	s_add_u32 s6, s14, s6
	s_addc_u32 s7, s15, s7
	v_mov_b32_e32 v1, 0
	global_load_dword v1, v1, s[6:7]
	s_waitcnt vmcnt(0)
	v_cmp_ne_u32_e32 vcc, 0, v1
	s_cbranch_vccz .LBB92_131
.LBB92_130:
	s_endpgm
.LBB92_131:
	v_mov_b32_e32 v1, 0x1d0
	v_lshl_add_u32 v1, v219, 4, v1
	v_cmp_eq_u32_e32 vcc, 28, v219
	s_and_saveexec_b64 s[6:7], vcc
	s_cbranch_execz .LBB92_133
; %bb.132:
	v_accvgpr_read_b32 v5, a41
	buffer_load_dword v2, v5, s[0:3], 0 offen
	buffer_load_dword v3, v5, s[0:3], 0 offen offset:4
	buffer_load_dword v4, v5, s[0:3], 0 offen offset:8
	s_nop 0
	buffer_load_dword v5, v5, s[0:3], 0 offen offset:12
	v_mov_b32_e32 v6, 0
	buffer_store_dword v6, off, s[0:3], 0 offset:432
	buffer_store_dword v6, off, s[0:3], 0 offset:436
	;; [unrolled: 1-line block ×4, first 2 shown]
	s_waitcnt vmcnt(4)
	ds_write_b128 v1, v[2:5]
.LBB92_133:
	s_or_b64 exec, exec, s[6:7]
	s_waitcnt lgkmcnt(0)
	; wave barrier
	s_waitcnt lgkmcnt(0)
	buffer_load_dword v8, off, s[0:3], 0 offset:456
	buffer_load_dword v9, off, s[0:3], 0 offset:460
	;; [unrolled: 1-line block ×8, first 2 shown]
	v_mov_b32_e32 v2, 0
	ds_read_b128 v[4:7], v2 offset:912
	v_cmp_lt_u32_e32 vcc, 26, v219
	s_waitcnt vmcnt(6) lgkmcnt(0)
	v_mul_f64 v[16:17], v[4:5], v[8:9]
	v_mul_f64 v[8:9], v[6:7], v[8:9]
	s_waitcnt vmcnt(4)
	v_fma_f64 v[4:5], v[4:5], v[10:11], -v[8:9]
	v_fmac_f64_e32 v[16:17], v[6:7], v[10:11]
	v_add_f64 v[4:5], v[4:5], 0
	v_add_f64 v[6:7], v[16:17], 0
	s_waitcnt vmcnt(2)
	v_add_f64 v[4:5], v[12:13], -v[4:5]
	s_waitcnt vmcnt(0)
	v_add_f64 v[6:7], v[14:15], -v[6:7]
	buffer_store_dword v4, off, s[0:3], 0 offset:432
	buffer_store_dword v5, off, s[0:3], 0 offset:436
	;; [unrolled: 1-line block ×4, first 2 shown]
	s_and_saveexec_b64 s[6:7], vcc
	s_cbranch_execz .LBB92_135
; %bb.134:
	v_accvgpr_read_b32 v3, a42
	buffer_load_dword v4, v3, s[0:3], 0 offen
	buffer_load_dword v5, v3, s[0:3], 0 offen offset:4
	buffer_load_dword v6, v3, s[0:3], 0 offen offset:8
	;; [unrolled: 1-line block ×3, first 2 shown]
	s_nop 0
	buffer_store_dword v2, off, s[0:3], 0 offset:416
	buffer_store_dword v2, off, s[0:3], 0 offset:420
	;; [unrolled: 1-line block ×4, first 2 shown]
	s_waitcnt vmcnt(4)
	ds_write_b128 v1, v[4:7]
.LBB92_135:
	s_or_b64 exec, exec, s[6:7]
	s_waitcnt lgkmcnt(0)
	; wave barrier
	s_waitcnt lgkmcnt(0)
	buffer_load_dword v12, off, s[0:3], 0 offset:440
	buffer_load_dword v13, off, s[0:3], 0 offset:444
	;; [unrolled: 1-line block ×12, first 2 shown]
	ds_read_b128 v[4:7], v2 offset:896
	ds_read_b128 v[8:11], v2 offset:912
	v_cmp_lt_u32_e32 vcc, 25, v219
	s_waitcnt vmcnt(10) lgkmcnt(1)
	v_mul_f64 v[2:3], v[4:5], v[12:13]
	v_mul_f64 v[12:13], v[6:7], v[12:13]
	s_waitcnt vmcnt(8) lgkmcnt(0)
	v_mul_f64 v[24:25], v[8:9], v[14:15]
	v_mul_f64 v[14:15], v[10:11], v[14:15]
	s_waitcnt vmcnt(6)
	v_fma_f64 v[4:5], v[4:5], v[16:17], -v[12:13]
	v_fmac_f64_e32 v[2:3], v[6:7], v[16:17]
	s_waitcnt vmcnt(4)
	v_fma_f64 v[6:7], v[8:9], v[18:19], -v[14:15]
	v_add_f64 v[4:5], v[4:5], 0
	v_fmac_f64_e32 v[24:25], v[10:11], v[18:19]
	v_add_f64 v[2:3], v[2:3], 0
	v_add_f64 v[4:5], v[4:5], v[6:7]
	;; [unrolled: 1-line block ×3, first 2 shown]
	s_waitcnt vmcnt(2)
	v_add_f64 v[4:5], v[20:21], -v[4:5]
	s_waitcnt vmcnt(0)
	v_add_f64 v[2:3], v[22:23], -v[2:3]
	buffer_store_dword v4, off, s[0:3], 0 offset:416
	buffer_store_dword v5, off, s[0:3], 0 offset:420
	;; [unrolled: 1-line block ×4, first 2 shown]
	s_and_saveexec_b64 s[6:7], vcc
	s_cbranch_execz .LBB92_137
; %bb.136:
	v_accvgpr_read_b32 v5, a43
	buffer_load_dword v2, v5, s[0:3], 0 offen
	buffer_load_dword v3, v5, s[0:3], 0 offen offset:4
	buffer_load_dword v4, v5, s[0:3], 0 offen offset:8
	s_nop 0
	buffer_load_dword v5, v5, s[0:3], 0 offen offset:12
	v_mov_b32_e32 v6, 0
	buffer_store_dword v6, off, s[0:3], 0 offset:400
	buffer_store_dword v6, off, s[0:3], 0 offset:404
	;; [unrolled: 1-line block ×4, first 2 shown]
	s_waitcnt vmcnt(4)
	ds_write_b128 v1, v[2:5]
.LBB92_137:
	s_or_b64 exec, exec, s[6:7]
	s_waitcnt lgkmcnt(0)
	; wave barrier
	s_waitcnt lgkmcnt(0)
	buffer_load_dword v16, off, s[0:3], 0 offset:424
	buffer_load_dword v17, off, s[0:3], 0 offset:428
	;; [unrolled: 1-line block ×16, first 2 shown]
	v_mov_b32_e32 v2, 0
	ds_read_b128 v[4:7], v2 offset:880
	ds_read_b128 v[8:11], v2 offset:896
	;; [unrolled: 1-line block ×3, first 2 shown]
	v_cmp_lt_u32_e32 vcc, 24, v219
	s_waitcnt vmcnt(14) lgkmcnt(2)
	v_mul_f64 v[32:33], v[4:5], v[16:17]
	v_mul_f64 v[16:17], v[6:7], v[16:17]
	s_waitcnt vmcnt(12) lgkmcnt(1)
	v_mul_f64 v[34:35], v[8:9], v[18:19]
	v_mul_f64 v[18:19], v[10:11], v[18:19]
	;; [unrolled: 3-line block ×3, first 2 shown]
	s_waitcnt vmcnt(8)
	v_fma_f64 v[4:5], v[4:5], v[22:23], -v[16:17]
	v_fmac_f64_e32 v[32:33], v[6:7], v[22:23]
	s_waitcnt vmcnt(6)
	v_fma_f64 v[6:7], v[8:9], v[24:25], -v[18:19]
	v_add_f64 v[4:5], v[4:5], 0
	v_fmac_f64_e32 v[34:35], v[10:11], v[24:25]
	s_waitcnt vmcnt(4)
	v_fma_f64 v[8:9], v[12:13], v[26:27], -v[20:21]
	v_add_f64 v[10:11], v[32:33], 0
	v_add_f64 v[4:5], v[4:5], v[6:7]
	v_fmac_f64_e32 v[36:37], v[14:15], v[26:27]
	v_add_f64 v[10:11], v[10:11], v[34:35]
	v_add_f64 v[4:5], v[4:5], v[8:9]
	;; [unrolled: 1-line block ×3, first 2 shown]
	s_waitcnt vmcnt(2)
	v_add_f64 v[4:5], v[28:29], -v[4:5]
	s_waitcnt vmcnt(0)
	v_add_f64 v[6:7], v[30:31], -v[6:7]
	buffer_store_dword v4, off, s[0:3], 0 offset:400
	buffer_store_dword v5, off, s[0:3], 0 offset:404
	;; [unrolled: 1-line block ×4, first 2 shown]
	s_and_saveexec_b64 s[6:7], vcc
	s_cbranch_execz .LBB92_139
; %bb.138:
	v_accvgpr_read_b32 v3, a44
	buffer_load_dword v4, v3, s[0:3], 0 offen
	buffer_load_dword v5, v3, s[0:3], 0 offen offset:4
	buffer_load_dword v6, v3, s[0:3], 0 offen offset:8
	;; [unrolled: 1-line block ×3, first 2 shown]
	s_nop 0
	buffer_store_dword v2, off, s[0:3], 0 offset:384
	buffer_store_dword v2, off, s[0:3], 0 offset:388
	;; [unrolled: 1-line block ×4, first 2 shown]
	s_waitcnt vmcnt(4)
	ds_write_b128 v1, v[4:7]
.LBB92_139:
	s_or_b64 exec, exec, s[6:7]
	s_waitcnt lgkmcnt(0)
	; wave barrier
	s_waitcnt lgkmcnt(0)
	buffer_load_dword v20, off, s[0:3], 0 offset:408
	buffer_load_dword v21, off, s[0:3], 0 offset:412
	;; [unrolled: 1-line block ×20, first 2 shown]
	ds_read_b128 v[4:7], v2 offset:864
	ds_read_b128 v[8:11], v2 offset:880
	;; [unrolled: 1-line block ×4, first 2 shown]
	v_cmp_lt_u32_e32 vcc, 23, v219
	s_waitcnt vmcnt(18) lgkmcnt(3)
	v_mul_f64 v[2:3], v[4:5], v[20:21]
	v_mul_f64 v[20:21], v[6:7], v[20:21]
	s_waitcnt vmcnt(16) lgkmcnt(2)
	v_mul_f64 v[42:43], v[8:9], v[22:23]
	v_mul_f64 v[22:23], v[10:11], v[22:23]
	;; [unrolled: 3-line block ×4, first 2 shown]
	s_waitcnt vmcnt(10)
	v_fma_f64 v[4:5], v[4:5], v[28:29], -v[20:21]
	v_fmac_f64_e32 v[2:3], v[6:7], v[28:29]
	s_waitcnt vmcnt(8)
	v_fma_f64 v[6:7], v[8:9], v[30:31], -v[22:23]
	v_add_f64 v[4:5], v[4:5], 0
	v_fmac_f64_e32 v[42:43], v[10:11], v[30:31]
	s_waitcnt vmcnt(6)
	v_fma_f64 v[8:9], v[12:13], v[32:33], -v[24:25]
	v_add_f64 v[2:3], v[2:3], 0
	v_add_f64 v[4:5], v[4:5], v[6:7]
	v_fmac_f64_e32 v[44:45], v[14:15], v[32:33]
	s_waitcnt vmcnt(4)
	v_fma_f64 v[10:11], v[16:17], v[34:35], -v[26:27]
	v_add_f64 v[2:3], v[2:3], v[42:43]
	v_add_f64 v[4:5], v[4:5], v[8:9]
	v_fmac_f64_e32 v[46:47], v[18:19], v[34:35]
	v_add_f64 v[2:3], v[2:3], v[44:45]
	v_add_f64 v[4:5], v[4:5], v[10:11]
	;; [unrolled: 1-line block ×3, first 2 shown]
	s_waitcnt vmcnt(2)
	v_add_f64 v[4:5], v[36:37], -v[4:5]
	s_waitcnt vmcnt(0)
	v_add_f64 v[2:3], v[40:41], -v[2:3]
	buffer_store_dword v4, off, s[0:3], 0 offset:384
	buffer_store_dword v5, off, s[0:3], 0 offset:388
	;; [unrolled: 1-line block ×4, first 2 shown]
	s_and_saveexec_b64 s[6:7], vcc
	s_cbranch_execz .LBB92_141
; %bb.140:
	v_accvgpr_read_b32 v5, a45
	buffer_load_dword v2, v5, s[0:3], 0 offen
	buffer_load_dword v3, v5, s[0:3], 0 offen offset:4
	buffer_load_dword v4, v5, s[0:3], 0 offen offset:8
	s_nop 0
	buffer_load_dword v5, v5, s[0:3], 0 offen offset:12
	v_mov_b32_e32 v6, 0
	buffer_store_dword v6, off, s[0:3], 0 offset:368
	buffer_store_dword v6, off, s[0:3], 0 offset:372
	;; [unrolled: 1-line block ×4, first 2 shown]
	s_waitcnt vmcnt(4)
	ds_write_b128 v1, v[2:5]
.LBB92_141:
	s_or_b64 exec, exec, s[6:7]
	s_waitcnt lgkmcnt(0)
	; wave barrier
	s_waitcnt lgkmcnt(0)
	buffer_load_dword v24, off, s[0:3], 0 offset:392
	buffer_load_dword v25, off, s[0:3], 0 offset:396
	;; [unrolled: 1-line block ×24, first 2 shown]
	v_mov_b32_e32 v2, 0
	ds_read_b128 v[4:7], v2 offset:848
	ds_read_b128 v[8:11], v2 offset:864
	;; [unrolled: 1-line block ×5, first 2 shown]
	v_cmp_lt_u32_e32 vcc, 22, v219
	s_waitcnt vmcnt(22) lgkmcnt(4)
	v_mul_f64 v[50:51], v[4:5], v[24:25]
	v_mul_f64 v[24:25], v[6:7], v[24:25]
	s_waitcnt vmcnt(20) lgkmcnt(3)
	v_mul_f64 v[52:53], v[8:9], v[26:27]
	v_mul_f64 v[26:27], v[10:11], v[26:27]
	;; [unrolled: 3-line block ×4, first 2 shown]
	s_waitcnt vmcnt(13) lgkmcnt(0)
	v_mul_f64 v[58:59], v[20:21], v[30:31]
	s_waitcnt vmcnt(11)
	v_fma_f64 v[4:5], v[4:5], v[36:37], -v[24:25]
	v_fmac_f64_e32 v[50:51], v[6:7], v[36:37]
	s_waitcnt vmcnt(9)
	v_fma_f64 v[6:7], v[8:9], v[40:41], -v[26:27]
	v_add_f64 v[4:5], v[4:5], 0
	v_fmac_f64_e32 v[52:53], v[10:11], v[40:41]
	s_waitcnt vmcnt(7)
	v_fmac_f64_e32 v[54:55], v[14:15], v[42:43]
	v_fma_f64 v[8:9], v[12:13], v[42:43], -v[28:29]
	v_add_f64 v[14:15], v[50:51], 0
	v_add_f64 v[4:5], v[4:5], v[6:7]
	v_mul_f64 v[30:31], v[22:23], v[30:31]
	s_waitcnt vmcnt(5)
	v_fma_f64 v[10:11], v[16:17], v[44:45], -v[34:35]
	v_add_f64 v[14:15], v[14:15], v[52:53]
	v_add_f64 v[4:5], v[4:5], v[8:9]
	v_fmac_f64_e32 v[56:57], v[18:19], v[44:45]
	s_waitcnt vmcnt(4)
	v_fma_f64 v[12:13], v[20:21], v[32:33], -v[30:31]
	v_add_f64 v[6:7], v[14:15], v[54:55]
	v_add_f64 v[4:5], v[4:5], v[10:11]
	v_fmac_f64_e32 v[58:59], v[22:23], v[32:33]
	v_add_f64 v[6:7], v[6:7], v[56:57]
	v_add_f64 v[4:5], v[4:5], v[12:13]
	;; [unrolled: 1-line block ×3, first 2 shown]
	s_waitcnt vmcnt(2)
	v_add_f64 v[4:5], v[46:47], -v[4:5]
	s_waitcnt vmcnt(0)
	v_add_f64 v[6:7], v[48:49], -v[6:7]
	buffer_store_dword v5, off, s[0:3], 0 offset:372
	buffer_store_dword v4, off, s[0:3], 0 offset:368
	;; [unrolled: 1-line block ×4, first 2 shown]
	s_and_saveexec_b64 s[6:7], vcc
	s_cbranch_execz .LBB92_143
; %bb.142:
	v_accvgpr_read_b32 v3, a46
	buffer_load_dword v4, v3, s[0:3], 0 offen
	buffer_load_dword v5, v3, s[0:3], 0 offen offset:4
	buffer_load_dword v6, v3, s[0:3], 0 offen offset:8
	;; [unrolled: 1-line block ×3, first 2 shown]
	s_nop 0
	buffer_store_dword v2, off, s[0:3], 0 offset:352
	buffer_store_dword v2, off, s[0:3], 0 offset:356
	;; [unrolled: 1-line block ×4, first 2 shown]
	s_waitcnt vmcnt(4)
	ds_write_b128 v1, v[4:7]
.LBB92_143:
	s_or_b64 exec, exec, s[6:7]
	s_waitcnt lgkmcnt(0)
	; wave barrier
	s_waitcnt lgkmcnt(0)
	buffer_load_dword v28, off, s[0:3], 0 offset:376
	buffer_load_dword v29, off, s[0:3], 0 offset:380
	;; [unrolled: 1-line block ×28, first 2 shown]
	ds_read_b128 v[4:7], v2 offset:832
	ds_read_b128 v[8:11], v2 offset:848
	ds_read_b128 v[12:15], v2 offset:864
	ds_read_b128 v[16:19], v2 offset:880
	ds_read_b128 v[20:23], v2 offset:896
	ds_read_b128 v[24:27], v2 offset:912
	v_cmp_lt_u32_e32 vcc, 21, v219
	s_waitcnt vmcnt(26) lgkmcnt(5)
	v_mul_f64 v[2:3], v[4:5], v[28:29]
	v_mul_f64 v[28:29], v[6:7], v[28:29]
	s_waitcnt vmcnt(24) lgkmcnt(4)
	v_mul_f64 v[58:59], v[8:9], v[30:31]
	v_mul_f64 v[30:31], v[10:11], v[30:31]
	s_waitcnt vmcnt(22) lgkmcnt(3)
	v_mul_f64 v[96:97], v[12:13], v[32:33]
	v_mul_f64 v[32:33], v[14:15], v[32:33]
	s_waitcnt vmcnt(20) lgkmcnt(1)
	v_mul_f64 v[100:101], v[20:21], v[34:35]
	v_mul_f64 v[34:35], v[22:23], v[34:35]
	s_waitcnt vmcnt(17)
	v_mul_f64 v[98:99], v[16:17], v[40:41]
	v_mul_f64 v[40:41], v[18:19], v[40:41]
	s_waitcnt vmcnt(15) lgkmcnt(0)
	v_mul_f64 v[102:103], v[24:25], v[42:43]
	v_mul_f64 v[42:43], v[26:27], v[42:43]
	s_waitcnt vmcnt(14)
	v_fmac_f64_e32 v[100:101], v[22:23], v[36:37]
	s_waitcnt vmcnt(12)
	v_fma_f64 v[4:5], v[4:5], v[44:45], -v[28:29]
	v_fmac_f64_e32 v[2:3], v[6:7], v[44:45]
	s_waitcnt vmcnt(10)
	v_fma_f64 v[6:7], v[8:9], v[46:47], -v[30:31]
	v_add_f64 v[4:5], v[4:5], 0
	v_fmac_f64_e32 v[58:59], v[10:11], v[46:47]
	s_waitcnt vmcnt(8)
	v_fma_f64 v[8:9], v[12:13], v[48:49], -v[32:33]
	v_add_f64 v[2:3], v[2:3], 0
	v_add_f64 v[4:5], v[4:5], v[6:7]
	v_fmac_f64_e32 v[96:97], v[14:15], v[48:49]
	s_waitcnt vmcnt(6)
	v_fma_f64 v[10:11], v[16:17], v[50:51], -v[40:41]
	v_add_f64 v[2:3], v[2:3], v[58:59]
	v_add_f64 v[4:5], v[4:5], v[8:9]
	v_fmac_f64_e32 v[98:99], v[18:19], v[50:51]
	v_fma_f64 v[12:13], v[20:21], v[36:37], -v[34:35]
	v_add_f64 v[2:3], v[2:3], v[96:97]
	v_add_f64 v[4:5], v[4:5], v[10:11]
	s_waitcnt vmcnt(4)
	v_fma_f64 v[14:15], v[24:25], v[52:53], -v[42:43]
	v_add_f64 v[2:3], v[2:3], v[98:99]
	v_add_f64 v[4:5], v[4:5], v[12:13]
	v_fmac_f64_e32 v[102:103], v[26:27], v[52:53]
	v_add_f64 v[2:3], v[2:3], v[100:101]
	v_add_f64 v[4:5], v[4:5], v[14:15]
	;; [unrolled: 1-line block ×3, first 2 shown]
	s_waitcnt vmcnt(2)
	v_add_f64 v[4:5], v[54:55], -v[4:5]
	s_waitcnt vmcnt(0)
	v_add_f64 v[2:3], v[56:57], -v[2:3]
	buffer_store_dword v5, off, s[0:3], 0 offset:356
	buffer_store_dword v4, off, s[0:3], 0 offset:352
	buffer_store_dword v3, off, s[0:3], 0 offset:364
	buffer_store_dword v2, off, s[0:3], 0 offset:360
	s_and_saveexec_b64 s[6:7], vcc
	s_cbranch_execz .LBB92_145
; %bb.144:
	v_accvgpr_read_b32 v5, a47
	buffer_load_dword v2, v5, s[0:3], 0 offen
	buffer_load_dword v3, v5, s[0:3], 0 offen offset:4
	buffer_load_dword v4, v5, s[0:3], 0 offen offset:8
	s_nop 0
	buffer_load_dword v5, v5, s[0:3], 0 offen offset:12
	v_mov_b32_e32 v6, 0
	buffer_store_dword v6, off, s[0:3], 0 offset:336
	buffer_store_dword v6, off, s[0:3], 0 offset:340
	;; [unrolled: 1-line block ×4, first 2 shown]
	s_waitcnt vmcnt(4)
	ds_write_b128 v1, v[2:5]
.LBB92_145:
	s_or_b64 exec, exec, s[6:7]
	s_waitcnt lgkmcnt(0)
	; wave barrier
	s_waitcnt lgkmcnt(0)
	buffer_load_dword v22, off, s[0:3], 0 offset:360
	buffer_load_dword v23, off, s[0:3], 0 offset:364
	;; [unrolled: 1-line block ×32, first 2 shown]
	v_mov_b32_e32 v24, 0
	ds_read_b128 v[2:5], v24 offset:816
	ds_read_b128 v[6:9], v24 offset:832
	;; [unrolled: 1-line block ×7, first 2 shown]
	v_cmp_lt_u32_e32 vcc, 20, v219
	s_waitcnt vmcnt(30) lgkmcnt(6)
	v_mul_f64 v[102:103], v[2:3], v[22:23]
	v_mul_f64 v[22:23], v[4:5], v[22:23]
	s_waitcnt vmcnt(28) lgkmcnt(5)
	v_mul_f64 v[104:105], v[6:7], v[34:35]
	v_mul_f64 v[34:35], v[8:9], v[34:35]
	;; [unrolled: 3-line block ×4, first 2 shown]
	s_waitcnt vmcnt(21)
	v_mul_f64 v[108:109], v[14:15], v[44:45]
	v_mul_f64 v[44:45], v[16:17], v[44:45]
	s_waitcnt vmcnt(17) lgkmcnt(1)
	v_mul_f64 v[112:113], v[26:27], v[50:51]
	v_mul_f64 v[50:51], v[28:29], v[50:51]
	s_waitcnt vmcnt(16) lgkmcnt(0)
	v_mul_f64 v[114:115], v[30:31], v[46:47]
	v_mul_f64 v[46:47], v[32:33], v[46:47]
	s_waitcnt vmcnt(13)
	v_fma_f64 v[2:3], v[2:3], v[52:53], -v[22:23]
	v_fmac_f64_e32 v[102:103], v[4:5], v[52:53]
	s_waitcnt vmcnt(11)
	v_fma_f64 v[4:5], v[6:7], v[54:55], -v[34:35]
	v_add_f64 v[2:3], v[2:3], 0
	v_fmac_f64_e32 v[104:105], v[8:9], v[54:55]
	s_waitcnt vmcnt(9)
	v_fma_f64 v[6:7], v[10:11], v[56:57], -v[36:37]
	s_waitcnt vmcnt(7)
	v_fmac_f64_e32 v[108:109], v[16:17], v[58:59]
	v_add_f64 v[16:17], v[102:103], 0
	v_add_f64 v[2:3], v[2:3], v[4:5]
	v_fmac_f64_e32 v[106:107], v[12:13], v[56:57]
	v_fma_f64 v[8:9], v[14:15], v[58:59], -v[44:45]
	v_add_f64 v[16:17], v[16:17], v[104:105]
	v_add_f64 v[2:3], v[2:3], v[6:7]
	v_fma_f64 v[10:11], v[18:19], v[42:43], -v[40:41]
	v_add_f64 v[4:5], v[16:17], v[106:107]
	v_add_f64 v[2:3], v[2:3], v[8:9]
	v_fmac_f64_e32 v[110:111], v[20:21], v[42:43]
	s_waitcnt vmcnt(5)
	v_fma_f64 v[12:13], v[26:27], v[96:97], -v[50:51]
	v_add_f64 v[4:5], v[4:5], v[108:109]
	v_add_f64 v[2:3], v[2:3], v[10:11]
	v_fmac_f64_e32 v[112:113], v[28:29], v[96:97]
	s_waitcnt vmcnt(4)
	v_fma_f64 v[14:15], v[30:31], v[48:49], -v[46:47]
	v_add_f64 v[4:5], v[4:5], v[110:111]
	v_add_f64 v[2:3], v[2:3], v[12:13]
	v_fmac_f64_e32 v[114:115], v[32:33], v[48:49]
	v_add_f64 v[4:5], v[4:5], v[112:113]
	v_add_f64 v[2:3], v[2:3], v[14:15]
	;; [unrolled: 1-line block ×3, first 2 shown]
	s_waitcnt vmcnt(2)
	v_add_f64 v[2:3], v[98:99], -v[2:3]
	s_waitcnt vmcnt(0)
	v_add_f64 v[4:5], v[100:101], -v[4:5]
	buffer_store_dword v3, off, s[0:3], 0 offset:340
	buffer_store_dword v2, off, s[0:3], 0 offset:336
	;; [unrolled: 1-line block ×4, first 2 shown]
	s_and_saveexec_b64 s[6:7], vcc
	s_cbranch_execz .LBB92_147
; %bb.146:
	v_accvgpr_read_b32 v5, a48
	buffer_load_dword v2, v5, s[0:3], 0 offen
	buffer_load_dword v3, v5, s[0:3], 0 offen offset:4
	buffer_load_dword v4, v5, s[0:3], 0 offen offset:8
	s_nop 0
	buffer_load_dword v5, v5, s[0:3], 0 offen offset:12
	s_nop 0
	buffer_store_dword v24, off, s[0:3], 0 offset:320
	buffer_store_dword v24, off, s[0:3], 0 offset:324
	;; [unrolled: 1-line block ×4, first 2 shown]
	s_waitcnt vmcnt(4)
	ds_write_b128 v1, v[2:5]
.LBB92_147:
	s_or_b64 exec, exec, s[6:7]
	s_waitcnt lgkmcnt(0)
	; wave barrier
	s_waitcnt lgkmcnt(0)
	ds_read_b128 v[14:17], v24 offset:800
	ds_read_b128 v[10:13], v24 offset:816
	;; [unrolled: 1-line block ×4, first 2 shown]
	buffer_load_dword v20, off, s[0:3], 0 offset:320
	buffer_load_dword v21, off, s[0:3], 0 offset:324
	;; [unrolled: 1-line block ×20, first 2 shown]
	v_cmp_lt_u32_e32 vcc, 19, v219
	s_waitcnt vmcnt(12) lgkmcnt(3)
	v_mul_f64 v[26:27], v[14:15], v[40:41]
	v_fmac_f64_e32 v[26:27], v[16:17], v[22:23]
	v_add_f64 v[26:27], v[26:27], 0
	v_mul_f64 v[16:17], v[16:17], v[40:41]
	s_waitcnt vmcnt(8) lgkmcnt(2)
	v_mul_f64 v[28:29], v[10:11], v[44:45]
	v_fmac_f64_e32 v[28:29], v[12:13], v[42:43]
	v_add_f64 v[26:27], v[26:27], v[28:29]
	v_fma_f64 v[14:15], v[14:15], v[22:23], -v[16:17]
	s_waitcnt vmcnt(4) lgkmcnt(1)
	v_mul_f64 v[28:29], v[6:7], v[48:49]
	v_fmac_f64_e32 v[28:29], v[8:9], v[46:47]
	v_add_f64 v[26:27], v[26:27], v[28:29]
	s_waitcnt vmcnt(0) lgkmcnt(0)
	v_mul_f64 v[28:29], v[2:3], v[52:53]
	v_fmac_f64_e32 v[28:29], v[4:5], v[50:51]
	v_add_f64 v[30:31], v[26:27], v[28:29]
	ds_read_b128 v[26:29], v24 offset:864
	buffer_load_dword v55, off, s[0:3], 0 offset:404
	buffer_load_dword v54, off, s[0:3], 0 offset:400
	;; [unrolled: 1-line block ×4, first 2 shown]
	v_mul_f64 v[12:13], v[12:13], v[44:45]
	v_add_f64 v[14:15], v[14:15], 0
	v_fma_f64 v[10:11], v[10:11], v[42:43], -v[12:13]
	v_mul_f64 v[8:9], v[8:9], v[48:49]
	v_add_f64 v[10:11], v[14:15], v[10:11]
	v_fma_f64 v[6:7], v[6:7], v[46:47], -v[8:9]
	;; [unrolled: 3-line block ×3, first 2 shown]
	v_add_f64 v[2:3], v[6:7], v[2:3]
	s_waitcnt vmcnt(0) lgkmcnt(0)
	v_mul_f64 v[32:33], v[26:27], v[56:57]
	v_fmac_f64_e32 v[32:33], v[28:29], v[54:55]
	v_add_f64 v[34:35], v[30:31], v[32:33]
	ds_read_b128 v[30:33], v24 offset:880
	buffer_load_dword v59, off, s[0:3], 0 offset:420
	buffer_load_dword v58, off, s[0:3], 0 offset:416
	buffer_load_dword v101, off, s[0:3], 0 offset:428
	buffer_load_dword v100, off, s[0:3], 0 offset:424
	v_mul_f64 v[4:5], v[28:29], v[56:57]
	v_fma_f64 v[4:5], v[26:27], v[54:55], -v[4:5]
	v_add_f64 v[2:3], v[2:3], v[4:5]
	s_waitcnt vmcnt(0) lgkmcnt(0)
	v_mul_f64 v[36:37], v[30:31], v[100:101]
	v_fmac_f64_e32 v[36:37], v[32:33], v[58:59]
	v_add_f64 v[96:97], v[34:35], v[36:37]
	ds_read_b128 v[34:37], v24 offset:896
	buffer_load_dword v103, off, s[0:3], 0 offset:436
	buffer_load_dword v102, off, s[0:3], 0 offset:432
	buffer_load_dword v105, off, s[0:3], 0 offset:444
	buffer_load_dword v104, off, s[0:3], 0 offset:440
	v_mul_f64 v[4:5], v[32:33], v[100:101]
	v_fma_f64 v[4:5], v[30:31], v[58:59], -v[4:5]
	;; [unrolled: 12-line block ×3, first 2 shown]
	v_add_f64 v[2:3], v[2:3], v[4:5]
	s_waitcnt vmcnt(0) lgkmcnt(0)
	v_mul_f64 v[4:5], v[98:99], v[108:109]
	v_mul_f64 v[110:111], v[96:97], v[108:109]
	v_fma_f64 v[4:5], v[96:97], v[24:25], -v[4:5]
	v_fmac_f64_e32 v[110:111], v[98:99], v[24:25]
	v_add_f64 v[2:3], v[2:3], v[4:5]
	v_add_f64 v[106:107], v[106:107], v[110:111]
	v_add_f64 v[2:3], v[20:21], -v[2:3]
	v_add_f64 v[4:5], v[18:19], -v[106:107]
	buffer_store_dword v3, off, s[0:3], 0 offset:324
	buffer_store_dword v2, off, s[0:3], 0 offset:320
	;; [unrolled: 1-line block ×4, first 2 shown]
	s_and_saveexec_b64 s[6:7], vcc
	s_cbranch_execz .LBB92_149
; %bb.148:
	v_accvgpr_read_b32 v5, a49
	buffer_load_dword v2, v5, s[0:3], 0 offen
	buffer_load_dword v3, v5, s[0:3], 0 offen offset:4
	buffer_load_dword v4, v5, s[0:3], 0 offen offset:8
	s_nop 0
	buffer_load_dword v5, v5, s[0:3], 0 offen offset:12
	v_mov_b32_e32 v6, 0
	buffer_store_dword v6, off, s[0:3], 0 offset:304
	buffer_store_dword v6, off, s[0:3], 0 offset:308
	;; [unrolled: 1-line block ×4, first 2 shown]
	s_waitcnt vmcnt(4)
	ds_write_b128 v1, v[2:5]
.LBB92_149:
	s_or_b64 exec, exec, s[6:7]
	s_waitcnt lgkmcnt(0)
	; wave barrier
	s_waitcnt lgkmcnt(0)
	buffer_load_dword v36, off, s[0:3], 0 offset:328
	buffer_load_dword v37, off, s[0:3], 0 offset:332
	;; [unrolled: 1-line block ×40, first 2 shown]
	v_mov_b32_e32 v6, 0
	ds_read_b128 v[2:5], v6 offset:784
	ds_read_b128 v[8:11], v6 offset:800
	;; [unrolled: 1-line block ×9, first 2 shown]
	v_cmp_lt_u32_e32 vcc, 18, v219
	s_waitcnt vmcnt(38) lgkmcnt(8)
	v_mul_f64 v[118:119], v[2:3], v[36:37]
	v_mul_f64 v[36:37], v[4:5], v[36:37]
	s_waitcnt vmcnt(36) lgkmcnt(7)
	v_mul_f64 v[120:121], v[8:9], v[40:41]
	v_mul_f64 v[40:41], v[10:11], v[40:41]
	;; [unrolled: 3-line block ×3, first 2 shown]
	s_waitcnt vmcnt(32) lgkmcnt(4)
	v_mul_f64 v[126:127], v[20:21], v[44:45]
	s_waitcnt vmcnt(30)
	v_fmac_f64_e32 v[126:127], v[22:23], v[46:47]
	s_waitcnt vmcnt(28)
	v_mul_f64 v[124:125], v[16:17], v[48:49]
	v_mul_f64 v[48:49], v[18:19], v[48:49]
	s_waitcnt vmcnt(26) lgkmcnt(2)
	v_mul_f64 v[130:131], v[28:29], v[50:51]
	s_waitcnt vmcnt(24)
	v_fmac_f64_e32 v[130:131], v[30:31], v[52:53]
	s_waitcnt vmcnt(22)
	v_mul_f64 v[128:129], v[24:25], v[54:55]
	s_waitcnt vmcnt(18) lgkmcnt(1)
	v_mul_f64 v[132:133], v[32:33], v[100:101]
	s_waitcnt vmcnt(17) lgkmcnt(0)
	v_mul_f64 v[134:135], v[96:97], v[56:57]
	s_waitcnt vmcnt(15)
	v_fma_f64 v[2:3], v[2:3], v[102:103], -v[36:37]
	v_fmac_f64_e32 v[118:119], v[4:5], v[102:103]
	s_waitcnt vmcnt(13)
	v_fma_f64 v[4:5], v[8:9], v[104:105], -v[40:41]
	v_add_f64 v[2:3], v[2:3], 0
	s_waitcnt vmcnt(11)
	v_fma_f64 v[8:9], v[12:13], v[106:107], -v[42:43]
	v_add_f64 v[2:3], v[2:3], v[4:5]
	v_fmac_f64_e32 v[120:121], v[10:11], v[104:105]
	s_waitcnt vmcnt(9)
	v_fma_f64 v[10:11], v[16:17], v[108:109], -v[48:49]
	v_add_f64 v[2:3], v[2:3], v[8:9]
	v_mul_f64 v[8:9], v[22:23], v[44:45]
	v_add_f64 v[2:3], v[2:3], v[10:11]
	v_fma_f64 v[8:9], v[20:21], v[46:47], -v[8:9]
	v_add_f64 v[2:3], v[2:3], v[8:9]
	v_mul_f64 v[8:9], v[26:27], v[54:55]
	v_add_f64 v[12:13], v[118:119], 0
	s_waitcnt vmcnt(7)
	v_fma_f64 v[8:9], v[24:25], v[110:111], -v[8:9]
	v_fmac_f64_e32 v[122:123], v[14:15], v[106:107]
	v_add_f64 v[12:13], v[12:13], v[120:121]
	v_add_f64 v[2:3], v[2:3], v[8:9]
	v_mul_f64 v[8:9], v[30:31], v[50:51]
	v_fmac_f64_e32 v[124:125], v[18:19], v[108:109]
	v_add_f64 v[4:5], v[12:13], v[122:123]
	v_fma_f64 v[8:9], v[28:29], v[52:53], -v[8:9]
	v_add_f64 v[4:5], v[4:5], v[124:125]
	v_add_f64 v[2:3], v[2:3], v[8:9]
	v_mul_f64 v[8:9], v[34:35], v[100:101]
	v_fmac_f64_e32 v[128:129], v[26:27], v[110:111]
	v_add_f64 v[4:5], v[4:5], v[126:127]
	s_waitcnt vmcnt(5)
	v_fma_f64 v[8:9], v[32:33], v[112:113], -v[8:9]
	v_add_f64 v[4:5], v[4:5], v[128:129]
	v_add_f64 v[2:3], v[2:3], v[8:9]
	v_mul_f64 v[8:9], v[98:99], v[56:57]
	v_fmac_f64_e32 v[132:133], v[34:35], v[112:113]
	v_add_f64 v[4:5], v[4:5], v[130:131]
	s_waitcnt vmcnt(4)
	v_fma_f64 v[8:9], v[96:97], v[58:59], -v[8:9]
	v_fmac_f64_e32 v[134:135], v[98:99], v[58:59]
	v_add_f64 v[4:5], v[4:5], v[132:133]
	v_add_f64 v[2:3], v[2:3], v[8:9]
	;; [unrolled: 1-line block ×3, first 2 shown]
	s_waitcnt vmcnt(2)
	v_add_f64 v[2:3], v[114:115], -v[2:3]
	s_waitcnt vmcnt(0)
	v_add_f64 v[4:5], v[116:117], -v[4:5]
	buffer_store_dword v3, off, s[0:3], 0 offset:308
	buffer_store_dword v2, off, s[0:3], 0 offset:304
	;; [unrolled: 1-line block ×4, first 2 shown]
	s_and_saveexec_b64 s[6:7], vcc
	s_cbranch_execz .LBB92_151
; %bb.150:
	v_accvgpr_read_b32 v5, a50
	buffer_load_dword v2, v5, s[0:3], 0 offen
	buffer_load_dword v3, v5, s[0:3], 0 offen offset:4
	buffer_load_dword v4, v5, s[0:3], 0 offen offset:8
	s_nop 0
	buffer_load_dword v5, v5, s[0:3], 0 offen offset:12
	s_nop 0
	buffer_store_dword v6, off, s[0:3], 0 offset:288
	buffer_store_dword v6, off, s[0:3], 0 offset:292
	;; [unrolled: 1-line block ×4, first 2 shown]
	s_waitcnt vmcnt(4)
	ds_write_b128 v1, v[2:5]
.LBB92_151:
	s_or_b64 exec, exec, s[6:7]
	s_waitcnt lgkmcnt(0)
	; wave barrier
	s_waitcnt lgkmcnt(0)
	buffer_load_dword v4, off, s[0:3], 0 offset:304
	buffer_load_dword v5, off, s[0:3], 0 offset:308
	;; [unrolled: 1-line block ×44, first 2 shown]
	ds_read_b128 v[8:11], v6 offset:768
	ds_read_b128 v[12:15], v6 offset:784
	;; [unrolled: 1-line block ×10, first 2 shown]
	v_cmp_lt_u32_e32 vcc, 17, v219
	s_waitcnt vmcnt(40) lgkmcnt(9)
	v_mul_f64 v[6:7], v[8:9], v[36:37]
	v_mul_f64 v[36:37], v[10:11], v[36:37]
	s_waitcnt vmcnt(38) lgkmcnt(8)
	v_mul_f64 v[126:127], v[12:13], v[40:41]
	v_mul_f64 v[40:41], v[14:15], v[40:41]
	v_fmac_f64_e32 v[6:7], v[10:11], v[4:5]
	v_fma_f64 v[4:5], v[8:9], v[4:5], -v[36:37]
	s_waitcnt vmcnt(36) lgkmcnt(7)
	v_mul_f64 v[128:129], v[16:17], v[2:3]
	v_add_f64 v[4:5], v[4:5], 0
	v_mul_f64 v[2:3], v[18:19], v[2:3]
	v_add_f64 v[6:7], v[6:7], 0
	s_waitcnt vmcnt(30) lgkmcnt(6)
	v_mul_f64 v[130:131], v[20:21], v[46:47]
	s_waitcnt lgkmcnt(5)
	v_mul_f64 v[132:133], v[24:25], v[42:43]
	v_fmac_f64_e32 v[132:133], v[26:27], v[44:45]
	s_waitcnt vmcnt(28) lgkmcnt(3)
	v_mul_f64 v[136:137], v[32:33], v[48:49]
	s_waitcnt vmcnt(26)
	v_fmac_f64_e32 v[136:137], v[34:35], v[50:51]
	s_waitcnt vmcnt(24)
	v_mul_f64 v[134:135], v[28:29], v[52:53]
	s_waitcnt vmcnt(22) lgkmcnt(1)
	v_mul_f64 v[140:141], v[100:101], v[54:55]
	s_waitcnt vmcnt(20)
	v_fmac_f64_e32 v[140:141], v[102:103], v[56:57]
	s_waitcnt vmcnt(18)
	v_mul_f64 v[138:139], v[96:97], v[58:59]
	s_waitcnt vmcnt(16) lgkmcnt(0)
	v_mul_f64 v[142:143], v[104:105], v[108:109]
	s_waitcnt vmcnt(14)
	v_fma_f64 v[8:9], v[12:13], v[110:111], -v[40:41]
	v_add_f64 v[4:5], v[4:5], v[8:9]
	s_waitcnt vmcnt(12)
	v_fma_f64 v[2:3], v[16:17], v[112:113], -v[2:3]
	v_add_f64 v[2:3], v[4:5], v[2:3]
	v_mul_f64 v[4:5], v[22:23], v[46:47]
	s_waitcnt vmcnt(10)
	v_fma_f64 v[4:5], v[20:21], v[114:115], -v[4:5]
	v_add_f64 v[2:3], v[2:3], v[4:5]
	v_mul_f64 v[4:5], v[26:27], v[42:43]
	v_fma_f64 v[4:5], v[24:25], v[44:45], -v[4:5]
	v_add_f64 v[2:3], v[2:3], v[4:5]
	v_mul_f64 v[4:5], v[30:31], v[52:53]
	s_waitcnt vmcnt(8)
	v_fma_f64 v[4:5], v[28:29], v[116:117], -v[4:5]
	v_fmac_f64_e32 v[126:127], v[14:15], v[110:111]
	v_add_f64 v[2:3], v[2:3], v[4:5]
	v_mul_f64 v[4:5], v[34:35], v[48:49]
	v_fmac_f64_e32 v[128:129], v[18:19], v[112:113]
	v_add_f64 v[6:7], v[6:7], v[126:127]
	v_fma_f64 v[4:5], v[32:33], v[50:51], -v[4:5]
	v_fmac_f64_e32 v[130:131], v[22:23], v[114:115]
	v_add_f64 v[6:7], v[6:7], v[128:129]
	v_add_f64 v[2:3], v[2:3], v[4:5]
	v_mul_f64 v[4:5], v[98:99], v[58:59]
	v_add_f64 v[6:7], v[6:7], v[130:131]
	s_waitcnt vmcnt(6)
	v_fma_f64 v[4:5], v[96:97], v[118:119], -v[4:5]
	v_fmac_f64_e32 v[134:135], v[30:31], v[116:117]
	v_add_f64 v[6:7], v[6:7], v[132:133]
	v_add_f64 v[2:3], v[2:3], v[4:5]
	v_mul_f64 v[4:5], v[102:103], v[54:55]
	v_add_f64 v[6:7], v[6:7], v[134:135]
	v_fma_f64 v[4:5], v[100:101], v[56:57], -v[4:5]
	v_fmac_f64_e32 v[138:139], v[98:99], v[118:119]
	v_add_f64 v[6:7], v[6:7], v[136:137]
	v_add_f64 v[2:3], v[2:3], v[4:5]
	v_mul_f64 v[4:5], v[106:107], v[108:109]
	v_add_f64 v[6:7], v[6:7], v[138:139]
	s_waitcnt vmcnt(4)
	v_fma_f64 v[4:5], v[104:105], v[120:121], -v[4:5]
	v_fmac_f64_e32 v[142:143], v[106:107], v[120:121]
	v_add_f64 v[6:7], v[6:7], v[140:141]
	v_add_f64 v[2:3], v[2:3], v[4:5]
	v_add_f64 v[6:7], v[6:7], v[142:143]
	s_waitcnt vmcnt(2)
	v_add_f64 v[2:3], v[122:123], -v[2:3]
	s_waitcnt vmcnt(0)
	v_add_f64 v[4:5], v[124:125], -v[6:7]
	buffer_store_dword v3, off, s[0:3], 0 offset:292
	buffer_store_dword v2, off, s[0:3], 0 offset:288
	;; [unrolled: 1-line block ×4, first 2 shown]
	s_and_saveexec_b64 s[6:7], vcc
	s_cbranch_execz .LBB92_153
; %bb.152:
	v_accvgpr_read_b32 v5, a51
	buffer_load_dword v2, v5, s[0:3], 0 offen
	buffer_load_dword v3, v5, s[0:3], 0 offen offset:4
	buffer_load_dword v4, v5, s[0:3], 0 offen offset:8
	s_nop 0
	buffer_load_dword v5, v5, s[0:3], 0 offen offset:12
	v_mov_b32_e32 v6, 0
	buffer_store_dword v6, off, s[0:3], 0 offset:272
	buffer_store_dword v6, off, s[0:3], 0 offset:276
	;; [unrolled: 1-line block ×4, first 2 shown]
	s_waitcnt vmcnt(4)
	ds_write_b128 v1, v[2:5]
.LBB92_153:
	s_or_b64 exec, exec, s[6:7]
	s_waitcnt lgkmcnt(0)
	; wave barrier
	s_waitcnt lgkmcnt(0)
	buffer_load_dword v2, off, s[0:3], 0 offset:288
	buffer_load_dword v3, off, s[0:3], 0 offset:292
	;; [unrolled: 1-line block ×48, first 2 shown]
	v_mov_b32_e32 v12, 0
	ds_read_b128 v[14:17], v12 offset:752
	ds_read_b128 v[18:21], v12 offset:768
	;; [unrolled: 1-line block ×11, first 2 shown]
	v_cmp_lt_u32_e32 vcc, 16, v219
	s_waitcnt vmcnt(44) lgkmcnt(10)
	v_mul_f64 v[134:135], v[14:15], v[6:7]
	v_mul_f64 v[6:7], v[16:17], v[6:7]
	v_fmac_f64_e32 v[134:135], v[16:17], v[2:3]
	v_fma_f64 v[2:3], v[14:15], v[2:3], -v[6:7]
	s_waitcnt vmcnt(40) lgkmcnt(9)
	v_mul_f64 v[136:137], v[18:19], v[8:9]
	v_mul_f64 v[6:7], v[20:21], v[8:9]
	v_fmac_f64_e32 v[136:137], v[20:21], v[4:5]
	v_add_f64 v[2:3], v[2:3], 0
	v_fma_f64 v[4:5], v[18:19], v[4:5], -v[6:7]
	v_add_f64 v[2:3], v[2:3], v[4:5]
	s_waitcnt vmcnt(38) lgkmcnt(8)
	v_mul_f64 v[4:5], v[24:25], v[10:11]
	v_mul_f64 v[138:139], v[22:23], v[10:11]
	v_add_f64 v[134:135], v[134:135], 0
	s_waitcnt vmcnt(32) lgkmcnt(7)
	v_mul_f64 v[140:141], v[26:27], v[44:45]
	v_add_f64 v[134:135], v[134:135], v[136:137]
	s_waitcnt lgkmcnt(6)
	v_mul_f64 v[142:143], v[30:31], v[40:41]
	v_fmac_f64_e32 v[142:143], v[32:33], v[42:43]
	s_waitcnt vmcnt(30) lgkmcnt(4)
	v_mul_f64 v[146:147], v[96:97], v[46:47]
	s_waitcnt vmcnt(26)
	v_mul_f64 v[144:145], v[34:35], v[50:51]
	v_fmac_f64_e32 v[146:147], v[98:99], v[48:49]
	s_waitcnt vmcnt(24) lgkmcnt(2)
	v_mul_f64 v[150:151], v[104:105], v[52:53]
	s_waitcnt vmcnt(22)
	v_fmac_f64_e32 v[150:151], v[106:107], v[54:55]
	s_waitcnt vmcnt(20)
	v_mul_f64 v[148:149], v[100:101], v[56:57]
	s_waitcnt vmcnt(16) lgkmcnt(1)
	v_mul_f64 v[152:153], v[108:109], v[118:119]
	s_waitcnt vmcnt(14)
	v_fma_f64 v[4:5], v[22:23], v[120:121], -v[4:5]
	v_add_f64 v[2:3], v[2:3], v[4:5]
	v_mul_f64 v[4:5], v[28:29], v[44:45]
	s_waitcnt vmcnt(12)
	v_fma_f64 v[4:5], v[26:27], v[122:123], -v[4:5]
	v_add_f64 v[2:3], v[2:3], v[4:5]
	v_mul_f64 v[4:5], v[32:33], v[40:41]
	v_fma_f64 v[4:5], v[30:31], v[42:43], -v[4:5]
	v_add_f64 v[2:3], v[2:3], v[4:5]
	v_mul_f64 v[4:5], v[36:37], v[50:51]
	s_waitcnt vmcnt(10)
	v_fma_f64 v[4:5], v[34:35], v[124:125], -v[4:5]
	v_add_f64 v[2:3], v[2:3], v[4:5]
	v_mul_f64 v[4:5], v[98:99], v[46:47]
	v_fma_f64 v[4:5], v[96:97], v[48:49], -v[4:5]
	v_fmac_f64_e32 v[138:139], v[24:25], v[120:121]
	v_add_f64 v[2:3], v[2:3], v[4:5]
	v_mul_f64 v[4:5], v[102:103], v[56:57]
	v_fmac_f64_e32 v[140:141], v[28:29], v[122:123]
	v_add_f64 v[134:135], v[134:135], v[138:139]
	s_waitcnt vmcnt(8)
	v_fma_f64 v[4:5], v[100:101], v[126:127], -v[4:5]
	v_add_f64 v[134:135], v[134:135], v[140:141]
	v_add_f64 v[2:3], v[2:3], v[4:5]
	v_mul_f64 v[4:5], v[106:107], v[52:53]
	v_fmac_f64_e32 v[144:145], v[36:37], v[124:125]
	v_add_f64 v[134:135], v[134:135], v[142:143]
	v_fma_f64 v[4:5], v[104:105], v[54:55], -v[4:5]
	v_add_f64 v[134:135], v[134:135], v[144:145]
	v_add_f64 v[2:3], v[2:3], v[4:5]
	v_mul_f64 v[4:5], v[110:111], v[118:119]
	v_fmac_f64_e32 v[148:149], v[102:103], v[126:127]
	v_add_f64 v[134:135], v[134:135], v[146:147]
	s_waitcnt vmcnt(6)
	v_fma_f64 v[4:5], v[108:109], v[128:129], -v[4:5]
	v_add_f64 v[134:135], v[134:135], v[148:149]
	v_add_f64 v[2:3], v[2:3], v[4:5]
	s_waitcnt vmcnt(5) lgkmcnt(0)
	v_mul_f64 v[4:5], v[114:115], v[58:59]
	v_fmac_f64_e32 v[152:153], v[110:111], v[128:129]
	v_add_f64 v[134:135], v[134:135], v[150:151]
	v_mul_f64 v[136:137], v[112:113], v[58:59]
	s_waitcnt vmcnt(4)
	v_fma_f64 v[4:5], v[112:113], v[116:117], -v[4:5]
	v_add_f64 v[134:135], v[134:135], v[152:153]
	v_fmac_f64_e32 v[136:137], v[114:115], v[116:117]
	v_add_f64 v[2:3], v[2:3], v[4:5]
	v_add_f64 v[134:135], v[134:135], v[136:137]
	s_waitcnt vmcnt(2)
	v_add_f64 v[2:3], v[130:131], -v[2:3]
	s_waitcnt vmcnt(0)
	v_add_f64 v[4:5], v[132:133], -v[134:135]
	buffer_store_dword v3, off, s[0:3], 0 offset:276
	buffer_store_dword v2, off, s[0:3], 0 offset:272
	;; [unrolled: 1-line block ×4, first 2 shown]
	s_and_saveexec_b64 s[6:7], vcc
	s_cbranch_execz .LBB92_155
; %bb.154:
	v_accvgpr_read_b32 v5, a52
	buffer_load_dword v2, v5, s[0:3], 0 offen
	buffer_load_dword v3, v5, s[0:3], 0 offen offset:4
	buffer_load_dword v4, v5, s[0:3], 0 offen offset:8
	s_nop 0
	buffer_load_dword v5, v5, s[0:3], 0 offen offset:12
	s_nop 0
	buffer_store_dword v12, off, s[0:3], 0 offset:256
	buffer_store_dword v12, off, s[0:3], 0 offset:260
	;; [unrolled: 1-line block ×4, first 2 shown]
	s_waitcnt vmcnt(4)
	ds_write_b128 v1, v[2:5]
.LBB92_155:
	s_or_b64 exec, exec, s[6:7]
	s_waitcnt lgkmcnt(0)
	; wave barrier
	s_waitcnt lgkmcnt(0)
	buffer_load_dword v2, off, s[0:3], 0 offset:272
	buffer_load_dword v3, off, s[0:3], 0 offset:276
	;; [unrolled: 1-line block ×52, first 2 shown]
	ds_read_b128 v[14:17], v12 offset:736
	ds_read_b128 v[18:21], v12 offset:752
	;; [unrolled: 1-line block ×10, first 2 shown]
	v_cmp_lt_u32_e32 vcc, 15, v219
	s_waitcnt vmcnt(48) lgkmcnt(9)
	v_mul_f64 v[112:113], v[14:15], v[6:7]
	v_mul_f64 v[6:7], v[16:17], v[6:7]
	v_fmac_f64_e32 v[112:113], v[16:17], v[2:3]
	v_fma_f64 v[2:3], v[14:15], v[2:3], -v[6:7]
	s_waitcnt vmcnt(44) lgkmcnt(8)
	v_mul_f64 v[114:115], v[18:19], v[8:9]
	v_mul_f64 v[6:7], v[20:21], v[8:9]
	v_fmac_f64_e32 v[114:115], v[20:21], v[4:5]
	v_add_f64 v[2:3], v[2:3], 0
	v_fma_f64 v[4:5], v[18:19], v[4:5], -v[6:7]
	v_add_f64 v[2:3], v[2:3], v[4:5]
	s_waitcnt vmcnt(42) lgkmcnt(7)
	v_mul_f64 v[4:5], v[24:25], v[10:11]
	v_mul_f64 v[116:117], v[22:23], v[10:11]
	v_add_f64 v[112:113], v[112:113], 0
	s_waitcnt vmcnt(36) lgkmcnt(6)
	v_mul_f64 v[118:119], v[26:27], v[44:45]
	v_add_f64 v[112:113], v[112:113], v[114:115]
	s_waitcnt lgkmcnt(5)
	v_mul_f64 v[142:143], v[30:31], v[40:41]
	v_fmac_f64_e32 v[142:143], v[32:33], v[42:43]
	s_waitcnt vmcnt(34) lgkmcnt(3)
	v_mul_f64 v[146:147], v[96:97], v[46:47]
	s_waitcnt vmcnt(30)
	v_mul_f64 v[144:145], v[34:35], v[50:51]
	v_fmac_f64_e32 v[146:147], v[98:99], v[48:49]
	s_waitcnt vmcnt(26) lgkmcnt(2)
	v_mul_f64 v[148:149], v[100:101], v[56:57]
	s_waitcnt vmcnt(25) lgkmcnt(1)
	v_mul_f64 v[150:151], v[104:105], v[52:53]
	s_waitcnt vmcnt(23)
	v_fma_f64 v[4:5], v[22:23], v[58:59], -v[4:5]
	v_add_f64 v[2:3], v[2:3], v[4:5]
	v_mul_f64 v[4:5], v[28:29], v[44:45]
	s_waitcnt vmcnt(21)
	v_fma_f64 v[4:5], v[26:27], v[120:121], -v[4:5]
	v_fmac_f64_e32 v[116:117], v[24:25], v[58:59]
	v_add_f64 v[2:3], v[2:3], v[4:5]
	v_mul_f64 v[4:5], v[32:33], v[40:41]
	v_fmac_f64_e32 v[118:119], v[28:29], v[120:121]
	v_add_f64 v[112:113], v[112:113], v[116:117]
	v_fma_f64 v[4:5], v[30:31], v[42:43], -v[4:5]
	v_add_f64 v[112:113], v[112:113], v[118:119]
	v_add_f64 v[2:3], v[2:3], v[4:5]
	v_mul_f64 v[4:5], v[36:37], v[50:51]
	s_waitcnt vmcnt(19)
	v_fmac_f64_e32 v[144:145], v[36:37], v[122:123]
	v_add_f64 v[112:113], v[112:113], v[142:143]
	v_fma_f64 v[4:5], v[34:35], v[122:123], -v[4:5]
	v_add_f64 v[112:113], v[112:113], v[144:145]
	v_add_f64 v[2:3], v[2:3], v[4:5]
	v_mul_f64 v[4:5], v[98:99], v[46:47]
	s_waitcnt vmcnt(17)
	v_fmac_f64_e32 v[148:149], v[102:103], v[124:125]
	v_add_f64 v[112:113], v[112:113], v[146:147]
	v_fma_f64 v[4:5], v[96:97], v[48:49], -v[4:5]
	s_waitcnt vmcnt(16)
	v_fmac_f64_e32 v[150:151], v[106:107], v[54:55]
	v_add_f64 v[112:113], v[112:113], v[148:149]
	v_add_f64 v[2:3], v[2:3], v[4:5]
	v_mul_f64 v[4:5], v[102:103], v[56:57]
	v_add_f64 v[142:143], v[112:113], v[150:151]
	ds_read_b128 v[112:115], v12 offset:896
	ds_read_b128 v[116:119], v12 offset:912
	v_fma_f64 v[4:5], v[100:101], v[124:125], -v[4:5]
	v_add_f64 v[2:3], v[2:3], v[4:5]
	v_mul_f64 v[4:5], v[106:107], v[52:53]
	v_fma_f64 v[4:5], v[104:105], v[54:55], -v[4:5]
	v_add_f64 v[2:3], v[2:3], v[4:5]
	s_waitcnt vmcnt(12) lgkmcnt(2)
	v_mul_f64 v[4:5], v[110:111], v[130:131]
	v_mul_f64 v[144:145], v[108:109], v[130:131]
	s_waitcnt vmcnt(10)
	v_fma_f64 v[4:5], v[108:109], v[132:133], -v[4:5]
	v_fmac_f64_e32 v[144:145], v[110:111], v[132:133]
	v_add_f64 v[2:3], v[2:3], v[4:5]
	s_waitcnt vmcnt(8) lgkmcnt(1)
	v_mul_f64 v[4:5], v[114:115], v[126:127]
	v_add_f64 v[12:13], v[142:143], v[144:145]
	v_mul_f64 v[142:143], v[112:113], v[126:127]
	v_fma_f64 v[4:5], v[112:113], v[128:129], -v[4:5]
	v_fmac_f64_e32 v[142:143], v[114:115], v[128:129]
	v_add_f64 v[2:3], v[2:3], v[4:5]
	s_waitcnt vmcnt(6) lgkmcnt(0)
	v_mul_f64 v[4:5], v[118:119], v[134:135]
	v_add_f64 v[12:13], v[12:13], v[142:143]
	v_mul_f64 v[142:143], v[116:117], v[134:135]
	s_waitcnt vmcnt(4)
	v_fma_f64 v[4:5], v[116:117], v[136:137], -v[4:5]
	v_fmac_f64_e32 v[142:143], v[118:119], v[136:137]
	v_add_f64 v[2:3], v[2:3], v[4:5]
	v_add_f64 v[12:13], v[12:13], v[142:143]
	s_waitcnt vmcnt(2)
	v_add_f64 v[2:3], v[138:139], -v[2:3]
	s_waitcnt vmcnt(0)
	v_add_f64 v[4:5], v[140:141], -v[12:13]
	buffer_store_dword v3, off, s[0:3], 0 offset:260
	buffer_store_dword v2, off, s[0:3], 0 offset:256
	;; [unrolled: 1-line block ×4, first 2 shown]
	s_and_saveexec_b64 s[6:7], vcc
	s_cbranch_execz .LBB92_157
; %bb.156:
	v_accvgpr_read_b32 v5, a53
	buffer_load_dword v2, v5, s[0:3], 0 offen
	buffer_load_dword v3, v5, s[0:3], 0 offen offset:4
	buffer_load_dword v4, v5, s[0:3], 0 offen offset:8
	s_nop 0
	buffer_load_dword v5, v5, s[0:3], 0 offen offset:12
	v_mov_b32_e32 v6, 0
	buffer_store_dword v6, off, s[0:3], 0 offset:240
	buffer_store_dword v6, off, s[0:3], 0 offset:244
	;; [unrolled: 1-line block ×4, first 2 shown]
	s_waitcnt vmcnt(4)
	ds_write_b128 v1, v[2:5]
.LBB92_157:
	s_or_b64 exec, exec, s[6:7]
	s_waitcnt lgkmcnt(0)
	; wave barrier
	s_waitcnt lgkmcnt(0)
	buffer_load_dword v2, off, s[0:3], 0 offset:256
	buffer_load_dword v3, off, s[0:3], 0 offset:260
	;; [unrolled: 1-line block ×56, first 2 shown]
	v_mov_b32_e32 v24, 0
	ds_read_b128 v[18:21], v24 offset:720
	ds_read_b128 v[26:29], v24 offset:736
	;; [unrolled: 1-line block ×9, first 2 shown]
	v_cmp_lt_u32_e32 vcc, 14, v219
	s_waitcnt vmcnt(52) lgkmcnt(8)
	v_mul_f64 v[112:113], v[18:19], v[6:7]
	v_fmac_f64_e32 v[112:113], v[20:21], v[2:3]
	v_mul_f64 v[6:7], v[20:21], v[6:7]
	v_add_f64 v[112:113], v[112:113], 0
	s_waitcnt vmcnt(48) lgkmcnt(7)
	v_mul_f64 v[114:115], v[26:27], v[8:9]
	v_fmac_f64_e32 v[114:115], v[28:29], v[4:5]
	s_waitcnt vmcnt(46) lgkmcnt(6)
	v_mul_f64 v[116:117], v[30:31], v[10:11]
	v_fma_f64 v[2:3], v[18:19], v[2:3], -v[6:7]
	v_mul_f64 v[6:7], v[28:29], v[8:9]
	v_add_f64 v[112:113], v[112:113], v[114:115]
	v_add_f64 v[2:3], v[2:3], 0
	v_fma_f64 v[4:5], v[26:27], v[4:5], -v[6:7]
	s_waitcnt vmcnt(40) lgkmcnt(5)
	v_mul_f64 v[118:119], v[34:35], v[16:17]
	s_waitcnt lgkmcnt(4)
	v_mul_f64 v[120:121], v[96:97], v[12:13]
	v_add_f64 v[2:3], v[2:3], v[4:5]
	v_mul_f64 v[4:5], v[32:33], v[10:11]
	s_waitcnt vmcnt(36) lgkmcnt(3)
	v_mul_f64 v[122:123], v[100:101], v[42:43]
	v_fmac_f64_e32 v[120:121], v[98:99], v[14:15]
	s_waitcnt vmcnt(35) lgkmcnt(2)
	v_mul_f64 v[124:125], v[104:105], v[22:23]
	s_waitcnt vmcnt(33)
	v_fmac_f64_e32 v[116:117], v[32:33], v[44:45]
	v_add_f64 v[112:113], v[112:113], v[116:117]
	s_waitcnt vmcnt(31)
	v_fmac_f64_e32 v[118:119], v[36:37], v[46:47]
	v_add_f64 v[112:113], v[112:113], v[118:119]
	v_fma_f64 v[4:5], v[30:31], v[44:45], -v[4:5]
	s_waitcnt vmcnt(29)
	v_fmac_f64_e32 v[122:123], v[102:103], v[48:49]
	v_add_f64 v[112:113], v[112:113], v[120:121]
	v_add_f64 v[2:3], v[2:3], v[4:5]
	v_mul_f64 v[4:5], v[36:37], v[16:17]
	s_waitcnt vmcnt(28)
	v_fmac_f64_e32 v[124:125], v[106:107], v[40:41]
	v_add_f64 v[112:113], v[112:113], v[122:123]
	v_fma_f64 v[4:5], v[34:35], v[46:47], -v[4:5]
	v_add_f64 v[116:117], v[112:113], v[124:125]
	ds_read_b128 v[112:115], v24 offset:848
	s_waitcnt vmcnt(24) lgkmcnt(2)
	v_mul_f64 v[118:119], v[108:109], v[54:55]
	v_add_f64 v[2:3], v[2:3], v[4:5]
	v_mul_f64 v[4:5], v[98:99], v[12:13]
	s_waitcnt vmcnt(22)
	v_fmac_f64_e32 v[118:119], v[110:111], v[56:57]
	v_fma_f64 v[4:5], v[96:97], v[14:15], -v[4:5]
	v_add_f64 v[120:121], v[116:117], v[118:119]
	ds_read_b128 v[116:119], v24 offset:864
	v_add_f64 v[2:3], v[2:3], v[4:5]
	v_mul_f64 v[4:5], v[102:103], v[42:43]
	v_fma_f64 v[4:5], v[100:101], v[48:49], -v[4:5]
	v_add_f64 v[2:3], v[2:3], v[4:5]
	v_mul_f64 v[4:5], v[106:107], v[22:23]
	s_waitcnt vmcnt(20) lgkmcnt(1)
	v_mul_f64 v[122:123], v[112:113], v[50:51]
	v_fma_f64 v[4:5], v[104:105], v[40:41], -v[4:5]
	v_fmac_f64_e32 v[122:123], v[114:115], v[52:53]
	v_add_f64 v[2:3], v[2:3], v[4:5]
	v_mul_f64 v[4:5], v[110:111], v[54:55]
	v_add_f64 v[124:125], v[120:121], v[122:123]
	ds_read_b128 v[120:123], v24 offset:880
	s_waitcnt vmcnt(16) lgkmcnt(1)
	v_mul_f64 v[126:127], v[116:117], v[134:135]
	v_fma_f64 v[4:5], v[108:109], v[56:57], -v[4:5]
	s_waitcnt vmcnt(14)
	v_fmac_f64_e32 v[126:127], v[118:119], v[136:137]
	v_add_f64 v[2:3], v[2:3], v[4:5]
	v_mul_f64 v[4:5], v[114:115], v[50:51]
	v_add_f64 v[150:151], v[124:125], v[126:127]
	ds_read_b128 v[124:127], v24 offset:896
	v_fma_f64 v[4:5], v[112:113], v[52:53], -v[4:5]
	v_add_f64 v[2:3], v[2:3], v[4:5]
	v_mul_f64 v[4:5], v[118:119], v[134:135]
	v_fma_f64 v[4:5], v[116:117], v[136:137], -v[4:5]
	v_add_f64 v[2:3], v[2:3], v[4:5]
	s_waitcnt vmcnt(12) lgkmcnt(1)
	v_mul_f64 v[4:5], v[122:123], v[58:59]
	v_mul_f64 v[152:153], v[120:121], v[58:59]
	v_fma_f64 v[4:5], v[120:121], v[132:133], -v[4:5]
	v_fmac_f64_e32 v[152:153], v[122:123], v[132:133]
	v_add_f64 v[2:3], v[2:3], v[4:5]
	s_waitcnt vmcnt(8) lgkmcnt(0)
	v_mul_f64 v[4:5], v[126:127], v[142:143]
	v_add_f64 v[150:151], v[150:151], v[152:153]
	v_mul_f64 v[152:153], v[124:125], v[142:143]
	s_waitcnt vmcnt(6)
	v_fma_f64 v[4:5], v[124:125], v[144:145], -v[4:5]
	v_fmac_f64_e32 v[152:153], v[126:127], v[144:145]
	v_add_f64 v[2:3], v[2:3], v[4:5]
	s_waitcnt vmcnt(5)
	v_mul_f64 v[4:5], v[130:131], v[138:139]
	v_add_f64 v[150:151], v[150:151], v[152:153]
	v_mul_f64 v[152:153], v[128:129], v[138:139]
	s_waitcnt vmcnt(4)
	v_fma_f64 v[4:5], v[128:129], v[140:141], -v[4:5]
	v_fmac_f64_e32 v[152:153], v[130:131], v[140:141]
	v_add_f64 v[2:3], v[2:3], v[4:5]
	v_add_f64 v[150:151], v[150:151], v[152:153]
	s_waitcnt vmcnt(2)
	v_add_f64 v[2:3], v[146:147], -v[2:3]
	s_waitcnt vmcnt(0)
	v_add_f64 v[4:5], v[148:149], -v[150:151]
	buffer_store_dword v3, off, s[0:3], 0 offset:244
	buffer_store_dword v2, off, s[0:3], 0 offset:240
	;; [unrolled: 1-line block ×4, first 2 shown]
	s_and_saveexec_b64 s[6:7], vcc
	s_cbranch_execz .LBB92_159
; %bb.158:
	v_accvgpr_read_b32 v5, a54
	buffer_load_dword v2, v5, s[0:3], 0 offen
	buffer_load_dword v3, v5, s[0:3], 0 offen offset:4
	buffer_load_dword v4, v5, s[0:3], 0 offen offset:8
	s_nop 0
	buffer_load_dword v5, v5, s[0:3], 0 offen offset:12
	s_nop 0
	buffer_store_dword v24, off, s[0:3], 0 offset:224
	buffer_store_dword v24, off, s[0:3], 0 offset:228
	;; [unrolled: 1-line block ×4, first 2 shown]
	s_waitcnt vmcnt(4)
	ds_write_b128 v1, v[2:5]
.LBB92_159:
	s_or_b64 exec, exec, s[6:7]
	s_waitcnt lgkmcnt(0)
	; wave barrier
	s_waitcnt lgkmcnt(0)
	buffer_load_dword v2, off, s[0:3], 0 offset:240
	buffer_load_dword v3, off, s[0:3], 0 offset:244
	;; [unrolled: 1-line block ×60, first 2 shown]
	ds_read_b128 v[26:29], v24 offset:704
	ds_read_b128 v[30:33], v24 offset:720
	;; [unrolled: 1-line block ×8, first 2 shown]
	v_cmp_lt_u32_e32 vcc, 13, v219
	ds_read_b128 v[136:139], v24 offset:912
	s_waitcnt vmcnt(56) lgkmcnt(8)
	v_mul_f64 v[116:117], v[26:27], v[6:7]
	v_fmac_f64_e32 v[116:117], v[28:29], v[2:3]
	v_add_f64 v[116:117], v[116:117], 0
	v_mul_f64 v[6:7], v[28:29], v[6:7]
	s_waitcnt vmcnt(52) lgkmcnt(7)
	v_mul_f64 v[118:119], v[30:31], v[8:9]
	v_fmac_f64_e32 v[118:119], v[32:33], v[4:5]
	s_waitcnt vmcnt(50) lgkmcnt(6)
	v_mul_f64 v[120:121], v[34:35], v[10:11]
	v_add_f64 v[116:117], v[116:117], v[118:119]
	s_waitcnt vmcnt(48) lgkmcnt(4)
	v_mul_f64 v[124:125], v[100:101], v[12:13]
	v_fma_f64 v[2:3], v[26:27], v[2:3], -v[6:7]
	s_waitcnt vmcnt(46)
	v_fmac_f64_e32 v[124:125], v[102:103], v[14:15]
	v_mul_f64 v[6:7], v[32:33], v[8:9]
	s_waitcnt vmcnt(44)
	v_mul_f64 v[122:123], v[96:97], v[16:17]
	v_add_f64 v[2:3], v[2:3], 0
	v_fma_f64 v[4:5], v[30:31], v[4:5], -v[6:7]
	v_add_f64 v[2:3], v[2:3], v[4:5]
	s_waitcnt vmcnt(40) lgkmcnt(3)
	v_mul_f64 v[126:127], v[104:105], v[22:23]
	v_mul_f64 v[4:5], v[36:37], v[10:11]
	s_waitcnt vmcnt(38)
	v_fmac_f64_e32 v[120:121], v[36:37], v[40:41]
	v_add_f64 v[116:117], v[116:117], v[120:121]
	s_waitcnt vmcnt(36)
	v_fmac_f64_e32 v[122:123], v[98:99], v[42:43]
	v_add_f64 v[116:117], v[116:117], v[122:123]
	;; [unrolled: 3-line block ×3, first 2 shown]
	s_waitcnt vmcnt(32) lgkmcnt(2)
	v_mul_f64 v[118:119], v[108:109], v[18:19]
	v_add_f64 v[116:117], v[116:117], v[126:127]
	v_fmac_f64_e32 v[118:119], v[110:111], v[20:21]
	v_add_f64 v[120:121], v[116:117], v[118:119]
	ds_read_b128 v[116:119], v24 offset:832
	v_fma_f64 v[4:5], v[34:35], v[40:41], -v[4:5]
	v_add_f64 v[2:3], v[2:3], v[4:5]
	v_mul_f64 v[4:5], v[98:99], v[16:17]
	v_fma_f64 v[4:5], v[96:97], v[42:43], -v[4:5]
	s_waitcnt vmcnt(28) lgkmcnt(2)
	v_mul_f64 v[122:123], v[112:113], v[50:51]
	v_add_f64 v[2:3], v[2:3], v[4:5]
	v_mul_f64 v[4:5], v[102:103], v[12:13]
	s_waitcnt vmcnt(26)
	v_fmac_f64_e32 v[122:123], v[114:115], v[52:53]
	v_fma_f64 v[4:5], v[100:101], v[14:15], -v[4:5]
	v_add_f64 v[124:125], v[120:121], v[122:123]
	ds_read_b128 v[120:123], v24 offset:848
	s_waitcnt vmcnt(24) lgkmcnt(1)
	v_mul_f64 v[126:127], v[116:117], v[46:47]
	v_add_f64 v[2:3], v[2:3], v[4:5]
	v_mul_f64 v[4:5], v[106:107], v[22:23]
	v_fmac_f64_e32 v[126:127], v[118:119], v[48:49]
	v_fma_f64 v[4:5], v[104:105], v[44:45], -v[4:5]
	v_add_f64 v[128:129], v[124:125], v[126:127]
	ds_read_b128 v[124:127], v24 offset:864
	v_add_f64 v[2:3], v[2:3], v[4:5]
	v_mul_f64 v[4:5], v[110:111], v[18:19]
	v_fma_f64 v[4:5], v[108:109], v[20:21], -v[4:5]
	v_add_f64 v[2:3], v[2:3], v[4:5]
	v_mul_f64 v[4:5], v[114:115], v[50:51]
	s_waitcnt vmcnt(20) lgkmcnt(1)
	v_mul_f64 v[130:131], v[120:121], v[58:59]
	v_fma_f64 v[4:5], v[112:113], v[52:53], -v[4:5]
	s_waitcnt vmcnt(18)
	v_fmac_f64_e32 v[130:131], v[122:123], v[140:141]
	v_add_f64 v[2:3], v[2:3], v[4:5]
	v_mul_f64 v[4:5], v[118:119], v[46:47]
	v_add_f64 v[132:133], v[128:129], v[130:131]
	ds_read_b128 v[128:131], v24 offset:880
	s_waitcnt vmcnt(16) lgkmcnt(1)
	v_mul_f64 v[134:135], v[124:125], v[54:55]
	v_fma_f64 v[4:5], v[116:117], v[48:49], -v[4:5]
	v_fmac_f64_e32 v[134:135], v[126:127], v[56:57]
	v_add_f64 v[2:3], v[2:3], v[4:5]
	v_mul_f64 v[4:5], v[122:123], v[58:59]
	v_add_f64 v[158:159], v[132:133], v[134:135]
	ds_read_b128 v[132:135], v24 offset:896
	v_fma_f64 v[4:5], v[120:121], v[140:141], -v[4:5]
	v_add_f64 v[2:3], v[2:3], v[4:5]
	v_mul_f64 v[4:5], v[126:127], v[54:55]
	v_fma_f64 v[4:5], v[124:125], v[56:57], -v[4:5]
	v_add_f64 v[2:3], v[2:3], v[4:5]
	s_waitcnt vmcnt(12) lgkmcnt(1)
	v_mul_f64 v[4:5], v[130:131], v[146:147]
	v_mul_f64 v[160:161], v[128:129], v[146:147]
	s_waitcnt vmcnt(10)
	v_fma_f64 v[4:5], v[128:129], v[148:149], -v[4:5]
	v_fmac_f64_e32 v[160:161], v[130:131], v[148:149]
	v_add_f64 v[2:3], v[2:3], v[4:5]
	s_waitcnt vmcnt(8) lgkmcnt(0)
	v_mul_f64 v[4:5], v[134:135], v[142:143]
	v_add_f64 v[24:25], v[158:159], v[160:161]
	v_mul_f64 v[158:159], v[132:133], v[142:143]
	v_fma_f64 v[4:5], v[132:133], v[144:145], -v[4:5]
	v_fmac_f64_e32 v[158:159], v[134:135], v[144:145]
	v_add_f64 v[2:3], v[2:3], v[4:5]
	s_waitcnt vmcnt(6)
	v_mul_f64 v[4:5], v[138:139], v[150:151]
	v_add_f64 v[24:25], v[24:25], v[158:159]
	v_mul_f64 v[158:159], v[136:137], v[150:151]
	s_waitcnt vmcnt(4)
	v_fma_f64 v[4:5], v[136:137], v[152:153], -v[4:5]
	v_fmac_f64_e32 v[158:159], v[138:139], v[152:153]
	v_add_f64 v[2:3], v[2:3], v[4:5]
	v_add_f64 v[24:25], v[24:25], v[158:159]
	s_waitcnt vmcnt(2)
	v_add_f64 v[2:3], v[154:155], -v[2:3]
	s_waitcnt vmcnt(0)
	v_add_f64 v[4:5], v[156:157], -v[24:25]
	buffer_store_dword v3, off, s[0:3], 0 offset:228
	buffer_store_dword v2, off, s[0:3], 0 offset:224
	;; [unrolled: 1-line block ×4, first 2 shown]
	s_and_saveexec_b64 s[6:7], vcc
	s_cbranch_execz .LBB92_161
; %bb.160:
	v_accvgpr_read_b32 v5, a55
	buffer_load_dword v2, v5, s[0:3], 0 offen
	buffer_load_dword v3, v5, s[0:3], 0 offen offset:4
	buffer_load_dword v4, v5, s[0:3], 0 offen offset:8
	s_nop 0
	buffer_load_dword v5, v5, s[0:3], 0 offen offset:12
	v_mov_b32_e32 v6, 0
	buffer_store_dword v6, off, s[0:3], 0 offset:208
	buffer_store_dword v6, off, s[0:3], 0 offset:212
	;; [unrolled: 1-line block ×4, first 2 shown]
	s_waitcnt vmcnt(4)
	ds_write_b128 v1, v[2:5]
.LBB92_161:
	s_or_b64 exec, exec, s[6:7]
	s_waitcnt lgkmcnt(0)
	; wave barrier
	s_waitcnt lgkmcnt(0)
	buffer_load_dword v2, off, s[0:3], 0 offset:224
	buffer_load_dword v3, off, s[0:3], 0 offset:228
	;; [unrolled: 1-line block ×64, first 2 shown]
	v_mov_b32_e32 v96, 0
	ds_read_b128 v[30:33], v96 offset:688
	ds_read_b128 v[34:37], v96 offset:704
	;; [unrolled: 1-line block ×7, first 2 shown]
	v_cmp_lt_u32_e32 vcc, 12, v219
	s_waitcnt vmcnt(60) lgkmcnt(6)
	v_mul_f64 v[114:115], v[30:31], v[6:7]
	v_fmac_f64_e32 v[114:115], v[32:33], v[2:3]
	v_add_f64 v[114:115], v[114:115], 0
	v_mul_f64 v[6:7], v[32:33], v[6:7]
	s_waitcnt vmcnt(56) lgkmcnt(5)
	v_mul_f64 v[116:117], v[34:35], v[8:9]
	v_fmac_f64_e32 v[116:117], v[36:37], v[4:5]
	s_waitcnt vmcnt(54) lgkmcnt(4)
	v_mul_f64 v[118:119], v[98:99], v[10:11]
	v_add_f64 v[114:115], v[114:115], v[116:117]
	v_fma_f64 v[2:3], v[30:31], v[2:3], -v[6:7]
	v_mul_f64 v[6:7], v[36:37], v[8:9]
	s_waitcnt vmcnt(50) lgkmcnt(3)
	v_mul_f64 v[120:121], v[102:103], v[16:17]
	s_waitcnt vmcnt(49) lgkmcnt(2)
	v_mul_f64 v[122:123], v[106:107], v[12:13]
	v_add_f64 v[2:3], v[2:3], 0
	s_waitcnt vmcnt(47)
	v_fmac_f64_e32 v[118:119], v[100:101], v[20:21]
	v_add_f64 v[114:115], v[114:115], v[118:119]
	s_waitcnt vmcnt(45)
	v_fmac_f64_e32 v[120:121], v[104:105], v[18:19]
	;; [unrolled: 3-line block ×3, first 2 shown]
	v_add_f64 v[118:119], v[114:115], v[122:123]
	ds_read_b128 v[114:117], v96 offset:784
	s_waitcnt vmcnt(40) lgkmcnt(2)
	v_mul_f64 v[120:121], v[110:111], v[26:27]
	v_fma_f64 v[4:5], v[34:35], v[4:5], -v[6:7]
	s_waitcnt vmcnt(38)
	v_fmac_f64_e32 v[120:121], v[112:113], v[28:29]
	v_add_f64 v[122:123], v[118:119], v[120:121]
	ds_read_b128 v[118:121], v96 offset:800
	s_waitcnt vmcnt(36) lgkmcnt(1)
	v_mul_f64 v[124:125], v[114:115], v[22:23]
	v_fmac_f64_e32 v[124:125], v[116:117], v[24:25]
	v_add_f64 v[2:3], v[2:3], v[4:5]
	v_mul_f64 v[4:5], v[100:101], v[10:11]
	v_add_f64 v[126:127], v[122:123], v[124:125]
	ds_read_b128 v[122:125], v96 offset:816
	s_waitcnt vmcnt(32) lgkmcnt(1)
	v_mul_f64 v[128:129], v[118:119], v[44:45]
	v_fma_f64 v[4:5], v[98:99], v[20:21], -v[4:5]
	s_waitcnt vmcnt(30)
	v_fmac_f64_e32 v[128:129], v[120:121], v[46:47]
	v_add_f64 v[2:3], v[2:3], v[4:5]
	v_mul_f64 v[4:5], v[104:105], v[16:17]
	v_add_f64 v[130:131], v[126:127], v[128:129]
	ds_read_b128 v[126:129], v96 offset:832
	v_fma_f64 v[4:5], v[102:103], v[18:19], -v[4:5]
	v_add_f64 v[2:3], v[2:3], v[4:5]
	v_mul_f64 v[4:5], v[108:109], v[12:13]
	v_fma_f64 v[4:5], v[106:107], v[14:15], -v[4:5]
	s_waitcnt vmcnt(28) lgkmcnt(1)
	v_mul_f64 v[132:133], v[122:123], v[40:41]
	v_add_f64 v[2:3], v[2:3], v[4:5]
	v_mul_f64 v[4:5], v[112:113], v[26:27]
	v_fmac_f64_e32 v[132:133], v[124:125], v[42:43]
	v_fma_f64 v[4:5], v[110:111], v[28:29], -v[4:5]
	v_add_f64 v[134:135], v[130:131], v[132:133]
	ds_read_b128 v[130:133], v96 offset:848
	s_waitcnt vmcnt(24) lgkmcnt(1)
	v_mul_f64 v[136:137], v[126:127], v[52:53]
	v_add_f64 v[2:3], v[2:3], v[4:5]
	v_mul_f64 v[4:5], v[116:117], v[22:23]
	s_waitcnt vmcnt(22)
	v_fmac_f64_e32 v[136:137], v[128:129], v[54:55]
	v_fma_f64 v[4:5], v[114:115], v[24:25], -v[4:5]
	v_add_f64 v[138:139], v[134:135], v[136:137]
	ds_read_b128 v[134:137], v96 offset:864
	v_add_f64 v[2:3], v[2:3], v[4:5]
	v_mul_f64 v[4:5], v[120:121], v[44:45]
	v_fma_f64 v[4:5], v[118:119], v[46:47], -v[4:5]
	v_add_f64 v[2:3], v[2:3], v[4:5]
	v_mul_f64 v[4:5], v[124:125], v[40:41]
	s_waitcnt vmcnt(20) lgkmcnt(1)
	v_mul_f64 v[140:141], v[130:131], v[48:49]
	v_fma_f64 v[4:5], v[122:123], v[42:43], -v[4:5]
	v_fmac_f64_e32 v[140:141], v[132:133], v[50:51]
	v_add_f64 v[2:3], v[2:3], v[4:5]
	v_mul_f64 v[4:5], v[128:129], v[52:53]
	v_add_f64 v[142:143], v[138:139], v[140:141]
	ds_read_b128 v[138:141], v96 offset:880
	s_waitcnt vmcnt(16) lgkmcnt(1)
	v_mul_f64 v[144:145], v[134:135], v[150:151]
	v_fma_f64 v[4:5], v[126:127], v[54:55], -v[4:5]
	s_waitcnt vmcnt(14)
	v_fmac_f64_e32 v[144:145], v[136:137], v[152:153]
	v_add_f64 v[2:3], v[2:3], v[4:5]
	v_mul_f64 v[4:5], v[132:133], v[48:49]
	v_add_f64 v[166:167], v[142:143], v[144:145]
	ds_read_b128 v[142:145], v96 offset:896
	v_fma_f64 v[4:5], v[130:131], v[50:51], -v[4:5]
	v_add_f64 v[2:3], v[2:3], v[4:5]
	v_mul_f64 v[4:5], v[136:137], v[150:151]
	v_fma_f64 v[4:5], v[134:135], v[152:153], -v[4:5]
	v_add_f64 v[2:3], v[2:3], v[4:5]
	s_waitcnt vmcnt(12) lgkmcnt(1)
	v_mul_f64 v[4:5], v[140:141], v[56:57]
	v_mul_f64 v[168:169], v[138:139], v[56:57]
	v_fma_f64 v[4:5], v[138:139], v[58:59], -v[4:5]
	v_fmac_f64_e32 v[168:169], v[140:141], v[58:59]
	v_add_f64 v[2:3], v[2:3], v[4:5]
	s_waitcnt vmcnt(8) lgkmcnt(0)
	v_mul_f64 v[4:5], v[144:145], v[158:159]
	v_add_f64 v[166:167], v[166:167], v[168:169]
	v_mul_f64 v[168:169], v[142:143], v[158:159]
	s_waitcnt vmcnt(6)
	v_fma_f64 v[4:5], v[142:143], v[160:161], -v[4:5]
	v_fmac_f64_e32 v[168:169], v[144:145], v[160:161]
	v_add_f64 v[2:3], v[2:3], v[4:5]
	s_waitcnt vmcnt(5)
	v_mul_f64 v[4:5], v[148:149], v[154:155]
	v_add_f64 v[166:167], v[166:167], v[168:169]
	v_mul_f64 v[168:169], v[146:147], v[154:155]
	s_waitcnt vmcnt(4)
	v_fma_f64 v[4:5], v[146:147], v[156:157], -v[4:5]
	v_fmac_f64_e32 v[168:169], v[148:149], v[156:157]
	v_add_f64 v[2:3], v[2:3], v[4:5]
	v_add_f64 v[166:167], v[166:167], v[168:169]
	s_waitcnt vmcnt(2)
	v_add_f64 v[2:3], v[162:163], -v[2:3]
	s_waitcnt vmcnt(0)
	v_add_f64 v[4:5], v[164:165], -v[166:167]
	buffer_store_dword v3, off, s[0:3], 0 offset:212
	buffer_store_dword v2, off, s[0:3], 0 offset:208
	;; [unrolled: 1-line block ×4, first 2 shown]
	s_and_saveexec_b64 s[6:7], vcc
	s_cbranch_execz .LBB92_163
; %bb.162:
	v_accvgpr_read_b32 v5, a56
	buffer_load_dword v2, v5, s[0:3], 0 offen
	buffer_load_dword v3, v5, s[0:3], 0 offen offset:4
	buffer_load_dword v4, v5, s[0:3], 0 offen offset:8
	s_nop 0
	buffer_load_dword v5, v5, s[0:3], 0 offen offset:12
	s_nop 0
	buffer_store_dword v96, off, s[0:3], 0 offset:192
	buffer_store_dword v96, off, s[0:3], 0 offset:196
	;; [unrolled: 1-line block ×4, first 2 shown]
	s_waitcnt vmcnt(4)
	ds_write_b128 v1, v[2:5]
.LBB92_163:
	s_or_b64 exec, exec, s[6:7]
	s_waitcnt lgkmcnt(0)
	; wave barrier
	s_waitcnt lgkmcnt(0)
	buffer_load_dword v2, off, s[0:3], 0 offset:208
	buffer_load_dword v3, off, s[0:3], 0 offset:212
	;; [unrolled: 1-line block ×64, first 2 shown]
	ds_read_b128 v[98:101], v96 offset:672
	ds_read_b128 v[102:105], v96 offset:688
	;; [unrolled: 1-line block ×4, first 2 shown]
	buffer_load_dword v170, off, s[0:3], 0 offset:192
	buffer_load_dword v171, off, s[0:3], 0 offset:196
	;; [unrolled: 1-line block ×4, first 2 shown]
	v_cmp_lt_u32_e32 vcc, 11, v219
	ds_read_b128 v[158:161], v96 offset:912
	s_waitcnt vmcnt(62) lgkmcnt(4)
	v_mul_f64 v[114:115], v[98:99], v[4:5]
	v_fmac_f64_e32 v[114:115], v[100:101], v[2:3]
	s_waitcnt lgkmcnt(3)
	v_mul_f64 v[116:117], v[102:103], v[6:7]
	v_add_f64 v[114:115], v[114:115], 0
	s_waitcnt vmcnt(60) lgkmcnt(2)
	v_mul_f64 v[118:119], v[106:107], v[8:9]
	v_mul_f64 v[4:5], v[100:101], v[4:5]
	v_fma_f64 v[2:3], v[98:99], v[2:3], -v[4:5]
	v_mul_f64 v[4:5], v[104:105], v[6:7]
	s_waitcnt vmcnt(56) lgkmcnt(1)
	v_mul_f64 v[120:121], v[110:111], v[14:15]
	v_add_f64 v[2:3], v[2:3], 0
	s_waitcnt vmcnt(54)
	v_fmac_f64_e32 v[116:117], v[104:105], v[20:21]
	v_add_f64 v[122:123], v[114:115], v[116:117]
	ds_read_b128 v[114:117], v96 offset:736
	s_waitcnt vmcnt(52)
	v_fmac_f64_e32 v[118:119], v[108:109], v[18:19]
	v_add_f64 v[118:119], v[122:123], v[118:119]
	s_waitcnt vmcnt(50)
	v_fmac_f64_e32 v[120:121], v[112:113], v[16:17]
	v_add_f64 v[122:123], v[118:119], v[120:121]
	ds_read_b128 v[118:121], v96 offset:752
	s_waitcnt vmcnt(48) lgkmcnt(1)
	v_mul_f64 v[124:125], v[114:115], v[10:11]
	v_fmac_f64_e32 v[124:125], v[116:117], v[12:13]
	v_add_f64 v[126:127], v[122:123], v[124:125]
	ds_read_b128 v[122:125], v96 offset:768
	s_waitcnt vmcnt(44) lgkmcnt(1)
	v_mul_f64 v[128:129], v[118:119], v[26:27]
	s_waitcnt vmcnt(42)
	v_fmac_f64_e32 v[128:129], v[120:121], v[28:29]
	v_add_f64 v[130:131], v[126:127], v[128:129]
	ds_read_b128 v[126:129], v96 offset:784
	s_waitcnt vmcnt(40) lgkmcnt(1)
	v_mul_f64 v[132:133], v[122:123], v[22:23]
	v_fmac_f64_e32 v[132:133], v[124:125], v[24:25]
	v_add_f64 v[134:135], v[130:131], v[132:133]
	ds_read_b128 v[130:133], v96 offset:800
	v_fma_f64 v[4:5], v[102:103], v[20:21], -v[4:5]
	v_add_f64 v[2:3], v[2:3], v[4:5]
	v_mul_f64 v[4:5], v[108:109], v[8:9]
	s_waitcnt vmcnt(36) lgkmcnt(1)
	v_mul_f64 v[136:137], v[126:127], v[34:35]
	v_fma_f64 v[4:5], v[106:107], v[18:19], -v[4:5]
	s_waitcnt vmcnt(34)
	v_fmac_f64_e32 v[136:137], v[128:129], v[36:37]
	v_add_f64 v[2:3], v[2:3], v[4:5]
	v_mul_f64 v[4:5], v[112:113], v[14:15]
	v_add_f64 v[138:139], v[134:135], v[136:137]
	ds_read_b128 v[134:137], v96 offset:816
	s_waitcnt vmcnt(32) lgkmcnt(1)
	v_mul_f64 v[140:141], v[130:131], v[30:31]
	v_fma_f64 v[4:5], v[110:111], v[16:17], -v[4:5]
	v_fmac_f64_e32 v[140:141], v[132:133], v[32:33]
	v_add_f64 v[2:3], v[2:3], v[4:5]
	v_mul_f64 v[4:5], v[116:117], v[10:11]
	v_add_f64 v[142:143], v[138:139], v[140:141]
	ds_read_b128 v[138:141], v96 offset:832
	v_fma_f64 v[4:5], v[114:115], v[12:13], -v[4:5]
	v_add_f64 v[2:3], v[2:3], v[4:5]
	v_mul_f64 v[4:5], v[120:121], v[26:27]
	v_fma_f64 v[4:5], v[118:119], v[28:29], -v[4:5]
	s_waitcnt vmcnt(28) lgkmcnt(1)
	v_mul_f64 v[144:145], v[134:135], v[44:45]
	v_add_f64 v[2:3], v[2:3], v[4:5]
	v_mul_f64 v[4:5], v[124:125], v[22:23]
	s_waitcnt vmcnt(26)
	v_fmac_f64_e32 v[144:145], v[136:137], v[46:47]
	v_fma_f64 v[4:5], v[122:123], v[24:25], -v[4:5]
	v_add_f64 v[146:147], v[142:143], v[144:145]
	ds_read_b128 v[142:145], v96 offset:848
	s_waitcnt vmcnt(24) lgkmcnt(1)
	v_mul_f64 v[148:149], v[138:139], v[40:41]
	v_add_f64 v[2:3], v[2:3], v[4:5]
	v_mul_f64 v[4:5], v[128:129], v[34:35]
	v_fmac_f64_e32 v[148:149], v[140:141], v[42:43]
	v_fma_f64 v[4:5], v[126:127], v[36:37], -v[4:5]
	v_add_f64 v[150:151], v[146:147], v[148:149]
	ds_read_b128 v[146:149], v96 offset:864
	v_add_f64 v[2:3], v[2:3], v[4:5]
	v_mul_f64 v[4:5], v[132:133], v[30:31]
	v_fma_f64 v[4:5], v[130:131], v[32:33], -v[4:5]
	v_add_f64 v[2:3], v[2:3], v[4:5]
	v_mul_f64 v[4:5], v[136:137], v[44:45]
	s_waitcnt vmcnt(20) lgkmcnt(1)
	v_mul_f64 v[152:153], v[142:143], v[52:53]
	v_fma_f64 v[4:5], v[134:135], v[46:47], -v[4:5]
	s_waitcnt vmcnt(18)
	v_fmac_f64_e32 v[152:153], v[144:145], v[54:55]
	v_add_f64 v[2:3], v[2:3], v[4:5]
	v_mul_f64 v[4:5], v[140:141], v[40:41]
	v_add_f64 v[154:155], v[150:151], v[152:153]
	ds_read_b128 v[150:153], v96 offset:880
	s_waitcnt vmcnt(16) lgkmcnt(1)
	v_mul_f64 v[156:157], v[146:147], v[48:49]
	v_fma_f64 v[4:5], v[138:139], v[42:43], -v[4:5]
	v_fmac_f64_e32 v[156:157], v[148:149], v[50:51]
	v_add_f64 v[2:3], v[2:3], v[4:5]
	v_mul_f64 v[4:5], v[144:145], v[52:53]
	v_add_f64 v[174:175], v[154:155], v[156:157]
	ds_read_b128 v[154:157], v96 offset:896
	v_fma_f64 v[4:5], v[142:143], v[54:55], -v[4:5]
	v_add_f64 v[2:3], v[2:3], v[4:5]
	v_mul_f64 v[4:5], v[148:149], v[48:49]
	v_fma_f64 v[4:5], v[146:147], v[50:51], -v[4:5]
	v_add_f64 v[2:3], v[2:3], v[4:5]
	s_waitcnt vmcnt(12) lgkmcnt(1)
	v_mul_f64 v[4:5], v[152:153], v[162:163]
	v_mul_f64 v[176:177], v[150:151], v[162:163]
	s_waitcnt vmcnt(10)
	v_fma_f64 v[4:5], v[150:151], v[164:165], -v[4:5]
	v_fmac_f64_e32 v[176:177], v[152:153], v[164:165]
	v_add_f64 v[2:3], v[2:3], v[4:5]
	s_waitcnt vmcnt(8) lgkmcnt(0)
	v_mul_f64 v[4:5], v[156:157], v[56:57]
	v_add_f64 v[96:97], v[174:175], v[176:177]
	v_mul_f64 v[174:175], v[154:155], v[56:57]
	v_fma_f64 v[4:5], v[154:155], v[58:59], -v[4:5]
	v_fmac_f64_e32 v[174:175], v[156:157], v[58:59]
	v_add_f64 v[2:3], v[2:3], v[4:5]
	s_waitcnt vmcnt(6)
	v_mul_f64 v[4:5], v[160:161], v[166:167]
	v_add_f64 v[96:97], v[96:97], v[174:175]
	v_mul_f64 v[174:175], v[158:159], v[166:167]
	s_waitcnt vmcnt(4)
	v_fma_f64 v[4:5], v[158:159], v[168:169], -v[4:5]
	v_fmac_f64_e32 v[174:175], v[160:161], v[168:169]
	v_add_f64 v[2:3], v[2:3], v[4:5]
	v_add_f64 v[96:97], v[96:97], v[174:175]
	s_waitcnt vmcnt(2)
	v_add_f64 v[2:3], v[170:171], -v[2:3]
	s_waitcnt vmcnt(0)
	v_add_f64 v[4:5], v[172:173], -v[96:97]
	buffer_store_dword v3, off, s[0:3], 0 offset:196
	buffer_store_dword v2, off, s[0:3], 0 offset:192
	;; [unrolled: 1-line block ×4, first 2 shown]
	s_and_saveexec_b64 s[6:7], vcc
	s_cbranch_execz .LBB92_165
; %bb.164:
	v_accvgpr_read_b32 v5, a60
	buffer_load_dword v2, v5, s[0:3], 0 offen
	buffer_load_dword v3, v5, s[0:3], 0 offen offset:4
	buffer_load_dword v4, v5, s[0:3], 0 offen offset:8
	s_nop 0
	buffer_load_dword v5, v5, s[0:3], 0 offen offset:12
	v_mov_b32_e32 v6, 0
	buffer_store_dword v6, off, s[0:3], 0 offset:176
	buffer_store_dword v6, off, s[0:3], 0 offset:180
	;; [unrolled: 1-line block ×4, first 2 shown]
	s_waitcnt vmcnt(4)
	ds_write_b128 v1, v[2:5]
.LBB92_165:
	s_or_b64 exec, exec, s[6:7]
	s_waitcnt lgkmcnt(0)
	; wave barrier
	s_waitcnt lgkmcnt(0)
	buffer_load_dword v2, off, s[0:3], 0 offset:192
	buffer_load_dword v3, off, s[0:3], 0 offset:196
	;; [unrolled: 1-line block ×68, first 2 shown]
	v_mov_b32_e32 v104, 0
	ds_read_b128 v[100:103], v104 offset:656
	ds_read_b128 v[106:109], v104 offset:672
	buffer_load_dword v178, off, s[0:3], 0 offset:176
	buffer_load_dword v179, off, s[0:3], 0 offset:180
	;; [unrolled: 1-line block ×4, first 2 shown]
	ds_read_b128 v[110:113], v104 offset:688
	ds_read_b128 v[114:117], v104 offset:704
	ds_read_b128 v[166:169], v104 offset:912
	v_cmp_lt_u32_e32 vcc, 10, v219
	s_waitcnt vmcnt(62) lgkmcnt(4)
	v_mul_f64 v[118:119], v[100:101], v[8:9]
	v_fmac_f64_e32 v[118:119], v[102:103], v[2:3]
	v_add_f64 v[118:119], v[118:119], 0
	v_mul_f64 v[8:9], v[102:103], v[8:9]
	s_waitcnt lgkmcnt(3)
	v_mul_f64 v[120:121], v[106:107], v[10:11]
	v_fmac_f64_e32 v[120:121], v[108:109], v[4:5]
	v_add_f64 v[118:119], v[118:119], v[120:121]
	v_fma_f64 v[2:3], v[100:101], v[2:3], -v[8:9]
	s_waitcnt vmcnt(60) lgkmcnt(2)
	v_mul_f64 v[120:121], v[110:111], v[12:13]
	v_fmac_f64_e32 v[120:121], v[112:113], v[6:7]
	v_add_f64 v[122:123], v[118:119], v[120:121]
	ds_read_b128 v[118:121], v104 offset:720
	s_waitcnt vmcnt(56) lgkmcnt(2)
	v_mul_f64 v[124:125], v[114:115], v[18:19]
	v_mul_f64 v[8:9], v[108:109], v[10:11]
	s_waitcnt vmcnt(54)
	v_fmac_f64_e32 v[124:125], v[116:117], v[20:21]
	v_add_f64 v[126:127], v[122:123], v[124:125]
	ds_read_b128 v[122:125], v104 offset:736
	s_waitcnt vmcnt(52) lgkmcnt(1)
	v_mul_f64 v[128:129], v[118:119], v[14:15]
	v_fmac_f64_e32 v[128:129], v[120:121], v[16:17]
	v_add_f64 v[130:131], v[126:127], v[128:129]
	ds_read_b128 v[126:129], v104 offset:752
	s_waitcnt vmcnt(48) lgkmcnt(1)
	v_mul_f64 v[132:133], v[122:123], v[26:27]
	s_waitcnt vmcnt(46)
	v_fmac_f64_e32 v[132:133], v[124:125], v[28:29]
	v_add_f64 v[134:135], v[130:131], v[132:133]
	ds_read_b128 v[130:133], v104 offset:768
	s_waitcnt vmcnt(44) lgkmcnt(1)
	v_mul_f64 v[136:137], v[126:127], v[22:23]
	v_fmac_f64_e32 v[136:137], v[128:129], v[24:25]
	v_add_f64 v[138:139], v[134:135], v[136:137]
	ds_read_b128 v[134:137], v104 offset:784
	s_waitcnt vmcnt(40) lgkmcnt(1)
	v_mul_f64 v[140:141], v[130:131], v[34:35]
	s_waitcnt vmcnt(38)
	v_fmac_f64_e32 v[140:141], v[132:133], v[36:37]
	v_add_f64 v[2:3], v[2:3], 0
	v_fma_f64 v[4:5], v[106:107], v[4:5], -v[8:9]
	v_add_f64 v[142:143], v[138:139], v[140:141]
	ds_read_b128 v[138:141], v104 offset:800
	v_add_f64 v[2:3], v[2:3], v[4:5]
	v_mul_f64 v[4:5], v[112:113], v[12:13]
	v_fma_f64 v[4:5], v[110:111], v[6:7], -v[4:5]
	v_add_f64 v[2:3], v[2:3], v[4:5]
	v_mul_f64 v[4:5], v[116:117], v[18:19]
	s_waitcnt vmcnt(36) lgkmcnt(1)
	v_mul_f64 v[144:145], v[134:135], v[30:31]
	v_fma_f64 v[4:5], v[114:115], v[20:21], -v[4:5]
	v_fmac_f64_e32 v[144:145], v[136:137], v[32:33]
	v_add_f64 v[2:3], v[2:3], v[4:5]
	v_mul_f64 v[4:5], v[120:121], v[14:15]
	v_add_f64 v[146:147], v[142:143], v[144:145]
	ds_read_b128 v[142:145], v104 offset:816
	s_waitcnt vmcnt(32) lgkmcnt(1)
	v_mul_f64 v[148:149], v[138:139], v[40:41]
	v_fma_f64 v[4:5], v[118:119], v[16:17], -v[4:5]
	s_waitcnt vmcnt(30)
	v_fmac_f64_e32 v[148:149], v[140:141], v[42:43]
	v_add_f64 v[2:3], v[2:3], v[4:5]
	v_mul_f64 v[4:5], v[124:125], v[26:27]
	v_add_f64 v[150:151], v[146:147], v[148:149]
	ds_read_b128 v[146:149], v104 offset:832
	v_fma_f64 v[4:5], v[122:123], v[28:29], -v[4:5]
	v_add_f64 v[2:3], v[2:3], v[4:5]
	v_mul_f64 v[4:5], v[128:129], v[22:23]
	v_fma_f64 v[4:5], v[126:127], v[24:25], -v[4:5]
	s_waitcnt vmcnt(28) lgkmcnt(1)
	v_mul_f64 v[152:153], v[142:143], v[96:97]
	v_add_f64 v[2:3], v[2:3], v[4:5]
	v_mul_f64 v[4:5], v[132:133], v[34:35]
	v_fmac_f64_e32 v[152:153], v[144:145], v[98:99]
	v_fma_f64 v[4:5], v[130:131], v[36:37], -v[4:5]
	v_add_f64 v[154:155], v[150:151], v[152:153]
	ds_read_b128 v[150:153], v104 offset:848
	s_waitcnt vmcnt(24) lgkmcnt(1)
	v_mul_f64 v[156:157], v[146:147], v[48:49]
	v_add_f64 v[2:3], v[2:3], v[4:5]
	v_mul_f64 v[4:5], v[136:137], v[30:31]
	s_waitcnt vmcnt(22)
	v_fmac_f64_e32 v[156:157], v[148:149], v[50:51]
	v_fma_f64 v[4:5], v[134:135], v[32:33], -v[4:5]
	v_add_f64 v[158:159], v[154:155], v[156:157]
	ds_read_b128 v[154:157], v104 offset:864
	v_add_f64 v[2:3], v[2:3], v[4:5]
	v_mul_f64 v[4:5], v[140:141], v[40:41]
	v_fma_f64 v[4:5], v[138:139], v[42:43], -v[4:5]
	v_add_f64 v[2:3], v[2:3], v[4:5]
	v_mul_f64 v[4:5], v[144:145], v[96:97]
	s_waitcnt vmcnt(20) lgkmcnt(1)
	v_mul_f64 v[160:161], v[150:151], v[44:45]
	v_fma_f64 v[4:5], v[142:143], v[98:99], -v[4:5]
	v_fmac_f64_e32 v[160:161], v[152:153], v[46:47]
	v_add_f64 v[2:3], v[2:3], v[4:5]
	v_mul_f64 v[4:5], v[148:149], v[48:49]
	v_add_f64 v[162:163], v[158:159], v[160:161]
	ds_read_b128 v[158:161], v104 offset:880
	s_waitcnt vmcnt(16) lgkmcnt(1)
	v_mul_f64 v[164:165], v[154:155], v[56:57]
	v_fma_f64 v[4:5], v[146:147], v[50:51], -v[4:5]
	s_waitcnt vmcnt(14)
	v_fmac_f64_e32 v[164:165], v[156:157], v[58:59]
	v_add_f64 v[2:3], v[2:3], v[4:5]
	v_mul_f64 v[4:5], v[152:153], v[44:45]
	v_add_f64 v[184:185], v[162:163], v[164:165]
	ds_read_b128 v[162:165], v104 offset:896
	v_fma_f64 v[4:5], v[150:151], v[46:47], -v[4:5]
	v_add_f64 v[2:3], v[2:3], v[4:5]
	v_mul_f64 v[4:5], v[156:157], v[56:57]
	v_fma_f64 v[4:5], v[154:155], v[58:59], -v[4:5]
	v_add_f64 v[2:3], v[2:3], v[4:5]
	s_waitcnt vmcnt(12) lgkmcnt(1)
	v_mul_f64 v[4:5], v[160:161], v[52:53]
	v_mul_f64 v[186:187], v[158:159], v[52:53]
	v_fma_f64 v[4:5], v[158:159], v[54:55], -v[4:5]
	v_fmac_f64_e32 v[186:187], v[160:161], v[54:55]
	v_add_f64 v[2:3], v[2:3], v[4:5]
	s_waitcnt vmcnt(8) lgkmcnt(0)
	v_mul_f64 v[4:5], v[164:165], v[174:175]
	v_add_f64 v[184:185], v[184:185], v[186:187]
	v_mul_f64 v[186:187], v[162:163], v[174:175]
	s_waitcnt vmcnt(6)
	v_fma_f64 v[4:5], v[162:163], v[176:177], -v[4:5]
	v_fmac_f64_e32 v[186:187], v[164:165], v[176:177]
	v_add_f64 v[2:3], v[2:3], v[4:5]
	s_waitcnt vmcnt(5)
	v_mul_f64 v[4:5], v[168:169], v[170:171]
	v_add_f64 v[184:185], v[184:185], v[186:187]
	v_mul_f64 v[186:187], v[166:167], v[170:171]
	s_waitcnt vmcnt(4)
	v_fma_f64 v[4:5], v[166:167], v[172:173], -v[4:5]
	v_fmac_f64_e32 v[186:187], v[168:169], v[172:173]
	v_add_f64 v[2:3], v[2:3], v[4:5]
	v_add_f64 v[184:185], v[184:185], v[186:187]
	s_waitcnt vmcnt(2)
	v_add_f64 v[2:3], v[178:179], -v[2:3]
	s_waitcnt vmcnt(0)
	v_add_f64 v[4:5], v[180:181], -v[184:185]
	buffer_store_dword v3, off, s[0:3], 0 offset:180
	buffer_store_dword v2, off, s[0:3], 0 offset:176
	buffer_store_dword v5, off, s[0:3], 0 offset:188
	buffer_store_dword v4, off, s[0:3], 0 offset:184
	s_and_saveexec_b64 s[6:7], vcc
	s_cbranch_execz .LBB92_167
; %bb.166:
	v_accvgpr_read_b32 v5, a58
	buffer_load_dword v2, v5, s[0:3], 0 offen
	buffer_load_dword v3, v5, s[0:3], 0 offen offset:4
	buffer_load_dword v4, v5, s[0:3], 0 offen offset:8
	s_nop 0
	buffer_load_dword v5, v5, s[0:3], 0 offen offset:12
	s_nop 0
	buffer_store_dword v104, off, s[0:3], 0 offset:160
	buffer_store_dword v104, off, s[0:3], 0 offset:164
	;; [unrolled: 1-line block ×4, first 2 shown]
	s_waitcnt vmcnt(4)
	ds_write_b128 v1, v[2:5]
.LBB92_167:
	s_or_b64 exec, exec, s[6:7]
	s_waitcnt lgkmcnt(0)
	; wave barrier
	s_waitcnt lgkmcnt(0)
	buffer_load_dword v2, off, s[0:3], 0 offset:176
	buffer_load_dword v3, off, s[0:3], 0 offset:180
	;; [unrolled: 1-line block ×72, first 2 shown]
	ds_read_b128 v[106:109], v104 offset:640
	buffer_load_dword v188, off, s[0:3], 0 offset:160
	buffer_load_dword v189, off, s[0:3], 0 offset:164
	;; [unrolled: 1-line block ×4, first 2 shown]
	ds_read_b128 v[110:113], v104 offset:656
	ds_read_b128 v[114:117], v104 offset:672
	;; [unrolled: 1-line block ×3, first 2 shown]
	v_cmp_lt_u32_e32 vcc, 9, v219
	ds_read_b128 v[174:177], v104 offset:912
	s_waitcnt vmcnt(62) lgkmcnt(4)
	v_mul_f64 v[122:123], v[106:107], v[8:9]
	v_fmac_f64_e32 v[122:123], v[108:109], v[2:3]
	v_add_f64 v[122:123], v[122:123], 0
	v_mul_f64 v[8:9], v[108:109], v[8:9]
	s_waitcnt lgkmcnt(3)
	v_mul_f64 v[124:125], v[110:111], v[10:11]
	v_fmac_f64_e32 v[124:125], v[112:113], v[4:5]
	v_add_f64 v[122:123], v[122:123], v[124:125]
	v_fma_f64 v[2:3], v[106:107], v[2:3], -v[8:9]
	s_waitcnt lgkmcnt(2)
	v_mul_f64 v[124:125], v[114:115], v[12:13]
	v_fmac_f64_e32 v[124:125], v[116:117], v[6:7]
	v_add_f64 v[126:127], v[122:123], v[124:125]
	ds_read_b128 v[122:125], v104 offset:704
	s_waitcnt vmcnt(60) lgkmcnt(2)
	v_mul_f64 v[128:129], v[118:119], v[18:19]
	v_mul_f64 v[8:9], v[112:113], v[10:11]
	s_waitcnt vmcnt(58)
	v_fmac_f64_e32 v[128:129], v[120:121], v[20:21]
	v_add_f64 v[130:131], v[126:127], v[128:129]
	ds_read_b128 v[126:129], v104 offset:720
	s_waitcnt vmcnt(56) lgkmcnt(1)
	v_mul_f64 v[132:133], v[122:123], v[14:15]
	v_fmac_f64_e32 v[132:133], v[124:125], v[16:17]
	v_add_f64 v[134:135], v[130:131], v[132:133]
	ds_read_b128 v[130:133], v104 offset:736
	s_waitcnt vmcnt(52) lgkmcnt(1)
	v_mul_f64 v[136:137], v[126:127], v[26:27]
	s_waitcnt vmcnt(50)
	v_fmac_f64_e32 v[136:137], v[128:129], v[28:29]
	v_add_f64 v[138:139], v[134:135], v[136:137]
	ds_read_b128 v[134:137], v104 offset:752
	s_waitcnt vmcnt(48) lgkmcnt(1)
	v_mul_f64 v[140:141], v[130:131], v[22:23]
	v_fmac_f64_e32 v[140:141], v[132:133], v[24:25]
	v_add_f64 v[142:143], v[138:139], v[140:141]
	ds_read_b128 v[138:141], v104 offset:768
	s_waitcnt vmcnt(44) lgkmcnt(1)
	v_mul_f64 v[144:145], v[134:135], v[34:35]
	s_waitcnt vmcnt(42)
	v_fmac_f64_e32 v[144:145], v[136:137], v[36:37]
	v_add_f64 v[2:3], v[2:3], 0
	v_fma_f64 v[4:5], v[110:111], v[4:5], -v[8:9]
	v_add_f64 v[146:147], v[142:143], v[144:145]
	ds_read_b128 v[142:145], v104 offset:784
	s_waitcnt vmcnt(40) lgkmcnt(1)
	v_mul_f64 v[148:149], v[138:139], v[30:31]
	v_add_f64 v[2:3], v[2:3], v[4:5]
	v_mul_f64 v[4:5], v[116:117], v[12:13]
	v_fmac_f64_e32 v[148:149], v[140:141], v[32:33]
	v_fma_f64 v[4:5], v[114:115], v[6:7], -v[4:5]
	v_add_f64 v[150:151], v[146:147], v[148:149]
	ds_read_b128 v[146:149], v104 offset:800
	v_add_f64 v[2:3], v[2:3], v[4:5]
	v_mul_f64 v[4:5], v[120:121], v[18:19]
	v_fma_f64 v[4:5], v[118:119], v[20:21], -v[4:5]
	v_add_f64 v[2:3], v[2:3], v[4:5]
	v_mul_f64 v[4:5], v[124:125], v[14:15]
	s_waitcnt vmcnt(36) lgkmcnt(1)
	v_mul_f64 v[152:153], v[142:143], v[100:101]
	v_fma_f64 v[4:5], v[122:123], v[16:17], -v[4:5]
	s_waitcnt vmcnt(34)
	v_fmac_f64_e32 v[152:153], v[144:145], v[102:103]
	v_add_f64 v[2:3], v[2:3], v[4:5]
	v_mul_f64 v[4:5], v[128:129], v[26:27]
	v_add_f64 v[154:155], v[150:151], v[152:153]
	ds_read_b128 v[150:153], v104 offset:816
	s_waitcnt vmcnt(32) lgkmcnt(1)
	v_mul_f64 v[156:157], v[146:147], v[96:97]
	v_fma_f64 v[4:5], v[126:127], v[28:29], -v[4:5]
	v_fmac_f64_e32 v[156:157], v[148:149], v[98:99]
	v_add_f64 v[2:3], v[2:3], v[4:5]
	v_mul_f64 v[4:5], v[132:133], v[22:23]
	v_add_f64 v[158:159], v[154:155], v[156:157]
	ds_read_b128 v[154:157], v104 offset:832
	v_fma_f64 v[4:5], v[130:131], v[24:25], -v[4:5]
	v_add_f64 v[2:3], v[2:3], v[4:5]
	v_mul_f64 v[4:5], v[136:137], v[34:35]
	v_fma_f64 v[4:5], v[134:135], v[36:37], -v[4:5]
	s_waitcnt vmcnt(28) lgkmcnt(1)
	v_mul_f64 v[160:161], v[150:151], v[44:45]
	v_add_f64 v[2:3], v[2:3], v[4:5]
	v_mul_f64 v[4:5], v[140:141], v[30:31]
	s_waitcnt vmcnt(26)
	v_fmac_f64_e32 v[160:161], v[152:153], v[46:47]
	v_fma_f64 v[4:5], v[138:139], v[32:33], -v[4:5]
	v_add_f64 v[162:163], v[158:159], v[160:161]
	ds_read_b128 v[158:161], v104 offset:848
	s_waitcnt vmcnt(24) lgkmcnt(1)
	v_mul_f64 v[164:165], v[154:155], v[40:41]
	v_add_f64 v[2:3], v[2:3], v[4:5]
	v_mul_f64 v[4:5], v[144:145], v[100:101]
	v_fmac_f64_e32 v[164:165], v[156:157], v[42:43]
	v_fma_f64 v[4:5], v[142:143], v[102:103], -v[4:5]
	v_add_f64 v[166:167], v[162:163], v[164:165]
	ds_read_b128 v[162:165], v104 offset:864
	v_add_f64 v[2:3], v[2:3], v[4:5]
	v_mul_f64 v[4:5], v[148:149], v[96:97]
	v_fma_f64 v[4:5], v[146:147], v[98:99], -v[4:5]
	v_add_f64 v[2:3], v[2:3], v[4:5]
	v_mul_f64 v[4:5], v[152:153], v[44:45]
	s_waitcnt vmcnt(20) lgkmcnt(1)
	v_mul_f64 v[168:169], v[158:159], v[52:53]
	v_fma_f64 v[4:5], v[150:151], v[46:47], -v[4:5]
	s_waitcnt vmcnt(18)
	v_fmac_f64_e32 v[168:169], v[160:161], v[54:55]
	v_add_f64 v[2:3], v[2:3], v[4:5]
	v_mul_f64 v[4:5], v[156:157], v[40:41]
	v_add_f64 v[170:171], v[166:167], v[168:169]
	ds_read_b128 v[166:169], v104 offset:880
	s_waitcnt vmcnt(16) lgkmcnt(1)
	v_mul_f64 v[172:173], v[162:163], v[48:49]
	v_fma_f64 v[4:5], v[154:155], v[42:43], -v[4:5]
	v_fmac_f64_e32 v[172:173], v[164:165], v[50:51]
	v_add_f64 v[2:3], v[2:3], v[4:5]
	v_mul_f64 v[4:5], v[160:161], v[52:53]
	v_add_f64 v[192:193], v[170:171], v[172:173]
	ds_read_b128 v[170:173], v104 offset:896
	v_fma_f64 v[4:5], v[158:159], v[54:55], -v[4:5]
	v_add_f64 v[2:3], v[2:3], v[4:5]
	v_mul_f64 v[4:5], v[164:165], v[48:49]
	v_fma_f64 v[4:5], v[162:163], v[50:51], -v[4:5]
	v_add_f64 v[2:3], v[2:3], v[4:5]
	s_waitcnt vmcnt(12) lgkmcnt(1)
	v_mul_f64 v[4:5], v[168:169], v[178:179]
	v_mul_f64 v[194:195], v[166:167], v[178:179]
	s_waitcnt vmcnt(10)
	v_fma_f64 v[4:5], v[166:167], v[180:181], -v[4:5]
	v_fmac_f64_e32 v[194:195], v[168:169], v[180:181]
	v_add_f64 v[2:3], v[2:3], v[4:5]
	s_waitcnt vmcnt(8) lgkmcnt(0)
	v_mul_f64 v[4:5], v[172:173], v[56:57]
	v_add_f64 v[104:105], v[192:193], v[194:195]
	v_mul_f64 v[192:193], v[170:171], v[56:57]
	v_fma_f64 v[4:5], v[170:171], v[58:59], -v[4:5]
	v_fmac_f64_e32 v[192:193], v[172:173], v[58:59]
	v_add_f64 v[2:3], v[2:3], v[4:5]
	s_waitcnt vmcnt(6)
	v_mul_f64 v[4:5], v[176:177], v[184:185]
	v_add_f64 v[104:105], v[104:105], v[192:193]
	v_mul_f64 v[192:193], v[174:175], v[184:185]
	s_waitcnt vmcnt(4)
	v_fma_f64 v[4:5], v[174:175], v[186:187], -v[4:5]
	v_fmac_f64_e32 v[192:193], v[176:177], v[186:187]
	v_add_f64 v[2:3], v[2:3], v[4:5]
	v_add_f64 v[104:105], v[104:105], v[192:193]
	s_waitcnt vmcnt(2)
	v_add_f64 v[2:3], v[188:189], -v[2:3]
	s_waitcnt vmcnt(0)
	v_add_f64 v[4:5], v[190:191], -v[104:105]
	buffer_store_dword v3, off, s[0:3], 0 offset:164
	buffer_store_dword v2, off, s[0:3], 0 offset:160
	buffer_store_dword v5, off, s[0:3], 0 offset:172
	buffer_store_dword v4, off, s[0:3], 0 offset:168
	s_and_saveexec_b64 s[6:7], vcc
	s_cbranch_execz .LBB92_169
; %bb.168:
	v_accvgpr_read_b32 v5, a59
	buffer_load_dword v2, v5, s[0:3], 0 offen
	buffer_load_dword v3, v5, s[0:3], 0 offen offset:4
	buffer_load_dword v4, v5, s[0:3], 0 offen offset:8
	s_nop 0
	buffer_load_dword v5, v5, s[0:3], 0 offen offset:12
	v_mov_b32_e32 v6, 0
	buffer_store_dword v6, off, s[0:3], 0 offset:144
	buffer_store_dword v6, off, s[0:3], 0 offset:148
	;; [unrolled: 1-line block ×4, first 2 shown]
	s_waitcnt vmcnt(4)
	ds_write_b128 v1, v[2:5]
.LBB92_169:
	s_or_b64 exec, exec, s[6:7]
	s_waitcnt lgkmcnt(0)
	; wave barrier
	s_waitcnt lgkmcnt(0)
	buffer_load_dword v2, off, s[0:3], 0 offset:160
	buffer_load_dword v3, off, s[0:3], 0 offset:164
	;; [unrolled: 1-line block ×76, first 2 shown]
	v_mov_b32_e32 v112, 0
	ds_read_b128 v[114:117], v112 offset:624
	buffer_load_dword v196, off, s[0:3], 0 offset:144
	buffer_load_dword v197, off, s[0:3], 0 offset:148
	;; [unrolled: 1-line block ×4, first 2 shown]
	ds_read_b128 v[118:121], v112 offset:640
	ds_read_b128 v[122:125], v112 offset:656
	ds_read_b128 v[126:129], v112 offset:672
	ds_read_b128 v[188:191], v112 offset:912
	v_cmp_lt_u32_e32 vcc, 8, v219
	s_waitcnt vmcnt(62) lgkmcnt(4)
	v_mul_f64 v[130:131], v[114:115], v[8:9]
	v_fmac_f64_e32 v[130:131], v[116:117], v[2:3]
	v_add_f64 v[130:131], v[130:131], 0
	v_mul_f64 v[8:9], v[116:117], v[8:9]
	s_waitcnt lgkmcnt(3)
	v_mul_f64 v[132:133], v[118:119], v[10:11]
	v_fmac_f64_e32 v[132:133], v[120:121], v[4:5]
	v_add_f64 v[130:131], v[130:131], v[132:133]
	v_fma_f64 v[2:3], v[114:115], v[2:3], -v[8:9]
	s_waitcnt lgkmcnt(2)
	v_mul_f64 v[132:133], v[122:123], v[12:13]
	v_fmac_f64_e32 v[132:133], v[124:125], v[6:7]
	v_add_f64 v[134:135], v[130:131], v[132:133]
	ds_read_b128 v[130:133], v112 offset:688
	s_waitcnt lgkmcnt(2)
	v_mul_f64 v[136:137], v[126:127], v[18:19]
	v_mul_f64 v[8:9], v[120:121], v[10:11]
	v_fmac_f64_e32 v[136:137], v[128:129], v[20:21]
	v_add_f64 v[138:139], v[134:135], v[136:137]
	ds_read_b128 v[134:137], v112 offset:704
	s_waitcnt vmcnt(60) lgkmcnt(1)
	v_mul_f64 v[140:141], v[130:131], v[14:15]
	v_fmac_f64_e32 v[140:141], v[132:133], v[16:17]
	v_add_f64 v[142:143], v[138:139], v[140:141]
	ds_read_b128 v[138:141], v112 offset:720
	s_waitcnt vmcnt(56) lgkmcnt(1)
	v_mul_f64 v[144:145], v[134:135], v[26:27]
	s_waitcnt vmcnt(54)
	v_fmac_f64_e32 v[144:145], v[136:137], v[28:29]
	v_add_f64 v[146:147], v[142:143], v[144:145]
	ds_read_b128 v[142:145], v112 offset:736
	s_waitcnt vmcnt(52) lgkmcnt(1)
	v_mul_f64 v[148:149], v[138:139], v[22:23]
	v_fmac_f64_e32 v[148:149], v[140:141], v[24:25]
	v_add_f64 v[150:151], v[146:147], v[148:149]
	ds_read_b128 v[146:149], v112 offset:752
	s_waitcnt vmcnt(48) lgkmcnt(1)
	v_mul_f64 v[152:153], v[142:143], v[34:35]
	s_waitcnt vmcnt(46)
	v_fmac_f64_e32 v[152:153], v[144:145], v[36:37]
	v_add_f64 v[154:155], v[150:151], v[152:153]
	ds_read_b128 v[150:153], v112 offset:768
	v_add_f64 v[2:3], v[2:3], 0
	v_fma_f64 v[4:5], v[118:119], v[4:5], -v[8:9]
	s_waitcnt vmcnt(44) lgkmcnt(1)
	v_mul_f64 v[156:157], v[146:147], v[30:31]
	v_add_f64 v[2:3], v[2:3], v[4:5]
	v_mul_f64 v[4:5], v[124:125], v[12:13]
	v_fmac_f64_e32 v[156:157], v[148:149], v[32:33]
	v_fma_f64 v[4:5], v[122:123], v[6:7], -v[4:5]
	v_add_f64 v[158:159], v[154:155], v[156:157]
	ds_read_b128 v[154:157], v112 offset:784
	s_waitcnt vmcnt(40) lgkmcnt(1)
	v_mul_f64 v[160:161], v[150:151], v[100:101]
	v_add_f64 v[2:3], v[2:3], v[4:5]
	v_mul_f64 v[4:5], v[128:129], v[18:19]
	s_waitcnt vmcnt(38)
	v_fmac_f64_e32 v[160:161], v[152:153], v[102:103]
	v_fma_f64 v[4:5], v[126:127], v[20:21], -v[4:5]
	v_add_f64 v[162:163], v[158:159], v[160:161]
	ds_read_b128 v[158:161], v112 offset:800
	v_add_f64 v[2:3], v[2:3], v[4:5]
	v_mul_f64 v[4:5], v[132:133], v[14:15]
	v_fma_f64 v[4:5], v[130:131], v[16:17], -v[4:5]
	v_add_f64 v[2:3], v[2:3], v[4:5]
	v_mul_f64 v[4:5], v[136:137], v[26:27]
	s_waitcnt vmcnt(36) lgkmcnt(1)
	v_mul_f64 v[164:165], v[154:155], v[96:97]
	v_fma_f64 v[4:5], v[134:135], v[28:29], -v[4:5]
	v_fmac_f64_e32 v[164:165], v[156:157], v[98:99]
	v_add_f64 v[2:3], v[2:3], v[4:5]
	v_mul_f64 v[4:5], v[140:141], v[22:23]
	v_add_f64 v[166:167], v[162:163], v[164:165]
	ds_read_b128 v[162:165], v112 offset:816
	s_waitcnt vmcnt(32) lgkmcnt(1)
	v_mul_f64 v[168:169], v[158:159], v[108:109]
	v_fma_f64 v[4:5], v[138:139], v[24:25], -v[4:5]
	s_waitcnt vmcnt(30)
	v_fmac_f64_e32 v[168:169], v[160:161], v[110:111]
	v_add_f64 v[2:3], v[2:3], v[4:5]
	v_mul_f64 v[4:5], v[144:145], v[34:35]
	v_add_f64 v[170:171], v[166:167], v[168:169]
	ds_read_b128 v[166:169], v112 offset:832
	v_fma_f64 v[4:5], v[142:143], v[36:37], -v[4:5]
	v_add_f64 v[2:3], v[2:3], v[4:5]
	v_mul_f64 v[4:5], v[148:149], v[30:31]
	v_fma_f64 v[4:5], v[146:147], v[32:33], -v[4:5]
	s_waitcnt vmcnt(28) lgkmcnt(1)
	v_mul_f64 v[172:173], v[162:163], v[104:105]
	v_add_f64 v[2:3], v[2:3], v[4:5]
	v_mul_f64 v[4:5], v[152:153], v[100:101]
	v_fmac_f64_e32 v[172:173], v[164:165], v[106:107]
	v_fma_f64 v[4:5], v[150:151], v[102:103], -v[4:5]
	v_add_f64 v[174:175], v[170:171], v[172:173]
	ds_read_b128 v[170:173], v112 offset:848
	s_waitcnt vmcnt(24) lgkmcnt(1)
	v_mul_f64 v[176:177], v[166:167], v[44:45]
	v_add_f64 v[2:3], v[2:3], v[4:5]
	v_mul_f64 v[4:5], v[156:157], v[96:97]
	s_waitcnt vmcnt(22)
	v_fmac_f64_e32 v[176:177], v[168:169], v[46:47]
	v_fma_f64 v[4:5], v[154:155], v[98:99], -v[4:5]
	v_add_f64 v[178:179], v[174:175], v[176:177]
	ds_read_b128 v[174:177], v112 offset:864
	v_add_f64 v[2:3], v[2:3], v[4:5]
	v_mul_f64 v[4:5], v[160:161], v[108:109]
	v_fma_f64 v[4:5], v[158:159], v[110:111], -v[4:5]
	v_add_f64 v[2:3], v[2:3], v[4:5]
	v_mul_f64 v[4:5], v[164:165], v[104:105]
	s_waitcnt vmcnt(20) lgkmcnt(1)
	v_mul_f64 v[180:181], v[170:171], v[40:41]
	v_fma_f64 v[4:5], v[162:163], v[106:107], -v[4:5]
	v_fmac_f64_e32 v[180:181], v[172:173], v[42:43]
	v_add_f64 v[2:3], v[2:3], v[4:5]
	v_mul_f64 v[4:5], v[168:169], v[44:45]
	v_add_f64 v[184:185], v[178:179], v[180:181]
	ds_read_b128 v[178:181], v112 offset:880
	s_waitcnt vmcnt(16) lgkmcnt(1)
	v_mul_f64 v[186:187], v[174:175], v[52:53]
	v_fma_f64 v[4:5], v[166:167], v[46:47], -v[4:5]
	s_waitcnt vmcnt(14)
	v_fmac_f64_e32 v[186:187], v[176:177], v[54:55]
	v_add_f64 v[2:3], v[2:3], v[4:5]
	v_mul_f64 v[4:5], v[172:173], v[40:41]
	v_add_f64 v[200:201], v[184:185], v[186:187]
	ds_read_b128 v[184:187], v112 offset:896
	v_fma_f64 v[4:5], v[170:171], v[42:43], -v[4:5]
	v_add_f64 v[2:3], v[2:3], v[4:5]
	v_mul_f64 v[4:5], v[176:177], v[52:53]
	v_fma_f64 v[4:5], v[174:175], v[54:55], -v[4:5]
	v_add_f64 v[2:3], v[2:3], v[4:5]
	s_waitcnt vmcnt(12) lgkmcnt(1)
	v_mul_f64 v[4:5], v[180:181], v[48:49]
	v_mul_f64 v[202:203], v[178:179], v[48:49]
	v_fma_f64 v[4:5], v[178:179], v[50:51], -v[4:5]
	v_fmac_f64_e32 v[202:203], v[180:181], v[50:51]
	v_add_f64 v[2:3], v[2:3], v[4:5]
	s_waitcnt vmcnt(8) lgkmcnt(0)
	v_mul_f64 v[4:5], v[186:187], v[192:193]
	v_add_f64 v[200:201], v[200:201], v[202:203]
	v_mul_f64 v[202:203], v[184:185], v[192:193]
	s_waitcnt vmcnt(6)
	v_fma_f64 v[4:5], v[184:185], v[194:195], -v[4:5]
	v_fmac_f64_e32 v[202:203], v[186:187], v[194:195]
	v_add_f64 v[2:3], v[2:3], v[4:5]
	s_waitcnt vmcnt(5)
	v_mul_f64 v[4:5], v[190:191], v[56:57]
	v_add_f64 v[200:201], v[200:201], v[202:203]
	v_mul_f64 v[202:203], v[188:189], v[56:57]
	s_waitcnt vmcnt(4)
	v_fma_f64 v[4:5], v[188:189], v[58:59], -v[4:5]
	v_fmac_f64_e32 v[202:203], v[190:191], v[58:59]
	v_add_f64 v[2:3], v[2:3], v[4:5]
	v_add_f64 v[200:201], v[200:201], v[202:203]
	s_waitcnt vmcnt(2)
	v_add_f64 v[2:3], v[196:197], -v[2:3]
	s_waitcnt vmcnt(0)
	v_add_f64 v[4:5], v[198:199], -v[200:201]
	buffer_store_dword v3, off, s[0:3], 0 offset:148
	buffer_store_dword v2, off, s[0:3], 0 offset:144
	;; [unrolled: 1-line block ×4, first 2 shown]
	s_and_saveexec_b64 s[6:7], vcc
	s_cbranch_execz .LBB92_171
; %bb.170:
	v_accvgpr_read_b32 v5, a57
	buffer_load_dword v2, v5, s[0:3], 0 offen
	buffer_load_dword v3, v5, s[0:3], 0 offen offset:4
	buffer_load_dword v4, v5, s[0:3], 0 offen offset:8
	s_nop 0
	buffer_load_dword v5, v5, s[0:3], 0 offen offset:12
	s_nop 0
	buffer_store_dword v112, off, s[0:3], 0 offset:128
	buffer_store_dword v112, off, s[0:3], 0 offset:132
	;; [unrolled: 1-line block ×4, first 2 shown]
	s_waitcnt vmcnt(4)
	ds_write_b128 v1, v[2:5]
.LBB92_171:
	s_or_b64 exec, exec, s[6:7]
	s_waitcnt lgkmcnt(0)
	; wave barrier
	s_waitcnt lgkmcnt(0)
	buffer_load_dword v2, off, s[0:3], 0 offset:144
	buffer_load_dword v3, off, s[0:3], 0 offset:148
	;; [unrolled: 1-line block ×76, first 2 shown]
	ds_read_b128 v[114:117], v112 offset:608
	buffer_load_dword v197, off, s[0:3], 0 offset:460
	buffer_load_dword v196, off, s[0:3], 0 offset:456
	;; [unrolled: 1-line block ×8, first 2 shown]
	ds_read_b128 v[118:121], v112 offset:624
	ds_read_b128 v[122:125], v112 offset:640
	;; [unrolled: 1-line block ×3, first 2 shown]
	v_cmp_lt_u32_e32 vcc, 7, v219
	ds_read_b128 v[220:223], v112 offset:912
	s_waitcnt vmcnt(62) lgkmcnt(4)
	v_mul_f64 v[130:131], v[114:115], v[8:9]
	v_fmac_f64_e32 v[130:131], v[116:117], v[2:3]
	v_add_f64 v[130:131], v[130:131], 0
	v_mul_f64 v[8:9], v[116:117], v[8:9]
	s_waitcnt lgkmcnt(3)
	v_mul_f64 v[132:133], v[118:119], v[10:11]
	v_fmac_f64_e32 v[132:133], v[120:121], v[4:5]
	v_add_f64 v[130:131], v[130:131], v[132:133]
	v_fma_f64 v[2:3], v[114:115], v[2:3], -v[8:9]
	s_waitcnt lgkmcnt(2)
	v_mul_f64 v[132:133], v[122:123], v[12:13]
	v_fmac_f64_e32 v[132:133], v[124:125], v[6:7]
	v_add_f64 v[134:135], v[130:131], v[132:133]
	ds_read_b128 v[130:133], v112 offset:672
	v_mul_f64 v[8:9], v[120:121], v[10:11]
	v_add_f64 v[2:3], v[2:3], 0
	s_waitcnt lgkmcnt(2)
	v_mul_f64 v[136:137], v[126:127], v[18:19]
	v_fma_f64 v[4:5], v[118:119], v[4:5], -v[8:9]
	v_fmac_f64_e32 v[136:137], v[128:129], v[20:21]
	v_add_f64 v[138:139], v[134:135], v[136:137]
	ds_read_b128 v[134:137], v112 offset:688
	s_waitcnt lgkmcnt(1)
	v_mul_f64 v[140:141], v[130:131], v[14:15]
	v_fmac_f64_e32 v[140:141], v[132:133], v[16:17]
	v_add_f64 v[142:143], v[138:139], v[140:141]
	ds_read_b128 v[138:141], v112 offset:704
	s_waitcnt vmcnt(58) lgkmcnt(1)
	v_mul_f64 v[144:145], v[134:135], v[26:27]
	s_waitcnt vmcnt(56)
	v_fmac_f64_e32 v[144:145], v[136:137], v[28:29]
	v_add_f64 v[146:147], v[142:143], v[144:145]
	ds_read_b128 v[142:145], v112 offset:720
	s_waitcnt lgkmcnt(1)
	v_mul_f64 v[148:149], v[138:139], v[22:23]
	v_fmac_f64_e32 v[148:149], v[140:141], v[24:25]
	v_add_f64 v[150:151], v[146:147], v[148:149]
	ds_read_b128 v[146:149], v112 offset:736
	s_waitcnt vmcnt(50) lgkmcnt(1)
	v_mul_f64 v[152:153], v[142:143], v[34:35]
	s_waitcnt vmcnt(48)
	v_fmac_f64_e32 v[152:153], v[144:145], v[36:37]
	v_add_f64 v[154:155], v[150:151], v[152:153]
	ds_read_b128 v[150:153], v112 offset:752
	s_waitcnt lgkmcnt(1)
	v_mul_f64 v[156:157], v[146:147], v[30:31]
	v_fmac_f64_e32 v[156:157], v[148:149], v[32:33]
	v_add_f64 v[158:159], v[154:155], v[156:157]
	ds_read_b128 v[154:157], v112 offset:768
	v_add_f64 v[2:3], v[2:3], v[4:5]
	v_mul_f64 v[4:5], v[124:125], v[12:13]
	v_fma_f64 v[4:5], v[122:123], v[6:7], -v[4:5]
	s_waitcnt vmcnt(42) lgkmcnt(1)
	v_mul_f64 v[160:161], v[150:151], v[100:101]
	v_add_f64 v[2:3], v[2:3], v[4:5]
	v_mul_f64 v[4:5], v[128:129], v[18:19]
	s_waitcnt vmcnt(40)
	v_fmac_f64_e32 v[160:161], v[152:153], v[102:103]
	v_fma_f64 v[4:5], v[126:127], v[20:21], -v[4:5]
	v_add_f64 v[162:163], v[158:159], v[160:161]
	ds_read_b128 v[158:161], v112 offset:784
	s_waitcnt lgkmcnt(1)
	v_mul_f64 v[164:165], v[154:155], v[96:97]
	v_add_f64 v[2:3], v[2:3], v[4:5]
	v_mul_f64 v[4:5], v[132:133], v[14:15]
	v_fmac_f64_e32 v[164:165], v[156:157], v[98:99]
	v_fma_f64 v[4:5], v[130:131], v[16:17], -v[4:5]
	v_add_f64 v[166:167], v[162:163], v[164:165]
	ds_read_b128 v[162:165], v112 offset:800
	v_add_f64 v[2:3], v[2:3], v[4:5]
	v_mul_f64 v[4:5], v[136:137], v[26:27]
	v_fma_f64 v[4:5], v[134:135], v[28:29], -v[4:5]
	v_add_f64 v[2:3], v[2:3], v[4:5]
	v_mul_f64 v[4:5], v[140:141], v[22:23]
	s_waitcnt vmcnt(34) lgkmcnt(1)
	v_mul_f64 v[168:169], v[158:159], v[108:109]
	v_fma_f64 v[4:5], v[138:139], v[24:25], -v[4:5]
	s_waitcnt vmcnt(32)
	v_fmac_f64_e32 v[168:169], v[160:161], v[110:111]
	v_add_f64 v[2:3], v[2:3], v[4:5]
	v_mul_f64 v[4:5], v[144:145], v[34:35]
	v_add_f64 v[170:171], v[166:167], v[168:169]
	ds_read_b128 v[166:169], v112 offset:816
	s_waitcnt lgkmcnt(1)
	v_mul_f64 v[172:173], v[162:163], v[104:105]
	v_fma_f64 v[4:5], v[142:143], v[36:37], -v[4:5]
	v_fmac_f64_e32 v[172:173], v[164:165], v[106:107]
	v_add_f64 v[2:3], v[2:3], v[4:5]
	v_mul_f64 v[4:5], v[148:149], v[30:31]
	v_add_f64 v[174:175], v[170:171], v[172:173]
	ds_read_b128 v[170:173], v112 offset:832
	v_fma_f64 v[4:5], v[146:147], v[32:33], -v[4:5]
	v_add_f64 v[2:3], v[2:3], v[4:5]
	v_mul_f64 v[4:5], v[152:153], v[100:101]
	v_fma_f64 v[4:5], v[150:151], v[102:103], -v[4:5]
	s_waitcnt vmcnt(26) lgkmcnt(1)
	v_mul_f64 v[176:177], v[166:167], v[44:45]
	v_add_f64 v[2:3], v[2:3], v[4:5]
	v_mul_f64 v[4:5], v[156:157], v[96:97]
	s_waitcnt vmcnt(24)
	v_fmac_f64_e32 v[176:177], v[168:169], v[46:47]
	v_fma_f64 v[4:5], v[154:155], v[98:99], -v[4:5]
	v_add_f64 v[178:179], v[174:175], v[176:177]
	ds_read_b128 v[174:177], v112 offset:848
	s_waitcnt lgkmcnt(1)
	v_mul_f64 v[180:181], v[170:171], v[40:41]
	v_add_f64 v[2:3], v[2:3], v[4:5]
	v_mul_f64 v[4:5], v[160:161], v[108:109]
	v_fmac_f64_e32 v[180:181], v[172:173], v[42:43]
	v_fma_f64 v[4:5], v[158:159], v[110:111], -v[4:5]
	v_add_f64 v[184:185], v[178:179], v[180:181]
	ds_read_b128 v[178:181], v112 offset:864
	v_add_f64 v[2:3], v[2:3], v[4:5]
	v_mul_f64 v[4:5], v[164:165], v[104:105]
	v_fma_f64 v[4:5], v[162:163], v[106:107], -v[4:5]
	v_add_f64 v[2:3], v[2:3], v[4:5]
	v_mul_f64 v[4:5], v[168:169], v[44:45]
	s_waitcnt vmcnt(18) lgkmcnt(1)
	v_mul_f64 v[186:187], v[174:175], v[52:53]
	v_fma_f64 v[4:5], v[166:167], v[46:47], -v[4:5]
	s_waitcnt vmcnt(16)
	v_fmac_f64_e32 v[186:187], v[176:177], v[54:55]
	v_add_f64 v[2:3], v[2:3], v[4:5]
	v_mul_f64 v[4:5], v[172:173], v[40:41]
	v_add_f64 v[188:189], v[184:185], v[186:187]
	ds_read_b128 v[184:187], v112 offset:880
	s_waitcnt lgkmcnt(1)
	v_mul_f64 v[190:191], v[178:179], v[48:49]
	v_fma_f64 v[4:5], v[170:171], v[42:43], -v[4:5]
	v_fmac_f64_e32 v[190:191], v[180:181], v[50:51]
	v_add_f64 v[2:3], v[2:3], v[4:5]
	v_mul_f64 v[4:5], v[176:177], v[52:53]
	v_add_f64 v[204:205], v[188:189], v[190:191]
	ds_read_b128 v[188:191], v112 offset:896
	v_fma_f64 v[4:5], v[174:175], v[54:55], -v[4:5]
	v_add_f64 v[2:3], v[2:3], v[4:5]
	v_mul_f64 v[4:5], v[180:181], v[48:49]
	v_fma_f64 v[4:5], v[178:179], v[50:51], -v[4:5]
	v_add_f64 v[2:3], v[2:3], v[4:5]
	s_waitcnt vmcnt(10) lgkmcnt(1)
	v_mul_f64 v[4:5], v[186:187], v[192:193]
	v_mul_f64 v[206:207], v[184:185], v[192:193]
	s_waitcnt vmcnt(8)
	v_fma_f64 v[4:5], v[184:185], v[194:195], -v[4:5]
	v_fmac_f64_e32 v[206:207], v[186:187], v[194:195]
	v_add_f64 v[2:3], v[2:3], v[4:5]
	s_waitcnt lgkmcnt(0)
	v_mul_f64 v[4:5], v[190:191], v[56:57]
	v_add_f64 v[112:113], v[204:205], v[206:207]
	v_mul_f64 v[204:205], v[188:189], v[56:57]
	v_fma_f64 v[4:5], v[188:189], v[58:59], -v[4:5]
	v_fmac_f64_e32 v[204:205], v[190:191], v[58:59]
	v_add_f64 v[2:3], v[2:3], v[4:5]
	s_waitcnt vmcnt(6)
	v_mul_f64 v[4:5], v[222:223], v[196:197]
	v_add_f64 v[112:113], v[112:113], v[204:205]
	v_mul_f64 v[204:205], v[220:221], v[196:197]
	s_waitcnt vmcnt(4)
	v_fma_f64 v[4:5], v[220:221], v[198:199], -v[4:5]
	v_fmac_f64_e32 v[204:205], v[222:223], v[198:199]
	v_add_f64 v[2:3], v[2:3], v[4:5]
	v_add_f64 v[112:113], v[112:113], v[204:205]
	s_waitcnt vmcnt(2)
	v_add_f64 v[2:3], v[200:201], -v[2:3]
	s_waitcnt vmcnt(0)
	v_add_f64 v[4:5], v[202:203], -v[112:113]
	buffer_store_dword v3, off, s[0:3], 0 offset:132
	buffer_store_dword v2, off, s[0:3], 0 offset:128
	;; [unrolled: 1-line block ×4, first 2 shown]
	s_and_saveexec_b64 s[6:7], vcc
	s_cbranch_execz .LBB92_173
; %bb.172:
	v_accvgpr_read_b32 v5, a64
	buffer_load_dword v2, v5, s[0:3], 0 offen
	buffer_load_dword v3, v5, s[0:3], 0 offen offset:4
	buffer_load_dword v4, v5, s[0:3], 0 offen offset:8
	s_nop 0
	buffer_load_dword v5, v5, s[0:3], 0 offen offset:12
	v_mov_b32_e32 v6, 0
	buffer_store_dword v6, off, s[0:3], 0 offset:112
	buffer_store_dword v6, off, s[0:3], 0 offset:116
	buffer_store_dword v6, off, s[0:3], 0 offset:120
	buffer_store_dword v6, off, s[0:3], 0 offset:124
	s_waitcnt vmcnt(4)
	ds_write_b128 v1, v[2:5]
.LBB92_173:
	s_or_b64 exec, exec, s[6:7]
	s_waitcnt lgkmcnt(0)
	; wave barrier
	s_waitcnt lgkmcnt(0)
	buffer_load_dword v4, off, s[0:3], 0 offset:112
	buffer_load_dword v5, off, s[0:3], 0 offset:116
	;; [unrolled: 1-line block ×84, first 2 shown]
	v_mov_b32_e32 v144, 0
	ds_read_b128 v[124:127], v144 offset:592
	buffer_load_dword v193, off, s[0:3], 0 offset:460
	buffer_load_dword v192, off, s[0:3], 0 offset:456
	;; [unrolled: 1-line block ×4, first 2 shown]
	ds_read_b128 v[128:131], v144 offset:608
	ds_read_b128 v[132:135], v144 offset:624
	;; [unrolled: 1-line block ×5, first 2 shown]
	s_waitcnt vmcnt(62) lgkmcnt(5)
	v_mul_f64 v[140:141], v[124:125], v[12:13]
	v_fmac_f64_e32 v[140:141], v[126:127], v[6:7]
	s_waitcnt lgkmcnt(4)
	v_mul_f64 v[142:143], v[128:129], v[14:15]
	v_add_f64 v[140:141], v[140:141], 0
	v_fmac_f64_e32 v[142:143], v[130:131], v[8:9]
	v_add_f64 v[140:141], v[140:141], v[142:143]
	s_waitcnt lgkmcnt(3)
	v_mul_f64 v[142:143], v[132:133], v[16:17]
	v_fmac_f64_e32 v[142:143], v[134:135], v[10:11]
	v_add_f64 v[146:147], v[140:141], v[142:143]
	ds_read_b128 v[140:143], v144 offset:656
	v_mul_f64 v[12:13], v[126:127], v[12:13]
	s_waitcnt lgkmcnt(3)
	v_mul_f64 v[148:149], v[136:137], v[22:23]
	v_fma_f64 v[6:7], v[124:125], v[6:7], -v[12:13]
	v_fmac_f64_e32 v[148:149], v[138:139], v[24:25]
	v_add_f64 v[150:151], v[146:147], v[148:149]
	ds_read_b128 v[146:149], v144 offset:672
	s_waitcnt lgkmcnt(1)
	v_mul_f64 v[152:153], v[140:141], v[18:19]
	v_fmac_f64_e32 v[152:153], v[142:143], v[20:21]
	v_add_f64 v[154:155], v[150:151], v[152:153]
	ds_read_b128 v[150:153], v144 offset:688
	s_waitcnt vmcnt(58) lgkmcnt(1)
	v_mul_f64 v[156:157], v[146:147], v[30:31]
	s_waitcnt vmcnt(56)
	v_fmac_f64_e32 v[156:157], v[148:149], v[32:33]
	v_add_f64 v[158:159], v[154:155], v[156:157]
	ds_read_b128 v[154:157], v144 offset:704
	s_waitcnt lgkmcnt(1)
	v_mul_f64 v[160:161], v[150:151], v[26:27]
	v_fmac_f64_e32 v[160:161], v[152:153], v[28:29]
	v_add_f64 v[162:163], v[158:159], v[160:161]
	ds_read_b128 v[158:161], v144 offset:720
	s_waitcnt vmcnt(50) lgkmcnt(1)
	v_mul_f64 v[164:165], v[154:155], v[96:97]
	v_mul_f64 v[12:13], v[130:131], v[14:15]
	s_waitcnt vmcnt(48)
	v_fmac_f64_e32 v[164:165], v[156:157], v[98:99]
	v_add_f64 v[6:7], v[6:7], 0
	v_fma_f64 v[8:9], v[128:129], v[8:9], -v[12:13]
	v_add_f64 v[166:167], v[162:163], v[164:165]
	ds_read_b128 v[162:165], v144 offset:736
	v_add_f64 v[6:7], v[6:7], v[8:9]
	v_mul_f64 v[8:9], v[134:135], v[16:17]
	v_fma_f64 v[8:9], v[132:133], v[10:11], -v[8:9]
	v_add_f64 v[6:7], v[6:7], v[8:9]
	v_mul_f64 v[8:9], v[138:139], v[22:23]
	s_waitcnt lgkmcnt(1)
	v_mul_f64 v[168:169], v[158:159], v[34:35]
	v_fma_f64 v[8:9], v[136:137], v[24:25], -v[8:9]
	v_fmac_f64_e32 v[168:169], v[160:161], v[36:37]
	v_add_f64 v[6:7], v[6:7], v[8:9]
	v_mul_f64 v[8:9], v[142:143], v[18:19]
	v_add_f64 v[170:171], v[166:167], v[168:169]
	ds_read_b128 v[166:169], v144 offset:752
	s_waitcnt vmcnt(42) lgkmcnt(1)
	v_mul_f64 v[172:173], v[162:163], v[104:105]
	v_fma_f64 v[8:9], v[140:141], v[20:21], -v[8:9]
	s_waitcnt vmcnt(40)
	v_fmac_f64_e32 v[172:173], v[164:165], v[106:107]
	v_add_f64 v[6:7], v[6:7], v[8:9]
	v_mul_f64 v[8:9], v[148:149], v[30:31]
	v_add_f64 v[174:175], v[170:171], v[172:173]
	ds_read_b128 v[170:173], v144 offset:768
	v_fma_f64 v[8:9], v[146:147], v[32:33], -v[8:9]
	v_add_f64 v[6:7], v[6:7], v[8:9]
	v_mul_f64 v[8:9], v[152:153], v[26:27]
	v_fma_f64 v[8:9], v[150:151], v[28:29], -v[8:9]
	s_waitcnt lgkmcnt(1)
	v_mul_f64 v[176:177], v[166:167], v[100:101]
	v_add_f64 v[6:7], v[6:7], v[8:9]
	v_mul_f64 v[8:9], v[156:157], v[96:97]
	v_fmac_f64_e32 v[176:177], v[168:169], v[102:103]
	v_fma_f64 v[8:9], v[154:155], v[98:99], -v[8:9]
	v_add_f64 v[178:179], v[174:175], v[176:177]
	ds_read_b128 v[174:177], v144 offset:784
	s_waitcnt vmcnt(34) lgkmcnt(1)
	v_mul_f64 v[180:181], v[170:171], v[112:113]
	v_add_f64 v[6:7], v[6:7], v[8:9]
	v_mul_f64 v[8:9], v[160:161], v[34:35]
	s_waitcnt vmcnt(32)
	v_fmac_f64_e32 v[180:181], v[172:173], v[114:115]
	v_fma_f64 v[8:9], v[158:159], v[36:37], -v[8:9]
	v_add_f64 v[184:185], v[178:179], v[180:181]
	ds_read_b128 v[178:181], v144 offset:800
	v_add_f64 v[6:7], v[6:7], v[8:9]
	v_mul_f64 v[8:9], v[164:165], v[104:105]
	v_fma_f64 v[8:9], v[162:163], v[106:107], -v[8:9]
	v_add_f64 v[6:7], v[6:7], v[8:9]
	v_mul_f64 v[8:9], v[168:169], v[100:101]
	s_waitcnt lgkmcnt(1)
	v_mul_f64 v[186:187], v[174:175], v[108:109]
	v_fma_f64 v[8:9], v[166:167], v[102:103], -v[8:9]
	v_fmac_f64_e32 v[186:187], v[176:177], v[110:111]
	v_add_f64 v[6:7], v[6:7], v[8:9]
	v_mul_f64 v[8:9], v[172:173], v[112:113]
	v_add_f64 v[188:189], v[184:185], v[186:187]
	ds_read_b128 v[184:187], v144 offset:816
	s_waitcnt vmcnt(26) lgkmcnt(1)
	v_mul_f64 v[190:191], v[178:179], v[120:121]
	v_fma_f64 v[8:9], v[170:171], v[114:115], -v[8:9]
	s_waitcnt vmcnt(24)
	v_fmac_f64_e32 v[190:191], v[180:181], v[122:123]
	v_add_f64 v[6:7], v[6:7], v[8:9]
	v_mul_f64 v[8:9], v[176:177], v[108:109]
	v_add_f64 v[196:197], v[188:189], v[190:191]
	ds_read_b128 v[188:191], v144 offset:832
	v_fma_f64 v[8:9], v[174:175], v[110:111], -v[8:9]
	v_add_f64 v[6:7], v[6:7], v[8:9]
	v_mul_f64 v[8:9], v[180:181], v[120:121]
	v_fma_f64 v[8:9], v[178:179], v[122:123], -v[8:9]
	v_add_f64 v[6:7], v[6:7], v[8:9]
	s_waitcnt lgkmcnt(1)
	v_mul_f64 v[8:9], v[186:187], v[116:117]
	v_mul_f64 v[198:199], v[184:185], v[116:117]
	v_fma_f64 v[8:9], v[184:185], v[118:119], -v[8:9]
	v_fmac_f64_e32 v[198:199], v[186:187], v[118:119]
	v_add_f64 v[6:7], v[6:7], v[8:9]
	s_waitcnt vmcnt(18) lgkmcnt(0)
	v_mul_f64 v[8:9], v[190:191], v[44:45]
	v_add_f64 v[196:197], v[196:197], v[198:199]
	v_mul_f64 v[198:199], v[188:189], v[44:45]
	ds_read_b128 v[228:231], v144 offset:880
	ds_read_b128 v[232:235], v144 offset:896
	s_waitcnt vmcnt(16)
	v_fma_f64 v[8:9], v[188:189], v[46:47], -v[8:9]
	v_fmac_f64_e32 v[198:199], v[190:191], v[46:47]
	v_add_f64 v[6:7], v[6:7], v[8:9]
	v_mul_f64 v[8:9], v[222:223], v[40:41]
	v_add_f64 v[196:197], v[196:197], v[198:199]
	v_mul_f64 v[198:199], v[220:221], v[40:41]
	v_fma_f64 v[8:9], v[220:221], v[42:43], -v[8:9]
	v_fmac_f64_e32 v[198:199], v[222:223], v[42:43]
	v_add_f64 v[6:7], v[6:7], v[8:9]
	s_waitcnt vmcnt(10)
	v_mul_f64 v[8:9], v[226:227], v[52:53]
	v_add_f64 v[196:197], v[196:197], v[198:199]
	v_mul_f64 v[198:199], v[224:225], v[52:53]
	ds_read_b128 v[236:239], v144 offset:912
	s_waitcnt vmcnt(8)
	v_fma_f64 v[8:9], v[224:225], v[54:55], -v[8:9]
	v_fmac_f64_e32 v[198:199], v[226:227], v[54:55]
	v_add_f64 v[6:7], v[6:7], v[8:9]
	s_waitcnt lgkmcnt(2)
	v_mul_f64 v[8:9], v[230:231], v[48:49]
	v_add_f64 v[196:197], v[196:197], v[198:199]
	v_mul_f64 v[198:199], v[228:229], v[48:49]
	v_fma_f64 v[8:9], v[228:229], v[50:51], -v[8:9]
	v_fmac_f64_e32 v[198:199], v[230:231], v[50:51]
	v_add_f64 v[6:7], v[6:7], v[8:9]
	s_waitcnt vmcnt(6) lgkmcnt(1)
	v_mul_f64 v[8:9], v[234:235], v[56:57]
	v_add_f64 v[196:197], v[196:197], v[198:199]
	v_mul_f64 v[198:199], v[232:233], v[56:57]
	s_waitcnt vmcnt(4)
	v_fma_f64 v[8:9], v[232:233], v[58:59], -v[8:9]
	v_fmac_f64_e32 v[198:199], v[234:235], v[58:59]
	v_add_f64 v[6:7], v[6:7], v[8:9]
	s_waitcnt vmcnt(2) lgkmcnt(0)
	v_mul_f64 v[8:9], v[238:239], v[192:193]
	v_add_f64 v[196:197], v[196:197], v[198:199]
	v_mul_f64 v[198:199], v[236:237], v[192:193]
	s_waitcnt vmcnt(0)
	v_fma_f64 v[8:9], v[236:237], v[194:195], -v[8:9]
	v_fmac_f64_e32 v[198:199], v[238:239], v[194:195]
	v_add_f64 v[6:7], v[6:7], v[8:9]
	v_add_f64 v[196:197], v[196:197], v[198:199]
	v_add_f64 v[4:5], v[4:5], -v[6:7]
	v_cmp_lt_u32_e32 vcc, 6, v219
	v_add_f64 v[2:3], v[2:3], -v[196:197]
	buffer_store_dword v5, off, s[0:3], 0 offset:116
	buffer_store_dword v4, off, s[0:3], 0 offset:112
	;; [unrolled: 1-line block ×4, first 2 shown]
	s_and_saveexec_b64 s[6:7], vcc
	s_cbranch_execz .LBB92_175
; %bb.174:
	v_accvgpr_read_b32 v5, a63
	buffer_load_dword v2, v5, s[0:3], 0 offen
	buffer_load_dword v3, v5, s[0:3], 0 offen offset:4
	buffer_load_dword v4, v5, s[0:3], 0 offen offset:8
	s_nop 0
	buffer_load_dword v5, v5, s[0:3], 0 offen offset:12
	s_nop 0
	buffer_store_dword v144, off, s[0:3], 0 offset:96
	buffer_store_dword v144, off, s[0:3], 0 offset:100
	buffer_store_dword v144, off, s[0:3], 0 offset:104
	buffer_store_dword v144, off, s[0:3], 0 offset:108
	s_waitcnt vmcnt(4)
	ds_write_b128 v1, v[2:5]
.LBB92_175:
	s_or_b64 exec, exec, s[6:7]
	s_waitcnt lgkmcnt(0)
	; wave barrier
	s_waitcnt lgkmcnt(0)
	ds_read_b128 v[14:17], v144 offset:576
	ds_read_b128 v[10:13], v144 offset:592
	;; [unrolled: 1-line block ×4, first 2 shown]
	buffer_load_dword v20, off, s[0:3], 0 offset:96
	buffer_load_dword v21, off, s[0:3], 0 offset:100
	;; [unrolled: 1-line block ×92, first 2 shown]
	s_waitcnt vmcnt(62) lgkmcnt(3)
	v_mul_f64 v[146:147], v[14:15], v[28:29]
	v_fmac_f64_e32 v[146:147], v[16:17], v[22:23]
	s_waitcnt lgkmcnt(2)
	v_mul_f64 v[148:149], v[10:11], v[30:31]
	v_add_f64 v[146:147], v[146:147], 0
	v_fmac_f64_e32 v[148:149], v[12:13], v[24:25]
	v_add_f64 v[146:147], v[146:147], v[148:149]
	s_waitcnt lgkmcnt(1)
	v_mul_f64 v[148:149], v[6:7], v[32:33]
	v_fmac_f64_e32 v[148:149], v[8:9], v[26:27]
	v_add_f64 v[150:151], v[146:147], v[148:149]
	ds_read_b128 v[146:149], v144 offset:640
	v_mul_f64 v[16:17], v[16:17], v[28:29]
	v_fma_f64 v[14:15], v[14:15], v[22:23], -v[16:17]
	s_waitcnt lgkmcnt(1)
	v_mul_f64 v[152:153], v[2:3], v[96:97]
	v_mul_f64 v[12:13], v[12:13], v[30:31]
	v_fmac_f64_e32 v[152:153], v[4:5], v[98:99]
	v_add_f64 v[154:155], v[150:151], v[152:153]
	ds_read_b128 v[150:153], v144 offset:656
	s_waitcnt lgkmcnt(1)
	v_mul_f64 v[156:157], v[146:147], v[34:35]
	v_fmac_f64_e32 v[156:157], v[148:149], v[36:37]
	v_add_f64 v[158:159], v[154:155], v[156:157]
	ds_read_b128 v[154:157], v144 offset:672
	s_waitcnt lgkmcnt(1)
	v_mul_f64 v[160:161], v[150:151], v[104:105]
	s_waitcnt vmcnt(60)
	v_fmac_f64_e32 v[160:161], v[152:153], v[106:107]
	v_add_f64 v[162:163], v[158:159], v[160:161]
	ds_read_b128 v[158:161], v144 offset:688
	s_waitcnt lgkmcnt(1)
	v_mul_f64 v[164:165], v[154:155], v[100:101]
	v_fmac_f64_e32 v[164:165], v[156:157], v[102:103]
	v_add_f64 v[166:167], v[162:163], v[164:165]
	ds_read_b128 v[162:165], v144 offset:704
	s_waitcnt vmcnt(54) lgkmcnt(1)
	v_mul_f64 v[168:169], v[158:159], v[112:113]
	s_waitcnt vmcnt(52)
	v_fmac_f64_e32 v[168:169], v[160:161], v[114:115]
	v_add_f64 v[14:15], v[14:15], 0
	v_fma_f64 v[10:11], v[10:11], v[24:25], -v[12:13]
	v_mul_f64 v[8:9], v[8:9], v[32:33]
	v_add_f64 v[170:171], v[166:167], v[168:169]
	ds_read_b128 v[166:169], v144 offset:720
	s_waitcnt lgkmcnt(1)
	v_mul_f64 v[172:173], v[162:163], v[108:109]
	v_add_f64 v[10:11], v[14:15], v[10:11]
	v_fma_f64 v[6:7], v[6:7], v[26:27], -v[8:9]
	v_mul_f64 v[4:5], v[4:5], v[96:97]
	v_fmac_f64_e32 v[172:173], v[164:165], v[110:111]
	v_add_f64 v[6:7], v[10:11], v[6:7]
	v_fma_f64 v[2:3], v[2:3], v[98:99], -v[4:5]
	v_mul_f64 v[4:5], v[148:149], v[34:35]
	v_add_f64 v[174:175], v[170:171], v[172:173]
	ds_read_b128 v[170:173], v144 offset:736
	v_add_f64 v[2:3], v[6:7], v[2:3]
	v_fma_f64 v[4:5], v[146:147], v[36:37], -v[4:5]
	v_add_f64 v[2:3], v[2:3], v[4:5]
	v_mul_f64 v[4:5], v[152:153], v[104:105]
	v_fma_f64 v[4:5], v[150:151], v[106:107], -v[4:5]
	s_waitcnt vmcnt(46) lgkmcnt(1)
	v_mul_f64 v[176:177], v[166:167], v[120:121]
	v_add_f64 v[2:3], v[2:3], v[4:5]
	v_mul_f64 v[4:5], v[156:157], v[100:101]
	s_waitcnt vmcnt(44)
	v_fmac_f64_e32 v[176:177], v[168:169], v[122:123]
	v_fma_f64 v[4:5], v[154:155], v[102:103], -v[4:5]
	v_add_f64 v[178:179], v[174:175], v[176:177]
	ds_read_b128 v[174:177], v144 offset:752
	s_waitcnt lgkmcnt(1)
	v_mul_f64 v[180:181], v[170:171], v[116:117]
	v_add_f64 v[2:3], v[2:3], v[4:5]
	v_mul_f64 v[4:5], v[160:161], v[112:113]
	v_fmac_f64_e32 v[180:181], v[172:173], v[118:119]
	v_fma_f64 v[4:5], v[158:159], v[114:115], -v[4:5]
	v_add_f64 v[184:185], v[178:179], v[180:181]
	ds_read_b128 v[178:181], v144 offset:768
	v_add_f64 v[2:3], v[2:3], v[4:5]
	v_mul_f64 v[4:5], v[164:165], v[108:109]
	v_fma_f64 v[4:5], v[162:163], v[110:111], -v[4:5]
	v_add_f64 v[2:3], v[2:3], v[4:5]
	v_mul_f64 v[4:5], v[168:169], v[120:121]
	s_waitcnt vmcnt(38) lgkmcnt(1)
	v_mul_f64 v[186:187], v[174:175], v[128:129]
	v_fma_f64 v[4:5], v[166:167], v[122:123], -v[4:5]
	s_waitcnt vmcnt(36)
	v_fmac_f64_e32 v[186:187], v[176:177], v[130:131]
	v_add_f64 v[2:3], v[2:3], v[4:5]
	v_mul_f64 v[4:5], v[172:173], v[116:117]
	v_add_f64 v[188:189], v[184:185], v[186:187]
	ds_read_b128 v[184:187], v144 offset:784
	s_waitcnt lgkmcnt(1)
	v_mul_f64 v[190:191], v[178:179], v[124:125]
	v_fma_f64 v[4:5], v[170:171], v[118:119], -v[4:5]
	v_fmac_f64_e32 v[190:191], v[180:181], v[126:127]
	v_add_f64 v[2:3], v[2:3], v[4:5]
	v_mul_f64 v[4:5], v[176:177], v[128:129]
	v_add_f64 v[196:197], v[188:189], v[190:191]
	ds_read_b128 v[188:191], v144 offset:800
	ds_read_b128 v[220:223], v144 offset:816
	v_fma_f64 v[4:5], v[174:175], v[130:131], -v[4:5]
	v_add_f64 v[2:3], v[2:3], v[4:5]
	v_mul_f64 v[4:5], v[180:181], v[124:125]
	v_fma_f64 v[4:5], v[178:179], v[126:127], -v[4:5]
	v_add_f64 v[2:3], v[2:3], v[4:5]
	s_waitcnt vmcnt(30) lgkmcnt(2)
	v_mul_f64 v[4:5], v[186:187], v[136:137]
	v_mul_f64 v[198:199], v[184:185], v[136:137]
	ds_read_b128 v[224:227], v144 offset:832
	ds_read_b128 v[228:231], v144 offset:848
	s_waitcnt vmcnt(28)
	v_fma_f64 v[4:5], v[184:185], v[138:139], -v[4:5]
	v_fmac_f64_e32 v[198:199], v[186:187], v[138:139]
	v_add_f64 v[2:3], v[2:3], v[4:5]
	s_waitcnt lgkmcnt(3)
	v_mul_f64 v[4:5], v[190:191], v[132:133]
	v_add_f64 v[196:197], v[196:197], v[198:199]
	v_mul_f64 v[198:199], v[188:189], v[132:133]
	v_fma_f64 v[4:5], v[188:189], v[134:135], -v[4:5]
	v_fmac_f64_e32 v[198:199], v[190:191], v[134:135]
	v_add_f64 v[2:3], v[2:3], v[4:5]
	s_waitcnt vmcnt(22) lgkmcnt(2)
	v_mul_f64 v[4:5], v[222:223], v[40:41]
	v_add_f64 v[196:197], v[196:197], v[198:199]
	v_mul_f64 v[198:199], v[220:221], v[40:41]
	ds_read_b128 v[232:235], v144 offset:864
	ds_read_b128 v[236:239], v144 offset:880
	s_waitcnt vmcnt(20)
	v_fma_f64 v[4:5], v[220:221], v[42:43], -v[4:5]
	v_fmac_f64_e32 v[198:199], v[222:223], v[42:43]
	v_add_f64 v[2:3], v[2:3], v[4:5]
	s_waitcnt lgkmcnt(3)
	v_mul_f64 v[4:5], v[226:227], v[140:141]
	v_add_f64 v[196:197], v[196:197], v[198:199]
	v_mul_f64 v[198:199], v[224:225], v[140:141]
	v_fma_f64 v[4:5], v[224:225], v[142:143], -v[4:5]
	v_fmac_f64_e32 v[198:199], v[226:227], v[142:143]
	v_add_f64 v[2:3], v[2:3], v[4:5]
	s_waitcnt vmcnt(14) lgkmcnt(2)
	v_mul_f64 v[4:5], v[230:231], v[48:49]
	v_add_f64 v[196:197], v[196:197], v[198:199]
	v_mul_f64 v[198:199], v[228:229], v[48:49]
	ds_read_b128 v[240:243], v144 offset:896
	ds_read_b128 v[244:247], v144 offset:912
	s_waitcnt vmcnt(12)
	v_fma_f64 v[4:5], v[228:229], v[50:51], -v[4:5]
	v_fmac_f64_e32 v[198:199], v[230:231], v[50:51]
	v_add_f64 v[2:3], v[2:3], v[4:5]
	s_waitcnt lgkmcnt(3)
	v_mul_f64 v[4:5], v[234:235], v[44:45]
	v_add_f64 v[196:197], v[196:197], v[198:199]
	v_mul_f64 v[198:199], v[232:233], v[44:45]
	v_fma_f64 v[4:5], v[232:233], v[46:47], -v[4:5]
	v_fmac_f64_e32 v[198:199], v[234:235], v[46:47]
	v_add_f64 v[2:3], v[2:3], v[4:5]
	s_waitcnt vmcnt(6) lgkmcnt(2)
	v_mul_f64 v[4:5], v[238:239], v[56:57]
	v_add_f64 v[196:197], v[196:197], v[198:199]
	v_mul_f64 v[198:199], v[236:237], v[56:57]
	s_waitcnt vmcnt(4)
	v_fma_f64 v[4:5], v[236:237], v[58:59], -v[4:5]
	v_fmac_f64_e32 v[198:199], v[238:239], v[58:59]
	v_add_f64 v[2:3], v[2:3], v[4:5]
	s_waitcnt lgkmcnt(1)
	v_mul_f64 v[4:5], v[242:243], v[52:53]
	v_add_f64 v[144:145], v[196:197], v[198:199]
	v_mul_f64 v[196:197], v[240:241], v[52:53]
	v_fma_f64 v[4:5], v[240:241], v[54:55], -v[4:5]
	v_fmac_f64_e32 v[196:197], v[242:243], v[54:55]
	v_add_f64 v[2:3], v[2:3], v[4:5]
	s_waitcnt vmcnt(2) lgkmcnt(0)
	v_mul_f64 v[4:5], v[246:247], v[192:193]
	v_add_f64 v[144:145], v[144:145], v[196:197]
	v_mul_f64 v[196:197], v[244:245], v[192:193]
	s_waitcnt vmcnt(0)
	v_fma_f64 v[4:5], v[244:245], v[194:195], -v[4:5]
	v_fmac_f64_e32 v[196:197], v[246:247], v[194:195]
	v_add_f64 v[2:3], v[2:3], v[4:5]
	v_add_f64 v[144:145], v[144:145], v[196:197]
	v_add_f64 v[2:3], v[20:21], -v[2:3]
	v_cmp_lt_u32_e32 vcc, 5, v219
	v_add_f64 v[4:5], v[18:19], -v[144:145]
	buffer_store_dword v3, off, s[0:3], 0 offset:100
	buffer_store_dword v2, off, s[0:3], 0 offset:96
	;; [unrolled: 1-line block ×4, first 2 shown]
	s_and_saveexec_b64 s[6:7], vcc
	s_cbranch_execz .LBB92_177
; %bb.176:
	v_accvgpr_read_b32 v5, a61
	buffer_load_dword v2, v5, s[0:3], 0 offen
	buffer_load_dword v3, v5, s[0:3], 0 offen offset:4
	buffer_load_dword v4, v5, s[0:3], 0 offen offset:8
	s_nop 0
	buffer_load_dword v5, v5, s[0:3], 0 offen offset:12
	v_mov_b32_e32 v6, 0
	buffer_store_dword v6, off, s[0:3], 0 offset:80
	buffer_store_dword v6, off, s[0:3], 0 offset:84
	;; [unrolled: 1-line block ×4, first 2 shown]
	s_waitcnt vmcnt(4)
	ds_write_b128 v1, v[2:5]
.LBB92_177:
	s_or_b64 exec, exec, s[6:7]
	s_waitcnt lgkmcnt(0)
	; wave barrier
	s_waitcnt lgkmcnt(0)
	buffer_load_dword v9, off, s[0:3], 0 offset:108
	buffer_load_dword v6, off, s[0:3], 0 offset:120
	;; [unrolled: 1-line block ×64, first 2 shown]
	v_mov_b32_e32 v156, 0
	ds_read_b128 v[132:135], v156 offset:560
	ds_read_b128 v[136:139], v156 offset:576
	buffer_load_dword v125, off, s[0:3], 0 offset:364
	buffer_load_dword v124, off, s[0:3], 0 offset:360
	;; [unrolled: 1-line block ×8, first 2 shown]
	ds_read_b128 v[140:143], v156 offset:592
	ds_read_b128 v[144:147], v156 offset:608
	buffer_load_dword v45, off, s[0:3], 0 offset:396
	buffer_load_dword v44, off, s[0:3], 0 offset:392
	;; [unrolled: 1-line block ×24, first 2 shown]
	ds_read_b128 v[148:151], v156 offset:624
	ds_read_b128 v[152:155], v156 offset:640
	;; [unrolled: 1-line block ×19, first 2 shown]
	v_cmp_lt_u32_e32 vcc, 4, v219
	s_waitcnt vmcnt(62) lgkmcnt(14)
	v_mul_f64 v[42:43], v[136:137], v[6:7]
	v_mul_f64 v[40:41], v[132:133], v[8:9]
	;; [unrolled: 1-line block ×3, first 2 shown]
	v_fma_f64 v[8:9], v[132:133], v[10:11], -v[8:9]
	v_mul_f64 v[6:7], v[138:139], v[6:7]
	v_fmac_f64_e32 v[40:41], v[134:135], v[10:11]
	v_add_f64 v[8:9], v[8:9], 0
	v_add_f64 v[40:41], v[40:41], 0
	v_fma_f64 v[6:7], v[136:137], v[14:15], -v[6:7]
	v_fmac_f64_e32 v[42:43], v[138:139], v[14:15]
	v_add_f64 v[6:7], v[8:9], v[6:7]
	v_mul_f64 v[8:9], v[142:143], v[16:17]
	v_add_f64 v[40:41], v[40:41], v[42:43]
	v_mul_f64 v[42:43], v[140:141], v[16:17]
	v_fma_f64 v[8:9], v[140:141], v[12:13], -v[8:9]
	v_fmac_f64_e32 v[42:43], v[142:143], v[12:13]
	v_add_f64 v[6:7], v[6:7], v[8:9]
	v_mul_f64 v[8:9], v[146:147], v[22:23]
	v_add_f64 v[40:41], v[40:41], v[42:43]
	v_mul_f64 v[42:43], v[144:145], v[22:23]
	;; [unrolled: 6-line block ×5, first 2 shown]
	v_fma_f64 v[8:9], v[158:159], v[28:29], -v[8:9]
	v_fmac_f64_e32 v[42:43], v[160:161], v[28:29]
	v_add_f64 v[6:7], v[6:7], v[8:9]
	s_waitcnt vmcnt(58)
	v_mul_f64 v[8:9], v[164:165], v[96:97]
	v_add_f64 v[40:41], v[40:41], v[42:43]
	v_mul_f64 v[42:43], v[162:163], v[96:97]
	s_waitcnt vmcnt(56)
	v_fma_f64 v[8:9], v[162:163], v[98:99], -v[8:9]
	v_fmac_f64_e32 v[42:43], v[164:165], v[98:99]
	v_add_f64 v[6:7], v[6:7], v[8:9]
	v_mul_f64 v[8:9], v[168:169], v[34:35]
	v_add_f64 v[40:41], v[40:41], v[42:43]
	v_mul_f64 v[42:43], v[166:167], v[34:35]
	v_fma_f64 v[8:9], v[166:167], v[36:37], -v[8:9]
	v_fmac_f64_e32 v[42:43], v[168:169], v[36:37]
	v_add_f64 v[6:7], v[6:7], v[8:9]
	s_waitcnt vmcnt(50) lgkmcnt(13)
	v_mul_f64 v[8:9], v[172:173], v[104:105]
	v_add_f64 v[40:41], v[40:41], v[42:43]
	v_mul_f64 v[42:43], v[170:171], v[104:105]
	s_waitcnt vmcnt(48)
	v_fma_f64 v[8:9], v[170:171], v[106:107], -v[8:9]
	v_fmac_f64_e32 v[42:43], v[172:173], v[106:107]
	v_add_f64 v[6:7], v[6:7], v[8:9]
	s_waitcnt lgkmcnt(12)
	v_mul_f64 v[8:9], v[176:177], v[100:101]
	v_add_f64 v[40:41], v[40:41], v[42:43]
	v_mul_f64 v[42:43], v[174:175], v[100:101]
	v_fma_f64 v[8:9], v[174:175], v[102:103], -v[8:9]
	v_fmac_f64_e32 v[42:43], v[176:177], v[102:103]
	v_add_f64 v[6:7], v[6:7], v[8:9]
	s_waitcnt vmcnt(42) lgkmcnt(11)
	v_mul_f64 v[8:9], v[180:181], v[112:113]
	v_add_f64 v[40:41], v[40:41], v[42:43]
	v_mul_f64 v[42:43], v[178:179], v[112:113]
	s_waitcnt vmcnt(40)
	v_fma_f64 v[8:9], v[178:179], v[114:115], -v[8:9]
	v_fmac_f64_e32 v[42:43], v[180:181], v[114:115]
	v_add_f64 v[6:7], v[6:7], v[8:9]
	s_waitcnt lgkmcnt(10)
	;; [unrolled: 15-line block ×7, first 2 shown]
	v_mul_f64 v[8:9], v[254:255], v[192:193]
	v_add_f64 v[40:41], v[40:41], v[42:43]
	v_mul_f64 v[42:43], v[252:253], v[192:193]
	v_fma_f64 v[8:9], v[252:253], v[194:195], -v[8:9]
	v_fmac_f64_e32 v[42:43], v[254:255], v[194:195]
	v_add_f64 v[6:7], v[6:7], v[8:9]
	v_add_f64 v[40:41], v[40:41], v[42:43]
	v_add_f64 v[4:5], v[4:5], -v[6:7]
	v_add_f64 v[2:3], v[2:3], -v[40:41]
	buffer_store_dword v5, off, s[0:3], 0 offset:84
	buffer_store_dword v4, off, s[0:3], 0 offset:80
	;; [unrolled: 1-line block ×4, first 2 shown]
	s_and_saveexec_b64 s[6:7], vcc
	s_cbranch_execz .LBB92_179
; %bb.178:
	v_accvgpr_read_b32 v5, a62
	buffer_load_dword v2, v5, s[0:3], 0 offen
	buffer_load_dword v3, v5, s[0:3], 0 offen offset:4
	buffer_load_dword v4, v5, s[0:3], 0 offen offset:8
	s_nop 0
	buffer_load_dword v5, v5, s[0:3], 0 offen offset:12
	s_nop 0
	buffer_store_dword v156, off, s[0:3], 0 offset:64
	buffer_store_dword v156, off, s[0:3], 0 offset:68
	;; [unrolled: 1-line block ×4, first 2 shown]
	s_waitcnt vmcnt(4)
	ds_write_b128 v1, v[2:5]
.LBB92_179:
	s_or_b64 exec, exec, s[6:7]
	s_waitcnt lgkmcnt(0)
	; wave barrier
	s_waitcnt lgkmcnt(0)
	buffer_load_dword v22, off, s[0:3], 0 offset:80
	buffer_load_dword v23, off, s[0:3], 0 offset:84
	;; [unrolled: 1-line block ×16, first 2 shown]
	ds_read_b128 v[2:5], v156 offset:544
	ds_read_b128 v[6:9], v156 offset:560
	;; [unrolled: 1-line block ×4, first 2 shown]
	buffer_load_dword v35, off, s[0:3], 0 offset:156
	buffer_load_dword v34, off, s[0:3], 0 offset:152
	;; [unrolled: 1-line block ×48, first 2 shown]
	v_cmp_lt_u32_e32 vcc, 3, v219
	s_waitcnt vmcnt(60) lgkmcnt(3)
	v_mul_f64 v[40:41], v[2:3], v[24:25]
	v_fmac_f64_e32 v[40:41], v[4:5], v[22:23]
	v_add_f64 v[40:41], v[40:41], 0
	v_mul_f64 v[4:5], v[4:5], v[24:25]
	s_waitcnt vmcnt(56) lgkmcnt(2)
	v_mul_f64 v[42:43], v[6:7], v[32:33]
	v_fma_f64 v[2:3], v[2:3], v[22:23], -v[4:5]
	v_mul_f64 v[4:5], v[8:9], v[32:33]
	v_add_f64 v[2:3], v[2:3], 0
	s_waitcnt vmcnt(52)
	v_fmac_f64_e32 v[42:43], v[8:9], v[28:29]
	v_add_f64 v[40:41], v[40:41], v[42:43]
	buffer_load_dword v141, off, s[0:3], 0 offset:348
	buffer_load_dword v140, off, s[0:3], 0 offset:344
	;; [unrolled: 1-line block ×32, first 2 shown]
	ds_read_b128 v[158:161], v156 offset:608
	buffer_load_dword v205, off, s[0:3], 0 offset:460
	buffer_load_dword v204, off, s[0:3], 0 offset:456
	;; [unrolled: 1-line block ×4, first 2 shown]
	v_fma_f64 v[4:5], v[6:7], v[28:29], -v[4:5]
	v_add_f64 v[2:3], v[2:3], v[4:5]
	s_waitcnt lgkmcnt(2)
	v_mul_f64 v[4:5], v[12:13], v[26:27]
	v_mul_f64 v[44:45], v[10:11], v[26:27]
	ds_read_b128 v[162:165], v156 offset:624
	ds_read_b128 v[166:169], v156 offset:640
	v_fma_f64 v[4:5], v[10:11], v[30:31], -v[4:5]
	v_fmac_f64_e32 v[44:45], v[12:13], v[30:31]
	v_add_f64 v[2:3], v[2:3], v[4:5]
	s_waitcnt vmcnt(62) lgkmcnt(3)
	v_mul_f64 v[4:5], v[16:17], v[96:97]
	v_add_f64 v[40:41], v[40:41], v[44:45]
	v_mul_f64 v[44:45], v[14:15], v[96:97]
	v_fma_f64 v[4:5], v[14:15], v[98:99], -v[4:5]
	v_fmac_f64_e32 v[44:45], v[16:17], v[98:99]
	v_add_f64 v[2:3], v[2:3], v[4:5]
	s_waitcnt lgkmcnt(2)
	v_mul_f64 v[4:5], v[160:161], v[34:35]
	v_add_f64 v[40:41], v[40:41], v[44:45]
	v_mul_f64 v[44:45], v[158:159], v[34:35]
	ds_read_b128 v[170:173], v156 offset:656
	ds_read_b128 v[174:177], v156 offset:672
	v_fma_f64 v[4:5], v[158:159], v[36:37], -v[4:5]
	v_fmac_f64_e32 v[44:45], v[160:161], v[36:37]
	v_add_f64 v[2:3], v[2:3], v[4:5]
	s_waitcnt lgkmcnt(3)
	v_mul_f64 v[4:5], v[164:165], v[104:105]
	v_add_f64 v[40:41], v[40:41], v[44:45]
	v_mul_f64 v[44:45], v[162:163], v[104:105]
	v_fma_f64 v[4:5], v[162:163], v[106:107], -v[4:5]
	v_fmac_f64_e32 v[44:45], v[164:165], v[106:107]
	v_add_f64 v[2:3], v[2:3], v[4:5]
	s_waitcnt lgkmcnt(2)
	v_mul_f64 v[4:5], v[168:169], v[100:101]
	v_add_f64 v[40:41], v[40:41], v[44:45]
	v_mul_f64 v[44:45], v[166:167], v[100:101]
	ds_read_b128 v[178:181], v156 offset:688
	ds_read_b128 v[184:187], v156 offset:704
	v_fma_f64 v[4:5], v[166:167], v[102:103], -v[4:5]
	v_fmac_f64_e32 v[44:45], v[168:169], v[102:103]
	v_add_f64 v[2:3], v[2:3], v[4:5]
	s_waitcnt lgkmcnt(3)
	v_mul_f64 v[4:5], v[172:173], v[112:113]
	v_add_f64 v[40:41], v[40:41], v[44:45]
	v_mul_f64 v[44:45], v[170:171], v[112:113]
	s_waitcnt vmcnt(60)
	v_fma_f64 v[4:5], v[170:171], v[114:115], -v[4:5]
	v_fmac_f64_e32 v[44:45], v[172:173], v[114:115]
	v_add_f64 v[2:3], v[2:3], v[4:5]
	s_waitcnt lgkmcnt(2)
	v_mul_f64 v[4:5], v[176:177], v[108:109]
	v_add_f64 v[40:41], v[40:41], v[44:45]
	v_mul_f64 v[44:45], v[174:175], v[108:109]
	ds_read_b128 v[188:191], v156 offset:720
	ds_read_b128 v[220:223], v156 offset:736
	v_fma_f64 v[4:5], v[174:175], v[110:111], -v[4:5]
	v_fmac_f64_e32 v[44:45], v[176:177], v[110:111]
	v_add_f64 v[2:3], v[2:3], v[4:5]
	s_waitcnt vmcnt(54) lgkmcnt(3)
	v_mul_f64 v[4:5], v[180:181], v[120:121]
	v_add_f64 v[40:41], v[40:41], v[44:45]
	v_mul_f64 v[44:45], v[178:179], v[120:121]
	s_waitcnt vmcnt(52)
	v_fma_f64 v[4:5], v[178:179], v[122:123], -v[4:5]
	v_fmac_f64_e32 v[44:45], v[180:181], v[122:123]
	v_add_f64 v[2:3], v[2:3], v[4:5]
	s_waitcnt lgkmcnt(2)
	v_mul_f64 v[4:5], v[186:187], v[116:117]
	v_add_f64 v[40:41], v[40:41], v[44:45]
	v_mul_f64 v[44:45], v[184:185], v[116:117]
	ds_read_b128 v[224:227], v156 offset:752
	ds_read_b128 v[228:231], v156 offset:768
	v_fma_f64 v[4:5], v[184:185], v[118:119], -v[4:5]
	v_fmac_f64_e32 v[44:45], v[186:187], v[118:119]
	v_add_f64 v[2:3], v[2:3], v[4:5]
	s_waitcnt vmcnt(46) lgkmcnt(3)
	;; [unrolled: 17-line block ×6, first 2 shown]
	v_mul_f64 v[4:5], v[250:251], v[48:49]
	v_add_f64 v[40:41], v[40:41], v[44:45]
	v_mul_f64 v[44:45], v[248:249], v[48:49]
	s_waitcnt vmcnt(12)
	v_fma_f64 v[4:5], v[248:249], v[50:51], -v[4:5]
	v_fmac_f64_e32 v[44:45], v[250:251], v[50:51]
	v_add_f64 v[2:3], v[2:3], v[4:5]
	s_waitcnt lgkmcnt(2)
	v_mul_f64 v[4:5], v[254:255], v[42:43]
	v_add_f64 v[40:41], v[40:41], v[44:45]
	v_mul_f64 v[44:45], v[252:253], v[42:43]
	ds_read_b128 v[200:203], v156 offset:912
	v_fma_f64 v[4:5], v[252:253], v[46:47], -v[4:5]
	v_fmac_f64_e32 v[44:45], v[254:255], v[46:47]
	v_add_f64 v[2:3], v[2:3], v[4:5]
	s_waitcnt vmcnt(6) lgkmcnt(2)
	v_mul_f64 v[4:5], v[194:195], v[56:57]
	v_add_f64 v[40:41], v[40:41], v[44:45]
	v_mul_f64 v[44:45], v[192:193], v[56:57]
	s_waitcnt vmcnt(4)
	v_fma_f64 v[4:5], v[192:193], v[58:59], -v[4:5]
	v_fmac_f64_e32 v[44:45], v[194:195], v[58:59]
	v_add_f64 v[2:3], v[2:3], v[4:5]
	s_waitcnt lgkmcnt(1)
	v_mul_f64 v[4:5], v[198:199], v[52:53]
	v_add_f64 v[40:41], v[40:41], v[44:45]
	v_mul_f64 v[44:45], v[196:197], v[52:53]
	v_fma_f64 v[4:5], v[196:197], v[54:55], -v[4:5]
	v_fmac_f64_e32 v[44:45], v[198:199], v[54:55]
	v_add_f64 v[2:3], v[2:3], v[4:5]
	s_waitcnt vmcnt(2) lgkmcnt(0)
	v_mul_f64 v[4:5], v[202:203], v[204:205]
	v_add_f64 v[40:41], v[40:41], v[44:45]
	v_mul_f64 v[44:45], v[200:201], v[204:205]
	s_waitcnt vmcnt(0)
	v_fma_f64 v[4:5], v[200:201], v[206:207], -v[4:5]
	v_fmac_f64_e32 v[44:45], v[202:203], v[206:207]
	v_add_f64 v[2:3], v[2:3], v[4:5]
	v_add_f64 v[40:41], v[40:41], v[44:45]
	v_add_f64 v[2:3], v[20:21], -v[2:3]
	v_add_f64 v[4:5], v[18:19], -v[40:41]
	buffer_store_dword v3, off, s[0:3], 0 offset:68
	buffer_store_dword v2, off, s[0:3], 0 offset:64
	;; [unrolled: 1-line block ×4, first 2 shown]
	s_and_saveexec_b64 s[6:7], vcc
	s_cbranch_execz .LBB92_181
; %bb.180:
	v_accvgpr_read_b32 v5, a66
	buffer_load_dword v2, v5, s[0:3], 0 offen
	buffer_load_dword v3, v5, s[0:3], 0 offen offset:4
	buffer_load_dword v4, v5, s[0:3], 0 offen offset:8
	s_nop 0
	buffer_load_dword v5, v5, s[0:3], 0 offen offset:12
	v_mov_b32_e32 v6, 0
	buffer_store_dword v6, off, s[0:3], 0 offset:48
	buffer_store_dword v6, off, s[0:3], 0 offset:52
	;; [unrolled: 1-line block ×4, first 2 shown]
	s_waitcnt vmcnt(4)
	ds_write_b128 v1, v[2:5]
.LBB92_181:
	s_or_b64 exec, exec, s[6:7]
	s_waitcnt lgkmcnt(0)
	; wave barrier
	s_waitcnt lgkmcnt(0)
	buffer_load_dword v22, off, s[0:3], 0 offset:64
	buffer_load_dword v23, off, s[0:3], 0 offset:68
	;; [unrolled: 1-line block ×64, first 2 shown]
	v_mov_b32_e32 v172, 0
	ds_read_b128 v[18:21], v172 offset:528
	ds_read_b128 v[14:17], v172 offset:544
	;; [unrolled: 1-line block ×5, first 2 shown]
	v_cmp_lt_u32_e32 vcc, 2, v219
	s_waitcnt vmcnt(60) lgkmcnt(4)
	v_mul_f64 v[40:41], v[18:19], v[26:27]
	v_fmac_f64_e32 v[40:41], v[20:21], v[22:23]
	v_add_f64 v[40:41], v[40:41], 0
	v_mul_f64 v[20:21], v[20:21], v[26:27]
	s_waitcnt vmcnt(56) lgkmcnt(3)
	v_mul_f64 v[42:43], v[14:15], v[28:29]
	v_fmac_f64_e32 v[42:43], v[16:17], v[24:25]
	s_waitcnt vmcnt(54) lgkmcnt(2)
	v_mul_f64 v[44:45], v[10:11], v[30:31]
	v_add_f64 v[40:41], v[40:41], v[42:43]
	v_fma_f64 v[18:19], v[18:19], v[22:23], -v[20:21]
	v_mul_f64 v[16:17], v[16:17], v[28:29]
	s_waitcnt vmcnt(50) lgkmcnt(1)
	v_mul_f64 v[46:47], v[6:7], v[98:99]
	v_add_f64 v[18:19], v[18:19], 0
	s_waitcnt vmcnt(48)
	v_fmac_f64_e32 v[44:45], v[12:13], v[102:103]
	v_add_f64 v[40:41], v[40:41], v[44:45]
	buffer_load_dword v145, off, s[0:3], 0 offset:332
	buffer_load_dword v144, off, s[0:3], 0 offset:328
	;; [unrolled: 1-line block ×40, first 2 shown]
	ds_read_b128 v[160:163], v172 offset:608
	ds_read_b128 v[164:167], v172 offset:624
	s_waitcnt vmcnt(62)
	v_fmac_f64_e32 v[46:47], v[8:9], v[100:101]
	v_fma_f64 v[14:15], v[14:15], v[24:25], -v[16:17]
	v_mul_f64 v[12:13], v[12:13], v[30:31]
	v_add_f64 v[40:41], v[40:41], v[46:47]
	s_waitcnt lgkmcnt(2)
	v_mul_f64 v[46:47], v[2:3], v[36:37]
	v_add_f64 v[14:15], v[18:19], v[14:15]
	v_fma_f64 v[10:11], v[10:11], v[102:103], -v[12:13]
	v_mul_f64 v[8:9], v[8:9], v[98:99]
	v_fmac_f64_e32 v[46:47], v[4:5], v[96:97]
	ds_read_b128 v[168:171], v172 offset:640
	ds_read_b128 v[174:177], v172 offset:656
	v_add_f64 v[10:11], v[14:15], v[10:11]
	v_fma_f64 v[6:7], v[6:7], v[100:101], -v[8:9]
	v_mul_f64 v[4:5], v[4:5], v[36:37]
	v_add_f64 v[6:7], v[10:11], v[6:7]
	v_fma_f64 v[2:3], v[2:3], v[96:97], -v[4:5]
	s_waitcnt lgkmcnt(3)
	v_mul_f64 v[4:5], v[162:163], v[108:109]
	v_add_f64 v[40:41], v[40:41], v[46:47]
	v_mul_f64 v[46:47], v[160:161], v[108:109]
	v_add_f64 v[2:3], v[6:7], v[2:3]
	v_fma_f64 v[4:5], v[160:161], v[110:111], -v[4:5]
	v_fmac_f64_e32 v[46:47], v[162:163], v[110:111]
	v_add_f64 v[2:3], v[2:3], v[4:5]
	s_waitcnt lgkmcnt(2)
	v_mul_f64 v[4:5], v[166:167], v[104:105]
	v_add_f64 v[40:41], v[40:41], v[46:47]
	v_mul_f64 v[46:47], v[164:165], v[104:105]
	ds_read_b128 v[178:181], v172 offset:672
	ds_read_b128 v[184:187], v172 offset:688
	v_fma_f64 v[4:5], v[164:165], v[106:107], -v[4:5]
	v_fmac_f64_e32 v[46:47], v[166:167], v[106:107]
	v_add_f64 v[2:3], v[2:3], v[4:5]
	s_waitcnt lgkmcnt(3)
	v_mul_f64 v[4:5], v[170:171], v[116:117]
	v_add_f64 v[40:41], v[40:41], v[46:47]
	v_mul_f64 v[46:47], v[168:169], v[116:117]
	v_fma_f64 v[4:5], v[168:169], v[118:119], -v[4:5]
	v_fmac_f64_e32 v[46:47], v[170:171], v[118:119]
	v_add_f64 v[2:3], v[2:3], v[4:5]
	s_waitcnt lgkmcnt(2)
	v_mul_f64 v[4:5], v[176:177], v[112:113]
	v_add_f64 v[40:41], v[40:41], v[46:47]
	v_mul_f64 v[46:47], v[174:175], v[112:113]
	ds_read_b128 v[188:191], v172 offset:704
	ds_read_b128 v[192:195], v172 offset:720
	v_fma_f64 v[4:5], v[174:175], v[114:115], -v[4:5]
	v_fmac_f64_e32 v[46:47], v[176:177], v[114:115]
	v_add_f64 v[2:3], v[2:3], v[4:5]
	s_waitcnt vmcnt(58) lgkmcnt(3)
	v_mul_f64 v[4:5], v[180:181], v[124:125]
	v_add_f64 v[40:41], v[40:41], v[46:47]
	v_mul_f64 v[46:47], v[178:179], v[124:125]
	s_waitcnt vmcnt(56)
	v_fma_f64 v[4:5], v[178:179], v[126:127], -v[4:5]
	v_fmac_f64_e32 v[46:47], v[180:181], v[126:127]
	v_add_f64 v[2:3], v[2:3], v[4:5]
	s_waitcnt lgkmcnt(2)
	v_mul_f64 v[4:5], v[186:187], v[120:121]
	v_add_f64 v[40:41], v[40:41], v[46:47]
	v_mul_f64 v[46:47], v[184:185], v[120:121]
	ds_read_b128 v[196:199], v172 offset:736
	ds_read_b128 v[200:203], v172 offset:752
	v_fma_f64 v[4:5], v[184:185], v[122:123], -v[4:5]
	v_fmac_f64_e32 v[46:47], v[186:187], v[122:123]
	v_add_f64 v[2:3], v[2:3], v[4:5]
	s_waitcnt vmcnt(50) lgkmcnt(3)
	v_mul_f64 v[4:5], v[190:191], v[132:133]
	v_add_f64 v[40:41], v[40:41], v[46:47]
	v_mul_f64 v[46:47], v[188:189], v[132:133]
	s_waitcnt vmcnt(48)
	;; [unrolled: 17-line block ×7, first 2 shown]
	v_fma_f64 v[4:5], v[244:245], v[58:59], -v[4:5]
	v_fmac_f64_e32 v[46:47], v[246:247], v[58:59]
	v_add_f64 v[2:3], v[2:3], v[4:5]
	s_waitcnt lgkmcnt(2)
	v_mul_f64 v[4:5], v[250:251], v[52:53]
	v_add_f64 v[40:41], v[40:41], v[46:47]
	v_mul_f64 v[46:47], v[248:249], v[52:53]
	v_fma_f64 v[4:5], v[248:249], v[54:55], -v[4:5]
	v_fmac_f64_e32 v[46:47], v[250:251], v[54:55]
	v_add_f64 v[2:3], v[2:3], v[4:5]
	s_waitcnt vmcnt(2) lgkmcnt(1)
	v_mul_f64 v[4:5], v[254:255], v[212:213]
	v_add_f64 v[40:41], v[40:41], v[46:47]
	v_mul_f64 v[46:47], v[252:253], v[212:213]
	s_waitcnt vmcnt(0)
	v_fma_f64 v[4:5], v[252:253], v[214:215], -v[4:5]
	v_fmac_f64_e32 v[46:47], v[254:255], v[214:215]
	v_add_f64 v[2:3], v[2:3], v[4:5]
	s_waitcnt lgkmcnt(0)
	v_mul_f64 v[4:5], v[206:207], v[208:209]
	v_add_f64 v[40:41], v[40:41], v[46:47]
	v_mul_f64 v[46:47], v[204:205], v[208:209]
	v_fma_f64 v[4:5], v[204:205], v[210:211], -v[4:5]
	v_fmac_f64_e32 v[46:47], v[206:207], v[210:211]
	v_add_f64 v[2:3], v[2:3], v[4:5]
	v_add_f64 v[40:41], v[40:41], v[46:47]
	v_add_f64 v[2:3], v[34:35], -v[2:3]
	v_add_f64 v[4:5], v[32:33], -v[40:41]
	buffer_store_dword v3, off, s[0:3], 0 offset:52
	buffer_store_dword v2, off, s[0:3], 0 offset:48
	;; [unrolled: 1-line block ×4, first 2 shown]
	s_and_saveexec_b64 s[6:7], vcc
	s_cbranch_execz .LBB92_183
; %bb.182:
	buffer_load_dword v2, v218, s[0:3], 0 offen
	buffer_load_dword v3, v218, s[0:3], 0 offen offset:4
	buffer_load_dword v4, v218, s[0:3], 0 offen offset:8
	;; [unrolled: 1-line block ×3, first 2 shown]
	s_nop 0
	buffer_store_dword v172, off, s[0:3], 0 offset:32
	buffer_store_dword v172, off, s[0:3], 0 offset:36
	;; [unrolled: 1-line block ×4, first 2 shown]
	s_waitcnt vmcnt(4)
	ds_write_b128 v1, v[2:5]
.LBB92_183:
	s_or_b64 exec, exec, s[6:7]
	s_waitcnt lgkmcnt(0)
	; wave barrier
	s_waitcnt lgkmcnt(0)
	buffer_load_dword v26, off, s[0:3], 0 offset:48
	buffer_load_dword v27, off, s[0:3], 0 offset:52
	buffer_load_dword v28, off, s[0:3], 0 offset:56
	buffer_load_dword v29, off, s[0:3], 0 offset:60
	buffer_load_dword v30, off, s[0:3], 0 offset:72
	buffer_load_dword v31, off, s[0:3], 0 offset:76
	buffer_load_dword v32, off, s[0:3], 0 offset:88
	buffer_load_dword v33, off, s[0:3], 0 offset:92
	buffer_load_dword v97, off, s[0:3], 0 offset:124
	buffer_load_dword v96, off, s[0:3], 0 offset:120
	buffer_load_dword v99, off, s[0:3], 0 offset:116
	buffer_load_dword v101, off, s[0:3], 0 offset:108
	buffer_load_dword v100, off, s[0:3], 0 offset:104
	buffer_load_dword v106, off, s[0:3], 0 offset:64
	buffer_load_dword v107, off, s[0:3], 0 offset:68
	buffer_load_dword v104, off, s[0:3], 0 offset:80
	buffer_load_dword v105, off, s[0:3], 0 offset:84
	buffer_load_dword v103, off, s[0:3], 0 offset:100
	buffer_load_dword v102, off, s[0:3], 0 offset:96
	buffer_load_dword v98, off, s[0:3], 0 offset:112
	buffer_load_dword v36, off, s[0:3], 0 offset:32
	buffer_load_dword v37, off, s[0:3], 0 offset:36
	buffer_load_dword v34, off, s[0:3], 0 offset:40
	buffer_load_dword v35, off, s[0:3], 0 offset:44
	ds_read_b128 v[22:25], v172 offset:512
	ds_read_b128 v[18:21], v172 offset:528
	ds_read_b128 v[10:13], v172 offset:544
	ds_read_b128 v[6:9], v172 offset:560
	ds_read_b128 v[2:5], v172 offset:576
	ds_read_b128 v[14:17], v172 offset:592
	buffer_load_dword v109, off, s[0:3], 0 offset:156
	buffer_load_dword v108, off, s[0:3], 0 offset:152
	;; [unrolled: 1-line block ×40, first 2 shown]
	v_cmp_lt_u32_e32 vcc, 1, v219
	s_waitcnt vmcnt(60) lgkmcnt(5)
	v_mul_f64 v[40:41], v[22:23], v[28:29]
	v_fmac_f64_e32 v[40:41], v[24:25], v[26:27]
	s_waitcnt vmcnt(58) lgkmcnt(4)
	v_mul_f64 v[42:43], v[18:19], v[30:31]
	v_add_f64 v[40:41], v[40:41], 0
	s_waitcnt vmcnt(56) lgkmcnt(3)
	v_mul_f64 v[44:45], v[10:11], v[32:33]
	v_mul_f64 v[24:25], v[24:25], v[28:29]
	s_waitcnt vmcnt(54) lgkmcnt(1)
	v_mul_f64 v[48:49], v[2:3], v[96:97]
	v_fma_f64 v[22:23], v[22:23], v[26:27], -v[24:25]
	v_add_f64 v[22:23], v[22:23], 0
	s_waitcnt vmcnt(51)
	v_mul_f64 v[46:47], v[6:7], v[100:101]
	s_waitcnt vmcnt(49)
	v_fmac_f64_e32 v[42:43], v[20:21], v[106:107]
	v_add_f64 v[40:41], v[40:41], v[42:43]
	s_waitcnt vmcnt(47)
	v_fmac_f64_e32 v[44:45], v[12:13], v[104:105]
	v_add_f64 v[40:41], v[40:41], v[44:45]
	;; [unrolled: 3-line block ×3, first 2 shown]
	buffer_load_dword v149, off, s[0:3], 0 offset:316
	buffer_load_dword v148, off, s[0:3], 0 offset:312
	;; [unrolled: 1-line block ×40, first 2 shown]
	s_waitcnt vmcnt(62)
	v_fmac_f64_e32 v[48:49], v[4:5], v[98:99]
	v_add_f64 v[40:41], v[40:41], v[48:49]
	ds_read_b128 v[174:177], v172 offset:608
	buffer_load_dword v49, off, s[0:3], 0 offset:460
	buffer_load_dword v48, off, s[0:3], 0 offset:456
	;; [unrolled: 1-line block ×4, first 2 shown]
	v_mul_f64 v[20:21], v[20:21], v[30:31]
	v_fma_f64 v[18:19], v[18:19], v[106:107], -v[20:21]
	v_mul_f64 v[12:13], v[12:13], v[32:33]
	ds_read_b128 v[178:181], v172 offset:624
	ds_read_b128 v[184:187], v172 offset:640
	v_add_f64 v[18:19], v[22:23], v[18:19]
	v_fma_f64 v[10:11], v[10:11], v[104:105], -v[12:13]
	v_mul_f64 v[8:9], v[8:9], v[100:101]
	s_waitcnt lgkmcnt(3)
	v_mul_f64 v[42:43], v[14:15], v[112:113]
	v_add_f64 v[10:11], v[18:19], v[10:11]
	v_fma_f64 v[6:7], v[6:7], v[102:103], -v[8:9]
	v_mul_f64 v[4:5], v[4:5], v[96:97]
	v_fmac_f64_e32 v[42:43], v[16:17], v[114:115]
	v_add_f64 v[6:7], v[10:11], v[6:7]
	v_fma_f64 v[2:3], v[2:3], v[98:99], -v[4:5]
	v_mul_f64 v[4:5], v[16:17], v[112:113]
	v_add_f64 v[40:41], v[40:41], v[42:43]
	s_waitcnt lgkmcnt(2)
	v_mul_f64 v[42:43], v[174:175], v[108:109]
	v_add_f64 v[2:3], v[6:7], v[2:3]
	v_fma_f64 v[4:5], v[14:15], v[114:115], -v[4:5]
	v_fmac_f64_e32 v[42:43], v[176:177], v[110:111]
	ds_read_b128 v[188:191], v172 offset:656
	ds_read_b128 v[192:195], v172 offset:672
	v_add_f64 v[2:3], v[2:3], v[4:5]
	v_mul_f64 v[4:5], v[176:177], v[108:109]
	v_add_f64 v[40:41], v[40:41], v[42:43]
	s_waitcnt lgkmcnt(3)
	v_mul_f64 v[42:43], v[178:179], v[120:121]
	v_fma_f64 v[4:5], v[174:175], v[110:111], -v[4:5]
	v_fmac_f64_e32 v[42:43], v[180:181], v[122:123]
	v_add_f64 v[2:3], v[2:3], v[4:5]
	v_mul_f64 v[4:5], v[180:181], v[120:121]
	v_add_f64 v[40:41], v[40:41], v[42:43]
	s_waitcnt lgkmcnt(2)
	v_mul_f64 v[42:43], v[184:185], v[116:117]
	v_fma_f64 v[4:5], v[178:179], v[122:123], -v[4:5]
	v_fmac_f64_e32 v[42:43], v[186:187], v[118:119]
	ds_read_b128 v[196:199], v172 offset:688
	ds_read_b128 v[200:203], v172 offset:704
	v_add_f64 v[2:3], v[2:3], v[4:5]
	v_mul_f64 v[4:5], v[186:187], v[116:117]
	v_add_f64 v[40:41], v[40:41], v[42:43]
	s_waitcnt vmcnt(62) lgkmcnt(3)
	v_mul_f64 v[42:43], v[188:189], v[128:129]
	v_fma_f64 v[4:5], v[184:185], v[118:119], -v[4:5]
	s_waitcnt vmcnt(60)
	v_fmac_f64_e32 v[42:43], v[190:191], v[130:131]
	v_add_f64 v[2:3], v[2:3], v[4:5]
	v_mul_f64 v[4:5], v[190:191], v[128:129]
	v_add_f64 v[40:41], v[40:41], v[42:43]
	s_waitcnt lgkmcnt(2)
	v_mul_f64 v[42:43], v[192:193], v[124:125]
	v_fma_f64 v[4:5], v[188:189], v[130:131], -v[4:5]
	v_fmac_f64_e32 v[42:43], v[194:195], v[126:127]
	ds_read_b128 v[204:207], v172 offset:720
	ds_read_b128 v[220:223], v172 offset:736
	v_add_f64 v[2:3], v[2:3], v[4:5]
	v_mul_f64 v[4:5], v[194:195], v[124:125]
	v_add_f64 v[40:41], v[40:41], v[42:43]
	s_waitcnt vmcnt(54) lgkmcnt(3)
	v_mul_f64 v[42:43], v[196:197], v[136:137]
	v_fma_f64 v[4:5], v[192:193], v[126:127], -v[4:5]
	s_waitcnt vmcnt(52)
	;; [unrolled: 17-line block ×6, first 2 shown]
	v_fmac_f64_e32 v[42:43], v[242:243], v[170:171]
	v_add_f64 v[2:3], v[2:3], v[4:5]
	v_mul_f64 v[4:5], v[242:243], v[168:169]
	v_add_f64 v[40:41], v[40:41], v[42:43]
	s_waitcnt lgkmcnt(2)
	v_mul_f64 v[42:43], v[244:245], v[164:165]
	v_fma_f64 v[4:5], v[240:241], v[170:171], -v[4:5]
	v_fmac_f64_e32 v[42:43], v[246:247], v[166:167]
	v_add_f64 v[2:3], v[2:3], v[4:5]
	v_mul_f64 v[4:5], v[246:247], v[164:165]
	v_add_f64 v[40:41], v[40:41], v[42:43]
	s_waitcnt vmcnt(14) lgkmcnt(1)
	v_mul_f64 v[42:43], v[248:249], v[50:51]
	ds_read_b128 v[208:211], v172 offset:880
	ds_read_b128 v[212:215], v172 offset:896
	v_fma_f64 v[4:5], v[244:245], v[166:167], -v[4:5]
	s_waitcnt vmcnt(12)
	v_fmac_f64_e32 v[42:43], v[250:251], v[52:53]
	v_add_f64 v[2:3], v[2:3], v[4:5]
	v_mul_f64 v[4:5], v[250:251], v[50:51]
	v_add_f64 v[40:41], v[40:41], v[42:43]
	s_waitcnt lgkmcnt(2)
	v_mul_f64 v[42:43], v[252:253], v[44:45]
	v_fma_f64 v[4:5], v[248:249], v[52:53], -v[4:5]
	v_fmac_f64_e32 v[42:43], v[254:255], v[46:47]
	v_add_f64 v[2:3], v[2:3], v[4:5]
	v_mul_f64 v[4:5], v[254:255], v[44:45]
	v_add_f64 v[60:61], v[40:41], v[42:43]
	ds_read_b128 v[40:43], v172 offset:912
	v_fma_f64 v[4:5], v[252:253], v[46:47], -v[4:5]
	v_add_f64 v[2:3], v[2:3], v[4:5]
	s_waitcnt vmcnt(6) lgkmcnt(2)
	v_mul_f64 v[4:5], v[210:211], v[58:59]
	v_mul_f64 v[62:63], v[208:209], v[58:59]
	s_waitcnt vmcnt(4)
	v_fma_f64 v[4:5], v[208:209], v[182:183], -v[4:5]
	v_fmac_f64_e32 v[62:63], v[210:211], v[182:183]
	v_add_f64 v[2:3], v[2:3], v[4:5]
	s_waitcnt lgkmcnt(1)
	v_mul_f64 v[4:5], v[214:215], v[54:55]
	v_add_f64 v[60:61], v[60:61], v[62:63]
	v_mul_f64 v[62:63], v[212:213], v[54:55]
	v_fma_f64 v[4:5], v[212:213], v[56:57], -v[4:5]
	v_fmac_f64_e32 v[62:63], v[214:215], v[56:57]
	v_add_f64 v[2:3], v[2:3], v[4:5]
	s_waitcnt vmcnt(2) lgkmcnt(0)
	v_mul_f64 v[4:5], v[42:43], v[48:49]
	v_add_f64 v[60:61], v[60:61], v[62:63]
	v_mul_f64 v[62:63], v[40:41], v[48:49]
	s_waitcnt vmcnt(0)
	v_fma_f64 v[4:5], v[40:41], v[216:217], -v[4:5]
	v_fmac_f64_e32 v[62:63], v[42:43], v[216:217]
	v_add_f64 v[2:3], v[2:3], v[4:5]
	v_add_f64 v[60:61], v[60:61], v[62:63]
	v_add_f64 v[2:3], v[36:37], -v[2:3]
	v_add_f64 v[4:5], v[34:35], -v[60:61]
	buffer_store_dword v3, off, s[0:3], 0 offset:36
	buffer_store_dword v2, off, s[0:3], 0 offset:32
	;; [unrolled: 1-line block ×4, first 2 shown]
	s_and_saveexec_b64 s[6:7], vcc
	s_cbranch_execz .LBB92_185
; %bb.184:
	v_accvgpr_read_b32 v5, a65
	buffer_load_dword v2, v5, s[0:3], 0 offen
	buffer_load_dword v3, v5, s[0:3], 0 offen offset:4
	buffer_load_dword v4, v5, s[0:3], 0 offen offset:8
	s_nop 0
	buffer_load_dword v5, v5, s[0:3], 0 offen offset:12
	v_mov_b32_e32 v6, 0
	buffer_store_dword v6, off, s[0:3], 0 offset:16
	buffer_store_dword v6, off, s[0:3], 0 offset:20
	buffer_store_dword v6, off, s[0:3], 0 offset:24
	buffer_store_dword v6, off, s[0:3], 0 offset:28
	s_waitcnt vmcnt(4)
	ds_write_b128 v1, v[2:5]
.LBB92_185:
	s_or_b64 exec, exec, s[6:7]
	s_waitcnt lgkmcnt(0)
	; wave barrier
	s_waitcnt lgkmcnt(0)
	buffer_load_dword v30, off, s[0:3], 0 offset:32
	buffer_load_dword v31, off, s[0:3], 0 offset:36
	;; [unrolled: 1-line block ×56, first 2 shown]
	v_mov_b32_e32 v220, 0
	ds_read_b128 v[26:29], v220 offset:496
	ds_read_b128 v[22:25], v220 offset:512
	;; [unrolled: 1-line block ×7, first 2 shown]
	buffer_load_dword v145, off, s[0:3], 0 offset:268
	buffer_load_dword v144, off, s[0:3], 0 offset:264
	;; [unrolled: 1-line block ×56, first 2 shown]
	ds_read_b128 v[188:191], v220 offset:640
	ds_read_b128 v[192:195], v220 offset:656
	;; [unrolled: 1-line block ×15, first 2 shown]
	v_cmp_ne_u32_e32 vcc, 0, v219
	ds_read_b128 v[184:187], v220 offset:624
	ds_read_b128 v[52:55], v220 offset:912
	s_waitcnt vmcnt(62) lgkmcnt(14)
	v_mul_f64 v[40:41], v[26:27], v[34:35]
	v_fmac_f64_e32 v[40:41], v[28:29], v[30:31]
	v_add_f64 v[40:41], v[40:41], 0
	v_mul_f64 v[28:29], v[28:29], v[34:35]
	v_mul_f64 v[42:43], v[22:23], v[36:37]
	v_fmac_f64_e32 v[42:43], v[24:25], v[32:33]
	v_mul_f64 v[44:45], v[18:19], v[96:97]
	v_add_f64 v[40:41], v[40:41], v[42:43]
	v_mul_f64 v[48:49], v[10:11], v[98:99]
	v_fma_f64 v[26:27], v[26:27], v[30:31], -v[28:29]
	v_fmac_f64_e32 v[48:49], v[12:13], v[100:101]
	v_mul_f64 v[24:25], v[24:25], v[36:37]
	v_mul_f64 v[46:47], v[14:15], v[106:107]
	v_add_f64 v[26:27], v[26:27], 0
	v_fma_f64 v[22:23], v[22:23], v[32:33], -v[24:25]
	v_add_f64 v[22:23], v[26:27], v[22:23]
	v_mul_f64 v[168:169], v[6:7], v[112:113]
	v_mul_f64 v[12:13], v[12:13], v[98:99]
	v_fmac_f64_e32 v[44:45], v[20:21], v[118:119]
	v_add_f64 v[40:41], v[40:41], v[44:45]
	v_fmac_f64_e32 v[46:47], v[16:17], v[116:117]
	v_add_f64 v[40:41], v[40:41], v[46:47]
	v_add_f64 v[174:175], v[40:41], v[48:49]
	ds_read_b128 v[40:43], v220 offset:608
	v_fmac_f64_e32 v[168:169], v[8:9], v[114:115]
	v_mul_f64 v[46:47], v[2:3], v[108:109]
	v_mul_f64 v[20:21], v[20:21], v[96:97]
	v_add_f64 v[44:45], v[174:175], v[168:169]
	v_fmac_f64_e32 v[46:47], v[4:5], v[110:111]
	v_fma_f64 v[18:19], v[18:19], v[118:119], -v[20:21]
	v_mul_f64 v[16:17], v[16:17], v[106:107]
	v_add_f64 v[44:45], v[44:45], v[46:47]
	s_waitcnt lgkmcnt(0)
	v_mul_f64 v[46:47], v[40:41], v[124:125]
	v_add_f64 v[18:19], v[22:23], v[18:19]
	v_fma_f64 v[14:15], v[14:15], v[116:117], -v[16:17]
	v_fmac_f64_e32 v[46:47], v[42:43], v[126:127]
	v_add_f64 v[14:15], v[18:19], v[14:15]
	v_fma_f64 v[10:11], v[10:11], v[100:101], -v[12:13]
	v_mul_f64 v[8:9], v[8:9], v[112:113]
	v_add_f64 v[44:45], v[44:45], v[46:47]
	v_mul_f64 v[46:47], v[184:185], v[120:121]
	v_add_f64 v[10:11], v[14:15], v[10:11]
	v_fma_f64 v[6:7], v[6:7], v[114:115], -v[8:9]
	v_mul_f64 v[4:5], v[4:5], v[108:109]
	v_fmac_f64_e32 v[46:47], v[186:187], v[122:123]
	v_add_f64 v[6:7], v[10:11], v[6:7]
	v_fma_f64 v[2:3], v[2:3], v[110:111], -v[4:5]
	v_mul_f64 v[4:5], v[42:43], v[124:125]
	v_add_f64 v[44:45], v[44:45], v[46:47]
	v_mul_f64 v[46:47], v[188:189], v[132:133]
	v_add_f64 v[2:3], v[6:7], v[2:3]
	v_fma_f64 v[4:5], v[40:41], v[126:127], -v[4:5]
	v_fmac_f64_e32 v[46:47], v[190:191], v[134:135]
	v_add_f64 v[2:3], v[2:3], v[4:5]
	v_mul_f64 v[4:5], v[186:187], v[120:121]
	v_add_f64 v[44:45], v[44:45], v[46:47]
	v_mul_f64 v[46:47], v[192:193], v[128:129]
	v_fma_f64 v[4:5], v[184:185], v[122:123], -v[4:5]
	v_fmac_f64_e32 v[46:47], v[194:195], v[130:131]
	v_add_f64 v[2:3], v[2:3], v[4:5]
	v_mul_f64 v[4:5], v[190:191], v[132:133]
	v_add_f64 v[44:45], v[44:45], v[46:47]
	s_waitcnt vmcnt(58)
	v_mul_f64 v[46:47], v[196:197], v[140:141]
	v_fma_f64 v[4:5], v[188:189], v[134:135], -v[4:5]
	s_waitcnt vmcnt(56)
	v_fmac_f64_e32 v[46:47], v[198:199], v[142:143]
	v_add_f64 v[2:3], v[2:3], v[4:5]
	v_mul_f64 v[4:5], v[194:195], v[128:129]
	v_add_f64 v[44:45], v[44:45], v[46:47]
	v_mul_f64 v[46:47], v[200:201], v[136:137]
	v_fma_f64 v[4:5], v[192:193], v[130:131], -v[4:5]
	v_fmac_f64_e32 v[46:47], v[202:203], v[138:139]
	v_add_f64 v[2:3], v[2:3], v[4:5]
	v_mul_f64 v[4:5], v[198:199], v[140:141]
	v_add_f64 v[44:45], v[44:45], v[46:47]
	s_waitcnt vmcnt(50)
	v_mul_f64 v[46:47], v[204:205], v[148:149]
	v_fma_f64 v[4:5], v[196:197], v[142:143], -v[4:5]
	s_waitcnt vmcnt(48)
	;; [unrolled: 14-line block ×6, first 2 shown]
	v_fmac_f64_e32 v[46:47], v[244:245], v[60:61]
	v_add_f64 v[2:3], v[2:3], v[4:5]
	v_mul_f64 v[4:5], v[240:241], v[170:171]
	v_add_f64 v[44:45], v[44:45], v[46:47]
	v_mul_f64 v[46:47], v[246:247], v[180:181]
	v_fma_f64 v[4:5], v[238:239], v[172:173], -v[4:5]
	v_fmac_f64_e32 v[46:47], v[248:249], v[56:57]
	v_add_f64 v[2:3], v[2:3], v[4:5]
	v_mul_f64 v[4:5], v[244:245], v[58:59]
	v_add_f64 v[48:49], v[44:45], v[46:47]
	ds_read_b128 v[44:47], v220 offset:880
	s_waitcnt vmcnt(10)
	v_mul_f64 v[50:51], v[250:251], v[216:217]
	v_fma_f64 v[4:5], v[242:243], v[60:61], -v[4:5]
	s_waitcnt vmcnt(8)
	v_fmac_f64_e32 v[50:51], v[252:253], v[254:255]
	v_add_f64 v[2:3], v[2:3], v[4:5]
	v_mul_f64 v[4:5], v[248:249], v[180:181]
	v_add_f64 v[168:169], v[48:49], v[50:51]
	ds_read_b128 v[48:51], v220 offset:896
	v_fma_f64 v[4:5], v[246:247], v[56:57], -v[4:5]
	v_add_f64 v[2:3], v[2:3], v[4:5]
	v_mul_f64 v[4:5], v[252:253], v[216:217]
	v_fma_f64 v[4:5], v[250:251], v[254:255], -v[4:5]
	v_add_f64 v[2:3], v[2:3], v[4:5]
	s_waitcnt lgkmcnt(1)
	v_mul_f64 v[4:5], v[46:47], v[62:63]
	v_mul_f64 v[174:175], v[44:45], v[62:63]
	v_fma_f64 v[4:5], v[44:45], v[182:183], -v[4:5]
	v_fmac_f64_e32 v[174:175], v[46:47], v[182:183]
	v_add_f64 v[2:3], v[2:3], v[4:5]
	s_waitcnt vmcnt(2) lgkmcnt(0)
	v_mul_f64 v[4:5], v[50:51], v[68:69]
	v_add_f64 v[168:169], v[168:169], v[174:175]
	v_mul_f64 v[174:175], v[48:49], v[68:69]
	s_waitcnt vmcnt(0)
	v_fma_f64 v[4:5], v[48:49], v[70:71], -v[4:5]
	v_fmac_f64_e32 v[174:175], v[50:51], v[70:71]
	v_add_f64 v[2:3], v[2:3], v[4:5]
	v_mul_f64 v[4:5], v[54:55], v[64:65]
	v_add_f64 v[168:169], v[168:169], v[174:175]
	v_mul_f64 v[174:175], v[52:53], v[64:65]
	v_fma_f64 v[4:5], v[52:53], v[66:67], -v[4:5]
	v_fmac_f64_e32 v[174:175], v[54:55], v[66:67]
	v_add_f64 v[2:3], v[2:3], v[4:5]
	v_add_f64 v[168:169], v[168:169], v[174:175]
	v_add_f64 v[2:3], v[104:105], -v[2:3]
	v_add_f64 v[4:5], v[102:103], -v[168:169]
	buffer_store_dword v3, off, s[0:3], 0 offset:20
	buffer_store_dword v2, off, s[0:3], 0 offset:16
	;; [unrolled: 1-line block ×4, first 2 shown]
	s_and_saveexec_b64 s[6:7], vcc
	s_cbranch_execz .LBB92_187
; %bb.186:
	buffer_load_dword v2, off, s[0:3], 0
	buffer_load_dword v3, off, s[0:3], 0 offset:4
	buffer_load_dword v4, off, s[0:3], 0 offset:8
	;; [unrolled: 1-line block ×3, first 2 shown]
	s_nop 0
	buffer_store_dword v220, off, s[0:3], 0
	buffer_store_dword v220, off, s[0:3], 0 offset:4
	buffer_store_dword v220, off, s[0:3], 0 offset:8
	buffer_store_dword v220, off, s[0:3], 0 offset:12
	s_waitcnt vmcnt(4)
	ds_write_b128 v1, v[2:5]
.LBB92_187:
	s_or_b64 exec, exec, s[6:7]
	s_waitcnt lgkmcnt(0)
	; wave barrier
	s_waitcnt lgkmcnt(0)
	buffer_load_dword v34, off, s[0:3], 0 offset:16
	buffer_load_dword v35, off, s[0:3], 0 offset:20
	;; [unrolled: 1-line block ×28, first 2 shown]
	buffer_load_dword v104, off, s[0:3], 0
	buffer_load_dword v105, off, s[0:3], 0 offset:4
	buffer_load_dword v102, off, s[0:3], 0 offset:8
	buffer_load_dword v103, off, s[0:3], 0 offset:12
	ds_read_b128 v[30:33], v220 offset:480
	ds_read_b128 v[26:29], v220 offset:496
	;; [unrolled: 1-line block ×8, first 2 shown]
	buffer_load_dword v125, off, s[0:3], 0 offset:156
	buffer_load_dword v124, off, s[0:3], 0 offset:152
	;; [unrolled: 1-line block ×80, first 2 shown]
	s_and_b64 vcc, exec, s[18:19]
	s_waitcnt vmcnt(62) lgkmcnt(7)
	v_mul_f64 v[40:41], v[30:31], v[96:97]
	v_fmac_f64_e32 v[40:41], v[32:33], v[34:35]
	v_add_f64 v[40:41], v[40:41], 0
	v_mul_f64 v[32:33], v[32:33], v[96:97]
	s_waitcnt lgkmcnt(6)
	v_mul_f64 v[42:43], v[26:27], v[98:99]
	v_fmac_f64_e32 v[42:43], v[28:29], v[36:37]
	s_waitcnt lgkmcnt(5)
	v_mul_f64 v[44:45], v[22:23], v[100:101]
	v_add_f64 v[40:41], v[40:41], v[42:43]
	s_waitcnt lgkmcnt(4)
	v_mul_f64 v[46:47], v[18:19], v[106:107]
	v_fma_f64 v[30:31], v[30:31], v[34:35], -v[32:33]
	s_waitcnt lgkmcnt(1)
	v_mul_f64 v[180:181], v[2:3], v[108:109]
	v_mul_f64 v[28:29], v[28:29], v[98:99]
	v_add_f64 v[30:31], v[30:31], 0
	v_mul_f64 v[50:51], v[6:7], v[112:113]
	v_fma_f64 v[26:27], v[26:27], v[36:37], -v[28:29]
	v_mul_f64 v[48:49], v[10:11], v[114:115]
	v_add_f64 v[26:27], v[30:31], v[26:27]
	v_fmac_f64_e32 v[48:49], v[12:13], v[116:117]
	v_mul_f64 v[12:13], v[12:13], v[114:115]
	v_fmac_f64_e32 v[44:45], v[24:25], v[122:123]
	v_add_f64 v[40:41], v[40:41], v[44:45]
	v_fmac_f64_e32 v[46:47], v[20:21], v[120:121]
	v_add_f64 v[40:41], v[40:41], v[46:47]
	;; [unrolled: 2-line block ×3, first 2 shown]
	v_add_f64 v[182:183], v[40:41], v[50:51]
	ds_read_b128 v[40:43], v220 offset:608
	buffer_load_dword v73, off, s[0:3], 0 offset:460
	buffer_load_dword v72, off, s[0:3], 0 offset:456
	;; [unrolled: 1-line block ×4, first 2 shown]
	v_fmac_f64_e32 v[180:181], v[4:5], v[110:111]
	s_waitcnt lgkmcnt(1)
	v_mul_f64 v[46:47], v[14:15], v[128:129]
	v_add_f64 v[44:45], v[182:183], v[180:181]
	v_fmac_f64_e32 v[46:47], v[16:17], v[130:131]
	v_add_f64 v[48:49], v[44:45], v[46:47]
	ds_read_b128 v[44:47], v220 offset:624
	v_mul_f64 v[24:25], v[24:25], v[100:101]
	v_fma_f64 v[22:23], v[22:23], v[122:123], -v[24:25]
	v_mul_f64 v[20:21], v[20:21], v[106:107]
	v_add_f64 v[22:23], v[26:27], v[22:23]
	v_fma_f64 v[18:19], v[18:19], v[120:121], -v[20:21]
	s_waitcnt lgkmcnt(1)
	v_mul_f64 v[50:51], v[40:41], v[124:125]
	v_add_f64 v[18:19], v[22:23], v[18:19]
	v_fma_f64 v[10:11], v[10:11], v[116:117], -v[12:13]
	v_mul_f64 v[8:9], v[8:9], v[112:113]
	v_fmac_f64_e32 v[50:51], v[42:43], v[126:127]
	v_add_f64 v[10:11], v[18:19], v[10:11]
	v_fma_f64 v[6:7], v[6:7], v[118:119], -v[8:9]
	v_mul_f64 v[4:5], v[4:5], v[108:109]
	v_add_f64 v[52:53], v[48:49], v[50:51]
	ds_read_b128 v[48:51], v220 offset:640
	s_waitcnt lgkmcnt(1)
	v_mul_f64 v[54:55], v[44:45], v[136:137]
	v_add_f64 v[6:7], v[10:11], v[6:7]
	v_fma_f64 v[2:3], v[2:3], v[110:111], -v[4:5]
	v_mul_f64 v[4:5], v[16:17], v[128:129]
	v_fmac_f64_e32 v[54:55], v[46:47], v[138:139]
	v_add_f64 v[2:3], v[6:7], v[2:3]
	v_fma_f64 v[4:5], v[14:15], v[130:131], -v[4:5]
	v_add_f64 v[56:57], v[52:53], v[54:55]
	ds_read_b128 v[52:55], v220 offset:656
	ds_read_b128 v[180:183], v220 offset:672
	v_add_f64 v[2:3], v[2:3], v[4:5]
	v_mul_f64 v[4:5], v[42:43], v[124:125]
	v_fma_f64 v[4:5], v[40:41], v[126:127], -v[4:5]
	v_add_f64 v[2:3], v[2:3], v[4:5]
	v_mul_f64 v[4:5], v[46:47], v[136:137]
	s_waitcnt lgkmcnt(2)
	v_mul_f64 v[58:59], v[48:49], v[132:133]
	v_fma_f64 v[4:5], v[44:45], v[138:139], -v[4:5]
	v_fmac_f64_e32 v[58:59], v[50:51], v[134:135]
	ds_read_b128 v[192:195], v220 offset:688
	ds_read_b128 v[196:199], v220 offset:704
	v_add_f64 v[2:3], v[2:3], v[4:5]
	v_mul_f64 v[4:5], v[50:51], v[132:133]
	v_add_f64 v[56:57], v[56:57], v[58:59]
	s_waitcnt vmcnt(62) lgkmcnt(3)
	v_mul_f64 v[58:59], v[52:53], v[144:145]
	v_fma_f64 v[4:5], v[48:49], v[134:135], -v[4:5]
	s_waitcnt vmcnt(60)
	v_fmac_f64_e32 v[58:59], v[54:55], v[146:147]
	v_add_f64 v[2:3], v[2:3], v[4:5]
	v_mul_f64 v[4:5], v[54:55], v[144:145]
	v_add_f64 v[56:57], v[56:57], v[58:59]
	s_waitcnt lgkmcnt(2)
	v_mul_f64 v[58:59], v[180:181], v[140:141]
	v_fma_f64 v[4:5], v[52:53], v[146:147], -v[4:5]
	v_fmac_f64_e32 v[58:59], v[182:183], v[142:143]
	ds_read_b128 v[200:203], v220 offset:720
	ds_read_b128 v[204:207], v220 offset:736
	v_add_f64 v[2:3], v[2:3], v[4:5]
	v_mul_f64 v[4:5], v[182:183], v[140:141]
	v_add_f64 v[56:57], v[56:57], v[58:59]
	s_waitcnt vmcnt(54) lgkmcnt(3)
	v_mul_f64 v[58:59], v[192:193], v[152:153]
	v_fma_f64 v[4:5], v[180:181], v[142:143], -v[4:5]
	s_waitcnt vmcnt(52)
	v_fmac_f64_e32 v[58:59], v[194:195], v[154:155]
	v_add_f64 v[2:3], v[2:3], v[4:5]
	v_mul_f64 v[4:5], v[194:195], v[152:153]
	v_add_f64 v[56:57], v[56:57], v[58:59]
	;; [unrolled: 17-line block ×6, first 2 shown]
	s_waitcnt lgkmcnt(2)
	v_mul_f64 v[58:59], v[234:235], v[184:185]
	v_fma_f64 v[4:5], v[230:231], v[190:191], -v[4:5]
	v_fmac_f64_e32 v[58:59], v[236:237], v[186:187]
	v_add_f64 v[2:3], v[2:3], v[4:5]
	v_mul_f64 v[4:5], v[236:237], v[184:185]
	v_add_f64 v[56:57], v[56:57], v[58:59]
	s_waitcnt vmcnt(14) lgkmcnt(1)
	v_mul_f64 v[58:59], v[238:239], v[64:65]
	ds_read_b128 v[246:249], v220 offset:880
	ds_read_b128 v[250:253], v220 offset:896
	v_fma_f64 v[4:5], v[234:235], v[186:187], -v[4:5]
	s_waitcnt vmcnt(12)
	v_fmac_f64_e32 v[58:59], v[240:241], v[66:67]
	v_add_f64 v[2:3], v[2:3], v[4:5]
	v_mul_f64 v[4:5], v[240:241], v[64:65]
	v_add_f64 v[56:57], v[56:57], v[58:59]
	s_waitcnt lgkmcnt(2)
	v_mul_f64 v[58:59], v[242:243], v[60:61]
	v_fma_f64 v[4:5], v[238:239], v[66:67], -v[4:5]
	v_fmac_f64_e32 v[58:59], v[244:245], v[62:63]
	v_add_f64 v[2:3], v[2:3], v[4:5]
	v_mul_f64 v[4:5], v[244:245], v[60:61]
	v_add_f64 v[76:77], v[56:57], v[58:59]
	ds_read_b128 v[56:59], v220 offset:912
	v_fma_f64 v[4:5], v[242:243], v[62:63], -v[4:5]
	v_add_f64 v[2:3], v[2:3], v[4:5]
	s_waitcnt vmcnt(6) lgkmcnt(2)
	v_mul_f64 v[4:5], v[248:249], v[216:217]
	v_mul_f64 v[78:79], v[246:247], v[216:217]
	s_waitcnt vmcnt(4)
	v_fma_f64 v[4:5], v[246:247], v[254:255], -v[4:5]
	v_fmac_f64_e32 v[78:79], v[248:249], v[254:255]
	v_add_f64 v[2:3], v[2:3], v[4:5]
	s_waitcnt lgkmcnt(1)
	v_mul_f64 v[4:5], v[252:253], v[68:69]
	v_add_f64 v[76:77], v[76:77], v[78:79]
	v_mul_f64 v[78:79], v[250:251], v[68:69]
	v_fma_f64 v[4:5], v[250:251], v[70:71], -v[4:5]
	v_fmac_f64_e32 v[78:79], v[252:253], v[70:71]
	v_add_f64 v[2:3], v[2:3], v[4:5]
	s_waitcnt vmcnt(2) lgkmcnt(0)
	v_mul_f64 v[4:5], v[58:59], v[72:73]
	v_add_f64 v[76:77], v[76:77], v[78:79]
	v_mul_f64 v[78:79], v[56:57], v[72:73]
	s_waitcnt vmcnt(0)
	v_fma_f64 v[4:5], v[56:57], v[74:75], -v[4:5]
	v_fmac_f64_e32 v[78:79], v[58:59], v[74:75]
	v_add_f64 v[2:3], v[2:3], v[4:5]
	v_add_f64 v[76:77], v[76:77], v[78:79]
	v_add_f64 v[2:3], v[104:105], -v[2:3]
	v_add_f64 v[4:5], v[102:103], -v[76:77]
	buffer_store_dword v3, off, s[0:3], 0 offset:4
	buffer_store_dword v2, off, s[0:3], 0
	buffer_store_dword v5, off, s[0:3], 0 offset:12
	buffer_store_dword v4, off, s[0:3], 0 offset:8
	s_cbranch_vccz .LBB92_245
; %bb.188:
	v_pk_mov_b32 v[2:3], s[16:17], s[16:17] op_sel:[0,1]
	flat_load_dword v1, v[2:3] offset:108
	s_load_dwordx2 s[4:5], s[4:5], 0x4
	v_bfe_u32 v3, v0, 10, 10
	v_bfe_u32 v0, v0, 20, 10
	s_waitcnt lgkmcnt(0)
	s_lshr_b32 s4, s4, 16
	s_mul_i32 s4, s4, s5
	v_mul_u32_u24_e32 v2, s4, v219
	v_mul_u32_u24_e32 v3, s5, v3
	v_add3_u32 v0, v2, v3, v0
	v_mov_b32_e32 v2, 0x3a8
	v_lshl_add_u32 v0, v0, 4, v2
	s_waitcnt vmcnt(0)
	v_add_u32_e32 v2, -1, v1
	v_cmp_ne_u32_e32 vcc, 27, v2
	s_and_saveexec_b64 s[4:5], vcc
	s_cbranch_execz .LBB92_190
; %bb.189:
	v_mov_b32_e32 v1, 0
	v_accvgpr_read_b32 v10, a41
	v_lshl_add_u32 v1, v2, 4, v1
	buffer_load_dword v2, v10, s[0:3], 0 offen
	buffer_load_dword v3, v10, s[0:3], 0 offen offset:4
	buffer_load_dword v4, v10, s[0:3], 0 offen offset:8
	buffer_load_dword v5, v10, s[0:3], 0 offen offset:12
	buffer_load_dword v6, v1, s[0:3], 0 offen
	buffer_load_dword v7, v1, s[0:3], 0 offen offset:4
	buffer_load_dword v8, v1, s[0:3], 0 offen offset:8
	buffer_load_dword v9, v1, s[0:3], 0 offen offset:12
	s_waitcnt vmcnt(4)
	ds_write2_b64 v0, v[2:3], v[4:5] offset1:1
	s_waitcnt vmcnt(3)
	buffer_store_dword v6, v10, s[0:3], 0 offen
	s_waitcnt vmcnt(3)
	buffer_store_dword v7, v10, s[0:3], 0 offen offset:4
	s_waitcnt vmcnt(3)
	buffer_store_dword v8, v10, s[0:3], 0 offen offset:8
	s_waitcnt vmcnt(3)
	buffer_store_dword v9, v10, s[0:3], 0 offen offset:12
	buffer_store_dword v5, v1, s[0:3], 0 offen offset:12
	buffer_store_dword v4, v1, s[0:3], 0 offen offset:8
	buffer_store_dword v3, v1, s[0:3], 0 offen offset:4
	buffer_store_dword v2, v1, s[0:3], 0 offen
.LBB92_190:
	s_or_b64 exec, exec, s[4:5]
	v_pk_mov_b32 v[2:3], s[16:17], s[16:17] op_sel:[0,1]
	flat_load_dword v1, v[2:3] offset:104
	s_waitcnt vmcnt(0) lgkmcnt(0)
	v_add_u32_e32 v2, -1, v1
	v_cmp_ne_u32_e32 vcc, 26, v2
	s_and_saveexec_b64 s[4:5], vcc
	s_cbranch_execz .LBB92_192
; %bb.191:
	v_mov_b32_e32 v1, 0
	v_accvgpr_read_b32 v10, a42
	v_lshl_add_u32 v1, v2, 4, v1
	buffer_load_dword v2, v10, s[0:3], 0 offen
	buffer_load_dword v3, v10, s[0:3], 0 offen offset:4
	buffer_load_dword v4, v10, s[0:3], 0 offen offset:8
	buffer_load_dword v5, v10, s[0:3], 0 offen offset:12
	buffer_load_dword v6, v1, s[0:3], 0 offen
	buffer_load_dword v7, v1, s[0:3], 0 offen offset:4
	buffer_load_dword v8, v1, s[0:3], 0 offen offset:8
	buffer_load_dword v9, v1, s[0:3], 0 offen offset:12
	s_waitcnt vmcnt(4)
	ds_write2_b64 v0, v[2:3], v[4:5] offset1:1
	s_waitcnt vmcnt(3)
	buffer_store_dword v6, v10, s[0:3], 0 offen
	s_waitcnt vmcnt(3)
	buffer_store_dword v7, v10, s[0:3], 0 offen offset:4
	s_waitcnt vmcnt(3)
	buffer_store_dword v8, v10, s[0:3], 0 offen offset:8
	s_waitcnt vmcnt(3)
	buffer_store_dword v9, v10, s[0:3], 0 offen offset:12
	buffer_store_dword v5, v1, s[0:3], 0 offen offset:12
	buffer_store_dword v4, v1, s[0:3], 0 offen offset:8
	buffer_store_dword v3, v1, s[0:3], 0 offen offset:4
	buffer_store_dword v2, v1, s[0:3], 0 offen
.LBB92_192:
	s_or_b64 exec, exec, s[4:5]
	v_pk_mov_b32 v[2:3], s[16:17], s[16:17] op_sel:[0,1]
	flat_load_dword v1, v[2:3] offset:100
	s_waitcnt vmcnt(0) lgkmcnt(0)
	;; [unrolled: 35-line block ×25, first 2 shown]
	v_add_u32_e32 v2, -1, v1
	v_cmp_ne_u32_e32 vcc, 2, v2
	s_and_saveexec_b64 s[4:5], vcc
	s_cbranch_execz .LBB92_240
; %bb.239:
	v_mov_b32_e32 v1, 0
	v_lshl_add_u32 v1, v2, 4, v1
	buffer_load_dword v2, v218, s[0:3], 0 offen
	buffer_load_dword v3, v218, s[0:3], 0 offen offset:4
	buffer_load_dword v4, v218, s[0:3], 0 offen offset:8
	;; [unrolled: 1-line block ×3, first 2 shown]
	buffer_load_dword v6, v1, s[0:3], 0 offen
	buffer_load_dword v7, v1, s[0:3], 0 offen offset:4
	buffer_load_dword v8, v1, s[0:3], 0 offen offset:8
	;; [unrolled: 1-line block ×3, first 2 shown]
	s_waitcnt vmcnt(4)
	ds_write2_b64 v0, v[2:3], v[4:5] offset1:1
	s_waitcnt vmcnt(3)
	buffer_store_dword v6, v218, s[0:3], 0 offen
	s_waitcnt vmcnt(3)
	buffer_store_dword v7, v218, s[0:3], 0 offen offset:4
	s_waitcnt vmcnt(3)
	buffer_store_dword v8, v218, s[0:3], 0 offen offset:8
	;; [unrolled: 2-line block ×3, first 2 shown]
	buffer_store_dword v5, v1, s[0:3], 0 offen offset:12
	buffer_store_dword v4, v1, s[0:3], 0 offen offset:8
	;; [unrolled: 1-line block ×3, first 2 shown]
	buffer_store_dword v2, v1, s[0:3], 0 offen
.LBB92_240:
	s_or_b64 exec, exec, s[4:5]
	v_pk_mov_b32 v[2:3], s[16:17], s[16:17] op_sel:[0,1]
	flat_load_dword v1, v[2:3] offset:4
	s_waitcnt vmcnt(0) lgkmcnt(0)
	v_add_u32_e32 v2, -1, v1
	v_cmp_ne_u32_e32 vcc, 1, v2
	s_and_saveexec_b64 s[4:5], vcc
	s_cbranch_execz .LBB92_242
; %bb.241:
	v_mov_b32_e32 v1, 0
	v_accvgpr_read_b32 v10, a65
	v_lshl_add_u32 v1, v2, 4, v1
	buffer_load_dword v2, v10, s[0:3], 0 offen
	buffer_load_dword v3, v10, s[0:3], 0 offen offset:4
	buffer_load_dword v4, v10, s[0:3], 0 offen offset:8
	;; [unrolled: 1-line block ×3, first 2 shown]
	buffer_load_dword v6, v1, s[0:3], 0 offen
	buffer_load_dword v7, v1, s[0:3], 0 offen offset:4
	buffer_load_dword v8, v1, s[0:3], 0 offen offset:8
	;; [unrolled: 1-line block ×3, first 2 shown]
	s_waitcnt vmcnt(4)
	ds_write2_b64 v0, v[2:3], v[4:5] offset1:1
	s_waitcnt vmcnt(3)
	buffer_store_dword v6, v10, s[0:3], 0 offen
	s_waitcnt vmcnt(3)
	buffer_store_dword v7, v10, s[0:3], 0 offen offset:4
	s_waitcnt vmcnt(3)
	buffer_store_dword v8, v10, s[0:3], 0 offen offset:8
	;; [unrolled: 2-line block ×3, first 2 shown]
	buffer_store_dword v5, v1, s[0:3], 0 offen offset:12
	buffer_store_dword v4, v1, s[0:3], 0 offen offset:8
	;; [unrolled: 1-line block ×3, first 2 shown]
	buffer_store_dword v2, v1, s[0:3], 0 offen
.LBB92_242:
	s_or_b64 exec, exec, s[4:5]
	v_pk_mov_b32 v[2:3], s[16:17], s[16:17] op_sel:[0,1]
	flat_load_dword v1, v[2:3]
	s_waitcnt vmcnt(0) lgkmcnt(0)
	v_add_u32_e32 v2, -1, v1
	v_cmp_ne_u32_e32 vcc, 0, v2
	s_and_saveexec_b64 s[4:5], vcc
	s_cbranch_execz .LBB92_244
; %bb.243:
	v_mov_b32_e32 v1, 0
	v_lshl_add_u32 v1, v2, 4, v1
	buffer_load_dword v2, off, s[0:3], 0
	buffer_load_dword v3, off, s[0:3], 0 offset:4
	buffer_load_dword v4, off, s[0:3], 0 offset:8
	;; [unrolled: 1-line block ×3, first 2 shown]
	buffer_load_dword v6, v1, s[0:3], 0 offen
	buffer_load_dword v7, v1, s[0:3], 0 offen offset:4
	buffer_load_dword v8, v1, s[0:3], 0 offen offset:8
	;; [unrolled: 1-line block ×3, first 2 shown]
	s_waitcnt vmcnt(4)
	ds_write2_b64 v0, v[2:3], v[4:5] offset1:1
	s_waitcnt vmcnt(3)
	buffer_store_dword v6, off, s[0:3], 0
	s_waitcnt vmcnt(3)
	buffer_store_dword v7, off, s[0:3], 0 offset:4
	s_waitcnt vmcnt(3)
	buffer_store_dword v8, off, s[0:3], 0 offset:8
	s_waitcnt vmcnt(3)
	buffer_store_dword v9, off, s[0:3], 0 offset:12
	buffer_store_dword v5, v1, s[0:3], 0 offen offset:12
	buffer_store_dword v4, v1, s[0:3], 0 offen offset:8
	;; [unrolled: 1-line block ×3, first 2 shown]
	buffer_store_dword v2, v1, s[0:3], 0 offen
.LBB92_244:
	s_or_b64 exec, exec, s[4:5]
.LBB92_245:
	buffer_load_dword v2, off, s[0:3], 0
	buffer_load_dword v3, off, s[0:3], 0 offset:4
	buffer_load_dword v4, off, s[0:3], 0 offset:8
	;; [unrolled: 1-line block ×3, first 2 shown]
	v_accvgpr_read_b32 v0, a65
	buffer_load_dword v6, v0, s[0:3], 0 offen
	buffer_load_dword v7, v0, s[0:3], 0 offen offset:4
	buffer_load_dword v8, v0, s[0:3], 0 offen offset:8
	;; [unrolled: 1-line block ×6, first 2 shown]
	v_accvgpr_read_b32 v1, a66
	buffer_load_dword v14, v1, s[0:3], 0 offen
	buffer_load_dword v15, v1, s[0:3], 0 offen offset:4
	buffer_load_dword v16, v1, s[0:3], 0 offen offset:8
	buffer_load_dword v10, v218, s[0:3], 0 offen
	buffer_load_dword v17, v1, s[0:3], 0 offen offset:12
	v_accvgpr_read_b32 v34, a62
	buffer_load_dword v19, v34, s[0:3], 0 offen offset:4
	buffer_load_dword v20, v34, s[0:3], 0 offen offset:8
	;; [unrolled: 1-line block ×3, first 2 shown]
                                        ; kill: killed $vgpr1
	v_accvgpr_read_b32 v1, a61
	buffer_load_dword v22, v1, s[0:3], 0 offen
	buffer_load_dword v23, v1, s[0:3], 0 offen offset:4
	buffer_load_dword v24, v1, s[0:3], 0 offen offset:8
	buffer_load_dword v18, v34, s[0:3], 0 offen
	buffer_load_dword v25, v1, s[0:3], 0 offen offset:12
	v_accvgpr_read_b32 v37, a63
	buffer_load_dword v27, v37, s[0:3], 0 offen offset:4
	buffer_load_dword v28, v37, s[0:3], 0 offen offset:8
	;; [unrolled: 1-line block ×3, first 2 shown]
	v_accvgpr_read_b32 v40, a64
	buffer_load_dword v30, v40, s[0:3], 0 offen
	buffer_load_dword v31, v40, s[0:3], 0 offen offset:4
	buffer_load_dword v32, v40, s[0:3], 0 offen offset:8
	buffer_load_dword v26, v37, s[0:3], 0 offen
	buffer_load_dword v33, v40, s[0:3], 0 offen offset:12
                                        ; kill: killed $vgpr0
	v_accvgpr_read_b32 v0, a57
	buffer_load_dword v35, v0, s[0:3], 0 offen offset:4
	buffer_load_dword v36, v0, s[0:3], 0 offen offset:8
                                        ; kill: killed $vgpr40
                                        ; kill: killed $vgpr34
                                        ; kill: killed $vgpr37
                                        ; kill: killed $vgpr1
	buffer_load_dword v37, v0, s[0:3], 0 offen offset:12
	v_accvgpr_read_b32 v54, a59
	buffer_load_dword v40, v54, s[0:3], 0 offen
	buffer_load_dword v41, v54, s[0:3], 0 offen offset:4
	buffer_load_dword v42, v54, s[0:3], 0 offen offset:8
	buffer_load_dword v34, v0, s[0:3], 0 offen
	buffer_load_dword v43, v54, s[0:3], 0 offen offset:12
	v_accvgpr_read_b32 v52, a58
	buffer_load_dword v45, v52, s[0:3], 0 offen offset:4
	buffer_load_dword v46, v52, s[0:3], 0 offen offset:8
	;; [unrolled: 1-line block ×3, first 2 shown]
	v_accvgpr_read_b32 v55, a60
	buffer_load_dword v48, v55, s[0:3], 0 offen
	buffer_load_dword v49, v55, s[0:3], 0 offen offset:4
	buffer_load_dword v50, v55, s[0:3], 0 offen offset:8
	buffer_load_dword v44, v52, s[0:3], 0 offen
	buffer_load_dword v51, v55, s[0:3], 0 offen offset:12
	v_accvgpr_read_b32 v1, a56
	buffer_load_dword v53, v1, s[0:3], 0 offen offset:4
                                        ; kill: killed $vgpr54
                                        ; kill: killed $vgpr55
                                        ; kill: killed $vgpr0
                                        ; kill: killed $vgpr52
	buffer_load_dword v54, v1, s[0:3], 0 offen offset:8
	buffer_load_dword v55, v1, s[0:3], 0 offen offset:12
	v_accvgpr_read_b32 v0, a55
	buffer_load_dword v56, v0, s[0:3], 0 offen
	buffer_load_dword v57, v0, s[0:3], 0 offen offset:4
	buffer_load_dword v58, v0, s[0:3], 0 offen offset:8
	buffer_load_dword v52, v1, s[0:3], 0 offen
	buffer_load_dword v59, v0, s[0:3], 0 offen offset:12
	v_accvgpr_read_b32 v1, a54
	buffer_load_dword v97, v1, s[0:3], 0 offen offset:4
	buffer_load_dword v98, v1, s[0:3], 0 offen offset:8
	;; [unrolled: 1-line block ×3, first 2 shown]
	v_accvgpr_read_b32 v0, a53
	buffer_load_dword v100, v0, s[0:3], 0 offen
	buffer_load_dword v101, v0, s[0:3], 0 offen offset:4
	buffer_load_dword v102, v0, s[0:3], 0 offen offset:8
	buffer_load_dword v96, v1, s[0:3], 0 offen
	buffer_load_dword v103, v0, s[0:3], 0 offen offset:12
	v_accvgpr_read_b32 v1, a52
	buffer_load_dword v105, v1, s[0:3], 0 offen offset:4
	buffer_load_dword v106, v1, s[0:3], 0 offen offset:8
	;; [unrolled: 1-line block ×3, first 2 shown]
	v_accvgpr_read_b32 v0, a51
	buffer_load_dword v108, v0, s[0:3], 0 offen
	buffer_load_dword v109, v0, s[0:3], 0 offen offset:4
	buffer_load_dword v110, v0, s[0:3], 0 offen offset:8
	buffer_load_dword v104, v1, s[0:3], 0 offen
	buffer_load_dword v111, v0, s[0:3], 0 offen offset:12
	v_accvgpr_read_b32 v1, a50
	v_accvgpr_read_b32 v0, a49
	buffer_load_dword v113, v1, s[0:3], 0 offen offset:4
	buffer_load_dword v114, v1, s[0:3], 0 offen offset:8
	buffer_load_dword v115, v1, s[0:3], 0 offen offset:12
	buffer_load_dword v116, v0, s[0:3], 0 offen
	buffer_load_dword v117, v0, s[0:3], 0 offen offset:4
	buffer_load_dword v118, v0, s[0:3], 0 offen offset:8
	buffer_load_dword v112, v1, s[0:3], 0 offen
	buffer_load_dword v119, v0, s[0:3], 0 offen offset:12
	v_accvgpr_read_b32 v1, a48
	v_accvgpr_read_b32 v0, a47
	buffer_load_dword v121, v1, s[0:3], 0 offen offset:4
	buffer_load_dword v122, v1, s[0:3], 0 offen offset:8
	buffer_load_dword v123, v1, s[0:3], 0 offen offset:12
	;; [unrolled: 10-line block ×5, first 2 shown]
	buffer_load_dword v148, v0, s[0:3], 0 offen
	buffer_load_dword v149, v0, s[0:3], 0 offen offset:4
	buffer_load_dword v150, v0, s[0:3], 0 offen offset:8
	buffer_load_dword v144, v1, s[0:3], 0 offen
	buffer_load_dword v151, v0, s[0:3], 0 offen offset:12
	v_accvgpr_read_b32 v0, a40
	buffer_load_dword v152, v0, s[0:3], 0 offen
	buffer_load_dword v153, v0, s[0:3], 0 offen offset:4
	buffer_load_dword v154, v0, s[0:3], 0 offen offset:8
	buffer_load_dword v155, v0, s[0:3], 0 offen offset:12
	v_accvgpr_read_b32 v0, a0
	v_accvgpr_read_b32 v1, a1
                                        ; kill: killed $vgpr218
	s_waitcnt vmcnt(62)
	global_store_dwordx4 v[38:39], v[2:5], off
	global_store_dwordx4 v[0:1], v[6:9], off
	v_accvgpr_read_b32 v0, a2
	v_accvgpr_read_b32 v1, a3
	global_store_dwordx4 v[0:1], v[10:13], off
	v_accvgpr_read_b32 v0, a4
	v_accvgpr_read_b32 v1, a5
	;; [unrolled: 3-line block ×11, first 2 shown]
	s_waitcnt vmcnt(62)
	global_store_dwordx4 v[0:1], v[52:55], off
	v_accvgpr_read_b32 v0, a24
	v_accvgpr_read_b32 v1, a25
	global_store_dwordx4 v[0:1], v[56:59], off
	v_accvgpr_read_b32 v0, a26
	v_accvgpr_read_b32 v1, a27
	;; [unrolled: 3-line block ×4, first 2 shown]
	s_waitcnt vmcnt(61)
	global_store_dwordx4 v[0:1], v[104:107], off
	v_accvgpr_read_b32 v0, a32
	v_accvgpr_read_b32 v1, a33
	s_waitcnt vmcnt(61)
	global_store_dwordx4 v[0:1], v[108:111], off
	v_accvgpr_read_b32 v0, a34
	v_accvgpr_read_b32 v1, a35
	;; [unrolled: 4-line block ×4, first 2 shown]
	s_waitcnt vmcnt(49)
	global_store_dwordx4 v[0:1], v[120:123], off
	s_waitcnt vmcnt(49)
	global_store_dwordx4 v[80:81], v[124:127], off
	;; [unrolled: 2-line block ×9, first 2 shown]
	s_endpgm
	.section	.rodata,"a",@progbits
	.p2align	6, 0x0
	.amdhsa_kernel _ZN9rocsolver6v33100L18getri_kernel_smallILi29E19rocblas_complex_numIdEPKPS3_EEvT1_iilPiilS8_bb
		.amdhsa_group_segment_fixed_size 1960
		.amdhsa_private_segment_fixed_size 480
		.amdhsa_kernarg_size 60
		.amdhsa_user_sgpr_count 10
		.amdhsa_user_sgpr_private_segment_buffer 1
		.amdhsa_user_sgpr_dispatch_ptr 1
		.amdhsa_user_sgpr_queue_ptr 0
		.amdhsa_user_sgpr_kernarg_segment_ptr 1
		.amdhsa_user_sgpr_dispatch_id 0
		.amdhsa_user_sgpr_flat_scratch_init 1
		.amdhsa_user_sgpr_kernarg_preload_length 0
		.amdhsa_user_sgpr_kernarg_preload_offset 0
		.amdhsa_user_sgpr_private_segment_size 0
		.amdhsa_uses_dynamic_stack 0
		.amdhsa_system_sgpr_private_segment_wavefront_offset 1
		.amdhsa_system_sgpr_workgroup_id_x 1
		.amdhsa_system_sgpr_workgroup_id_y 0
		.amdhsa_system_sgpr_workgroup_id_z 0
		.amdhsa_system_sgpr_workgroup_info 0
		.amdhsa_system_vgpr_workitem_id 2
		.amdhsa_next_free_vgpr 323
		.amdhsa_next_free_sgpr 24
		.amdhsa_accum_offset 256
		.amdhsa_reserve_vcc 1
		.amdhsa_reserve_flat_scratch 1
		.amdhsa_float_round_mode_32 0
		.amdhsa_float_round_mode_16_64 0
		.amdhsa_float_denorm_mode_32 3
		.amdhsa_float_denorm_mode_16_64 3
		.amdhsa_dx10_clamp 1
		.amdhsa_ieee_mode 1
		.amdhsa_fp16_overflow 0
		.amdhsa_tg_split 0
		.amdhsa_exception_fp_ieee_invalid_op 0
		.amdhsa_exception_fp_denorm_src 0
		.amdhsa_exception_fp_ieee_div_zero 0
		.amdhsa_exception_fp_ieee_overflow 0
		.amdhsa_exception_fp_ieee_underflow 0
		.amdhsa_exception_fp_ieee_inexact 0
		.amdhsa_exception_int_div_zero 0
	.end_amdhsa_kernel
	.section	.text._ZN9rocsolver6v33100L18getri_kernel_smallILi29E19rocblas_complex_numIdEPKPS3_EEvT1_iilPiilS8_bb,"axG",@progbits,_ZN9rocsolver6v33100L18getri_kernel_smallILi29E19rocblas_complex_numIdEPKPS3_EEvT1_iilPiilS8_bb,comdat
.Lfunc_end92:
	.size	_ZN9rocsolver6v33100L18getri_kernel_smallILi29E19rocblas_complex_numIdEPKPS3_EEvT1_iilPiilS8_bb, .Lfunc_end92-_ZN9rocsolver6v33100L18getri_kernel_smallILi29E19rocblas_complex_numIdEPKPS3_EEvT1_iilPiilS8_bb
                                        ; -- End function
	.section	.AMDGPU.csdata,"",@progbits
; Kernel info:
; codeLenInByte = 62584
; NumSgprs: 30
; NumVgprs: 256
; NumAgprs: 67
; TotalNumVgprs: 323
; ScratchSize: 480
; MemoryBound: 0
; FloatMode: 240
; IeeeMode: 1
; LDSByteSize: 1960 bytes/workgroup (compile time only)
; SGPRBlocks: 3
; VGPRBlocks: 40
; NumSGPRsForWavesPerEU: 30
; NumVGPRsForWavesPerEU: 323
; AccumOffset: 256
; Occupancy: 1
; WaveLimiterHint : 1
; COMPUTE_PGM_RSRC2:SCRATCH_EN: 1
; COMPUTE_PGM_RSRC2:USER_SGPR: 10
; COMPUTE_PGM_RSRC2:TRAP_HANDLER: 0
; COMPUTE_PGM_RSRC2:TGID_X_EN: 1
; COMPUTE_PGM_RSRC2:TGID_Y_EN: 0
; COMPUTE_PGM_RSRC2:TGID_Z_EN: 0
; COMPUTE_PGM_RSRC2:TIDIG_COMP_CNT: 2
; COMPUTE_PGM_RSRC3_GFX90A:ACCUM_OFFSET: 63
; COMPUTE_PGM_RSRC3_GFX90A:TG_SPLIT: 0
	.section	.text._ZN9rocsolver6v33100L18getri_kernel_smallILi30E19rocblas_complex_numIdEPKPS3_EEvT1_iilPiilS8_bb,"axG",@progbits,_ZN9rocsolver6v33100L18getri_kernel_smallILi30E19rocblas_complex_numIdEPKPS3_EEvT1_iilPiilS8_bb,comdat
	.globl	_ZN9rocsolver6v33100L18getri_kernel_smallILi30E19rocblas_complex_numIdEPKPS3_EEvT1_iilPiilS8_bb ; -- Begin function _ZN9rocsolver6v33100L18getri_kernel_smallILi30E19rocblas_complex_numIdEPKPS3_EEvT1_iilPiilS8_bb
	.p2align	8
	.type	_ZN9rocsolver6v33100L18getri_kernel_smallILi30E19rocblas_complex_numIdEPKPS3_EEvT1_iilPiilS8_bb,@function
_ZN9rocsolver6v33100L18getri_kernel_smallILi30E19rocblas_complex_numIdEPKPS3_EEvT1_iilPiilS8_bb: ; @_ZN9rocsolver6v33100L18getri_kernel_smallILi30E19rocblas_complex_numIdEPKPS3_EEvT1_iilPiilS8_bb
; %bb.0:
	s_add_u32 flat_scratch_lo, s8, s11
	s_addc_u32 flat_scratch_hi, s9, 0
	s_add_u32 s0, s0, s11
	v_and_b32_e32 v230, 0x3ff, v0
	s_addc_u32 s1, s1, 0
	v_cmp_gt_u32_e32 vcc, 30, v230
	s_and_saveexec_b64 s[8:9], vcc
	s_cbranch_execz .LBB93_134
; %bb.1:
	s_load_dword s20, s[6:7], 0x38
	s_load_dwordx2 s[8:9], s[6:7], 0x0
	s_load_dwordx4 s[12:15], s[6:7], 0x28
	s_waitcnt lgkmcnt(0)
	s_bitcmp1_b32 s20, 8
	s_cselect_b64 s[18:19], -1, 0
	s_ashr_i32 s11, s10, 31
	s_lshl_b64 s[16:17], s[10:11], 3
	s_add_u32 s8, s8, s16
	s_addc_u32 s9, s9, s17
	s_load_dwordx2 s[8:9], s[8:9], 0x0
	s_bfe_u32 s16, s20, 0x10008
	s_cmp_eq_u32 s16, 0
                                        ; implicit-def: $sgpr16_sgpr17
	s_cbranch_scc1 .LBB93_3
; %bb.2:
	s_load_dword s16, s[6:7], 0x20
	s_load_dwordx2 s[22:23], s[6:7], 0x18
	s_mul_i32 s13, s10, s13
	s_mul_hi_u32 s17, s10, s12
	s_add_i32 s13, s17, s13
	s_mul_i32 s21, s11, s12
	s_add_i32 s13, s13, s21
	s_mul_i32 s12, s10, s12
	s_waitcnt lgkmcnt(0)
	s_ashr_i32 s17, s16, 31
	s_lshl_b64 s[12:13], s[12:13], 2
	s_add_u32 s21, s22, s12
	s_addc_u32 s22, s23, s13
	s_lshl_b64 s[12:13], s[16:17], 2
	s_add_u32 s16, s21, s12
	s_addc_u32 s17, s22, s13
.LBB93_3:
	s_load_dwordx2 s[6:7], s[6:7], 0x8
	v_lshlrev_b32_e32 v12, 4, v230
	s_waitcnt lgkmcnt(0)
	s_ashr_i32 s13, s6, 31
	s_mov_b32 s12, s6
	s_lshl_b64 s[12:13], s[12:13], 4
	s_add_u32 s8, s8, s12
	s_addc_u32 s9, s9, s13
	s_add_i32 s6, s7, s7
	v_add_u32_e32 v2, s6, v230
	v_ashrrev_i32_e32 v3, 31, v2
	v_add_u32_e32 v4, s7, v2
	v_lshlrev_b64 v[2:3], 4, v[2:3]
	v_mov_b32_e32 v1, s9
	v_add_co_u32_e32 v2, vcc, s8, v2
	v_addc_co_u32_e32 v3, vcc, v1, v3, vcc
	global_load_dwordx4 v[14:17], v12, s[8:9]
	global_load_dwordx4 v[22:25], v[2:3], off
	v_add_co_u32_e32 v40, vcc, s8, v12
	s_mov_b32 s12, s7
	s_ashr_i32 s13, s7, 31
	v_addc_co_u32_e32 v41, vcc, 0, v1, vcc
	s_lshl_b64 s[12:13], s[12:13], 4
	v_mov_b32_e32 v1, s13
	v_add_co_u32_e32 v18, vcc, s12, v40
	v_addc_co_u32_e32 v19, vcc, v41, v1, vcc
	v_accvgpr_write_b32 a2, v18
	v_accvgpr_write_b32 a3, v19
	global_load_dwordx4 v[18:21], v[18:19], off
	v_accvgpr_write_b32 a0, v2
	v_ashrrev_i32_e32 v5, 31, v4
	v_accvgpr_write_b32 a1, v3
	v_lshlrev_b64 v[2:3], 4, v[4:5]
	v_add_u32_e32 v6, s7, v4
	v_mov_b32_e32 v1, s9
	v_add_co_u32_e32 v4, vcc, s8, v2
	v_addc_co_u32_e32 v5, vcc, v1, v3, vcc
	v_ashrrev_i32_e32 v7, 31, v6
	global_load_dwordx4 v[26:29], v[4:5], off
	v_lshlrev_b64 v[2:3], 4, v[6:7]
	v_add_co_u32_e32 v2, vcc, s8, v2
	v_add_u32_e32 v8, s7, v6
	v_addc_co_u32_e32 v3, vcc, v1, v3, vcc
	global_load_dwordx4 v[30:33], v[2:3], off
	v_accvgpr_write_b32 a7, v3
	v_ashrrev_i32_e32 v9, 31, v8
	v_accvgpr_write_b32 a4, v4
	v_accvgpr_write_b32 a6, v2
	v_lshlrev_b64 v[2:3], 4, v[8:9]
	v_accvgpr_write_b32 a5, v5
	v_add_co_u32_e32 v4, vcc, s8, v2
	v_add_u32_e32 v10, s7, v8
	v_addc_co_u32_e32 v5, vcc, v1, v3, vcc
	v_ashrrev_i32_e32 v11, 31, v10
	global_load_dwordx4 v[34:37], v[4:5], off
	v_lshlrev_b64 v[2:3], 4, v[10:11]
	v_add_co_u32_e32 v2, vcc, s8, v2
	v_add_u32_e32 v38, s7, v10
	v_addc_co_u32_e32 v3, vcc, v1, v3, vcc
	global_load_dwordx4 v[58:61], v[2:3], off
	v_accvgpr_write_b32 a11, v3
	v_ashrrev_i32_e32 v39, 31, v38
	v_accvgpr_write_b32 a9, v5
	v_accvgpr_write_b32 a10, v2
	v_lshlrev_b64 v[2:3], 4, v[38:39]
	v_accvgpr_write_b32 a8, v4
	v_add_co_u32_e32 v4, vcc, s8, v2
	v_add_u32_e32 v42, s7, v38
	v_addc_co_u32_e32 v5, vcc, v1, v3, vcc
	v_ashrrev_i32_e32 v43, 31, v42
	global_load_dwordx4 v[62:65], v[4:5], off
	v_lshlrev_b64 v[2:3], 4, v[42:43]
	v_add_co_u32_e32 v2, vcc, s8, v2
	v_addc_co_u32_e32 v3, vcc, v1, v3, vcc
	global_load_dwordx4 v[6:9], v[2:3], off
	v_add_u32_e32 v10, s7, v42
	v_add_u32_e32 v38, s7, v10
	;; [unrolled: 1-line block ×19, first 2 shown]
	v_accvgpr_write_b32 a15, v3
	v_add_u32_e32 v96, s7, v94
	v_accvgpr_write_b32 a14, v2
	v_add_u32_e32 v2, s7, v96
	v_ashrrev_i32_e32 v3, 31, v2
	v_lshlrev_b64 v[2:3], 4, v[2:3]
	v_add_co_u32_e32 v2, vcc, s8, v2
	v_addc_co_u32_e32 v3, vcc, v1, v3, vcc
	v_ashrrev_i32_e32 v11, 31, v10
	v_accvgpr_write_b32 a13, v5
	v_accvgpr_write_b32 a17, v3
	v_lshlrev_b64 v[10:11], 4, v[10:11]
	v_accvgpr_write_b32 a12, v4
	v_accvgpr_write_b32 a16, v2
	global_load_dwordx4 v[2:5], v[2:3], off
	s_waitcnt vmcnt(9)
	buffer_store_dword v17, off, s[0:3], 0 offset:12
	buffer_store_dword v16, off, s[0:3], 0 offset:8
	;; [unrolled: 1-line block ×3, first 2 shown]
	buffer_store_dword v14, off, s[0:3], 0
	s_waitcnt vmcnt(11)
	buffer_store_dword v21, off, s[0:3], 0 offset:28
	buffer_store_dword v20, off, s[0:3], 0 offset:24
	;; [unrolled: 1-line block ×8, first 2 shown]
	s_waitcnt vmcnt(18)
	buffer_store_dword v29, off, s[0:3], 0 offset:60
	buffer_store_dword v28, off, s[0:3], 0 offset:56
	buffer_store_dword v27, off, s[0:3], 0 offset:52
	buffer_store_dword v26, off, s[0:3], 0 offset:48
	s_waitcnt vmcnt(21)
	buffer_store_dword v33, off, s[0:3], 0 offset:76
	buffer_store_dword v32, off, s[0:3], 0 offset:72
	buffer_store_dword v31, off, s[0:3], 0 offset:68
	buffer_store_dword v30, off, s[0:3], 0 offset:64
	;; [unrolled: 5-line block ×5, first 2 shown]
	s_waitcnt vmcnt(33)
	buffer_store_dword v9, off, s[0:3], 0 offset:140
	v_add_co_u32_e32 v14, vcc, s8, v10
	v_ashrrev_i32_e32 v39, 31, v38
	v_addc_co_u32_e32 v15, vcc, v1, v11, vcc
	v_lshlrev_b64 v[10:11], 4, v[38:39]
	v_add_co_u32_e32 v10, vcc, s8, v10
	v_addc_co_u32_e32 v11, vcc, v1, v11, vcc
	v_accvgpr_write_b32 a19, v15
	v_accvgpr_write_b32 a21, v11
	v_ashrrev_i32_e32 v43, 31, v42
	v_accvgpr_write_b32 a18, v14
	global_load_dwordx4 v[14:17], v[14:15], off
	v_accvgpr_write_b32 a20, v10
	global_load_dwordx4 v[18:21], v[10:11], off
	v_lshlrev_b64 v[10:11], 4, v[42:43]
	v_add_co_u32_e32 v22, vcc, s8, v10
	v_ashrrev_i32_e32 v45, 31, v44
	v_addc_co_u32_e32 v23, vcc, v1, v11, vcc
	v_lshlrev_b64 v[10:11], 4, v[44:45]
	v_add_co_u32_e32 v10, vcc, s8, v10
	v_addc_co_u32_e32 v11, vcc, v1, v11, vcc
	v_accvgpr_write_b32 a22, v22
	v_accvgpr_write_b32 a25, v11
	v_ashrrev_i32_e32 v47, 31, v46
	v_accvgpr_write_b32 a23, v23
	global_load_dwordx4 v[22:25], v[22:23], off
	v_accvgpr_write_b32 a24, v10
	global_load_dwordx4 v[26:29], v[10:11], off
	v_lshlrev_b64 v[10:11], 4, v[46:47]
	;; [unrolled: 14-line block ×3, first 2 shown]
	v_add_co_u32_e32 v38, vcc, s8, v10
	v_ashrrev_i32_e32 v53, 31, v52
	v_addc_co_u32_e32 v39, vcc, v1, v11, vcc
	v_lshlrev_b64 v[10:11], 4, v[52:53]
	v_add_co_u32_e32 v10, vcc, s8, v10
	v_addc_co_u32_e32 v11, vcc, v1, v11, vcc
	v_accvgpr_write_b32 a33, v11
	v_ashrrev_i32_e32 v55, 31, v54
	v_accvgpr_write_b32 a30, v38
	global_load_dwordx4 v[98:101], v[38:39], off
	global_load_dwordx4 v[102:105], v[10:11], off
	v_accvgpr_write_b32 a32, v10
	v_lshlrev_b64 v[10:11], 4, v[54:55]
	v_accvgpr_write_b32 a31, v39
	v_add_co_u32_e32 v38, vcc, s8, v10
	v_ashrrev_i32_e32 v57, 31, v56
	v_addc_co_u32_e32 v39, vcc, v1, v11, vcc
	v_lshlrev_b64 v[10:11], 4, v[56:57]
	v_add_co_u32_e32 v10, vcc, s8, v10
	v_addc_co_u32_e32 v11, vcc, v1, v11, vcc
	v_accvgpr_write_b32 a37, v11
	v_ashrrev_i32_e32 v79, 31, v78
	v_accvgpr_write_b32 a34, v38
	global_load_dwordx4 v[106:109], v[38:39], off
	global_load_dwordx4 v[110:113], v[10:11], off
	v_accvgpr_write_b32 a36, v10
	v_lshlrev_b64 v[10:11], 4, v[78:79]
	v_accvgpr_write_b32 a35, v39
	;; [unrolled: 14-line block ×4, first 2 shown]
	v_add_co_u32_e32 v38, vcc, s8, v10
	v_ashrrev_i32_e32 v89, 31, v88
	v_addc_co_u32_e32 v39, vcc, v1, v11, vcc
	v_lshlrev_b64 v[10:11], 4, v[88:89]
	v_add_co_u32_e32 v88, vcc, s8, v10
	v_ashrrev_i32_e32 v91, 31, v90
	v_addc_co_u32_e32 v89, vcc, v1, v11, vcc
	v_lshlrev_b64 v[10:11], 4, v[90:91]
	;; [unrolled: 4-line block ×3, first 2 shown]
	v_add_co_u32_e32 v92, vcc, s8, v10
	global_load_dwordx4 v[130:133], v[38:39], off
	global_load_dwordx4 v[134:137], v[88:89], off
	v_addc_co_u32_e32 v93, vcc, v1, v11, vcc
	global_load_dwordx4 v[138:141], v[90:91], off
	global_load_dwordx4 v[142:145], v[92:93], off
	v_ashrrev_i32_e32 v95, 31, v94
	v_lshlrev_b64 v[10:11], 4, v[94:95]
	v_add_co_u32_e32 v94, vcc, s8, v10
	v_addc_co_u32_e32 v95, vcc, v1, v11, vcc
	v_ashrrev_i32_e32 v97, 31, v96
	global_load_dwordx4 v[146:149], v[94:95], off
	v_lshlrev_b64 v[10:11], 4, v[96:97]
	v_add_co_u32_e32 v96, vcc, s8, v10
	v_addc_co_u32_e32 v97, vcc, v1, v11, vcc
	global_load_dwordx4 v[150:153], v[96:97], off
	s_nop 0
	buffer_store_dword v8, off, s[0:3], 0 offset:136
	buffer_store_dword v7, off, s[0:3], 0 offset:132
	buffer_store_dword v6, off, s[0:3], 0 offset:128
	s_waitcnt vmcnt(22)
	buffer_store_dword v14, off, s[0:3], 0 offset:144
	buffer_store_dword v15, off, s[0:3], 0 offset:148
	buffer_store_dword v16, off, s[0:3], 0 offset:152
	buffer_store_dword v17, off, s[0:3], 0 offset:156
	s_waitcnt vmcnt(25)
	buffer_store_dword v18, off, s[0:3], 0 offset:160
	;; [unrolled: 5-line block ×15, first 2 shown]
	buffer_store_dword v132, off, s[0:3], 0 offset:376
	buffer_store_dword v131, off, s[0:3], 0 offset:372
	;; [unrolled: 1-line block ×11, first 2 shown]
	s_waitcnt vmcnt(62)
	buffer_store_dword v145, off, s[0:3], 0 offset:428
	buffer_store_dword v144, off, s[0:3], 0 offset:424
	;; [unrolled: 1-line block ×16, first 2 shown]
	v_mov_b32_e32 v2, 0
	v_add_u32_e32 v3, 32, v2
	v_accvgpr_write_b32 a74, v3
	v_add_u32_e32 v3, 48, v2
	v_accvgpr_write_b32 a75, v3
	;; [unrolled: 2-line block ×27, first 2 shown]
	v_add_u32_e32 v3, 0x1c0, v2
	v_add_u32_e32 v2, 0x1d0, v2
	v_accvgpr_write_b32 a46, v38
	v_accvgpr_write_b32 a49, v3
	;; [unrolled: 1-line block ×3, first 2 shown]
	s_bitcmp0_b32 s20, 0
	s_mov_b64 s[8:9], -1
	s_cbranch_scc1 .LBB93_132
; %bb.4:
	v_cmp_eq_u32_e64 s[6:7], 0, v230
	s_and_saveexec_b64 s[8:9], s[6:7]
	s_cbranch_execz .LBB93_6
; %bb.5:
	v_mov_b32_e32 v2, 0
	ds_write_b32 v2, v2 offset:960
.LBB93_6:
	s_or_b64 exec, exec, s[8:9]
	v_mov_b32_e32 v2, 0
	v_lshl_add_u32 v13, v230, 4, v2
	s_waitcnt lgkmcnt(0)
	; wave barrier
	s_waitcnt lgkmcnt(0)
	buffer_load_dword v2, v13, s[0:3], 0 offen
	buffer_load_dword v3, v13, s[0:3], 0 offen offset:4
	buffer_load_dword v4, v13, s[0:3], 0 offen offset:8
	;; [unrolled: 1-line block ×3, first 2 shown]
	s_waitcnt vmcnt(2)
	v_cmp_eq_f64_e32 vcc, 0, v[2:3]
	s_waitcnt vmcnt(0)
	v_cmp_eq_f64_e64 s[8:9], 0, v[4:5]
	s_and_b64 s[8:9], vcc, s[8:9]
	s_and_saveexec_b64 s[12:13], s[8:9]
	s_cbranch_execz .LBB93_10
; %bb.7:
	v_mov_b32_e32 v2, 0
	ds_read_b32 v4, v2 offset:960
	v_add_u32_e32 v3, 1, v230
	s_waitcnt lgkmcnt(0)
	v_readfirstlane_b32 s8, v4
	s_cmp_eq_u32 s8, 0
	s_cselect_b64 s[20:21], -1, 0
	v_cmp_gt_i32_e32 vcc, s8, v3
	s_or_b64 s[20:21], s[20:21], vcc
	s_and_b64 exec, exec, s[20:21]
	s_cbranch_execz .LBB93_10
; %bb.8:
	s_mov_b64 s[20:21], 0
	v_mov_b32_e32 v4, s8
.LBB93_9:                               ; =>This Inner Loop Header: Depth=1
	ds_cmpst_rtn_b32 v4, v2, v4, v3 offset:960
	s_waitcnt lgkmcnt(0)
	v_cmp_ne_u32_e32 vcc, 0, v4
	v_cmp_le_i32_e64 s[8:9], v4, v3
	s_and_b64 s[8:9], vcc, s[8:9]
	s_and_b64 s[8:9], exec, s[8:9]
	s_or_b64 s[20:21], s[8:9], s[20:21]
	s_andn2_b64 exec, exec, s[20:21]
	s_cbranch_execnz .LBB93_9
.LBB93_10:
	s_or_b64 exec, exec, s[12:13]
	v_mov_b32_e32 v3, 0
	s_waitcnt lgkmcnt(0)
	; wave barrier
	ds_read_b32 v2, v3 offset:960
	s_and_saveexec_b64 s[8:9], s[6:7]
	s_cbranch_execz .LBB93_12
; %bb.11:
	s_lshl_b64 s[12:13], s[10:11], 2
	s_add_u32 s12, s14, s12
	s_addc_u32 s13, s15, s13
	s_waitcnt lgkmcnt(0)
	global_store_dword v3, v2, s[12:13]
.LBB93_12:
	s_or_b64 exec, exec, s[8:9]
	s_waitcnt lgkmcnt(0)
	v_cmp_ne_u32_e32 vcc, 0, v2
	s_mov_b64 s[8:9], 0
	s_cbranch_vccnz .LBB93_132
; %bb.13:
	buffer_load_dword v7, v13, s[0:3], 0 offen offset:4
	buffer_load_dword v6, v13, s[0:3], 0 offen
	buffer_load_dword v9, v13, s[0:3], 0 offen offset:12
	buffer_load_dword v8, v13, s[0:3], 0 offen offset:8
                                        ; implicit-def: $vgpr10_vgpr11
	s_waitcnt vmcnt(3)
	v_xor_b32_e32 v3, 0x80000000, v7
	s_waitcnt vmcnt(2)
	v_cmp_gt_f64_e32 vcc, 0, v[6:7]
	s_waitcnt vmcnt(1)
	v_xor_b32_e32 v4, 0x80000000, v9
	v_cndmask_b32_e32 v3, v7, v3, vcc
	s_waitcnt vmcnt(0)
	v_cmp_gt_f64_e32 vcc, 0, v[8:9]
	v_mov_b32_e32 v2, v6
	v_cndmask_b32_e32 v5, v9, v4, vcc
	v_mov_b32_e32 v4, v8
	v_cmp_ngt_f64_e32 vcc, v[2:3], v[4:5]
                                        ; implicit-def: $vgpr4_vgpr5
	s_and_saveexec_b64 s[8:9], vcc
	s_xor_b64 s[8:9], exec, s[8:9]
	s_cbranch_execz .LBB93_15
; %bb.14:
	v_div_scale_f64 v[2:3], s[12:13], v[8:9], v[8:9], v[6:7]
	v_rcp_f64_e32 v[4:5], v[2:3]
	v_div_scale_f64 v[10:11], vcc, v[6:7], v[8:9], v[6:7]
	v_fma_f64 v[14:15], -v[2:3], v[4:5], 1.0
	v_fmac_f64_e32 v[4:5], v[4:5], v[14:15]
	v_fma_f64 v[14:15], -v[2:3], v[4:5], 1.0
	v_fmac_f64_e32 v[4:5], v[4:5], v[14:15]
	v_mul_f64 v[14:15], v[10:11], v[4:5]
	v_fma_f64 v[2:3], -v[2:3], v[14:15], v[10:11]
	v_div_fmas_f64 v[2:3], v[2:3], v[4:5], v[14:15]
	v_div_fixup_f64 v[2:3], v[2:3], v[8:9], v[6:7]
	v_fmac_f64_e32 v[8:9], v[6:7], v[2:3]
	v_div_scale_f64 v[4:5], s[12:13], v[8:9], v[8:9], 1.0
	v_rcp_f64_e32 v[6:7], v[4:5]
	v_fma_f64 v[10:11], -v[4:5], v[6:7], 1.0
	v_fmac_f64_e32 v[6:7], v[6:7], v[10:11]
	v_fma_f64 v[10:11], -v[4:5], v[6:7], 1.0
	v_fmac_f64_e32 v[6:7], v[6:7], v[10:11]
	v_div_scale_f64 v[10:11], vcc, 1.0, v[8:9], 1.0
	v_mul_f64 v[14:15], v[10:11], v[6:7]
	v_fma_f64 v[4:5], -v[4:5], v[14:15], v[10:11]
	s_nop 1
	v_div_fmas_f64 v[4:5], v[4:5], v[6:7], v[14:15]
	v_div_fixup_f64 v[4:5], v[4:5], v[8:9], 1.0
	v_mul_f64 v[10:11], v[2:3], v[4:5]
	v_xor_b32_e32 v5, 0x80000000, v5
	v_xor_b32_e32 v3, 0x80000000, v11
	v_mov_b32_e32 v2, v10
                                        ; implicit-def: $vgpr6_vgpr7
                                        ; implicit-def: $vgpr8_vgpr9
.LBB93_15:
	s_andn2_saveexec_b64 s[8:9], s[8:9]
	s_cbranch_execz .LBB93_17
; %bb.16:
	v_div_scale_f64 v[2:3], s[12:13], v[6:7], v[6:7], v[8:9]
	v_rcp_f64_e32 v[4:5], v[2:3]
	v_div_scale_f64 v[10:11], vcc, v[8:9], v[6:7], v[8:9]
	v_fma_f64 v[14:15], -v[2:3], v[4:5], 1.0
	v_fmac_f64_e32 v[4:5], v[4:5], v[14:15]
	v_fma_f64 v[14:15], -v[2:3], v[4:5], 1.0
	v_fmac_f64_e32 v[4:5], v[4:5], v[14:15]
	v_mul_f64 v[14:15], v[10:11], v[4:5]
	v_fma_f64 v[2:3], -v[2:3], v[14:15], v[10:11]
	v_div_fmas_f64 v[2:3], v[2:3], v[4:5], v[14:15]
	v_div_fixup_f64 v[4:5], v[2:3], v[6:7], v[8:9]
	v_fmac_f64_e32 v[6:7], v[8:9], v[4:5]
	v_div_scale_f64 v[2:3], s[12:13], v[6:7], v[6:7], 1.0
	v_rcp_f64_e32 v[8:9], v[2:3]
	v_fma_f64 v[10:11], -v[2:3], v[8:9], 1.0
	v_fmac_f64_e32 v[8:9], v[8:9], v[10:11]
	v_fma_f64 v[10:11], -v[2:3], v[8:9], 1.0
	v_fmac_f64_e32 v[8:9], v[8:9], v[10:11]
	v_div_scale_f64 v[10:11], vcc, 1.0, v[6:7], 1.0
	v_mul_f64 v[14:15], v[10:11], v[8:9]
	v_fma_f64 v[2:3], -v[2:3], v[14:15], v[10:11]
	s_nop 1
	v_div_fmas_f64 v[2:3], v[2:3], v[8:9], v[14:15]
	v_div_fixup_f64 v[10:11], v[2:3], v[6:7], 1.0
	v_xor_b32_e32 v3, 0x80000000, v11
	v_mov_b32_e32 v2, v10
	v_mul_f64 v[4:5], v[4:5], -v[10:11]
.LBB93_17:
	s_or_b64 exec, exec, s[8:9]
	buffer_store_dword v11, v13, s[0:3], 0 offen offset:4
	buffer_store_dword v10, v13, s[0:3], 0 offen
	buffer_store_dword v5, v13, s[0:3], 0 offen offset:12
	buffer_store_dword v4, v13, s[0:3], 0 offen offset:8
	buffer_load_dword v11, v1, s[0:3], 0 offen offset:12
	s_nop 0
	buffer_load_dword v10, v1, s[0:3], 0 offen offset:8
	buffer_load_dword v9, v1, s[0:3], 0 offen offset:4
	buffer_load_dword v8, v1, s[0:3], 0 offen
	v_xor_b32_e32 v5, 0x80000000, v5
	v_add_u32_e32 v6, 0x1e0, v12
	ds_write_b128 v12, v[2:5]
	s_waitcnt vmcnt(0)
	ds_write_b128 v12, v[8:11] offset:480
	s_waitcnt lgkmcnt(0)
	; wave barrier
	s_waitcnt lgkmcnt(0)
	s_and_saveexec_b64 s[8:9], s[6:7]
	s_cbranch_execz .LBB93_19
; %bb.18:
	buffer_load_dword v14, v13, s[0:3], 0 offen offset:8
	buffer_load_dword v15, v13, s[0:3], 0 offen offset:12
	buffer_load_dword v16, v13, s[0:3], 0 offen
	buffer_load_dword v17, v13, s[0:3], 0 offen offset:4
	ds_read_b128 v[2:5], v6
	v_mov_b32_e32 v7, 0
	ds_read_b128 v[8:11], v7 offset:16
	s_waitcnt vmcnt(2) lgkmcnt(1)
	v_mul_f64 v[18:19], v[4:5], v[14:15]
	v_mul_f64 v[14:15], v[2:3], v[14:15]
	s_waitcnt vmcnt(0)
	v_fmac_f64_e32 v[14:15], v[4:5], v[16:17]
	v_fma_f64 v[2:3], v[2:3], v[16:17], -v[18:19]
	v_add_f64 v[4:5], v[14:15], 0
	v_add_f64 v[2:3], v[2:3], 0
	s_waitcnt lgkmcnt(0)
	v_mul_f64 v[14:15], v[4:5], v[10:11]
	v_mul_f64 v[10:11], v[2:3], v[10:11]
	v_fma_f64 v[2:3], v[2:3], v[8:9], -v[14:15]
	v_fmac_f64_e32 v[10:11], v[4:5], v[8:9]
	buffer_store_dword v2, off, s[0:3], 0 offset:16
	buffer_store_dword v3, off, s[0:3], 0 offset:20
	;; [unrolled: 1-line block ×4, first 2 shown]
.LBB93_19:
	s_or_b64 exec, exec, s[8:9]
	v_accvgpr_read_b32 v5, a74
	s_waitcnt lgkmcnt(0)
	; wave barrier
	buffer_load_dword v2, v5, s[0:3], 0 offen
	buffer_load_dword v3, v5, s[0:3], 0 offen offset:4
	buffer_load_dword v4, v5, s[0:3], 0 offen offset:8
	s_nop 0
	buffer_load_dword v5, v5, s[0:3], 0 offen offset:12
	v_cmp_gt_u32_e32 vcc, 2, v230
	s_waitcnt vmcnt(0)
	ds_write_b128 v6, v[2:5]
	s_waitcnt lgkmcnt(0)
	; wave barrier
	s_waitcnt lgkmcnt(0)
	s_and_saveexec_b64 s[8:9], vcc
	s_cbranch_execz .LBB93_23
; %bb.20:
	buffer_load_dword v8, v13, s[0:3], 0 offen offset:8
	buffer_load_dword v9, v13, s[0:3], 0 offen offset:12
	buffer_load_dword v10, v13, s[0:3], 0 offen
	buffer_load_dword v11, v13, s[0:3], 0 offen offset:4
	ds_read_b128 v[2:5], v6
	s_waitcnt vmcnt(2) lgkmcnt(0)
	v_mul_f64 v[14:15], v[4:5], v[8:9]
	v_mul_f64 v[8:9], v[2:3], v[8:9]
	s_waitcnt vmcnt(0)
	v_fma_f64 v[2:3], v[2:3], v[10:11], -v[14:15]
	v_fmac_f64_e32 v[8:9], v[4:5], v[10:11]
	v_add_f64 v[4:5], v[2:3], 0
	v_add_f64 v[2:3], v[8:9], 0
	s_and_saveexec_b64 s[12:13], s[6:7]
	s_cbranch_execz .LBB93_22
; %bb.21:
	buffer_load_dword v14, off, s[0:3], 0 offset:24
	buffer_load_dword v15, off, s[0:3], 0 offset:28
	buffer_load_dword v16, off, s[0:3], 0 offset:16
	buffer_load_dword v17, off, s[0:3], 0 offset:20
	v_mov_b32_e32 v7, 0
	ds_read_b128 v[8:11], v7 offset:496
	s_waitcnt vmcnt(2) lgkmcnt(0)
	v_mul_f64 v[18:19], v[8:9], v[14:15]
	v_mul_f64 v[14:15], v[10:11], v[14:15]
	s_waitcnt vmcnt(0)
	v_fmac_f64_e32 v[18:19], v[10:11], v[16:17]
	v_fma_f64 v[8:9], v[8:9], v[16:17], -v[14:15]
	v_add_f64 v[2:3], v[2:3], v[18:19]
	v_add_f64 v[4:5], v[4:5], v[8:9]
.LBB93_22:
	s_or_b64 exec, exec, s[12:13]
	v_mov_b32_e32 v7, 0
	ds_read_b128 v[8:11], v7 offset:32
	s_waitcnt lgkmcnt(0)
	v_mul_f64 v[14:15], v[2:3], v[10:11]
	v_mul_f64 v[10:11], v[4:5], v[10:11]
	v_fma_f64 v[4:5], v[4:5], v[8:9], -v[14:15]
	v_fmac_f64_e32 v[10:11], v[2:3], v[8:9]
	buffer_store_dword v5, off, s[0:3], 0 offset:36
	buffer_store_dword v4, off, s[0:3], 0 offset:32
	;; [unrolled: 1-line block ×4, first 2 shown]
.LBB93_23:
	s_or_b64 exec, exec, s[8:9]
	v_accvgpr_read_b32 v5, a75
	s_waitcnt lgkmcnt(0)
	; wave barrier
	buffer_load_dword v2, v5, s[0:3], 0 offen
	buffer_load_dword v3, v5, s[0:3], 0 offen offset:4
	buffer_load_dword v4, v5, s[0:3], 0 offen offset:8
	s_nop 0
	buffer_load_dword v5, v5, s[0:3], 0 offen offset:12
	v_cmp_gt_u32_e32 vcc, 3, v230
	v_add_u32_e32 v7, -1, v230
	s_waitcnt vmcnt(0)
	ds_write_b128 v6, v[2:5]
	s_waitcnt lgkmcnt(0)
	; wave barrier
	s_waitcnt lgkmcnt(0)
	s_and_saveexec_b64 s[6:7], vcc
	s_cbranch_execz .LBB93_27
; %bb.24:
	v_pk_mov_b32 v[2:3], 0, 0
	v_add_u32_e32 v8, -1, v230
	v_add_u32_e32 v9, 0x1e0, v12
	v_add_u32_e32 v10, 0, v12
	s_mov_b64 s[8:9], 0
	v_pk_mov_b32 v[4:5], v[2:3], v[2:3] op_sel:[0,1]
.LBB93_25:                              ; =>This Inner Loop Header: Depth=1
	buffer_load_dword v18, v10, s[0:3], 0 offen offset:8
	buffer_load_dword v19, v10, s[0:3], 0 offen offset:12
	buffer_load_dword v20, v10, s[0:3], 0 offen
	buffer_load_dword v21, v10, s[0:3], 0 offen offset:4
	ds_read_b128 v[14:17], v9
	v_add_u32_e32 v8, 1, v8
	v_cmp_lt_u32_e32 vcc, 1, v8
	v_add_u32_e32 v9, 16, v9
	v_add_u32_e32 v10, 16, v10
	s_or_b64 s[8:9], vcc, s[8:9]
	s_waitcnt vmcnt(2) lgkmcnt(0)
	v_mul_f64 v[22:23], v[16:17], v[18:19]
	v_mul_f64 v[18:19], v[14:15], v[18:19]
	s_waitcnt vmcnt(0)
	v_fma_f64 v[14:15], v[14:15], v[20:21], -v[22:23]
	v_fmac_f64_e32 v[18:19], v[16:17], v[20:21]
	v_add_f64 v[4:5], v[4:5], v[14:15]
	v_add_f64 v[2:3], v[2:3], v[18:19]
	s_andn2_b64 exec, exec, s[8:9]
	s_cbranch_execnz .LBB93_25
; %bb.26:
	s_or_b64 exec, exec, s[8:9]
	v_mov_b32_e32 v8, 0
	ds_read_b128 v[8:11], v8 offset:48
	s_waitcnt lgkmcnt(0)
	v_mul_f64 v[14:15], v[2:3], v[10:11]
	v_mul_f64 v[10:11], v[4:5], v[10:11]
	v_fma_f64 v[4:5], v[4:5], v[8:9], -v[14:15]
	v_fmac_f64_e32 v[10:11], v[2:3], v[8:9]
	buffer_store_dword v5, off, s[0:3], 0 offset:52
	buffer_store_dword v4, off, s[0:3], 0 offset:48
	buffer_store_dword v11, off, s[0:3], 0 offset:60
	buffer_store_dword v10, off, s[0:3], 0 offset:56
.LBB93_27:
	s_or_b64 exec, exec, s[6:7]
	v_accvgpr_read_b32 v5, a71
	s_waitcnt lgkmcnt(0)
	; wave barrier
	buffer_load_dword v2, v5, s[0:3], 0 offen
	buffer_load_dword v3, v5, s[0:3], 0 offen offset:4
	buffer_load_dword v4, v5, s[0:3], 0 offen offset:8
	s_nop 0
	buffer_load_dword v5, v5, s[0:3], 0 offen offset:12
	v_cmp_gt_u32_e32 vcc, 4, v230
	s_waitcnt vmcnt(0)
	ds_write_b128 v6, v[2:5]
	s_waitcnt lgkmcnt(0)
	; wave barrier
	s_waitcnt lgkmcnt(0)
	s_and_saveexec_b64 s[6:7], vcc
	s_cbranch_execz .LBB93_31
; %bb.28:
	v_pk_mov_b32 v[2:3], 0, 0
	v_add_u32_e32 v8, -1, v230
	v_add_u32_e32 v9, 0x1e0, v12
	v_add_u32_e32 v10, 0, v12
	s_mov_b64 s[8:9], 0
	v_pk_mov_b32 v[4:5], v[2:3], v[2:3] op_sel:[0,1]
.LBB93_29:                              ; =>This Inner Loop Header: Depth=1
	buffer_load_dword v18, v10, s[0:3], 0 offen offset:8
	buffer_load_dword v19, v10, s[0:3], 0 offen offset:12
	buffer_load_dword v20, v10, s[0:3], 0 offen
	buffer_load_dword v21, v10, s[0:3], 0 offen offset:4
	ds_read_b128 v[14:17], v9
	v_add_u32_e32 v8, 1, v8
	v_cmp_lt_u32_e32 vcc, 2, v8
	v_add_u32_e32 v9, 16, v9
	v_add_u32_e32 v10, 16, v10
	s_or_b64 s[8:9], vcc, s[8:9]
	s_waitcnt vmcnt(2) lgkmcnt(0)
	v_mul_f64 v[22:23], v[16:17], v[18:19]
	v_mul_f64 v[18:19], v[14:15], v[18:19]
	s_waitcnt vmcnt(0)
	v_fma_f64 v[14:15], v[14:15], v[20:21], -v[22:23]
	v_fmac_f64_e32 v[18:19], v[16:17], v[20:21]
	v_add_f64 v[4:5], v[4:5], v[14:15]
	v_add_f64 v[2:3], v[2:3], v[18:19]
	s_andn2_b64 exec, exec, s[8:9]
	s_cbranch_execnz .LBB93_29
; %bb.30:
	s_or_b64 exec, exec, s[8:9]
	v_mov_b32_e32 v8, 0
	ds_read_b128 v[8:11], v8 offset:64
	s_waitcnt lgkmcnt(0)
	v_mul_f64 v[14:15], v[2:3], v[10:11]
	v_mul_f64 v[10:11], v[4:5], v[10:11]
	v_fma_f64 v[4:5], v[4:5], v[8:9], -v[14:15]
	v_fmac_f64_e32 v[10:11], v[2:3], v[8:9]
	buffer_store_dword v5, off, s[0:3], 0 offset:68
	buffer_store_dword v4, off, s[0:3], 0 offset:64
	buffer_store_dword v11, off, s[0:3], 0 offset:76
	buffer_store_dword v10, off, s[0:3], 0 offset:72
.LBB93_31:
	s_or_b64 exec, exec, s[6:7]
	v_accvgpr_read_b32 v5, a72
	s_waitcnt lgkmcnt(0)
	; wave barrier
	buffer_load_dword v2, v5, s[0:3], 0 offen
	buffer_load_dword v3, v5, s[0:3], 0 offen offset:4
	buffer_load_dword v4, v5, s[0:3], 0 offen offset:8
	s_nop 0
	buffer_load_dword v5, v5, s[0:3], 0 offen offset:12
	v_cmp_gt_u32_e32 vcc, 5, v230
	;; [unrolled: 59-line block ×19, first 2 shown]
	s_waitcnt vmcnt(0)
	ds_write_b128 v6, v[2:5]
	s_waitcnt lgkmcnt(0)
	; wave barrier
	s_waitcnt lgkmcnt(0)
	s_and_saveexec_b64 s[6:7], vcc
	s_cbranch_execz .LBB93_103
; %bb.100:
	v_pk_mov_b32 v[2:3], 0, 0
	v_add_u32_e32 v8, -1, v230
	v_add_u32_e32 v9, 0x1e0, v12
	v_add_u32_e32 v10, 0, v12
	s_mov_b64 s[8:9], 0
	v_pk_mov_b32 v[4:5], v[2:3], v[2:3] op_sel:[0,1]
.LBB93_101:                             ; =>This Inner Loop Header: Depth=1
	buffer_load_dword v18, v10, s[0:3], 0 offen offset:8
	buffer_load_dword v19, v10, s[0:3], 0 offen offset:12
	buffer_load_dword v20, v10, s[0:3], 0 offen
	buffer_load_dword v21, v10, s[0:3], 0 offen offset:4
	ds_read_b128 v[14:17], v9
	v_add_u32_e32 v8, 1, v8
	v_cmp_lt_u32_e32 vcc, 20, v8
	v_add_u32_e32 v9, 16, v9
	v_add_u32_e32 v10, 16, v10
	s_or_b64 s[8:9], vcc, s[8:9]
	s_waitcnt vmcnt(2) lgkmcnt(0)
	v_mul_f64 v[22:23], v[16:17], v[18:19]
	v_mul_f64 v[18:19], v[14:15], v[18:19]
	s_waitcnt vmcnt(0)
	v_fma_f64 v[14:15], v[14:15], v[20:21], -v[22:23]
	v_fmac_f64_e32 v[18:19], v[16:17], v[20:21]
	v_add_f64 v[4:5], v[4:5], v[14:15]
	v_add_f64 v[2:3], v[2:3], v[18:19]
	s_andn2_b64 exec, exec, s[8:9]
	s_cbranch_execnz .LBB93_101
; %bb.102:
	s_or_b64 exec, exec, s[8:9]
	v_mov_b32_e32 v8, 0
	ds_read_b128 v[8:11], v8 offset:352
	s_waitcnt lgkmcnt(0)
	v_mul_f64 v[14:15], v[2:3], v[10:11]
	v_mul_f64 v[10:11], v[4:5], v[10:11]
	v_fma_f64 v[4:5], v[4:5], v[8:9], -v[14:15]
	v_fmac_f64_e32 v[10:11], v[2:3], v[8:9]
	buffer_store_dword v5, off, s[0:3], 0 offset:356
	buffer_store_dword v4, off, s[0:3], 0 offset:352
	buffer_store_dword v11, off, s[0:3], 0 offset:364
	buffer_store_dword v10, off, s[0:3], 0 offset:360
.LBB93_103:
	s_or_b64 exec, exec, s[6:7]
	v_accvgpr_read_b32 v5, a54
	s_waitcnt lgkmcnt(0)
	; wave barrier
	buffer_load_dword v2, v5, s[0:3], 0 offen
	buffer_load_dword v3, v5, s[0:3], 0 offen offset:4
	buffer_load_dword v4, v5, s[0:3], 0 offen offset:8
	s_nop 0
	buffer_load_dword v5, v5, s[0:3], 0 offen offset:12
	v_cmp_gt_u32_e32 vcc, 23, v230
	s_waitcnt vmcnt(0)
	ds_write_b128 v6, v[2:5]
	s_waitcnt lgkmcnt(0)
	; wave barrier
	s_waitcnt lgkmcnt(0)
	s_and_saveexec_b64 s[6:7], vcc
	s_cbranch_execz .LBB93_107
; %bb.104:
	v_pk_mov_b32 v[2:3], 0, 0
	v_add_u32_e32 v8, -1, v230
	v_add_u32_e32 v9, 0x1e0, v12
	v_add_u32_e32 v10, 0, v12
	s_mov_b64 s[8:9], 0
	v_pk_mov_b32 v[4:5], v[2:3], v[2:3] op_sel:[0,1]
.LBB93_105:                             ; =>This Inner Loop Header: Depth=1
	buffer_load_dword v18, v10, s[0:3], 0 offen offset:8
	buffer_load_dword v19, v10, s[0:3], 0 offen offset:12
	buffer_load_dword v20, v10, s[0:3], 0 offen
	buffer_load_dword v21, v10, s[0:3], 0 offen offset:4
	ds_read_b128 v[14:17], v9
	v_add_u32_e32 v8, 1, v8
	v_cmp_lt_u32_e32 vcc, 21, v8
	v_add_u32_e32 v9, 16, v9
	v_add_u32_e32 v10, 16, v10
	s_or_b64 s[8:9], vcc, s[8:9]
	s_waitcnt vmcnt(2) lgkmcnt(0)
	v_mul_f64 v[22:23], v[16:17], v[18:19]
	v_mul_f64 v[18:19], v[14:15], v[18:19]
	s_waitcnt vmcnt(0)
	v_fma_f64 v[14:15], v[14:15], v[20:21], -v[22:23]
	v_fmac_f64_e32 v[18:19], v[16:17], v[20:21]
	v_add_f64 v[4:5], v[4:5], v[14:15]
	v_add_f64 v[2:3], v[2:3], v[18:19]
	s_andn2_b64 exec, exec, s[8:9]
	s_cbranch_execnz .LBB93_105
; %bb.106:
	s_or_b64 exec, exec, s[8:9]
	v_mov_b32_e32 v8, 0
	ds_read_b128 v[8:11], v8 offset:368
	s_waitcnt lgkmcnt(0)
	v_mul_f64 v[14:15], v[2:3], v[10:11]
	v_mul_f64 v[10:11], v[4:5], v[10:11]
	v_fma_f64 v[4:5], v[4:5], v[8:9], -v[14:15]
	v_fmac_f64_e32 v[10:11], v[2:3], v[8:9]
	buffer_store_dword v5, off, s[0:3], 0 offset:372
	buffer_store_dword v4, off, s[0:3], 0 offset:368
	buffer_store_dword v11, off, s[0:3], 0 offset:380
	buffer_store_dword v10, off, s[0:3], 0 offset:376
.LBB93_107:
	s_or_b64 exec, exec, s[6:7]
	v_accvgpr_read_b32 v5, a53
	s_waitcnt lgkmcnt(0)
	; wave barrier
	buffer_load_dword v2, v5, s[0:3], 0 offen
	buffer_load_dword v3, v5, s[0:3], 0 offen offset:4
	buffer_load_dword v4, v5, s[0:3], 0 offen offset:8
	s_nop 0
	buffer_load_dword v5, v5, s[0:3], 0 offen offset:12
	v_cmp_gt_u32_e32 vcc, 24, v230
	;; [unrolled: 59-line block ×6, first 2 shown]
	s_waitcnt vmcnt(0)
	ds_write_b128 v6, v[2:5]
	s_waitcnt lgkmcnt(0)
	; wave barrier
	s_waitcnt lgkmcnt(0)
	s_and_saveexec_b64 s[6:7], vcc
	s_cbranch_execz .LBB93_127
; %bb.124:
	v_pk_mov_b32 v[2:3], 0, 0
	v_add_u32_e32 v8, -1, v230
	v_add_u32_e32 v9, 0x1e0, v12
	v_add_u32_e32 v10, 0, v12
	s_mov_b64 s[8:9], 0
	v_pk_mov_b32 v[4:5], v[2:3], v[2:3] op_sel:[0,1]
.LBB93_125:                             ; =>This Inner Loop Header: Depth=1
	buffer_load_dword v18, v10, s[0:3], 0 offen offset:8
	buffer_load_dword v19, v10, s[0:3], 0 offen offset:12
	buffer_load_dword v20, v10, s[0:3], 0 offen
	buffer_load_dword v21, v10, s[0:3], 0 offen offset:4
	ds_read_b128 v[14:17], v9
	v_add_u32_e32 v8, 1, v8
	v_cmp_lt_u32_e32 vcc, 26, v8
	v_add_u32_e32 v9, 16, v9
	v_add_u32_e32 v10, 16, v10
	s_or_b64 s[8:9], vcc, s[8:9]
	s_waitcnt vmcnt(2) lgkmcnt(0)
	v_mul_f64 v[22:23], v[16:17], v[18:19]
	v_mul_f64 v[18:19], v[14:15], v[18:19]
	s_waitcnt vmcnt(0)
	v_fma_f64 v[14:15], v[14:15], v[20:21], -v[22:23]
	v_fmac_f64_e32 v[18:19], v[16:17], v[20:21]
	v_add_f64 v[4:5], v[4:5], v[14:15]
	v_add_f64 v[2:3], v[2:3], v[18:19]
	s_andn2_b64 exec, exec, s[8:9]
	s_cbranch_execnz .LBB93_125
; %bb.126:
	s_or_b64 exec, exec, s[8:9]
	v_mov_b32_e32 v8, 0
	ds_read_b128 v[8:11], v8 offset:448
	s_waitcnt lgkmcnt(0)
	v_mul_f64 v[14:15], v[2:3], v[10:11]
	v_mul_f64 v[10:11], v[4:5], v[10:11]
	v_fma_f64 v[4:5], v[4:5], v[8:9], -v[14:15]
	v_fmac_f64_e32 v[10:11], v[2:3], v[8:9]
	buffer_store_dword v5, off, s[0:3], 0 offset:452
	buffer_store_dword v4, off, s[0:3], 0 offset:448
	;; [unrolled: 1-line block ×4, first 2 shown]
.LBB93_127:
	s_or_b64 exec, exec, s[6:7]
	v_accvgpr_read_b32 v5, a48
	s_waitcnt lgkmcnt(0)
	; wave barrier
	buffer_load_dword v2, v5, s[0:3], 0 offen
	buffer_load_dword v3, v5, s[0:3], 0 offen offset:4
	buffer_load_dword v4, v5, s[0:3], 0 offen offset:8
	s_nop 0
	buffer_load_dword v5, v5, s[0:3], 0 offen offset:12
	v_cmp_ne_u32_e32 vcc, 29, v230
	s_waitcnt vmcnt(0)
	ds_write_b128 v6, v[2:5]
	s_waitcnt lgkmcnt(0)
	; wave barrier
	s_waitcnt lgkmcnt(0)
	s_and_saveexec_b64 s[6:7], vcc
	s_cbranch_execz .LBB93_131
; %bb.128:
	v_pk_mov_b32 v[2:3], 0, 0
	v_add_u32_e32 v6, 0x1e0, v12
	v_add_u32_e32 v8, 0, v12
	s_mov_b64 s[8:9], 0
	v_pk_mov_b32 v[4:5], v[2:3], v[2:3] op_sel:[0,1]
.LBB93_129:                             ; =>This Inner Loop Header: Depth=1
	buffer_load_dword v14, v8, s[0:3], 0 offen offset:8
	buffer_load_dword v15, v8, s[0:3], 0 offen offset:12
	buffer_load_dword v16, v8, s[0:3], 0 offen
	buffer_load_dword v17, v8, s[0:3], 0 offen offset:4
	ds_read_b128 v[10:13], v6
	v_add_u32_e32 v7, 1, v7
	v_cmp_lt_u32_e32 vcc, 27, v7
	v_add_u32_e32 v6, 16, v6
	v_add_u32_e32 v8, 16, v8
	s_or_b64 s[8:9], vcc, s[8:9]
	s_waitcnt vmcnt(2) lgkmcnt(0)
	v_mul_f64 v[18:19], v[12:13], v[14:15]
	v_mul_f64 v[14:15], v[10:11], v[14:15]
	s_waitcnt vmcnt(0)
	v_fma_f64 v[10:11], v[10:11], v[16:17], -v[18:19]
	v_fmac_f64_e32 v[14:15], v[12:13], v[16:17]
	v_add_f64 v[4:5], v[4:5], v[10:11]
	v_add_f64 v[2:3], v[2:3], v[14:15]
	s_andn2_b64 exec, exec, s[8:9]
	s_cbranch_execnz .LBB93_129
; %bb.130:
	s_or_b64 exec, exec, s[8:9]
	v_mov_b32_e32 v6, 0
	ds_read_b128 v[6:9], v6 offset:464
	s_waitcnt lgkmcnt(0)
	v_mul_f64 v[10:11], v[2:3], v[8:9]
	v_mul_f64 v[8:9], v[4:5], v[8:9]
	v_fma_f64 v[4:5], v[4:5], v[6:7], -v[10:11]
	v_fmac_f64_e32 v[8:9], v[2:3], v[6:7]
	buffer_store_dword v5, off, s[0:3], 0 offset:468
	buffer_store_dword v4, off, s[0:3], 0 offset:464
	;; [unrolled: 1-line block ×4, first 2 shown]
.LBB93_131:
	s_or_b64 exec, exec, s[6:7]
	s_mov_b64 s[8:9], -1
	s_waitcnt lgkmcnt(0)
	; wave barrier
.LBB93_132:
	s_and_b64 vcc, exec, s[8:9]
	s_cbranch_vccz .LBB93_134
; %bb.133:
	s_lshl_b64 s[6:7], s[10:11], 2
	s_add_u32 s6, s14, s6
	s_addc_u32 s7, s15, s7
	v_mov_b32_e32 v2, 0
	global_load_dword v2, v2, s[6:7]
	s_waitcnt vmcnt(0)
	v_cmp_ne_u32_e32 vcc, 0, v2
	s_cbranch_vccz .LBB93_135
.LBB93_134:
	s_endpgm
.LBB93_135:
	v_mov_b32_e32 v2, 0x1e0
	v_lshl_add_u32 v231, v230, 4, v2
	v_cmp_eq_u32_e32 vcc, 29, v230
	s_and_saveexec_b64 s[6:7], vcc
	s_cbranch_execz .LBB93_137
; %bb.136:
	v_accvgpr_read_b32 v5, a49
	buffer_load_dword v2, v5, s[0:3], 0 offen
	buffer_load_dword v3, v5, s[0:3], 0 offen offset:4
	buffer_load_dword v4, v5, s[0:3], 0 offen offset:8
	s_nop 0
	buffer_load_dword v5, v5, s[0:3], 0 offen offset:12
	v_mov_b32_e32 v6, 0
	buffer_store_dword v6, off, s[0:3], 0 offset:448
	buffer_store_dword v6, off, s[0:3], 0 offset:452
	buffer_store_dword v6, off, s[0:3], 0 offset:456
	buffer_store_dword v6, off, s[0:3], 0 offset:460
	s_waitcnt vmcnt(4)
	ds_write_b128 v231, v[2:5]
.LBB93_137:
	s_or_b64 exec, exec, s[6:7]
	s_waitcnt lgkmcnt(0)
	; wave barrier
	s_waitcnt lgkmcnt(0)
	buffer_load_dword v8, off, s[0:3], 0 offset:472
	buffer_load_dword v9, off, s[0:3], 0 offset:476
	buffer_load_dword v10, off, s[0:3], 0 offset:464
	buffer_load_dword v11, off, s[0:3], 0 offset:468
	buffer_load_dword v12, off, s[0:3], 0 offset:448
	buffer_load_dword v13, off, s[0:3], 0 offset:452
	buffer_load_dword v14, off, s[0:3], 0 offset:456
	buffer_load_dword v15, off, s[0:3], 0 offset:460
	v_mov_b32_e32 v2, 0
	ds_read_b128 v[4:7], v2 offset:944
	v_cmp_lt_u32_e32 vcc, 27, v230
	s_waitcnt vmcnt(6) lgkmcnt(0)
	v_mul_f64 v[16:17], v[4:5], v[8:9]
	v_mul_f64 v[8:9], v[6:7], v[8:9]
	s_waitcnt vmcnt(4)
	v_fma_f64 v[4:5], v[4:5], v[10:11], -v[8:9]
	v_fmac_f64_e32 v[16:17], v[6:7], v[10:11]
	v_add_f64 v[4:5], v[4:5], 0
	v_add_f64 v[6:7], v[16:17], 0
	s_waitcnt vmcnt(2)
	v_add_f64 v[4:5], v[12:13], -v[4:5]
	s_waitcnt vmcnt(0)
	v_add_f64 v[6:7], v[14:15], -v[6:7]
	buffer_store_dword v4, off, s[0:3], 0 offset:448
	buffer_store_dword v5, off, s[0:3], 0 offset:452
	;; [unrolled: 1-line block ×4, first 2 shown]
	s_and_saveexec_b64 s[6:7], vcc
	s_cbranch_execz .LBB93_139
; %bb.138:
	v_accvgpr_read_b32 v3, a50
	buffer_load_dword v4, v3, s[0:3], 0 offen
	buffer_load_dword v5, v3, s[0:3], 0 offen offset:4
	buffer_load_dword v6, v3, s[0:3], 0 offen offset:8
	;; [unrolled: 1-line block ×3, first 2 shown]
	s_nop 0
	buffer_store_dword v2, off, s[0:3], 0 offset:432
	buffer_store_dword v2, off, s[0:3], 0 offset:436
	;; [unrolled: 1-line block ×4, first 2 shown]
	s_waitcnt vmcnt(4)
	ds_write_b128 v231, v[4:7]
.LBB93_139:
	s_or_b64 exec, exec, s[6:7]
	s_waitcnt lgkmcnt(0)
	; wave barrier
	s_waitcnt lgkmcnt(0)
	buffer_load_dword v12, off, s[0:3], 0 offset:456
	buffer_load_dword v13, off, s[0:3], 0 offset:460
	;; [unrolled: 1-line block ×12, first 2 shown]
	ds_read_b128 v[4:7], v2 offset:928
	ds_read_b128 v[8:11], v2 offset:944
	v_cmp_lt_u32_e32 vcc, 26, v230
	s_waitcnt vmcnt(10) lgkmcnt(1)
	v_mul_f64 v[2:3], v[4:5], v[12:13]
	v_mul_f64 v[12:13], v[6:7], v[12:13]
	s_waitcnt vmcnt(8) lgkmcnt(0)
	v_mul_f64 v[24:25], v[8:9], v[14:15]
	v_mul_f64 v[14:15], v[10:11], v[14:15]
	s_waitcnt vmcnt(6)
	v_fma_f64 v[4:5], v[4:5], v[16:17], -v[12:13]
	v_fmac_f64_e32 v[2:3], v[6:7], v[16:17]
	s_waitcnt vmcnt(4)
	v_fma_f64 v[6:7], v[8:9], v[18:19], -v[14:15]
	v_add_f64 v[4:5], v[4:5], 0
	v_fmac_f64_e32 v[24:25], v[10:11], v[18:19]
	v_add_f64 v[2:3], v[2:3], 0
	v_add_f64 v[4:5], v[4:5], v[6:7]
	;; [unrolled: 1-line block ×3, first 2 shown]
	s_waitcnt vmcnt(2)
	v_add_f64 v[4:5], v[20:21], -v[4:5]
	s_waitcnt vmcnt(0)
	v_add_f64 v[2:3], v[22:23], -v[2:3]
	buffer_store_dword v4, off, s[0:3], 0 offset:432
	buffer_store_dword v5, off, s[0:3], 0 offset:436
	;; [unrolled: 1-line block ×4, first 2 shown]
	s_and_saveexec_b64 s[6:7], vcc
	s_cbranch_execz .LBB93_141
; %bb.140:
	v_accvgpr_read_b32 v5, a51
	buffer_load_dword v2, v5, s[0:3], 0 offen
	buffer_load_dword v3, v5, s[0:3], 0 offen offset:4
	buffer_load_dword v4, v5, s[0:3], 0 offen offset:8
	s_nop 0
	buffer_load_dword v5, v5, s[0:3], 0 offen offset:12
	v_mov_b32_e32 v6, 0
	buffer_store_dword v6, off, s[0:3], 0 offset:416
	buffer_store_dword v6, off, s[0:3], 0 offset:420
	;; [unrolled: 1-line block ×4, first 2 shown]
	s_waitcnt vmcnt(4)
	ds_write_b128 v231, v[2:5]
.LBB93_141:
	s_or_b64 exec, exec, s[6:7]
	v_mov_b32_e32 v2, 0
	s_waitcnt lgkmcnt(0)
	; wave barrier
	s_waitcnt lgkmcnt(0)
	ds_read_b128 v[4:7], v2 offset:912
	ds_read_b128 v[8:11], v2 offset:928
	;; [unrolled: 1-line block ×3, first 2 shown]
	buffer_load_dword v16, off, s[0:3], 0 offset:416
	buffer_load_dword v17, off, s[0:3], 0 offset:420
	;; [unrolled: 1-line block ×16, first 2 shown]
	v_cmp_lt_u32_e32 vcc, 25, v230
	s_waitcnt vmcnt(8) lgkmcnt(2)
	v_mul_f64 v[32:33], v[4:5], v[22:23]
	v_fmac_f64_e32 v[32:33], v[6:7], v[20:21]
	v_mul_f64 v[6:7], v[6:7], v[22:23]
	v_fma_f64 v[4:5], v[4:5], v[20:21], -v[6:7]
	s_waitcnt vmcnt(4) lgkmcnt(1)
	v_mul_f64 v[6:7], v[10:11], v[26:27]
	v_mul_f64 v[34:35], v[8:9], v[26:27]
	v_add_f64 v[4:5], v[4:5], 0
	v_fma_f64 v[6:7], v[8:9], v[24:25], -v[6:7]
	v_add_f64 v[32:33], v[32:33], 0
	v_fmac_f64_e32 v[34:35], v[10:11], v[24:25]
	v_add_f64 v[4:5], v[4:5], v[6:7]
	s_waitcnt vmcnt(0) lgkmcnt(0)
	v_mul_f64 v[6:7], v[14:15], v[30:31]
	v_add_f64 v[32:33], v[32:33], v[34:35]
	v_mul_f64 v[34:35], v[12:13], v[30:31]
	v_fma_f64 v[6:7], v[12:13], v[28:29], -v[6:7]
	v_fmac_f64_e32 v[34:35], v[14:15], v[28:29]
	v_add_f64 v[4:5], v[4:5], v[6:7]
	v_add_f64 v[32:33], v[32:33], v[34:35]
	v_add_f64 v[4:5], v[16:17], -v[4:5]
	v_add_f64 v[6:7], v[18:19], -v[32:33]
	buffer_store_dword v4, off, s[0:3], 0 offset:416
	buffer_store_dword v5, off, s[0:3], 0 offset:420
	;; [unrolled: 1-line block ×4, first 2 shown]
	s_and_saveexec_b64 s[6:7], vcc
	s_cbranch_execz .LBB93_143
; %bb.142:
	v_accvgpr_read_b32 v3, a52
	buffer_load_dword v4, v3, s[0:3], 0 offen
	buffer_load_dword v5, v3, s[0:3], 0 offen offset:4
	buffer_load_dword v6, v3, s[0:3], 0 offen offset:8
	;; [unrolled: 1-line block ×3, first 2 shown]
	s_nop 0
	buffer_store_dword v2, off, s[0:3], 0 offset:400
	buffer_store_dword v2, off, s[0:3], 0 offset:404
	;; [unrolled: 1-line block ×4, first 2 shown]
	s_waitcnt vmcnt(4)
	ds_write_b128 v231, v[4:7]
.LBB93_143:
	s_or_b64 exec, exec, s[6:7]
	s_waitcnt lgkmcnt(0)
	; wave barrier
	s_waitcnt lgkmcnt(0)
	buffer_load_dword v20, off, s[0:3], 0 offset:424
	buffer_load_dword v21, off, s[0:3], 0 offset:428
	;; [unrolled: 1-line block ×20, first 2 shown]
	ds_read_b128 v[4:7], v2 offset:896
	ds_read_b128 v[8:11], v2 offset:912
	;; [unrolled: 1-line block ×4, first 2 shown]
	v_cmp_lt_u32_e32 vcc, 24, v230
	s_waitcnt vmcnt(18) lgkmcnt(3)
	v_mul_f64 v[2:3], v[4:5], v[20:21]
	v_mul_f64 v[20:21], v[6:7], v[20:21]
	s_waitcnt vmcnt(16) lgkmcnt(2)
	v_mul_f64 v[44:45], v[8:9], v[22:23]
	v_mul_f64 v[22:23], v[10:11], v[22:23]
	;; [unrolled: 3-line block ×4, first 2 shown]
	s_waitcnt vmcnt(10)
	v_fma_f64 v[4:5], v[4:5], v[28:29], -v[20:21]
	v_fmac_f64_e32 v[2:3], v[6:7], v[28:29]
	s_waitcnt vmcnt(8)
	v_fma_f64 v[6:7], v[8:9], v[30:31], -v[22:23]
	v_add_f64 v[4:5], v[4:5], 0
	v_fmac_f64_e32 v[44:45], v[10:11], v[30:31]
	s_waitcnt vmcnt(6)
	v_fma_f64 v[8:9], v[12:13], v[32:33], -v[24:25]
	v_add_f64 v[2:3], v[2:3], 0
	v_add_f64 v[4:5], v[4:5], v[6:7]
	v_fmac_f64_e32 v[46:47], v[14:15], v[32:33]
	s_waitcnt vmcnt(4)
	v_fma_f64 v[10:11], v[16:17], v[34:35], -v[26:27]
	v_add_f64 v[2:3], v[2:3], v[44:45]
	v_add_f64 v[4:5], v[4:5], v[8:9]
	v_fmac_f64_e32 v[48:49], v[18:19], v[34:35]
	v_add_f64 v[2:3], v[2:3], v[46:47]
	v_add_f64 v[4:5], v[4:5], v[10:11]
	;; [unrolled: 1-line block ×3, first 2 shown]
	s_waitcnt vmcnt(2)
	v_add_f64 v[4:5], v[36:37], -v[4:5]
	s_waitcnt vmcnt(0)
	v_add_f64 v[2:3], v[42:43], -v[2:3]
	buffer_store_dword v4, off, s[0:3], 0 offset:400
	buffer_store_dword v5, off, s[0:3], 0 offset:404
	;; [unrolled: 1-line block ×4, first 2 shown]
	s_and_saveexec_b64 s[6:7], vcc
	s_cbranch_execz .LBB93_145
; %bb.144:
	v_accvgpr_read_b32 v5, a53
	buffer_load_dword v2, v5, s[0:3], 0 offen
	buffer_load_dword v3, v5, s[0:3], 0 offen offset:4
	buffer_load_dword v4, v5, s[0:3], 0 offen offset:8
	s_nop 0
	buffer_load_dword v5, v5, s[0:3], 0 offen offset:12
	v_mov_b32_e32 v6, 0
	buffer_store_dword v6, off, s[0:3], 0 offset:384
	buffer_store_dword v6, off, s[0:3], 0 offset:388
	;; [unrolled: 1-line block ×4, first 2 shown]
	s_waitcnt vmcnt(4)
	ds_write_b128 v231, v[2:5]
.LBB93_145:
	s_or_b64 exec, exec, s[6:7]
	s_waitcnt lgkmcnt(0)
	; wave barrier
	s_waitcnt lgkmcnt(0)
	buffer_load_dword v24, off, s[0:3], 0 offset:408
	buffer_load_dword v25, off, s[0:3], 0 offset:412
	;; [unrolled: 1-line block ×24, first 2 shown]
	v_mov_b32_e32 v2, 0
	ds_read_b128 v[4:7], v2 offset:880
	ds_read_b128 v[8:11], v2 offset:896
	;; [unrolled: 1-line block ×5, first 2 shown]
	v_cmp_lt_u32_e32 vcc, 23, v230
	s_waitcnt vmcnt(22) lgkmcnt(4)
	v_mul_f64 v[52:53], v[4:5], v[24:25]
	v_mul_f64 v[24:25], v[6:7], v[24:25]
	s_waitcnt vmcnt(20) lgkmcnt(3)
	v_mul_f64 v[54:55], v[8:9], v[26:27]
	v_mul_f64 v[26:27], v[10:11], v[26:27]
	;; [unrolled: 3-line block ×4, first 2 shown]
	s_waitcnt vmcnt(13) lgkmcnt(0)
	v_mul_f64 v[60:61], v[20:21], v[30:31]
	s_waitcnt vmcnt(11)
	v_fma_f64 v[4:5], v[4:5], v[36:37], -v[24:25]
	v_fmac_f64_e32 v[52:53], v[6:7], v[36:37]
	s_waitcnt vmcnt(9)
	v_fma_f64 v[6:7], v[8:9], v[42:43], -v[26:27]
	v_add_f64 v[4:5], v[4:5], 0
	v_fmac_f64_e32 v[54:55], v[10:11], v[42:43]
	s_waitcnt vmcnt(7)
	v_fmac_f64_e32 v[56:57], v[14:15], v[44:45]
	v_fma_f64 v[8:9], v[12:13], v[44:45], -v[28:29]
	v_add_f64 v[14:15], v[52:53], 0
	v_add_f64 v[4:5], v[4:5], v[6:7]
	v_mul_f64 v[30:31], v[22:23], v[30:31]
	s_waitcnt vmcnt(5)
	v_fma_f64 v[10:11], v[16:17], v[46:47], -v[34:35]
	v_add_f64 v[14:15], v[14:15], v[54:55]
	v_add_f64 v[4:5], v[4:5], v[8:9]
	v_fmac_f64_e32 v[58:59], v[18:19], v[46:47]
	s_waitcnt vmcnt(4)
	v_fma_f64 v[12:13], v[20:21], v[32:33], -v[30:31]
	v_add_f64 v[6:7], v[14:15], v[56:57]
	v_add_f64 v[4:5], v[4:5], v[10:11]
	v_fmac_f64_e32 v[60:61], v[22:23], v[32:33]
	v_add_f64 v[6:7], v[6:7], v[58:59]
	v_add_f64 v[4:5], v[4:5], v[12:13]
	;; [unrolled: 1-line block ×3, first 2 shown]
	s_waitcnt vmcnt(2)
	v_add_f64 v[4:5], v[48:49], -v[4:5]
	s_waitcnt vmcnt(0)
	v_add_f64 v[6:7], v[50:51], -v[6:7]
	buffer_store_dword v5, off, s[0:3], 0 offset:388
	buffer_store_dword v4, off, s[0:3], 0 offset:384
	;; [unrolled: 1-line block ×4, first 2 shown]
	s_and_saveexec_b64 s[6:7], vcc
	s_cbranch_execz .LBB93_147
; %bb.146:
	v_accvgpr_read_b32 v3, a54
	buffer_load_dword v4, v3, s[0:3], 0 offen
	buffer_load_dword v5, v3, s[0:3], 0 offen offset:4
	buffer_load_dword v6, v3, s[0:3], 0 offen offset:8
	;; [unrolled: 1-line block ×3, first 2 shown]
	s_nop 0
	buffer_store_dword v2, off, s[0:3], 0 offset:368
	buffer_store_dword v2, off, s[0:3], 0 offset:372
	;; [unrolled: 1-line block ×4, first 2 shown]
	s_waitcnt vmcnt(4)
	ds_write_b128 v231, v[4:7]
.LBB93_147:
	s_or_b64 exec, exec, s[6:7]
	s_waitcnt lgkmcnt(0)
	; wave barrier
	s_waitcnt lgkmcnt(0)
	buffer_load_dword v28, off, s[0:3], 0 offset:392
	buffer_load_dword v29, off, s[0:3], 0 offset:396
	buffer_load_dword v30, off, s[0:3], 0 offset:408
	buffer_load_dword v31, off, s[0:3], 0 offset:412
	buffer_load_dword v32, off, s[0:3], 0 offset:424
	buffer_load_dword v33, off, s[0:3], 0 offset:428
	buffer_load_dword v35, off, s[0:3], 0 offset:460
	buffer_load_dword v34, off, s[0:3], 0 offset:456
	buffer_load_dword v36, off, s[0:3], 0 offset:448
	buffer_load_dword v43, off, s[0:3], 0 offset:444
	buffer_load_dword v42, off, s[0:3], 0 offset:440
	buffer_load_dword v45, off, s[0:3], 0 offset:476
	buffer_load_dword v44, off, s[0:3], 0 offset:472
	buffer_load_dword v37, off, s[0:3], 0 offset:452
	buffer_load_dword v46, off, s[0:3], 0 offset:384
	buffer_load_dword v47, off, s[0:3], 0 offset:388
	buffer_load_dword v48, off, s[0:3], 0 offset:400
	buffer_load_dword v49, off, s[0:3], 0 offset:404
	buffer_load_dword v50, off, s[0:3], 0 offset:416
	buffer_load_dword v51, off, s[0:3], 0 offset:420
	buffer_load_dword v53, off, s[0:3], 0 offset:436
	buffer_load_dword v52, off, s[0:3], 0 offset:432
	buffer_load_dword v55, off, s[0:3], 0 offset:468
	buffer_load_dword v54, off, s[0:3], 0 offset:464
	buffer_load_dword v56, off, s[0:3], 0 offset:368
	buffer_load_dword v57, off, s[0:3], 0 offset:372
	buffer_load_dword v58, off, s[0:3], 0 offset:376
	buffer_load_dword v59, off, s[0:3], 0 offset:380
	ds_read_b128 v[4:7], v2 offset:864
	ds_read_b128 v[8:11], v2 offset:880
	;; [unrolled: 1-line block ×6, first 2 shown]
	v_cmp_lt_u32_e32 vcc, 22, v230
	s_waitcnt vmcnt(26) lgkmcnt(5)
	v_mul_f64 v[2:3], v[4:5], v[28:29]
	v_mul_f64 v[28:29], v[6:7], v[28:29]
	s_waitcnt vmcnt(24) lgkmcnt(4)
	v_mul_f64 v[60:61], v[8:9], v[30:31]
	v_mul_f64 v[30:31], v[10:11], v[30:31]
	;; [unrolled: 3-line block ×4, first 2 shown]
	s_waitcnt vmcnt(17)
	v_mul_f64 v[64:65], v[16:17], v[42:43]
	v_mul_f64 v[42:43], v[18:19], v[42:43]
	s_waitcnt vmcnt(15) lgkmcnt(0)
	v_mul_f64 v[100:101], v[24:25], v[44:45]
	v_mul_f64 v[44:45], v[26:27], v[44:45]
	s_waitcnt vmcnt(14)
	v_fmac_f64_e32 v[98:99], v[22:23], v[36:37]
	s_waitcnt vmcnt(12)
	v_fma_f64 v[4:5], v[4:5], v[46:47], -v[28:29]
	v_fmac_f64_e32 v[2:3], v[6:7], v[46:47]
	s_waitcnt vmcnt(10)
	v_fma_f64 v[6:7], v[8:9], v[48:49], -v[30:31]
	v_add_f64 v[4:5], v[4:5], 0
	v_fmac_f64_e32 v[60:61], v[10:11], v[48:49]
	s_waitcnt vmcnt(8)
	v_fma_f64 v[8:9], v[12:13], v[50:51], -v[32:33]
	v_add_f64 v[2:3], v[2:3], 0
	v_add_f64 v[4:5], v[4:5], v[6:7]
	v_fmac_f64_e32 v[62:63], v[14:15], v[50:51]
	s_waitcnt vmcnt(6)
	v_fma_f64 v[10:11], v[16:17], v[52:53], -v[42:43]
	v_add_f64 v[2:3], v[2:3], v[60:61]
	v_add_f64 v[4:5], v[4:5], v[8:9]
	v_fmac_f64_e32 v[64:65], v[18:19], v[52:53]
	v_fma_f64 v[12:13], v[20:21], v[36:37], -v[34:35]
	v_add_f64 v[2:3], v[2:3], v[62:63]
	v_add_f64 v[4:5], v[4:5], v[10:11]
	s_waitcnt vmcnt(4)
	v_fma_f64 v[14:15], v[24:25], v[54:55], -v[44:45]
	v_add_f64 v[2:3], v[2:3], v[64:65]
	v_add_f64 v[4:5], v[4:5], v[12:13]
	v_fmac_f64_e32 v[100:101], v[26:27], v[54:55]
	v_add_f64 v[2:3], v[2:3], v[98:99]
	v_add_f64 v[4:5], v[4:5], v[14:15]
	;; [unrolled: 1-line block ×3, first 2 shown]
	s_waitcnt vmcnt(2)
	v_add_f64 v[4:5], v[56:57], -v[4:5]
	s_waitcnt vmcnt(0)
	v_add_f64 v[2:3], v[58:59], -v[2:3]
	buffer_store_dword v5, off, s[0:3], 0 offset:372
	buffer_store_dword v4, off, s[0:3], 0 offset:368
	;; [unrolled: 1-line block ×4, first 2 shown]
	s_and_saveexec_b64 s[6:7], vcc
	s_cbranch_execz .LBB93_149
; %bb.148:
	v_accvgpr_read_b32 v5, a55
	buffer_load_dword v2, v5, s[0:3], 0 offen
	buffer_load_dword v3, v5, s[0:3], 0 offen offset:4
	buffer_load_dword v4, v5, s[0:3], 0 offen offset:8
	s_nop 0
	buffer_load_dword v5, v5, s[0:3], 0 offen offset:12
	v_mov_b32_e32 v6, 0
	buffer_store_dword v6, off, s[0:3], 0 offset:352
	buffer_store_dword v6, off, s[0:3], 0 offset:356
	;; [unrolled: 1-line block ×4, first 2 shown]
	s_waitcnt vmcnt(4)
	ds_write_b128 v231, v[2:5]
.LBB93_149:
	s_or_b64 exec, exec, s[6:7]
	v_mov_b32_e32 v24, 0
	s_waitcnt lgkmcnt(0)
	; wave barrier
	s_waitcnt lgkmcnt(0)
	ds_read_b128 v[6:9], v24 offset:848
	ds_read_b128 v[10:13], v24 offset:864
	;; [unrolled: 1-line block ×4, first 2 shown]
	buffer_load_dword v4, off, s[0:3], 0 offset:352
	buffer_load_dword v5, off, s[0:3], 0 offset:356
	;; [unrolled: 1-line block ×20, first 2 shown]
	v_cmp_lt_u32_e32 vcc, 21, v230
	s_waitcnt vmcnt(12) lgkmcnt(3)
	v_mul_f64 v[26:27], v[6:7], v[42:43]
	v_fmac_f64_e32 v[26:27], v[8:9], v[22:23]
	v_add_f64 v[26:27], v[26:27], 0
	v_mul_f64 v[8:9], v[8:9], v[42:43]
	s_waitcnt vmcnt(8) lgkmcnt(2)
	v_mul_f64 v[28:29], v[10:11], v[46:47]
	v_fmac_f64_e32 v[28:29], v[12:13], v[44:45]
	v_add_f64 v[26:27], v[26:27], v[28:29]
	v_fma_f64 v[6:7], v[6:7], v[22:23], -v[8:9]
	s_waitcnt vmcnt(4) lgkmcnt(1)
	v_mul_f64 v[28:29], v[14:15], v[50:51]
	v_fmac_f64_e32 v[28:29], v[16:17], v[48:49]
	v_add_f64 v[26:27], v[26:27], v[28:29]
	s_waitcnt vmcnt(0) lgkmcnt(0)
	v_mul_f64 v[28:29], v[18:19], v[54:55]
	v_fmac_f64_e32 v[28:29], v[20:21], v[52:53]
	v_add_f64 v[30:31], v[26:27], v[28:29]
	ds_read_b128 v[26:29], v24 offset:912
	buffer_load_dword v57, off, s[0:3], 0 offset:436
	buffer_load_dword v56, off, s[0:3], 0 offset:432
	;; [unrolled: 1-line block ×4, first 2 shown]
	v_mul_f64 v[8:9], v[12:13], v[46:47]
	v_add_f64 v[6:7], v[6:7], 0
	v_fma_f64 v[8:9], v[10:11], v[44:45], -v[8:9]
	v_add_f64 v[6:7], v[6:7], v[8:9]
	v_mul_f64 v[8:9], v[16:17], v[50:51]
	v_fma_f64 v[8:9], v[14:15], v[48:49], -v[8:9]
	v_add_f64 v[6:7], v[6:7], v[8:9]
	v_mul_f64 v[8:9], v[20:21], v[54:55]
	v_fma_f64 v[8:9], v[18:19], v[52:53], -v[8:9]
	v_add_f64 v[6:7], v[6:7], v[8:9]
	s_waitcnt vmcnt(0) lgkmcnt(0)
	v_mul_f64 v[32:33], v[26:27], v[58:59]
	v_fmac_f64_e32 v[32:33], v[28:29], v[56:57]
	v_add_f64 v[34:35], v[30:31], v[32:33]
	ds_read_b128 v[30:33], v24 offset:928
	buffer_load_dword v61, off, s[0:3], 0 offset:452
	buffer_load_dword v60, off, s[0:3], 0 offset:448
	;; [unrolled: 1-line block ×4, first 2 shown]
	v_mul_f64 v[8:9], v[28:29], v[58:59]
	v_fma_f64 v[8:9], v[26:27], v[56:57], -v[8:9]
	v_add_f64 v[6:7], v[6:7], v[8:9]
	s_waitcnt vmcnt(0) lgkmcnt(0)
	v_mul_f64 v[36:37], v[30:31], v[62:63]
	v_fmac_f64_e32 v[36:37], v[32:33], v[60:61]
	v_add_f64 v[64:65], v[34:35], v[36:37]
	ds_read_b128 v[34:37], v24 offset:944
	buffer_load_dword v99, off, s[0:3], 0 offset:468
	buffer_load_dword v98, off, s[0:3], 0 offset:464
	;; [unrolled: 1-line block ×4, first 2 shown]
	v_mul_f64 v[8:9], v[32:33], v[62:63]
	v_fma_f64 v[8:9], v[30:31], v[60:61], -v[8:9]
	v_add_f64 v[6:7], v[6:7], v[8:9]
	s_waitcnt vmcnt(0) lgkmcnt(0)
	v_mul_f64 v[8:9], v[36:37], v[100:101]
	v_mul_f64 v[102:103], v[34:35], v[100:101]
	v_fma_f64 v[8:9], v[34:35], v[98:99], -v[8:9]
	v_fmac_f64_e32 v[102:103], v[36:37], v[98:99]
	v_add_f64 v[6:7], v[6:7], v[8:9]
	v_add_f64 v[64:65], v[64:65], v[102:103]
	v_add_f64 v[4:5], v[4:5], -v[6:7]
	v_add_f64 v[2:3], v[2:3], -v[64:65]
	buffer_store_dword v5, off, s[0:3], 0 offset:356
	buffer_store_dword v4, off, s[0:3], 0 offset:352
	;; [unrolled: 1-line block ×4, first 2 shown]
	s_and_saveexec_b64 s[6:7], vcc
	s_cbranch_execz .LBB93_151
; %bb.150:
	v_accvgpr_read_b32 v5, a56
	buffer_load_dword v2, v5, s[0:3], 0 offen
	buffer_load_dword v3, v5, s[0:3], 0 offen offset:4
	buffer_load_dword v4, v5, s[0:3], 0 offen offset:8
	s_nop 0
	buffer_load_dword v5, v5, s[0:3], 0 offen offset:12
	s_nop 0
	buffer_store_dword v24, off, s[0:3], 0 offset:336
	buffer_store_dword v24, off, s[0:3], 0 offset:340
	;; [unrolled: 1-line block ×4, first 2 shown]
	s_waitcnt vmcnt(4)
	ds_write_b128 v231, v[2:5]
.LBB93_151:
	s_or_b64 exec, exec, s[6:7]
	s_waitcnt lgkmcnt(0)
	; wave barrier
	s_waitcnt lgkmcnt(0)
	ds_read_b128 v[14:17], v24 offset:832
	ds_read_b128 v[10:13], v24 offset:848
	;; [unrolled: 1-line block ×4, first 2 shown]
	buffer_load_dword v20, off, s[0:3], 0 offset:336
	buffer_load_dword v21, off, s[0:3], 0 offset:340
	;; [unrolled: 1-line block ×20, first 2 shown]
	v_cmp_lt_u32_e32 vcc, 20, v230
	s_waitcnt vmcnt(12) lgkmcnt(3)
	v_mul_f64 v[26:27], v[14:15], v[42:43]
	v_fmac_f64_e32 v[26:27], v[16:17], v[22:23]
	v_add_f64 v[26:27], v[26:27], 0
	v_mul_f64 v[16:17], v[16:17], v[42:43]
	s_waitcnt vmcnt(8) lgkmcnt(2)
	v_mul_f64 v[28:29], v[10:11], v[46:47]
	v_fmac_f64_e32 v[28:29], v[12:13], v[44:45]
	v_add_f64 v[26:27], v[26:27], v[28:29]
	v_fma_f64 v[14:15], v[14:15], v[22:23], -v[16:17]
	s_waitcnt vmcnt(4) lgkmcnt(1)
	v_mul_f64 v[28:29], v[6:7], v[50:51]
	v_fmac_f64_e32 v[28:29], v[8:9], v[48:49]
	v_add_f64 v[26:27], v[26:27], v[28:29]
	s_waitcnt vmcnt(0) lgkmcnt(0)
	v_mul_f64 v[28:29], v[2:3], v[54:55]
	v_fmac_f64_e32 v[28:29], v[4:5], v[52:53]
	v_add_f64 v[30:31], v[26:27], v[28:29]
	ds_read_b128 v[26:29], v24 offset:896
	buffer_load_dword v57, off, s[0:3], 0 offset:420
	buffer_load_dword v56, off, s[0:3], 0 offset:416
	;; [unrolled: 1-line block ×4, first 2 shown]
	v_mul_f64 v[12:13], v[12:13], v[46:47]
	v_add_f64 v[14:15], v[14:15], 0
	v_fma_f64 v[10:11], v[10:11], v[44:45], -v[12:13]
	v_mul_f64 v[8:9], v[8:9], v[50:51]
	v_add_f64 v[10:11], v[14:15], v[10:11]
	v_fma_f64 v[6:7], v[6:7], v[48:49], -v[8:9]
	;; [unrolled: 3-line block ×3, first 2 shown]
	v_add_f64 v[2:3], v[6:7], v[2:3]
	s_waitcnt vmcnt(0) lgkmcnt(0)
	v_mul_f64 v[32:33], v[26:27], v[58:59]
	v_fmac_f64_e32 v[32:33], v[28:29], v[56:57]
	v_add_f64 v[34:35], v[30:31], v[32:33]
	ds_read_b128 v[30:33], v24 offset:912
	buffer_load_dword v61, off, s[0:3], 0 offset:436
	buffer_load_dword v60, off, s[0:3], 0 offset:432
	buffer_load_dword v63, off, s[0:3], 0 offset:444
	buffer_load_dword v62, off, s[0:3], 0 offset:440
	v_mul_f64 v[4:5], v[28:29], v[58:59]
	v_fma_f64 v[4:5], v[26:27], v[56:57], -v[4:5]
	v_add_f64 v[2:3], v[2:3], v[4:5]
	s_waitcnt vmcnt(0) lgkmcnt(0)
	v_mul_f64 v[36:37], v[30:31], v[62:63]
	v_fmac_f64_e32 v[36:37], v[32:33], v[60:61]
	v_add_f64 v[64:65], v[34:35], v[36:37]
	ds_read_b128 v[34:37], v24 offset:928
	buffer_load_dword v103, off, s[0:3], 0 offset:452
	buffer_load_dword v102, off, s[0:3], 0 offset:448
	buffer_load_dword v105, off, s[0:3], 0 offset:460
	buffer_load_dword v104, off, s[0:3], 0 offset:456
	v_mul_f64 v[4:5], v[32:33], v[62:63]
	v_fma_f64 v[4:5], v[30:31], v[60:61], -v[4:5]
	;; [unrolled: 12-line block ×3, first 2 shown]
	v_add_f64 v[2:3], v[2:3], v[4:5]
	s_waitcnt vmcnt(0) lgkmcnt(0)
	v_mul_f64 v[4:5], v[100:101], v[106:107]
	v_mul_f64 v[108:109], v[98:99], v[106:107]
	v_fma_f64 v[4:5], v[98:99], v[24:25], -v[4:5]
	v_fmac_f64_e32 v[108:109], v[100:101], v[24:25]
	v_add_f64 v[2:3], v[2:3], v[4:5]
	v_add_f64 v[64:65], v[64:65], v[108:109]
	v_add_f64 v[2:3], v[20:21], -v[2:3]
	v_add_f64 v[4:5], v[18:19], -v[64:65]
	buffer_store_dword v3, off, s[0:3], 0 offset:340
	buffer_store_dword v2, off, s[0:3], 0 offset:336
	;; [unrolled: 1-line block ×4, first 2 shown]
	s_and_saveexec_b64 s[6:7], vcc
	s_cbranch_execz .LBB93_153
; %bb.152:
	v_accvgpr_read_b32 v5, a57
	buffer_load_dword v2, v5, s[0:3], 0 offen
	buffer_load_dword v3, v5, s[0:3], 0 offen offset:4
	buffer_load_dword v4, v5, s[0:3], 0 offen offset:8
	s_nop 0
	buffer_load_dword v5, v5, s[0:3], 0 offen offset:12
	v_mov_b32_e32 v6, 0
	buffer_store_dword v6, off, s[0:3], 0 offset:320
	buffer_store_dword v6, off, s[0:3], 0 offset:324
	;; [unrolled: 1-line block ×4, first 2 shown]
	s_waitcnt vmcnt(4)
	ds_write_b128 v231, v[2:5]
.LBB93_153:
	s_or_b64 exec, exec, s[6:7]
	s_waitcnt lgkmcnt(0)
	; wave barrier
	s_waitcnt lgkmcnt(0)
	buffer_load_dword v36, off, s[0:3], 0 offset:344
	buffer_load_dword v37, off, s[0:3], 0 offset:348
	;; [unrolled: 1-line block ×40, first 2 shown]
	v_mov_b32_e32 v6, 0
	ds_read_b128 v[2:5], v6 offset:816
	ds_read_b128 v[8:11], v6 offset:832
	;; [unrolled: 1-line block ×9, first 2 shown]
	v_cmp_lt_u32_e32 vcc, 19, v230
	s_waitcnt vmcnt(38) lgkmcnt(8)
	v_mul_f64 v[116:117], v[2:3], v[36:37]
	v_mul_f64 v[36:37], v[4:5], v[36:37]
	s_waitcnt vmcnt(36) lgkmcnt(7)
	v_mul_f64 v[118:119], v[8:9], v[42:43]
	v_mul_f64 v[42:43], v[10:11], v[42:43]
	;; [unrolled: 3-line block ×3, first 2 shown]
	s_waitcnt vmcnt(32) lgkmcnt(4)
	v_mul_f64 v[124:125], v[20:21], v[46:47]
	s_waitcnt vmcnt(30)
	v_fmac_f64_e32 v[124:125], v[22:23], v[48:49]
	s_waitcnt vmcnt(28)
	v_mul_f64 v[122:123], v[16:17], v[50:51]
	v_mul_f64 v[50:51], v[18:19], v[50:51]
	s_waitcnt vmcnt(26) lgkmcnt(2)
	v_mul_f64 v[128:129], v[28:29], v[52:53]
	s_waitcnt vmcnt(24)
	v_fmac_f64_e32 v[128:129], v[30:31], v[54:55]
	s_waitcnt vmcnt(22)
	v_mul_f64 v[126:127], v[24:25], v[56:57]
	s_waitcnt vmcnt(18) lgkmcnt(1)
	v_mul_f64 v[130:131], v[32:33], v[62:63]
	s_waitcnt vmcnt(17) lgkmcnt(0)
	v_mul_f64 v[132:133], v[98:99], v[58:59]
	s_waitcnt vmcnt(15)
	v_fma_f64 v[2:3], v[2:3], v[64:65], -v[36:37]
	v_fmac_f64_e32 v[116:117], v[4:5], v[64:65]
	s_waitcnt vmcnt(13)
	v_fma_f64 v[4:5], v[8:9], v[102:103], -v[42:43]
	v_add_f64 v[2:3], v[2:3], 0
	s_waitcnt vmcnt(11)
	v_fma_f64 v[8:9], v[12:13], v[104:105], -v[44:45]
	v_add_f64 v[2:3], v[2:3], v[4:5]
	v_fmac_f64_e32 v[118:119], v[10:11], v[102:103]
	s_waitcnt vmcnt(9)
	v_fma_f64 v[10:11], v[16:17], v[106:107], -v[50:51]
	v_add_f64 v[2:3], v[2:3], v[8:9]
	v_mul_f64 v[8:9], v[22:23], v[46:47]
	v_add_f64 v[2:3], v[2:3], v[10:11]
	v_fma_f64 v[8:9], v[20:21], v[48:49], -v[8:9]
	v_add_f64 v[2:3], v[2:3], v[8:9]
	v_mul_f64 v[8:9], v[26:27], v[56:57]
	v_add_f64 v[12:13], v[116:117], 0
	s_waitcnt vmcnt(7)
	v_fma_f64 v[8:9], v[24:25], v[108:109], -v[8:9]
	v_fmac_f64_e32 v[120:121], v[14:15], v[104:105]
	v_add_f64 v[12:13], v[12:13], v[118:119]
	v_add_f64 v[2:3], v[2:3], v[8:9]
	v_mul_f64 v[8:9], v[30:31], v[52:53]
	v_fmac_f64_e32 v[122:123], v[18:19], v[106:107]
	v_add_f64 v[4:5], v[12:13], v[120:121]
	v_fma_f64 v[8:9], v[28:29], v[54:55], -v[8:9]
	v_add_f64 v[4:5], v[4:5], v[122:123]
	v_add_f64 v[2:3], v[2:3], v[8:9]
	v_mul_f64 v[8:9], v[34:35], v[62:63]
	v_fmac_f64_e32 v[126:127], v[26:27], v[108:109]
	v_add_f64 v[4:5], v[4:5], v[124:125]
	s_waitcnt vmcnt(5)
	v_fma_f64 v[8:9], v[32:33], v[110:111], -v[8:9]
	v_add_f64 v[4:5], v[4:5], v[126:127]
	v_add_f64 v[2:3], v[2:3], v[8:9]
	v_mul_f64 v[8:9], v[100:101], v[58:59]
	v_fmac_f64_e32 v[130:131], v[34:35], v[110:111]
	v_add_f64 v[4:5], v[4:5], v[128:129]
	s_waitcnt vmcnt(4)
	v_fma_f64 v[8:9], v[98:99], v[60:61], -v[8:9]
	v_fmac_f64_e32 v[132:133], v[100:101], v[60:61]
	v_add_f64 v[4:5], v[4:5], v[130:131]
	v_add_f64 v[2:3], v[2:3], v[8:9]
	;; [unrolled: 1-line block ×3, first 2 shown]
	s_waitcnt vmcnt(2)
	v_add_f64 v[2:3], v[112:113], -v[2:3]
	s_waitcnt vmcnt(0)
	v_add_f64 v[4:5], v[114:115], -v[4:5]
	buffer_store_dword v3, off, s[0:3], 0 offset:324
	buffer_store_dword v2, off, s[0:3], 0 offset:320
	buffer_store_dword v5, off, s[0:3], 0 offset:332
	buffer_store_dword v4, off, s[0:3], 0 offset:328
	s_and_saveexec_b64 s[6:7], vcc
	s_cbranch_execz .LBB93_155
; %bb.154:
	v_accvgpr_read_b32 v5, a58
	buffer_load_dword v2, v5, s[0:3], 0 offen
	buffer_load_dword v3, v5, s[0:3], 0 offen offset:4
	buffer_load_dword v4, v5, s[0:3], 0 offen offset:8
	s_nop 0
	buffer_load_dword v5, v5, s[0:3], 0 offen offset:12
	s_nop 0
	buffer_store_dword v6, off, s[0:3], 0 offset:304
	buffer_store_dword v6, off, s[0:3], 0 offset:308
	;; [unrolled: 1-line block ×4, first 2 shown]
	s_waitcnt vmcnt(4)
	ds_write_b128 v231, v[2:5]
.LBB93_155:
	s_or_b64 exec, exec, s[6:7]
	s_waitcnt lgkmcnt(0)
	; wave barrier
	s_waitcnt lgkmcnt(0)
	buffer_load_dword v4, off, s[0:3], 0 offset:320
	buffer_load_dword v5, off, s[0:3], 0 offset:324
	;; [unrolled: 1-line block ×44, first 2 shown]
	ds_read_b128 v[8:11], v6 offset:800
	ds_read_b128 v[12:15], v6 offset:816
	;; [unrolled: 1-line block ×10, first 2 shown]
	v_cmp_lt_u32_e32 vcc, 18, v230
	s_waitcnt vmcnt(40) lgkmcnt(9)
	v_mul_f64 v[6:7], v[8:9], v[36:37]
	v_mul_f64 v[36:37], v[10:11], v[36:37]
	s_waitcnt vmcnt(38) lgkmcnt(8)
	v_mul_f64 v[124:125], v[12:13], v[42:43]
	v_mul_f64 v[42:43], v[14:15], v[42:43]
	v_fmac_f64_e32 v[6:7], v[10:11], v[4:5]
	v_fma_f64 v[4:5], v[8:9], v[4:5], -v[36:37]
	s_waitcnt vmcnt(36) lgkmcnt(7)
	v_mul_f64 v[126:127], v[16:17], v[2:3]
	v_add_f64 v[4:5], v[4:5], 0
	v_mul_f64 v[2:3], v[18:19], v[2:3]
	v_add_f64 v[6:7], v[6:7], 0
	s_waitcnt vmcnt(30) lgkmcnt(6)
	v_mul_f64 v[128:129], v[20:21], v[48:49]
	s_waitcnt lgkmcnt(5)
	v_mul_f64 v[130:131], v[24:25], v[44:45]
	v_fmac_f64_e32 v[130:131], v[26:27], v[46:47]
	s_waitcnt vmcnt(28) lgkmcnt(3)
	v_mul_f64 v[134:135], v[32:33], v[50:51]
	s_waitcnt vmcnt(26)
	v_fmac_f64_e32 v[134:135], v[34:35], v[52:53]
	s_waitcnt vmcnt(24)
	v_mul_f64 v[132:133], v[28:29], v[54:55]
	s_waitcnt vmcnt(22) lgkmcnt(1)
	v_mul_f64 v[138:139], v[102:103], v[56:57]
	s_waitcnt vmcnt(20)
	v_fmac_f64_e32 v[138:139], v[104:105], v[58:59]
	s_waitcnt vmcnt(18)
	v_mul_f64 v[136:137], v[98:99], v[60:61]
	s_waitcnt vmcnt(16) lgkmcnt(0)
	v_mul_f64 v[140:141], v[106:107], v[62:63]
	s_waitcnt vmcnt(14)
	v_fma_f64 v[8:9], v[12:13], v[64:65], -v[42:43]
	v_add_f64 v[4:5], v[4:5], v[8:9]
	s_waitcnt vmcnt(12)
	v_fma_f64 v[2:3], v[16:17], v[110:111], -v[2:3]
	v_add_f64 v[2:3], v[4:5], v[2:3]
	v_mul_f64 v[4:5], v[22:23], v[48:49]
	s_waitcnt vmcnt(10)
	v_fma_f64 v[4:5], v[20:21], v[112:113], -v[4:5]
	v_add_f64 v[2:3], v[2:3], v[4:5]
	v_mul_f64 v[4:5], v[26:27], v[44:45]
	v_fma_f64 v[4:5], v[24:25], v[46:47], -v[4:5]
	v_add_f64 v[2:3], v[2:3], v[4:5]
	v_mul_f64 v[4:5], v[30:31], v[54:55]
	s_waitcnt vmcnt(8)
	v_fma_f64 v[4:5], v[28:29], v[114:115], -v[4:5]
	v_fmac_f64_e32 v[124:125], v[14:15], v[64:65]
	v_add_f64 v[2:3], v[2:3], v[4:5]
	v_mul_f64 v[4:5], v[34:35], v[50:51]
	v_fmac_f64_e32 v[126:127], v[18:19], v[110:111]
	v_add_f64 v[6:7], v[6:7], v[124:125]
	v_fma_f64 v[4:5], v[32:33], v[52:53], -v[4:5]
	v_fmac_f64_e32 v[128:129], v[22:23], v[112:113]
	v_add_f64 v[6:7], v[6:7], v[126:127]
	v_add_f64 v[2:3], v[2:3], v[4:5]
	v_mul_f64 v[4:5], v[100:101], v[60:61]
	v_add_f64 v[6:7], v[6:7], v[128:129]
	s_waitcnt vmcnt(6)
	v_fma_f64 v[4:5], v[98:99], v[116:117], -v[4:5]
	v_fmac_f64_e32 v[132:133], v[30:31], v[114:115]
	v_add_f64 v[6:7], v[6:7], v[130:131]
	v_add_f64 v[2:3], v[2:3], v[4:5]
	v_mul_f64 v[4:5], v[104:105], v[56:57]
	v_add_f64 v[6:7], v[6:7], v[132:133]
	v_fma_f64 v[4:5], v[102:103], v[58:59], -v[4:5]
	v_fmac_f64_e32 v[136:137], v[100:101], v[116:117]
	v_add_f64 v[6:7], v[6:7], v[134:135]
	v_add_f64 v[2:3], v[2:3], v[4:5]
	v_mul_f64 v[4:5], v[108:109], v[62:63]
	v_add_f64 v[6:7], v[6:7], v[136:137]
	s_waitcnt vmcnt(4)
	v_fma_f64 v[4:5], v[106:107], v[118:119], -v[4:5]
	v_fmac_f64_e32 v[140:141], v[108:109], v[118:119]
	v_add_f64 v[6:7], v[6:7], v[138:139]
	v_add_f64 v[2:3], v[2:3], v[4:5]
	;; [unrolled: 1-line block ×3, first 2 shown]
	s_waitcnt vmcnt(2)
	v_add_f64 v[2:3], v[120:121], -v[2:3]
	s_waitcnt vmcnt(0)
	v_add_f64 v[4:5], v[122:123], -v[6:7]
	buffer_store_dword v3, off, s[0:3], 0 offset:308
	buffer_store_dword v2, off, s[0:3], 0 offset:304
	;; [unrolled: 1-line block ×4, first 2 shown]
	s_and_saveexec_b64 s[6:7], vcc
	s_cbranch_execz .LBB93_157
; %bb.156:
	v_accvgpr_read_b32 v5, a59
	buffer_load_dword v2, v5, s[0:3], 0 offen
	buffer_load_dword v3, v5, s[0:3], 0 offen offset:4
	buffer_load_dword v4, v5, s[0:3], 0 offen offset:8
	s_nop 0
	buffer_load_dword v5, v5, s[0:3], 0 offen offset:12
	v_mov_b32_e32 v6, 0
	buffer_store_dword v6, off, s[0:3], 0 offset:288
	buffer_store_dword v6, off, s[0:3], 0 offset:292
	;; [unrolled: 1-line block ×4, first 2 shown]
	s_waitcnt vmcnt(4)
	ds_write_b128 v231, v[2:5]
.LBB93_157:
	s_or_b64 exec, exec, s[6:7]
	s_waitcnt lgkmcnt(0)
	; wave barrier
	s_waitcnt lgkmcnt(0)
	buffer_load_dword v2, off, s[0:3], 0 offset:304
	buffer_load_dword v3, off, s[0:3], 0 offset:308
	;; [unrolled: 1-line block ×48, first 2 shown]
	v_mov_b32_e32 v12, 0
	ds_read_b128 v[14:17], v12 offset:784
	ds_read_b128 v[18:21], v12 offset:800
	;; [unrolled: 1-line block ×11, first 2 shown]
	v_cmp_lt_u32_e32 vcc, 17, v230
	s_waitcnt vmcnt(44) lgkmcnt(10)
	v_mul_f64 v[132:133], v[14:15], v[6:7]
	v_mul_f64 v[6:7], v[16:17], v[6:7]
	v_fmac_f64_e32 v[132:133], v[16:17], v[2:3]
	v_fma_f64 v[2:3], v[14:15], v[2:3], -v[6:7]
	s_waitcnt vmcnt(40) lgkmcnt(9)
	v_mul_f64 v[134:135], v[18:19], v[8:9]
	v_mul_f64 v[6:7], v[20:21], v[8:9]
	v_fmac_f64_e32 v[134:135], v[20:21], v[4:5]
	v_add_f64 v[2:3], v[2:3], 0
	v_fma_f64 v[4:5], v[18:19], v[4:5], -v[6:7]
	v_add_f64 v[2:3], v[2:3], v[4:5]
	s_waitcnt vmcnt(38) lgkmcnt(8)
	v_mul_f64 v[4:5], v[24:25], v[10:11]
	v_mul_f64 v[136:137], v[22:23], v[10:11]
	v_add_f64 v[132:133], v[132:133], 0
	s_waitcnt vmcnt(32) lgkmcnt(7)
	v_mul_f64 v[138:139], v[26:27], v[46:47]
	v_add_f64 v[132:133], v[132:133], v[134:135]
	s_waitcnt lgkmcnt(6)
	v_mul_f64 v[140:141], v[30:31], v[42:43]
	v_fmac_f64_e32 v[140:141], v[32:33], v[44:45]
	s_waitcnt vmcnt(30) lgkmcnt(4)
	v_mul_f64 v[144:145], v[98:99], v[48:49]
	s_waitcnt vmcnt(26)
	v_mul_f64 v[142:143], v[34:35], v[52:53]
	v_fmac_f64_e32 v[144:145], v[100:101], v[50:51]
	s_waitcnt vmcnt(24) lgkmcnt(2)
	v_mul_f64 v[148:149], v[106:107], v[54:55]
	s_waitcnt vmcnt(22)
	v_fmac_f64_e32 v[148:149], v[108:109], v[56:57]
	s_waitcnt vmcnt(20)
	v_mul_f64 v[146:147], v[102:103], v[58:59]
	s_waitcnt vmcnt(16) lgkmcnt(1)
	v_mul_f64 v[150:151], v[110:111], v[64:65]
	s_waitcnt vmcnt(14)
	v_fma_f64 v[4:5], v[22:23], v[118:119], -v[4:5]
	v_add_f64 v[2:3], v[2:3], v[4:5]
	v_mul_f64 v[4:5], v[28:29], v[46:47]
	s_waitcnt vmcnt(12)
	v_fma_f64 v[4:5], v[26:27], v[120:121], -v[4:5]
	v_add_f64 v[2:3], v[2:3], v[4:5]
	v_mul_f64 v[4:5], v[32:33], v[42:43]
	v_fma_f64 v[4:5], v[30:31], v[44:45], -v[4:5]
	v_add_f64 v[2:3], v[2:3], v[4:5]
	v_mul_f64 v[4:5], v[36:37], v[52:53]
	s_waitcnt vmcnt(10)
	v_fma_f64 v[4:5], v[34:35], v[122:123], -v[4:5]
	v_add_f64 v[2:3], v[2:3], v[4:5]
	v_mul_f64 v[4:5], v[100:101], v[48:49]
	v_fma_f64 v[4:5], v[98:99], v[50:51], -v[4:5]
	v_fmac_f64_e32 v[136:137], v[24:25], v[118:119]
	v_add_f64 v[2:3], v[2:3], v[4:5]
	v_mul_f64 v[4:5], v[104:105], v[58:59]
	v_fmac_f64_e32 v[138:139], v[28:29], v[120:121]
	v_add_f64 v[132:133], v[132:133], v[136:137]
	s_waitcnt vmcnt(8)
	v_fma_f64 v[4:5], v[102:103], v[124:125], -v[4:5]
	v_add_f64 v[132:133], v[132:133], v[138:139]
	v_add_f64 v[2:3], v[2:3], v[4:5]
	v_mul_f64 v[4:5], v[108:109], v[54:55]
	v_fmac_f64_e32 v[142:143], v[36:37], v[122:123]
	v_add_f64 v[132:133], v[132:133], v[140:141]
	v_fma_f64 v[4:5], v[106:107], v[56:57], -v[4:5]
	v_add_f64 v[132:133], v[132:133], v[142:143]
	v_add_f64 v[2:3], v[2:3], v[4:5]
	v_mul_f64 v[4:5], v[112:113], v[64:65]
	v_fmac_f64_e32 v[146:147], v[104:105], v[124:125]
	v_add_f64 v[132:133], v[132:133], v[144:145]
	s_waitcnt vmcnt(6)
	v_fma_f64 v[4:5], v[110:111], v[126:127], -v[4:5]
	v_add_f64 v[132:133], v[132:133], v[146:147]
	v_add_f64 v[2:3], v[2:3], v[4:5]
	s_waitcnt vmcnt(5) lgkmcnt(0)
	v_mul_f64 v[4:5], v[116:117], v[60:61]
	v_fmac_f64_e32 v[150:151], v[112:113], v[126:127]
	v_add_f64 v[132:133], v[132:133], v[148:149]
	v_mul_f64 v[134:135], v[114:115], v[60:61]
	s_waitcnt vmcnt(4)
	v_fma_f64 v[4:5], v[114:115], v[62:63], -v[4:5]
	v_add_f64 v[132:133], v[132:133], v[150:151]
	v_fmac_f64_e32 v[134:135], v[116:117], v[62:63]
	v_add_f64 v[2:3], v[2:3], v[4:5]
	v_add_f64 v[132:133], v[132:133], v[134:135]
	s_waitcnt vmcnt(2)
	v_add_f64 v[2:3], v[128:129], -v[2:3]
	s_waitcnt vmcnt(0)
	v_add_f64 v[4:5], v[130:131], -v[132:133]
	buffer_store_dword v3, off, s[0:3], 0 offset:292
	buffer_store_dword v2, off, s[0:3], 0 offset:288
	;; [unrolled: 1-line block ×4, first 2 shown]
	s_and_saveexec_b64 s[6:7], vcc
	s_cbranch_execz .LBB93_159
; %bb.158:
	v_accvgpr_read_b32 v5, a60
	buffer_load_dword v2, v5, s[0:3], 0 offen
	buffer_load_dword v3, v5, s[0:3], 0 offen offset:4
	buffer_load_dword v4, v5, s[0:3], 0 offen offset:8
	s_nop 0
	buffer_load_dword v5, v5, s[0:3], 0 offen offset:12
	s_nop 0
	buffer_store_dword v12, off, s[0:3], 0 offset:272
	buffer_store_dword v12, off, s[0:3], 0 offset:276
	buffer_store_dword v12, off, s[0:3], 0 offset:280
	buffer_store_dword v12, off, s[0:3], 0 offset:284
	s_waitcnt vmcnt(4)
	ds_write_b128 v231, v[2:5]
.LBB93_159:
	s_or_b64 exec, exec, s[6:7]
	s_waitcnt lgkmcnt(0)
	; wave barrier
	s_waitcnt lgkmcnt(0)
	buffer_load_dword v2, off, s[0:3], 0 offset:288
	buffer_load_dword v3, off, s[0:3], 0 offset:292
	;; [unrolled: 1-line block ×52, first 2 shown]
	ds_read_b128 v[14:17], v12 offset:768
	ds_read_b128 v[18:21], v12 offset:784
	ds_read_b128 v[22:25], v12 offset:800
	ds_read_b128 v[26:29], v12 offset:816
	ds_read_b128 v[30:33], v12 offset:832
	ds_read_b128 v[34:37], v12 offset:848
	ds_read_b128 v[98:101], v12 offset:864
	ds_read_b128 v[102:105], v12 offset:880
	ds_read_b128 v[106:109], v12 offset:896
	ds_read_b128 v[110:113], v12 offset:912
	v_cmp_lt_u32_e32 vcc, 16, v230
	s_waitcnt vmcnt(48) lgkmcnt(9)
	v_mul_f64 v[114:115], v[14:15], v[6:7]
	v_mul_f64 v[6:7], v[16:17], v[6:7]
	v_fmac_f64_e32 v[114:115], v[16:17], v[2:3]
	v_fma_f64 v[2:3], v[14:15], v[2:3], -v[6:7]
	s_waitcnt vmcnt(44) lgkmcnt(8)
	v_mul_f64 v[116:117], v[18:19], v[8:9]
	v_mul_f64 v[6:7], v[20:21], v[8:9]
	v_fmac_f64_e32 v[116:117], v[20:21], v[4:5]
	v_add_f64 v[2:3], v[2:3], 0
	v_fma_f64 v[4:5], v[18:19], v[4:5], -v[6:7]
	v_add_f64 v[2:3], v[2:3], v[4:5]
	s_waitcnt vmcnt(42) lgkmcnt(7)
	v_mul_f64 v[4:5], v[24:25], v[10:11]
	v_mul_f64 v[118:119], v[22:23], v[10:11]
	v_add_f64 v[114:115], v[114:115], 0
	s_waitcnt vmcnt(36) lgkmcnt(6)
	v_mul_f64 v[120:121], v[26:27], v[46:47]
	v_add_f64 v[114:115], v[114:115], v[116:117]
	s_waitcnt lgkmcnt(5)
	v_mul_f64 v[140:141], v[30:31], v[42:43]
	v_fmac_f64_e32 v[140:141], v[32:33], v[44:45]
	s_waitcnt vmcnt(34) lgkmcnt(3)
	v_mul_f64 v[144:145], v[98:99], v[48:49]
	s_waitcnt vmcnt(30)
	v_mul_f64 v[142:143], v[34:35], v[52:53]
	v_fmac_f64_e32 v[144:145], v[100:101], v[50:51]
	s_waitcnt vmcnt(26) lgkmcnt(2)
	v_mul_f64 v[146:147], v[102:103], v[58:59]
	s_waitcnt vmcnt(25) lgkmcnt(1)
	v_mul_f64 v[148:149], v[106:107], v[54:55]
	s_waitcnt vmcnt(23)
	v_fma_f64 v[4:5], v[22:23], v[60:61], -v[4:5]
	v_add_f64 v[2:3], v[2:3], v[4:5]
	v_mul_f64 v[4:5], v[28:29], v[46:47]
	s_waitcnt vmcnt(21)
	v_fma_f64 v[4:5], v[26:27], v[62:63], -v[4:5]
	v_fmac_f64_e32 v[118:119], v[24:25], v[60:61]
	v_add_f64 v[2:3], v[2:3], v[4:5]
	v_mul_f64 v[4:5], v[32:33], v[42:43]
	v_fmac_f64_e32 v[120:121], v[28:29], v[62:63]
	v_add_f64 v[114:115], v[114:115], v[118:119]
	v_fma_f64 v[4:5], v[30:31], v[44:45], -v[4:5]
	v_add_f64 v[114:115], v[114:115], v[120:121]
	v_add_f64 v[2:3], v[2:3], v[4:5]
	v_mul_f64 v[4:5], v[36:37], v[52:53]
	s_waitcnt vmcnt(19)
	v_fmac_f64_e32 v[142:143], v[36:37], v[64:65]
	v_add_f64 v[114:115], v[114:115], v[140:141]
	v_fma_f64 v[4:5], v[34:35], v[64:65], -v[4:5]
	v_add_f64 v[114:115], v[114:115], v[142:143]
	v_add_f64 v[2:3], v[2:3], v[4:5]
	v_mul_f64 v[4:5], v[100:101], v[48:49]
	s_waitcnt vmcnt(17)
	v_fmac_f64_e32 v[146:147], v[104:105], v[122:123]
	v_add_f64 v[114:115], v[114:115], v[144:145]
	v_fma_f64 v[4:5], v[98:99], v[50:51], -v[4:5]
	s_waitcnt vmcnt(16)
	v_fmac_f64_e32 v[148:149], v[108:109], v[56:57]
	v_add_f64 v[114:115], v[114:115], v[146:147]
	v_add_f64 v[2:3], v[2:3], v[4:5]
	v_mul_f64 v[4:5], v[104:105], v[58:59]
	v_add_f64 v[140:141], v[114:115], v[148:149]
	ds_read_b128 v[114:117], v12 offset:928
	ds_read_b128 v[118:121], v12 offset:944
	v_fma_f64 v[4:5], v[102:103], v[122:123], -v[4:5]
	v_add_f64 v[2:3], v[2:3], v[4:5]
	v_mul_f64 v[4:5], v[108:109], v[54:55]
	v_fma_f64 v[4:5], v[106:107], v[56:57], -v[4:5]
	v_add_f64 v[2:3], v[2:3], v[4:5]
	s_waitcnt vmcnt(12) lgkmcnt(2)
	v_mul_f64 v[4:5], v[112:113], v[128:129]
	v_mul_f64 v[142:143], v[110:111], v[128:129]
	s_waitcnt vmcnt(10)
	v_fma_f64 v[4:5], v[110:111], v[130:131], -v[4:5]
	v_fmac_f64_e32 v[142:143], v[112:113], v[130:131]
	v_add_f64 v[2:3], v[2:3], v[4:5]
	s_waitcnt vmcnt(8) lgkmcnt(1)
	v_mul_f64 v[4:5], v[116:117], v[124:125]
	v_add_f64 v[12:13], v[140:141], v[142:143]
	v_mul_f64 v[140:141], v[114:115], v[124:125]
	v_fma_f64 v[4:5], v[114:115], v[126:127], -v[4:5]
	v_fmac_f64_e32 v[140:141], v[116:117], v[126:127]
	v_add_f64 v[2:3], v[2:3], v[4:5]
	s_waitcnt vmcnt(6) lgkmcnt(0)
	v_mul_f64 v[4:5], v[120:121], v[132:133]
	v_add_f64 v[12:13], v[12:13], v[140:141]
	v_mul_f64 v[140:141], v[118:119], v[132:133]
	s_waitcnt vmcnt(4)
	v_fma_f64 v[4:5], v[118:119], v[134:135], -v[4:5]
	v_fmac_f64_e32 v[140:141], v[120:121], v[134:135]
	v_add_f64 v[2:3], v[2:3], v[4:5]
	v_add_f64 v[12:13], v[12:13], v[140:141]
	s_waitcnt vmcnt(2)
	v_add_f64 v[2:3], v[136:137], -v[2:3]
	s_waitcnt vmcnt(0)
	v_add_f64 v[4:5], v[138:139], -v[12:13]
	buffer_store_dword v3, off, s[0:3], 0 offset:276
	buffer_store_dword v2, off, s[0:3], 0 offset:272
	;; [unrolled: 1-line block ×4, first 2 shown]
	s_and_saveexec_b64 s[6:7], vcc
	s_cbranch_execz .LBB93_161
; %bb.160:
	v_accvgpr_read_b32 v5, a61
	buffer_load_dword v2, v5, s[0:3], 0 offen
	buffer_load_dword v3, v5, s[0:3], 0 offen offset:4
	buffer_load_dword v4, v5, s[0:3], 0 offen offset:8
	s_nop 0
	buffer_load_dword v5, v5, s[0:3], 0 offen offset:12
	v_mov_b32_e32 v6, 0
	buffer_store_dword v6, off, s[0:3], 0 offset:256
	buffer_store_dword v6, off, s[0:3], 0 offset:260
	;; [unrolled: 1-line block ×4, first 2 shown]
	s_waitcnt vmcnt(4)
	ds_write_b128 v231, v[2:5]
.LBB93_161:
	s_or_b64 exec, exec, s[6:7]
	s_waitcnt lgkmcnt(0)
	; wave barrier
	s_waitcnt lgkmcnt(0)
	buffer_load_dword v2, off, s[0:3], 0 offset:272
	buffer_load_dword v3, off, s[0:3], 0 offset:276
	;; [unrolled: 1-line block ×56, first 2 shown]
	v_mov_b32_e32 v24, 0
	ds_read_b128 v[18:21], v24 offset:752
	ds_read_b128 v[26:29], v24 offset:768
	;; [unrolled: 1-line block ×9, first 2 shown]
	v_cmp_lt_u32_e32 vcc, 15, v230
	s_waitcnt vmcnt(52) lgkmcnt(8)
	v_mul_f64 v[114:115], v[18:19], v[6:7]
	v_fmac_f64_e32 v[114:115], v[20:21], v[2:3]
	v_mul_f64 v[6:7], v[20:21], v[6:7]
	v_add_f64 v[114:115], v[114:115], 0
	s_waitcnt vmcnt(48) lgkmcnt(7)
	v_mul_f64 v[116:117], v[26:27], v[8:9]
	v_fmac_f64_e32 v[116:117], v[28:29], v[4:5]
	s_waitcnt vmcnt(46) lgkmcnt(6)
	v_mul_f64 v[118:119], v[30:31], v[10:11]
	v_fma_f64 v[2:3], v[18:19], v[2:3], -v[6:7]
	v_mul_f64 v[6:7], v[28:29], v[8:9]
	v_add_f64 v[114:115], v[114:115], v[116:117]
	v_add_f64 v[2:3], v[2:3], 0
	v_fma_f64 v[4:5], v[26:27], v[4:5], -v[6:7]
	s_waitcnt vmcnt(40) lgkmcnt(5)
	v_mul_f64 v[120:121], v[34:35], v[16:17]
	s_waitcnt lgkmcnt(4)
	v_mul_f64 v[122:123], v[98:99], v[12:13]
	v_add_f64 v[2:3], v[2:3], v[4:5]
	v_mul_f64 v[4:5], v[32:33], v[10:11]
	s_waitcnt vmcnt(36) lgkmcnt(3)
	v_mul_f64 v[124:125], v[102:103], v[44:45]
	v_fmac_f64_e32 v[122:123], v[100:101], v[14:15]
	s_waitcnt vmcnt(35) lgkmcnt(2)
	v_mul_f64 v[126:127], v[106:107], v[22:23]
	s_waitcnt vmcnt(33)
	v_fmac_f64_e32 v[118:119], v[32:33], v[46:47]
	v_add_f64 v[114:115], v[114:115], v[118:119]
	s_waitcnt vmcnt(31)
	v_fmac_f64_e32 v[120:121], v[36:37], v[48:49]
	v_add_f64 v[114:115], v[114:115], v[120:121]
	v_fma_f64 v[4:5], v[30:31], v[46:47], -v[4:5]
	s_waitcnt vmcnt(29)
	v_fmac_f64_e32 v[124:125], v[104:105], v[50:51]
	v_add_f64 v[114:115], v[114:115], v[122:123]
	v_add_f64 v[2:3], v[2:3], v[4:5]
	v_mul_f64 v[4:5], v[36:37], v[16:17]
	s_waitcnt vmcnt(28)
	v_fmac_f64_e32 v[126:127], v[108:109], v[42:43]
	v_add_f64 v[114:115], v[114:115], v[124:125]
	v_fma_f64 v[4:5], v[34:35], v[48:49], -v[4:5]
	v_add_f64 v[118:119], v[114:115], v[126:127]
	ds_read_b128 v[114:117], v24 offset:880
	s_waitcnt vmcnt(24) lgkmcnt(2)
	v_mul_f64 v[120:121], v[110:111], v[56:57]
	v_add_f64 v[2:3], v[2:3], v[4:5]
	v_mul_f64 v[4:5], v[100:101], v[12:13]
	s_waitcnt vmcnt(22)
	v_fmac_f64_e32 v[120:121], v[112:113], v[58:59]
	v_fma_f64 v[4:5], v[98:99], v[14:15], -v[4:5]
	v_add_f64 v[122:123], v[118:119], v[120:121]
	ds_read_b128 v[118:121], v24 offset:896
	v_add_f64 v[2:3], v[2:3], v[4:5]
	v_mul_f64 v[4:5], v[104:105], v[44:45]
	v_fma_f64 v[4:5], v[102:103], v[50:51], -v[4:5]
	v_add_f64 v[2:3], v[2:3], v[4:5]
	v_mul_f64 v[4:5], v[108:109], v[22:23]
	s_waitcnt vmcnt(20) lgkmcnt(1)
	v_mul_f64 v[124:125], v[114:115], v[52:53]
	v_fma_f64 v[4:5], v[106:107], v[42:43], -v[4:5]
	v_fmac_f64_e32 v[124:125], v[116:117], v[54:55]
	v_add_f64 v[2:3], v[2:3], v[4:5]
	v_mul_f64 v[4:5], v[112:113], v[56:57]
	v_add_f64 v[126:127], v[122:123], v[124:125]
	ds_read_b128 v[122:125], v24 offset:912
	s_waitcnt vmcnt(16) lgkmcnt(1)
	v_mul_f64 v[128:129], v[118:119], v[64:65]
	v_fma_f64 v[4:5], v[110:111], v[58:59], -v[4:5]
	s_waitcnt vmcnt(14)
	v_fmac_f64_e32 v[128:129], v[120:121], v[134:135]
	v_add_f64 v[2:3], v[2:3], v[4:5]
	v_mul_f64 v[4:5], v[116:117], v[52:53]
	v_add_f64 v[148:149], v[126:127], v[128:129]
	ds_read_b128 v[126:129], v24 offset:928
	v_fma_f64 v[4:5], v[114:115], v[54:55], -v[4:5]
	v_add_f64 v[2:3], v[2:3], v[4:5]
	v_mul_f64 v[4:5], v[120:121], v[64:65]
	v_fma_f64 v[4:5], v[118:119], v[134:135], -v[4:5]
	v_add_f64 v[2:3], v[2:3], v[4:5]
	s_waitcnt vmcnt(12) lgkmcnt(1)
	v_mul_f64 v[4:5], v[124:125], v[60:61]
	v_mul_f64 v[150:151], v[122:123], v[60:61]
	v_fma_f64 v[4:5], v[122:123], v[62:63], -v[4:5]
	v_fmac_f64_e32 v[150:151], v[124:125], v[62:63]
	v_add_f64 v[2:3], v[2:3], v[4:5]
	s_waitcnt vmcnt(8) lgkmcnt(0)
	v_mul_f64 v[4:5], v[128:129], v[140:141]
	v_add_f64 v[148:149], v[148:149], v[150:151]
	v_mul_f64 v[150:151], v[126:127], v[140:141]
	s_waitcnt vmcnt(6)
	v_fma_f64 v[4:5], v[126:127], v[142:143], -v[4:5]
	v_fmac_f64_e32 v[150:151], v[128:129], v[142:143]
	v_add_f64 v[2:3], v[2:3], v[4:5]
	s_waitcnt vmcnt(5)
	v_mul_f64 v[4:5], v[132:133], v[136:137]
	v_add_f64 v[148:149], v[148:149], v[150:151]
	v_mul_f64 v[150:151], v[130:131], v[136:137]
	s_waitcnt vmcnt(4)
	v_fma_f64 v[4:5], v[130:131], v[138:139], -v[4:5]
	v_fmac_f64_e32 v[150:151], v[132:133], v[138:139]
	v_add_f64 v[2:3], v[2:3], v[4:5]
	v_add_f64 v[148:149], v[148:149], v[150:151]
	s_waitcnt vmcnt(2)
	v_add_f64 v[2:3], v[144:145], -v[2:3]
	s_waitcnt vmcnt(0)
	v_add_f64 v[4:5], v[146:147], -v[148:149]
	buffer_store_dword v3, off, s[0:3], 0 offset:260
	buffer_store_dword v2, off, s[0:3], 0 offset:256
	;; [unrolled: 1-line block ×4, first 2 shown]
	s_and_saveexec_b64 s[6:7], vcc
	s_cbranch_execz .LBB93_163
; %bb.162:
	v_accvgpr_read_b32 v5, a62
	buffer_load_dword v2, v5, s[0:3], 0 offen
	buffer_load_dword v3, v5, s[0:3], 0 offen offset:4
	buffer_load_dword v4, v5, s[0:3], 0 offen offset:8
	s_nop 0
	buffer_load_dword v5, v5, s[0:3], 0 offen offset:12
	s_nop 0
	buffer_store_dword v24, off, s[0:3], 0 offset:240
	buffer_store_dword v24, off, s[0:3], 0 offset:244
	;; [unrolled: 1-line block ×4, first 2 shown]
	s_waitcnt vmcnt(4)
	ds_write_b128 v231, v[2:5]
.LBB93_163:
	s_or_b64 exec, exec, s[6:7]
	s_waitcnt lgkmcnt(0)
	; wave barrier
	s_waitcnt lgkmcnt(0)
	buffer_load_dword v2, off, s[0:3], 0 offset:256
	buffer_load_dword v3, off, s[0:3], 0 offset:260
	;; [unrolled: 1-line block ×60, first 2 shown]
	ds_read_b128 v[26:29], v24 offset:736
	ds_read_b128 v[30:33], v24 offset:752
	;; [unrolled: 1-line block ×8, first 2 shown]
	v_cmp_lt_u32_e32 vcc, 14, v230
	ds_read_b128 v[138:141], v24 offset:944
	s_waitcnt vmcnt(56) lgkmcnt(8)
	v_mul_f64 v[118:119], v[26:27], v[6:7]
	v_fmac_f64_e32 v[118:119], v[28:29], v[2:3]
	v_add_f64 v[118:119], v[118:119], 0
	v_mul_f64 v[6:7], v[28:29], v[6:7]
	s_waitcnt vmcnt(52) lgkmcnt(7)
	v_mul_f64 v[120:121], v[30:31], v[8:9]
	v_fmac_f64_e32 v[120:121], v[32:33], v[4:5]
	s_waitcnt vmcnt(50) lgkmcnt(6)
	v_mul_f64 v[122:123], v[34:35], v[10:11]
	v_add_f64 v[118:119], v[118:119], v[120:121]
	s_waitcnt vmcnt(48) lgkmcnt(4)
	v_mul_f64 v[126:127], v[102:103], v[12:13]
	v_fma_f64 v[2:3], v[26:27], v[2:3], -v[6:7]
	s_waitcnt vmcnt(46)
	v_fmac_f64_e32 v[126:127], v[104:105], v[14:15]
	v_mul_f64 v[6:7], v[32:33], v[8:9]
	s_waitcnt vmcnt(44)
	v_mul_f64 v[124:125], v[98:99], v[16:17]
	v_add_f64 v[2:3], v[2:3], 0
	v_fma_f64 v[4:5], v[30:31], v[4:5], -v[6:7]
	v_add_f64 v[2:3], v[2:3], v[4:5]
	s_waitcnt vmcnt(40) lgkmcnt(3)
	v_mul_f64 v[128:129], v[106:107], v[22:23]
	v_mul_f64 v[4:5], v[36:37], v[10:11]
	s_waitcnt vmcnt(38)
	v_fmac_f64_e32 v[122:123], v[36:37], v[42:43]
	v_add_f64 v[118:119], v[118:119], v[122:123]
	s_waitcnt vmcnt(36)
	v_fmac_f64_e32 v[124:125], v[100:101], v[44:45]
	v_add_f64 v[118:119], v[118:119], v[124:125]
	;; [unrolled: 3-line block ×3, first 2 shown]
	s_waitcnt vmcnt(32) lgkmcnt(2)
	v_mul_f64 v[120:121], v[110:111], v[18:19]
	v_add_f64 v[118:119], v[118:119], v[128:129]
	v_fmac_f64_e32 v[120:121], v[112:113], v[20:21]
	v_add_f64 v[122:123], v[118:119], v[120:121]
	ds_read_b128 v[118:121], v24 offset:864
	v_fma_f64 v[4:5], v[34:35], v[42:43], -v[4:5]
	v_add_f64 v[2:3], v[2:3], v[4:5]
	v_mul_f64 v[4:5], v[100:101], v[16:17]
	v_fma_f64 v[4:5], v[98:99], v[44:45], -v[4:5]
	s_waitcnt vmcnt(28) lgkmcnt(2)
	v_mul_f64 v[124:125], v[114:115], v[52:53]
	v_add_f64 v[2:3], v[2:3], v[4:5]
	v_mul_f64 v[4:5], v[104:105], v[12:13]
	s_waitcnt vmcnt(26)
	v_fmac_f64_e32 v[124:125], v[116:117], v[54:55]
	v_fma_f64 v[4:5], v[102:103], v[14:15], -v[4:5]
	v_add_f64 v[126:127], v[122:123], v[124:125]
	ds_read_b128 v[122:125], v24 offset:880
	s_waitcnt vmcnt(24) lgkmcnt(1)
	v_mul_f64 v[128:129], v[118:119], v[48:49]
	v_add_f64 v[2:3], v[2:3], v[4:5]
	v_mul_f64 v[4:5], v[108:109], v[22:23]
	v_fmac_f64_e32 v[128:129], v[120:121], v[50:51]
	v_fma_f64 v[4:5], v[106:107], v[46:47], -v[4:5]
	v_add_f64 v[130:131], v[126:127], v[128:129]
	ds_read_b128 v[126:129], v24 offset:896
	v_add_f64 v[2:3], v[2:3], v[4:5]
	v_mul_f64 v[4:5], v[112:113], v[18:19]
	v_fma_f64 v[4:5], v[110:111], v[20:21], -v[4:5]
	v_add_f64 v[2:3], v[2:3], v[4:5]
	v_mul_f64 v[4:5], v[116:117], v[52:53]
	s_waitcnt vmcnt(20) lgkmcnt(1)
	v_mul_f64 v[132:133], v[122:123], v[60:61]
	v_fma_f64 v[4:5], v[114:115], v[54:55], -v[4:5]
	s_waitcnt vmcnt(18)
	v_fmac_f64_e32 v[132:133], v[124:125], v[62:63]
	v_add_f64 v[2:3], v[2:3], v[4:5]
	v_mul_f64 v[4:5], v[120:121], v[48:49]
	v_add_f64 v[134:135], v[130:131], v[132:133]
	ds_read_b128 v[130:133], v24 offset:912
	s_waitcnt vmcnt(16) lgkmcnt(1)
	v_mul_f64 v[136:137], v[126:127], v[56:57]
	v_fma_f64 v[4:5], v[118:119], v[50:51], -v[4:5]
	v_fmac_f64_e32 v[136:137], v[128:129], v[58:59]
	v_add_f64 v[2:3], v[2:3], v[4:5]
	v_mul_f64 v[4:5], v[124:125], v[60:61]
	v_add_f64 v[156:157], v[134:135], v[136:137]
	ds_read_b128 v[134:137], v24 offset:928
	v_fma_f64 v[4:5], v[122:123], v[62:63], -v[4:5]
	v_add_f64 v[2:3], v[2:3], v[4:5]
	v_mul_f64 v[4:5], v[128:129], v[56:57]
	v_fma_f64 v[4:5], v[126:127], v[58:59], -v[4:5]
	v_add_f64 v[2:3], v[2:3], v[4:5]
	s_waitcnt vmcnt(12) lgkmcnt(1)
	v_mul_f64 v[4:5], v[132:133], v[144:145]
	v_mul_f64 v[158:159], v[130:131], v[144:145]
	s_waitcnt vmcnt(10)
	v_fma_f64 v[4:5], v[130:131], v[146:147], -v[4:5]
	v_fmac_f64_e32 v[158:159], v[132:133], v[146:147]
	v_add_f64 v[2:3], v[2:3], v[4:5]
	s_waitcnt vmcnt(8) lgkmcnt(0)
	v_mul_f64 v[4:5], v[136:137], v[64:65]
	v_add_f64 v[24:25], v[156:157], v[158:159]
	v_mul_f64 v[156:157], v[134:135], v[64:65]
	v_fma_f64 v[4:5], v[134:135], v[142:143], -v[4:5]
	v_fmac_f64_e32 v[156:157], v[136:137], v[142:143]
	v_add_f64 v[2:3], v[2:3], v[4:5]
	s_waitcnt vmcnt(6)
	v_mul_f64 v[4:5], v[140:141], v[148:149]
	v_add_f64 v[24:25], v[24:25], v[156:157]
	v_mul_f64 v[156:157], v[138:139], v[148:149]
	s_waitcnt vmcnt(4)
	v_fma_f64 v[4:5], v[138:139], v[150:151], -v[4:5]
	v_fmac_f64_e32 v[156:157], v[140:141], v[150:151]
	v_add_f64 v[2:3], v[2:3], v[4:5]
	v_add_f64 v[24:25], v[24:25], v[156:157]
	s_waitcnt vmcnt(2)
	v_add_f64 v[2:3], v[152:153], -v[2:3]
	s_waitcnt vmcnt(0)
	v_add_f64 v[4:5], v[154:155], -v[24:25]
	buffer_store_dword v3, off, s[0:3], 0 offset:244
	buffer_store_dword v2, off, s[0:3], 0 offset:240
	;; [unrolled: 1-line block ×4, first 2 shown]
	s_and_saveexec_b64 s[6:7], vcc
	s_cbranch_execz .LBB93_165
; %bb.164:
	v_accvgpr_read_b32 v5, a63
	buffer_load_dword v2, v5, s[0:3], 0 offen
	buffer_load_dword v3, v5, s[0:3], 0 offen offset:4
	buffer_load_dword v4, v5, s[0:3], 0 offen offset:8
	s_nop 0
	buffer_load_dword v5, v5, s[0:3], 0 offen offset:12
	v_mov_b32_e32 v6, 0
	buffer_store_dword v6, off, s[0:3], 0 offset:224
	buffer_store_dword v6, off, s[0:3], 0 offset:228
	;; [unrolled: 1-line block ×4, first 2 shown]
	s_waitcnt vmcnt(4)
	ds_write_b128 v231, v[2:5]
.LBB93_165:
	s_or_b64 exec, exec, s[6:7]
	s_waitcnt lgkmcnt(0)
	; wave barrier
	s_waitcnt lgkmcnt(0)
	buffer_load_dword v2, off, s[0:3], 0 offset:240
	buffer_load_dword v3, off, s[0:3], 0 offset:244
	;; [unrolled: 1-line block ×64, first 2 shown]
	v_mov_b32_e32 v98, 0
	ds_read_b128 v[30:33], v98 offset:720
	ds_read_b128 v[34:37], v98 offset:736
	;; [unrolled: 1-line block ×7, first 2 shown]
	v_cmp_lt_u32_e32 vcc, 13, v230
	s_waitcnt vmcnt(60) lgkmcnt(6)
	v_mul_f64 v[116:117], v[30:31], v[6:7]
	v_fmac_f64_e32 v[116:117], v[32:33], v[2:3]
	v_add_f64 v[116:117], v[116:117], 0
	v_mul_f64 v[6:7], v[32:33], v[6:7]
	s_waitcnt vmcnt(56) lgkmcnt(5)
	v_mul_f64 v[118:119], v[34:35], v[8:9]
	v_fmac_f64_e32 v[118:119], v[36:37], v[4:5]
	s_waitcnt vmcnt(54) lgkmcnt(4)
	v_mul_f64 v[120:121], v[100:101], v[10:11]
	v_add_f64 v[116:117], v[116:117], v[118:119]
	v_fma_f64 v[2:3], v[30:31], v[2:3], -v[6:7]
	v_mul_f64 v[6:7], v[36:37], v[8:9]
	s_waitcnt vmcnt(50) lgkmcnt(3)
	v_mul_f64 v[122:123], v[104:105], v[16:17]
	s_waitcnt vmcnt(49) lgkmcnt(2)
	v_mul_f64 v[124:125], v[108:109], v[12:13]
	v_add_f64 v[2:3], v[2:3], 0
	s_waitcnt vmcnt(47)
	v_fmac_f64_e32 v[120:121], v[102:103], v[20:21]
	v_add_f64 v[116:117], v[116:117], v[120:121]
	s_waitcnt vmcnt(45)
	v_fmac_f64_e32 v[122:123], v[106:107], v[18:19]
	v_add_f64 v[116:117], v[116:117], v[122:123]
	s_waitcnt vmcnt(44)
	v_fmac_f64_e32 v[124:125], v[110:111], v[14:15]
	v_add_f64 v[120:121], v[116:117], v[124:125]
	ds_read_b128 v[116:119], v98 offset:816
	s_waitcnt vmcnt(40) lgkmcnt(2)
	v_mul_f64 v[122:123], v[112:113], v[26:27]
	v_fma_f64 v[4:5], v[34:35], v[4:5], -v[6:7]
	s_waitcnt vmcnt(38)
	v_fmac_f64_e32 v[122:123], v[114:115], v[28:29]
	v_add_f64 v[124:125], v[120:121], v[122:123]
	ds_read_b128 v[120:123], v98 offset:832
	s_waitcnt vmcnt(36) lgkmcnt(1)
	v_mul_f64 v[126:127], v[116:117], v[22:23]
	v_fmac_f64_e32 v[126:127], v[118:119], v[24:25]
	v_add_f64 v[2:3], v[2:3], v[4:5]
	v_mul_f64 v[4:5], v[102:103], v[10:11]
	v_add_f64 v[128:129], v[124:125], v[126:127]
	ds_read_b128 v[124:127], v98 offset:848
	s_waitcnt vmcnt(32) lgkmcnt(1)
	v_mul_f64 v[130:131], v[120:121], v[46:47]
	v_fma_f64 v[4:5], v[100:101], v[20:21], -v[4:5]
	s_waitcnt vmcnt(30)
	v_fmac_f64_e32 v[130:131], v[122:123], v[48:49]
	v_add_f64 v[2:3], v[2:3], v[4:5]
	v_mul_f64 v[4:5], v[106:107], v[16:17]
	v_add_f64 v[132:133], v[128:129], v[130:131]
	ds_read_b128 v[128:131], v98 offset:864
	v_fma_f64 v[4:5], v[104:105], v[18:19], -v[4:5]
	v_add_f64 v[2:3], v[2:3], v[4:5]
	v_mul_f64 v[4:5], v[110:111], v[12:13]
	v_fma_f64 v[4:5], v[108:109], v[14:15], -v[4:5]
	s_waitcnt vmcnt(28) lgkmcnt(1)
	v_mul_f64 v[134:135], v[124:125], v[42:43]
	v_add_f64 v[2:3], v[2:3], v[4:5]
	v_mul_f64 v[4:5], v[114:115], v[26:27]
	v_fmac_f64_e32 v[134:135], v[126:127], v[44:45]
	v_fma_f64 v[4:5], v[112:113], v[28:29], -v[4:5]
	v_add_f64 v[136:137], v[132:133], v[134:135]
	ds_read_b128 v[132:135], v98 offset:880
	s_waitcnt vmcnt(24) lgkmcnt(1)
	v_mul_f64 v[138:139], v[128:129], v[54:55]
	v_add_f64 v[2:3], v[2:3], v[4:5]
	v_mul_f64 v[4:5], v[118:119], v[22:23]
	s_waitcnt vmcnt(22)
	v_fmac_f64_e32 v[138:139], v[130:131], v[56:57]
	v_fma_f64 v[4:5], v[116:117], v[24:25], -v[4:5]
	v_add_f64 v[140:141], v[136:137], v[138:139]
	ds_read_b128 v[136:139], v98 offset:896
	v_add_f64 v[2:3], v[2:3], v[4:5]
	v_mul_f64 v[4:5], v[122:123], v[46:47]
	v_fma_f64 v[4:5], v[120:121], v[48:49], -v[4:5]
	v_add_f64 v[2:3], v[2:3], v[4:5]
	v_mul_f64 v[4:5], v[126:127], v[42:43]
	s_waitcnt vmcnt(20) lgkmcnt(1)
	v_mul_f64 v[142:143], v[132:133], v[50:51]
	v_fma_f64 v[4:5], v[124:125], v[44:45], -v[4:5]
	v_fmac_f64_e32 v[142:143], v[134:135], v[52:53]
	v_add_f64 v[2:3], v[2:3], v[4:5]
	v_mul_f64 v[4:5], v[130:131], v[54:55]
	v_add_f64 v[144:145], v[140:141], v[142:143]
	ds_read_b128 v[140:143], v98 offset:912
	s_waitcnt vmcnt(16) lgkmcnt(1)
	v_mul_f64 v[146:147], v[136:137], v[62:63]
	v_fma_f64 v[4:5], v[128:129], v[56:57], -v[4:5]
	s_waitcnt vmcnt(14)
	v_fmac_f64_e32 v[146:147], v[138:139], v[64:65]
	v_add_f64 v[2:3], v[2:3], v[4:5]
	v_mul_f64 v[4:5], v[134:135], v[50:51]
	v_add_f64 v[164:165], v[144:145], v[146:147]
	ds_read_b128 v[144:147], v98 offset:928
	v_fma_f64 v[4:5], v[132:133], v[52:53], -v[4:5]
	v_add_f64 v[2:3], v[2:3], v[4:5]
	v_mul_f64 v[4:5], v[138:139], v[62:63]
	v_fma_f64 v[4:5], v[136:137], v[64:65], -v[4:5]
	v_add_f64 v[2:3], v[2:3], v[4:5]
	s_waitcnt vmcnt(12) lgkmcnt(1)
	v_mul_f64 v[4:5], v[142:143], v[58:59]
	v_mul_f64 v[166:167], v[140:141], v[58:59]
	v_fma_f64 v[4:5], v[140:141], v[60:61], -v[4:5]
	v_fmac_f64_e32 v[166:167], v[142:143], v[60:61]
	v_add_f64 v[2:3], v[2:3], v[4:5]
	s_waitcnt vmcnt(8) lgkmcnt(0)
	v_mul_f64 v[4:5], v[146:147], v[156:157]
	v_add_f64 v[164:165], v[164:165], v[166:167]
	v_mul_f64 v[166:167], v[144:145], v[156:157]
	s_waitcnt vmcnt(6)
	v_fma_f64 v[4:5], v[144:145], v[158:159], -v[4:5]
	v_fmac_f64_e32 v[166:167], v[146:147], v[158:159]
	v_add_f64 v[2:3], v[2:3], v[4:5]
	s_waitcnt vmcnt(5)
	v_mul_f64 v[4:5], v[150:151], v[152:153]
	v_add_f64 v[164:165], v[164:165], v[166:167]
	v_mul_f64 v[166:167], v[148:149], v[152:153]
	s_waitcnt vmcnt(4)
	v_fma_f64 v[4:5], v[148:149], v[154:155], -v[4:5]
	v_fmac_f64_e32 v[166:167], v[150:151], v[154:155]
	v_add_f64 v[2:3], v[2:3], v[4:5]
	v_add_f64 v[164:165], v[164:165], v[166:167]
	s_waitcnt vmcnt(2)
	v_add_f64 v[2:3], v[160:161], -v[2:3]
	s_waitcnt vmcnt(0)
	v_add_f64 v[4:5], v[162:163], -v[164:165]
	buffer_store_dword v3, off, s[0:3], 0 offset:228
	buffer_store_dword v2, off, s[0:3], 0 offset:224
	;; [unrolled: 1-line block ×4, first 2 shown]
	s_and_saveexec_b64 s[6:7], vcc
	s_cbranch_execz .LBB93_167
; %bb.166:
	v_accvgpr_read_b32 v5, a64
	buffer_load_dword v2, v5, s[0:3], 0 offen
	buffer_load_dword v3, v5, s[0:3], 0 offen offset:4
	buffer_load_dword v4, v5, s[0:3], 0 offen offset:8
	s_nop 0
	buffer_load_dword v5, v5, s[0:3], 0 offen offset:12
	s_nop 0
	buffer_store_dword v98, off, s[0:3], 0 offset:208
	buffer_store_dword v98, off, s[0:3], 0 offset:212
	buffer_store_dword v98, off, s[0:3], 0 offset:216
	buffer_store_dword v98, off, s[0:3], 0 offset:220
	s_waitcnt vmcnt(4)
	ds_write_b128 v231, v[2:5]
.LBB93_167:
	s_or_b64 exec, exec, s[6:7]
	s_waitcnt lgkmcnt(0)
	; wave barrier
	s_waitcnt lgkmcnt(0)
	buffer_load_dword v2, off, s[0:3], 0 offset:224
	buffer_load_dword v3, off, s[0:3], 0 offset:228
	;; [unrolled: 1-line block ×64, first 2 shown]
	ds_read_b128 v[100:103], v98 offset:704
	ds_read_b128 v[104:107], v98 offset:720
	ds_read_b128 v[108:111], v98 offset:736
	ds_read_b128 v[112:115], v98 offset:752
	buffer_load_dword v168, off, s[0:3], 0 offset:208
	buffer_load_dword v169, off, s[0:3], 0 offset:212
	buffer_load_dword v170, off, s[0:3], 0 offset:216
	buffer_load_dword v171, off, s[0:3], 0 offset:220
	v_cmp_lt_u32_e32 vcc, 12, v230
	ds_read_b128 v[160:163], v98 offset:944
	s_waitcnt vmcnt(62) lgkmcnt(4)
	v_mul_f64 v[116:117], v[100:101], v[4:5]
	v_fmac_f64_e32 v[116:117], v[102:103], v[2:3]
	s_waitcnt lgkmcnt(3)
	v_mul_f64 v[118:119], v[104:105], v[6:7]
	v_add_f64 v[116:117], v[116:117], 0
	s_waitcnt vmcnt(60) lgkmcnt(2)
	v_mul_f64 v[120:121], v[108:109], v[8:9]
	v_mul_f64 v[4:5], v[102:103], v[4:5]
	v_fma_f64 v[2:3], v[100:101], v[2:3], -v[4:5]
	v_mul_f64 v[4:5], v[106:107], v[6:7]
	s_waitcnt vmcnt(56) lgkmcnt(1)
	v_mul_f64 v[122:123], v[112:113], v[14:15]
	v_add_f64 v[2:3], v[2:3], 0
	s_waitcnt vmcnt(54)
	v_fmac_f64_e32 v[118:119], v[106:107], v[20:21]
	v_add_f64 v[124:125], v[116:117], v[118:119]
	ds_read_b128 v[116:119], v98 offset:768
	s_waitcnt vmcnt(52)
	v_fmac_f64_e32 v[120:121], v[110:111], v[18:19]
	v_add_f64 v[120:121], v[124:125], v[120:121]
	s_waitcnt vmcnt(50)
	v_fmac_f64_e32 v[122:123], v[114:115], v[16:17]
	v_add_f64 v[124:125], v[120:121], v[122:123]
	ds_read_b128 v[120:123], v98 offset:784
	s_waitcnt vmcnt(48) lgkmcnt(1)
	v_mul_f64 v[126:127], v[116:117], v[10:11]
	v_fmac_f64_e32 v[126:127], v[118:119], v[12:13]
	v_add_f64 v[128:129], v[124:125], v[126:127]
	ds_read_b128 v[124:127], v98 offset:800
	s_waitcnt vmcnt(44) lgkmcnt(1)
	v_mul_f64 v[130:131], v[120:121], v[26:27]
	s_waitcnt vmcnt(42)
	v_fmac_f64_e32 v[130:131], v[122:123], v[28:29]
	v_add_f64 v[132:133], v[128:129], v[130:131]
	ds_read_b128 v[128:131], v98 offset:816
	s_waitcnt vmcnt(40) lgkmcnt(1)
	v_mul_f64 v[134:135], v[124:125], v[22:23]
	v_fmac_f64_e32 v[134:135], v[126:127], v[24:25]
	v_add_f64 v[136:137], v[132:133], v[134:135]
	ds_read_b128 v[132:135], v98 offset:832
	v_fma_f64 v[4:5], v[104:105], v[20:21], -v[4:5]
	v_add_f64 v[2:3], v[2:3], v[4:5]
	v_mul_f64 v[4:5], v[110:111], v[8:9]
	s_waitcnt vmcnt(36) lgkmcnt(1)
	v_mul_f64 v[138:139], v[128:129], v[34:35]
	v_fma_f64 v[4:5], v[108:109], v[18:19], -v[4:5]
	s_waitcnt vmcnt(34)
	v_fmac_f64_e32 v[138:139], v[130:131], v[36:37]
	v_add_f64 v[2:3], v[2:3], v[4:5]
	v_mul_f64 v[4:5], v[114:115], v[14:15]
	v_add_f64 v[140:141], v[136:137], v[138:139]
	ds_read_b128 v[136:139], v98 offset:848
	s_waitcnt vmcnt(32) lgkmcnt(1)
	v_mul_f64 v[142:143], v[132:133], v[30:31]
	v_fma_f64 v[4:5], v[112:113], v[16:17], -v[4:5]
	v_fmac_f64_e32 v[142:143], v[134:135], v[32:33]
	v_add_f64 v[2:3], v[2:3], v[4:5]
	v_mul_f64 v[4:5], v[118:119], v[10:11]
	v_add_f64 v[144:145], v[140:141], v[142:143]
	ds_read_b128 v[140:143], v98 offset:864
	v_fma_f64 v[4:5], v[116:117], v[12:13], -v[4:5]
	v_add_f64 v[2:3], v[2:3], v[4:5]
	v_mul_f64 v[4:5], v[122:123], v[26:27]
	v_fma_f64 v[4:5], v[120:121], v[28:29], -v[4:5]
	s_waitcnt vmcnt(28) lgkmcnt(1)
	v_mul_f64 v[146:147], v[136:137], v[46:47]
	v_add_f64 v[2:3], v[2:3], v[4:5]
	v_mul_f64 v[4:5], v[126:127], v[22:23]
	s_waitcnt vmcnt(26)
	v_fmac_f64_e32 v[146:147], v[138:139], v[48:49]
	v_fma_f64 v[4:5], v[124:125], v[24:25], -v[4:5]
	v_add_f64 v[148:149], v[144:145], v[146:147]
	ds_read_b128 v[144:147], v98 offset:880
	s_waitcnt vmcnt(24) lgkmcnt(1)
	v_mul_f64 v[150:151], v[140:141], v[42:43]
	v_add_f64 v[2:3], v[2:3], v[4:5]
	v_mul_f64 v[4:5], v[130:131], v[34:35]
	v_fmac_f64_e32 v[150:151], v[142:143], v[44:45]
	v_fma_f64 v[4:5], v[128:129], v[36:37], -v[4:5]
	v_add_f64 v[152:153], v[148:149], v[150:151]
	ds_read_b128 v[148:151], v98 offset:896
	v_add_f64 v[2:3], v[2:3], v[4:5]
	v_mul_f64 v[4:5], v[134:135], v[30:31]
	v_fma_f64 v[4:5], v[132:133], v[32:33], -v[4:5]
	v_add_f64 v[2:3], v[2:3], v[4:5]
	v_mul_f64 v[4:5], v[138:139], v[46:47]
	s_waitcnt vmcnt(20) lgkmcnt(1)
	v_mul_f64 v[154:155], v[144:145], v[54:55]
	v_fma_f64 v[4:5], v[136:137], v[48:49], -v[4:5]
	s_waitcnt vmcnt(18)
	v_fmac_f64_e32 v[154:155], v[146:147], v[56:57]
	v_add_f64 v[2:3], v[2:3], v[4:5]
	v_mul_f64 v[4:5], v[142:143], v[42:43]
	v_add_f64 v[156:157], v[152:153], v[154:155]
	ds_read_b128 v[152:155], v98 offset:912
	s_waitcnt vmcnt(16) lgkmcnt(1)
	v_mul_f64 v[158:159], v[148:149], v[50:51]
	v_fma_f64 v[4:5], v[140:141], v[44:45], -v[4:5]
	v_fmac_f64_e32 v[158:159], v[150:151], v[52:53]
	v_add_f64 v[2:3], v[2:3], v[4:5]
	v_mul_f64 v[4:5], v[146:147], v[54:55]
	v_add_f64 v[172:173], v[156:157], v[158:159]
	ds_read_b128 v[156:159], v98 offset:928
	v_fma_f64 v[4:5], v[144:145], v[56:57], -v[4:5]
	v_add_f64 v[2:3], v[2:3], v[4:5]
	v_mul_f64 v[4:5], v[150:151], v[50:51]
	v_fma_f64 v[4:5], v[148:149], v[52:53], -v[4:5]
	v_add_f64 v[2:3], v[2:3], v[4:5]
	s_waitcnt vmcnt(12) lgkmcnt(1)
	v_mul_f64 v[4:5], v[154:155], v[62:63]
	v_mul_f64 v[174:175], v[152:153], v[62:63]
	s_waitcnt vmcnt(10)
	v_fma_f64 v[4:5], v[152:153], v[64:65], -v[4:5]
	v_fmac_f64_e32 v[174:175], v[154:155], v[64:65]
	v_add_f64 v[2:3], v[2:3], v[4:5]
	s_waitcnt vmcnt(8) lgkmcnt(0)
	v_mul_f64 v[4:5], v[158:159], v[58:59]
	v_add_f64 v[98:99], v[172:173], v[174:175]
	v_mul_f64 v[172:173], v[156:157], v[58:59]
	v_fma_f64 v[4:5], v[156:157], v[60:61], -v[4:5]
	v_fmac_f64_e32 v[172:173], v[158:159], v[60:61]
	v_add_f64 v[2:3], v[2:3], v[4:5]
	s_waitcnt vmcnt(6)
	v_mul_f64 v[4:5], v[162:163], v[164:165]
	v_add_f64 v[98:99], v[98:99], v[172:173]
	v_mul_f64 v[172:173], v[160:161], v[164:165]
	s_waitcnt vmcnt(4)
	v_fma_f64 v[4:5], v[160:161], v[166:167], -v[4:5]
	v_fmac_f64_e32 v[172:173], v[162:163], v[166:167]
	v_add_f64 v[2:3], v[2:3], v[4:5]
	v_add_f64 v[98:99], v[98:99], v[172:173]
	s_waitcnt vmcnt(2)
	v_add_f64 v[2:3], v[168:169], -v[2:3]
	s_waitcnt vmcnt(0)
	v_add_f64 v[4:5], v[170:171], -v[98:99]
	buffer_store_dword v3, off, s[0:3], 0 offset:212
	buffer_store_dword v2, off, s[0:3], 0 offset:208
	;; [unrolled: 1-line block ×4, first 2 shown]
	s_and_saveexec_b64 s[6:7], vcc
	s_cbranch_execz .LBB93_169
; %bb.168:
	v_accvgpr_read_b32 v5, a65
	buffer_load_dword v2, v5, s[0:3], 0 offen
	buffer_load_dword v3, v5, s[0:3], 0 offen offset:4
	buffer_load_dword v4, v5, s[0:3], 0 offen offset:8
	s_nop 0
	buffer_load_dword v5, v5, s[0:3], 0 offen offset:12
	v_mov_b32_e32 v6, 0
	buffer_store_dword v6, off, s[0:3], 0 offset:192
	buffer_store_dword v6, off, s[0:3], 0 offset:196
	;; [unrolled: 1-line block ×4, first 2 shown]
	s_waitcnt vmcnt(4)
	ds_write_b128 v231, v[2:5]
.LBB93_169:
	s_or_b64 exec, exec, s[6:7]
	s_waitcnt lgkmcnt(0)
	; wave barrier
	s_waitcnt lgkmcnt(0)
	buffer_load_dword v2, off, s[0:3], 0 offset:208
	buffer_load_dword v3, off, s[0:3], 0 offset:212
	;; [unrolled: 1-line block ×68, first 2 shown]
	v_mov_b32_e32 v106, 0
	ds_read_b128 v[102:105], v106 offset:688
	ds_read_b128 v[108:111], v106 offset:704
	buffer_load_dword v176, off, s[0:3], 0 offset:192
	buffer_load_dword v177, off, s[0:3], 0 offset:196
	;; [unrolled: 1-line block ×4, first 2 shown]
	ds_read_b128 v[112:115], v106 offset:720
	ds_read_b128 v[116:119], v106 offset:736
	;; [unrolled: 1-line block ×3, first 2 shown]
	v_cmp_lt_u32_e32 vcc, 11, v230
	s_waitcnt vmcnt(62) lgkmcnt(4)
	v_mul_f64 v[120:121], v[102:103], v[8:9]
	v_fmac_f64_e32 v[120:121], v[104:105], v[2:3]
	v_add_f64 v[120:121], v[120:121], 0
	v_mul_f64 v[8:9], v[104:105], v[8:9]
	s_waitcnt lgkmcnt(3)
	v_mul_f64 v[122:123], v[108:109], v[10:11]
	v_fmac_f64_e32 v[122:123], v[110:111], v[4:5]
	v_add_f64 v[120:121], v[120:121], v[122:123]
	v_fma_f64 v[2:3], v[102:103], v[2:3], -v[8:9]
	s_waitcnt vmcnt(60) lgkmcnt(2)
	v_mul_f64 v[122:123], v[112:113], v[12:13]
	v_fmac_f64_e32 v[122:123], v[114:115], v[6:7]
	v_add_f64 v[124:125], v[120:121], v[122:123]
	ds_read_b128 v[120:123], v106 offset:752
	s_waitcnt vmcnt(56) lgkmcnt(2)
	v_mul_f64 v[126:127], v[116:117], v[18:19]
	v_mul_f64 v[8:9], v[110:111], v[10:11]
	s_waitcnt vmcnt(54)
	v_fmac_f64_e32 v[126:127], v[118:119], v[20:21]
	v_add_f64 v[128:129], v[124:125], v[126:127]
	ds_read_b128 v[124:127], v106 offset:768
	s_waitcnt vmcnt(52) lgkmcnt(1)
	v_mul_f64 v[130:131], v[120:121], v[14:15]
	v_fmac_f64_e32 v[130:131], v[122:123], v[16:17]
	v_add_f64 v[132:133], v[128:129], v[130:131]
	ds_read_b128 v[128:131], v106 offset:784
	s_waitcnt vmcnt(48) lgkmcnt(1)
	v_mul_f64 v[134:135], v[124:125], v[26:27]
	s_waitcnt vmcnt(46)
	v_fmac_f64_e32 v[134:135], v[126:127], v[28:29]
	v_add_f64 v[136:137], v[132:133], v[134:135]
	ds_read_b128 v[132:135], v106 offset:800
	s_waitcnt vmcnt(44) lgkmcnt(1)
	v_mul_f64 v[138:139], v[128:129], v[22:23]
	v_fmac_f64_e32 v[138:139], v[130:131], v[24:25]
	v_add_f64 v[140:141], v[136:137], v[138:139]
	ds_read_b128 v[136:139], v106 offset:816
	s_waitcnt vmcnt(40) lgkmcnt(1)
	v_mul_f64 v[142:143], v[132:133], v[34:35]
	s_waitcnt vmcnt(38)
	v_fmac_f64_e32 v[142:143], v[134:135], v[36:37]
	v_add_f64 v[2:3], v[2:3], 0
	v_fma_f64 v[4:5], v[108:109], v[4:5], -v[8:9]
	v_add_f64 v[144:145], v[140:141], v[142:143]
	ds_read_b128 v[140:143], v106 offset:832
	v_add_f64 v[2:3], v[2:3], v[4:5]
	v_mul_f64 v[4:5], v[114:115], v[12:13]
	v_fma_f64 v[4:5], v[112:113], v[6:7], -v[4:5]
	v_add_f64 v[2:3], v[2:3], v[4:5]
	v_mul_f64 v[4:5], v[118:119], v[18:19]
	s_waitcnt vmcnt(36) lgkmcnt(1)
	v_mul_f64 v[146:147], v[136:137], v[30:31]
	v_fma_f64 v[4:5], v[116:117], v[20:21], -v[4:5]
	v_fmac_f64_e32 v[146:147], v[138:139], v[32:33]
	v_add_f64 v[2:3], v[2:3], v[4:5]
	v_mul_f64 v[4:5], v[122:123], v[14:15]
	v_add_f64 v[148:149], v[144:145], v[146:147]
	ds_read_b128 v[144:147], v106 offset:848
	s_waitcnt vmcnt(32) lgkmcnt(1)
	v_mul_f64 v[150:151], v[140:141], v[42:43]
	v_fma_f64 v[4:5], v[120:121], v[16:17], -v[4:5]
	s_waitcnt vmcnt(30)
	v_fmac_f64_e32 v[150:151], v[142:143], v[44:45]
	v_add_f64 v[2:3], v[2:3], v[4:5]
	v_mul_f64 v[4:5], v[126:127], v[26:27]
	v_add_f64 v[152:153], v[148:149], v[150:151]
	ds_read_b128 v[148:151], v106 offset:864
	v_fma_f64 v[4:5], v[124:125], v[28:29], -v[4:5]
	v_add_f64 v[2:3], v[2:3], v[4:5]
	v_mul_f64 v[4:5], v[130:131], v[22:23]
	v_fma_f64 v[4:5], v[128:129], v[24:25], -v[4:5]
	s_waitcnt vmcnt(28) lgkmcnt(1)
	v_mul_f64 v[154:155], v[144:145], v[98:99]
	v_add_f64 v[2:3], v[2:3], v[4:5]
	v_mul_f64 v[4:5], v[134:135], v[34:35]
	v_fmac_f64_e32 v[154:155], v[146:147], v[100:101]
	v_fma_f64 v[4:5], v[132:133], v[36:37], -v[4:5]
	v_add_f64 v[156:157], v[152:153], v[154:155]
	ds_read_b128 v[152:155], v106 offset:880
	s_waitcnt vmcnt(24) lgkmcnt(1)
	v_mul_f64 v[158:159], v[148:149], v[50:51]
	v_add_f64 v[2:3], v[2:3], v[4:5]
	v_mul_f64 v[4:5], v[138:139], v[30:31]
	s_waitcnt vmcnt(22)
	v_fmac_f64_e32 v[158:159], v[150:151], v[52:53]
	v_fma_f64 v[4:5], v[136:137], v[32:33], -v[4:5]
	v_add_f64 v[160:161], v[156:157], v[158:159]
	ds_read_b128 v[156:159], v106 offset:896
	v_add_f64 v[2:3], v[2:3], v[4:5]
	v_mul_f64 v[4:5], v[142:143], v[42:43]
	v_fma_f64 v[4:5], v[140:141], v[44:45], -v[4:5]
	v_add_f64 v[2:3], v[2:3], v[4:5]
	v_mul_f64 v[4:5], v[146:147], v[98:99]
	s_waitcnt vmcnt(20) lgkmcnt(1)
	v_mul_f64 v[162:163], v[152:153], v[46:47]
	v_fma_f64 v[4:5], v[144:145], v[100:101], -v[4:5]
	v_fmac_f64_e32 v[162:163], v[154:155], v[48:49]
	v_add_f64 v[2:3], v[2:3], v[4:5]
	v_mul_f64 v[4:5], v[150:151], v[50:51]
	v_add_f64 v[164:165], v[160:161], v[162:163]
	ds_read_b128 v[160:163], v106 offset:912
	s_waitcnt vmcnt(16) lgkmcnt(1)
	v_mul_f64 v[166:167], v[156:157], v[58:59]
	v_fma_f64 v[4:5], v[148:149], v[52:53], -v[4:5]
	s_waitcnt vmcnt(14)
	v_fmac_f64_e32 v[166:167], v[158:159], v[60:61]
	v_add_f64 v[2:3], v[2:3], v[4:5]
	v_mul_f64 v[4:5], v[154:155], v[46:47]
	v_add_f64 v[180:181], v[164:165], v[166:167]
	ds_read_b128 v[164:167], v106 offset:928
	v_fma_f64 v[4:5], v[152:153], v[48:49], -v[4:5]
	v_add_f64 v[2:3], v[2:3], v[4:5]
	v_mul_f64 v[4:5], v[158:159], v[58:59]
	v_fma_f64 v[4:5], v[156:157], v[60:61], -v[4:5]
	v_add_f64 v[2:3], v[2:3], v[4:5]
	s_waitcnt vmcnt(12) lgkmcnt(1)
	v_mul_f64 v[4:5], v[162:163], v[54:55]
	v_mul_f64 v[182:183], v[160:161], v[54:55]
	v_fma_f64 v[4:5], v[160:161], v[56:57], -v[4:5]
	v_fmac_f64_e32 v[182:183], v[162:163], v[56:57]
	v_add_f64 v[2:3], v[2:3], v[4:5]
	s_waitcnt vmcnt(8) lgkmcnt(0)
	v_mul_f64 v[4:5], v[166:167], v[172:173]
	v_add_f64 v[180:181], v[180:181], v[182:183]
	v_mul_f64 v[182:183], v[164:165], v[172:173]
	s_waitcnt vmcnt(6)
	v_fma_f64 v[4:5], v[164:165], v[174:175], -v[4:5]
	v_fmac_f64_e32 v[182:183], v[166:167], v[174:175]
	v_add_f64 v[2:3], v[2:3], v[4:5]
	s_waitcnt vmcnt(5)
	v_mul_f64 v[4:5], v[170:171], v[62:63]
	v_add_f64 v[180:181], v[180:181], v[182:183]
	v_mul_f64 v[182:183], v[168:169], v[62:63]
	s_waitcnt vmcnt(4)
	v_fma_f64 v[4:5], v[168:169], v[64:65], -v[4:5]
	v_fmac_f64_e32 v[182:183], v[170:171], v[64:65]
	v_add_f64 v[2:3], v[2:3], v[4:5]
	v_add_f64 v[180:181], v[180:181], v[182:183]
	s_waitcnt vmcnt(2)
	v_add_f64 v[2:3], v[176:177], -v[2:3]
	s_waitcnt vmcnt(0)
	v_add_f64 v[4:5], v[178:179], -v[180:181]
	buffer_store_dword v3, off, s[0:3], 0 offset:196
	buffer_store_dword v2, off, s[0:3], 0 offset:192
	;; [unrolled: 1-line block ×4, first 2 shown]
	s_and_saveexec_b64 s[6:7], vcc
	s_cbranch_execz .LBB93_171
; %bb.170:
	v_accvgpr_read_b32 v5, a66
	buffer_load_dword v2, v5, s[0:3], 0 offen
	buffer_load_dword v3, v5, s[0:3], 0 offen offset:4
	buffer_load_dword v4, v5, s[0:3], 0 offen offset:8
	s_nop 0
	buffer_load_dword v5, v5, s[0:3], 0 offen offset:12
	s_nop 0
	buffer_store_dword v106, off, s[0:3], 0 offset:176
	buffer_store_dword v106, off, s[0:3], 0 offset:180
	;; [unrolled: 1-line block ×4, first 2 shown]
	s_waitcnt vmcnt(4)
	ds_write_b128 v231, v[2:5]
.LBB93_171:
	s_or_b64 exec, exec, s[6:7]
	s_waitcnt lgkmcnt(0)
	; wave barrier
	s_waitcnt lgkmcnt(0)
	buffer_load_dword v2, off, s[0:3], 0 offset:192
	buffer_load_dword v3, off, s[0:3], 0 offset:196
	;; [unrolled: 1-line block ×72, first 2 shown]
	ds_read_b128 v[108:111], v106 offset:672
	buffer_load_dword v184, off, s[0:3], 0 offset:176
	buffer_load_dword v185, off, s[0:3], 0 offset:180
	;; [unrolled: 1-line block ×4, first 2 shown]
	ds_read_b128 v[112:115], v106 offset:688
	ds_read_b128 v[116:119], v106 offset:704
	;; [unrolled: 1-line block ×3, first 2 shown]
	v_cmp_lt_u32_e32 vcc, 10, v230
	ds_read_b128 v[176:179], v106 offset:944
	s_waitcnt vmcnt(62) lgkmcnt(4)
	v_mul_f64 v[124:125], v[108:109], v[8:9]
	v_fmac_f64_e32 v[124:125], v[110:111], v[2:3]
	v_add_f64 v[124:125], v[124:125], 0
	v_mul_f64 v[8:9], v[110:111], v[8:9]
	s_waitcnt lgkmcnt(3)
	v_mul_f64 v[126:127], v[112:113], v[10:11]
	v_fmac_f64_e32 v[126:127], v[114:115], v[4:5]
	v_add_f64 v[124:125], v[124:125], v[126:127]
	v_fma_f64 v[2:3], v[108:109], v[2:3], -v[8:9]
	s_waitcnt lgkmcnt(2)
	v_mul_f64 v[126:127], v[116:117], v[12:13]
	v_fmac_f64_e32 v[126:127], v[118:119], v[6:7]
	v_add_f64 v[128:129], v[124:125], v[126:127]
	ds_read_b128 v[124:127], v106 offset:736
	s_waitcnt vmcnt(60) lgkmcnt(2)
	v_mul_f64 v[130:131], v[120:121], v[18:19]
	v_mul_f64 v[8:9], v[114:115], v[10:11]
	s_waitcnt vmcnt(58)
	v_fmac_f64_e32 v[130:131], v[122:123], v[20:21]
	v_add_f64 v[132:133], v[128:129], v[130:131]
	ds_read_b128 v[128:131], v106 offset:752
	s_waitcnt vmcnt(56) lgkmcnt(1)
	v_mul_f64 v[134:135], v[124:125], v[14:15]
	v_fmac_f64_e32 v[134:135], v[126:127], v[16:17]
	v_add_f64 v[136:137], v[132:133], v[134:135]
	ds_read_b128 v[132:135], v106 offset:768
	s_waitcnt vmcnt(52) lgkmcnt(1)
	v_mul_f64 v[138:139], v[128:129], v[26:27]
	s_waitcnt vmcnt(50)
	v_fmac_f64_e32 v[138:139], v[130:131], v[28:29]
	v_add_f64 v[140:141], v[136:137], v[138:139]
	ds_read_b128 v[136:139], v106 offset:784
	s_waitcnt vmcnt(48) lgkmcnt(1)
	v_mul_f64 v[142:143], v[132:133], v[22:23]
	v_fmac_f64_e32 v[142:143], v[134:135], v[24:25]
	v_add_f64 v[144:145], v[140:141], v[142:143]
	ds_read_b128 v[140:143], v106 offset:800
	s_waitcnt vmcnt(44) lgkmcnt(1)
	v_mul_f64 v[146:147], v[136:137], v[34:35]
	s_waitcnt vmcnt(42)
	v_fmac_f64_e32 v[146:147], v[138:139], v[36:37]
	v_add_f64 v[2:3], v[2:3], 0
	v_fma_f64 v[4:5], v[112:113], v[4:5], -v[8:9]
	v_add_f64 v[148:149], v[144:145], v[146:147]
	ds_read_b128 v[144:147], v106 offset:816
	s_waitcnt vmcnt(40) lgkmcnt(1)
	v_mul_f64 v[150:151], v[140:141], v[30:31]
	v_add_f64 v[2:3], v[2:3], v[4:5]
	v_mul_f64 v[4:5], v[118:119], v[12:13]
	v_fmac_f64_e32 v[150:151], v[142:143], v[32:33]
	v_fma_f64 v[4:5], v[116:117], v[6:7], -v[4:5]
	v_add_f64 v[152:153], v[148:149], v[150:151]
	ds_read_b128 v[148:151], v106 offset:832
	v_add_f64 v[2:3], v[2:3], v[4:5]
	v_mul_f64 v[4:5], v[122:123], v[18:19]
	v_fma_f64 v[4:5], v[120:121], v[20:21], -v[4:5]
	v_add_f64 v[2:3], v[2:3], v[4:5]
	v_mul_f64 v[4:5], v[126:127], v[14:15]
	s_waitcnt vmcnt(36) lgkmcnt(1)
	v_mul_f64 v[154:155], v[144:145], v[102:103]
	v_fma_f64 v[4:5], v[124:125], v[16:17], -v[4:5]
	s_waitcnt vmcnt(34)
	v_fmac_f64_e32 v[154:155], v[146:147], v[104:105]
	v_add_f64 v[2:3], v[2:3], v[4:5]
	v_mul_f64 v[4:5], v[130:131], v[26:27]
	v_add_f64 v[156:157], v[152:153], v[154:155]
	ds_read_b128 v[152:155], v106 offset:848
	s_waitcnt vmcnt(32) lgkmcnt(1)
	v_mul_f64 v[158:159], v[148:149], v[98:99]
	v_fma_f64 v[4:5], v[128:129], v[28:29], -v[4:5]
	v_fmac_f64_e32 v[158:159], v[150:151], v[100:101]
	v_add_f64 v[2:3], v[2:3], v[4:5]
	v_mul_f64 v[4:5], v[134:135], v[22:23]
	v_add_f64 v[160:161], v[156:157], v[158:159]
	ds_read_b128 v[156:159], v106 offset:864
	v_fma_f64 v[4:5], v[132:133], v[24:25], -v[4:5]
	v_add_f64 v[2:3], v[2:3], v[4:5]
	v_mul_f64 v[4:5], v[138:139], v[34:35]
	v_fma_f64 v[4:5], v[136:137], v[36:37], -v[4:5]
	s_waitcnt vmcnt(28) lgkmcnt(1)
	v_mul_f64 v[162:163], v[152:153], v[46:47]
	v_add_f64 v[2:3], v[2:3], v[4:5]
	v_mul_f64 v[4:5], v[142:143], v[30:31]
	s_waitcnt vmcnt(26)
	v_fmac_f64_e32 v[162:163], v[154:155], v[48:49]
	v_fma_f64 v[4:5], v[140:141], v[32:33], -v[4:5]
	v_add_f64 v[164:165], v[160:161], v[162:163]
	ds_read_b128 v[160:163], v106 offset:880
	s_waitcnt vmcnt(24) lgkmcnt(1)
	v_mul_f64 v[166:167], v[156:157], v[42:43]
	v_add_f64 v[2:3], v[2:3], v[4:5]
	v_mul_f64 v[4:5], v[146:147], v[102:103]
	v_fmac_f64_e32 v[166:167], v[158:159], v[44:45]
	v_fma_f64 v[4:5], v[144:145], v[104:105], -v[4:5]
	v_add_f64 v[168:169], v[164:165], v[166:167]
	ds_read_b128 v[164:167], v106 offset:896
	v_add_f64 v[2:3], v[2:3], v[4:5]
	v_mul_f64 v[4:5], v[150:151], v[98:99]
	v_fma_f64 v[4:5], v[148:149], v[100:101], -v[4:5]
	v_add_f64 v[2:3], v[2:3], v[4:5]
	v_mul_f64 v[4:5], v[154:155], v[46:47]
	s_waitcnt vmcnt(20) lgkmcnt(1)
	v_mul_f64 v[170:171], v[160:161], v[54:55]
	v_fma_f64 v[4:5], v[152:153], v[48:49], -v[4:5]
	s_waitcnt vmcnt(18)
	v_fmac_f64_e32 v[170:171], v[162:163], v[56:57]
	v_add_f64 v[2:3], v[2:3], v[4:5]
	v_mul_f64 v[4:5], v[158:159], v[42:43]
	v_add_f64 v[172:173], v[168:169], v[170:171]
	ds_read_b128 v[168:171], v106 offset:912
	s_waitcnt vmcnt(16) lgkmcnt(1)
	v_mul_f64 v[174:175], v[164:165], v[50:51]
	v_fma_f64 v[4:5], v[156:157], v[44:45], -v[4:5]
	v_fmac_f64_e32 v[174:175], v[166:167], v[52:53]
	v_add_f64 v[2:3], v[2:3], v[4:5]
	v_mul_f64 v[4:5], v[162:163], v[54:55]
	v_add_f64 v[188:189], v[172:173], v[174:175]
	ds_read_b128 v[172:175], v106 offset:928
	v_fma_f64 v[4:5], v[160:161], v[56:57], -v[4:5]
	v_add_f64 v[2:3], v[2:3], v[4:5]
	v_mul_f64 v[4:5], v[166:167], v[50:51]
	v_fma_f64 v[4:5], v[164:165], v[52:53], -v[4:5]
	v_add_f64 v[2:3], v[2:3], v[4:5]
	s_waitcnt vmcnt(12) lgkmcnt(1)
	v_mul_f64 v[4:5], v[170:171], v[62:63]
	v_mul_f64 v[190:191], v[168:169], v[62:63]
	s_waitcnt vmcnt(10)
	v_fma_f64 v[4:5], v[168:169], v[64:65], -v[4:5]
	v_fmac_f64_e32 v[190:191], v[170:171], v[64:65]
	v_add_f64 v[2:3], v[2:3], v[4:5]
	s_waitcnt vmcnt(8) lgkmcnt(0)
	v_mul_f64 v[4:5], v[174:175], v[58:59]
	v_add_f64 v[106:107], v[188:189], v[190:191]
	v_mul_f64 v[188:189], v[172:173], v[58:59]
	v_fma_f64 v[4:5], v[172:173], v[60:61], -v[4:5]
	v_fmac_f64_e32 v[188:189], v[174:175], v[60:61]
	v_add_f64 v[2:3], v[2:3], v[4:5]
	s_waitcnt vmcnt(6)
	v_mul_f64 v[4:5], v[178:179], v[180:181]
	v_add_f64 v[106:107], v[106:107], v[188:189]
	v_mul_f64 v[188:189], v[176:177], v[180:181]
	s_waitcnt vmcnt(4)
	v_fma_f64 v[4:5], v[176:177], v[182:183], -v[4:5]
	v_fmac_f64_e32 v[188:189], v[178:179], v[182:183]
	v_add_f64 v[2:3], v[2:3], v[4:5]
	v_add_f64 v[106:107], v[106:107], v[188:189]
	s_waitcnt vmcnt(2)
	v_add_f64 v[2:3], v[184:185], -v[2:3]
	s_waitcnt vmcnt(0)
	v_add_f64 v[4:5], v[186:187], -v[106:107]
	buffer_store_dword v3, off, s[0:3], 0 offset:180
	buffer_store_dword v2, off, s[0:3], 0 offset:176
	buffer_store_dword v5, off, s[0:3], 0 offset:188
	buffer_store_dword v4, off, s[0:3], 0 offset:184
	s_and_saveexec_b64 s[6:7], vcc
	s_cbranch_execz .LBB93_173
; %bb.172:
	v_accvgpr_read_b32 v5, a70
	buffer_load_dword v2, v5, s[0:3], 0 offen
	buffer_load_dword v3, v5, s[0:3], 0 offen offset:4
	buffer_load_dword v4, v5, s[0:3], 0 offen offset:8
	s_nop 0
	buffer_load_dword v5, v5, s[0:3], 0 offen offset:12
	v_mov_b32_e32 v6, 0
	buffer_store_dword v6, off, s[0:3], 0 offset:160
	buffer_store_dword v6, off, s[0:3], 0 offset:164
	;; [unrolled: 1-line block ×4, first 2 shown]
	s_waitcnt vmcnt(4)
	ds_write_b128 v231, v[2:5]
.LBB93_173:
	s_or_b64 exec, exec, s[6:7]
	s_waitcnt lgkmcnt(0)
	; wave barrier
	s_waitcnt lgkmcnt(0)
	buffer_load_dword v2, off, s[0:3], 0 offset:176
	buffer_load_dword v3, off, s[0:3], 0 offset:180
	;; [unrolled: 1-line block ×76, first 2 shown]
	v_mov_b32_e32 v114, 0
	ds_read_b128 v[116:119], v114 offset:656
	buffer_load_dword v192, off, s[0:3], 0 offset:160
	buffer_load_dword v193, off, s[0:3], 0 offset:164
	buffer_load_dword v194, off, s[0:3], 0 offset:168
	buffer_load_dword v195, off, s[0:3], 0 offset:172
	ds_read_b128 v[120:123], v114 offset:672
	ds_read_b128 v[124:127], v114 offset:688
	;; [unrolled: 1-line block ×4, first 2 shown]
	v_cmp_lt_u32_e32 vcc, 9, v230
	s_waitcnt vmcnt(62) lgkmcnt(4)
	v_mul_f64 v[132:133], v[116:117], v[8:9]
	v_fmac_f64_e32 v[132:133], v[118:119], v[2:3]
	v_add_f64 v[132:133], v[132:133], 0
	v_mul_f64 v[8:9], v[118:119], v[8:9]
	s_waitcnt lgkmcnt(3)
	v_mul_f64 v[134:135], v[120:121], v[10:11]
	v_fmac_f64_e32 v[134:135], v[122:123], v[4:5]
	v_add_f64 v[132:133], v[132:133], v[134:135]
	v_fma_f64 v[2:3], v[116:117], v[2:3], -v[8:9]
	s_waitcnt lgkmcnt(2)
	v_mul_f64 v[134:135], v[124:125], v[12:13]
	v_fmac_f64_e32 v[134:135], v[126:127], v[6:7]
	v_add_f64 v[136:137], v[132:133], v[134:135]
	ds_read_b128 v[132:135], v114 offset:720
	s_waitcnt lgkmcnt(2)
	v_mul_f64 v[138:139], v[128:129], v[18:19]
	v_mul_f64 v[8:9], v[122:123], v[10:11]
	v_fmac_f64_e32 v[138:139], v[130:131], v[20:21]
	v_add_f64 v[140:141], v[136:137], v[138:139]
	ds_read_b128 v[136:139], v114 offset:736
	s_waitcnt vmcnt(60) lgkmcnt(1)
	v_mul_f64 v[142:143], v[132:133], v[14:15]
	v_fmac_f64_e32 v[142:143], v[134:135], v[16:17]
	v_add_f64 v[144:145], v[140:141], v[142:143]
	ds_read_b128 v[140:143], v114 offset:752
	s_waitcnt vmcnt(56) lgkmcnt(1)
	v_mul_f64 v[146:147], v[136:137], v[26:27]
	s_waitcnt vmcnt(54)
	v_fmac_f64_e32 v[146:147], v[138:139], v[28:29]
	v_add_f64 v[148:149], v[144:145], v[146:147]
	ds_read_b128 v[144:147], v114 offset:768
	s_waitcnt vmcnt(52) lgkmcnt(1)
	v_mul_f64 v[150:151], v[140:141], v[22:23]
	v_fmac_f64_e32 v[150:151], v[142:143], v[24:25]
	v_add_f64 v[152:153], v[148:149], v[150:151]
	ds_read_b128 v[148:151], v114 offset:784
	s_waitcnt vmcnt(48) lgkmcnt(1)
	v_mul_f64 v[154:155], v[144:145], v[34:35]
	s_waitcnt vmcnt(46)
	v_fmac_f64_e32 v[154:155], v[146:147], v[36:37]
	v_add_f64 v[156:157], v[152:153], v[154:155]
	ds_read_b128 v[152:155], v114 offset:800
	v_add_f64 v[2:3], v[2:3], 0
	v_fma_f64 v[4:5], v[120:121], v[4:5], -v[8:9]
	s_waitcnt vmcnt(44) lgkmcnt(1)
	v_mul_f64 v[158:159], v[148:149], v[30:31]
	v_add_f64 v[2:3], v[2:3], v[4:5]
	v_mul_f64 v[4:5], v[126:127], v[12:13]
	v_fmac_f64_e32 v[158:159], v[150:151], v[32:33]
	v_fma_f64 v[4:5], v[124:125], v[6:7], -v[4:5]
	v_add_f64 v[160:161], v[156:157], v[158:159]
	ds_read_b128 v[156:159], v114 offset:816
	s_waitcnt vmcnt(40) lgkmcnt(1)
	v_mul_f64 v[162:163], v[152:153], v[102:103]
	v_add_f64 v[2:3], v[2:3], v[4:5]
	v_mul_f64 v[4:5], v[130:131], v[18:19]
	s_waitcnt vmcnt(38)
	v_fmac_f64_e32 v[162:163], v[154:155], v[104:105]
	v_fma_f64 v[4:5], v[128:129], v[20:21], -v[4:5]
	v_add_f64 v[164:165], v[160:161], v[162:163]
	ds_read_b128 v[160:163], v114 offset:832
	v_add_f64 v[2:3], v[2:3], v[4:5]
	v_mul_f64 v[4:5], v[134:135], v[14:15]
	v_fma_f64 v[4:5], v[132:133], v[16:17], -v[4:5]
	v_add_f64 v[2:3], v[2:3], v[4:5]
	v_mul_f64 v[4:5], v[138:139], v[26:27]
	s_waitcnt vmcnt(36) lgkmcnt(1)
	v_mul_f64 v[166:167], v[156:157], v[98:99]
	v_fma_f64 v[4:5], v[136:137], v[28:29], -v[4:5]
	v_fmac_f64_e32 v[166:167], v[158:159], v[100:101]
	v_add_f64 v[2:3], v[2:3], v[4:5]
	v_mul_f64 v[4:5], v[142:143], v[22:23]
	v_add_f64 v[168:169], v[164:165], v[166:167]
	ds_read_b128 v[164:167], v114 offset:848
	s_waitcnt vmcnt(32) lgkmcnt(1)
	v_mul_f64 v[170:171], v[160:161], v[110:111]
	v_fma_f64 v[4:5], v[140:141], v[24:25], -v[4:5]
	s_waitcnt vmcnt(30)
	v_fmac_f64_e32 v[170:171], v[162:163], v[112:113]
	v_add_f64 v[2:3], v[2:3], v[4:5]
	v_mul_f64 v[4:5], v[146:147], v[34:35]
	v_add_f64 v[172:173], v[168:169], v[170:171]
	ds_read_b128 v[168:171], v114 offset:864
	v_fma_f64 v[4:5], v[144:145], v[36:37], -v[4:5]
	v_add_f64 v[2:3], v[2:3], v[4:5]
	v_mul_f64 v[4:5], v[150:151], v[30:31]
	v_fma_f64 v[4:5], v[148:149], v[32:33], -v[4:5]
	s_waitcnt vmcnt(28) lgkmcnt(1)
	v_mul_f64 v[174:175], v[164:165], v[106:107]
	v_add_f64 v[2:3], v[2:3], v[4:5]
	v_mul_f64 v[4:5], v[154:155], v[102:103]
	v_fmac_f64_e32 v[174:175], v[166:167], v[108:109]
	v_fma_f64 v[4:5], v[152:153], v[104:105], -v[4:5]
	v_add_f64 v[176:177], v[172:173], v[174:175]
	ds_read_b128 v[172:175], v114 offset:880
	s_waitcnt vmcnt(24) lgkmcnt(1)
	v_mul_f64 v[178:179], v[168:169], v[46:47]
	v_add_f64 v[2:3], v[2:3], v[4:5]
	v_mul_f64 v[4:5], v[158:159], v[98:99]
	s_waitcnt vmcnt(22)
	v_fmac_f64_e32 v[178:179], v[170:171], v[48:49]
	v_fma_f64 v[4:5], v[156:157], v[100:101], -v[4:5]
	v_add_f64 v[180:181], v[176:177], v[178:179]
	ds_read_b128 v[176:179], v114 offset:896
	v_add_f64 v[2:3], v[2:3], v[4:5]
	v_mul_f64 v[4:5], v[162:163], v[110:111]
	v_fma_f64 v[4:5], v[160:161], v[112:113], -v[4:5]
	v_add_f64 v[2:3], v[2:3], v[4:5]
	v_mul_f64 v[4:5], v[166:167], v[106:107]
	s_waitcnt vmcnt(20) lgkmcnt(1)
	v_mul_f64 v[182:183], v[172:173], v[42:43]
	v_fma_f64 v[4:5], v[164:165], v[108:109], -v[4:5]
	v_fmac_f64_e32 v[182:183], v[174:175], v[44:45]
	v_add_f64 v[2:3], v[2:3], v[4:5]
	v_mul_f64 v[4:5], v[170:171], v[46:47]
	v_add_f64 v[184:185], v[180:181], v[182:183]
	ds_read_b128 v[180:183], v114 offset:912
	s_waitcnt vmcnt(16) lgkmcnt(1)
	v_mul_f64 v[186:187], v[176:177], v[54:55]
	v_fma_f64 v[4:5], v[168:169], v[48:49], -v[4:5]
	s_waitcnt vmcnt(14)
	v_fmac_f64_e32 v[186:187], v[178:179], v[56:57]
	v_add_f64 v[2:3], v[2:3], v[4:5]
	v_mul_f64 v[4:5], v[174:175], v[42:43]
	v_add_f64 v[196:197], v[184:185], v[186:187]
	ds_read_b128 v[184:187], v114 offset:928
	v_fma_f64 v[4:5], v[172:173], v[44:45], -v[4:5]
	v_add_f64 v[2:3], v[2:3], v[4:5]
	v_mul_f64 v[4:5], v[178:179], v[54:55]
	v_fma_f64 v[4:5], v[176:177], v[56:57], -v[4:5]
	v_add_f64 v[2:3], v[2:3], v[4:5]
	s_waitcnt vmcnt(12) lgkmcnt(1)
	v_mul_f64 v[4:5], v[182:183], v[50:51]
	v_mul_f64 v[198:199], v[180:181], v[50:51]
	v_fma_f64 v[4:5], v[180:181], v[52:53], -v[4:5]
	v_fmac_f64_e32 v[198:199], v[182:183], v[52:53]
	v_add_f64 v[2:3], v[2:3], v[4:5]
	s_waitcnt vmcnt(8) lgkmcnt(0)
	v_mul_f64 v[4:5], v[186:187], v[62:63]
	v_add_f64 v[196:197], v[196:197], v[198:199]
	v_mul_f64 v[198:199], v[184:185], v[62:63]
	s_waitcnt vmcnt(6)
	v_fma_f64 v[4:5], v[184:185], v[64:65], -v[4:5]
	v_fmac_f64_e32 v[198:199], v[186:187], v[64:65]
	v_add_f64 v[2:3], v[2:3], v[4:5]
	s_waitcnt vmcnt(5)
	v_mul_f64 v[4:5], v[190:191], v[58:59]
	v_add_f64 v[196:197], v[196:197], v[198:199]
	v_mul_f64 v[198:199], v[188:189], v[58:59]
	s_waitcnt vmcnt(4)
	v_fma_f64 v[4:5], v[188:189], v[60:61], -v[4:5]
	v_fmac_f64_e32 v[198:199], v[190:191], v[60:61]
	v_add_f64 v[2:3], v[2:3], v[4:5]
	v_add_f64 v[196:197], v[196:197], v[198:199]
	s_waitcnt vmcnt(2)
	v_add_f64 v[2:3], v[192:193], -v[2:3]
	s_waitcnt vmcnt(0)
	v_add_f64 v[4:5], v[194:195], -v[196:197]
	buffer_store_dword v3, off, s[0:3], 0 offset:164
	buffer_store_dword v2, off, s[0:3], 0 offset:160
	;; [unrolled: 1-line block ×4, first 2 shown]
	s_and_saveexec_b64 s[6:7], vcc
	s_cbranch_execz .LBB93_175
; %bb.174:
	v_accvgpr_read_b32 v5, a68
	buffer_load_dword v2, v5, s[0:3], 0 offen
	buffer_load_dword v3, v5, s[0:3], 0 offen offset:4
	buffer_load_dword v4, v5, s[0:3], 0 offen offset:8
	s_nop 0
	buffer_load_dword v5, v5, s[0:3], 0 offen offset:12
	s_nop 0
	buffer_store_dword v114, off, s[0:3], 0 offset:144
	buffer_store_dword v114, off, s[0:3], 0 offset:148
	;; [unrolled: 1-line block ×4, first 2 shown]
	s_waitcnt vmcnt(4)
	ds_write_b128 v231, v[2:5]
.LBB93_175:
	s_or_b64 exec, exec, s[6:7]
	s_waitcnt lgkmcnt(0)
	; wave barrier
	s_waitcnt lgkmcnt(0)
	buffer_load_dword v2, off, s[0:3], 0 offset:160
	buffer_load_dword v3, off, s[0:3], 0 offset:164
	;; [unrolled: 1-line block ×76, first 2 shown]
	ds_read_b128 v[116:119], v114 offset:640
	buffer_load_dword v193, off, s[0:3], 0 offset:476
	buffer_load_dword v192, off, s[0:3], 0 offset:472
	;; [unrolled: 1-line block ×8, first 2 shown]
	ds_read_b128 v[120:123], v114 offset:656
	ds_read_b128 v[124:127], v114 offset:672
	;; [unrolled: 1-line block ×3, first 2 shown]
	v_cmp_lt_u32_e32 vcc, 8, v230
	ds_read_b128 v[196:199], v114 offset:944
	s_waitcnt vmcnt(62) lgkmcnt(4)
	v_mul_f64 v[132:133], v[116:117], v[8:9]
	v_fmac_f64_e32 v[132:133], v[118:119], v[2:3]
	v_add_f64 v[132:133], v[132:133], 0
	v_mul_f64 v[8:9], v[118:119], v[8:9]
	s_waitcnt lgkmcnt(3)
	v_mul_f64 v[134:135], v[120:121], v[10:11]
	v_fmac_f64_e32 v[134:135], v[122:123], v[4:5]
	v_add_f64 v[132:133], v[132:133], v[134:135]
	v_fma_f64 v[2:3], v[116:117], v[2:3], -v[8:9]
	s_waitcnt lgkmcnt(2)
	v_mul_f64 v[134:135], v[124:125], v[12:13]
	v_fmac_f64_e32 v[134:135], v[126:127], v[6:7]
	v_add_f64 v[136:137], v[132:133], v[134:135]
	ds_read_b128 v[132:135], v114 offset:704
	v_mul_f64 v[8:9], v[122:123], v[10:11]
	v_add_f64 v[2:3], v[2:3], 0
	s_waitcnt lgkmcnt(2)
	v_mul_f64 v[138:139], v[128:129], v[18:19]
	v_fma_f64 v[4:5], v[120:121], v[4:5], -v[8:9]
	v_fmac_f64_e32 v[138:139], v[130:131], v[20:21]
	v_add_f64 v[140:141], v[136:137], v[138:139]
	ds_read_b128 v[136:139], v114 offset:720
	s_waitcnt lgkmcnt(1)
	v_mul_f64 v[142:143], v[132:133], v[14:15]
	v_fmac_f64_e32 v[142:143], v[134:135], v[16:17]
	v_add_f64 v[144:145], v[140:141], v[142:143]
	ds_read_b128 v[140:143], v114 offset:736
	s_waitcnt vmcnt(58) lgkmcnt(1)
	v_mul_f64 v[146:147], v[136:137], v[26:27]
	s_waitcnt vmcnt(56)
	v_fmac_f64_e32 v[146:147], v[138:139], v[28:29]
	v_add_f64 v[148:149], v[144:145], v[146:147]
	ds_read_b128 v[144:147], v114 offset:752
	s_waitcnt lgkmcnt(1)
	v_mul_f64 v[150:151], v[140:141], v[22:23]
	v_fmac_f64_e32 v[150:151], v[142:143], v[24:25]
	v_add_f64 v[152:153], v[148:149], v[150:151]
	ds_read_b128 v[148:151], v114 offset:768
	s_waitcnt vmcnt(50) lgkmcnt(1)
	v_mul_f64 v[154:155], v[144:145], v[34:35]
	s_waitcnt vmcnt(48)
	v_fmac_f64_e32 v[154:155], v[146:147], v[36:37]
	v_add_f64 v[156:157], v[152:153], v[154:155]
	ds_read_b128 v[152:155], v114 offset:784
	s_waitcnt lgkmcnt(1)
	v_mul_f64 v[158:159], v[148:149], v[30:31]
	v_fmac_f64_e32 v[158:159], v[150:151], v[32:33]
	v_add_f64 v[160:161], v[156:157], v[158:159]
	ds_read_b128 v[156:159], v114 offset:800
	v_add_f64 v[2:3], v[2:3], v[4:5]
	v_mul_f64 v[4:5], v[126:127], v[12:13]
	v_fma_f64 v[4:5], v[124:125], v[6:7], -v[4:5]
	s_waitcnt vmcnt(42) lgkmcnt(1)
	v_mul_f64 v[162:163], v[152:153], v[102:103]
	v_add_f64 v[2:3], v[2:3], v[4:5]
	v_mul_f64 v[4:5], v[130:131], v[18:19]
	s_waitcnt vmcnt(40)
	v_fmac_f64_e32 v[162:163], v[154:155], v[104:105]
	v_fma_f64 v[4:5], v[128:129], v[20:21], -v[4:5]
	v_add_f64 v[164:165], v[160:161], v[162:163]
	ds_read_b128 v[160:163], v114 offset:816
	s_waitcnt lgkmcnt(1)
	v_mul_f64 v[166:167], v[156:157], v[98:99]
	v_add_f64 v[2:3], v[2:3], v[4:5]
	v_mul_f64 v[4:5], v[134:135], v[14:15]
	v_fmac_f64_e32 v[166:167], v[158:159], v[100:101]
	v_fma_f64 v[4:5], v[132:133], v[16:17], -v[4:5]
	v_add_f64 v[168:169], v[164:165], v[166:167]
	ds_read_b128 v[164:167], v114 offset:832
	v_add_f64 v[2:3], v[2:3], v[4:5]
	v_mul_f64 v[4:5], v[138:139], v[26:27]
	v_fma_f64 v[4:5], v[136:137], v[28:29], -v[4:5]
	v_add_f64 v[2:3], v[2:3], v[4:5]
	v_mul_f64 v[4:5], v[142:143], v[22:23]
	s_waitcnt vmcnt(34) lgkmcnt(1)
	v_mul_f64 v[170:171], v[160:161], v[110:111]
	v_fma_f64 v[4:5], v[140:141], v[24:25], -v[4:5]
	s_waitcnt vmcnt(32)
	v_fmac_f64_e32 v[170:171], v[162:163], v[112:113]
	v_add_f64 v[2:3], v[2:3], v[4:5]
	v_mul_f64 v[4:5], v[146:147], v[34:35]
	v_add_f64 v[172:173], v[168:169], v[170:171]
	ds_read_b128 v[168:171], v114 offset:848
	s_waitcnt lgkmcnt(1)
	v_mul_f64 v[174:175], v[164:165], v[106:107]
	v_fma_f64 v[4:5], v[144:145], v[36:37], -v[4:5]
	v_fmac_f64_e32 v[174:175], v[166:167], v[108:109]
	v_add_f64 v[2:3], v[2:3], v[4:5]
	v_mul_f64 v[4:5], v[150:151], v[30:31]
	v_add_f64 v[176:177], v[172:173], v[174:175]
	ds_read_b128 v[172:175], v114 offset:864
	v_fma_f64 v[4:5], v[148:149], v[32:33], -v[4:5]
	v_add_f64 v[2:3], v[2:3], v[4:5]
	v_mul_f64 v[4:5], v[154:155], v[102:103]
	v_fma_f64 v[4:5], v[152:153], v[104:105], -v[4:5]
	s_waitcnt vmcnt(26) lgkmcnt(1)
	v_mul_f64 v[178:179], v[168:169], v[46:47]
	v_add_f64 v[2:3], v[2:3], v[4:5]
	v_mul_f64 v[4:5], v[158:159], v[98:99]
	s_waitcnt vmcnt(24)
	v_fmac_f64_e32 v[178:179], v[170:171], v[48:49]
	v_fma_f64 v[4:5], v[156:157], v[100:101], -v[4:5]
	v_add_f64 v[180:181], v[176:177], v[178:179]
	ds_read_b128 v[176:179], v114 offset:880
	s_waitcnt lgkmcnt(1)
	v_mul_f64 v[182:183], v[172:173], v[42:43]
	v_add_f64 v[2:3], v[2:3], v[4:5]
	v_mul_f64 v[4:5], v[162:163], v[110:111]
	v_fmac_f64_e32 v[182:183], v[174:175], v[44:45]
	v_fma_f64 v[4:5], v[160:161], v[112:113], -v[4:5]
	v_add_f64 v[184:185], v[180:181], v[182:183]
	ds_read_b128 v[180:183], v114 offset:896
	v_add_f64 v[2:3], v[2:3], v[4:5]
	v_mul_f64 v[4:5], v[166:167], v[106:107]
	v_fma_f64 v[4:5], v[164:165], v[108:109], -v[4:5]
	v_add_f64 v[2:3], v[2:3], v[4:5]
	v_mul_f64 v[4:5], v[170:171], v[46:47]
	s_waitcnt vmcnt(18) lgkmcnt(1)
	v_mul_f64 v[186:187], v[176:177], v[54:55]
	v_fma_f64 v[4:5], v[168:169], v[48:49], -v[4:5]
	s_waitcnt vmcnt(16)
	v_fmac_f64_e32 v[186:187], v[178:179], v[56:57]
	v_add_f64 v[2:3], v[2:3], v[4:5]
	v_mul_f64 v[4:5], v[174:175], v[42:43]
	v_add_f64 v[188:189], v[184:185], v[186:187]
	ds_read_b128 v[184:187], v114 offset:912
	s_waitcnt lgkmcnt(1)
	v_mul_f64 v[190:191], v[180:181], v[50:51]
	v_fma_f64 v[4:5], v[172:173], v[44:45], -v[4:5]
	v_fmac_f64_e32 v[190:191], v[182:183], v[52:53]
	v_add_f64 v[2:3], v[2:3], v[4:5]
	v_mul_f64 v[4:5], v[178:179], v[54:55]
	v_add_f64 v[204:205], v[188:189], v[190:191]
	ds_read_b128 v[188:191], v114 offset:928
	v_fma_f64 v[4:5], v[176:177], v[56:57], -v[4:5]
	v_add_f64 v[2:3], v[2:3], v[4:5]
	v_mul_f64 v[4:5], v[182:183], v[50:51]
	v_fma_f64 v[4:5], v[180:181], v[52:53], -v[4:5]
	v_add_f64 v[2:3], v[2:3], v[4:5]
	s_waitcnt vmcnt(10) lgkmcnt(1)
	v_mul_f64 v[4:5], v[186:187], v[62:63]
	v_mul_f64 v[206:207], v[184:185], v[62:63]
	s_waitcnt vmcnt(8)
	v_fma_f64 v[4:5], v[184:185], v[64:65], -v[4:5]
	v_fmac_f64_e32 v[206:207], v[186:187], v[64:65]
	v_add_f64 v[2:3], v[2:3], v[4:5]
	s_waitcnt lgkmcnt(0)
	v_mul_f64 v[4:5], v[190:191], v[58:59]
	v_add_f64 v[114:115], v[204:205], v[206:207]
	v_mul_f64 v[204:205], v[188:189], v[58:59]
	v_fma_f64 v[4:5], v[188:189], v[60:61], -v[4:5]
	v_fmac_f64_e32 v[204:205], v[190:191], v[60:61]
	v_add_f64 v[2:3], v[2:3], v[4:5]
	s_waitcnt vmcnt(6)
	v_mul_f64 v[4:5], v[198:199], v[192:193]
	v_add_f64 v[114:115], v[114:115], v[204:205]
	v_mul_f64 v[204:205], v[196:197], v[192:193]
	s_waitcnt vmcnt(4)
	v_fma_f64 v[4:5], v[196:197], v[194:195], -v[4:5]
	v_fmac_f64_e32 v[204:205], v[198:199], v[194:195]
	v_add_f64 v[2:3], v[2:3], v[4:5]
	v_add_f64 v[114:115], v[114:115], v[204:205]
	s_waitcnt vmcnt(2)
	v_add_f64 v[2:3], v[200:201], -v[2:3]
	s_waitcnt vmcnt(0)
	v_add_f64 v[4:5], v[202:203], -v[114:115]
	buffer_store_dword v3, off, s[0:3], 0 offset:148
	buffer_store_dword v2, off, s[0:3], 0 offset:144
	;; [unrolled: 1-line block ×4, first 2 shown]
	s_and_saveexec_b64 s[6:7], vcc
	s_cbranch_execz .LBB93_177
; %bb.176:
	v_accvgpr_read_b32 v5, a69
	buffer_load_dword v2, v5, s[0:3], 0 offen
	buffer_load_dword v3, v5, s[0:3], 0 offen offset:4
	buffer_load_dword v4, v5, s[0:3], 0 offen offset:8
	s_nop 0
	buffer_load_dword v5, v5, s[0:3], 0 offen offset:12
	v_mov_b32_e32 v6, 0
	buffer_store_dword v6, off, s[0:3], 0 offset:128
	buffer_store_dword v6, off, s[0:3], 0 offset:132
	;; [unrolled: 1-line block ×4, first 2 shown]
	s_waitcnt vmcnt(4)
	ds_write_b128 v231, v[2:5]
.LBB93_177:
	s_or_b64 exec, exec, s[6:7]
	s_waitcnt lgkmcnt(0)
	; wave barrier
	s_waitcnt lgkmcnt(0)
	buffer_load_dword v4, off, s[0:3], 0 offset:128
	buffer_load_dword v5, off, s[0:3], 0 offset:132
	;; [unrolled: 1-line block ×84, first 2 shown]
	v_mov_b32_e32 v146, 0
	ds_read_b128 v[126:129], v146 offset:624
	buffer_load_dword v63, off, s[0:3], 0 offset:476
	buffer_load_dword v62, off, s[0:3], 0 offset:472
	;; [unrolled: 1-line block ×4, first 2 shown]
	ds_read_b128 v[130:133], v146 offset:640
	ds_read_b128 v[134:137], v146 offset:656
	;; [unrolled: 1-line block ×5, first 2 shown]
	s_waitcnt vmcnt(62) lgkmcnt(5)
	v_mul_f64 v[142:143], v[126:127], v[12:13]
	v_fmac_f64_e32 v[142:143], v[128:129], v[6:7]
	s_waitcnt lgkmcnt(4)
	v_mul_f64 v[144:145], v[130:131], v[14:15]
	v_add_f64 v[142:143], v[142:143], 0
	v_fmac_f64_e32 v[144:145], v[132:133], v[8:9]
	v_add_f64 v[142:143], v[142:143], v[144:145]
	s_waitcnt lgkmcnt(3)
	v_mul_f64 v[144:145], v[134:135], v[16:17]
	v_fmac_f64_e32 v[144:145], v[136:137], v[10:11]
	v_add_f64 v[148:149], v[142:143], v[144:145]
	ds_read_b128 v[142:145], v146 offset:688
	v_mul_f64 v[12:13], v[128:129], v[12:13]
	s_waitcnt lgkmcnt(3)
	v_mul_f64 v[150:151], v[138:139], v[22:23]
	v_fma_f64 v[6:7], v[126:127], v[6:7], -v[12:13]
	v_fmac_f64_e32 v[150:151], v[140:141], v[24:25]
	v_add_f64 v[152:153], v[148:149], v[150:151]
	ds_read_b128 v[148:151], v146 offset:704
	s_waitcnt lgkmcnt(1)
	v_mul_f64 v[154:155], v[142:143], v[18:19]
	v_fmac_f64_e32 v[154:155], v[144:145], v[20:21]
	v_add_f64 v[156:157], v[152:153], v[154:155]
	ds_read_b128 v[152:155], v146 offset:720
	s_waitcnt vmcnt(58) lgkmcnt(1)
	v_mul_f64 v[158:159], v[148:149], v[30:31]
	s_waitcnt vmcnt(56)
	v_fmac_f64_e32 v[158:159], v[150:151], v[32:33]
	v_add_f64 v[160:161], v[156:157], v[158:159]
	ds_read_b128 v[156:159], v146 offset:736
	s_waitcnt lgkmcnt(1)
	v_mul_f64 v[162:163], v[152:153], v[26:27]
	v_fmac_f64_e32 v[162:163], v[154:155], v[28:29]
	v_add_f64 v[164:165], v[160:161], v[162:163]
	ds_read_b128 v[160:163], v146 offset:752
	s_waitcnt vmcnt(50) lgkmcnt(1)
	v_mul_f64 v[166:167], v[156:157], v[98:99]
	v_mul_f64 v[12:13], v[132:133], v[14:15]
	s_waitcnt vmcnt(48)
	v_fmac_f64_e32 v[166:167], v[158:159], v[100:101]
	v_add_f64 v[6:7], v[6:7], 0
	v_fma_f64 v[8:9], v[130:131], v[8:9], -v[12:13]
	v_add_f64 v[168:169], v[164:165], v[166:167]
	ds_read_b128 v[164:167], v146 offset:768
	v_add_f64 v[6:7], v[6:7], v[8:9]
	v_mul_f64 v[8:9], v[136:137], v[16:17]
	v_fma_f64 v[8:9], v[134:135], v[10:11], -v[8:9]
	v_add_f64 v[6:7], v[6:7], v[8:9]
	v_mul_f64 v[8:9], v[140:141], v[22:23]
	s_waitcnt lgkmcnt(1)
	v_mul_f64 v[170:171], v[160:161], v[34:35]
	v_fma_f64 v[8:9], v[138:139], v[24:25], -v[8:9]
	v_fmac_f64_e32 v[170:171], v[162:163], v[36:37]
	v_add_f64 v[6:7], v[6:7], v[8:9]
	v_mul_f64 v[8:9], v[144:145], v[18:19]
	v_add_f64 v[172:173], v[168:169], v[170:171]
	ds_read_b128 v[168:171], v146 offset:784
	s_waitcnt vmcnt(42) lgkmcnt(1)
	v_mul_f64 v[174:175], v[164:165], v[106:107]
	v_fma_f64 v[8:9], v[142:143], v[20:21], -v[8:9]
	s_waitcnt vmcnt(40)
	v_fmac_f64_e32 v[174:175], v[166:167], v[108:109]
	v_add_f64 v[6:7], v[6:7], v[8:9]
	v_mul_f64 v[8:9], v[150:151], v[30:31]
	v_add_f64 v[176:177], v[172:173], v[174:175]
	ds_read_b128 v[172:175], v146 offset:800
	v_fma_f64 v[8:9], v[148:149], v[32:33], -v[8:9]
	v_add_f64 v[6:7], v[6:7], v[8:9]
	v_mul_f64 v[8:9], v[154:155], v[26:27]
	v_fma_f64 v[8:9], v[152:153], v[28:29], -v[8:9]
	s_waitcnt lgkmcnt(1)
	v_mul_f64 v[178:179], v[168:169], v[102:103]
	v_add_f64 v[6:7], v[6:7], v[8:9]
	v_mul_f64 v[8:9], v[158:159], v[98:99]
	v_fmac_f64_e32 v[178:179], v[170:171], v[104:105]
	v_fma_f64 v[8:9], v[156:157], v[100:101], -v[8:9]
	v_add_f64 v[180:181], v[176:177], v[178:179]
	ds_read_b128 v[176:179], v146 offset:816
	s_waitcnt vmcnt(34) lgkmcnt(1)
	v_mul_f64 v[182:183], v[172:173], v[114:115]
	v_add_f64 v[6:7], v[6:7], v[8:9]
	v_mul_f64 v[8:9], v[162:163], v[34:35]
	s_waitcnt vmcnt(32)
	v_fmac_f64_e32 v[182:183], v[174:175], v[116:117]
	v_fma_f64 v[8:9], v[160:161], v[36:37], -v[8:9]
	v_add_f64 v[184:185], v[180:181], v[182:183]
	ds_read_b128 v[180:183], v146 offset:832
	v_add_f64 v[6:7], v[6:7], v[8:9]
	v_mul_f64 v[8:9], v[166:167], v[106:107]
	v_fma_f64 v[8:9], v[164:165], v[108:109], -v[8:9]
	v_add_f64 v[6:7], v[6:7], v[8:9]
	v_mul_f64 v[8:9], v[170:171], v[102:103]
	s_waitcnt lgkmcnt(1)
	v_mul_f64 v[186:187], v[176:177], v[110:111]
	v_fma_f64 v[8:9], v[168:169], v[104:105], -v[8:9]
	v_fmac_f64_e32 v[186:187], v[178:179], v[112:113]
	v_add_f64 v[6:7], v[6:7], v[8:9]
	v_mul_f64 v[8:9], v[174:175], v[114:115]
	v_add_f64 v[188:189], v[184:185], v[186:187]
	ds_read_b128 v[184:187], v146 offset:848
	s_waitcnt vmcnt(26) lgkmcnt(1)
	v_mul_f64 v[190:191], v[180:181], v[122:123]
	v_fma_f64 v[8:9], v[172:173], v[116:117], -v[8:9]
	s_waitcnt vmcnt(24)
	v_fmac_f64_e32 v[190:191], v[182:183], v[124:125]
	v_add_f64 v[6:7], v[6:7], v[8:9]
	v_mul_f64 v[8:9], v[178:179], v[110:111]
	v_add_f64 v[192:193], v[188:189], v[190:191]
	ds_read_b128 v[188:191], v146 offset:864
	v_fma_f64 v[8:9], v[176:177], v[112:113], -v[8:9]
	v_add_f64 v[6:7], v[6:7], v[8:9]
	v_mul_f64 v[8:9], v[182:183], v[122:123]
	v_fma_f64 v[8:9], v[180:181], v[124:125], -v[8:9]
	v_add_f64 v[6:7], v[6:7], v[8:9]
	s_waitcnt lgkmcnt(1)
	v_mul_f64 v[8:9], v[186:187], v[118:119]
	v_mul_f64 v[194:195], v[184:185], v[118:119]
	v_fma_f64 v[8:9], v[184:185], v[120:121], -v[8:9]
	v_fmac_f64_e32 v[194:195], v[186:187], v[120:121]
	v_add_f64 v[6:7], v[6:7], v[8:9]
	s_waitcnt vmcnt(18) lgkmcnt(0)
	v_mul_f64 v[8:9], v[190:191], v[46:47]
	v_add_f64 v[192:193], v[192:193], v[194:195]
	v_mul_f64 v[194:195], v[188:189], v[46:47]
	ds_read_b128 v[236:239], v146 offset:912
	ds_read_b128 v[240:243], v146 offset:928
	s_waitcnt vmcnt(16)
	v_fma_f64 v[8:9], v[188:189], v[48:49], -v[8:9]
	v_fmac_f64_e32 v[194:195], v[190:191], v[48:49]
	v_add_f64 v[6:7], v[6:7], v[8:9]
	v_mul_f64 v[8:9], v[198:199], v[42:43]
	v_add_f64 v[192:193], v[192:193], v[194:195]
	v_mul_f64 v[194:195], v[196:197], v[42:43]
	v_fma_f64 v[8:9], v[196:197], v[44:45], -v[8:9]
	v_fmac_f64_e32 v[194:195], v[198:199], v[44:45]
	v_add_f64 v[6:7], v[6:7], v[8:9]
	s_waitcnt vmcnt(10)
	v_mul_f64 v[8:9], v[234:235], v[54:55]
	v_add_f64 v[192:193], v[192:193], v[194:195]
	v_mul_f64 v[194:195], v[232:233], v[54:55]
	ds_read_b128 v[244:247], v146 offset:944
	s_waitcnt vmcnt(8)
	v_fma_f64 v[8:9], v[232:233], v[56:57], -v[8:9]
	v_fmac_f64_e32 v[194:195], v[234:235], v[56:57]
	v_add_f64 v[6:7], v[6:7], v[8:9]
	s_waitcnt lgkmcnt(2)
	v_mul_f64 v[8:9], v[238:239], v[50:51]
	v_add_f64 v[192:193], v[192:193], v[194:195]
	v_mul_f64 v[194:195], v[236:237], v[50:51]
	v_fma_f64 v[8:9], v[236:237], v[52:53], -v[8:9]
	v_fmac_f64_e32 v[194:195], v[238:239], v[52:53]
	v_add_f64 v[6:7], v[6:7], v[8:9]
	s_waitcnt vmcnt(6) lgkmcnt(1)
	v_mul_f64 v[8:9], v[242:243], v[58:59]
	v_add_f64 v[192:193], v[192:193], v[194:195]
	v_mul_f64 v[194:195], v[240:241], v[58:59]
	s_waitcnt vmcnt(4)
	v_fma_f64 v[8:9], v[240:241], v[60:61], -v[8:9]
	v_fmac_f64_e32 v[194:195], v[242:243], v[60:61]
	v_add_f64 v[6:7], v[6:7], v[8:9]
	s_waitcnt vmcnt(2) lgkmcnt(0)
	v_mul_f64 v[8:9], v[246:247], v[62:63]
	v_add_f64 v[192:193], v[192:193], v[194:195]
	v_mul_f64 v[194:195], v[244:245], v[62:63]
	s_waitcnt vmcnt(0)
	v_fma_f64 v[8:9], v[244:245], v[64:65], -v[8:9]
	v_fmac_f64_e32 v[194:195], v[246:247], v[64:65]
	v_add_f64 v[6:7], v[6:7], v[8:9]
	v_add_f64 v[192:193], v[192:193], v[194:195]
	v_add_f64 v[4:5], v[4:5], -v[6:7]
	v_cmp_lt_u32_e32 vcc, 7, v230
	v_add_f64 v[2:3], v[2:3], -v[192:193]
	buffer_store_dword v5, off, s[0:3], 0 offset:132
	buffer_store_dword v4, off, s[0:3], 0 offset:128
	;; [unrolled: 1-line block ×4, first 2 shown]
	s_and_saveexec_b64 s[6:7], vcc
	s_cbranch_execz .LBB93_179
; %bb.178:
	v_accvgpr_read_b32 v5, a67
	buffer_load_dword v2, v5, s[0:3], 0 offen
	buffer_load_dword v3, v5, s[0:3], 0 offen offset:4
	buffer_load_dword v4, v5, s[0:3], 0 offen offset:8
	s_nop 0
	buffer_load_dword v5, v5, s[0:3], 0 offen offset:12
	s_nop 0
	buffer_store_dword v146, off, s[0:3], 0 offset:112
	buffer_store_dword v146, off, s[0:3], 0 offset:116
	;; [unrolled: 1-line block ×4, first 2 shown]
	s_waitcnt vmcnt(4)
	ds_write_b128 v231, v[2:5]
.LBB93_179:
	s_or_b64 exec, exec, s[6:7]
	s_waitcnt lgkmcnt(0)
	; wave barrier
	s_waitcnt lgkmcnt(0)
	ds_read_b128 v[14:17], v146 offset:608
	ds_read_b128 v[10:13], v146 offset:624
	;; [unrolled: 1-line block ×4, first 2 shown]
	buffer_load_dword v20, off, s[0:3], 0 offset:112
	buffer_load_dword v21, off, s[0:3], 0 offset:116
	;; [unrolled: 1-line block ×92, first 2 shown]
	s_waitcnt vmcnt(62) lgkmcnt(3)
	v_mul_f64 v[62:63], v[14:15], v[28:29]
	v_fmac_f64_e32 v[62:63], v[16:17], v[22:23]
	s_waitcnt lgkmcnt(2)
	v_mul_f64 v[148:149], v[10:11], v[30:31]
	v_add_f64 v[62:63], v[62:63], 0
	v_fmac_f64_e32 v[148:149], v[12:13], v[24:25]
	v_add_f64 v[62:63], v[62:63], v[148:149]
	s_waitcnt lgkmcnt(1)
	v_mul_f64 v[148:149], v[6:7], v[32:33]
	v_fmac_f64_e32 v[148:149], v[8:9], v[26:27]
	v_add_f64 v[62:63], v[62:63], v[148:149]
	ds_read_b128 v[148:151], v146 offset:672
	v_mul_f64 v[16:17], v[16:17], v[28:29]
	v_fma_f64 v[14:15], v[14:15], v[22:23], -v[16:17]
	s_waitcnt lgkmcnt(1)
	v_mul_f64 v[152:153], v[2:3], v[98:99]
	v_mul_f64 v[12:13], v[12:13], v[30:31]
	v_fmac_f64_e32 v[152:153], v[4:5], v[100:101]
	v_add_f64 v[62:63], v[62:63], v[152:153]
	ds_read_b128 v[152:155], v146 offset:688
	s_waitcnt lgkmcnt(1)
	v_mul_f64 v[156:157], v[148:149], v[34:35]
	v_fmac_f64_e32 v[156:157], v[150:151], v[36:37]
	v_add_f64 v[62:63], v[62:63], v[156:157]
	ds_read_b128 v[156:159], v146 offset:704
	s_waitcnt lgkmcnt(1)
	v_mul_f64 v[160:161], v[152:153], v[106:107]
	s_waitcnt vmcnt(60)
	v_fmac_f64_e32 v[160:161], v[154:155], v[108:109]
	v_add_f64 v[62:63], v[62:63], v[160:161]
	ds_read_b128 v[160:163], v146 offset:720
	s_waitcnt lgkmcnt(1)
	v_mul_f64 v[164:165], v[156:157], v[102:103]
	v_fmac_f64_e32 v[164:165], v[158:159], v[104:105]
	v_add_f64 v[62:63], v[62:63], v[164:165]
	ds_read_b128 v[164:167], v146 offset:736
	s_waitcnt vmcnt(54) lgkmcnt(1)
	v_mul_f64 v[168:169], v[160:161], v[114:115]
	s_waitcnt vmcnt(52)
	v_fmac_f64_e32 v[168:169], v[162:163], v[116:117]
	v_add_f64 v[14:15], v[14:15], 0
	v_fma_f64 v[10:11], v[10:11], v[24:25], -v[12:13]
	v_mul_f64 v[8:9], v[8:9], v[32:33]
	v_add_f64 v[62:63], v[62:63], v[168:169]
	ds_read_b128 v[168:171], v146 offset:752
	s_waitcnt lgkmcnt(1)
	v_mul_f64 v[172:173], v[164:165], v[110:111]
	v_add_f64 v[10:11], v[14:15], v[10:11]
	v_fma_f64 v[6:7], v[6:7], v[26:27], -v[8:9]
	v_mul_f64 v[4:5], v[4:5], v[98:99]
	v_fmac_f64_e32 v[172:173], v[166:167], v[112:113]
	v_add_f64 v[6:7], v[10:11], v[6:7]
	v_fma_f64 v[2:3], v[2:3], v[100:101], -v[4:5]
	v_mul_f64 v[4:5], v[150:151], v[34:35]
	v_add_f64 v[62:63], v[62:63], v[172:173]
	ds_read_b128 v[172:175], v146 offset:768
	v_add_f64 v[2:3], v[6:7], v[2:3]
	v_fma_f64 v[4:5], v[148:149], v[36:37], -v[4:5]
	v_add_f64 v[2:3], v[2:3], v[4:5]
	v_mul_f64 v[4:5], v[154:155], v[106:107]
	v_fma_f64 v[4:5], v[152:153], v[108:109], -v[4:5]
	s_waitcnt vmcnt(46) lgkmcnt(1)
	v_mul_f64 v[176:177], v[168:169], v[122:123]
	v_add_f64 v[2:3], v[2:3], v[4:5]
	v_mul_f64 v[4:5], v[158:159], v[102:103]
	s_waitcnt vmcnt(44)
	v_fmac_f64_e32 v[176:177], v[170:171], v[124:125]
	v_fma_f64 v[4:5], v[156:157], v[104:105], -v[4:5]
	v_add_f64 v[62:63], v[62:63], v[176:177]
	ds_read_b128 v[176:179], v146 offset:784
	s_waitcnt lgkmcnt(1)
	v_mul_f64 v[180:181], v[172:173], v[118:119]
	v_add_f64 v[2:3], v[2:3], v[4:5]
	v_mul_f64 v[4:5], v[162:163], v[114:115]
	v_fmac_f64_e32 v[180:181], v[174:175], v[120:121]
	v_fma_f64 v[4:5], v[160:161], v[116:117], -v[4:5]
	v_add_f64 v[62:63], v[62:63], v[180:181]
	ds_read_b128 v[180:183], v146 offset:800
	v_add_f64 v[2:3], v[2:3], v[4:5]
	v_mul_f64 v[4:5], v[166:167], v[110:111]
	v_fma_f64 v[4:5], v[164:165], v[112:113], -v[4:5]
	v_add_f64 v[2:3], v[2:3], v[4:5]
	v_mul_f64 v[4:5], v[170:171], v[122:123]
	s_waitcnt vmcnt(38) lgkmcnt(1)
	v_mul_f64 v[184:185], v[176:177], v[130:131]
	v_fma_f64 v[4:5], v[168:169], v[124:125], -v[4:5]
	s_waitcnt vmcnt(36)
	v_fmac_f64_e32 v[184:185], v[178:179], v[132:133]
	v_add_f64 v[2:3], v[2:3], v[4:5]
	v_mul_f64 v[4:5], v[174:175], v[118:119]
	v_add_f64 v[62:63], v[62:63], v[184:185]
	ds_read_b128 v[184:187], v146 offset:816
	s_waitcnt lgkmcnt(1)
	v_mul_f64 v[188:189], v[180:181], v[126:127]
	v_fma_f64 v[4:5], v[172:173], v[120:121], -v[4:5]
	v_fmac_f64_e32 v[188:189], v[182:183], v[128:129]
	v_add_f64 v[2:3], v[2:3], v[4:5]
	v_mul_f64 v[4:5], v[178:179], v[130:131]
	v_add_f64 v[62:63], v[62:63], v[188:189]
	ds_read_b128 v[188:191], v146 offset:832
	ds_read_b128 v[196:199], v146 offset:848
	v_fma_f64 v[4:5], v[176:177], v[132:133], -v[4:5]
	v_add_f64 v[2:3], v[2:3], v[4:5]
	v_mul_f64 v[4:5], v[182:183], v[126:127]
	v_fma_f64 v[4:5], v[180:181], v[128:129], -v[4:5]
	v_add_f64 v[2:3], v[2:3], v[4:5]
	s_waitcnt vmcnt(30) lgkmcnt(2)
	v_mul_f64 v[4:5], v[186:187], v[138:139]
	ds_read_b128 v[232:235], v146 offset:864
	ds_read_b128 v[236:239], v146 offset:880
	s_waitcnt vmcnt(28)
	v_fma_f64 v[4:5], v[184:185], v[140:141], -v[4:5]
	v_mul_f64 v[194:195], v[184:185], v[138:139]
	v_add_f64 v[2:3], v[2:3], v[4:5]
	s_waitcnt lgkmcnt(3)
	v_mul_f64 v[4:5], v[190:191], v[134:135]
	v_fmac_f64_e32 v[194:195], v[186:187], v[140:141]
	v_fma_f64 v[4:5], v[188:189], v[136:137], -v[4:5]
	v_add_f64 v[62:63], v[62:63], v[194:195]
	v_mul_f64 v[194:195], v[188:189], v[134:135]
	v_add_f64 v[2:3], v[2:3], v[4:5]
	s_waitcnt vmcnt(22) lgkmcnt(2)
	v_mul_f64 v[4:5], v[198:199], v[42:43]
	v_fmac_f64_e32 v[194:195], v[190:191], v[136:137]
	ds_read_b128 v[240:243], v146 offset:896
	ds_read_b128 v[244:247], v146 offset:912
	s_waitcnt vmcnt(20)
	v_fma_f64 v[4:5], v[196:197], v[44:45], -v[4:5]
	v_add_f64 v[62:63], v[62:63], v[194:195]
	v_mul_f64 v[194:195], v[196:197], v[42:43]
	v_add_f64 v[2:3], v[2:3], v[4:5]
	s_waitcnt lgkmcnt(3)
	v_mul_f64 v[4:5], v[234:235], v[142:143]
	v_fmac_f64_e32 v[194:195], v[198:199], v[44:45]
	v_fma_f64 v[4:5], v[232:233], v[144:145], -v[4:5]
	v_add_f64 v[62:63], v[62:63], v[194:195]
	v_mul_f64 v[194:195], v[232:233], v[142:143]
	v_add_f64 v[2:3], v[2:3], v[4:5]
	s_waitcnt vmcnt(14) lgkmcnt(2)
	v_mul_f64 v[4:5], v[238:239], v[50:51]
	v_fmac_f64_e32 v[194:195], v[234:235], v[144:145]
	ds_read_b128 v[248:251], v146 offset:928
	ds_read_b128 v[252:255], v146 offset:944
	s_waitcnt vmcnt(12)
	v_fma_f64 v[4:5], v[236:237], v[52:53], -v[4:5]
	v_add_f64 v[62:63], v[62:63], v[194:195]
	v_mul_f64 v[194:195], v[236:237], v[50:51]
	v_add_f64 v[2:3], v[2:3], v[4:5]
	s_waitcnt lgkmcnt(3)
	v_mul_f64 v[4:5], v[242:243], v[46:47]
	v_fmac_f64_e32 v[194:195], v[238:239], v[52:53]
	v_fma_f64 v[4:5], v[240:241], v[48:49], -v[4:5]
	v_add_f64 v[62:63], v[62:63], v[194:195]
	v_mul_f64 v[194:195], v[240:241], v[46:47]
	v_add_f64 v[2:3], v[2:3], v[4:5]
	s_waitcnt vmcnt(6) lgkmcnt(2)
	v_mul_f64 v[4:5], v[246:247], v[58:59]
	v_fmac_f64_e32 v[194:195], v[242:243], v[48:49]
	s_waitcnt vmcnt(4)
	v_fma_f64 v[4:5], v[244:245], v[60:61], -v[4:5]
	v_add_f64 v[62:63], v[62:63], v[194:195]
	v_mul_f64 v[194:195], v[244:245], v[58:59]
	v_add_f64 v[2:3], v[2:3], v[4:5]
	s_waitcnt lgkmcnt(1)
	v_mul_f64 v[4:5], v[250:251], v[54:55]
	v_fmac_f64_e32 v[194:195], v[246:247], v[60:61]
	v_mul_f64 v[146:147], v[248:249], v[54:55]
	v_fma_f64 v[4:5], v[248:249], v[56:57], -v[4:5]
	v_add_f64 v[62:63], v[62:63], v[194:195]
	v_fmac_f64_e32 v[146:147], v[250:251], v[56:57]
	v_add_f64 v[2:3], v[2:3], v[4:5]
	s_waitcnt vmcnt(2) lgkmcnt(0)
	v_mul_f64 v[4:5], v[254:255], v[64:65]
	v_add_f64 v[62:63], v[62:63], v[146:147]
	v_mul_f64 v[146:147], v[252:253], v[64:65]
	s_waitcnt vmcnt(0)
	v_fma_f64 v[4:5], v[252:253], v[192:193], -v[4:5]
	v_fmac_f64_e32 v[146:147], v[254:255], v[192:193]
	v_add_f64 v[2:3], v[2:3], v[4:5]
	v_add_f64 v[62:63], v[62:63], v[146:147]
	v_add_f64 v[2:3], v[20:21], -v[2:3]
	v_cmp_lt_u32_e32 vcc, 6, v230
	v_add_f64 v[4:5], v[18:19], -v[62:63]
	buffer_store_dword v3, off, s[0:3], 0 offset:116
	buffer_store_dword v2, off, s[0:3], 0 offset:112
	;; [unrolled: 1-line block ×4, first 2 shown]
	s_and_saveexec_b64 s[6:7], vcc
	s_cbranch_execz .LBB93_181
; %bb.180:
	v_accvgpr_read_b32 v5, a73
	buffer_load_dword v2, v5, s[0:3], 0 offen
	buffer_load_dword v3, v5, s[0:3], 0 offen offset:4
	buffer_load_dword v4, v5, s[0:3], 0 offen offset:8
	s_nop 0
	buffer_load_dword v5, v5, s[0:3], 0 offen offset:12
	v_mov_b32_e32 v6, 0
	buffer_store_dword v6, off, s[0:3], 0 offset:96
	buffer_store_dword v6, off, s[0:3], 0 offset:100
	;; [unrolled: 1-line block ×4, first 2 shown]
	s_waitcnt vmcnt(4)
	ds_write_b128 v231, v[2:5]
.LBB93_181:
	s_or_b64 exec, exec, s[6:7]
	s_waitcnt lgkmcnt(0)
	; wave barrier
	s_waitcnt lgkmcnt(0)
	buffer_load_dword v9, off, s[0:3], 0 offset:124
	buffer_load_dword v6, off, s[0:3], 0 offset:136
	;; [unrolled: 1-line block ×64, first 2 shown]
	v_mov_b32_e32 v158, 0
	ds_read_b128 v[134:137], v158 offset:592
	ds_read_b128 v[138:141], v158 offset:608
	buffer_load_dword v127, off, s[0:3], 0 offset:380
	buffer_load_dword v126, off, s[0:3], 0 offset:376
	buffer_load_dword v129, off, s[0:3], 0 offset:372
	buffer_load_dword v128, off, s[0:3], 0 offset:368
	buffer_load_dword v131, off, s[0:3], 0 offset:364
	buffer_load_dword v130, off, s[0:3], 0 offset:360
	buffer_load_dword v133, off, s[0:3], 0 offset:356
	buffer_load_dword v132, off, s[0:3], 0 offset:352
	ds_read_b128 v[142:145], v158 offset:624
	ds_read_b128 v[146:149], v158 offset:640
	buffer_load_dword v47, off, s[0:3], 0 offset:412
	buffer_load_dword v46, off, s[0:3], 0 offset:408
	;; [unrolled: 1-line block ×24, first 2 shown]
	ds_read_b128 v[150:153], v158 offset:656
	ds_read_b128 v[154:157], v158 offset:672
	;; [unrolled: 1-line block ×19, first 2 shown]
	v_cmp_lt_u32_e32 vcc, 5, v230
	s_waitcnt vmcnt(62) lgkmcnt(14)
	v_mul_f64 v[44:45], v[138:139], v[6:7]
	v_mul_f64 v[42:43], v[134:135], v[8:9]
	;; [unrolled: 1-line block ×3, first 2 shown]
	v_fma_f64 v[8:9], v[134:135], v[10:11], -v[8:9]
	v_mul_f64 v[6:7], v[140:141], v[6:7]
	v_fmac_f64_e32 v[42:43], v[136:137], v[10:11]
	v_add_f64 v[8:9], v[8:9], 0
	v_add_f64 v[42:43], v[42:43], 0
	v_fma_f64 v[6:7], v[138:139], v[14:15], -v[6:7]
	v_fmac_f64_e32 v[44:45], v[140:141], v[14:15]
	v_add_f64 v[6:7], v[8:9], v[6:7]
	v_mul_f64 v[8:9], v[144:145], v[16:17]
	v_add_f64 v[42:43], v[42:43], v[44:45]
	v_mul_f64 v[44:45], v[142:143], v[16:17]
	v_fma_f64 v[8:9], v[142:143], v[12:13], -v[8:9]
	v_fmac_f64_e32 v[44:45], v[144:145], v[12:13]
	v_add_f64 v[6:7], v[6:7], v[8:9]
	v_mul_f64 v[8:9], v[148:149], v[22:23]
	v_add_f64 v[42:43], v[42:43], v[44:45]
	v_mul_f64 v[44:45], v[146:147], v[22:23]
	;; [unrolled: 6-line block ×5, first 2 shown]
	v_fma_f64 v[8:9], v[160:161], v[28:29], -v[8:9]
	v_fmac_f64_e32 v[44:45], v[162:163], v[28:29]
	v_add_f64 v[6:7], v[6:7], v[8:9]
	s_waitcnt vmcnt(58)
	v_mul_f64 v[8:9], v[166:167], v[98:99]
	v_add_f64 v[42:43], v[42:43], v[44:45]
	v_mul_f64 v[44:45], v[164:165], v[98:99]
	s_waitcnt vmcnt(56)
	v_fma_f64 v[8:9], v[164:165], v[100:101], -v[8:9]
	v_fmac_f64_e32 v[44:45], v[166:167], v[100:101]
	v_add_f64 v[6:7], v[6:7], v[8:9]
	v_mul_f64 v[8:9], v[170:171], v[34:35]
	v_add_f64 v[42:43], v[42:43], v[44:45]
	v_mul_f64 v[44:45], v[168:169], v[34:35]
	v_fma_f64 v[8:9], v[168:169], v[36:37], -v[8:9]
	v_fmac_f64_e32 v[44:45], v[170:171], v[36:37]
	v_add_f64 v[6:7], v[6:7], v[8:9]
	s_waitcnt vmcnt(50) lgkmcnt(13)
	v_mul_f64 v[8:9], v[174:175], v[106:107]
	v_add_f64 v[42:43], v[42:43], v[44:45]
	v_mul_f64 v[44:45], v[172:173], v[106:107]
	s_waitcnt vmcnt(48)
	v_fma_f64 v[8:9], v[172:173], v[108:109], -v[8:9]
	v_fmac_f64_e32 v[44:45], v[174:175], v[108:109]
	v_add_f64 v[6:7], v[6:7], v[8:9]
	s_waitcnt lgkmcnt(12)
	v_mul_f64 v[8:9], v[178:179], v[102:103]
	v_add_f64 v[42:43], v[42:43], v[44:45]
	v_mul_f64 v[44:45], v[176:177], v[102:103]
	v_fma_f64 v[8:9], v[176:177], v[104:105], -v[8:9]
	v_fmac_f64_e32 v[44:45], v[178:179], v[104:105]
	v_add_f64 v[6:7], v[6:7], v[8:9]
	s_waitcnt vmcnt(42) lgkmcnt(11)
	v_mul_f64 v[8:9], v[182:183], v[114:115]
	v_add_f64 v[42:43], v[42:43], v[44:45]
	v_mul_f64 v[44:45], v[180:181], v[114:115]
	s_waitcnt vmcnt(40)
	v_fma_f64 v[8:9], v[180:181], v[116:117], -v[8:9]
	v_fmac_f64_e32 v[44:45], v[182:183], v[116:117]
	v_add_f64 v[6:7], v[6:7], v[8:9]
	s_waitcnt lgkmcnt(10)
	;; [unrolled: 15-line block ×7, first 2 shown]
	v_mul_f64 v[8:9], v[206:207], v[62:63]
	v_add_f64 v[42:43], v[42:43], v[44:45]
	v_mul_f64 v[44:45], v[204:205], v[62:63]
	v_fma_f64 v[8:9], v[204:205], v[64:65], -v[8:9]
	v_fmac_f64_e32 v[44:45], v[206:207], v[64:65]
	v_add_f64 v[6:7], v[6:7], v[8:9]
	v_add_f64 v[42:43], v[42:43], v[44:45]
	v_add_f64 v[4:5], v[4:5], -v[6:7]
	v_add_f64 v[2:3], v[2:3], -v[42:43]
	buffer_store_dword v5, off, s[0:3], 0 offset:100
	buffer_store_dword v4, off, s[0:3], 0 offset:96
	;; [unrolled: 1-line block ×4, first 2 shown]
	s_and_saveexec_b64 s[6:7], vcc
	s_cbranch_execz .LBB93_183
; %bb.182:
	v_accvgpr_read_b32 v5, a72
	buffer_load_dword v2, v5, s[0:3], 0 offen
	buffer_load_dword v3, v5, s[0:3], 0 offen offset:4
	buffer_load_dword v4, v5, s[0:3], 0 offen offset:8
	s_nop 0
	buffer_load_dword v5, v5, s[0:3], 0 offen offset:12
	s_nop 0
	buffer_store_dword v158, off, s[0:3], 0 offset:80
	buffer_store_dword v158, off, s[0:3], 0 offset:84
	;; [unrolled: 1-line block ×4, first 2 shown]
	s_waitcnt vmcnt(4)
	ds_write_b128 v231, v[2:5]
.LBB93_183:
	s_or_b64 exec, exec, s[6:7]
	s_waitcnt lgkmcnt(0)
	; wave barrier
	s_waitcnt lgkmcnt(0)
	buffer_load_dword v22, off, s[0:3], 0 offset:96
	buffer_load_dword v23, off, s[0:3], 0 offset:100
	;; [unrolled: 1-line block ×16, first 2 shown]
	ds_read_b128 v[2:5], v158 offset:576
	ds_read_b128 v[6:9], v158 offset:592
	;; [unrolled: 1-line block ×4, first 2 shown]
	buffer_load_dword v35, off, s[0:3], 0 offset:172
	buffer_load_dword v34, off, s[0:3], 0 offset:168
	;; [unrolled: 1-line block ×48, first 2 shown]
	v_cmp_lt_u32_e32 vcc, 4, v230
	s_waitcnt vmcnt(60) lgkmcnt(3)
	v_mul_f64 v[42:43], v[2:3], v[24:25]
	v_fmac_f64_e32 v[42:43], v[4:5], v[22:23]
	v_add_f64 v[42:43], v[42:43], 0
	v_mul_f64 v[4:5], v[4:5], v[24:25]
	s_waitcnt vmcnt(56) lgkmcnt(2)
	v_mul_f64 v[44:45], v[6:7], v[32:33]
	v_fma_f64 v[2:3], v[2:3], v[22:23], -v[4:5]
	v_mul_f64 v[4:5], v[8:9], v[32:33]
	v_add_f64 v[2:3], v[2:3], 0
	s_waitcnt vmcnt(52)
	v_fmac_f64_e32 v[44:45], v[8:9], v[28:29]
	v_add_f64 v[42:43], v[42:43], v[44:45]
	buffer_load_dword v143, off, s[0:3], 0 offset:364
	buffer_load_dword v142, off, s[0:3], 0 offset:360
	;; [unrolled: 1-line block ×32, first 2 shown]
	ds_read_b128 v[160:163], v158 offset:640
	buffer_load_dword v63, off, s[0:3], 0 offset:476
	buffer_load_dword v62, off, s[0:3], 0 offset:472
	;; [unrolled: 1-line block ×4, first 2 shown]
	v_fma_f64 v[4:5], v[6:7], v[28:29], -v[4:5]
	v_add_f64 v[2:3], v[2:3], v[4:5]
	s_waitcnt lgkmcnt(2)
	v_mul_f64 v[4:5], v[12:13], v[26:27]
	v_mul_f64 v[46:47], v[10:11], v[26:27]
	ds_read_b128 v[164:167], v158 offset:656
	ds_read_b128 v[168:171], v158 offset:672
	v_fma_f64 v[4:5], v[10:11], v[30:31], -v[4:5]
	v_fmac_f64_e32 v[46:47], v[12:13], v[30:31]
	v_add_f64 v[2:3], v[2:3], v[4:5]
	s_waitcnt vmcnt(62) lgkmcnt(3)
	v_mul_f64 v[4:5], v[16:17], v[98:99]
	v_add_f64 v[42:43], v[42:43], v[46:47]
	v_mul_f64 v[46:47], v[14:15], v[98:99]
	v_fma_f64 v[4:5], v[14:15], v[100:101], -v[4:5]
	v_fmac_f64_e32 v[46:47], v[16:17], v[100:101]
	v_add_f64 v[2:3], v[2:3], v[4:5]
	s_waitcnt lgkmcnt(2)
	v_mul_f64 v[4:5], v[162:163], v[34:35]
	v_add_f64 v[42:43], v[42:43], v[46:47]
	v_mul_f64 v[46:47], v[160:161], v[34:35]
	ds_read_b128 v[172:175], v158 offset:688
	ds_read_b128 v[176:179], v158 offset:704
	v_fma_f64 v[4:5], v[160:161], v[36:37], -v[4:5]
	v_fmac_f64_e32 v[46:47], v[162:163], v[36:37]
	v_add_f64 v[2:3], v[2:3], v[4:5]
	s_waitcnt lgkmcnt(3)
	v_mul_f64 v[4:5], v[166:167], v[106:107]
	v_add_f64 v[42:43], v[42:43], v[46:47]
	v_mul_f64 v[46:47], v[164:165], v[106:107]
	v_fma_f64 v[4:5], v[164:165], v[108:109], -v[4:5]
	v_fmac_f64_e32 v[46:47], v[166:167], v[108:109]
	v_add_f64 v[2:3], v[2:3], v[4:5]
	s_waitcnt lgkmcnt(2)
	v_mul_f64 v[4:5], v[170:171], v[102:103]
	v_add_f64 v[42:43], v[42:43], v[46:47]
	v_mul_f64 v[46:47], v[168:169], v[102:103]
	ds_read_b128 v[180:183], v158 offset:720
	ds_read_b128 v[184:187], v158 offset:736
	v_fma_f64 v[4:5], v[168:169], v[104:105], -v[4:5]
	v_fmac_f64_e32 v[46:47], v[170:171], v[104:105]
	v_add_f64 v[2:3], v[2:3], v[4:5]
	s_waitcnt lgkmcnt(3)
	v_mul_f64 v[4:5], v[174:175], v[114:115]
	v_add_f64 v[42:43], v[42:43], v[46:47]
	v_mul_f64 v[46:47], v[172:173], v[114:115]
	s_waitcnt vmcnt(60)
	v_fma_f64 v[4:5], v[172:173], v[116:117], -v[4:5]
	v_fmac_f64_e32 v[46:47], v[174:175], v[116:117]
	v_add_f64 v[2:3], v[2:3], v[4:5]
	s_waitcnt lgkmcnt(2)
	v_mul_f64 v[4:5], v[178:179], v[110:111]
	v_add_f64 v[42:43], v[42:43], v[46:47]
	v_mul_f64 v[46:47], v[176:177], v[110:111]
	ds_read_b128 v[188:191], v158 offset:752
	ds_read_b128 v[196:199], v158 offset:768
	v_fma_f64 v[4:5], v[176:177], v[112:113], -v[4:5]
	v_fmac_f64_e32 v[46:47], v[178:179], v[112:113]
	v_add_f64 v[2:3], v[2:3], v[4:5]
	s_waitcnt vmcnt(54) lgkmcnt(3)
	v_mul_f64 v[4:5], v[182:183], v[122:123]
	v_add_f64 v[42:43], v[42:43], v[46:47]
	v_mul_f64 v[46:47], v[180:181], v[122:123]
	s_waitcnt vmcnt(52)
	v_fma_f64 v[4:5], v[180:181], v[124:125], -v[4:5]
	v_fmac_f64_e32 v[46:47], v[182:183], v[124:125]
	v_add_f64 v[2:3], v[2:3], v[4:5]
	s_waitcnt lgkmcnt(2)
	v_mul_f64 v[4:5], v[186:187], v[118:119]
	v_add_f64 v[42:43], v[42:43], v[46:47]
	v_mul_f64 v[46:47], v[184:185], v[118:119]
	ds_read_b128 v[200:203], v158 offset:784
	ds_read_b128 v[204:207], v158 offset:800
	v_fma_f64 v[4:5], v[184:185], v[120:121], -v[4:5]
	v_fmac_f64_e32 v[46:47], v[186:187], v[120:121]
	v_add_f64 v[2:3], v[2:3], v[4:5]
	s_waitcnt vmcnt(46) lgkmcnt(3)
	v_mul_f64 v[4:5], v[190:191], v[130:131]
	v_add_f64 v[42:43], v[42:43], v[46:47]
	v_mul_f64 v[46:47], v[188:189], v[130:131]
	s_waitcnt vmcnt(44)
	v_fma_f64 v[4:5], v[188:189], v[132:133], -v[4:5]
	v_fmac_f64_e32 v[46:47], v[190:191], v[132:133]
	v_add_f64 v[2:3], v[2:3], v[4:5]
	s_waitcnt lgkmcnt(2)
	v_mul_f64 v[4:5], v[198:199], v[126:127]
	v_add_f64 v[42:43], v[42:43], v[46:47]
	v_mul_f64 v[46:47], v[196:197], v[126:127]
	ds_read_b128 v[232:235], v158 offset:816
	ds_read_b128 v[236:239], v158 offset:832
	v_fma_f64 v[4:5], v[196:197], v[128:129], -v[4:5]
	v_fmac_f64_e32 v[46:47], v[198:199], v[128:129]
	v_add_f64 v[2:3], v[2:3], v[4:5]
	s_waitcnt vmcnt(38) lgkmcnt(3)
	v_mul_f64 v[4:5], v[202:203], v[138:139]
	v_add_f64 v[42:43], v[42:43], v[46:47]
	v_mul_f64 v[46:47], v[200:201], v[138:139]
	s_waitcnt vmcnt(36)
	v_fma_f64 v[4:5], v[200:201], v[140:141], -v[4:5]
	v_fmac_f64_e32 v[46:47], v[202:203], v[140:141]
	v_add_f64 v[2:3], v[2:3], v[4:5]
	s_waitcnt lgkmcnt(2)
	v_mul_f64 v[4:5], v[206:207], v[134:135]
	v_add_f64 v[42:43], v[42:43], v[46:47]
	v_mul_f64 v[46:47], v[204:205], v[134:135]
	ds_read_b128 v[240:243], v158 offset:848
	ds_read_b128 v[244:247], v158 offset:864
	v_fma_f64 v[4:5], v[204:205], v[136:137], -v[4:5]
	v_fmac_f64_e32 v[46:47], v[206:207], v[136:137]
	v_add_f64 v[2:3], v[2:3], v[4:5]
	s_waitcnt vmcnt(30) lgkmcnt(3)
	v_mul_f64 v[4:5], v[234:235], v[146:147]
	v_add_f64 v[42:43], v[42:43], v[46:47]
	v_mul_f64 v[46:47], v[232:233], v[146:147]
	s_waitcnt vmcnt(28)
	v_fma_f64 v[4:5], v[232:233], v[148:149], -v[4:5]
	v_fmac_f64_e32 v[46:47], v[234:235], v[148:149]
	v_add_f64 v[2:3], v[2:3], v[4:5]
	s_waitcnt lgkmcnt(2)
	v_mul_f64 v[4:5], v[238:239], v[142:143]
	v_add_f64 v[42:43], v[42:43], v[46:47]
	v_mul_f64 v[46:47], v[236:237], v[142:143]
	ds_read_b128 v[248:251], v158 offset:880
	ds_read_b128 v[252:255], v158 offset:896
	v_fma_f64 v[4:5], v[236:237], v[144:145], -v[4:5]
	v_fmac_f64_e32 v[46:47], v[238:239], v[144:145]
	v_add_f64 v[2:3], v[2:3], v[4:5]
	s_waitcnt vmcnt(22) lgkmcnt(3)
	v_mul_f64 v[4:5], v[242:243], v[154:155]
	v_add_f64 v[42:43], v[42:43], v[46:47]
	v_mul_f64 v[46:47], v[240:241], v[154:155]
	s_waitcnt vmcnt(20)
	v_fma_f64 v[4:5], v[240:241], v[156:157], -v[4:5]
	v_fmac_f64_e32 v[46:47], v[242:243], v[156:157]
	v_add_f64 v[2:3], v[2:3], v[4:5]
	s_waitcnt lgkmcnt(2)
	v_mul_f64 v[4:5], v[246:247], v[150:151]
	v_add_f64 v[42:43], v[42:43], v[46:47]
	v_mul_f64 v[46:47], v[244:245], v[150:151]
	ds_read_b128 v[208:211], v158 offset:912
	ds_read_b128 v[212:215], v158 offset:928
	v_fma_f64 v[4:5], v[244:245], v[152:153], -v[4:5]
	v_fmac_f64_e32 v[46:47], v[246:247], v[152:153]
	v_add_f64 v[2:3], v[2:3], v[4:5]
	s_waitcnt vmcnt(14) lgkmcnt(3)
	v_mul_f64 v[4:5], v[250:251], v[50:51]
	v_add_f64 v[42:43], v[42:43], v[46:47]
	v_mul_f64 v[46:47], v[248:249], v[50:51]
	s_waitcnt vmcnt(12)
	v_fma_f64 v[4:5], v[248:249], v[52:53], -v[4:5]
	v_fmac_f64_e32 v[46:47], v[250:251], v[52:53]
	v_add_f64 v[2:3], v[2:3], v[4:5]
	s_waitcnt lgkmcnt(2)
	v_mul_f64 v[4:5], v[254:255], v[44:45]
	v_add_f64 v[42:43], v[42:43], v[46:47]
	v_mul_f64 v[46:47], v[252:253], v[44:45]
	ds_read_b128 v[216:219], v158 offset:944
	v_fma_f64 v[4:5], v[252:253], v[48:49], -v[4:5]
	v_fmac_f64_e32 v[46:47], v[254:255], v[48:49]
	v_add_f64 v[2:3], v[2:3], v[4:5]
	s_waitcnt vmcnt(6) lgkmcnt(2)
	v_mul_f64 v[4:5], v[210:211], v[58:59]
	v_add_f64 v[42:43], v[42:43], v[46:47]
	v_mul_f64 v[46:47], v[208:209], v[58:59]
	s_waitcnt vmcnt(4)
	v_fma_f64 v[4:5], v[208:209], v[60:61], -v[4:5]
	v_fmac_f64_e32 v[46:47], v[210:211], v[60:61]
	v_add_f64 v[2:3], v[2:3], v[4:5]
	s_waitcnt lgkmcnt(1)
	v_mul_f64 v[4:5], v[214:215], v[54:55]
	v_add_f64 v[42:43], v[42:43], v[46:47]
	v_mul_f64 v[46:47], v[212:213], v[54:55]
	v_fma_f64 v[4:5], v[212:213], v[56:57], -v[4:5]
	v_fmac_f64_e32 v[46:47], v[214:215], v[56:57]
	v_add_f64 v[2:3], v[2:3], v[4:5]
	s_waitcnt vmcnt(2) lgkmcnt(0)
	v_mul_f64 v[4:5], v[218:219], v[62:63]
	v_add_f64 v[42:43], v[42:43], v[46:47]
	v_mul_f64 v[46:47], v[216:217], v[62:63]
	s_waitcnt vmcnt(0)
	v_fma_f64 v[4:5], v[216:217], v[64:65], -v[4:5]
	v_fmac_f64_e32 v[46:47], v[218:219], v[64:65]
	v_add_f64 v[2:3], v[2:3], v[4:5]
	v_add_f64 v[42:43], v[42:43], v[46:47]
	v_add_f64 v[2:3], v[20:21], -v[2:3]
	v_add_f64 v[4:5], v[18:19], -v[42:43]
	buffer_store_dword v3, off, s[0:3], 0 offset:84
	buffer_store_dword v2, off, s[0:3], 0 offset:80
	;; [unrolled: 1-line block ×4, first 2 shown]
	s_and_saveexec_b64 s[6:7], vcc
	s_cbranch_execz .LBB93_185
; %bb.184:
	v_accvgpr_read_b32 v5, a71
	buffer_load_dword v2, v5, s[0:3], 0 offen
	buffer_load_dword v3, v5, s[0:3], 0 offen offset:4
	buffer_load_dword v4, v5, s[0:3], 0 offen offset:8
	s_nop 0
	buffer_load_dword v5, v5, s[0:3], 0 offen offset:12
	v_mov_b32_e32 v6, 0
	buffer_store_dword v6, off, s[0:3], 0 offset:64
	buffer_store_dword v6, off, s[0:3], 0 offset:68
	;; [unrolled: 1-line block ×4, first 2 shown]
	s_waitcnt vmcnt(4)
	ds_write_b128 v231, v[2:5]
.LBB93_185:
	s_or_b64 exec, exec, s[6:7]
	s_waitcnt lgkmcnt(0)
	; wave barrier
	s_waitcnt lgkmcnt(0)
	buffer_load_dword v22, off, s[0:3], 0 offset:80
	buffer_load_dword v23, off, s[0:3], 0 offset:84
	;; [unrolled: 1-line block ×64, first 2 shown]
	v_mov_b32_e32 v174, 0
	ds_read_b128 v[18:21], v174 offset:560
	ds_read_b128 v[14:17], v174 offset:576
	;; [unrolled: 1-line block ×5, first 2 shown]
	v_cmp_lt_u32_e32 vcc, 3, v230
	s_waitcnt vmcnt(60) lgkmcnt(4)
	v_mul_f64 v[42:43], v[18:19], v[26:27]
	v_fmac_f64_e32 v[42:43], v[20:21], v[22:23]
	v_add_f64 v[42:43], v[42:43], 0
	v_mul_f64 v[20:21], v[20:21], v[26:27]
	s_waitcnt vmcnt(56) lgkmcnt(3)
	v_mul_f64 v[44:45], v[14:15], v[28:29]
	v_fmac_f64_e32 v[44:45], v[16:17], v[24:25]
	s_waitcnt vmcnt(54) lgkmcnt(2)
	v_mul_f64 v[46:47], v[10:11], v[30:31]
	v_add_f64 v[42:43], v[42:43], v[44:45]
	v_fma_f64 v[18:19], v[18:19], v[22:23], -v[20:21]
	v_mul_f64 v[16:17], v[16:17], v[28:29]
	s_waitcnt vmcnt(50) lgkmcnt(1)
	v_mul_f64 v[48:49], v[6:7], v[100:101]
	v_add_f64 v[18:19], v[18:19], 0
	s_waitcnt vmcnt(48)
	v_fmac_f64_e32 v[46:47], v[12:13], v[104:105]
	v_add_f64 v[42:43], v[42:43], v[46:47]
	buffer_load_dword v147, off, s[0:3], 0 offset:348
	buffer_load_dword v146, off, s[0:3], 0 offset:344
	;; [unrolled: 1-line block ×40, first 2 shown]
	ds_read_b128 v[162:165], v174 offset:640
	ds_read_b128 v[166:169], v174 offset:656
	s_waitcnt vmcnt(62)
	v_fmac_f64_e32 v[48:49], v[8:9], v[102:103]
	v_fma_f64 v[14:15], v[14:15], v[24:25], -v[16:17]
	v_mul_f64 v[12:13], v[12:13], v[30:31]
	v_add_f64 v[42:43], v[42:43], v[48:49]
	s_waitcnt lgkmcnt(2)
	v_mul_f64 v[48:49], v[2:3], v[36:37]
	v_add_f64 v[14:15], v[18:19], v[14:15]
	v_fma_f64 v[10:11], v[10:11], v[104:105], -v[12:13]
	v_mul_f64 v[8:9], v[8:9], v[100:101]
	v_fmac_f64_e32 v[48:49], v[4:5], v[98:99]
	ds_read_b128 v[170:173], v174 offset:672
	ds_read_b128 v[176:179], v174 offset:688
	v_add_f64 v[10:11], v[14:15], v[10:11]
	v_fma_f64 v[6:7], v[6:7], v[102:103], -v[8:9]
	v_mul_f64 v[4:5], v[4:5], v[36:37]
	v_add_f64 v[6:7], v[10:11], v[6:7]
	v_fma_f64 v[2:3], v[2:3], v[98:99], -v[4:5]
	s_waitcnt lgkmcnt(3)
	v_mul_f64 v[4:5], v[164:165], v[110:111]
	v_add_f64 v[42:43], v[42:43], v[48:49]
	v_mul_f64 v[48:49], v[162:163], v[110:111]
	v_add_f64 v[2:3], v[6:7], v[2:3]
	v_fma_f64 v[4:5], v[162:163], v[112:113], -v[4:5]
	v_fmac_f64_e32 v[48:49], v[164:165], v[112:113]
	v_add_f64 v[2:3], v[2:3], v[4:5]
	s_waitcnt lgkmcnt(2)
	v_mul_f64 v[4:5], v[168:169], v[106:107]
	v_add_f64 v[42:43], v[42:43], v[48:49]
	v_mul_f64 v[48:49], v[166:167], v[106:107]
	ds_read_b128 v[180:183], v174 offset:704
	ds_read_b128 v[184:187], v174 offset:720
	v_fma_f64 v[4:5], v[166:167], v[108:109], -v[4:5]
	v_fmac_f64_e32 v[48:49], v[168:169], v[108:109]
	v_add_f64 v[2:3], v[2:3], v[4:5]
	s_waitcnt lgkmcnt(3)
	v_mul_f64 v[4:5], v[172:173], v[118:119]
	v_add_f64 v[42:43], v[42:43], v[48:49]
	v_mul_f64 v[48:49], v[170:171], v[118:119]
	v_fma_f64 v[4:5], v[170:171], v[120:121], -v[4:5]
	v_fmac_f64_e32 v[48:49], v[172:173], v[120:121]
	v_add_f64 v[2:3], v[2:3], v[4:5]
	s_waitcnt lgkmcnt(2)
	v_mul_f64 v[4:5], v[178:179], v[114:115]
	v_add_f64 v[42:43], v[42:43], v[48:49]
	v_mul_f64 v[48:49], v[176:177], v[114:115]
	ds_read_b128 v[188:191], v174 offset:736
	ds_read_b128 v[196:199], v174 offset:752
	v_fma_f64 v[4:5], v[176:177], v[116:117], -v[4:5]
	v_fmac_f64_e32 v[48:49], v[178:179], v[116:117]
	v_add_f64 v[2:3], v[2:3], v[4:5]
	s_waitcnt vmcnt(58) lgkmcnt(3)
	v_mul_f64 v[4:5], v[182:183], v[126:127]
	v_add_f64 v[42:43], v[42:43], v[48:49]
	v_mul_f64 v[48:49], v[180:181], v[126:127]
	s_waitcnt vmcnt(56)
	v_fma_f64 v[4:5], v[180:181], v[128:129], -v[4:5]
	v_fmac_f64_e32 v[48:49], v[182:183], v[128:129]
	v_add_f64 v[2:3], v[2:3], v[4:5]
	s_waitcnt lgkmcnt(2)
	v_mul_f64 v[4:5], v[186:187], v[122:123]
	v_add_f64 v[42:43], v[42:43], v[48:49]
	v_mul_f64 v[48:49], v[184:185], v[122:123]
	ds_read_b128 v[200:203], v174 offset:768
	ds_read_b128 v[204:207], v174 offset:784
	v_fma_f64 v[4:5], v[184:185], v[124:125], -v[4:5]
	v_fmac_f64_e32 v[48:49], v[186:187], v[124:125]
	v_add_f64 v[2:3], v[2:3], v[4:5]
	s_waitcnt vmcnt(50) lgkmcnt(3)
	v_mul_f64 v[4:5], v[190:191], v[134:135]
	v_add_f64 v[42:43], v[42:43], v[48:49]
	v_mul_f64 v[48:49], v[188:189], v[134:135]
	s_waitcnt vmcnt(48)
	;; [unrolled: 17-line block ×7, first 2 shown]
	v_fma_f64 v[4:5], v[244:245], v[60:61], -v[4:5]
	v_fmac_f64_e32 v[48:49], v[246:247], v[60:61]
	v_add_f64 v[2:3], v[2:3], v[4:5]
	s_waitcnt lgkmcnt(2)
	v_mul_f64 v[4:5], v[250:251], v[54:55]
	v_add_f64 v[42:43], v[42:43], v[48:49]
	v_mul_f64 v[48:49], v[248:249], v[54:55]
	v_fma_f64 v[4:5], v[248:249], v[56:57], -v[4:5]
	v_fmac_f64_e32 v[48:49], v[250:251], v[56:57]
	v_add_f64 v[2:3], v[2:3], v[4:5]
	s_waitcnt vmcnt(2) lgkmcnt(1)
	v_mul_f64 v[4:5], v[254:255], v[192:193]
	v_add_f64 v[42:43], v[42:43], v[48:49]
	v_mul_f64 v[48:49], v[252:253], v[192:193]
	s_waitcnt vmcnt(0)
	v_fma_f64 v[4:5], v[252:253], v[194:195], -v[4:5]
	v_fmac_f64_e32 v[48:49], v[254:255], v[194:195]
	v_add_f64 v[2:3], v[2:3], v[4:5]
	s_waitcnt lgkmcnt(0)
	v_mul_f64 v[4:5], v[222:223], v[62:63]
	v_add_f64 v[42:43], v[42:43], v[48:49]
	v_mul_f64 v[48:49], v[220:221], v[62:63]
	v_fma_f64 v[4:5], v[220:221], v[64:65], -v[4:5]
	v_fmac_f64_e32 v[48:49], v[222:223], v[64:65]
	v_add_f64 v[2:3], v[2:3], v[4:5]
	v_add_f64 v[42:43], v[42:43], v[48:49]
	v_add_f64 v[2:3], v[34:35], -v[2:3]
	v_add_f64 v[4:5], v[32:33], -v[42:43]
	buffer_store_dword v3, off, s[0:3], 0 offset:68
	buffer_store_dword v2, off, s[0:3], 0 offset:64
	;; [unrolled: 1-line block ×4, first 2 shown]
	s_and_saveexec_b64 s[6:7], vcc
	s_cbranch_execz .LBB93_187
; %bb.186:
	v_accvgpr_read_b32 v5, a75
	buffer_load_dword v2, v5, s[0:3], 0 offen
	buffer_load_dword v3, v5, s[0:3], 0 offen offset:4
	buffer_load_dword v4, v5, s[0:3], 0 offen offset:8
	s_nop 0
	buffer_load_dword v5, v5, s[0:3], 0 offen offset:12
	s_nop 0
	buffer_store_dword v174, off, s[0:3], 0 offset:48
	buffer_store_dword v174, off, s[0:3], 0 offset:52
	;; [unrolled: 1-line block ×4, first 2 shown]
	s_waitcnt vmcnt(4)
	ds_write_b128 v231, v[2:5]
.LBB93_187:
	s_or_b64 exec, exec, s[6:7]
	s_waitcnt lgkmcnt(0)
	; wave barrier
	s_waitcnt lgkmcnt(0)
	buffer_load_dword v26, off, s[0:3], 0 offset:64
	buffer_load_dword v27, off, s[0:3], 0 offset:68
	;; [unrolled: 1-line block ×24, first 2 shown]
	ds_read_b128 v[22:25], v174 offset:544
	ds_read_b128 v[18:21], v174 offset:560
	;; [unrolled: 1-line block ×6, first 2 shown]
	buffer_load_dword v111, off, s[0:3], 0 offset:172
	buffer_load_dword v110, off, s[0:3], 0 offset:168
	;; [unrolled: 1-line block ×40, first 2 shown]
	v_cmp_lt_u32_e32 vcc, 2, v230
	s_waitcnt vmcnt(60) lgkmcnt(5)
	v_mul_f64 v[42:43], v[22:23], v[28:29]
	v_fmac_f64_e32 v[42:43], v[24:25], v[26:27]
	s_waitcnt vmcnt(58) lgkmcnt(4)
	v_mul_f64 v[44:45], v[18:19], v[30:31]
	v_add_f64 v[42:43], v[42:43], 0
	s_waitcnt vmcnt(56) lgkmcnt(3)
	v_mul_f64 v[46:47], v[10:11], v[32:33]
	v_mul_f64 v[24:25], v[24:25], v[28:29]
	s_waitcnt vmcnt(54) lgkmcnt(1)
	v_mul_f64 v[50:51], v[2:3], v[98:99]
	v_fma_f64 v[22:23], v[22:23], v[26:27], -v[24:25]
	v_add_f64 v[22:23], v[22:23], 0
	s_waitcnt vmcnt(51)
	v_mul_f64 v[48:49], v[6:7], v[102:103]
	s_waitcnt vmcnt(49)
	v_fmac_f64_e32 v[44:45], v[20:21], v[108:109]
	v_add_f64 v[42:43], v[42:43], v[44:45]
	s_waitcnt vmcnt(47)
	v_fmac_f64_e32 v[46:47], v[12:13], v[106:107]
	v_add_f64 v[42:43], v[42:43], v[46:47]
	;; [unrolled: 3-line block ×3, first 2 shown]
	buffer_load_dword v151, off, s[0:3], 0 offset:332
	buffer_load_dword v150, off, s[0:3], 0 offset:328
	;; [unrolled: 1-line block ×40, first 2 shown]
	s_waitcnt vmcnt(62)
	v_fmac_f64_e32 v[50:51], v[4:5], v[100:101]
	v_add_f64 v[42:43], v[42:43], v[50:51]
	ds_read_b128 v[176:179], v174 offset:640
	buffer_load_dword v51, off, s[0:3], 0 offset:476
	buffer_load_dword v50, off, s[0:3], 0 offset:472
	;; [unrolled: 1-line block ×4, first 2 shown]
	v_mul_f64 v[20:21], v[20:21], v[30:31]
	v_fma_f64 v[18:19], v[18:19], v[108:109], -v[20:21]
	v_mul_f64 v[12:13], v[12:13], v[32:33]
	ds_read_b128 v[180:183], v174 offset:656
	ds_read_b128 v[184:187], v174 offset:672
	v_add_f64 v[18:19], v[22:23], v[18:19]
	v_fma_f64 v[10:11], v[10:11], v[106:107], -v[12:13]
	v_mul_f64 v[8:9], v[8:9], v[102:103]
	s_waitcnt lgkmcnt(3)
	v_mul_f64 v[44:45], v[14:15], v[114:115]
	v_add_f64 v[10:11], v[18:19], v[10:11]
	v_fma_f64 v[6:7], v[6:7], v[104:105], -v[8:9]
	v_mul_f64 v[4:5], v[4:5], v[98:99]
	v_fmac_f64_e32 v[44:45], v[16:17], v[116:117]
	v_add_f64 v[6:7], v[10:11], v[6:7]
	v_fma_f64 v[2:3], v[2:3], v[100:101], -v[4:5]
	v_mul_f64 v[4:5], v[16:17], v[114:115]
	v_add_f64 v[42:43], v[42:43], v[44:45]
	s_waitcnt lgkmcnt(2)
	v_mul_f64 v[44:45], v[176:177], v[110:111]
	v_add_f64 v[2:3], v[6:7], v[2:3]
	v_fma_f64 v[4:5], v[14:15], v[116:117], -v[4:5]
	v_fmac_f64_e32 v[44:45], v[178:179], v[112:113]
	ds_read_b128 v[188:191], v174 offset:688
	ds_read_b128 v[196:199], v174 offset:704
	v_add_f64 v[2:3], v[2:3], v[4:5]
	v_mul_f64 v[4:5], v[178:179], v[110:111]
	v_add_f64 v[42:43], v[42:43], v[44:45]
	s_waitcnt lgkmcnt(3)
	v_mul_f64 v[44:45], v[180:181], v[122:123]
	v_fma_f64 v[4:5], v[176:177], v[112:113], -v[4:5]
	v_fmac_f64_e32 v[44:45], v[182:183], v[124:125]
	v_add_f64 v[2:3], v[2:3], v[4:5]
	v_mul_f64 v[4:5], v[182:183], v[122:123]
	v_add_f64 v[42:43], v[42:43], v[44:45]
	s_waitcnt lgkmcnt(2)
	v_mul_f64 v[44:45], v[184:185], v[118:119]
	v_fma_f64 v[4:5], v[180:181], v[124:125], -v[4:5]
	v_fmac_f64_e32 v[44:45], v[186:187], v[120:121]
	ds_read_b128 v[200:203], v174 offset:720
	ds_read_b128 v[204:207], v174 offset:736
	v_add_f64 v[2:3], v[2:3], v[4:5]
	v_mul_f64 v[4:5], v[186:187], v[118:119]
	v_add_f64 v[42:43], v[42:43], v[44:45]
	s_waitcnt vmcnt(62) lgkmcnt(3)
	v_mul_f64 v[44:45], v[188:189], v[130:131]
	v_fma_f64 v[4:5], v[184:185], v[120:121], -v[4:5]
	s_waitcnt vmcnt(60)
	v_fmac_f64_e32 v[44:45], v[190:191], v[132:133]
	v_add_f64 v[2:3], v[2:3], v[4:5]
	v_mul_f64 v[4:5], v[190:191], v[130:131]
	v_add_f64 v[42:43], v[42:43], v[44:45]
	s_waitcnt lgkmcnt(2)
	v_mul_f64 v[44:45], v[196:197], v[126:127]
	v_fma_f64 v[4:5], v[188:189], v[132:133], -v[4:5]
	v_fmac_f64_e32 v[44:45], v[198:199], v[128:129]
	ds_read_b128 v[208:211], v174 offset:752
	ds_read_b128 v[212:215], v174 offset:768
	v_add_f64 v[2:3], v[2:3], v[4:5]
	v_mul_f64 v[4:5], v[198:199], v[126:127]
	v_add_f64 v[42:43], v[42:43], v[44:45]
	s_waitcnt vmcnt(54) lgkmcnt(3)
	v_mul_f64 v[44:45], v[200:201], v[138:139]
	v_fma_f64 v[4:5], v[196:197], v[128:129], -v[4:5]
	s_waitcnt vmcnt(52)
	;; [unrolled: 17-line block ×6, first 2 shown]
	v_fmac_f64_e32 v[44:45], v[242:243], v[172:173]
	v_add_f64 v[2:3], v[2:3], v[4:5]
	v_mul_f64 v[4:5], v[242:243], v[170:171]
	v_add_f64 v[42:43], v[42:43], v[44:45]
	s_waitcnt lgkmcnt(2)
	v_mul_f64 v[44:45], v[244:245], v[166:167]
	v_fma_f64 v[4:5], v[240:241], v[172:173], -v[4:5]
	v_fmac_f64_e32 v[44:45], v[246:247], v[168:169]
	v_add_f64 v[2:3], v[2:3], v[4:5]
	v_mul_f64 v[4:5], v[246:247], v[166:167]
	v_add_f64 v[42:43], v[42:43], v[44:45]
	s_waitcnt vmcnt(14) lgkmcnt(1)
	v_mul_f64 v[44:45], v[248:249], v[52:53]
	ds_read_b128 v[224:227], v174 offset:912
	ds_read_b128 v[192:195], v174 offset:928
	v_fma_f64 v[4:5], v[244:245], v[168:169], -v[4:5]
	s_waitcnt vmcnt(12)
	v_fmac_f64_e32 v[44:45], v[250:251], v[54:55]
	v_add_f64 v[2:3], v[2:3], v[4:5]
	v_mul_f64 v[4:5], v[250:251], v[52:53]
	v_add_f64 v[42:43], v[42:43], v[44:45]
	s_waitcnt lgkmcnt(2)
	v_mul_f64 v[44:45], v[252:253], v[46:47]
	v_fma_f64 v[4:5], v[248:249], v[54:55], -v[4:5]
	v_fmac_f64_e32 v[44:45], v[254:255], v[48:49]
	v_add_f64 v[2:3], v[2:3], v[4:5]
	v_mul_f64 v[4:5], v[254:255], v[46:47]
	v_add_f64 v[228:229], v[42:43], v[44:45]
	ds_read_b128 v[42:45], v174 offset:944
	v_fma_f64 v[4:5], v[252:253], v[48:49], -v[4:5]
	v_add_f64 v[2:3], v[2:3], v[4:5]
	s_waitcnt vmcnt(6) lgkmcnt(2)
	v_mul_f64 v[4:5], v[226:227], v[60:61]
	s_waitcnt vmcnt(4)
	v_fma_f64 v[4:5], v[224:225], v[62:63], -v[4:5]
	v_mul_f64 v[38:39], v[224:225], v[60:61]
	v_add_f64 v[2:3], v[2:3], v[4:5]
	s_waitcnt lgkmcnt(1)
	v_mul_f64 v[4:5], v[194:195], v[56:57]
	v_fmac_f64_e32 v[38:39], v[226:227], v[62:63]
	v_mul_f64 v[174:175], v[192:193], v[56:57]
	v_fma_f64 v[4:5], v[192:193], v[58:59], -v[4:5]
	v_add_f64 v[38:39], v[228:229], v[38:39]
	v_fmac_f64_e32 v[174:175], v[194:195], v[58:59]
	v_add_f64 v[2:3], v[2:3], v[4:5]
	s_waitcnt vmcnt(2) lgkmcnt(0)
	v_mul_f64 v[4:5], v[44:45], v[50:51]
	v_add_f64 v[38:39], v[38:39], v[174:175]
	v_mul_f64 v[174:175], v[42:43], v[50:51]
	s_waitcnt vmcnt(0)
	v_fma_f64 v[4:5], v[42:43], v[64:65], -v[4:5]
	v_fmac_f64_e32 v[174:175], v[44:45], v[64:65]
	v_add_f64 v[2:3], v[2:3], v[4:5]
	v_add_f64 v[38:39], v[38:39], v[174:175]
	v_add_f64 v[2:3], v[36:37], -v[2:3]
	v_add_f64 v[4:5], v[34:35], -v[38:39]
	buffer_store_dword v3, off, s[0:3], 0 offset:52
	buffer_store_dword v2, off, s[0:3], 0 offset:48
	;; [unrolled: 1-line block ×4, first 2 shown]
	s_and_saveexec_b64 s[6:7], vcc
	s_cbranch_execz .LBB93_189
; %bb.188:
	v_accvgpr_read_b32 v5, a74
	buffer_load_dword v2, v5, s[0:3], 0 offen
	buffer_load_dword v3, v5, s[0:3], 0 offen offset:4
	buffer_load_dword v4, v5, s[0:3], 0 offen offset:8
	s_nop 0
	buffer_load_dword v5, v5, s[0:3], 0 offen offset:12
	v_mov_b32_e32 v6, 0
	buffer_store_dword v6, off, s[0:3], 0 offset:32
	buffer_store_dword v6, off, s[0:3], 0 offset:36
	;; [unrolled: 1-line block ×4, first 2 shown]
	s_waitcnt vmcnt(4)
	ds_write_b128 v231, v[2:5]
.LBB93_189:
	s_or_b64 exec, exec, s[6:7]
	s_waitcnt lgkmcnt(0)
	; wave barrier
	s_waitcnt lgkmcnt(0)
	buffer_load_dword v30, off, s[0:3], 0 offset:48
	buffer_load_dword v31, off, s[0:3], 0 offset:52
	;; [unrolled: 1-line block ×56, first 2 shown]
	v_mov_b32_e32 v195, 0
	ds_read_b128 v[26:29], v195 offset:528
	ds_read_b128 v[22:25], v195 offset:544
	;; [unrolled: 1-line block ×7, first 2 shown]
	v_cmp_lt_u32_e32 vcc, 1, v230
	s_waitcnt vmcnt(52) lgkmcnt(6)
	v_mul_f64 v[38:39], v[26:27], v[34:35]
	v_fmac_f64_e32 v[38:39], v[28:29], v[30:31]
	v_add_f64 v[38:39], v[38:39], 0
	v_mul_f64 v[28:29], v[28:29], v[34:35]
	s_waitcnt vmcnt(48) lgkmcnt(5)
	v_mul_f64 v[42:43], v[22:23], v[36:37]
	v_fmac_f64_e32 v[42:43], v[24:25], v[32:33]
	s_waitcnt vmcnt(46) lgkmcnt(4)
	v_mul_f64 v[44:45], v[18:19], v[98:99]
	v_add_f64 v[38:39], v[38:39], v[42:43]
	s_waitcnt vmcnt(44) lgkmcnt(2)
	v_mul_f64 v[48:49], v[10:11], v[100:101]
	v_fma_f64 v[26:27], v[26:27], v[30:31], -v[28:29]
	s_waitcnt vmcnt(42)
	v_fmac_f64_e32 v[48:49], v[12:13], v[102:103]
	v_mul_f64 v[24:25], v[24:25], v[36:37]
	s_waitcnt vmcnt(40)
	v_mul_f64 v[46:47], v[14:15], v[108:109]
	v_add_f64 v[26:27], v[26:27], 0
	v_fma_f64 v[22:23], v[22:23], v[32:33], -v[24:25]
	v_add_f64 v[22:23], v[26:27], v[22:23]
	s_waitcnt vmcnt(36) lgkmcnt(1)
	v_mul_f64 v[170:171], v[6:7], v[114:115]
	v_mul_f64 v[12:13], v[12:13], v[100:101]
	s_waitcnt vmcnt(34)
	v_fmac_f64_e32 v[44:45], v[20:21], v[120:121]
	v_add_f64 v[38:39], v[38:39], v[44:45]
	s_waitcnt vmcnt(32)
	v_fmac_f64_e32 v[46:47], v[16:17], v[118:119]
	v_add_f64 v[38:39], v[38:39], v[46:47]
	v_add_f64 v[176:177], v[38:39], v[48:49]
	buffer_load_dword v147, off, s[0:3], 0 offset:284
	buffer_load_dword v146, off, s[0:3], 0 offset:280
	;; [unrolled: 1-line block ×56, first 2 shown]
	ds_read_b128 v[42:45], v195 offset:640
	ds_read_b128 v[184:187], v195 offset:656
	s_waitcnt vmcnt(62)
	v_fmac_f64_e32 v[170:171], v[8:9], v[116:117]
	s_waitcnt lgkmcnt(2)
	v_mul_f64 v[48:49], v[2:3], v[110:111]
	v_mul_f64 v[20:21], v[20:21], v[98:99]
	v_add_f64 v[46:47], v[176:177], v[170:171]
	v_fmac_f64_e32 v[48:49], v[4:5], v[112:113]
	ds_read_b128 v[188:191], v195 offset:672
	ds_read_b128 v[196:199], v195 offset:688
	v_fma_f64 v[18:19], v[18:19], v[120:121], -v[20:21]
	v_mul_f64 v[16:17], v[16:17], v[108:109]
	v_add_f64 v[46:47], v[46:47], v[48:49]
	s_waitcnt lgkmcnt(3)
	v_mul_f64 v[48:49], v[42:43], v[126:127]
	v_add_f64 v[18:19], v[22:23], v[18:19]
	v_fma_f64 v[14:15], v[14:15], v[118:119], -v[16:17]
	v_fmac_f64_e32 v[48:49], v[44:45], v[128:129]
	v_add_f64 v[14:15], v[18:19], v[14:15]
	v_fma_f64 v[10:11], v[10:11], v[102:103], -v[12:13]
	v_mul_f64 v[8:9], v[8:9], v[114:115]
	v_add_f64 v[46:47], v[46:47], v[48:49]
	s_waitcnt lgkmcnt(2)
	v_mul_f64 v[48:49], v[184:185], v[122:123]
	v_add_f64 v[10:11], v[14:15], v[10:11]
	v_fma_f64 v[6:7], v[6:7], v[116:117], -v[8:9]
	v_mul_f64 v[4:5], v[4:5], v[110:111]
	v_fmac_f64_e32 v[48:49], v[186:187], v[124:125]
	ds_read_b128 v[200:203], v195 offset:704
	ds_read_b128 v[204:207], v195 offset:720
	v_add_f64 v[6:7], v[10:11], v[6:7]
	v_fma_f64 v[2:3], v[2:3], v[112:113], -v[4:5]
	v_mul_f64 v[4:5], v[44:45], v[126:127]
	v_add_f64 v[46:47], v[46:47], v[48:49]
	s_waitcnt lgkmcnt(3)
	v_mul_f64 v[48:49], v[188:189], v[134:135]
	v_add_f64 v[2:3], v[6:7], v[2:3]
	v_fma_f64 v[4:5], v[42:43], v[128:129], -v[4:5]
	v_fmac_f64_e32 v[48:49], v[190:191], v[136:137]
	v_add_f64 v[2:3], v[2:3], v[4:5]
	v_mul_f64 v[4:5], v[186:187], v[122:123]
	v_add_f64 v[46:47], v[46:47], v[48:49]
	s_waitcnt lgkmcnt(2)
	v_mul_f64 v[48:49], v[196:197], v[130:131]
	v_fma_f64 v[4:5], v[184:185], v[124:125], -v[4:5]
	v_fmac_f64_e32 v[48:49], v[198:199], v[132:133]
	ds_read_b128 v[208:211], v195 offset:736
	ds_read_b128 v[212:215], v195 offset:752
	v_add_f64 v[2:3], v[2:3], v[4:5]
	v_mul_f64 v[4:5], v[190:191], v[134:135]
	v_add_f64 v[46:47], v[46:47], v[48:49]
	s_waitcnt vmcnt(58) lgkmcnt(3)
	v_mul_f64 v[48:49], v[200:201], v[142:143]
	v_fma_f64 v[4:5], v[188:189], v[136:137], -v[4:5]
	s_waitcnt vmcnt(56)
	v_fmac_f64_e32 v[48:49], v[202:203], v[144:145]
	v_add_f64 v[2:3], v[2:3], v[4:5]
	v_mul_f64 v[4:5], v[198:199], v[130:131]
	v_add_f64 v[46:47], v[46:47], v[48:49]
	s_waitcnt lgkmcnt(2)
	v_mul_f64 v[48:49], v[204:205], v[138:139]
	v_fma_f64 v[4:5], v[196:197], v[132:133], -v[4:5]
	v_fmac_f64_e32 v[48:49], v[206:207], v[140:141]
	ds_read_b128 v[216:219], v195 offset:768
	ds_read_b128 v[220:223], v195 offset:784
	v_add_f64 v[2:3], v[2:3], v[4:5]
	v_mul_f64 v[4:5], v[202:203], v[142:143]
	v_add_f64 v[46:47], v[46:47], v[48:49]
	s_waitcnt vmcnt(50) lgkmcnt(3)
	v_mul_f64 v[48:49], v[208:209], v[150:151]
	v_fma_f64 v[4:5], v[200:201], v[144:145], -v[4:5]
	s_waitcnt vmcnt(48)
	;; [unrolled: 17-line block ×5, first 2 shown]
	v_fmac_f64_e32 v[48:49], v[238:239], v[180:181]
	v_add_f64 v[2:3], v[2:3], v[4:5]
	v_mul_f64 v[4:5], v[234:235], v[162:163]
	v_add_f64 v[46:47], v[46:47], v[48:49]
	s_waitcnt lgkmcnt(2)
	v_mul_f64 v[48:49], v[240:241], v[172:173]
	v_fma_f64 v[4:5], v[232:233], v[164:165], -v[4:5]
	v_fmac_f64_e32 v[48:49], v[242:243], v[174:175]
	ds_read_b128 v[252:255], v195 offset:896
	v_add_f64 v[2:3], v[2:3], v[4:5]
	v_mul_f64 v[4:5], v[238:239], v[178:179]
	v_add_f64 v[46:47], v[46:47], v[48:49]
	s_waitcnt vmcnt(18) lgkmcnt(2)
	v_mul_f64 v[48:49], v[244:245], v[58:59]
	v_fma_f64 v[4:5], v[236:237], v[180:181], -v[4:5]
	s_waitcnt vmcnt(16)
	v_fmac_f64_e32 v[48:49], v[246:247], v[60:61]
	v_add_f64 v[2:3], v[2:3], v[4:5]
	v_mul_f64 v[4:5], v[242:243], v[172:173]
	v_add_f64 v[46:47], v[46:47], v[48:49]
	s_waitcnt lgkmcnt(1)
	v_mul_f64 v[48:49], v[248:249], v[182:183]
	v_fma_f64 v[4:5], v[240:241], v[174:175], -v[4:5]
	v_fmac_f64_e32 v[48:49], v[250:251], v[38:39]
	v_add_f64 v[2:3], v[2:3], v[4:5]
	v_mul_f64 v[4:5], v[246:247], v[58:59]
	v_add_f64 v[50:51], v[46:47], v[48:49]
	ds_read_b128 v[46:49], v195 offset:912
	s_waitcnt vmcnt(10) lgkmcnt(1)
	v_mul_f64 v[52:53], v[252:253], v[192:193]
	v_fma_f64 v[4:5], v[244:245], v[60:61], -v[4:5]
	s_waitcnt vmcnt(8)
	v_fmac_f64_e32 v[52:53], v[254:255], v[228:229]
	v_add_f64 v[2:3], v[2:3], v[4:5]
	v_mul_f64 v[4:5], v[250:251], v[182:183]
	v_add_f64 v[170:171], v[50:51], v[52:53]
	ds_read_b128 v[50:53], v195 offset:928
	ds_read_b128 v[54:57], v195 offset:944
	v_fma_f64 v[4:5], v[248:249], v[38:39], -v[4:5]
	v_add_f64 v[2:3], v[2:3], v[4:5]
	v_mul_f64 v[4:5], v[254:255], v[192:193]
	v_fma_f64 v[4:5], v[252:253], v[228:229], -v[4:5]
	v_add_f64 v[2:3], v[2:3], v[4:5]
	s_waitcnt lgkmcnt(2)
	v_mul_f64 v[4:5], v[48:49], v[62:63]
	v_mul_f64 v[176:177], v[46:47], v[62:63]
	v_fma_f64 v[4:5], v[46:47], v[64:65], -v[4:5]
	v_fmac_f64_e32 v[176:177], v[48:49], v[64:65]
	v_add_f64 v[2:3], v[2:3], v[4:5]
	s_waitcnt vmcnt(2) lgkmcnt(1)
	v_mul_f64 v[4:5], v[52:53], v[70:71]
	v_add_f64 v[170:171], v[170:171], v[176:177]
	v_mul_f64 v[176:177], v[50:51], v[70:71]
	s_waitcnt vmcnt(0)
	v_fma_f64 v[4:5], v[50:51], v[72:73], -v[4:5]
	v_fmac_f64_e32 v[176:177], v[52:53], v[72:73]
	v_add_f64 v[2:3], v[2:3], v[4:5]
	s_waitcnt lgkmcnt(0)
	v_mul_f64 v[4:5], v[56:57], v[66:67]
	v_add_f64 v[170:171], v[170:171], v[176:177]
	v_mul_f64 v[176:177], v[54:55], v[66:67]
	v_fma_f64 v[4:5], v[54:55], v[68:69], -v[4:5]
	v_fmac_f64_e32 v[176:177], v[56:57], v[68:69]
	v_add_f64 v[2:3], v[2:3], v[4:5]
	v_add_f64 v[170:171], v[170:171], v[176:177]
	v_add_f64 v[2:3], v[106:107], -v[2:3]
	v_add_f64 v[4:5], v[104:105], -v[170:171]
	buffer_store_dword v3, off, s[0:3], 0 offset:36
	buffer_store_dword v2, off, s[0:3], 0 offset:32
	;; [unrolled: 1-line block ×4, first 2 shown]
	s_and_saveexec_b64 s[6:7], vcc
	s_cbranch_execz .LBB93_191
; %bb.190:
	buffer_load_dword v2, v1, s[0:3], 0 offen
	buffer_load_dword v3, v1, s[0:3], 0 offen offset:4
	buffer_load_dword v4, v1, s[0:3], 0 offen offset:8
	;; [unrolled: 1-line block ×3, first 2 shown]
	s_nop 0
	buffer_store_dword v195, off, s[0:3], 0 offset:16
	buffer_store_dword v195, off, s[0:3], 0 offset:20
	buffer_store_dword v195, off, s[0:3], 0 offset:24
	buffer_store_dword v195, off, s[0:3], 0 offset:28
	s_waitcnt vmcnt(4)
	ds_write_b128 v231, v[2:5]
.LBB93_191:
	s_or_b64 exec, exec, s[6:7]
	s_waitcnt lgkmcnt(0)
	; wave barrier
	s_waitcnt lgkmcnt(0)
	buffer_load_dword v34, off, s[0:3], 0 offset:32
	buffer_load_dword v35, off, s[0:3], 0 offset:36
	;; [unrolled: 1-line block ×32, first 2 shown]
	ds_read_b128 v[30:33], v195 offset:512
	ds_read_b128 v[26:29], v195 offset:528
	;; [unrolled: 1-line block ×8, first 2 shown]
	buffer_load_dword v127, off, s[0:3], 0 offset:172
	buffer_load_dword v126, off, s[0:3], 0 offset:168
	buffer_load_dword v129, off, s[0:3], 0 offset:164
	buffer_load_dword v128, off, s[0:3], 0 offset:160
	buffer_load_dword v131, off, s[0:3], 0 offset:156
	buffer_load_dword v130, off, s[0:3], 0 offset:152
	buffer_load_dword v133, off, s[0:3], 0 offset:148
	buffer_load_dword v132, off, s[0:3], 0 offset:144
	buffer_load_dword v135, off, s[0:3], 0 offset:204
	buffer_load_dword v134, off, s[0:3], 0 offset:200
	buffer_load_dword v137, off, s[0:3], 0 offset:196
	buffer_load_dword v136, off, s[0:3], 0 offset:192
	buffer_load_dword v139, off, s[0:3], 0 offset:188
	buffer_load_dword v138, off, s[0:3], 0 offset:184
	buffer_load_dword v141, off, s[0:3], 0 offset:180
	buffer_load_dword v140, off, s[0:3], 0 offset:176
	buffer_load_dword v143, off, s[0:3], 0 offset:236
	buffer_load_dword v142, off, s[0:3], 0 offset:232
	buffer_load_dword v145, off, s[0:3], 0 offset:228
	buffer_load_dword v144, off, s[0:3], 0 offset:224
	buffer_load_dword v147, off, s[0:3], 0 offset:220
	buffer_load_dword v146, off, s[0:3], 0 offset:216
	buffer_load_dword v149, off, s[0:3], 0 offset:212
	buffer_load_dword v148, off, s[0:3], 0 offset:208
	v_cmp_ne_u32_e32 vcc, 0, v230
	s_waitcnt vmcnt(52) lgkmcnt(7)
	v_mul_f64 v[38:39], v[30:31], v[98:99]
	v_fmac_f64_e32 v[38:39], v[32:33], v[34:35]
	v_add_f64 v[38:39], v[38:39], 0
	v_mul_f64 v[32:33], v[32:33], v[98:99]
	s_waitcnt vmcnt(48) lgkmcnt(6)
	v_mul_f64 v[42:43], v[26:27], v[100:101]
	v_fmac_f64_e32 v[42:43], v[28:29], v[36:37]
	s_waitcnt vmcnt(46) lgkmcnt(5)
	v_mul_f64 v[44:45], v[22:23], v[102:103]
	v_add_f64 v[38:39], v[38:39], v[42:43]
	s_waitcnt vmcnt(44) lgkmcnt(4)
	v_mul_f64 v[46:47], v[18:19], v[108:109]
	v_fma_f64 v[30:31], v[30:31], v[34:35], -v[32:33]
	s_waitcnt vmcnt(42) lgkmcnt(1)
	v_mul_f64 v[182:183], v[2:3], v[110:111]
	v_mul_f64 v[28:29], v[28:29], v[100:101]
	v_add_f64 v[30:31], v[30:31], 0
	s_waitcnt vmcnt(39)
	v_mul_f64 v[50:51], v[6:7], v[114:115]
	v_fma_f64 v[26:27], v[26:27], v[36:37], -v[28:29]
	s_waitcnt vmcnt(37)
	v_mul_f64 v[48:49], v[10:11], v[116:117]
	v_add_f64 v[26:27], v[30:31], v[26:27]
	s_waitcnt vmcnt(35)
	v_fmac_f64_e32 v[48:49], v[12:13], v[118:119]
	v_mul_f64 v[12:13], v[12:13], v[116:117]
	s_waitcnt vmcnt(33)
	v_fmac_f64_e32 v[44:45], v[24:25], v[124:125]
	v_add_f64 v[38:39], v[38:39], v[44:45]
	s_waitcnt vmcnt(31)
	v_fmac_f64_e32 v[46:47], v[20:21], v[122:123]
	v_add_f64 v[38:39], v[38:39], v[46:47]
	;; [unrolled: 3-line block ×3, first 2 shown]
	v_add_f64 v[184:185], v[38:39], v[50:51]
	buffer_load_dword v151, off, s[0:3], 0 offset:268
	buffer_load_dword v150, off, s[0:3], 0 offset:264
	;; [unrolled: 1-line block ×56, first 2 shown]
	ds_read_b128 v[42:45], v195 offset:640
	buffer_load_dword v75, off, s[0:3], 0 offset:476
	buffer_load_dword v74, off, s[0:3], 0 offset:472
	;; [unrolled: 1-line block ×4, first 2 shown]
	s_waitcnt vmcnt(62)
	v_fmac_f64_e32 v[182:183], v[4:5], v[112:113]
	s_waitcnt lgkmcnt(1)
	v_mul_f64 v[48:49], v[14:15], v[130:131]
	v_add_f64 v[46:47], v[184:185], v[182:183]
	v_fmac_f64_e32 v[48:49], v[16:17], v[132:133]
	v_add_f64 v[50:51], v[46:47], v[48:49]
	ds_read_b128 v[46:49], v195 offset:656
	v_mul_f64 v[24:25], v[24:25], v[102:103]
	v_fma_f64 v[22:23], v[22:23], v[124:125], -v[24:25]
	v_mul_f64 v[20:21], v[20:21], v[108:109]
	v_add_f64 v[22:23], v[26:27], v[22:23]
	v_fma_f64 v[18:19], v[18:19], v[122:123], -v[20:21]
	s_waitcnt lgkmcnt(1)
	v_mul_f64 v[52:53], v[42:43], v[126:127]
	v_add_f64 v[18:19], v[22:23], v[18:19]
	v_fma_f64 v[10:11], v[10:11], v[118:119], -v[12:13]
	v_mul_f64 v[8:9], v[8:9], v[114:115]
	v_fmac_f64_e32 v[52:53], v[44:45], v[128:129]
	v_add_f64 v[10:11], v[18:19], v[10:11]
	v_fma_f64 v[6:7], v[6:7], v[120:121], -v[8:9]
	v_mul_f64 v[4:5], v[4:5], v[110:111]
	v_add_f64 v[54:55], v[50:51], v[52:53]
	ds_read_b128 v[50:53], v195 offset:672
	s_waitcnt lgkmcnt(1)
	v_mul_f64 v[56:57], v[46:47], v[138:139]
	v_add_f64 v[6:7], v[10:11], v[6:7]
	v_fma_f64 v[2:3], v[2:3], v[112:113], -v[4:5]
	v_mul_f64 v[4:5], v[16:17], v[130:131]
	v_fmac_f64_e32 v[56:57], v[48:49], v[140:141]
	v_add_f64 v[2:3], v[6:7], v[2:3]
	v_fma_f64 v[4:5], v[14:15], v[132:133], -v[4:5]
	v_add_f64 v[58:59], v[54:55], v[56:57]
	ds_read_b128 v[54:57], v195 offset:688
	ds_read_b128 v[182:185], v195 offset:704
	v_add_f64 v[2:3], v[2:3], v[4:5]
	v_mul_f64 v[4:5], v[44:45], v[126:127]
	v_fma_f64 v[4:5], v[42:43], v[128:129], -v[4:5]
	v_add_f64 v[2:3], v[2:3], v[4:5]
	v_mul_f64 v[4:5], v[48:49], v[138:139]
	s_waitcnt lgkmcnt(2)
	v_mul_f64 v[60:61], v[50:51], v[134:135]
	v_fma_f64 v[4:5], v[46:47], v[140:141], -v[4:5]
	v_fmac_f64_e32 v[60:61], v[52:53], v[136:137]
	ds_read_b128 v[196:199], v195 offset:720
	ds_read_b128 v[200:203], v195 offset:736
	v_add_f64 v[2:3], v[2:3], v[4:5]
	v_mul_f64 v[4:5], v[52:53], v[134:135]
	v_add_f64 v[58:59], v[58:59], v[60:61]
	s_waitcnt lgkmcnt(3)
	v_mul_f64 v[60:61], v[54:55], v[146:147]
	v_fma_f64 v[4:5], v[50:51], v[136:137], -v[4:5]
	s_waitcnt vmcnt(60)
	v_fmac_f64_e32 v[60:61], v[56:57], v[148:149]
	v_add_f64 v[2:3], v[2:3], v[4:5]
	v_mul_f64 v[4:5], v[56:57], v[146:147]
	v_add_f64 v[58:59], v[58:59], v[60:61]
	s_waitcnt lgkmcnt(2)
	v_mul_f64 v[60:61], v[182:183], v[142:143]
	v_fma_f64 v[4:5], v[54:55], v[148:149], -v[4:5]
	v_fmac_f64_e32 v[60:61], v[184:185], v[144:145]
	ds_read_b128 v[204:207], v195 offset:752
	ds_read_b128 v[208:211], v195 offset:768
	v_add_f64 v[2:3], v[2:3], v[4:5]
	v_mul_f64 v[4:5], v[184:185], v[142:143]
	v_add_f64 v[58:59], v[58:59], v[60:61]
	s_waitcnt vmcnt(54) lgkmcnt(3)
	v_mul_f64 v[60:61], v[196:197], v[154:155]
	v_fma_f64 v[4:5], v[182:183], v[144:145], -v[4:5]
	s_waitcnt vmcnt(52)
	v_fmac_f64_e32 v[60:61], v[198:199], v[156:157]
	v_add_f64 v[2:3], v[2:3], v[4:5]
	v_mul_f64 v[4:5], v[198:199], v[154:155]
	v_add_f64 v[58:59], v[58:59], v[60:61]
	s_waitcnt lgkmcnt(2)
	v_mul_f64 v[60:61], v[200:201], v[150:151]
	v_fma_f64 v[4:5], v[196:197], v[156:157], -v[4:5]
	v_fmac_f64_e32 v[60:61], v[202:203], v[152:153]
	ds_read_b128 v[212:215], v195 offset:784
	ds_read_b128 v[216:219], v195 offset:800
	v_add_f64 v[2:3], v[2:3], v[4:5]
	v_mul_f64 v[4:5], v[202:203], v[150:151]
	v_add_f64 v[58:59], v[58:59], v[60:61]
	s_waitcnt vmcnt(46) lgkmcnt(3)
	;; [unrolled: 17-line block ×5, first 2 shown]
	v_mul_f64 v[60:61], v[232:233], v[190:191]
	v_fma_f64 v[4:5], v[224:225], v[176:177], -v[4:5]
	s_waitcnt vmcnt(20)
	v_fmac_f64_e32 v[60:61], v[234:235], v[192:193]
	v_add_f64 v[2:3], v[2:3], v[4:5]
	v_mul_f64 v[4:5], v[234:235], v[190:191]
	v_add_f64 v[58:59], v[58:59], v[60:61]
	s_waitcnt lgkmcnt(2)
	v_mul_f64 v[60:61], v[236:237], v[186:187]
	v_fma_f64 v[4:5], v[232:233], v[192:193], -v[4:5]
	v_fmac_f64_e32 v[60:61], v[238:239], v[188:189]
	v_add_f64 v[2:3], v[2:3], v[4:5]
	v_mul_f64 v[4:5], v[238:239], v[186:187]
	v_add_f64 v[58:59], v[58:59], v[60:61]
	s_waitcnt vmcnt(14) lgkmcnt(1)
	v_mul_f64 v[60:61], v[240:241], v[64:65]
	ds_read_b128 v[248:251], v195 offset:912
	ds_read_b128 v[252:255], v195 offset:928
	v_fma_f64 v[4:5], v[236:237], v[188:189], -v[4:5]
	s_waitcnt vmcnt(12)
	v_fmac_f64_e32 v[60:61], v[242:243], v[66:67]
	v_add_f64 v[2:3], v[2:3], v[4:5]
	v_mul_f64 v[4:5], v[242:243], v[64:65]
	v_add_f64 v[58:59], v[58:59], v[60:61]
	s_waitcnt lgkmcnt(2)
	v_mul_f64 v[60:61], v[244:245], v[38:39]
	v_fma_f64 v[4:5], v[240:241], v[66:67], -v[4:5]
	v_fmac_f64_e32 v[60:61], v[246:247], v[62:63]
	v_add_f64 v[2:3], v[2:3], v[4:5]
	v_mul_f64 v[4:5], v[246:247], v[38:39]
	v_add_f64 v[78:79], v[58:59], v[60:61]
	ds_read_b128 v[58:61], v195 offset:944
	v_fma_f64 v[4:5], v[244:245], v[62:63], -v[4:5]
	v_add_f64 v[2:3], v[2:3], v[4:5]
	s_waitcnt vmcnt(6) lgkmcnt(2)
	v_mul_f64 v[4:5], v[250:251], v[72:73]
	v_mul_f64 v[80:81], v[248:249], v[72:73]
	s_waitcnt vmcnt(4)
	v_fma_f64 v[4:5], v[248:249], v[228:229], -v[4:5]
	v_fmac_f64_e32 v[80:81], v[250:251], v[228:229]
	v_add_f64 v[2:3], v[2:3], v[4:5]
	s_waitcnt lgkmcnt(1)
	v_mul_f64 v[4:5], v[254:255], v[68:69]
	v_add_f64 v[78:79], v[78:79], v[80:81]
	v_mul_f64 v[80:81], v[252:253], v[68:69]
	v_fma_f64 v[4:5], v[252:253], v[70:71], -v[4:5]
	v_fmac_f64_e32 v[80:81], v[254:255], v[70:71]
	v_add_f64 v[2:3], v[2:3], v[4:5]
	s_waitcnt vmcnt(2) lgkmcnt(0)
	v_mul_f64 v[4:5], v[60:61], v[74:75]
	v_add_f64 v[78:79], v[78:79], v[80:81]
	v_mul_f64 v[80:81], v[58:59], v[74:75]
	s_waitcnt vmcnt(0)
	v_fma_f64 v[4:5], v[58:59], v[76:77], -v[4:5]
	v_fmac_f64_e32 v[80:81], v[60:61], v[76:77]
	v_add_f64 v[2:3], v[2:3], v[4:5]
	v_add_f64 v[78:79], v[78:79], v[80:81]
	v_add_f64 v[2:3], v[106:107], -v[2:3]
	v_add_f64 v[4:5], v[104:105], -v[78:79]
	buffer_store_dword v3, off, s[0:3], 0 offset:20
	buffer_store_dword v2, off, s[0:3], 0 offset:16
	;; [unrolled: 1-line block ×4, first 2 shown]
	s_and_saveexec_b64 s[6:7], vcc
	s_cbranch_execz .LBB93_193
; %bb.192:
	buffer_load_dword v2, off, s[0:3], 0
	buffer_load_dword v3, off, s[0:3], 0 offset:4
	buffer_load_dword v4, off, s[0:3], 0 offset:8
	;; [unrolled: 1-line block ×3, first 2 shown]
	v_mov_b32_e32 v6, 0
	buffer_store_dword v6, off, s[0:3], 0
	buffer_store_dword v6, off, s[0:3], 0 offset:4
	buffer_store_dword v6, off, s[0:3], 0 offset:8
	;; [unrolled: 1-line block ×3, first 2 shown]
	s_waitcnt vmcnt(4)
	ds_write_b128 v231, v[2:5]
.LBB93_193:
	s_or_b64 exec, exec, s[6:7]
	s_waitcnt lgkmcnt(0)
	; wave barrier
	s_waitcnt lgkmcnt(0)
	buffer_load_dword v98, off, s[0:3], 0 offset:16
	buffer_load_dword v99, off, s[0:3], 0 offset:20
	;; [unrolled: 1-line block ×36, first 2 shown]
	buffer_load_dword v122, off, s[0:3], 0
	buffer_load_dword v123, off, s[0:3], 0 offset:4
	buffer_load_dword v120, off, s[0:3], 0 offset:8
	;; [unrolled: 1-line block ×11, first 2 shown]
	v_mov_b32_e32 v231, 0
	ds_read_b128 v[34:37], v231 offset:496
	ds_read_b128 v[30:33], v231 offset:512
	;; [unrolled: 1-line block ×9, first 2 shown]
	s_and_b64 vcc, exec, s[18:19]
	s_waitcnt vmcnt(44) lgkmcnt(8)
	v_mul_f64 v[38:39], v[34:35], v[102:103]
	v_fmac_f64_e32 v[38:39], v[36:37], v[98:99]
	v_add_f64 v[38:39], v[38:39], 0
	v_mul_f64 v[36:37], v[36:37], v[102:103]
	s_waitcnt vmcnt(40) lgkmcnt(7)
	v_mul_f64 v[42:43], v[30:31], v[104:105]
	v_fmac_f64_e32 v[42:43], v[32:33], v[100:101]
	s_waitcnt vmcnt(38) lgkmcnt(6)
	v_mul_f64 v[44:45], v[26:27], v[106:107]
	v_add_f64 v[38:39], v[38:39], v[42:43]
	s_waitcnt vmcnt(36) lgkmcnt(4)
	v_mul_f64 v[48:49], v[18:19], v[108:109]
	v_fma_f64 v[34:35], v[34:35], v[98:99], -v[36:37]
	s_waitcnt vmcnt(34)
	v_fmac_f64_e32 v[48:49], v[20:21], v[110:111]
	v_mul_f64 v[32:33], v[32:33], v[104:105]
	s_waitcnt vmcnt(32)
	v_mul_f64 v[46:47], v[22:23], v[112:113]
	v_add_f64 v[34:35], v[34:35], 0
	s_waitcnt vmcnt(30) lgkmcnt(2)
	v_mul_f64 v[52:53], v[10:11], v[114:115]
	v_fma_f64 v[30:31], v[30:31], v[100:101], -v[32:33]
	s_waitcnt vmcnt(28)
	v_fmac_f64_e32 v[52:53], v[12:13], v[116:117]
	v_add_f64 v[30:31], v[34:35], v[30:31]
	s_waitcnt vmcnt(26)
	v_mul_f64 v[50:51], v[14:15], v[118:119]
	v_mul_f64 v[20:21], v[20:21], v[108:109]
	v_fma_f64 v[18:19], v[18:19], v[110:111], -v[20:21]
	v_mul_f64 v[12:13], v[12:13], v[114:115]
	s_waitcnt vmcnt(22) lgkmcnt(1)
	v_mul_f64 v[170:171], v[6:7], v[128:129]
	v_fma_f64 v[10:11], v[10:11], v[116:117], -v[12:13]
	s_waitcnt vmcnt(20)
	v_fmac_f64_e32 v[44:45], v[28:29], v[136:137]
	v_add_f64 v[38:39], v[38:39], v[44:45]
	s_waitcnt vmcnt(18)
	v_fmac_f64_e32 v[46:47], v[24:25], v[134:135]
	v_add_f64 v[38:39], v[38:39], v[46:47]
	;; [unrolled: 3-line block ×3, first 2 shown]
	v_add_f64 v[38:39], v[38:39], v[50:51]
	v_add_f64 v[172:173], v[38:39], v[52:53]
	buffer_load_dword v147, off, s[0:3], 0 offset:220
	buffer_load_dword v146, off, s[0:3], 0 offset:216
	;; [unrolled: 1-line block ×72, first 2 shown]
	ds_read_b128 v[42:45], v231 offset:640
	s_waitcnt vmcnt(62)
	v_fmac_f64_e32 v[170:171], v[8:9], v[130:131]
	s_waitcnt lgkmcnt(1)
	v_mul_f64 v[48:49], v[2:3], v[124:125]
	v_add_f64 v[46:47], v[172:173], v[170:171]
	v_fmac_f64_e32 v[48:49], v[4:5], v[126:127]
	v_add_f64 v[50:51], v[46:47], v[48:49]
	ds_read_b128 v[46:49], v231 offset:656
	s_waitcnt lgkmcnt(1)
	v_mul_f64 v[52:53], v[42:43], v[142:143]
	v_mul_f64 v[28:29], v[28:29], v[106:107]
	v_fmac_f64_e32 v[52:53], v[44:45], v[144:145]
	v_fma_f64 v[26:27], v[26:27], v[136:137], -v[28:29]
	v_mul_f64 v[24:25], v[24:25], v[112:113]
	v_add_f64 v[54:55], v[50:51], v[52:53]
	ds_read_b128 v[50:53], v231 offset:672
	v_add_f64 v[26:27], v[30:31], v[26:27]
	v_fma_f64 v[22:23], v[22:23], v[134:135], -v[24:25]
	v_add_f64 v[22:23], v[26:27], v[22:23]
	v_mul_f64 v[16:17], v[16:17], v[118:119]
	v_add_f64 v[18:19], v[22:23], v[18:19]
	v_fma_f64 v[14:15], v[14:15], v[132:133], -v[16:17]
	s_waitcnt lgkmcnt(1)
	v_mul_f64 v[56:57], v[46:47], v[138:139]
	v_add_f64 v[14:15], v[18:19], v[14:15]
	v_mul_f64 v[8:9], v[8:9], v[128:129]
	v_fmac_f64_e32 v[56:57], v[48:49], v[140:141]
	v_add_f64 v[10:11], v[14:15], v[10:11]
	v_fma_f64 v[6:7], v[6:7], v[130:131], -v[8:9]
	v_mul_f64 v[4:5], v[4:5], v[124:125]
	v_add_f64 v[58:59], v[54:55], v[56:57]
	ds_read_b128 v[54:57], v231 offset:688
	s_waitcnt lgkmcnt(1)
	v_mul_f64 v[60:61], v[50:51], v[150:151]
	v_add_f64 v[6:7], v[10:11], v[6:7]
	v_fma_f64 v[2:3], v[2:3], v[126:127], -v[4:5]
	v_mul_f64 v[4:5], v[44:45], v[142:143]
	v_fmac_f64_e32 v[60:61], v[52:53], v[152:153]
	v_add_f64 v[2:3], v[6:7], v[2:3]
	v_fma_f64 v[4:5], v[42:43], v[144:145], -v[4:5]
	v_add_f64 v[62:63], v[58:59], v[60:61]
	ds_read_b128 v[58:61], v231 offset:704
	ds_read_b128 v[170:173], v231 offset:720
	v_add_f64 v[2:3], v[2:3], v[4:5]
	v_mul_f64 v[4:5], v[48:49], v[138:139]
	v_fma_f64 v[4:5], v[46:47], v[140:141], -v[4:5]
	v_add_f64 v[2:3], v[2:3], v[4:5]
	v_mul_f64 v[4:5], v[52:53], v[150:151]
	s_waitcnt lgkmcnt(2)
	v_mul_f64 v[64:65], v[54:55], v[146:147]
	v_fma_f64 v[4:5], v[50:51], v[152:153], -v[4:5]
	v_fmac_f64_e32 v[64:65], v[56:57], v[148:149]
	ds_read_b128 v[202:205], v231 offset:736
	ds_read_b128 v[206:209], v231 offset:752
	v_add_f64 v[2:3], v[2:3], v[4:5]
	v_mul_f64 v[4:5], v[56:57], v[146:147]
	v_add_f64 v[62:63], v[62:63], v[64:65]
	s_waitcnt vmcnt(58) lgkmcnt(3)
	v_mul_f64 v[64:65], v[58:59], v[158:159]
	v_fma_f64 v[4:5], v[54:55], v[148:149], -v[4:5]
	s_waitcnt vmcnt(56)
	v_fmac_f64_e32 v[64:65], v[60:61], v[160:161]
	v_add_f64 v[2:3], v[2:3], v[4:5]
	v_mul_f64 v[4:5], v[60:61], v[158:159]
	v_add_f64 v[62:63], v[62:63], v[64:65]
	s_waitcnt lgkmcnt(2)
	v_mul_f64 v[64:65], v[170:171], v[154:155]
	v_fma_f64 v[4:5], v[58:59], v[160:161], -v[4:5]
	v_fmac_f64_e32 v[64:65], v[172:173], v[156:157]
	ds_read_b128 v[210:213], v231 offset:768
	ds_read_b128 v[214:217], v231 offset:784
	v_add_f64 v[2:3], v[2:3], v[4:5]
	v_mul_f64 v[4:5], v[172:173], v[154:155]
	v_add_f64 v[62:63], v[62:63], v[64:65]
	s_waitcnt vmcnt(50) lgkmcnt(3)
	v_mul_f64 v[64:65], v[202:203], v[166:167]
	v_fma_f64 v[4:5], v[170:171], v[156:157], -v[4:5]
	s_waitcnt vmcnt(48)
	v_fmac_f64_e32 v[64:65], v[204:205], v[168:169]
	v_add_f64 v[2:3], v[2:3], v[4:5]
	v_mul_f64 v[4:5], v[204:205], v[166:167]
	v_add_f64 v[62:63], v[62:63], v[64:65]
	;; [unrolled: 17-line block ×6, first 2 shown]
	s_waitcnt lgkmcnt(2)
	v_mul_f64 v[64:65], v[244:245], v[198:199]
	v_fma_f64 v[4:5], v[240:241], v[66:67], -v[4:5]
	v_fmac_f64_e32 v[64:65], v[246:247], v[200:201]
	v_add_f64 v[2:3], v[2:3], v[4:5]
	v_mul_f64 v[4:5], v[246:247], v[198:199]
	v_add_f64 v[62:63], v[62:63], v[64:65]
	s_waitcnt vmcnt(10) lgkmcnt(1)
	v_mul_f64 v[64:65], v[248:249], v[72:73]
	ds_read_b128 v[226:229], v231 offset:928
	v_fma_f64 v[4:5], v[244:245], v[200:201], -v[4:5]
	s_waitcnt vmcnt(8)
	v_fmac_f64_e32 v[64:65], v[250:251], v[74:75]
	v_add_f64 v[2:3], v[2:3], v[4:5]
	v_mul_f64 v[4:5], v[250:251], v[72:73]
	v_add_f64 v[84:85], v[62:63], v[64:65]
	ds_read_b128 v[62:65], v231 offset:944
	v_fma_f64 v[4:5], v[248:249], v[74:75], -v[4:5]
	v_add_f64 v[2:3], v[2:3], v[4:5]
	s_waitcnt lgkmcnt(2)
	v_mul_f64 v[4:5], v[254:255], v[68:69]
	v_mul_f64 v[86:87], v[252:253], v[68:69]
	v_fma_f64 v[4:5], v[252:253], v[70:71], -v[4:5]
	v_fmac_f64_e32 v[86:87], v[254:255], v[70:71]
	v_add_f64 v[2:3], v[2:3], v[4:5]
	s_waitcnt vmcnt(2) lgkmcnt(1)
	v_mul_f64 v[4:5], v[228:229], v[80:81]
	v_add_f64 v[84:85], v[84:85], v[86:87]
	v_mul_f64 v[86:87], v[226:227], v[80:81]
	s_waitcnt vmcnt(0)
	v_fma_f64 v[4:5], v[226:227], v[82:83], -v[4:5]
	v_fmac_f64_e32 v[86:87], v[228:229], v[82:83]
	v_add_f64 v[2:3], v[2:3], v[4:5]
	s_waitcnt lgkmcnt(0)
	v_mul_f64 v[4:5], v[64:65], v[76:77]
	v_add_f64 v[84:85], v[84:85], v[86:87]
	v_mul_f64 v[86:87], v[62:63], v[76:77]
	v_fma_f64 v[4:5], v[62:63], v[78:79], -v[4:5]
	v_fmac_f64_e32 v[86:87], v[64:65], v[78:79]
	v_add_f64 v[2:3], v[2:3], v[4:5]
	v_add_f64 v[84:85], v[84:85], v[86:87]
	v_add_f64 v[2:3], v[122:123], -v[2:3]
	v_add_f64 v[4:5], v[120:121], -v[84:85]
	buffer_store_dword v3, off, s[0:3], 0 offset:4
	buffer_store_dword v2, off, s[0:3], 0
	buffer_store_dword v5, off, s[0:3], 0 offset:12
	buffer_store_dword v4, off, s[0:3], 0 offset:8
	s_cbranch_vccz .LBB93_253
; %bb.194:
	v_pk_mov_b32 v[2:3], s[16:17], s[16:17] op_sel:[0,1]
	flat_load_dword v2, v[2:3] offset:112
	s_load_dwordx2 s[4:5], s[4:5], 0x4
	v_bfe_u32 v4, v0, 10, 10
	v_bfe_u32 v0, v0, 20, 10
	s_waitcnt lgkmcnt(0)
	s_lshr_b32 s4, s4, 16
	s_mul_i32 s4, s4, s5
	v_mul_u32_u24_e32 v3, s4, v230
	v_mul_u32_u24_e32 v4, s5, v4
	v_add3_u32 v0, v3, v4, v0
	v_mov_b32_e32 v3, 0x3c8
	v_lshl_add_u32 v0, v0, 4, v3
	s_waitcnt vmcnt(0)
	v_add_u32_e32 v2, -1, v2
	v_cmp_ne_u32_e32 vcc, 28, v2
	s_and_saveexec_b64 s[4:5], vcc
	s_cbranch_execz .LBB93_196
; %bb.195:
	v_mov_b32_e32 v3, 0
	v_accvgpr_read_b32 v11, a49
	v_lshl_add_u32 v6, v2, 4, v3
	buffer_load_dword v2, v11, s[0:3], 0 offen
	buffer_load_dword v3, v11, s[0:3], 0 offen offset:4
	buffer_load_dword v4, v11, s[0:3], 0 offen offset:8
	buffer_load_dword v5, v11, s[0:3], 0 offen offset:12
	buffer_load_dword v7, v6, s[0:3], 0 offen
	buffer_load_dword v8, v6, s[0:3], 0 offen offset:4
	buffer_load_dword v9, v6, s[0:3], 0 offen offset:8
	buffer_load_dword v10, v6, s[0:3], 0 offen offset:12
	s_waitcnt vmcnt(4)
	ds_write2_b64 v0, v[2:3], v[4:5] offset1:1
	s_waitcnt vmcnt(3)
	buffer_store_dword v7, v11, s[0:3], 0 offen
	s_waitcnt vmcnt(3)
	buffer_store_dword v8, v11, s[0:3], 0 offen offset:4
	s_waitcnt vmcnt(3)
	buffer_store_dword v9, v11, s[0:3], 0 offen offset:8
	s_waitcnt vmcnt(3)
	buffer_store_dword v10, v11, s[0:3], 0 offen offset:12
	buffer_store_dword v5, v6, s[0:3], 0 offen offset:12
	buffer_store_dword v4, v6, s[0:3], 0 offen offset:8
	buffer_store_dword v3, v6, s[0:3], 0 offen offset:4
	buffer_store_dword v2, v6, s[0:3], 0 offen
.LBB93_196:
	s_or_b64 exec, exec, s[4:5]
	v_pk_mov_b32 v[2:3], s[16:17], s[16:17] op_sel:[0,1]
	flat_load_dword v2, v[2:3] offset:108
	s_waitcnt vmcnt(0) lgkmcnt(0)
	v_add_u32_e32 v2, -1, v2
	v_cmp_ne_u32_e32 vcc, 27, v2
	s_and_saveexec_b64 s[4:5], vcc
	s_cbranch_execz .LBB93_198
; %bb.197:
	v_mov_b32_e32 v3, 0
	v_accvgpr_read_b32 v11, a50
	v_lshl_add_u32 v6, v2, 4, v3
	buffer_load_dword v2, v11, s[0:3], 0 offen
	buffer_load_dword v3, v11, s[0:3], 0 offen offset:4
	buffer_load_dword v4, v11, s[0:3], 0 offen offset:8
	buffer_load_dword v5, v11, s[0:3], 0 offen offset:12
	buffer_load_dword v7, v6, s[0:3], 0 offen
	buffer_load_dword v8, v6, s[0:3], 0 offen offset:4
	buffer_load_dword v9, v6, s[0:3], 0 offen offset:8
	buffer_load_dword v10, v6, s[0:3], 0 offen offset:12
	s_waitcnt vmcnt(4)
	ds_write2_b64 v0, v[2:3], v[4:5] offset1:1
	s_waitcnt vmcnt(3)
	buffer_store_dword v7, v11, s[0:3], 0 offen
	s_waitcnt vmcnt(3)
	buffer_store_dword v8, v11, s[0:3], 0 offen offset:4
	s_waitcnt vmcnt(3)
	buffer_store_dword v9, v11, s[0:3], 0 offen offset:8
	s_waitcnt vmcnt(3)
	buffer_store_dword v10, v11, s[0:3], 0 offen offset:12
	buffer_store_dword v5, v6, s[0:3], 0 offen offset:12
	buffer_store_dword v4, v6, s[0:3], 0 offen offset:8
	buffer_store_dword v3, v6, s[0:3], 0 offen offset:4
	buffer_store_dword v2, v6, s[0:3], 0 offen
.LBB93_198:
	s_or_b64 exec, exec, s[4:5]
	v_pk_mov_b32 v[2:3], s[16:17], s[16:17] op_sel:[0,1]
	flat_load_dword v2, v[2:3] offset:104
	s_waitcnt vmcnt(0) lgkmcnt(0)
	;; [unrolled: 35-line block ×27, first 2 shown]
	v_add_u32_e32 v2, -1, v2
	v_cmp_ne_u32_e32 vcc, 1, v2
	s_and_saveexec_b64 s[4:5], vcc
	s_cbranch_execz .LBB93_250
; %bb.249:
	v_mov_b32_e32 v3, 0
	v_lshl_add_u32 v6, v2, 4, v3
	buffer_load_dword v2, v1, s[0:3], 0 offen
	buffer_load_dword v3, v1, s[0:3], 0 offen offset:4
	buffer_load_dword v4, v1, s[0:3], 0 offen offset:8
	;; [unrolled: 1-line block ×3, first 2 shown]
	buffer_load_dword v7, v6, s[0:3], 0 offen
	buffer_load_dword v8, v6, s[0:3], 0 offen offset:4
	buffer_load_dword v9, v6, s[0:3], 0 offen offset:8
	buffer_load_dword v10, v6, s[0:3], 0 offen offset:12
	s_waitcnt vmcnt(4)
	ds_write2_b64 v0, v[2:3], v[4:5] offset1:1
	s_waitcnt vmcnt(3)
	buffer_store_dword v7, v1, s[0:3], 0 offen
	s_waitcnt vmcnt(3)
	buffer_store_dword v8, v1, s[0:3], 0 offen offset:4
	s_waitcnt vmcnt(3)
	buffer_store_dword v9, v1, s[0:3], 0 offen offset:8
	;; [unrolled: 2-line block ×3, first 2 shown]
	buffer_store_dword v5, v6, s[0:3], 0 offen offset:12
	buffer_store_dword v4, v6, s[0:3], 0 offen offset:8
	buffer_store_dword v3, v6, s[0:3], 0 offen offset:4
	buffer_store_dword v2, v6, s[0:3], 0 offen
.LBB93_250:
	s_or_b64 exec, exec, s[4:5]
	v_pk_mov_b32 v[2:3], s[16:17], s[16:17] op_sel:[0,1]
	flat_load_dword v2, v[2:3]
	s_waitcnt vmcnt(0) lgkmcnt(0)
	v_add_u32_e32 v2, -1, v2
	v_cmp_ne_u32_e32 vcc, 0, v2
	s_and_saveexec_b64 s[4:5], vcc
	s_cbranch_execz .LBB93_252
; %bb.251:
	v_mov_b32_e32 v3, 0
	v_lshl_add_u32 v6, v2, 4, v3
	buffer_load_dword v2, off, s[0:3], 0
	buffer_load_dword v3, off, s[0:3], 0 offset:4
	buffer_load_dword v4, off, s[0:3], 0 offset:8
	;; [unrolled: 1-line block ×3, first 2 shown]
	buffer_load_dword v7, v6, s[0:3], 0 offen
	buffer_load_dword v8, v6, s[0:3], 0 offen offset:4
	buffer_load_dword v9, v6, s[0:3], 0 offen offset:8
	;; [unrolled: 1-line block ×3, first 2 shown]
	s_waitcnt vmcnt(4)
	ds_write2_b64 v0, v[2:3], v[4:5] offset1:1
	s_waitcnt vmcnt(3)
	buffer_store_dword v7, off, s[0:3], 0
	s_waitcnt vmcnt(3)
	buffer_store_dword v8, off, s[0:3], 0 offset:4
	s_waitcnt vmcnt(3)
	buffer_store_dword v9, off, s[0:3], 0 offset:8
	;; [unrolled: 2-line block ×3, first 2 shown]
	buffer_store_dword v5, v6, s[0:3], 0 offen offset:12
	buffer_store_dword v4, v6, s[0:3], 0 offen offset:8
	;; [unrolled: 1-line block ×3, first 2 shown]
	buffer_store_dword v2, v6, s[0:3], 0 offen
.LBB93_252:
	s_or_b64 exec, exec, s[4:5]
.LBB93_253:
	buffer_load_dword v2, off, s[0:3], 0
	buffer_load_dword v3, off, s[0:3], 0 offset:4
	buffer_load_dword v4, off, s[0:3], 0 offset:8
	buffer_load_dword v5, off, s[0:3], 0 offset:12
	buffer_load_dword v7, v1, s[0:3], 0 offen offset:4
	buffer_load_dword v8, v1, s[0:3], 0 offen offset:8
	;; [unrolled: 1-line block ×3, first 2 shown]
	v_accvgpr_read_b32 v0, a74
	buffer_load_dword v10, v0, s[0:3], 0 offen
	buffer_load_dword v11, v0, s[0:3], 0 offen offset:4
	buffer_load_dword v12, v0, s[0:3], 0 offen offset:8
	buffer_load_dword v6, v1, s[0:3], 0 offen
	buffer_load_dword v13, v0, s[0:3], 0 offen offset:12
	v_accvgpr_read_b32 v21, a75
	buffer_load_dword v15, v21, s[0:3], 0 offen offset:4
	buffer_load_dword v16, v21, s[0:3], 0 offen offset:8
	;; [unrolled: 1-line block ×3, first 2 shown]
	v_accvgpr_read_b32 v30, a71
	buffer_load_dword v18, v30, s[0:3], 0 offen
	buffer_load_dword v19, v30, s[0:3], 0 offen offset:4
	buffer_load_dword v20, v30, s[0:3], 0 offen offset:8
	buffer_load_dword v14, v21, s[0:3], 0 offen
                                        ; kill: killed $vgpr1
                                        ; kill: killed $vgpr21
                                        ; kill: killed $vgpr0
	s_nop 0
	buffer_load_dword v21, v30, s[0:3], 0 offen offset:12
	v_accvgpr_read_b32 v1, a72
	buffer_load_dword v23, v1, s[0:3], 0 offen offset:4
	buffer_load_dword v24, v1, s[0:3], 0 offen offset:8
	;; [unrolled: 1-line block ×3, first 2 shown]
	v_accvgpr_read_b32 v37, a73
	buffer_load_dword v26, v37, s[0:3], 0 offen
	buffer_load_dword v27, v37, s[0:3], 0 offen offset:4
	buffer_load_dword v28, v37, s[0:3], 0 offen offset:8
	buffer_load_dword v22, v1, s[0:3], 0 offen
	buffer_load_dword v29, v37, s[0:3], 0 offen offset:12
	v_accvgpr_read_b32 v0, a67
	buffer_load_dword v31, v0, s[0:3], 0 offen offset:4
	buffer_load_dword v32, v0, s[0:3], 0 offen offset:8
	;; [unrolled: 1-line block ×3, first 2 shown]
	v_accvgpr_read_b32 v39, a69
	buffer_load_dword v34, v39, s[0:3], 0 offen
	buffer_load_dword v35, v39, s[0:3], 0 offen offset:4
	buffer_load_dword v36, v39, s[0:3], 0 offen offset:8
                                        ; kill: killed $vgpr37
                                        ; kill: killed $vgpr1
                                        ; kill: killed $vgpr30
	buffer_load_dword v30, v0, s[0:3], 0 offen
	buffer_load_dword v37, v39, s[0:3], 0 offen offset:12
	v_accvgpr_read_b32 v38, a68
	buffer_load_dword v43, v38, s[0:3], 0 offen offset:4
	buffer_load_dword v44, v38, s[0:3], 0 offen offset:8
	;; [unrolled: 1-line block ×3, first 2 shown]
	v_accvgpr_read_b32 v50, a70
	buffer_load_dword v46, v50, s[0:3], 0 offen
	buffer_load_dword v47, v50, s[0:3], 0 offen offset:4
	buffer_load_dword v48, v50, s[0:3], 0 offen offset:8
	buffer_load_dword v42, v38, s[0:3], 0 offen
	buffer_load_dword v49, v50, s[0:3], 0 offen offset:12
	v_accvgpr_read_b32 v1, a66
	buffer_load_dword v51, v1, s[0:3], 0 offen offset:4
                                        ; kill: killed $vgpr39
                                        ; kill: killed $vgpr50
                                        ; kill: killed $vgpr0
                                        ; kill: killed $vgpr38
	buffer_load_dword v52, v1, s[0:3], 0 offen offset:8
	buffer_load_dword v53, v1, s[0:3], 0 offen offset:12
	v_accvgpr_read_b32 v0, a65
	buffer_load_dword v54, v0, s[0:3], 0 offen
	buffer_load_dword v55, v0, s[0:3], 0 offen offset:4
	buffer_load_dword v56, v0, s[0:3], 0 offen offset:8
	buffer_load_dword v50, v1, s[0:3], 0 offen
	buffer_load_dword v57, v0, s[0:3], 0 offen offset:12
	v_accvgpr_read_b32 v1, a64
	buffer_load_dword v59, v1, s[0:3], 0 offen offset:4
	buffer_load_dword v60, v1, s[0:3], 0 offen offset:8
	buffer_load_dword v61, v1, s[0:3], 0 offen offset:12
	v_accvgpr_read_b32 v0, a63
	buffer_load_dword v62, v0, s[0:3], 0 offen
	buffer_load_dword v63, v0, s[0:3], 0 offen offset:4
	buffer_load_dword v64, v0, s[0:3], 0 offen offset:8
	buffer_load_dword v58, v1, s[0:3], 0 offen
	buffer_load_dword v65, v0, s[0:3], 0 offen offset:12
	v_accvgpr_read_b32 v1, a62
	buffer_load_dword v99, v1, s[0:3], 0 offen offset:4
	;; [unrolled: 10-line block ×5, first 2 shown]
	buffer_load_dword v124, v1, s[0:3], 0 offen offset:8
	buffer_load_dword v125, v1, s[0:3], 0 offen offset:12
	v_accvgpr_read_b32 v0, a55
	buffer_load_dword v126, v0, s[0:3], 0 offen
	buffer_load_dword v127, v0, s[0:3], 0 offen offset:4
	buffer_load_dword v128, v0, s[0:3], 0 offen offset:8
	buffer_load_dword v122, v1, s[0:3], 0 offen
	buffer_load_dword v129, v0, s[0:3], 0 offen offset:12
	v_accvgpr_read_b32 v1, a54
	v_accvgpr_read_b32 v0, a53
	buffer_load_dword v131, v1, s[0:3], 0 offen offset:4
	buffer_load_dword v132, v1, s[0:3], 0 offen offset:8
	buffer_load_dword v133, v1, s[0:3], 0 offen offset:12
	buffer_load_dword v134, v0, s[0:3], 0 offen
	buffer_load_dword v135, v0, s[0:3], 0 offen offset:4
	buffer_load_dword v136, v0, s[0:3], 0 offen offset:8
	buffer_load_dword v130, v1, s[0:3], 0 offen
	buffer_load_dword v137, v0, s[0:3], 0 offen offset:12
	v_accvgpr_read_b32 v1, a52
	v_accvgpr_read_b32 v0, a51
	buffer_load_dword v139, v1, s[0:3], 0 offen offset:4
	buffer_load_dword v140, v1, s[0:3], 0 offen offset:8
	buffer_load_dword v141, v1, s[0:3], 0 offen offset:12
	;; [unrolled: 10-line block ×3, first 2 shown]
	buffer_load_dword v150, v0, s[0:3], 0 offen
	buffer_load_dword v151, v0, s[0:3], 0 offen offset:4
	buffer_load_dword v152, v0, s[0:3], 0 offen offset:8
	buffer_load_dword v146, v1, s[0:3], 0 offen
	buffer_load_dword v153, v0, s[0:3], 0 offen offset:12
	v_accvgpr_read_b32 v0, a48
	buffer_load_dword v154, v0, s[0:3], 0 offen
	buffer_load_dword v155, v0, s[0:3], 0 offen offset:4
	buffer_load_dword v156, v0, s[0:3], 0 offen offset:8
	;; [unrolled: 1-line block ×3, first 2 shown]
	v_accvgpr_read_b32 v0, a2
	v_accvgpr_read_b32 v1, a3
	s_waitcnt vmcnt(62)
	global_store_dwordx4 v[40:41], v[2:5], off
	global_store_dwordx4 v[0:1], v[6:9], off
	v_accvgpr_read_b32 v0, a0
	v_accvgpr_read_b32 v1, a1
	global_store_dwordx4 v[0:1], v[10:13], off
	v_accvgpr_read_b32 v0, a4
	v_accvgpr_read_b32 v1, a5
	;; [unrolled: 3-line block ×12, first 2 shown]
	s_waitcnt vmcnt(62)
	global_store_dwordx4 v[0:1], v[58:61], off
	v_accvgpr_read_b32 v0, a28
	v_accvgpr_read_b32 v1, a29
	global_store_dwordx4 v[0:1], v[62:65], off
	v_accvgpr_read_b32 v0, a30
	v_accvgpr_read_b32 v1, a31
	;; [unrolled: 3-line block ×4, first 2 shown]
	s_waitcnt vmcnt(62)
	global_store_dwordx4 v[0:1], v[106:109], off
	v_accvgpr_read_b32 v0, a36
	v_accvgpr_read_b32 v1, a37
	s_waitcnt vmcnt(62)
	global_store_dwordx4 v[0:1], v[110:113], off
	v_accvgpr_read_b32 v0, a38
	v_accvgpr_read_b32 v1, a39
	;; [unrolled: 4-line block ×6, first 2 shown]
	s_waitcnt vmcnt(44)
	global_store_dwordx4 v[0:1], v[130:133], off
	s_waitcnt vmcnt(44)
	global_store_dwordx4 v[88:89], v[134:137], off
	;; [unrolled: 2-line block ×6, first 2 shown]
	v_accvgpr_read_b32 v0, a16
	v_accvgpr_read_b32 v1, a17
	s_waitcnt vmcnt(29)
	global_store_dwordx4 v[0:1], v[154:157], off
	s_endpgm
	.section	.rodata,"a",@progbits
	.p2align	6, 0x0
	.amdhsa_kernel _ZN9rocsolver6v33100L18getri_kernel_smallILi30E19rocblas_complex_numIdEPKPS3_EEvT1_iilPiilS8_bb
		.amdhsa_group_segment_fixed_size 1992
		.amdhsa_private_segment_fixed_size 496
		.amdhsa_kernarg_size 60
		.amdhsa_user_sgpr_count 10
		.amdhsa_user_sgpr_private_segment_buffer 1
		.amdhsa_user_sgpr_dispatch_ptr 1
		.amdhsa_user_sgpr_queue_ptr 0
		.amdhsa_user_sgpr_kernarg_segment_ptr 1
		.amdhsa_user_sgpr_dispatch_id 0
		.amdhsa_user_sgpr_flat_scratch_init 1
		.amdhsa_user_sgpr_kernarg_preload_length 0
		.amdhsa_user_sgpr_kernarg_preload_offset 0
		.amdhsa_user_sgpr_private_segment_size 0
		.amdhsa_uses_dynamic_stack 0
		.amdhsa_system_sgpr_private_segment_wavefront_offset 1
		.amdhsa_system_sgpr_workgroup_id_x 1
		.amdhsa_system_sgpr_workgroup_id_y 0
		.amdhsa_system_sgpr_workgroup_id_z 0
		.amdhsa_system_sgpr_workgroup_info 0
		.amdhsa_system_vgpr_workitem_id 2
		.amdhsa_next_free_vgpr 332
		.amdhsa_next_free_sgpr 24
		.amdhsa_accum_offset 256
		.amdhsa_reserve_vcc 1
		.amdhsa_reserve_flat_scratch 1
		.amdhsa_float_round_mode_32 0
		.amdhsa_float_round_mode_16_64 0
		.amdhsa_float_denorm_mode_32 3
		.amdhsa_float_denorm_mode_16_64 3
		.amdhsa_dx10_clamp 1
		.amdhsa_ieee_mode 1
		.amdhsa_fp16_overflow 0
		.amdhsa_tg_split 0
		.amdhsa_exception_fp_ieee_invalid_op 0
		.amdhsa_exception_fp_denorm_src 0
		.amdhsa_exception_fp_ieee_div_zero 0
		.amdhsa_exception_fp_ieee_overflow 0
		.amdhsa_exception_fp_ieee_underflow 0
		.amdhsa_exception_fp_ieee_inexact 0
		.amdhsa_exception_int_div_zero 0
	.end_amdhsa_kernel
	.section	.text._ZN9rocsolver6v33100L18getri_kernel_smallILi30E19rocblas_complex_numIdEPKPS3_EEvT1_iilPiilS8_bb,"axG",@progbits,_ZN9rocsolver6v33100L18getri_kernel_smallILi30E19rocblas_complex_numIdEPKPS3_EEvT1_iilPiilS8_bb,comdat
.Lfunc_end93:
	.size	_ZN9rocsolver6v33100L18getri_kernel_smallILi30E19rocblas_complex_numIdEPKPS3_EEvT1_iilPiilS8_bb, .Lfunc_end93-_ZN9rocsolver6v33100L18getri_kernel_smallILi30E19rocblas_complex_numIdEPKPS3_EEvT1_iilPiilS8_bb
                                        ; -- End function
	.section	.AMDGPU.csdata,"",@progbits
; Kernel info:
; codeLenInByte = 66360
; NumSgprs: 30
; NumVgprs: 256
; NumAgprs: 76
; TotalNumVgprs: 332
; ScratchSize: 496
; MemoryBound: 0
; FloatMode: 240
; IeeeMode: 1
; LDSByteSize: 1992 bytes/workgroup (compile time only)
; SGPRBlocks: 3
; VGPRBlocks: 41
; NumSGPRsForWavesPerEU: 30
; NumVGPRsForWavesPerEU: 332
; AccumOffset: 256
; Occupancy: 1
; WaveLimiterHint : 1
; COMPUTE_PGM_RSRC2:SCRATCH_EN: 1
; COMPUTE_PGM_RSRC2:USER_SGPR: 10
; COMPUTE_PGM_RSRC2:TRAP_HANDLER: 0
; COMPUTE_PGM_RSRC2:TGID_X_EN: 1
; COMPUTE_PGM_RSRC2:TGID_Y_EN: 0
; COMPUTE_PGM_RSRC2:TGID_Z_EN: 0
; COMPUTE_PGM_RSRC2:TIDIG_COMP_CNT: 2
; COMPUTE_PGM_RSRC3_GFX90A:ACCUM_OFFSET: 63
; COMPUTE_PGM_RSRC3_GFX90A:TG_SPLIT: 0
	.section	.text._ZN9rocsolver6v33100L18getri_kernel_smallILi31E19rocblas_complex_numIdEPKPS3_EEvT1_iilPiilS8_bb,"axG",@progbits,_ZN9rocsolver6v33100L18getri_kernel_smallILi31E19rocblas_complex_numIdEPKPS3_EEvT1_iilPiilS8_bb,comdat
	.globl	_ZN9rocsolver6v33100L18getri_kernel_smallILi31E19rocblas_complex_numIdEPKPS3_EEvT1_iilPiilS8_bb ; -- Begin function _ZN9rocsolver6v33100L18getri_kernel_smallILi31E19rocblas_complex_numIdEPKPS3_EEvT1_iilPiilS8_bb
	.p2align	8
	.type	_ZN9rocsolver6v33100L18getri_kernel_smallILi31E19rocblas_complex_numIdEPKPS3_EEvT1_iilPiilS8_bb,@function
_ZN9rocsolver6v33100L18getri_kernel_smallILi31E19rocblas_complex_numIdEPKPS3_EEvT1_iilPiilS8_bb: ; @_ZN9rocsolver6v33100L18getri_kernel_smallILi31E19rocblas_complex_numIdEPKPS3_EEvT1_iilPiilS8_bb
; %bb.0:
	s_add_u32 flat_scratch_lo, s8, s11
	s_addc_u32 flat_scratch_hi, s9, 0
	s_add_u32 s0, s0, s11
	v_and_b32_e32 v243, 0x3ff, v0
	s_addc_u32 s1, s1, 0
	v_cmp_gt_u32_e32 vcc, 31, v243
	s_and_saveexec_b64 s[8:9], vcc
	s_cbranch_execz .LBB94_138
; %bb.1:
	s_load_dword s20, s[6:7], 0x38
	s_load_dwordx2 s[8:9], s[6:7], 0x0
	s_load_dwordx4 s[12:15], s[6:7], 0x28
	s_waitcnt lgkmcnt(0)
	s_bitcmp1_b32 s20, 8
	s_cselect_b64 s[18:19], -1, 0
	s_ashr_i32 s11, s10, 31
	s_lshl_b64 s[16:17], s[10:11], 3
	s_add_u32 s8, s8, s16
	s_addc_u32 s9, s9, s17
	s_load_dwordx2 s[8:9], s[8:9], 0x0
	s_bfe_u32 s16, s20, 0x10008
	s_cmp_eq_u32 s16, 0
                                        ; implicit-def: $sgpr16_sgpr17
	s_cbranch_scc1 .LBB94_3
; %bb.2:
	s_load_dword s16, s[6:7], 0x20
	s_load_dwordx2 s[22:23], s[6:7], 0x18
	s_mul_i32 s13, s10, s13
	s_mul_hi_u32 s17, s10, s12
	s_add_i32 s13, s17, s13
	s_mul_i32 s21, s11, s12
	s_add_i32 s13, s13, s21
	s_mul_i32 s12, s10, s12
	s_waitcnt lgkmcnt(0)
	s_ashr_i32 s17, s16, 31
	s_lshl_b64 s[12:13], s[12:13], 2
	s_add_u32 s21, s22, s12
	s_addc_u32 s22, s23, s13
	s_lshl_b64 s[12:13], s[16:17], 2
	s_add_u32 s16, s21, s12
	s_addc_u32 s17, s22, s13
.LBB94_3:
	s_load_dwordx2 s[6:7], s[6:7], 0x8
	v_lshlrev_b32_e32 v38, 4, v243
	s_waitcnt lgkmcnt(0)
	s_ashr_i32 s13, s6, 31
	s_mov_b32 s12, s6
	s_lshl_b64 s[12:13], s[12:13], 4
	s_add_u32 s8, s8, s12
	s_addc_u32 s9, s9, s13
	v_mov_b32_e32 v1, s9
	v_add_co_u32_e32 v42, vcc, s8, v38
	s_ashr_i32 s13, s7, 31
	s_mov_b32 s12, s7
	s_add_i32 s6, s7, s7
	v_addc_co_u32_e32 v43, vcc, 0, v1, vcc
	s_lshl_b64 s[12:13], s[12:13], 4
	v_add_u32_e32 v2, s6, v243
	v_mov_b32_e32 v1, s13
	v_add_co_u32_e32 v10, vcc, s12, v42
	v_ashrrev_i32_e32 v3, 31, v2
	v_addc_co_u32_e32 v11, vcc, v43, v1, vcc
	v_lshlrev_b64 v[4:5], 4, v[2:3]
	v_mov_b32_e32 v1, s9
	v_add_co_u32_e32 v4, vcc, s8, v4
	v_add_u32_e32 v2, s7, v2
	v_addc_co_u32_e32 v5, vcc, v1, v5, vcc
	v_accvgpr_write_b32 a2, v4
	v_ashrrev_i32_e32 v3, 31, v2
	global_load_dwordx4 v[6:9], v38, s[8:9]
	v_accvgpr_write_b32 a3, v5
	global_load_dwordx4 v[14:17], v[4:5], off
	v_lshlrev_b64 v[4:5], 4, v[2:3]
	v_add_u32_e32 v2, s7, v2
	v_add_co_u32_e32 v18, vcc, s8, v4
	v_ashrrev_i32_e32 v3, 31, v2
	v_addc_co_u32_e32 v19, vcc, v1, v5, vcc
	v_add_u32_e32 v4, s7, v2
	v_lshlrev_b64 v[2:3], 4, v[2:3]
	v_accvgpr_write_b32 a0, v10
	v_add_co_u32_e32 v22, vcc, s8, v2
	v_accvgpr_write_b32 a1, v11
	global_load_dwordx4 v[10:13], v[10:11], off
	v_ashrrev_i32_e32 v5, 31, v4
	v_addc_co_u32_e32 v23, vcc, v1, v3, vcc
	v_accvgpr_write_b32 a6, v22
	v_add_u32_e32 v26, s7, v4
	v_lshlrev_b64 v[2:3], 4, v[4:5]
	v_accvgpr_write_b32 a7, v23
	global_load_dwordx4 v[22:25], v[22:23], off
	v_mov_b32_e32 v28, s9
	v_ashrrev_i32_e32 v27, 31, v26
	v_add_co_u32_e32 v30, vcc, s8, v2
	v_addc_co_u32_e32 v31, vcc, v28, v3, vcc
	v_lshlrev_b64 v[2:3], 4, v[26:27]
	v_mov_b32_e32 v29, s9
	v_add_co_u32_e32 v32, vcc, s8, v2
	v_add_u32_e32 v4, s7, v26
	v_addc_co_u32_e32 v33, vcc, v29, v3, vcc
	global_load_dwordx4 v[26:29], v[30:31], off
	v_accvgpr_write_b32 a4, v18
	v_accvgpr_write_b32 a5, v19
	global_load_dwordx4 v[18:21], v[18:19], off
	v_accvgpr_write_b32 a8, v30
	v_accvgpr_write_b32 a10, v32
	v_ashrrev_i32_e32 v5, 31, v4
	v_accvgpr_write_b32 a9, v31
	v_accvgpr_write_b32 a11, v33
	global_load_dwordx4 v[30:33], v[32:33], off
	v_add_u32_e32 v40, s7, v4
	v_lshlrev_b64 v[2:3], 4, v[4:5]
	v_mov_b32_e32 v34, s9
	v_ashrrev_i32_e32 v41, 31, v40
	v_add_co_u32_e32 v4, vcc, s8, v2
	v_addc_co_u32_e32 v5, vcc, v34, v3, vcc
	global_load_dwordx4 v[34:37], v[4:5], off
	v_lshlrev_b64 v[2:3], 4, v[40:41]
	v_add_co_u32_e32 v2, vcc, s8, v2
	v_addc_co_u32_e32 v3, vcc, v1, v3, vcc
	v_accvgpr_write_b32 a15, v3
	v_accvgpr_write_b32 a14, v2
	global_load_dwordx4 v[68:71], v[2:3], off
	v_add_u32_e32 v2, s7, v40
	v_accvgpr_write_b32 a13, v5
	v_ashrrev_i32_e32 v3, 31, v2
	v_accvgpr_write_b32 a12, v4
	v_lshlrev_b64 v[4:5], 4, v[2:3]
	v_add_co_u32_e32 v4, vcc, s8, v4
	v_add_u32_e32 v40, s7, v2
	v_addc_co_u32_e32 v5, vcc, v1, v5, vcc
	v_ashrrev_i32_e32 v41, 31, v40
	v_lshlrev_b64 v[2:3], 4, v[40:41]
	global_load_dwordx4 v[72:75], v[4:5], off
	v_add_co_u32_e32 v2, vcc, s8, v2
	v_addc_co_u32_e32 v3, vcc, v1, v3, vcc
	v_accvgpr_write_b32 a17, v5
	v_accvgpr_write_b32 a19, v3
	;; [unrolled: 1-line block ×4, first 2 shown]
	global_load_dwordx4 v[2:5], v[2:3], off
	s_waitcnt vmcnt(10)
	buffer_store_dword v9, off, s[0:3], 0 offset:12
	buffer_store_dword v8, off, s[0:3], 0 offset:8
	;; [unrolled: 1-line block ×3, first 2 shown]
	buffer_store_dword v6, off, s[0:3], 0
	s_waitcnt vmcnt(12)
	buffer_store_dword v13, off, s[0:3], 0 offset:28
	buffer_store_dword v12, off, s[0:3], 0 offset:24
	;; [unrolled: 1-line block ×8, first 2 shown]
	s_waitcnt vmcnt(17)
	buffer_store_dword v21, off, s[0:3], 0 offset:60
	buffer_store_dword v20, off, s[0:3], 0 offset:56
	;; [unrolled: 1-line block ×4, first 2 shown]
	v_add_u32_e32 v6, s7, v40
	v_ashrrev_i32_e32 v7, 31, v6
	v_lshlrev_b64 v[8:9], 4, v[6:7]
	v_add_u32_e32 v14, s7, v6
	v_add_co_u32_e32 v8, vcc, s8, v8
	v_ashrrev_i32_e32 v15, 31, v14
	v_addc_co_u32_e32 v9, vcc, v1, v9, vcc
	v_lshlrev_b64 v[6:7], 4, v[14:15]
	buffer_store_dword v25, off, s[0:3], 0 offset:76
	buffer_store_dword v24, off, s[0:3], 0 offset:72
	;; [unrolled: 1-line block ×8, first 2 shown]
	v_add_co_u32_e32 v10, vcc, s8, v6
	v_accvgpr_write_b32 a21, v9
	v_addc_co_u32_e32 v11, vcc, v1, v7, vcc
	v_accvgpr_write_b32 a20, v8
	global_load_dwordx4 v[6:9], v[8:9], off
	v_add_u32_e32 v14, s7, v14
	v_ashrrev_i32_e32 v15, 31, v14
	v_accvgpr_write_b32 a23, v11
	v_lshlrev_b64 v[16:17], 4, v[14:15]
	v_add_u32_e32 v22, s7, v14
	v_accvgpr_write_b32 a22, v10
	global_load_dwordx4 v[10:13], v[10:11], off
	v_add_co_u32_e32 v16, vcc, s8, v16
	v_ashrrev_i32_e32 v23, 31, v22
	v_addc_co_u32_e32 v17, vcc, v1, v17, vcc
	v_lshlrev_b64 v[14:15], 4, v[22:23]
	v_add_u32_e32 v22, s7, v22
	v_add_co_u32_e32 v18, vcc, s8, v14
	v_ashrrev_i32_e32 v23, 31, v22
	s_waitcnt vmcnt(30)
	buffer_store_dword v33, off, s[0:3], 0 offset:108
	buffer_store_dword v32, off, s[0:3], 0 offset:104
	buffer_store_dword v31, off, s[0:3], 0 offset:100
	buffer_store_dword v30, off, s[0:3], 0 offset:96
	s_waitcnt vmcnt(33)
	buffer_store_dword v37, off, s[0:3], 0 offset:124
	buffer_store_dword v36, off, s[0:3], 0 offset:120
	buffer_store_dword v35, off, s[0:3], 0 offset:116
	buffer_store_dword v34, off, s[0:3], 0 offset:112
	;; [unrolled: 5-line block ×4, first 2 shown]
	s_waitcnt vmcnt(42)
	buffer_store_dword v2, off, s[0:3], 0 offset:160
	v_addc_co_u32_e32 v19, vcc, v1, v15, vcc
	v_accvgpr_write_b32 a25, v17
	v_lshlrev_b64 v[24:25], 4, v[22:23]
	v_add_u32_e32 v30, s7, v22
	v_accvgpr_write_b32 a24, v16
	global_load_dwordx4 v[14:17], v[16:17], off
	v_add_co_u32_e32 v24, vcc, s8, v24
	v_ashrrev_i32_e32 v31, 31, v30
	v_addc_co_u32_e32 v25, vcc, v1, v25, vcc
	v_lshlrev_b64 v[22:23], 4, v[30:31]
	v_add_u32_e32 v30, s7, v30
	v_add_co_u32_e32 v26, vcc, s8, v22
	v_ashrrev_i32_e32 v31, 31, v30
	v_accvgpr_write_b32 a27, v19
	v_addc_co_u32_e32 v27, vcc, v1, v23, vcc
	v_lshlrev_b64 v[32:33], 4, v[30:31]
	v_add_u32_e32 v40, s7, v30
	v_accvgpr_write_b32 a26, v18
	global_load_dwordx4 v[18:21], v[18:19], off
	v_add_co_u32_e32 v32, vcc, s8, v32
	v_ashrrev_i32_e32 v41, 31, v40
	v_addc_co_u32_e32 v33, vcc, v1, v33, vcc
	v_lshlrev_b64 v[30:31], 4, v[40:41]
	v_add_u32_e32 v40, s7, v40
	v_add_co_u32_e32 v34, vcc, s8, v30
	v_ashrrev_i32_e32 v41, 31, v40
	v_accvgpr_write_b32 a29, v25
	v_addc_co_u32_e32 v35, vcc, v1, v31, vcc
	v_lshlrev_b64 v[44:45], 4, v[40:41]
	v_add_u32_e32 v40, s7, v40
	v_accvgpr_write_b32 a28, v24
	global_load_dwordx4 v[22:25], v[24:25], off
	v_add_co_u32_e32 v46, vcc, s8, v44
	v_ashrrev_i32_e32 v41, 31, v40
	v_addc_co_u32_e32 v47, vcc, v1, v45, vcc
	v_lshlrev_b64 v[44:45], 4, v[40:41]
	v_add_co_u32_e32 v44, vcc, s8, v44
	v_add_u32_e32 v40, s7, v40
	v_accvgpr_write_b32 a31, v27
	v_addc_co_u32_e32 v45, vcc, v1, v45, vcc
	v_accvgpr_write_b32 a38, v44
	v_ashrrev_i32_e32 v41, 31, v40
	v_accvgpr_write_b32 a30, v26
	global_load_dwordx4 v[26:29], v[26:27], off
	v_accvgpr_write_b32 a36, v46
	global_load_dwordx4 v[104:107], v[46:47], off
	global_load_dwordx4 v[108:111], v[44:45], off
	v_accvgpr_write_b32 a39, v45
	v_lshlrev_b64 v[44:45], 4, v[40:41]
	v_add_u32_e32 v40, s7, v40
	v_accvgpr_write_b32 a37, v47
	v_add_co_u32_e32 v46, vcc, s8, v44
	v_ashrrev_i32_e32 v41, 31, v40
	v_addc_co_u32_e32 v47, vcc, v1, v45, vcc
	v_lshlrev_b64 v[44:45], 4, v[40:41]
	v_accvgpr_write_b32 a32, v32
	v_add_co_u32_e32 v44, vcc, s8, v44
	v_add_u32_e32 v40, s7, v40
	v_accvgpr_write_b32 a33, v33
	global_load_dwordx4 v[30:33], v[32:33], off
	v_addc_co_u32_e32 v45, vcc, v1, v45, vcc
	v_accvgpr_write_b32 a42, v44
	v_ashrrev_i32_e32 v41, 31, v40
	v_accvgpr_write_b32 a40, v46
	global_load_dwordx4 v[112:115], v[46:47], off
	global_load_dwordx4 v[116:119], v[44:45], off
	v_accvgpr_write_b32 a43, v45
	v_lshlrev_b64 v[44:45], 4, v[40:41]
	v_add_u32_e32 v40, s7, v40
	v_accvgpr_write_b32 a41, v47
	v_add_co_u32_e32 v46, vcc, s8, v44
	v_ashrrev_i32_e32 v41, 31, v40
	v_accvgpr_write_b32 a34, v34
	v_addc_co_u32_e32 v47, vcc, v1, v45, vcc
	v_lshlrev_b64 v[44:45], 4, v[40:41]
	v_accvgpr_write_b32 a35, v35
	global_load_dwordx4 v[34:37], v[34:35], off
	v_add_co_u32_e32 v44, vcc, s8, v44
	v_addc_co_u32_e32 v45, vcc, v1, v45, vcc
	v_add_u32_e32 v40, s7, v40
	v_accvgpr_write_b32 a47, v45
	v_ashrrev_i32_e32 v41, 31, v40
	v_accvgpr_write_b32 a44, v46
	global_load_dwordx4 v[120:123], v[46:47], off
	global_load_dwordx4 v[124:127], v[44:45], off
	v_accvgpr_write_b32 a46, v44
	v_lshlrev_b64 v[44:45], 4, v[40:41]
	v_add_u32_e32 v40, s7, v40
	v_accvgpr_write_b32 a45, v47
	v_add_co_u32_e32 v46, vcc, s8, v44
	v_ashrrev_i32_e32 v41, 31, v40
	v_addc_co_u32_e32 v47, vcc, v1, v45, vcc
	v_lshlrev_b64 v[44:45], 4, v[40:41]
	v_add_co_u32_e32 v44, vcc, s8, v44
	v_addc_co_u32_e32 v45, vcc, v1, v45, vcc
	v_add_u32_e32 v40, s7, v40
	v_accvgpr_write_b32 a51, v45
	v_ashrrev_i32_e32 v41, 31, v40
	v_accvgpr_write_b32 a49, v47
	global_load_dwordx4 v[128:131], v[46:47], off
	global_load_dwordx4 v[132:135], v[44:45], off
	v_accvgpr_write_b32 a50, v44
	v_lshlrev_b64 v[44:45], 4, v[40:41]
	v_add_u32_e32 v40, s7, v40
	v_accvgpr_write_b32 a48, v46
	v_add_co_u32_e32 v46, vcc, s8, v44
	v_ashrrev_i32_e32 v41, 31, v40
	v_addc_co_u32_e32 v47, vcc, v1, v45, vcc
	v_lshlrev_b64 v[44:45], 4, v[40:41]
	v_add_co_u32_e32 v44, vcc, s8, v44
	v_addc_co_u32_e32 v45, vcc, v1, v45, vcc
	v_add_u32_e32 v40, s7, v40
	v_accvgpr_write_b32 a55, v45
	v_ashrrev_i32_e32 v41, 31, v40
	global_load_dwordx4 v[136:139], v[46:47], off
	global_load_dwordx4 v[140:143], v[44:45], off
	v_accvgpr_write_b32 a54, v44
	v_lshlrev_b64 v[44:45], 4, v[40:41]
	v_add_u32_e32 v40, s7, v40
	v_add_co_u32_e32 v100, vcc, s8, v44
	v_ashrrev_i32_e32 v41, 31, v40
	v_addc_co_u32_e32 v101, vcc, v1, v45, vcc
	v_lshlrev_b64 v[40:41], 4, v[40:41]
	v_add_co_u32_e32 v102, vcc, s8, v40
	v_addc_co_u32_e32 v103, vcc, v1, v41, vcc
	v_mov_b32_e32 v1, 0
	v_add_u32_e32 v2, 16, v1
	v_accvgpr_write_b32 a83, v2
	v_add_u32_e32 v2, 48, v1
	v_accvgpr_write_b32 a84, v2
	;; [unrolled: 2-line block ×23, first 2 shown]
	v_add_u32_e32 v2, 0x190, v1
	global_load_dwordx4 v[144:147], v[100:101], off
	global_load_dwordx4 v[148:151], v[102:103], off
	v_accvgpr_write_b32 a61, v2
	v_add_u32_e32 v2, 0x1a0, v1
	v_accvgpr_write_b32 a60, v2
	v_add_u32_e32 v2, 0x1b0, v1
	v_accvgpr_write_b32 a59, v2
	v_add_u32_e32 v2, 0x1c0, v1
	v_accvgpr_write_b32 a53, v47
	v_add_u32_e32 v242, 32, v1
	v_accvgpr_write_b32 a58, v2
	v_add_u32_e32 v2, 0x1d0, v1
	v_add_u32_e32 v1, 0x1e0, v1
	v_accvgpr_write_b32 a52, v46
	v_accvgpr_write_b32 a57, v2
	;; [unrolled: 1-line block ×3, first 2 shown]
	s_bitcmp0_b32 s20, 0
	s_mov_b64 s[8:9], -1
	buffer_store_dword v3, off, s[0:3], 0 offset:164
	buffer_store_dword v4, off, s[0:3], 0 offset:168
	buffer_store_dword v5, off, s[0:3], 0 offset:172
	s_waitcnt vmcnt(39)
	buffer_store_dword v6, off, s[0:3], 0 offset:176
	buffer_store_dword v7, off, s[0:3], 0 offset:180
	buffer_store_dword v8, off, s[0:3], 0 offset:184
	buffer_store_dword v9, off, s[0:3], 0 offset:188
	s_waitcnt vmcnt(42)
	buffer_store_dword v13, off, s[0:3], 0 offset:204
	;; [unrolled: 5-line block ×8, first 2 shown]
	buffer_store_dword v36, off, s[0:3], 0 offset:296
	buffer_store_dword v35, off, s[0:3], 0 offset:292
	;; [unrolled: 1-line block ×19, first 2 shown]
	s_waitcnt vmcnt(58)
	buffer_store_dword v123, off, s[0:3], 0 offset:380
	buffer_store_dword v122, off, s[0:3], 0 offset:376
	buffer_store_dword v121, off, s[0:3], 0 offset:372
	buffer_store_dword v120, off, s[0:3], 0 offset:368
	s_waitcnt vmcnt(61)
	buffer_store_dword v127, off, s[0:3], 0 offset:396
	buffer_store_dword v126, off, s[0:3], 0 offset:392
	buffer_store_dword v125, off, s[0:3], 0 offset:388
	buffer_store_dword v124, off, s[0:3], 0 offset:384
	;; [unrolled: 5-line block ×3, first 2 shown]
	buffer_store_dword v135, off, s[0:3], 0 offset:428
	buffer_store_dword v134, off, s[0:3], 0 offset:424
	;; [unrolled: 1-line block ×8, first 2 shown]
	s_waitcnt vmcnt(62)
	buffer_store_dword v143, off, s[0:3], 0 offset:460
	buffer_store_dword v142, off, s[0:3], 0 offset:456
	;; [unrolled: 1-line block ×12, first 2 shown]
	s_cbranch_scc1 .LBB94_136
; %bb.4:
	v_cmp_eq_u32_e64 s[6:7], 0, v243
	s_and_saveexec_b64 s[8:9], s[6:7]
	s_cbranch_execz .LBB94_6
; %bb.5:
	v_mov_b32_e32 v1, 0
	ds_write_b32 v1, v1 offset:992
.LBB94_6:
	s_or_b64 exec, exec, s[8:9]
	v_mov_b32_e32 v1, 0
	v_lshl_add_u32 v12, v243, 4, v1
	s_waitcnt lgkmcnt(0)
	; wave barrier
	s_waitcnt lgkmcnt(0)
	buffer_load_dword v2, v12, s[0:3], 0 offen
	buffer_load_dword v3, v12, s[0:3], 0 offen offset:4
	buffer_load_dword v4, v12, s[0:3], 0 offen offset:8
	;; [unrolled: 1-line block ×3, first 2 shown]
	s_waitcnt vmcnt(2)
	v_cmp_eq_f64_e32 vcc, 0, v[2:3]
	s_waitcnt vmcnt(0)
	v_cmp_eq_f64_e64 s[8:9], 0, v[4:5]
	s_and_b64 s[8:9], vcc, s[8:9]
	s_and_saveexec_b64 s[12:13], s[8:9]
	s_cbranch_execz .LBB94_10
; %bb.7:
	v_mov_b32_e32 v2, 0
	ds_read_b32 v1, v2 offset:992
	v_add_u32_e32 v3, 1, v243
	s_waitcnt lgkmcnt(0)
	v_readfirstlane_b32 s8, v1
	s_cmp_eq_u32 s8, 0
	s_cselect_b64 s[20:21], -1, 0
	v_cmp_gt_i32_e32 vcc, s8, v3
	s_or_b64 s[20:21], s[20:21], vcc
	s_and_b64 exec, exec, s[20:21]
	s_cbranch_execz .LBB94_10
; %bb.8:
	s_mov_b64 s[20:21], 0
	v_mov_b32_e32 v4, s8
.LBB94_9:                               ; =>This Inner Loop Header: Depth=1
	ds_cmpst_rtn_b32 v4, v2, v4, v3 offset:992
	s_waitcnt lgkmcnt(0)
	v_cmp_ne_u32_e32 vcc, 0, v4
	v_cmp_le_i32_e64 s[8:9], v4, v3
	s_and_b64 s[8:9], vcc, s[8:9]
	s_and_b64 s[8:9], exec, s[8:9]
	s_or_b64 s[20:21], s[8:9], s[20:21]
	s_andn2_b64 exec, exec, s[20:21]
	s_cbranch_execnz .LBB94_9
.LBB94_10:
	s_or_b64 exec, exec, s[12:13]
	v_mov_b32_e32 v3, 0
	s_waitcnt lgkmcnt(0)
	; wave barrier
	ds_read_b32 v2, v3 offset:992
	s_and_saveexec_b64 s[8:9], s[6:7]
	s_cbranch_execz .LBB94_12
; %bb.11:
	s_lshl_b64 s[12:13], s[10:11], 2
	s_add_u32 s12, s14, s12
	s_addc_u32 s13, s15, s13
	s_waitcnt lgkmcnt(0)
	global_store_dword v3, v2, s[12:13]
.LBB94_12:
	s_or_b64 exec, exec, s[8:9]
	s_waitcnt lgkmcnt(0)
	v_cmp_ne_u32_e32 vcc, 0, v2
	s_mov_b64 s[8:9], 0
	s_cbranch_vccnz .LBB94_136
; %bb.13:
	buffer_load_dword v7, v12, s[0:3], 0 offen offset:4
	buffer_load_dword v6, v12, s[0:3], 0 offen
	buffer_load_dword v9, v12, s[0:3], 0 offen offset:12
	buffer_load_dword v8, v12, s[0:3], 0 offen offset:8
                                        ; implicit-def: $vgpr10_vgpr11
	s_waitcnt vmcnt(3)
	v_xor_b32_e32 v1, 0x80000000, v7
	s_waitcnt vmcnt(2)
	v_cmp_gt_f64_e32 vcc, 0, v[6:7]
	s_waitcnt vmcnt(1)
	v_xor_b32_e32 v4, 0x80000000, v9
	v_cndmask_b32_e32 v3, v7, v1, vcc
	s_waitcnt vmcnt(0)
	v_cmp_gt_f64_e32 vcc, 0, v[8:9]
	v_mov_b32_e32 v2, v6
	v_cndmask_b32_e32 v5, v9, v4, vcc
	v_mov_b32_e32 v4, v8
	v_cmp_ngt_f64_e32 vcc, v[2:3], v[4:5]
                                        ; implicit-def: $vgpr4_vgpr5
	s_and_saveexec_b64 s[8:9], vcc
	s_xor_b64 s[8:9], exec, s[8:9]
	s_cbranch_execz .LBB94_15
; %bb.14:
	v_div_scale_f64 v[2:3], s[12:13], v[8:9], v[8:9], v[6:7]
	v_rcp_f64_e32 v[4:5], v[2:3]
	v_div_scale_f64 v[10:11], vcc, v[6:7], v[8:9], v[6:7]
	v_fma_f64 v[14:15], -v[2:3], v[4:5], 1.0
	v_fmac_f64_e32 v[4:5], v[4:5], v[14:15]
	v_fma_f64 v[14:15], -v[2:3], v[4:5], 1.0
	v_fmac_f64_e32 v[4:5], v[4:5], v[14:15]
	v_mul_f64 v[14:15], v[10:11], v[4:5]
	v_fma_f64 v[2:3], -v[2:3], v[14:15], v[10:11]
	v_div_fmas_f64 v[2:3], v[2:3], v[4:5], v[14:15]
	v_div_fixup_f64 v[2:3], v[2:3], v[8:9], v[6:7]
	v_fmac_f64_e32 v[8:9], v[6:7], v[2:3]
	v_div_scale_f64 v[4:5], s[12:13], v[8:9], v[8:9], 1.0
	v_rcp_f64_e32 v[6:7], v[4:5]
	v_fma_f64 v[10:11], -v[4:5], v[6:7], 1.0
	v_fmac_f64_e32 v[6:7], v[6:7], v[10:11]
	v_fma_f64 v[10:11], -v[4:5], v[6:7], 1.0
	v_fmac_f64_e32 v[6:7], v[6:7], v[10:11]
	v_div_scale_f64 v[10:11], vcc, 1.0, v[8:9], 1.0
	v_mul_f64 v[14:15], v[10:11], v[6:7]
	v_fma_f64 v[4:5], -v[4:5], v[14:15], v[10:11]
	s_nop 1
	v_div_fmas_f64 v[4:5], v[4:5], v[6:7], v[14:15]
	v_div_fixup_f64 v[4:5], v[4:5], v[8:9], 1.0
	v_mul_f64 v[10:11], v[2:3], v[4:5]
	v_xor_b32_e32 v5, 0x80000000, v5
	v_xor_b32_e32 v3, 0x80000000, v11
	v_mov_b32_e32 v2, v10
                                        ; implicit-def: $vgpr6_vgpr7
                                        ; implicit-def: $vgpr8_vgpr9
.LBB94_15:
	s_andn2_saveexec_b64 s[8:9], s[8:9]
	s_cbranch_execz .LBB94_17
; %bb.16:
	v_div_scale_f64 v[2:3], s[12:13], v[6:7], v[6:7], v[8:9]
	v_rcp_f64_e32 v[4:5], v[2:3]
	v_div_scale_f64 v[10:11], vcc, v[8:9], v[6:7], v[8:9]
	v_fma_f64 v[14:15], -v[2:3], v[4:5], 1.0
	v_fmac_f64_e32 v[4:5], v[4:5], v[14:15]
	v_fma_f64 v[14:15], -v[2:3], v[4:5], 1.0
	v_fmac_f64_e32 v[4:5], v[4:5], v[14:15]
	v_mul_f64 v[14:15], v[10:11], v[4:5]
	v_fma_f64 v[2:3], -v[2:3], v[14:15], v[10:11]
	v_div_fmas_f64 v[2:3], v[2:3], v[4:5], v[14:15]
	v_div_fixup_f64 v[4:5], v[2:3], v[6:7], v[8:9]
	v_fmac_f64_e32 v[6:7], v[8:9], v[4:5]
	v_div_scale_f64 v[2:3], s[12:13], v[6:7], v[6:7], 1.0
	v_rcp_f64_e32 v[8:9], v[2:3]
	v_fma_f64 v[10:11], -v[2:3], v[8:9], 1.0
	v_fmac_f64_e32 v[8:9], v[8:9], v[10:11]
	v_fma_f64 v[10:11], -v[2:3], v[8:9], 1.0
	v_fmac_f64_e32 v[8:9], v[8:9], v[10:11]
	v_div_scale_f64 v[10:11], vcc, 1.0, v[6:7], 1.0
	v_mul_f64 v[14:15], v[10:11], v[8:9]
	v_fma_f64 v[2:3], -v[2:3], v[14:15], v[10:11]
	s_nop 1
	v_div_fmas_f64 v[2:3], v[2:3], v[8:9], v[14:15]
	v_div_fixup_f64 v[10:11], v[2:3], v[6:7], 1.0
	v_xor_b32_e32 v3, 0x80000000, v11
	v_mov_b32_e32 v2, v10
	v_mul_f64 v[4:5], v[4:5], -v[10:11]
.LBB94_17:
	s_or_b64 exec, exec, s[8:9]
	buffer_store_dword v11, v12, s[0:3], 0 offen offset:4
	buffer_store_dword v10, v12, s[0:3], 0 offen
	buffer_store_dword v5, v12, s[0:3], 0 offen offset:12
	buffer_store_dword v4, v12, s[0:3], 0 offen offset:8
	v_accvgpr_read_b32 v1, a83
	buffer_load_dword v11, v1, s[0:3], 0 offen offset:12
	buffer_load_dword v10, v1, s[0:3], 0 offen offset:8
	;; [unrolled: 1-line block ×3, first 2 shown]
	buffer_load_dword v8, v1, s[0:3], 0 offen
	v_xor_b32_e32 v5, 0x80000000, v5
	v_add_u32_e32 v6, 0x1f0, v38
	ds_write_b128 v38, v[2:5]
	s_waitcnt vmcnt(0)
	ds_write_b128 v38, v[8:11] offset:496
	s_waitcnt lgkmcnt(0)
	; wave barrier
	s_waitcnt lgkmcnt(0)
	s_and_saveexec_b64 s[8:9], s[6:7]
	s_cbranch_execz .LBB94_19
; %bb.18:
	buffer_load_dword v14, v12, s[0:3], 0 offen offset:8
	buffer_load_dword v15, v12, s[0:3], 0 offen offset:12
	buffer_load_dword v16, v12, s[0:3], 0 offen
	buffer_load_dword v17, v12, s[0:3], 0 offen offset:4
	ds_read_b128 v[2:5], v6
	v_mov_b32_e32 v1, 0
	ds_read_b128 v[8:11], v1 offset:16
	s_waitcnt vmcnt(2) lgkmcnt(1)
	v_mul_f64 v[18:19], v[4:5], v[14:15]
	v_mul_f64 v[14:15], v[2:3], v[14:15]
	s_waitcnt vmcnt(0)
	v_fmac_f64_e32 v[14:15], v[4:5], v[16:17]
	v_fma_f64 v[2:3], v[2:3], v[16:17], -v[18:19]
	v_add_f64 v[4:5], v[14:15], 0
	v_add_f64 v[2:3], v[2:3], 0
	s_waitcnt lgkmcnt(0)
	v_mul_f64 v[14:15], v[4:5], v[10:11]
	v_mul_f64 v[10:11], v[2:3], v[10:11]
	v_fma_f64 v[2:3], v[2:3], v[8:9], -v[14:15]
	v_fmac_f64_e32 v[10:11], v[4:5], v[8:9]
	buffer_store_dword v2, off, s[0:3], 0 offset:16
	buffer_store_dword v3, off, s[0:3], 0 offset:20
	;; [unrolled: 1-line block ×4, first 2 shown]
.LBB94_19:
	s_or_b64 exec, exec, s[8:9]
	s_waitcnt lgkmcnt(0)
	; wave barrier
	buffer_load_dword v2, v242, s[0:3], 0 offen
	buffer_load_dword v3, v242, s[0:3], 0 offen offset:4
	buffer_load_dword v4, v242, s[0:3], 0 offen offset:8
	;; [unrolled: 1-line block ×3, first 2 shown]
	v_cmp_gt_u32_e32 vcc, 2, v243
	s_waitcnt vmcnt(0)
	ds_write_b128 v6, v[2:5]
	s_waitcnt lgkmcnt(0)
	; wave barrier
	s_waitcnt lgkmcnt(0)
	s_and_saveexec_b64 s[8:9], vcc
	s_cbranch_execz .LBB94_23
; %bb.20:
	buffer_load_dword v8, v12, s[0:3], 0 offen offset:8
	buffer_load_dword v9, v12, s[0:3], 0 offen offset:12
	buffer_load_dword v10, v12, s[0:3], 0 offen
	buffer_load_dword v11, v12, s[0:3], 0 offen offset:4
	ds_read_b128 v[2:5], v6
	s_waitcnt vmcnt(2) lgkmcnt(0)
	v_mul_f64 v[12:13], v[4:5], v[8:9]
	v_mul_f64 v[8:9], v[2:3], v[8:9]
	s_waitcnt vmcnt(0)
	v_fma_f64 v[2:3], v[2:3], v[10:11], -v[12:13]
	v_fmac_f64_e32 v[8:9], v[4:5], v[10:11]
	v_add_f64 v[4:5], v[2:3], 0
	v_add_f64 v[2:3], v[8:9], 0
	s_and_saveexec_b64 s[12:13], s[6:7]
	s_cbranch_execz .LBB94_22
; %bb.21:
	buffer_load_dword v12, off, s[0:3], 0 offset:24
	buffer_load_dword v13, off, s[0:3], 0 offset:28
	buffer_load_dword v14, off, s[0:3], 0 offset:16
	buffer_load_dword v15, off, s[0:3], 0 offset:20
	v_mov_b32_e32 v1, 0
	ds_read_b128 v[8:11], v1 offset:512
	s_waitcnt vmcnt(2) lgkmcnt(0)
	v_mul_f64 v[16:17], v[8:9], v[12:13]
	v_mul_f64 v[12:13], v[10:11], v[12:13]
	s_waitcnt vmcnt(0)
	v_fmac_f64_e32 v[16:17], v[10:11], v[14:15]
	v_fma_f64 v[8:9], v[8:9], v[14:15], -v[12:13]
	v_add_f64 v[2:3], v[2:3], v[16:17]
	v_add_f64 v[4:5], v[4:5], v[8:9]
.LBB94_22:
	s_or_b64 exec, exec, s[12:13]
	v_mov_b32_e32 v1, 0
	ds_read_b128 v[8:11], v1 offset:32
	s_waitcnt lgkmcnt(0)
	v_mul_f64 v[12:13], v[2:3], v[10:11]
	v_mul_f64 v[10:11], v[4:5], v[10:11]
	v_fma_f64 v[4:5], v[4:5], v[8:9], -v[12:13]
	v_fmac_f64_e32 v[10:11], v[2:3], v[8:9]
	buffer_store_dword v5, off, s[0:3], 0 offset:36
	buffer_store_dword v4, off, s[0:3], 0 offset:32
	;; [unrolled: 1-line block ×4, first 2 shown]
.LBB94_23:
	s_or_b64 exec, exec, s[8:9]
	v_accvgpr_read_b32 v1, a84
	s_waitcnt lgkmcnt(0)
	; wave barrier
	buffer_load_dword v2, v1, s[0:3], 0 offen
	buffer_load_dword v3, v1, s[0:3], 0 offen offset:4
	buffer_load_dword v4, v1, s[0:3], 0 offen offset:8
	;; [unrolled: 1-line block ×3, first 2 shown]
	v_cmp_gt_u32_e32 vcc, 3, v243
	v_add_u32_e32 v7, -1, v243
	s_waitcnt vmcnt(0)
	ds_write_b128 v6, v[2:5]
	s_waitcnt lgkmcnt(0)
	; wave barrier
	s_waitcnt lgkmcnt(0)
	s_and_saveexec_b64 s[6:7], vcc
	s_cbranch_execz .LBB94_27
; %bb.24:
	v_pk_mov_b32 v[2:3], 0, 0
	v_add_u32_e32 v8, -1, v243
	v_add_u32_e32 v9, 0x1f0, v38
	v_add_u32_e32 v10, 0, v38
	s_mov_b64 s[8:9], 0
	v_pk_mov_b32 v[4:5], v[2:3], v[2:3] op_sel:[0,1]
.LBB94_25:                              ; =>This Inner Loop Header: Depth=1
	buffer_load_dword v16, v10, s[0:3], 0 offen offset:8
	buffer_load_dword v17, v10, s[0:3], 0 offen offset:12
	buffer_load_dword v18, v10, s[0:3], 0 offen
	buffer_load_dword v19, v10, s[0:3], 0 offen offset:4
	ds_read_b128 v[12:15], v9
	v_add_u32_e32 v8, 1, v8
	v_cmp_lt_u32_e32 vcc, 1, v8
	v_add_u32_e32 v9, 16, v9
	v_add_u32_e32 v10, 16, v10
	s_or_b64 s[8:9], vcc, s[8:9]
	s_waitcnt vmcnt(2) lgkmcnt(0)
	v_mul_f64 v[20:21], v[14:15], v[16:17]
	v_mul_f64 v[16:17], v[12:13], v[16:17]
	s_waitcnt vmcnt(0)
	v_fma_f64 v[12:13], v[12:13], v[18:19], -v[20:21]
	v_fmac_f64_e32 v[16:17], v[14:15], v[18:19]
	v_add_f64 v[4:5], v[4:5], v[12:13]
	v_add_f64 v[2:3], v[2:3], v[16:17]
	s_andn2_b64 exec, exec, s[8:9]
	s_cbranch_execnz .LBB94_25
; %bb.26:
	s_or_b64 exec, exec, s[8:9]
	v_mov_b32_e32 v1, 0
	ds_read_b128 v[8:11], v1 offset:48
	s_waitcnt lgkmcnt(0)
	v_mul_f64 v[12:13], v[2:3], v[10:11]
	v_mul_f64 v[10:11], v[4:5], v[10:11]
	v_fma_f64 v[4:5], v[4:5], v[8:9], -v[12:13]
	v_fmac_f64_e32 v[10:11], v[2:3], v[8:9]
	buffer_store_dword v5, off, s[0:3], 0 offset:52
	buffer_store_dword v4, off, s[0:3], 0 offset:48
	buffer_store_dword v11, off, s[0:3], 0 offset:60
	buffer_store_dword v10, off, s[0:3], 0 offset:56
.LBB94_27:
	s_or_b64 exec, exec, s[6:7]
	v_accvgpr_read_b32 v1, a79
	s_waitcnt lgkmcnt(0)
	; wave barrier
	buffer_load_dword v2, v1, s[0:3], 0 offen
	buffer_load_dword v3, v1, s[0:3], 0 offen offset:4
	buffer_load_dword v4, v1, s[0:3], 0 offen offset:8
	buffer_load_dword v5, v1, s[0:3], 0 offen offset:12
	v_cmp_gt_u32_e32 vcc, 4, v243
	s_waitcnt vmcnt(0)
	ds_write_b128 v6, v[2:5]
	s_waitcnt lgkmcnt(0)
	; wave barrier
	s_waitcnt lgkmcnt(0)
	s_and_saveexec_b64 s[6:7], vcc
	s_cbranch_execz .LBB94_31
; %bb.28:
	v_pk_mov_b32 v[2:3], 0, 0
	v_add_u32_e32 v8, -1, v243
	v_add_u32_e32 v9, 0x1f0, v38
	v_add_u32_e32 v10, 0, v38
	s_mov_b64 s[8:9], 0
	v_pk_mov_b32 v[4:5], v[2:3], v[2:3] op_sel:[0,1]
.LBB94_29:                              ; =>This Inner Loop Header: Depth=1
	buffer_load_dword v16, v10, s[0:3], 0 offen offset:8
	buffer_load_dword v17, v10, s[0:3], 0 offen offset:12
	buffer_load_dword v18, v10, s[0:3], 0 offen
	buffer_load_dword v19, v10, s[0:3], 0 offen offset:4
	ds_read_b128 v[12:15], v9
	v_add_u32_e32 v8, 1, v8
	v_cmp_lt_u32_e32 vcc, 2, v8
	v_add_u32_e32 v9, 16, v9
	v_add_u32_e32 v10, 16, v10
	s_or_b64 s[8:9], vcc, s[8:9]
	s_waitcnt vmcnt(2) lgkmcnt(0)
	v_mul_f64 v[20:21], v[14:15], v[16:17]
	v_mul_f64 v[16:17], v[12:13], v[16:17]
	s_waitcnt vmcnt(0)
	v_fma_f64 v[12:13], v[12:13], v[18:19], -v[20:21]
	v_fmac_f64_e32 v[16:17], v[14:15], v[18:19]
	v_add_f64 v[4:5], v[4:5], v[12:13]
	v_add_f64 v[2:3], v[2:3], v[16:17]
	s_andn2_b64 exec, exec, s[8:9]
	s_cbranch_execnz .LBB94_29
; %bb.30:
	s_or_b64 exec, exec, s[8:9]
	v_mov_b32_e32 v1, 0
	ds_read_b128 v[8:11], v1 offset:64
	s_waitcnt lgkmcnt(0)
	v_mul_f64 v[12:13], v[2:3], v[10:11]
	v_mul_f64 v[10:11], v[4:5], v[10:11]
	v_fma_f64 v[4:5], v[4:5], v[8:9], -v[12:13]
	v_fmac_f64_e32 v[10:11], v[2:3], v[8:9]
	buffer_store_dword v5, off, s[0:3], 0 offset:68
	buffer_store_dword v4, off, s[0:3], 0 offset:64
	buffer_store_dword v11, off, s[0:3], 0 offset:76
	buffer_store_dword v10, off, s[0:3], 0 offset:72
.LBB94_31:
	s_or_b64 exec, exec, s[6:7]
	v_accvgpr_read_b32 v1, a81
	s_waitcnt lgkmcnt(0)
	; wave barrier
	buffer_load_dword v2, v1, s[0:3], 0 offen
	buffer_load_dword v3, v1, s[0:3], 0 offen offset:4
	buffer_load_dword v4, v1, s[0:3], 0 offen offset:8
	buffer_load_dword v5, v1, s[0:3], 0 offen offset:12
	v_cmp_gt_u32_e32 vcc, 5, v243
	;; [unrolled: 58-line block ×19, first 2 shown]
	s_waitcnt vmcnt(0)
	ds_write_b128 v6, v[2:5]
	s_waitcnt lgkmcnt(0)
	; wave barrier
	s_waitcnt lgkmcnt(0)
	s_and_saveexec_b64 s[6:7], vcc
	s_cbranch_execz .LBB94_103
; %bb.100:
	v_pk_mov_b32 v[2:3], 0, 0
	v_add_u32_e32 v8, -1, v243
	v_add_u32_e32 v9, 0x1f0, v38
	v_add_u32_e32 v10, 0, v38
	s_mov_b64 s[8:9], 0
	v_pk_mov_b32 v[4:5], v[2:3], v[2:3] op_sel:[0,1]
.LBB94_101:                             ; =>This Inner Loop Header: Depth=1
	buffer_load_dword v16, v10, s[0:3], 0 offen offset:8
	buffer_load_dword v17, v10, s[0:3], 0 offen offset:12
	buffer_load_dword v18, v10, s[0:3], 0 offen
	buffer_load_dword v19, v10, s[0:3], 0 offen offset:4
	ds_read_b128 v[12:15], v9
	v_add_u32_e32 v8, 1, v8
	v_cmp_lt_u32_e32 vcc, 20, v8
	v_add_u32_e32 v9, 16, v9
	v_add_u32_e32 v10, 16, v10
	s_or_b64 s[8:9], vcc, s[8:9]
	s_waitcnt vmcnt(2) lgkmcnt(0)
	v_mul_f64 v[20:21], v[14:15], v[16:17]
	v_mul_f64 v[16:17], v[12:13], v[16:17]
	s_waitcnt vmcnt(0)
	v_fma_f64 v[12:13], v[12:13], v[18:19], -v[20:21]
	v_fmac_f64_e32 v[16:17], v[14:15], v[18:19]
	v_add_f64 v[4:5], v[4:5], v[12:13]
	v_add_f64 v[2:3], v[2:3], v[16:17]
	s_andn2_b64 exec, exec, s[8:9]
	s_cbranch_execnz .LBB94_101
; %bb.102:
	s_or_b64 exec, exec, s[8:9]
	v_mov_b32_e32 v1, 0
	ds_read_b128 v[8:11], v1 offset:352
	s_waitcnt lgkmcnt(0)
	v_mul_f64 v[12:13], v[2:3], v[10:11]
	v_mul_f64 v[10:11], v[4:5], v[10:11]
	v_fma_f64 v[4:5], v[4:5], v[8:9], -v[12:13]
	v_fmac_f64_e32 v[10:11], v[2:3], v[8:9]
	buffer_store_dword v5, off, s[0:3], 0 offset:356
	buffer_store_dword v4, off, s[0:3], 0 offset:352
	buffer_store_dword v11, off, s[0:3], 0 offset:364
	buffer_store_dword v10, off, s[0:3], 0 offset:360
.LBB94_103:
	s_or_b64 exec, exec, s[6:7]
	v_accvgpr_read_b32 v1, a63
	s_waitcnt lgkmcnt(0)
	; wave barrier
	buffer_load_dword v2, v1, s[0:3], 0 offen
	buffer_load_dword v3, v1, s[0:3], 0 offen offset:4
	buffer_load_dword v4, v1, s[0:3], 0 offen offset:8
	buffer_load_dword v5, v1, s[0:3], 0 offen offset:12
	v_cmp_gt_u32_e32 vcc, 23, v243
	s_waitcnt vmcnt(0)
	ds_write_b128 v6, v[2:5]
	s_waitcnt lgkmcnt(0)
	; wave barrier
	s_waitcnt lgkmcnt(0)
	s_and_saveexec_b64 s[6:7], vcc
	s_cbranch_execz .LBB94_107
; %bb.104:
	v_pk_mov_b32 v[2:3], 0, 0
	v_add_u32_e32 v8, -1, v243
	v_add_u32_e32 v9, 0x1f0, v38
	v_add_u32_e32 v10, 0, v38
	s_mov_b64 s[8:9], 0
	v_pk_mov_b32 v[4:5], v[2:3], v[2:3] op_sel:[0,1]
.LBB94_105:                             ; =>This Inner Loop Header: Depth=1
	buffer_load_dword v16, v10, s[0:3], 0 offen offset:8
	buffer_load_dword v17, v10, s[0:3], 0 offen offset:12
	buffer_load_dword v18, v10, s[0:3], 0 offen
	buffer_load_dword v19, v10, s[0:3], 0 offen offset:4
	ds_read_b128 v[12:15], v9
	v_add_u32_e32 v8, 1, v8
	v_cmp_lt_u32_e32 vcc, 21, v8
	v_add_u32_e32 v9, 16, v9
	v_add_u32_e32 v10, 16, v10
	s_or_b64 s[8:9], vcc, s[8:9]
	s_waitcnt vmcnt(2) lgkmcnt(0)
	v_mul_f64 v[20:21], v[14:15], v[16:17]
	v_mul_f64 v[16:17], v[12:13], v[16:17]
	s_waitcnt vmcnt(0)
	v_fma_f64 v[12:13], v[12:13], v[18:19], -v[20:21]
	v_fmac_f64_e32 v[16:17], v[14:15], v[18:19]
	v_add_f64 v[4:5], v[4:5], v[12:13]
	v_add_f64 v[2:3], v[2:3], v[16:17]
	s_andn2_b64 exec, exec, s[8:9]
	s_cbranch_execnz .LBB94_105
; %bb.106:
	s_or_b64 exec, exec, s[8:9]
	v_mov_b32_e32 v1, 0
	ds_read_b128 v[8:11], v1 offset:368
	s_waitcnt lgkmcnt(0)
	v_mul_f64 v[12:13], v[2:3], v[10:11]
	v_mul_f64 v[10:11], v[4:5], v[10:11]
	v_fma_f64 v[4:5], v[4:5], v[8:9], -v[12:13]
	v_fmac_f64_e32 v[10:11], v[2:3], v[8:9]
	buffer_store_dword v5, off, s[0:3], 0 offset:372
	buffer_store_dword v4, off, s[0:3], 0 offset:368
	buffer_store_dword v11, off, s[0:3], 0 offset:380
	buffer_store_dword v10, off, s[0:3], 0 offset:376
.LBB94_107:
	s_or_b64 exec, exec, s[6:7]
	v_accvgpr_read_b32 v1, a62
	s_waitcnt lgkmcnt(0)
	; wave barrier
	buffer_load_dword v2, v1, s[0:3], 0 offen
	buffer_load_dword v3, v1, s[0:3], 0 offen offset:4
	buffer_load_dword v4, v1, s[0:3], 0 offen offset:8
	buffer_load_dword v5, v1, s[0:3], 0 offen offset:12
	v_cmp_gt_u32_e32 vcc, 24, v243
	s_waitcnt vmcnt(0)
	ds_write_b128 v6, v[2:5]
	s_waitcnt lgkmcnt(0)
	; wave barrier
	s_waitcnt lgkmcnt(0)
	s_and_saveexec_b64 s[6:7], vcc
	s_cbranch_execz .LBB94_111
; %bb.108:
	v_pk_mov_b32 v[2:3], 0, 0
	v_add_u32_e32 v8, -1, v243
	v_add_u32_e32 v9, 0x1f0, v38
	v_add_u32_e32 v10, 0, v38
	s_mov_b64 s[8:9], 0
	v_pk_mov_b32 v[4:5], v[2:3], v[2:3] op_sel:[0,1]
.LBB94_109:                             ; =>This Inner Loop Header: Depth=1
	buffer_load_dword v16, v10, s[0:3], 0 offen offset:8
	buffer_load_dword v17, v10, s[0:3], 0 offen offset:12
	buffer_load_dword v18, v10, s[0:3], 0 offen
	buffer_load_dword v19, v10, s[0:3], 0 offen offset:4
	ds_read_b128 v[12:15], v9
	v_add_u32_e32 v8, 1, v8
	v_cmp_lt_u32_e32 vcc, 22, v8
	v_add_u32_e32 v9, 16, v9
	v_add_u32_e32 v10, 16, v10
	s_or_b64 s[8:9], vcc, s[8:9]
	s_waitcnt vmcnt(2) lgkmcnt(0)
	v_mul_f64 v[20:21], v[14:15], v[16:17]
	v_mul_f64 v[16:17], v[12:13], v[16:17]
	s_waitcnt vmcnt(0)
	v_fma_f64 v[12:13], v[12:13], v[18:19], -v[20:21]
	v_fmac_f64_e32 v[16:17], v[14:15], v[18:19]
	v_add_f64 v[4:5], v[4:5], v[12:13]
	v_add_f64 v[2:3], v[2:3], v[16:17]
	s_andn2_b64 exec, exec, s[8:9]
	s_cbranch_execnz .LBB94_109
; %bb.110:
	s_or_b64 exec, exec, s[8:9]
	v_mov_b32_e32 v1, 0
	ds_read_b128 v[8:11], v1 offset:384
	s_waitcnt lgkmcnt(0)
	v_mul_f64 v[12:13], v[2:3], v[10:11]
	v_mul_f64 v[10:11], v[4:5], v[10:11]
	v_fma_f64 v[4:5], v[4:5], v[8:9], -v[12:13]
	v_fmac_f64_e32 v[10:11], v[2:3], v[8:9]
	buffer_store_dword v5, off, s[0:3], 0 offset:388
	buffer_store_dword v4, off, s[0:3], 0 offset:384
	buffer_store_dword v11, off, s[0:3], 0 offset:396
	buffer_store_dword v10, off, s[0:3], 0 offset:392
.LBB94_111:
	s_or_b64 exec, exec, s[6:7]
	v_accvgpr_read_b32 v1, a61
	s_waitcnt lgkmcnt(0)
	; wave barrier
	buffer_load_dword v2, v1, s[0:3], 0 offen
	buffer_load_dword v3, v1, s[0:3], 0 offen offset:4
	buffer_load_dword v4, v1, s[0:3], 0 offen offset:8
	buffer_load_dword v5, v1, s[0:3], 0 offen offset:12
	v_cmp_gt_u32_e32 vcc, 25, v243
	s_waitcnt vmcnt(0)
	ds_write_b128 v6, v[2:5]
	s_waitcnt lgkmcnt(0)
	; wave barrier
	s_waitcnt lgkmcnt(0)
	s_and_saveexec_b64 s[6:7], vcc
	s_cbranch_execz .LBB94_115
; %bb.112:
	v_pk_mov_b32 v[2:3], 0, 0
	v_add_u32_e32 v8, -1, v243
	v_add_u32_e32 v9, 0x1f0, v38
	v_add_u32_e32 v10, 0, v38
	s_mov_b64 s[8:9], 0
	v_pk_mov_b32 v[4:5], v[2:3], v[2:3] op_sel:[0,1]
.LBB94_113:                             ; =>This Inner Loop Header: Depth=1
	buffer_load_dword v16, v10, s[0:3], 0 offen offset:8
	buffer_load_dword v17, v10, s[0:3], 0 offen offset:12
	buffer_load_dword v18, v10, s[0:3], 0 offen
	buffer_load_dword v19, v10, s[0:3], 0 offen offset:4
	ds_read_b128 v[12:15], v9
	v_add_u32_e32 v8, 1, v8
	v_cmp_lt_u32_e32 vcc, 23, v8
	v_add_u32_e32 v9, 16, v9
	v_add_u32_e32 v10, 16, v10
	s_or_b64 s[8:9], vcc, s[8:9]
	s_waitcnt vmcnt(2) lgkmcnt(0)
	v_mul_f64 v[20:21], v[14:15], v[16:17]
	v_mul_f64 v[16:17], v[12:13], v[16:17]
	s_waitcnt vmcnt(0)
	v_fma_f64 v[12:13], v[12:13], v[18:19], -v[20:21]
	v_fmac_f64_e32 v[16:17], v[14:15], v[18:19]
	v_add_f64 v[4:5], v[4:5], v[12:13]
	v_add_f64 v[2:3], v[2:3], v[16:17]
	s_andn2_b64 exec, exec, s[8:9]
	s_cbranch_execnz .LBB94_113
; %bb.114:
	s_or_b64 exec, exec, s[8:9]
	v_mov_b32_e32 v1, 0
	ds_read_b128 v[8:11], v1 offset:400
	s_waitcnt lgkmcnt(0)
	v_mul_f64 v[12:13], v[2:3], v[10:11]
	v_mul_f64 v[10:11], v[4:5], v[10:11]
	v_fma_f64 v[4:5], v[4:5], v[8:9], -v[12:13]
	v_fmac_f64_e32 v[10:11], v[2:3], v[8:9]
	buffer_store_dword v5, off, s[0:3], 0 offset:404
	buffer_store_dword v4, off, s[0:3], 0 offset:400
	buffer_store_dword v11, off, s[0:3], 0 offset:412
	buffer_store_dword v10, off, s[0:3], 0 offset:408
.LBB94_115:
	s_or_b64 exec, exec, s[6:7]
	v_accvgpr_read_b32 v1, a60
	s_waitcnt lgkmcnt(0)
	; wave barrier
	buffer_load_dword v2, v1, s[0:3], 0 offen
	buffer_load_dword v3, v1, s[0:3], 0 offen offset:4
	buffer_load_dword v4, v1, s[0:3], 0 offen offset:8
	buffer_load_dword v5, v1, s[0:3], 0 offen offset:12
	v_cmp_gt_u32_e32 vcc, 26, v243
	s_waitcnt vmcnt(0)
	ds_write_b128 v6, v[2:5]
	s_waitcnt lgkmcnt(0)
	; wave barrier
	s_waitcnt lgkmcnt(0)
	s_and_saveexec_b64 s[6:7], vcc
	s_cbranch_execz .LBB94_119
; %bb.116:
	v_pk_mov_b32 v[2:3], 0, 0
	v_add_u32_e32 v8, -1, v243
	v_add_u32_e32 v9, 0x1f0, v38
	v_add_u32_e32 v10, 0, v38
	s_mov_b64 s[8:9], 0
	v_pk_mov_b32 v[4:5], v[2:3], v[2:3] op_sel:[0,1]
.LBB94_117:                             ; =>This Inner Loop Header: Depth=1
	buffer_load_dword v16, v10, s[0:3], 0 offen offset:8
	buffer_load_dword v17, v10, s[0:3], 0 offen offset:12
	buffer_load_dword v18, v10, s[0:3], 0 offen
	buffer_load_dword v19, v10, s[0:3], 0 offen offset:4
	ds_read_b128 v[12:15], v9
	v_add_u32_e32 v8, 1, v8
	v_cmp_lt_u32_e32 vcc, 24, v8
	v_add_u32_e32 v9, 16, v9
	v_add_u32_e32 v10, 16, v10
	s_or_b64 s[8:9], vcc, s[8:9]
	s_waitcnt vmcnt(2) lgkmcnt(0)
	v_mul_f64 v[20:21], v[14:15], v[16:17]
	v_mul_f64 v[16:17], v[12:13], v[16:17]
	s_waitcnt vmcnt(0)
	v_fma_f64 v[12:13], v[12:13], v[18:19], -v[20:21]
	v_fmac_f64_e32 v[16:17], v[14:15], v[18:19]
	v_add_f64 v[4:5], v[4:5], v[12:13]
	v_add_f64 v[2:3], v[2:3], v[16:17]
	s_andn2_b64 exec, exec, s[8:9]
	s_cbranch_execnz .LBB94_117
; %bb.118:
	s_or_b64 exec, exec, s[8:9]
	v_mov_b32_e32 v1, 0
	ds_read_b128 v[8:11], v1 offset:416
	s_waitcnt lgkmcnt(0)
	v_mul_f64 v[12:13], v[2:3], v[10:11]
	v_mul_f64 v[10:11], v[4:5], v[10:11]
	v_fma_f64 v[4:5], v[4:5], v[8:9], -v[12:13]
	v_fmac_f64_e32 v[10:11], v[2:3], v[8:9]
	buffer_store_dword v5, off, s[0:3], 0 offset:420
	buffer_store_dword v4, off, s[0:3], 0 offset:416
	buffer_store_dword v11, off, s[0:3], 0 offset:428
	buffer_store_dword v10, off, s[0:3], 0 offset:424
.LBB94_119:
	s_or_b64 exec, exec, s[6:7]
	v_accvgpr_read_b32 v1, a59
	s_waitcnt lgkmcnt(0)
	; wave barrier
	buffer_load_dword v2, v1, s[0:3], 0 offen
	buffer_load_dword v3, v1, s[0:3], 0 offen offset:4
	buffer_load_dword v4, v1, s[0:3], 0 offen offset:8
	buffer_load_dword v5, v1, s[0:3], 0 offen offset:12
	v_cmp_gt_u32_e32 vcc, 27, v243
	s_waitcnt vmcnt(0)
	ds_write_b128 v6, v[2:5]
	s_waitcnt lgkmcnt(0)
	; wave barrier
	s_waitcnt lgkmcnt(0)
	s_and_saveexec_b64 s[6:7], vcc
	s_cbranch_execz .LBB94_123
; %bb.120:
	v_pk_mov_b32 v[2:3], 0, 0
	v_add_u32_e32 v8, -1, v243
	v_add_u32_e32 v9, 0x1f0, v38
	v_add_u32_e32 v10, 0, v38
	s_mov_b64 s[8:9], 0
	v_pk_mov_b32 v[4:5], v[2:3], v[2:3] op_sel:[0,1]
.LBB94_121:                             ; =>This Inner Loop Header: Depth=1
	buffer_load_dword v16, v10, s[0:3], 0 offen offset:8
	buffer_load_dword v17, v10, s[0:3], 0 offen offset:12
	buffer_load_dword v18, v10, s[0:3], 0 offen
	buffer_load_dword v19, v10, s[0:3], 0 offen offset:4
	ds_read_b128 v[12:15], v9
	v_add_u32_e32 v8, 1, v8
	v_cmp_lt_u32_e32 vcc, 25, v8
	v_add_u32_e32 v9, 16, v9
	v_add_u32_e32 v10, 16, v10
	s_or_b64 s[8:9], vcc, s[8:9]
	s_waitcnt vmcnt(2) lgkmcnt(0)
	v_mul_f64 v[20:21], v[14:15], v[16:17]
	v_mul_f64 v[16:17], v[12:13], v[16:17]
	s_waitcnt vmcnt(0)
	v_fma_f64 v[12:13], v[12:13], v[18:19], -v[20:21]
	v_fmac_f64_e32 v[16:17], v[14:15], v[18:19]
	v_add_f64 v[4:5], v[4:5], v[12:13]
	v_add_f64 v[2:3], v[2:3], v[16:17]
	s_andn2_b64 exec, exec, s[8:9]
	s_cbranch_execnz .LBB94_121
; %bb.122:
	s_or_b64 exec, exec, s[8:9]
	v_mov_b32_e32 v1, 0
	ds_read_b128 v[8:11], v1 offset:432
	s_waitcnt lgkmcnt(0)
	v_mul_f64 v[12:13], v[2:3], v[10:11]
	v_mul_f64 v[10:11], v[4:5], v[10:11]
	v_fma_f64 v[4:5], v[4:5], v[8:9], -v[12:13]
	v_fmac_f64_e32 v[10:11], v[2:3], v[8:9]
	buffer_store_dword v5, off, s[0:3], 0 offset:436
	buffer_store_dword v4, off, s[0:3], 0 offset:432
	buffer_store_dword v11, off, s[0:3], 0 offset:444
	buffer_store_dword v10, off, s[0:3], 0 offset:440
.LBB94_123:
	s_or_b64 exec, exec, s[6:7]
	v_accvgpr_read_b32 v1, a58
	s_waitcnt lgkmcnt(0)
	; wave barrier
	buffer_load_dword v2, v1, s[0:3], 0 offen
	buffer_load_dword v3, v1, s[0:3], 0 offen offset:4
	buffer_load_dword v4, v1, s[0:3], 0 offen offset:8
	buffer_load_dword v5, v1, s[0:3], 0 offen offset:12
	v_cmp_gt_u32_e32 vcc, 28, v243
	s_waitcnt vmcnt(0)
	ds_write_b128 v6, v[2:5]
	s_waitcnt lgkmcnt(0)
	; wave barrier
	s_waitcnt lgkmcnt(0)
	s_and_saveexec_b64 s[6:7], vcc
	s_cbranch_execz .LBB94_127
; %bb.124:
	v_pk_mov_b32 v[2:3], 0, 0
	v_add_u32_e32 v8, -1, v243
	v_add_u32_e32 v9, 0x1f0, v38
	v_add_u32_e32 v10, 0, v38
	s_mov_b64 s[8:9], 0
	v_pk_mov_b32 v[4:5], v[2:3], v[2:3] op_sel:[0,1]
.LBB94_125:                             ; =>This Inner Loop Header: Depth=1
	buffer_load_dword v16, v10, s[0:3], 0 offen offset:8
	buffer_load_dword v17, v10, s[0:3], 0 offen offset:12
	buffer_load_dword v18, v10, s[0:3], 0 offen
	buffer_load_dword v19, v10, s[0:3], 0 offen offset:4
	ds_read_b128 v[12:15], v9
	v_add_u32_e32 v8, 1, v8
	v_cmp_lt_u32_e32 vcc, 26, v8
	v_add_u32_e32 v9, 16, v9
	v_add_u32_e32 v10, 16, v10
	s_or_b64 s[8:9], vcc, s[8:9]
	s_waitcnt vmcnt(2) lgkmcnt(0)
	v_mul_f64 v[20:21], v[14:15], v[16:17]
	v_mul_f64 v[16:17], v[12:13], v[16:17]
	s_waitcnt vmcnt(0)
	v_fma_f64 v[12:13], v[12:13], v[18:19], -v[20:21]
	v_fmac_f64_e32 v[16:17], v[14:15], v[18:19]
	v_add_f64 v[4:5], v[4:5], v[12:13]
	v_add_f64 v[2:3], v[2:3], v[16:17]
	s_andn2_b64 exec, exec, s[8:9]
	s_cbranch_execnz .LBB94_125
; %bb.126:
	s_or_b64 exec, exec, s[8:9]
	v_mov_b32_e32 v1, 0
	ds_read_b128 v[8:11], v1 offset:448
	s_waitcnt lgkmcnt(0)
	v_mul_f64 v[12:13], v[2:3], v[10:11]
	v_mul_f64 v[10:11], v[4:5], v[10:11]
	v_fma_f64 v[4:5], v[4:5], v[8:9], -v[12:13]
	v_fmac_f64_e32 v[10:11], v[2:3], v[8:9]
	buffer_store_dword v5, off, s[0:3], 0 offset:452
	buffer_store_dword v4, off, s[0:3], 0 offset:448
	buffer_store_dword v11, off, s[0:3], 0 offset:460
	buffer_store_dword v10, off, s[0:3], 0 offset:456
.LBB94_127:
	s_or_b64 exec, exec, s[6:7]
	v_accvgpr_read_b32 v1, a57
	s_waitcnt lgkmcnt(0)
	; wave barrier
	buffer_load_dword v2, v1, s[0:3], 0 offen
	buffer_load_dword v3, v1, s[0:3], 0 offen offset:4
	buffer_load_dword v4, v1, s[0:3], 0 offen offset:8
	buffer_load_dword v5, v1, s[0:3], 0 offen offset:12
	v_cmp_gt_u32_e32 vcc, 29, v243
	s_waitcnt vmcnt(0)
	ds_write_b128 v6, v[2:5]
	s_waitcnt lgkmcnt(0)
	; wave barrier
	s_waitcnt lgkmcnt(0)
	s_and_saveexec_b64 s[6:7], vcc
	s_cbranch_execz .LBB94_131
; %bb.128:
	v_pk_mov_b32 v[2:3], 0, 0
	v_add_u32_e32 v8, -1, v243
	v_add_u32_e32 v9, 0x1f0, v38
	v_add_u32_e32 v10, 0, v38
	s_mov_b64 s[8:9], 0
	v_pk_mov_b32 v[4:5], v[2:3], v[2:3] op_sel:[0,1]
.LBB94_129:                             ; =>This Inner Loop Header: Depth=1
	buffer_load_dword v16, v10, s[0:3], 0 offen offset:8
	buffer_load_dword v17, v10, s[0:3], 0 offen offset:12
	buffer_load_dword v18, v10, s[0:3], 0 offen
	buffer_load_dword v19, v10, s[0:3], 0 offen offset:4
	ds_read_b128 v[12:15], v9
	v_add_u32_e32 v8, 1, v8
	v_cmp_lt_u32_e32 vcc, 27, v8
	v_add_u32_e32 v9, 16, v9
	v_add_u32_e32 v10, 16, v10
	s_or_b64 s[8:9], vcc, s[8:9]
	s_waitcnt vmcnt(2) lgkmcnt(0)
	v_mul_f64 v[20:21], v[14:15], v[16:17]
	v_mul_f64 v[16:17], v[12:13], v[16:17]
	s_waitcnt vmcnt(0)
	v_fma_f64 v[12:13], v[12:13], v[18:19], -v[20:21]
	v_fmac_f64_e32 v[16:17], v[14:15], v[18:19]
	v_add_f64 v[4:5], v[4:5], v[12:13]
	v_add_f64 v[2:3], v[2:3], v[16:17]
	s_andn2_b64 exec, exec, s[8:9]
	s_cbranch_execnz .LBB94_129
; %bb.130:
	s_or_b64 exec, exec, s[8:9]
	v_mov_b32_e32 v1, 0
	ds_read_b128 v[8:11], v1 offset:464
	s_waitcnt lgkmcnt(0)
	v_mul_f64 v[12:13], v[2:3], v[10:11]
	v_mul_f64 v[10:11], v[4:5], v[10:11]
	v_fma_f64 v[4:5], v[4:5], v[8:9], -v[12:13]
	v_fmac_f64_e32 v[10:11], v[2:3], v[8:9]
	buffer_store_dword v5, off, s[0:3], 0 offset:468
	buffer_store_dword v4, off, s[0:3], 0 offset:464
	;; [unrolled: 1-line block ×4, first 2 shown]
.LBB94_131:
	s_or_b64 exec, exec, s[6:7]
	v_accvgpr_read_b32 v1, a56
	s_waitcnt lgkmcnt(0)
	; wave barrier
	buffer_load_dword v2, v1, s[0:3], 0 offen
	buffer_load_dword v3, v1, s[0:3], 0 offen offset:4
	buffer_load_dword v4, v1, s[0:3], 0 offen offset:8
	;; [unrolled: 1-line block ×3, first 2 shown]
	v_cmp_ne_u32_e32 vcc, 30, v243
	s_waitcnt vmcnt(0)
	ds_write_b128 v6, v[2:5]
	s_waitcnt lgkmcnt(0)
	; wave barrier
	s_waitcnt lgkmcnt(0)
	s_and_saveexec_b64 s[6:7], vcc
	s_cbranch_execz .LBB94_135
; %bb.132:
	v_pk_mov_b32 v[2:3], 0, 0
	v_add_u32_e32 v6, 0x1f0, v38
	v_add_u32_e32 v8, 0, v38
	s_mov_b64 s[8:9], 0
	v_pk_mov_b32 v[4:5], v[2:3], v[2:3] op_sel:[0,1]
.LBB94_133:                             ; =>This Inner Loop Header: Depth=1
	buffer_load_dword v14, v8, s[0:3], 0 offen offset:8
	buffer_load_dword v15, v8, s[0:3], 0 offen offset:12
	buffer_load_dword v16, v8, s[0:3], 0 offen
	buffer_load_dword v17, v8, s[0:3], 0 offen offset:4
	ds_read_b128 v[10:13], v6
	v_add_u32_e32 v7, 1, v7
	v_cmp_lt_u32_e32 vcc, 28, v7
	v_add_u32_e32 v6, 16, v6
	v_add_u32_e32 v8, 16, v8
	s_or_b64 s[8:9], vcc, s[8:9]
	s_waitcnt vmcnt(2) lgkmcnt(0)
	v_mul_f64 v[18:19], v[12:13], v[14:15]
	v_mul_f64 v[14:15], v[10:11], v[14:15]
	s_waitcnt vmcnt(0)
	v_fma_f64 v[10:11], v[10:11], v[16:17], -v[18:19]
	v_fmac_f64_e32 v[14:15], v[12:13], v[16:17]
	v_add_f64 v[4:5], v[4:5], v[10:11]
	v_add_f64 v[2:3], v[2:3], v[14:15]
	s_andn2_b64 exec, exec, s[8:9]
	s_cbranch_execnz .LBB94_133
; %bb.134:
	s_or_b64 exec, exec, s[8:9]
	v_mov_b32_e32 v1, 0
	ds_read_b128 v[6:9], v1 offset:480
	s_waitcnt lgkmcnt(0)
	v_mul_f64 v[10:11], v[2:3], v[8:9]
	v_mul_f64 v[8:9], v[4:5], v[8:9]
	v_fma_f64 v[4:5], v[4:5], v[6:7], -v[10:11]
	v_fmac_f64_e32 v[8:9], v[2:3], v[6:7]
	buffer_store_dword v5, off, s[0:3], 0 offset:484
	buffer_store_dword v4, off, s[0:3], 0 offset:480
	;; [unrolled: 1-line block ×4, first 2 shown]
.LBB94_135:
	s_or_b64 exec, exec, s[6:7]
	s_mov_b64 s[8:9], -1
	s_waitcnt lgkmcnt(0)
	; wave barrier
.LBB94_136:
	s_and_b64 vcc, exec, s[8:9]
	s_cbranch_vccz .LBB94_138
; %bb.137:
	s_lshl_b64 s[6:7], s[10:11], 2
	s_add_u32 s6, s14, s6
	s_addc_u32 s7, s15, s7
	v_mov_b32_e32 v1, 0
	global_load_dword v1, v1, s[6:7]
	s_waitcnt vmcnt(0)
	v_cmp_ne_u32_e32 vcc, 0, v1
	s_cbranch_vccz .LBB94_139
.LBB94_138:
	s_endpgm
.LBB94_139:
	v_mov_b32_e32 v1, 0x1f0
	v_lshl_add_u32 v1, v243, 4, v1
	v_cmp_eq_u32_e32 vcc, 30, v243
	s_and_saveexec_b64 s[6:7], vcc
	s_cbranch_execz .LBB94_141
; %bb.140:
	v_accvgpr_read_b32 v5, a57
	buffer_load_dword v2, v5, s[0:3], 0 offen
	buffer_load_dword v3, v5, s[0:3], 0 offen offset:4
	buffer_load_dword v4, v5, s[0:3], 0 offen offset:8
	s_nop 0
	buffer_load_dword v5, v5, s[0:3], 0 offen offset:12
	v_mov_b32_e32 v6, 0
	buffer_store_dword v6, off, s[0:3], 0 offset:464
	buffer_store_dword v6, off, s[0:3], 0 offset:468
	;; [unrolled: 1-line block ×4, first 2 shown]
	s_waitcnt vmcnt(4)
	ds_write_b128 v1, v[2:5]
.LBB94_141:
	s_or_b64 exec, exec, s[6:7]
	s_waitcnt lgkmcnt(0)
	; wave barrier
	s_waitcnt lgkmcnt(0)
	buffer_load_dword v8, off, s[0:3], 0 offset:488
	buffer_load_dword v9, off, s[0:3], 0 offset:492
	;; [unrolled: 1-line block ×8, first 2 shown]
	v_mov_b32_e32 v2, 0
	ds_read_b128 v[4:7], v2 offset:976
	v_cmp_lt_u32_e32 vcc, 28, v243
	s_waitcnt vmcnt(6) lgkmcnt(0)
	v_mul_f64 v[16:17], v[4:5], v[8:9]
	v_mul_f64 v[8:9], v[6:7], v[8:9]
	s_waitcnt vmcnt(4)
	v_fma_f64 v[4:5], v[4:5], v[10:11], -v[8:9]
	v_fmac_f64_e32 v[16:17], v[6:7], v[10:11]
	v_add_f64 v[4:5], v[4:5], 0
	v_add_f64 v[6:7], v[16:17], 0
	s_waitcnt vmcnt(2)
	v_add_f64 v[4:5], v[12:13], -v[4:5]
	s_waitcnt vmcnt(0)
	v_add_f64 v[6:7], v[14:15], -v[6:7]
	buffer_store_dword v4, off, s[0:3], 0 offset:464
	buffer_store_dword v5, off, s[0:3], 0 offset:468
	;; [unrolled: 1-line block ×4, first 2 shown]
	s_and_saveexec_b64 s[6:7], vcc
	s_cbranch_execz .LBB94_143
; %bb.142:
	v_accvgpr_read_b32 v3, a58
	buffer_load_dword v4, v3, s[0:3], 0 offen
	buffer_load_dword v5, v3, s[0:3], 0 offen offset:4
	buffer_load_dword v6, v3, s[0:3], 0 offen offset:8
	;; [unrolled: 1-line block ×3, first 2 shown]
	s_nop 0
	buffer_store_dword v2, off, s[0:3], 0 offset:448
	buffer_store_dword v2, off, s[0:3], 0 offset:452
	;; [unrolled: 1-line block ×4, first 2 shown]
	s_waitcnt vmcnt(4)
	ds_write_b128 v1, v[4:7]
.LBB94_143:
	s_or_b64 exec, exec, s[6:7]
	s_waitcnt lgkmcnt(0)
	; wave barrier
	s_waitcnt lgkmcnt(0)
	buffer_load_dword v12, off, s[0:3], 0 offset:472
	buffer_load_dword v13, off, s[0:3], 0 offset:476
	;; [unrolled: 1-line block ×12, first 2 shown]
	ds_read_b128 v[4:7], v2 offset:960
	ds_read_b128 v[8:11], v2 offset:976
	v_cmp_lt_u32_e32 vcc, 27, v243
	s_waitcnt vmcnt(10) lgkmcnt(1)
	v_mul_f64 v[2:3], v[4:5], v[12:13]
	v_mul_f64 v[12:13], v[6:7], v[12:13]
	s_waitcnt vmcnt(8) lgkmcnt(0)
	v_mul_f64 v[24:25], v[8:9], v[14:15]
	v_mul_f64 v[14:15], v[10:11], v[14:15]
	s_waitcnt vmcnt(6)
	v_fma_f64 v[4:5], v[4:5], v[16:17], -v[12:13]
	v_fmac_f64_e32 v[2:3], v[6:7], v[16:17]
	s_waitcnt vmcnt(4)
	v_fma_f64 v[6:7], v[8:9], v[18:19], -v[14:15]
	v_add_f64 v[4:5], v[4:5], 0
	v_fmac_f64_e32 v[24:25], v[10:11], v[18:19]
	v_add_f64 v[2:3], v[2:3], 0
	v_add_f64 v[4:5], v[4:5], v[6:7]
	v_add_f64 v[2:3], v[2:3], v[24:25]
	s_waitcnt vmcnt(2)
	v_add_f64 v[4:5], v[20:21], -v[4:5]
	s_waitcnt vmcnt(0)
	v_add_f64 v[2:3], v[22:23], -v[2:3]
	buffer_store_dword v4, off, s[0:3], 0 offset:448
	buffer_store_dword v5, off, s[0:3], 0 offset:452
	buffer_store_dword v2, off, s[0:3], 0 offset:456
	buffer_store_dword v3, off, s[0:3], 0 offset:460
	s_and_saveexec_b64 s[6:7], vcc
	s_cbranch_execz .LBB94_145
; %bb.144:
	v_accvgpr_read_b32 v5, a59
	buffer_load_dword v2, v5, s[0:3], 0 offen
	buffer_load_dword v3, v5, s[0:3], 0 offen offset:4
	buffer_load_dword v4, v5, s[0:3], 0 offen offset:8
	s_nop 0
	buffer_load_dword v5, v5, s[0:3], 0 offen offset:12
	v_mov_b32_e32 v6, 0
	buffer_store_dword v6, off, s[0:3], 0 offset:432
	buffer_store_dword v6, off, s[0:3], 0 offset:436
	;; [unrolled: 1-line block ×4, first 2 shown]
	s_waitcnt vmcnt(4)
	ds_write_b128 v1, v[2:5]
.LBB94_145:
	s_or_b64 exec, exec, s[6:7]
	s_waitcnt lgkmcnt(0)
	; wave barrier
	s_waitcnt lgkmcnt(0)
	buffer_load_dword v16, off, s[0:3], 0 offset:456
	buffer_load_dword v17, off, s[0:3], 0 offset:460
	;; [unrolled: 1-line block ×16, first 2 shown]
	v_mov_b32_e32 v2, 0
	ds_read_b128 v[4:7], v2 offset:944
	ds_read_b128 v[8:11], v2 offset:960
	;; [unrolled: 1-line block ×3, first 2 shown]
	v_cmp_lt_u32_e32 vcc, 26, v243
	s_waitcnt vmcnt(14) lgkmcnt(2)
	v_mul_f64 v[32:33], v[4:5], v[16:17]
	v_mul_f64 v[16:17], v[6:7], v[16:17]
	s_waitcnt vmcnt(12) lgkmcnt(1)
	v_mul_f64 v[34:35], v[8:9], v[18:19]
	v_mul_f64 v[18:19], v[10:11], v[18:19]
	;; [unrolled: 3-line block ×3, first 2 shown]
	s_waitcnt vmcnt(8)
	v_fma_f64 v[4:5], v[4:5], v[22:23], -v[16:17]
	v_fmac_f64_e32 v[32:33], v[6:7], v[22:23]
	s_waitcnt vmcnt(6)
	v_fma_f64 v[6:7], v[8:9], v[24:25], -v[18:19]
	v_add_f64 v[4:5], v[4:5], 0
	v_fmac_f64_e32 v[34:35], v[10:11], v[24:25]
	s_waitcnt vmcnt(4)
	v_fma_f64 v[8:9], v[12:13], v[26:27], -v[20:21]
	v_add_f64 v[10:11], v[32:33], 0
	v_add_f64 v[4:5], v[4:5], v[6:7]
	v_fmac_f64_e32 v[36:37], v[14:15], v[26:27]
	v_add_f64 v[10:11], v[10:11], v[34:35]
	v_add_f64 v[4:5], v[4:5], v[8:9]
	;; [unrolled: 1-line block ×3, first 2 shown]
	s_waitcnt vmcnt(2)
	v_add_f64 v[4:5], v[28:29], -v[4:5]
	s_waitcnt vmcnt(0)
	v_add_f64 v[6:7], v[30:31], -v[6:7]
	buffer_store_dword v4, off, s[0:3], 0 offset:432
	buffer_store_dword v5, off, s[0:3], 0 offset:436
	;; [unrolled: 1-line block ×4, first 2 shown]
	s_and_saveexec_b64 s[6:7], vcc
	s_cbranch_execz .LBB94_147
; %bb.146:
	v_accvgpr_read_b32 v3, a60
	buffer_load_dword v4, v3, s[0:3], 0 offen
	buffer_load_dword v5, v3, s[0:3], 0 offen offset:4
	buffer_load_dword v6, v3, s[0:3], 0 offen offset:8
	buffer_load_dword v7, v3, s[0:3], 0 offen offset:12
	s_nop 0
	buffer_store_dword v2, off, s[0:3], 0 offset:416
	buffer_store_dword v2, off, s[0:3], 0 offset:420
	;; [unrolled: 1-line block ×4, first 2 shown]
	s_waitcnt vmcnt(4)
	ds_write_b128 v1, v[4:7]
.LBB94_147:
	s_or_b64 exec, exec, s[6:7]
	s_waitcnt lgkmcnt(0)
	; wave barrier
	s_waitcnt lgkmcnt(0)
	buffer_load_dword v20, off, s[0:3], 0 offset:440
	buffer_load_dword v21, off, s[0:3], 0 offset:444
	;; [unrolled: 1-line block ×20, first 2 shown]
	ds_read_b128 v[4:7], v2 offset:928
	ds_read_b128 v[8:11], v2 offset:944
	;; [unrolled: 1-line block ×4, first 2 shown]
	v_cmp_lt_u32_e32 vcc, 25, v243
	s_waitcnt vmcnt(18) lgkmcnt(3)
	v_mul_f64 v[2:3], v[4:5], v[20:21]
	v_mul_f64 v[20:21], v[6:7], v[20:21]
	s_waitcnt vmcnt(16) lgkmcnt(2)
	v_mul_f64 v[40:41], v[8:9], v[22:23]
	v_mul_f64 v[22:23], v[10:11], v[22:23]
	;; [unrolled: 3-line block ×4, first 2 shown]
	s_waitcnt vmcnt(10)
	v_fma_f64 v[4:5], v[4:5], v[28:29], -v[20:21]
	v_fmac_f64_e32 v[2:3], v[6:7], v[28:29]
	s_waitcnt vmcnt(8)
	v_fma_f64 v[6:7], v[8:9], v[30:31], -v[22:23]
	v_add_f64 v[4:5], v[4:5], 0
	v_fmac_f64_e32 v[40:41], v[10:11], v[30:31]
	s_waitcnt vmcnt(6)
	v_fma_f64 v[8:9], v[12:13], v[32:33], -v[24:25]
	v_add_f64 v[2:3], v[2:3], 0
	v_add_f64 v[4:5], v[4:5], v[6:7]
	v_fmac_f64_e32 v[44:45], v[14:15], v[32:33]
	s_waitcnt vmcnt(4)
	v_fma_f64 v[10:11], v[16:17], v[34:35], -v[26:27]
	v_add_f64 v[2:3], v[2:3], v[40:41]
	v_add_f64 v[4:5], v[4:5], v[8:9]
	v_fmac_f64_e32 v[46:47], v[18:19], v[34:35]
	v_add_f64 v[2:3], v[2:3], v[44:45]
	v_add_f64 v[4:5], v[4:5], v[10:11]
	;; [unrolled: 1-line block ×3, first 2 shown]
	s_waitcnt vmcnt(2)
	v_add_f64 v[4:5], v[36:37], -v[4:5]
	s_waitcnt vmcnt(0)
	v_add_f64 v[2:3], v[38:39], -v[2:3]
	buffer_store_dword v4, off, s[0:3], 0 offset:416
	buffer_store_dword v5, off, s[0:3], 0 offset:420
	buffer_store_dword v2, off, s[0:3], 0 offset:424
	buffer_store_dword v3, off, s[0:3], 0 offset:428
	s_and_saveexec_b64 s[6:7], vcc
	s_cbranch_execz .LBB94_149
; %bb.148:
	v_accvgpr_read_b32 v5, a61
	buffer_load_dword v2, v5, s[0:3], 0 offen
	buffer_load_dword v3, v5, s[0:3], 0 offen offset:4
	buffer_load_dword v4, v5, s[0:3], 0 offen offset:8
	s_nop 0
	buffer_load_dword v5, v5, s[0:3], 0 offen offset:12
	v_mov_b32_e32 v6, 0
	buffer_store_dword v6, off, s[0:3], 0 offset:400
	buffer_store_dword v6, off, s[0:3], 0 offset:404
	;; [unrolled: 1-line block ×4, first 2 shown]
	s_waitcnt vmcnt(4)
	ds_write_b128 v1, v[2:5]
.LBB94_149:
	s_or_b64 exec, exec, s[6:7]
	s_waitcnt lgkmcnt(0)
	; wave barrier
	s_waitcnt lgkmcnt(0)
	buffer_load_dword v24, off, s[0:3], 0 offset:424
	buffer_load_dword v25, off, s[0:3], 0 offset:428
	buffer_load_dword v26, off, s[0:3], 0 offset:440
	buffer_load_dword v27, off, s[0:3], 0 offset:444
	buffer_load_dword v28, off, s[0:3], 0 offset:456
	buffer_load_dword v29, off, s[0:3], 0 offset:460
	buffer_load_dword v30, off, s[0:3], 0 offset:488
	buffer_load_dword v32, off, s[0:3], 0 offset:480
	buffer_load_dword v35, off, s[0:3], 0 offset:476
	buffer_load_dword v34, off, s[0:3], 0 offset:472
	buffer_load_dword v31, off, s[0:3], 0 offset:492
	buffer_load_dword v36, off, s[0:3], 0 offset:416
	buffer_load_dword v37, off, s[0:3], 0 offset:420
	buffer_load_dword v38, off, s[0:3], 0 offset:432
	buffer_load_dword v39, off, s[0:3], 0 offset:436
	buffer_load_dword v40, off, s[0:3], 0 offset:448
	buffer_load_dword v41, off, s[0:3], 0 offset:452
	buffer_load_dword v45, off, s[0:3], 0 offset:468
	buffer_load_dword v44, off, s[0:3], 0 offset:464
	buffer_load_dword v33, off, s[0:3], 0 offset:484
	buffer_load_dword v46, off, s[0:3], 0 offset:400
	buffer_load_dword v47, off, s[0:3], 0 offset:404
	buffer_load_dword v48, off, s[0:3], 0 offset:408
	buffer_load_dword v49, off, s[0:3], 0 offset:412
	v_mov_b32_e32 v2, 0
	ds_read_b128 v[4:7], v2 offset:912
	ds_read_b128 v[8:11], v2 offset:928
	;; [unrolled: 1-line block ×5, first 2 shown]
	v_cmp_lt_u32_e32 vcc, 24, v243
	s_waitcnt vmcnt(22) lgkmcnt(4)
	v_mul_f64 v[50:51], v[4:5], v[24:25]
	v_mul_f64 v[24:25], v[6:7], v[24:25]
	s_waitcnt vmcnt(20) lgkmcnt(3)
	v_mul_f64 v[52:53], v[8:9], v[26:27]
	v_mul_f64 v[26:27], v[10:11], v[26:27]
	;; [unrolled: 3-line block ×4, first 2 shown]
	s_waitcnt vmcnt(13) lgkmcnt(0)
	v_mul_f64 v[58:59], v[20:21], v[30:31]
	s_waitcnt vmcnt(11)
	v_fma_f64 v[4:5], v[4:5], v[36:37], -v[24:25]
	v_fmac_f64_e32 v[50:51], v[6:7], v[36:37]
	s_waitcnt vmcnt(9)
	v_fma_f64 v[6:7], v[8:9], v[38:39], -v[26:27]
	v_add_f64 v[4:5], v[4:5], 0
	v_fmac_f64_e32 v[52:53], v[10:11], v[38:39]
	s_waitcnt vmcnt(7)
	v_fmac_f64_e32 v[54:55], v[14:15], v[40:41]
	v_fma_f64 v[8:9], v[12:13], v[40:41], -v[28:29]
	v_add_f64 v[14:15], v[50:51], 0
	v_add_f64 v[4:5], v[4:5], v[6:7]
	v_mul_f64 v[30:31], v[22:23], v[30:31]
	s_waitcnt vmcnt(5)
	v_fma_f64 v[10:11], v[16:17], v[44:45], -v[34:35]
	v_add_f64 v[14:15], v[14:15], v[52:53]
	v_add_f64 v[4:5], v[4:5], v[8:9]
	v_fmac_f64_e32 v[56:57], v[18:19], v[44:45]
	s_waitcnt vmcnt(4)
	v_fma_f64 v[12:13], v[20:21], v[32:33], -v[30:31]
	v_add_f64 v[6:7], v[14:15], v[54:55]
	v_add_f64 v[4:5], v[4:5], v[10:11]
	v_fmac_f64_e32 v[58:59], v[22:23], v[32:33]
	v_add_f64 v[6:7], v[6:7], v[56:57]
	v_add_f64 v[4:5], v[4:5], v[12:13]
	;; [unrolled: 1-line block ×3, first 2 shown]
	s_waitcnt vmcnt(2)
	v_add_f64 v[4:5], v[46:47], -v[4:5]
	s_waitcnt vmcnt(0)
	v_add_f64 v[6:7], v[48:49], -v[6:7]
	buffer_store_dword v5, off, s[0:3], 0 offset:404
	buffer_store_dword v4, off, s[0:3], 0 offset:400
	;; [unrolled: 1-line block ×4, first 2 shown]
	s_and_saveexec_b64 s[6:7], vcc
	s_cbranch_execz .LBB94_151
; %bb.150:
	v_accvgpr_read_b32 v3, a62
	buffer_load_dword v4, v3, s[0:3], 0 offen
	buffer_load_dword v5, v3, s[0:3], 0 offen offset:4
	buffer_load_dword v6, v3, s[0:3], 0 offen offset:8
	buffer_load_dword v7, v3, s[0:3], 0 offen offset:12
	s_nop 0
	buffer_store_dword v2, off, s[0:3], 0 offset:384
	buffer_store_dword v2, off, s[0:3], 0 offset:388
	;; [unrolled: 1-line block ×4, first 2 shown]
	s_waitcnt vmcnt(4)
	ds_write_b128 v1, v[4:7]
.LBB94_151:
	s_or_b64 exec, exec, s[6:7]
	s_waitcnt lgkmcnt(0)
	; wave barrier
	s_waitcnt lgkmcnt(0)
	buffer_load_dword v28, off, s[0:3], 0 offset:408
	buffer_load_dword v29, off, s[0:3], 0 offset:412
	;; [unrolled: 1-line block ×28, first 2 shown]
	ds_read_b128 v[4:7], v2 offset:896
	ds_read_b128 v[8:11], v2 offset:912
	;; [unrolled: 1-line block ×6, first 2 shown]
	v_cmp_lt_u32_e32 vcc, 23, v243
	s_waitcnt vmcnt(26) lgkmcnt(5)
	v_mul_f64 v[2:3], v[4:5], v[28:29]
	v_mul_f64 v[28:29], v[6:7], v[28:29]
	s_waitcnt vmcnt(24) lgkmcnt(4)
	v_mul_f64 v[58:59], v[8:9], v[30:31]
	v_mul_f64 v[30:31], v[10:11], v[30:31]
	s_waitcnt vmcnt(22) lgkmcnt(3)
	v_mul_f64 v[60:61], v[12:13], v[32:33]
	v_mul_f64 v[32:33], v[14:15], v[32:33]
	s_waitcnt vmcnt(20) lgkmcnt(1)
	v_mul_f64 v[64:65], v[20:21], v[34:35]
	v_mul_f64 v[34:35], v[22:23], v[34:35]
	s_waitcnt vmcnt(17)
	v_mul_f64 v[62:63], v[16:17], v[38:39]
	v_mul_f64 v[38:39], v[18:19], v[38:39]
	s_waitcnt vmcnt(15) lgkmcnt(0)
	v_mul_f64 v[66:67], v[24:25], v[40:41]
	v_mul_f64 v[40:41], v[26:27], v[40:41]
	s_waitcnt vmcnt(14)
	v_fmac_f64_e32 v[64:65], v[22:23], v[36:37]
	s_waitcnt vmcnt(12)
	v_fma_f64 v[4:5], v[4:5], v[44:45], -v[28:29]
	v_fmac_f64_e32 v[2:3], v[6:7], v[44:45]
	s_waitcnt vmcnt(10)
	v_fma_f64 v[6:7], v[8:9], v[46:47], -v[30:31]
	v_add_f64 v[4:5], v[4:5], 0
	v_fmac_f64_e32 v[58:59], v[10:11], v[46:47]
	s_waitcnt vmcnt(8)
	v_fma_f64 v[8:9], v[12:13], v[48:49], -v[32:33]
	v_add_f64 v[2:3], v[2:3], 0
	v_add_f64 v[4:5], v[4:5], v[6:7]
	v_fmac_f64_e32 v[60:61], v[14:15], v[48:49]
	s_waitcnt vmcnt(6)
	v_fma_f64 v[10:11], v[16:17], v[50:51], -v[38:39]
	v_add_f64 v[2:3], v[2:3], v[58:59]
	v_add_f64 v[4:5], v[4:5], v[8:9]
	v_fmac_f64_e32 v[62:63], v[18:19], v[50:51]
	v_fma_f64 v[12:13], v[20:21], v[36:37], -v[34:35]
	v_add_f64 v[2:3], v[2:3], v[60:61]
	v_add_f64 v[4:5], v[4:5], v[10:11]
	s_waitcnt vmcnt(4)
	v_fma_f64 v[14:15], v[24:25], v[52:53], -v[40:41]
	v_add_f64 v[2:3], v[2:3], v[62:63]
	v_add_f64 v[4:5], v[4:5], v[12:13]
	v_fmac_f64_e32 v[66:67], v[26:27], v[52:53]
	v_add_f64 v[2:3], v[2:3], v[64:65]
	v_add_f64 v[4:5], v[4:5], v[14:15]
	;; [unrolled: 1-line block ×3, first 2 shown]
	s_waitcnt vmcnt(2)
	v_add_f64 v[4:5], v[54:55], -v[4:5]
	s_waitcnt vmcnt(0)
	v_add_f64 v[2:3], v[56:57], -v[2:3]
	buffer_store_dword v5, off, s[0:3], 0 offset:388
	buffer_store_dword v4, off, s[0:3], 0 offset:384
	;; [unrolled: 1-line block ×4, first 2 shown]
	s_and_saveexec_b64 s[6:7], vcc
	s_cbranch_execz .LBB94_153
; %bb.152:
	v_accvgpr_read_b32 v5, a63
	buffer_load_dword v2, v5, s[0:3], 0 offen
	buffer_load_dword v3, v5, s[0:3], 0 offen offset:4
	buffer_load_dword v4, v5, s[0:3], 0 offen offset:8
	s_nop 0
	buffer_load_dword v5, v5, s[0:3], 0 offen offset:12
	v_mov_b32_e32 v6, 0
	buffer_store_dword v6, off, s[0:3], 0 offset:368
	buffer_store_dword v6, off, s[0:3], 0 offset:372
	buffer_store_dword v6, off, s[0:3], 0 offset:376
	buffer_store_dword v6, off, s[0:3], 0 offset:380
	s_waitcnt vmcnt(4)
	ds_write_b128 v1, v[2:5]
.LBB94_153:
	s_or_b64 exec, exec, s[6:7]
	v_mov_b32_e32 v6, 0
	s_waitcnt lgkmcnt(0)
	; wave barrier
	s_waitcnt lgkmcnt(0)
	ds_read_b128 v[8:11], v6 offset:880
	ds_read_b128 v[12:15], v6 offset:896
	;; [unrolled: 1-line block ×4, first 2 shown]
	buffer_load_dword v4, off, s[0:3], 0 offset:368
	buffer_load_dword v5, off, s[0:3], 0 offset:372
	;; [unrolled: 1-line block ×20, first 2 shown]
	v_cmp_lt_u32_e32 vcc, 22, v243
	s_waitcnt vmcnt(12) lgkmcnt(3)
	v_mul_f64 v[24:25], v[8:9], v[38:39]
	v_fmac_f64_e32 v[24:25], v[10:11], v[36:37]
	v_add_f64 v[24:25], v[24:25], 0
	v_mul_f64 v[10:11], v[10:11], v[38:39]
	s_waitcnt vmcnt(8) lgkmcnt(2)
	v_mul_f64 v[26:27], v[12:13], v[44:45]
	v_fmac_f64_e32 v[26:27], v[14:15], v[40:41]
	v_add_f64 v[24:25], v[24:25], v[26:27]
	v_fma_f64 v[8:9], v[8:9], v[36:37], -v[10:11]
	s_waitcnt vmcnt(4) lgkmcnt(1)
	v_mul_f64 v[26:27], v[16:17], v[48:49]
	v_fmac_f64_e32 v[26:27], v[18:19], v[46:47]
	v_add_f64 v[24:25], v[24:25], v[26:27]
	s_waitcnt vmcnt(0) lgkmcnt(0)
	v_mul_f64 v[26:27], v[20:21], v[52:53]
	v_fmac_f64_e32 v[26:27], v[22:23], v[50:51]
	v_add_f64 v[28:29], v[24:25], v[26:27]
	ds_read_b128 v[24:27], v6 offset:944
	buffer_load_dword v55, off, s[0:3], 0 offset:452
	buffer_load_dword v54, off, s[0:3], 0 offset:448
	;; [unrolled: 1-line block ×4, first 2 shown]
	v_mul_f64 v[10:11], v[14:15], v[44:45]
	v_add_f64 v[8:9], v[8:9], 0
	v_fma_f64 v[10:11], v[12:13], v[40:41], -v[10:11]
	v_add_f64 v[8:9], v[8:9], v[10:11]
	v_mul_f64 v[10:11], v[18:19], v[48:49]
	v_fma_f64 v[10:11], v[16:17], v[46:47], -v[10:11]
	v_add_f64 v[8:9], v[8:9], v[10:11]
	v_mul_f64 v[10:11], v[22:23], v[52:53]
	v_fma_f64 v[10:11], v[20:21], v[50:51], -v[10:11]
	v_add_f64 v[8:9], v[8:9], v[10:11]
	s_waitcnt vmcnt(0) lgkmcnt(0)
	v_mul_f64 v[30:31], v[24:25], v[56:57]
	v_fmac_f64_e32 v[30:31], v[26:27], v[54:55]
	v_add_f64 v[32:33], v[28:29], v[30:31]
	ds_read_b128 v[28:31], v6 offset:960
	buffer_load_dword v59, off, s[0:3], 0 offset:468
	buffer_load_dword v58, off, s[0:3], 0 offset:464
	;; [unrolled: 1-line block ×4, first 2 shown]
	v_mul_f64 v[10:11], v[26:27], v[56:57]
	v_fma_f64 v[10:11], v[24:25], v[54:55], -v[10:11]
	v_add_f64 v[8:9], v[8:9], v[10:11]
	s_waitcnt vmcnt(0) lgkmcnt(0)
	v_mul_f64 v[34:35], v[28:29], v[60:61]
	v_fmac_f64_e32 v[34:35], v[30:31], v[58:59]
	v_add_f64 v[62:63], v[32:33], v[34:35]
	ds_read_b128 v[32:35], v6 offset:976
	buffer_load_dword v65, off, s[0:3], 0 offset:484
	buffer_load_dword v64, off, s[0:3], 0 offset:480
	;; [unrolled: 1-line block ×4, first 2 shown]
	v_mul_f64 v[10:11], v[30:31], v[60:61]
	v_fma_f64 v[10:11], v[28:29], v[58:59], -v[10:11]
	v_add_f64 v[8:9], v[8:9], v[10:11]
	s_waitcnt vmcnt(0) lgkmcnt(0)
	v_mul_f64 v[10:11], v[34:35], v[66:67]
	v_mul_f64 v[68:69], v[32:33], v[66:67]
	v_fma_f64 v[10:11], v[32:33], v[64:65], -v[10:11]
	v_fmac_f64_e32 v[68:69], v[34:35], v[64:65]
	v_add_f64 v[8:9], v[8:9], v[10:11]
	v_add_f64 v[62:63], v[62:63], v[68:69]
	v_add_f64 v[4:5], v[4:5], -v[8:9]
	v_add_f64 v[2:3], v[2:3], -v[62:63]
	buffer_store_dword v5, off, s[0:3], 0 offset:372
	buffer_store_dword v4, off, s[0:3], 0 offset:368
	buffer_store_dword v3, off, s[0:3], 0 offset:380
	buffer_store_dword v2, off, s[0:3], 0 offset:376
	s_and_saveexec_b64 s[6:7], vcc
	s_cbranch_execz .LBB94_155
; %bb.154:
	v_accvgpr_read_b32 v5, a64
	buffer_load_dword v2, v5, s[0:3], 0 offen
	buffer_load_dword v3, v5, s[0:3], 0 offen offset:4
	buffer_load_dword v4, v5, s[0:3], 0 offen offset:8
	s_nop 0
	buffer_load_dword v5, v5, s[0:3], 0 offen offset:12
	s_nop 0
	buffer_store_dword v6, off, s[0:3], 0 offset:352
	buffer_store_dword v6, off, s[0:3], 0 offset:356
	;; [unrolled: 1-line block ×4, first 2 shown]
	s_waitcnt vmcnt(4)
	ds_write_b128 v1, v[2:5]
.LBB94_155:
	s_or_b64 exec, exec, s[6:7]
	s_waitcnt lgkmcnt(0)
	; wave barrier
	s_waitcnt lgkmcnt(0)
	buffer_load_dword v36, off, s[0:3], 0 offset:376
	buffer_load_dword v37, off, s[0:3], 0 offset:380
	;; [unrolled: 1-line block ×36, first 2 shown]
	ds_read_b128 v[2:5], v6 offset:864
	ds_read_b128 v[8:11], v6 offset:880
	;; [unrolled: 1-line block ×8, first 2 shown]
	v_cmp_lt_u32_e32 vcc, 21, v243
	s_waitcnt vmcnt(34) lgkmcnt(7)
	v_mul_f64 v[6:7], v[2:3], v[36:37]
	v_mul_f64 v[36:37], v[4:5], v[36:37]
	s_waitcnt vmcnt(32) lgkmcnt(6)
	v_mul_f64 v[74:75], v[8:9], v[38:39]
	v_mul_f64 v[38:39], v[10:11], v[38:39]
	;; [unrolled: 3-line block ×4, first 2 shown]
	s_waitcnt vmcnt(25)
	v_mul_f64 v[78:79], v[16:17], v[48:49]
	v_mul_f64 v[48:49], v[18:19], v[48:49]
	s_waitcnt vmcnt(23) lgkmcnt(1)
	v_mul_f64 v[108:109], v[28:29], v[50:51]
	v_mul_f64 v[50:51], v[30:31], v[50:51]
	s_waitcnt vmcnt(20)
	v_mul_f64 v[106:107], v[24:25], v[54:55]
	v_mul_f64 v[54:55], v[26:27], v[54:55]
	s_waitcnt vmcnt(18) lgkmcnt(0)
	v_mul_f64 v[110:111], v[32:33], v[56:57]
	s_waitcnt vmcnt(17)
	v_fmac_f64_e32 v[104:105], v[22:23], v[46:47]
	s_waitcnt vmcnt(16)
	v_fmac_f64_e32 v[108:109], v[30:31], v[52:53]
	s_waitcnt vmcnt(14)
	v_fma_f64 v[2:3], v[2:3], v[58:59], -v[36:37]
	v_fmac_f64_e32 v[6:7], v[4:5], v[58:59]
	s_waitcnt vmcnt(12)
	v_fma_f64 v[4:5], v[8:9], v[60:61], -v[38:39]
	v_add_f64 v[2:3], v[2:3], 0
	v_fmac_f64_e32 v[74:75], v[10:11], v[60:61]
	s_waitcnt vmcnt(10)
	v_fma_f64 v[8:9], v[12:13], v[62:63], -v[40:41]
	v_add_f64 v[6:7], v[6:7], 0
	v_add_f64 v[2:3], v[2:3], v[4:5]
	v_fmac_f64_e32 v[76:77], v[14:15], v[62:63]
	s_waitcnt vmcnt(8)
	v_fma_f64 v[10:11], v[16:17], v[64:65], -v[48:49]
	v_add_f64 v[6:7], v[6:7], v[74:75]
	v_add_f64 v[2:3], v[2:3], v[8:9]
	v_fmac_f64_e32 v[78:79], v[18:19], v[64:65]
	v_fma_f64 v[12:13], v[20:21], v[46:47], -v[44:45]
	v_add_f64 v[4:5], v[6:7], v[76:77]
	v_add_f64 v[2:3], v[2:3], v[10:11]
	s_waitcnt vmcnt(6)
	v_fma_f64 v[14:15], v[24:25], v[66:67], -v[54:55]
	v_add_f64 v[4:5], v[4:5], v[78:79]
	v_add_f64 v[2:3], v[2:3], v[12:13]
	v_fmac_f64_e32 v[106:107], v[26:27], v[66:67]
	v_fma_f64 v[16:17], v[28:29], v[52:53], -v[50:51]
	v_add_f64 v[4:5], v[4:5], v[104:105]
	v_add_f64 v[2:3], v[2:3], v[14:15]
	v_mul_f64 v[6:7], v[34:35], v[56:57]
	v_add_f64 v[4:5], v[4:5], v[106:107]
	v_add_f64 v[2:3], v[2:3], v[16:17]
	s_waitcnt vmcnt(4)
	v_fma_f64 v[6:7], v[32:33], v[68:69], -v[6:7]
	v_fmac_f64_e32 v[110:111], v[34:35], v[68:69]
	v_add_f64 v[4:5], v[4:5], v[108:109]
	v_add_f64 v[2:3], v[2:3], v[6:7]
	;; [unrolled: 1-line block ×3, first 2 shown]
	s_waitcnt vmcnt(2)
	v_add_f64 v[2:3], v[70:71], -v[2:3]
	s_waitcnt vmcnt(0)
	v_add_f64 v[4:5], v[72:73], -v[4:5]
	buffer_store_dword v3, off, s[0:3], 0 offset:356
	buffer_store_dword v2, off, s[0:3], 0 offset:352
	;; [unrolled: 1-line block ×4, first 2 shown]
	s_and_saveexec_b64 s[6:7], vcc
	s_cbranch_execz .LBB94_157
; %bb.156:
	v_accvgpr_read_b32 v5, a65
	buffer_load_dword v2, v5, s[0:3], 0 offen
	buffer_load_dword v3, v5, s[0:3], 0 offen offset:4
	buffer_load_dword v4, v5, s[0:3], 0 offen offset:8
	s_nop 0
	buffer_load_dword v5, v5, s[0:3], 0 offen offset:12
	v_mov_b32_e32 v6, 0
	buffer_store_dword v6, off, s[0:3], 0 offset:336
	buffer_store_dword v6, off, s[0:3], 0 offset:340
	;; [unrolled: 1-line block ×4, first 2 shown]
	s_waitcnt vmcnt(4)
	ds_write_b128 v1, v[2:5]
.LBB94_157:
	s_or_b64 exec, exec, s[6:7]
	s_waitcnt lgkmcnt(0)
	; wave barrier
	s_waitcnt lgkmcnt(0)
	buffer_load_dword v40, off, s[0:3], 0 offset:360
	buffer_load_dword v41, off, s[0:3], 0 offset:364
	;; [unrolled: 1-line block ×40, first 2 shown]
	v_mov_b32_e32 v6, 0
	ds_read_b128 v[2:5], v6 offset:848
	ds_read_b128 v[8:11], v6 offset:864
	;; [unrolled: 1-line block ×9, first 2 shown]
	v_cmp_lt_u32_e32 vcc, 20, v243
	s_waitcnt vmcnt(38) lgkmcnt(8)
	v_mul_f64 v[106:107], v[2:3], v[40:41]
	v_mul_f64 v[40:41], v[4:5], v[40:41]
	s_waitcnt vmcnt(36) lgkmcnt(7)
	v_mul_f64 v[108:109], v[8:9], v[44:45]
	v_mul_f64 v[44:45], v[10:11], v[44:45]
	;; [unrolled: 3-line block ×3, first 2 shown]
	s_waitcnt vmcnt(32) lgkmcnt(4)
	v_mul_f64 v[114:115], v[20:21], v[48:49]
	s_waitcnt vmcnt(30)
	v_fmac_f64_e32 v[114:115], v[22:23], v[50:51]
	s_waitcnt vmcnt(28)
	v_mul_f64 v[112:113], v[16:17], v[52:53]
	v_mul_f64 v[52:53], v[18:19], v[52:53]
	s_waitcnt vmcnt(26) lgkmcnt(2)
	v_mul_f64 v[118:119], v[28:29], v[54:55]
	s_waitcnt vmcnt(24)
	v_fmac_f64_e32 v[118:119], v[30:31], v[56:57]
	s_waitcnt vmcnt(22)
	v_mul_f64 v[116:117], v[24:25], v[58:59]
	s_waitcnt vmcnt(18) lgkmcnt(1)
	v_mul_f64 v[120:121], v[32:33], v[64:65]
	s_waitcnt vmcnt(17) lgkmcnt(0)
	v_mul_f64 v[122:123], v[36:37], v[60:61]
	s_waitcnt vmcnt(15)
	v_fma_f64 v[2:3], v[2:3], v[66:67], -v[40:41]
	v_fmac_f64_e32 v[106:107], v[4:5], v[66:67]
	s_waitcnt vmcnt(13)
	v_fma_f64 v[4:5], v[8:9], v[68:69], -v[44:45]
	v_add_f64 v[2:3], v[2:3], 0
	s_waitcnt vmcnt(11)
	v_fma_f64 v[8:9], v[12:13], v[70:71], -v[46:47]
	v_add_f64 v[2:3], v[2:3], v[4:5]
	v_fmac_f64_e32 v[108:109], v[10:11], v[68:69]
	s_waitcnt vmcnt(9)
	v_fma_f64 v[10:11], v[16:17], v[72:73], -v[52:53]
	v_add_f64 v[2:3], v[2:3], v[8:9]
	v_mul_f64 v[8:9], v[22:23], v[48:49]
	v_add_f64 v[2:3], v[2:3], v[10:11]
	v_fma_f64 v[8:9], v[20:21], v[50:51], -v[8:9]
	v_add_f64 v[2:3], v[2:3], v[8:9]
	v_mul_f64 v[8:9], v[26:27], v[58:59]
	v_add_f64 v[12:13], v[106:107], 0
	s_waitcnt vmcnt(7)
	v_fma_f64 v[8:9], v[24:25], v[74:75], -v[8:9]
	v_fmac_f64_e32 v[110:111], v[14:15], v[70:71]
	v_add_f64 v[12:13], v[12:13], v[108:109]
	v_add_f64 v[2:3], v[2:3], v[8:9]
	v_mul_f64 v[8:9], v[30:31], v[54:55]
	v_fmac_f64_e32 v[112:113], v[18:19], v[72:73]
	v_add_f64 v[4:5], v[12:13], v[110:111]
	v_fma_f64 v[8:9], v[28:29], v[56:57], -v[8:9]
	v_add_f64 v[4:5], v[4:5], v[112:113]
	v_add_f64 v[2:3], v[2:3], v[8:9]
	v_mul_f64 v[8:9], v[34:35], v[64:65]
	v_fmac_f64_e32 v[116:117], v[26:27], v[74:75]
	v_add_f64 v[4:5], v[4:5], v[114:115]
	s_waitcnt vmcnt(5)
	v_fma_f64 v[8:9], v[32:33], v[76:77], -v[8:9]
	v_add_f64 v[4:5], v[4:5], v[116:117]
	v_add_f64 v[2:3], v[2:3], v[8:9]
	v_mul_f64 v[8:9], v[38:39], v[60:61]
	v_fmac_f64_e32 v[120:121], v[34:35], v[76:77]
	v_add_f64 v[4:5], v[4:5], v[118:119]
	s_waitcnt vmcnt(4)
	v_fma_f64 v[8:9], v[36:37], v[62:63], -v[8:9]
	v_fmac_f64_e32 v[122:123], v[38:39], v[62:63]
	v_add_f64 v[4:5], v[4:5], v[120:121]
	v_add_f64 v[2:3], v[2:3], v[8:9]
	;; [unrolled: 1-line block ×3, first 2 shown]
	s_waitcnt vmcnt(2)
	v_add_f64 v[2:3], v[78:79], -v[2:3]
	s_waitcnt vmcnt(0)
	v_add_f64 v[4:5], v[104:105], -v[4:5]
	buffer_store_dword v3, off, s[0:3], 0 offset:340
	buffer_store_dword v2, off, s[0:3], 0 offset:336
	;; [unrolled: 1-line block ×4, first 2 shown]
	s_and_saveexec_b64 s[6:7], vcc
	s_cbranch_execz .LBB94_159
; %bb.158:
	v_accvgpr_read_b32 v5, a66
	buffer_load_dword v2, v5, s[0:3], 0 offen
	buffer_load_dword v3, v5, s[0:3], 0 offen offset:4
	buffer_load_dword v4, v5, s[0:3], 0 offen offset:8
	s_nop 0
	buffer_load_dword v5, v5, s[0:3], 0 offen offset:12
	s_nop 0
	buffer_store_dword v6, off, s[0:3], 0 offset:320
	buffer_store_dword v6, off, s[0:3], 0 offset:324
	;; [unrolled: 1-line block ×4, first 2 shown]
	s_waitcnt vmcnt(4)
	ds_write_b128 v1, v[2:5]
.LBB94_159:
	s_or_b64 exec, exec, s[6:7]
	s_waitcnt lgkmcnt(0)
	; wave barrier
	s_waitcnt lgkmcnt(0)
	buffer_load_dword v4, off, s[0:3], 0 offset:336
	buffer_load_dword v5, off, s[0:3], 0 offset:340
	;; [unrolled: 1-line block ×44, first 2 shown]
	ds_read_b128 v[8:11], v6 offset:832
	ds_read_b128 v[12:15], v6 offset:848
	ds_read_b128 v[16:19], v6 offset:864
	ds_read_b128 v[20:23], v6 offset:880
	ds_read_b128 v[24:27], v6 offset:896
	ds_read_b128 v[28:31], v6 offset:912
	ds_read_b128 v[32:35], v6 offset:928
	ds_read_b128 v[36:39], v6 offset:944
	ds_read_b128 v[104:107], v6 offset:960
	ds_read_b128 v[108:111], v6 offset:976
	v_cmp_lt_u32_e32 vcc, 19, v243
	s_waitcnt vmcnt(40) lgkmcnt(9)
	v_mul_f64 v[6:7], v[8:9], v[40:41]
	v_mul_f64 v[40:41], v[10:11], v[40:41]
	s_waitcnt vmcnt(38) lgkmcnt(8)
	v_mul_f64 v[114:115], v[12:13], v[44:45]
	v_mul_f64 v[44:45], v[14:15], v[44:45]
	v_fmac_f64_e32 v[6:7], v[10:11], v[4:5]
	v_fma_f64 v[4:5], v[8:9], v[4:5], -v[40:41]
	s_waitcnt vmcnt(36) lgkmcnt(7)
	v_mul_f64 v[116:117], v[16:17], v[2:3]
	v_add_f64 v[4:5], v[4:5], 0
	v_mul_f64 v[2:3], v[18:19], v[2:3]
	v_add_f64 v[6:7], v[6:7], 0
	s_waitcnt vmcnt(30) lgkmcnt(6)
	v_mul_f64 v[118:119], v[20:21], v[50:51]
	s_waitcnt lgkmcnt(5)
	v_mul_f64 v[120:121], v[24:25], v[46:47]
	v_fmac_f64_e32 v[120:121], v[26:27], v[48:49]
	s_waitcnt vmcnt(28) lgkmcnt(3)
	v_mul_f64 v[124:125], v[32:33], v[52:53]
	s_waitcnt vmcnt(26)
	v_fmac_f64_e32 v[124:125], v[34:35], v[54:55]
	s_waitcnt vmcnt(24)
	v_mul_f64 v[122:123], v[28:29], v[56:57]
	s_waitcnt vmcnt(22) lgkmcnt(1)
	v_mul_f64 v[128:129], v[104:105], v[58:59]
	s_waitcnt vmcnt(20)
	v_fmac_f64_e32 v[128:129], v[106:107], v[60:61]
	s_waitcnt vmcnt(18)
	v_mul_f64 v[126:127], v[36:37], v[62:63]
	s_waitcnt vmcnt(16) lgkmcnt(0)
	v_mul_f64 v[130:131], v[108:109], v[64:65]
	s_waitcnt vmcnt(14)
	v_fma_f64 v[8:9], v[12:13], v[66:67], -v[44:45]
	v_add_f64 v[4:5], v[4:5], v[8:9]
	s_waitcnt vmcnt(12)
	v_fma_f64 v[2:3], v[16:17], v[68:69], -v[2:3]
	v_add_f64 v[2:3], v[4:5], v[2:3]
	v_mul_f64 v[4:5], v[22:23], v[50:51]
	s_waitcnt vmcnt(10)
	v_fma_f64 v[4:5], v[20:21], v[70:71], -v[4:5]
	v_add_f64 v[2:3], v[2:3], v[4:5]
	v_mul_f64 v[4:5], v[26:27], v[46:47]
	v_fma_f64 v[4:5], v[24:25], v[48:49], -v[4:5]
	v_add_f64 v[2:3], v[2:3], v[4:5]
	v_mul_f64 v[4:5], v[30:31], v[56:57]
	s_waitcnt vmcnt(8)
	v_fma_f64 v[4:5], v[28:29], v[72:73], -v[4:5]
	v_fmac_f64_e32 v[114:115], v[14:15], v[66:67]
	v_add_f64 v[2:3], v[2:3], v[4:5]
	v_mul_f64 v[4:5], v[34:35], v[52:53]
	v_fmac_f64_e32 v[116:117], v[18:19], v[68:69]
	v_add_f64 v[6:7], v[6:7], v[114:115]
	v_fma_f64 v[4:5], v[32:33], v[54:55], -v[4:5]
	v_fmac_f64_e32 v[118:119], v[22:23], v[70:71]
	v_add_f64 v[6:7], v[6:7], v[116:117]
	v_add_f64 v[2:3], v[2:3], v[4:5]
	v_mul_f64 v[4:5], v[38:39], v[62:63]
	v_add_f64 v[6:7], v[6:7], v[118:119]
	s_waitcnt vmcnt(6)
	v_fma_f64 v[4:5], v[36:37], v[74:75], -v[4:5]
	v_fmac_f64_e32 v[122:123], v[30:31], v[72:73]
	v_add_f64 v[6:7], v[6:7], v[120:121]
	v_add_f64 v[2:3], v[2:3], v[4:5]
	v_mul_f64 v[4:5], v[106:107], v[58:59]
	v_add_f64 v[6:7], v[6:7], v[122:123]
	v_fma_f64 v[4:5], v[104:105], v[60:61], -v[4:5]
	v_fmac_f64_e32 v[126:127], v[38:39], v[74:75]
	v_add_f64 v[6:7], v[6:7], v[124:125]
	v_add_f64 v[2:3], v[2:3], v[4:5]
	v_mul_f64 v[4:5], v[110:111], v[64:65]
	v_add_f64 v[6:7], v[6:7], v[126:127]
	s_waitcnt vmcnt(4)
	v_fma_f64 v[4:5], v[108:109], v[76:77], -v[4:5]
	v_fmac_f64_e32 v[130:131], v[110:111], v[76:77]
	v_add_f64 v[6:7], v[6:7], v[128:129]
	v_add_f64 v[2:3], v[2:3], v[4:5]
	;; [unrolled: 1-line block ×3, first 2 shown]
	s_waitcnt vmcnt(2)
	v_add_f64 v[2:3], v[78:79], -v[2:3]
	s_waitcnt vmcnt(0)
	v_add_f64 v[4:5], v[112:113], -v[6:7]
	buffer_store_dword v3, off, s[0:3], 0 offset:324
	buffer_store_dword v2, off, s[0:3], 0 offset:320
	;; [unrolled: 1-line block ×4, first 2 shown]
	s_and_saveexec_b64 s[6:7], vcc
	s_cbranch_execz .LBB94_161
; %bb.160:
	v_accvgpr_read_b32 v5, a67
	buffer_load_dword v2, v5, s[0:3], 0 offen
	buffer_load_dword v3, v5, s[0:3], 0 offen offset:4
	buffer_load_dword v4, v5, s[0:3], 0 offen offset:8
	s_nop 0
	buffer_load_dword v5, v5, s[0:3], 0 offen offset:12
	v_mov_b32_e32 v6, 0
	buffer_store_dword v6, off, s[0:3], 0 offset:304
	buffer_store_dword v6, off, s[0:3], 0 offset:308
	;; [unrolled: 1-line block ×4, first 2 shown]
	s_waitcnt vmcnt(4)
	ds_write_b128 v1, v[2:5]
.LBB94_161:
	s_or_b64 exec, exec, s[6:7]
	s_waitcnt lgkmcnt(0)
	; wave barrier
	s_waitcnt lgkmcnt(0)
	buffer_load_dword v2, off, s[0:3], 0 offset:320
	buffer_load_dword v3, off, s[0:3], 0 offset:324
	;; [unrolled: 1-line block ×48, first 2 shown]
	v_mov_b32_e32 v12, 0
	ds_read_b128 v[14:17], v12 offset:816
	ds_read_b128 v[18:21], v12 offset:832
	;; [unrolled: 1-line block ×11, first 2 shown]
	v_cmp_lt_u32_e32 vcc, 18, v243
	s_waitcnt vmcnt(44) lgkmcnt(10)
	v_mul_f64 v[122:123], v[14:15], v[6:7]
	v_mul_f64 v[6:7], v[16:17], v[6:7]
	v_fmac_f64_e32 v[122:123], v[16:17], v[2:3]
	v_fma_f64 v[2:3], v[14:15], v[2:3], -v[6:7]
	s_waitcnt vmcnt(40) lgkmcnt(9)
	v_mul_f64 v[124:125], v[18:19], v[8:9]
	v_mul_f64 v[6:7], v[20:21], v[8:9]
	v_fmac_f64_e32 v[124:125], v[20:21], v[4:5]
	v_add_f64 v[2:3], v[2:3], 0
	v_fma_f64 v[4:5], v[18:19], v[4:5], -v[6:7]
	v_add_f64 v[2:3], v[2:3], v[4:5]
	s_waitcnt vmcnt(38) lgkmcnt(8)
	v_mul_f64 v[4:5], v[24:25], v[10:11]
	v_mul_f64 v[126:127], v[22:23], v[10:11]
	v_add_f64 v[122:123], v[122:123], 0
	s_waitcnt vmcnt(32) lgkmcnt(7)
	v_mul_f64 v[128:129], v[26:27], v[48:49]
	v_add_f64 v[122:123], v[122:123], v[124:125]
	s_waitcnt lgkmcnt(6)
	v_mul_f64 v[130:131], v[30:31], v[44:45]
	v_fmac_f64_e32 v[130:131], v[32:33], v[46:47]
	s_waitcnt vmcnt(30) lgkmcnt(4)
	v_mul_f64 v[134:135], v[38:39], v[50:51]
	s_waitcnt vmcnt(26)
	v_mul_f64 v[132:133], v[34:35], v[54:55]
	v_fmac_f64_e32 v[134:135], v[40:41], v[52:53]
	s_waitcnt vmcnt(24) lgkmcnt(2)
	v_mul_f64 v[138:139], v[108:109], v[56:57]
	s_waitcnt vmcnt(22)
	v_fmac_f64_e32 v[138:139], v[110:111], v[58:59]
	s_waitcnt vmcnt(20)
	v_mul_f64 v[136:137], v[104:105], v[60:61]
	s_waitcnt vmcnt(16) lgkmcnt(1)
	v_mul_f64 v[140:141], v[112:113], v[66:67]
	s_waitcnt vmcnt(14)
	v_fma_f64 v[4:5], v[22:23], v[68:69], -v[4:5]
	v_add_f64 v[2:3], v[2:3], v[4:5]
	v_mul_f64 v[4:5], v[28:29], v[48:49]
	s_waitcnt vmcnt(12)
	v_fma_f64 v[4:5], v[26:27], v[70:71], -v[4:5]
	v_add_f64 v[2:3], v[2:3], v[4:5]
	v_mul_f64 v[4:5], v[32:33], v[44:45]
	v_fma_f64 v[4:5], v[30:31], v[46:47], -v[4:5]
	v_add_f64 v[2:3], v[2:3], v[4:5]
	v_mul_f64 v[4:5], v[36:37], v[54:55]
	s_waitcnt vmcnt(10)
	v_fma_f64 v[4:5], v[34:35], v[72:73], -v[4:5]
	v_add_f64 v[2:3], v[2:3], v[4:5]
	v_mul_f64 v[4:5], v[40:41], v[50:51]
	v_fma_f64 v[4:5], v[38:39], v[52:53], -v[4:5]
	v_fmac_f64_e32 v[126:127], v[24:25], v[68:69]
	v_add_f64 v[2:3], v[2:3], v[4:5]
	v_mul_f64 v[4:5], v[106:107], v[60:61]
	v_fmac_f64_e32 v[128:129], v[28:29], v[70:71]
	v_add_f64 v[122:123], v[122:123], v[126:127]
	s_waitcnt vmcnt(8)
	v_fma_f64 v[4:5], v[104:105], v[74:75], -v[4:5]
	v_add_f64 v[122:123], v[122:123], v[128:129]
	v_add_f64 v[2:3], v[2:3], v[4:5]
	v_mul_f64 v[4:5], v[110:111], v[56:57]
	v_fmac_f64_e32 v[132:133], v[36:37], v[72:73]
	v_add_f64 v[122:123], v[122:123], v[130:131]
	v_fma_f64 v[4:5], v[108:109], v[58:59], -v[4:5]
	v_add_f64 v[122:123], v[122:123], v[132:133]
	v_add_f64 v[2:3], v[2:3], v[4:5]
	v_mul_f64 v[4:5], v[114:115], v[66:67]
	v_fmac_f64_e32 v[136:137], v[106:107], v[74:75]
	v_add_f64 v[122:123], v[122:123], v[134:135]
	s_waitcnt vmcnt(6)
	v_fma_f64 v[4:5], v[112:113], v[76:77], -v[4:5]
	v_add_f64 v[122:123], v[122:123], v[136:137]
	v_add_f64 v[2:3], v[2:3], v[4:5]
	s_waitcnt vmcnt(5) lgkmcnt(0)
	v_mul_f64 v[4:5], v[118:119], v[62:63]
	v_fmac_f64_e32 v[140:141], v[114:115], v[76:77]
	v_add_f64 v[122:123], v[122:123], v[138:139]
	v_mul_f64 v[124:125], v[116:117], v[62:63]
	s_waitcnt vmcnt(4)
	v_fma_f64 v[4:5], v[116:117], v[64:65], -v[4:5]
	v_add_f64 v[122:123], v[122:123], v[140:141]
	v_fmac_f64_e32 v[124:125], v[118:119], v[64:65]
	v_add_f64 v[2:3], v[2:3], v[4:5]
	v_add_f64 v[122:123], v[122:123], v[124:125]
	s_waitcnt vmcnt(2)
	v_add_f64 v[2:3], v[78:79], -v[2:3]
	s_waitcnt vmcnt(0)
	v_add_f64 v[4:5], v[120:121], -v[122:123]
	buffer_store_dword v3, off, s[0:3], 0 offset:308
	buffer_store_dword v2, off, s[0:3], 0 offset:304
	;; [unrolled: 1-line block ×4, first 2 shown]
	s_and_saveexec_b64 s[6:7], vcc
	s_cbranch_execz .LBB94_163
; %bb.162:
	v_accvgpr_read_b32 v5, a68
	buffer_load_dword v2, v5, s[0:3], 0 offen
	buffer_load_dword v3, v5, s[0:3], 0 offen offset:4
	buffer_load_dword v4, v5, s[0:3], 0 offen offset:8
	s_nop 0
	buffer_load_dword v5, v5, s[0:3], 0 offen offset:12
	s_nop 0
	buffer_store_dword v12, off, s[0:3], 0 offset:288
	buffer_store_dword v12, off, s[0:3], 0 offset:292
	;; [unrolled: 1-line block ×4, first 2 shown]
	s_waitcnt vmcnt(4)
	ds_write_b128 v1, v[2:5]
.LBB94_163:
	s_or_b64 exec, exec, s[6:7]
	s_waitcnt lgkmcnt(0)
	; wave barrier
	s_waitcnt lgkmcnt(0)
	buffer_load_dword v2, off, s[0:3], 0 offset:304
	buffer_load_dword v3, off, s[0:3], 0 offset:308
	buffer_load_dword v6, off, s[0:3], 0 offset:312
	buffer_load_dword v7, off, s[0:3], 0 offset:316
	buffer_load_dword v4, off, s[0:3], 0 offset:320
	buffer_load_dword v5, off, s[0:3], 0 offset:324
	buffer_load_dword v8, off, s[0:3], 0 offset:328
	buffer_load_dword v9, off, s[0:3], 0 offset:332
	buffer_load_dword v10, off, s[0:3], 0 offset:344
	buffer_load_dword v11, off, s[0:3], 0 offset:348
	buffer_load_dword v45, off, s[0:3], 0 offset:380
	buffer_load_dword v44, off, s[0:3], 0 offset:376
	buffer_load_dword v47, off, s[0:3], 0 offset:372
	buffer_load_dword v46, off, s[0:3], 0 offset:368
	buffer_load_dword v49, off, s[0:3], 0 offset:364
	buffer_load_dword v48, off, s[0:3], 0 offset:360
	buffer_load_dword v51, off, s[0:3], 0 offset:412
	buffer_load_dword v50, off, s[0:3], 0 offset:408
	buffer_load_dword v53, off, s[0:3], 0 offset:404
	buffer_load_dword v52, off, s[0:3], 0 offset:400
	buffer_load_dword v55, off, s[0:3], 0 offset:396
	buffer_load_dword v54, off, s[0:3], 0 offset:392
	buffer_load_dword v56, off, s[0:3], 0 offset:440
	buffer_load_dword v58, off, s[0:3], 0 offset:432
	buffer_load_dword v61, off, s[0:3], 0 offset:428
	buffer_load_dword v60, off, s[0:3], 0 offset:424
	buffer_load_dword v57, off, s[0:3], 0 offset:444
	buffer_load_dword v62, off, s[0:3], 0 offset:336
	buffer_load_dword v63, off, s[0:3], 0 offset:340
	buffer_load_dword v65, off, s[0:3], 0 offset:356
	buffer_load_dword v64, off, s[0:3], 0 offset:352
	buffer_load_dword v67, off, s[0:3], 0 offset:388
	buffer_load_dword v66, off, s[0:3], 0 offset:384
	buffer_load_dword v69, off, s[0:3], 0 offset:420
	buffer_load_dword v68, off, s[0:3], 0 offset:416
	buffer_load_dword v59, off, s[0:3], 0 offset:436
	buffer_load_dword v70, off, s[0:3], 0 offset:472
	buffer_load_dword v72, off, s[0:3], 0 offset:464
	buffer_load_dword v75, off, s[0:3], 0 offset:460
	buffer_load_dword v74, off, s[0:3], 0 offset:456
	buffer_load_dword v77, off, s[0:3], 0 offset:452
	buffer_load_dword v76, off, s[0:3], 0 offset:448
	buffer_load_dword v73, off, s[0:3], 0 offset:468
	buffer_load_dword v71, off, s[0:3], 0 offset:476
	buffer_load_dword v79, off, s[0:3], 0 offset:492
	buffer_load_dword v78, off, s[0:3], 0 offset:488
	buffer_load_dword v125, off, s[0:3], 0 offset:484
	buffer_load_dword v124, off, s[0:3], 0 offset:480
	buffer_load_dword v126, off, s[0:3], 0 offset:288
	buffer_load_dword v127, off, s[0:3], 0 offset:292
	buffer_load_dword v128, off, s[0:3], 0 offset:296
	buffer_load_dword v129, off, s[0:3], 0 offset:300
	ds_read_b128 v[14:17], v12 offset:800
	ds_read_b128 v[18:21], v12 offset:816
	;; [unrolled: 1-line block ×10, first 2 shown]
	v_cmp_lt_u32_e32 vcc, 17, v243
	s_waitcnt vmcnt(48) lgkmcnt(9)
	v_mul_f64 v[116:117], v[14:15], v[6:7]
	v_mul_f64 v[6:7], v[16:17], v[6:7]
	v_fmac_f64_e32 v[116:117], v[16:17], v[2:3]
	v_fma_f64 v[2:3], v[14:15], v[2:3], -v[6:7]
	s_waitcnt vmcnt(44) lgkmcnt(8)
	v_mul_f64 v[118:119], v[18:19], v[8:9]
	v_mul_f64 v[6:7], v[20:21], v[8:9]
	v_fmac_f64_e32 v[118:119], v[20:21], v[4:5]
	v_add_f64 v[2:3], v[2:3], 0
	v_fma_f64 v[4:5], v[18:19], v[4:5], -v[6:7]
	v_add_f64 v[2:3], v[2:3], v[4:5]
	s_waitcnt vmcnt(42) lgkmcnt(7)
	v_mul_f64 v[4:5], v[24:25], v[10:11]
	v_mul_f64 v[120:121], v[22:23], v[10:11]
	v_add_f64 v[116:117], v[116:117], 0
	s_waitcnt vmcnt(36) lgkmcnt(6)
	v_mul_f64 v[122:123], v[26:27], v[48:49]
	v_add_f64 v[116:117], v[116:117], v[118:119]
	s_waitcnt lgkmcnt(5)
	v_mul_f64 v[130:131], v[30:31], v[44:45]
	v_fmac_f64_e32 v[130:131], v[32:33], v[46:47]
	s_waitcnt vmcnt(34) lgkmcnt(3)
	v_mul_f64 v[134:135], v[38:39], v[50:51]
	s_waitcnt vmcnt(30)
	v_mul_f64 v[132:133], v[34:35], v[54:55]
	v_fmac_f64_e32 v[134:135], v[40:41], v[52:53]
	s_waitcnt vmcnt(26) lgkmcnt(2)
	v_mul_f64 v[136:137], v[104:105], v[60:61]
	s_waitcnt vmcnt(25) lgkmcnt(1)
	v_mul_f64 v[138:139], v[108:109], v[56:57]
	s_waitcnt vmcnt(23)
	v_fma_f64 v[4:5], v[22:23], v[62:63], -v[4:5]
	v_add_f64 v[2:3], v[2:3], v[4:5]
	v_mul_f64 v[4:5], v[28:29], v[48:49]
	s_waitcnt vmcnt(21)
	v_fma_f64 v[4:5], v[26:27], v[64:65], -v[4:5]
	v_fmac_f64_e32 v[120:121], v[24:25], v[62:63]
	v_add_f64 v[2:3], v[2:3], v[4:5]
	v_mul_f64 v[4:5], v[32:33], v[44:45]
	v_fmac_f64_e32 v[122:123], v[28:29], v[64:65]
	v_add_f64 v[116:117], v[116:117], v[120:121]
	v_fma_f64 v[4:5], v[30:31], v[46:47], -v[4:5]
	v_add_f64 v[116:117], v[116:117], v[122:123]
	v_add_f64 v[2:3], v[2:3], v[4:5]
	v_mul_f64 v[4:5], v[36:37], v[54:55]
	s_waitcnt vmcnt(19)
	v_fmac_f64_e32 v[132:133], v[36:37], v[66:67]
	v_add_f64 v[116:117], v[116:117], v[130:131]
	v_fma_f64 v[4:5], v[34:35], v[66:67], -v[4:5]
	v_add_f64 v[116:117], v[116:117], v[132:133]
	v_add_f64 v[2:3], v[2:3], v[4:5]
	v_mul_f64 v[4:5], v[40:41], v[50:51]
	s_waitcnt vmcnt(17)
	v_fmac_f64_e32 v[136:137], v[106:107], v[68:69]
	v_add_f64 v[116:117], v[116:117], v[134:135]
	v_fma_f64 v[4:5], v[38:39], v[52:53], -v[4:5]
	s_waitcnt vmcnt(16)
	v_fmac_f64_e32 v[138:139], v[110:111], v[58:59]
	v_add_f64 v[116:117], v[116:117], v[136:137]
	v_add_f64 v[2:3], v[2:3], v[4:5]
	v_mul_f64 v[4:5], v[106:107], v[60:61]
	v_add_f64 v[130:131], v[116:117], v[138:139]
	ds_read_b128 v[116:119], v12 offset:960
	ds_read_b128 v[120:123], v12 offset:976
	v_fma_f64 v[4:5], v[104:105], v[68:69], -v[4:5]
	v_add_f64 v[2:3], v[2:3], v[4:5]
	v_mul_f64 v[4:5], v[110:111], v[56:57]
	v_fma_f64 v[4:5], v[108:109], v[58:59], -v[4:5]
	v_add_f64 v[2:3], v[2:3], v[4:5]
	s_waitcnt vmcnt(12) lgkmcnt(2)
	v_mul_f64 v[4:5], v[114:115], v[74:75]
	v_mul_f64 v[132:133], v[112:113], v[74:75]
	s_waitcnt vmcnt(10)
	v_fma_f64 v[4:5], v[112:113], v[76:77], -v[4:5]
	v_fmac_f64_e32 v[132:133], v[114:115], v[76:77]
	v_add_f64 v[2:3], v[2:3], v[4:5]
	s_waitcnt vmcnt(8) lgkmcnt(1)
	v_mul_f64 v[4:5], v[118:119], v[70:71]
	v_add_f64 v[12:13], v[130:131], v[132:133]
	v_mul_f64 v[130:131], v[116:117], v[70:71]
	v_fma_f64 v[4:5], v[116:117], v[72:73], -v[4:5]
	v_fmac_f64_e32 v[130:131], v[118:119], v[72:73]
	v_add_f64 v[2:3], v[2:3], v[4:5]
	s_waitcnt vmcnt(6) lgkmcnt(0)
	v_mul_f64 v[4:5], v[122:123], v[78:79]
	v_add_f64 v[12:13], v[12:13], v[130:131]
	v_mul_f64 v[130:131], v[120:121], v[78:79]
	s_waitcnt vmcnt(4)
	v_fma_f64 v[4:5], v[120:121], v[124:125], -v[4:5]
	v_fmac_f64_e32 v[130:131], v[122:123], v[124:125]
	v_add_f64 v[2:3], v[2:3], v[4:5]
	v_add_f64 v[12:13], v[12:13], v[130:131]
	s_waitcnt vmcnt(2)
	v_add_f64 v[2:3], v[126:127], -v[2:3]
	s_waitcnt vmcnt(0)
	v_add_f64 v[4:5], v[128:129], -v[12:13]
	buffer_store_dword v3, off, s[0:3], 0 offset:292
	buffer_store_dword v2, off, s[0:3], 0 offset:288
	;; [unrolled: 1-line block ×4, first 2 shown]
	s_and_saveexec_b64 s[6:7], vcc
	s_cbranch_execz .LBB94_165
; %bb.164:
	v_accvgpr_read_b32 v5, a69
	buffer_load_dword v2, v5, s[0:3], 0 offen
	buffer_load_dword v3, v5, s[0:3], 0 offen offset:4
	buffer_load_dword v4, v5, s[0:3], 0 offen offset:8
	s_nop 0
	buffer_load_dword v5, v5, s[0:3], 0 offen offset:12
	v_mov_b32_e32 v6, 0
	buffer_store_dword v6, off, s[0:3], 0 offset:272
	buffer_store_dword v6, off, s[0:3], 0 offset:276
	;; [unrolled: 1-line block ×4, first 2 shown]
	s_waitcnt vmcnt(4)
	ds_write_b128 v1, v[2:5]
.LBB94_165:
	s_or_b64 exec, exec, s[6:7]
	s_waitcnt lgkmcnt(0)
	; wave barrier
	s_waitcnt lgkmcnt(0)
	buffer_load_dword v2, off, s[0:3], 0 offset:288
	buffer_load_dword v3, off, s[0:3], 0 offset:292
	;; [unrolled: 1-line block ×56, first 2 shown]
	v_mov_b32_e32 v24, 0
	ds_read_b128 v[18:21], v24 offset:784
	ds_read_b128 v[26:29], v24 offset:800
	ds_read_b128 v[30:33], v24 offset:816
	ds_read_b128 v[34:37], v24 offset:832
	ds_read_b128 v[38:41], v24 offset:848
	ds_read_b128 v[104:107], v24 offset:864
	ds_read_b128 v[108:111], v24 offset:880
	ds_read_b128 v[112:115], v24 offset:896
	ds_read_b128 v[132:135], v24 offset:976
	v_cmp_lt_u32_e32 vcc, 16, v243
	s_waitcnt vmcnt(52) lgkmcnt(8)
	v_mul_f64 v[116:117], v[18:19], v[6:7]
	v_fmac_f64_e32 v[116:117], v[20:21], v[2:3]
	v_mul_f64 v[6:7], v[20:21], v[6:7]
	v_add_f64 v[116:117], v[116:117], 0
	s_waitcnt vmcnt(48) lgkmcnt(7)
	v_mul_f64 v[118:119], v[26:27], v[8:9]
	v_fmac_f64_e32 v[118:119], v[28:29], v[4:5]
	s_waitcnt vmcnt(46) lgkmcnt(6)
	v_mul_f64 v[120:121], v[30:31], v[10:11]
	v_fma_f64 v[2:3], v[18:19], v[2:3], -v[6:7]
	v_mul_f64 v[6:7], v[28:29], v[8:9]
	v_add_f64 v[116:117], v[116:117], v[118:119]
	v_add_f64 v[2:3], v[2:3], 0
	v_fma_f64 v[4:5], v[26:27], v[4:5], -v[6:7]
	s_waitcnt vmcnt(40) lgkmcnt(5)
	v_mul_f64 v[122:123], v[34:35], v[16:17]
	s_waitcnt lgkmcnt(4)
	v_mul_f64 v[124:125], v[38:39], v[12:13]
	v_add_f64 v[2:3], v[2:3], v[4:5]
	v_mul_f64 v[4:5], v[32:33], v[10:11]
	s_waitcnt vmcnt(36) lgkmcnt(3)
	v_mul_f64 v[126:127], v[104:105], v[46:47]
	v_fmac_f64_e32 v[124:125], v[40:41], v[14:15]
	s_waitcnt vmcnt(35) lgkmcnt(2)
	v_mul_f64 v[128:129], v[108:109], v[22:23]
	s_waitcnt vmcnt(33)
	v_fmac_f64_e32 v[120:121], v[32:33], v[48:49]
	v_add_f64 v[116:117], v[116:117], v[120:121]
	s_waitcnt vmcnt(31)
	v_fmac_f64_e32 v[122:123], v[36:37], v[50:51]
	v_add_f64 v[116:117], v[116:117], v[122:123]
	v_fma_f64 v[4:5], v[30:31], v[48:49], -v[4:5]
	s_waitcnt vmcnt(29)
	v_fmac_f64_e32 v[126:127], v[106:107], v[52:53]
	v_add_f64 v[116:117], v[116:117], v[124:125]
	v_add_f64 v[2:3], v[2:3], v[4:5]
	v_mul_f64 v[4:5], v[36:37], v[16:17]
	s_waitcnt vmcnt(28)
	v_fmac_f64_e32 v[128:129], v[110:111], v[44:45]
	v_add_f64 v[116:117], v[116:117], v[126:127]
	v_fma_f64 v[4:5], v[34:35], v[50:51], -v[4:5]
	v_add_f64 v[120:121], v[116:117], v[128:129]
	ds_read_b128 v[116:119], v24 offset:912
	s_waitcnt vmcnt(24) lgkmcnt(2)
	v_mul_f64 v[122:123], v[112:113], v[58:59]
	v_add_f64 v[2:3], v[2:3], v[4:5]
	v_mul_f64 v[4:5], v[40:41], v[12:13]
	s_waitcnt vmcnt(22)
	v_fmac_f64_e32 v[122:123], v[114:115], v[60:61]
	v_fma_f64 v[4:5], v[38:39], v[14:15], -v[4:5]
	v_add_f64 v[124:125], v[120:121], v[122:123]
	ds_read_b128 v[120:123], v24 offset:928
	v_add_f64 v[2:3], v[2:3], v[4:5]
	v_mul_f64 v[4:5], v[106:107], v[46:47]
	v_fma_f64 v[4:5], v[104:105], v[52:53], -v[4:5]
	v_add_f64 v[2:3], v[2:3], v[4:5]
	v_mul_f64 v[4:5], v[110:111], v[22:23]
	s_waitcnt vmcnt(20) lgkmcnt(1)
	v_mul_f64 v[126:127], v[116:117], v[54:55]
	v_fma_f64 v[4:5], v[108:109], v[44:45], -v[4:5]
	v_fmac_f64_e32 v[126:127], v[118:119], v[56:57]
	v_add_f64 v[2:3], v[2:3], v[4:5]
	v_mul_f64 v[4:5], v[114:115], v[58:59]
	v_add_f64 v[128:129], v[124:125], v[126:127]
	ds_read_b128 v[124:127], v24 offset:944
	s_waitcnt vmcnt(16) lgkmcnt(1)
	v_mul_f64 v[130:131], v[120:121], v[66:67]
	v_fma_f64 v[4:5], v[112:113], v[60:61], -v[4:5]
	s_waitcnt vmcnt(14)
	v_fmac_f64_e32 v[130:131], v[122:123], v[68:69]
	v_add_f64 v[2:3], v[2:3], v[4:5]
	v_mul_f64 v[4:5], v[118:119], v[54:55]
	v_add_f64 v[138:139], v[128:129], v[130:131]
	ds_read_b128 v[128:131], v24 offset:960
	v_fma_f64 v[4:5], v[116:117], v[56:57], -v[4:5]
	v_add_f64 v[2:3], v[2:3], v[4:5]
	v_mul_f64 v[4:5], v[122:123], v[66:67]
	v_fma_f64 v[4:5], v[120:121], v[68:69], -v[4:5]
	v_add_f64 v[2:3], v[2:3], v[4:5]
	s_waitcnt vmcnt(12) lgkmcnt(1)
	v_mul_f64 v[4:5], v[126:127], v[62:63]
	v_mul_f64 v[140:141], v[124:125], v[62:63]
	v_fma_f64 v[4:5], v[124:125], v[64:65], -v[4:5]
	v_fmac_f64_e32 v[140:141], v[126:127], v[64:65]
	v_add_f64 v[2:3], v[2:3], v[4:5]
	s_waitcnt vmcnt(8) lgkmcnt(0)
	v_mul_f64 v[4:5], v[130:131], v[74:75]
	v_add_f64 v[138:139], v[138:139], v[140:141]
	v_mul_f64 v[140:141], v[128:129], v[74:75]
	s_waitcnt vmcnt(6)
	v_fma_f64 v[4:5], v[128:129], v[76:77], -v[4:5]
	v_fmac_f64_e32 v[140:141], v[130:131], v[76:77]
	v_add_f64 v[2:3], v[2:3], v[4:5]
	s_waitcnt vmcnt(5)
	v_mul_f64 v[4:5], v[134:135], v[70:71]
	v_add_f64 v[138:139], v[138:139], v[140:141]
	v_mul_f64 v[140:141], v[132:133], v[70:71]
	s_waitcnt vmcnt(4)
	v_fma_f64 v[4:5], v[132:133], v[72:73], -v[4:5]
	v_fmac_f64_e32 v[140:141], v[134:135], v[72:73]
	v_add_f64 v[2:3], v[2:3], v[4:5]
	v_add_f64 v[138:139], v[138:139], v[140:141]
	s_waitcnt vmcnt(2)
	v_add_f64 v[2:3], v[78:79], -v[2:3]
	s_waitcnt vmcnt(0)
	v_add_f64 v[4:5], v[136:137], -v[138:139]
	buffer_store_dword v3, off, s[0:3], 0 offset:276
	buffer_store_dword v2, off, s[0:3], 0 offset:272
	;; [unrolled: 1-line block ×4, first 2 shown]
	s_and_saveexec_b64 s[6:7], vcc
	s_cbranch_execz .LBB94_167
; %bb.166:
	v_accvgpr_read_b32 v5, a70
	buffer_load_dword v2, v5, s[0:3], 0 offen
	buffer_load_dword v3, v5, s[0:3], 0 offen offset:4
	buffer_load_dword v4, v5, s[0:3], 0 offen offset:8
	s_nop 0
	buffer_load_dword v5, v5, s[0:3], 0 offen offset:12
	s_nop 0
	buffer_store_dword v24, off, s[0:3], 0 offset:256
	buffer_store_dword v24, off, s[0:3], 0 offset:260
	;; [unrolled: 1-line block ×4, first 2 shown]
	s_waitcnt vmcnt(4)
	ds_write_b128 v1, v[2:5]
.LBB94_167:
	s_or_b64 exec, exec, s[6:7]
	s_waitcnt lgkmcnt(0)
	; wave barrier
	s_waitcnt lgkmcnt(0)
	buffer_load_dword v2, off, s[0:3], 0 offset:272
	buffer_load_dword v3, off, s[0:3], 0 offset:276
	;; [unrolled: 1-line block ×60, first 2 shown]
	ds_read_b128 v[26:29], v24 offset:768
	ds_read_b128 v[30:33], v24 offset:784
	;; [unrolled: 1-line block ×8, first 2 shown]
	v_cmp_lt_u32_e32 vcc, 15, v243
	ds_read_b128 v[140:143], v24 offset:976
	s_waitcnt vmcnt(56) lgkmcnt(8)
	v_mul_f64 v[120:121], v[26:27], v[6:7]
	v_fmac_f64_e32 v[120:121], v[28:29], v[2:3]
	v_add_f64 v[120:121], v[120:121], 0
	v_mul_f64 v[6:7], v[28:29], v[6:7]
	s_waitcnt vmcnt(52) lgkmcnt(7)
	v_mul_f64 v[122:123], v[30:31], v[8:9]
	v_fmac_f64_e32 v[122:123], v[32:33], v[4:5]
	s_waitcnt vmcnt(50) lgkmcnt(6)
	v_mul_f64 v[124:125], v[34:35], v[10:11]
	v_add_f64 v[120:121], v[120:121], v[122:123]
	s_waitcnt vmcnt(48) lgkmcnt(4)
	v_mul_f64 v[128:129], v[104:105], v[12:13]
	v_fma_f64 v[2:3], v[26:27], v[2:3], -v[6:7]
	s_waitcnt vmcnt(46)
	v_fmac_f64_e32 v[128:129], v[106:107], v[14:15]
	v_mul_f64 v[6:7], v[32:33], v[8:9]
	s_waitcnt vmcnt(44)
	v_mul_f64 v[126:127], v[38:39], v[16:17]
	v_add_f64 v[2:3], v[2:3], 0
	v_fma_f64 v[4:5], v[30:31], v[4:5], -v[6:7]
	v_add_f64 v[2:3], v[2:3], v[4:5]
	s_waitcnt vmcnt(40) lgkmcnt(3)
	v_mul_f64 v[130:131], v[108:109], v[22:23]
	v_mul_f64 v[4:5], v[36:37], v[10:11]
	s_waitcnt vmcnt(38)
	v_fmac_f64_e32 v[124:125], v[36:37], v[44:45]
	v_add_f64 v[120:121], v[120:121], v[124:125]
	s_waitcnt vmcnt(36)
	v_fmac_f64_e32 v[126:127], v[40:41], v[46:47]
	v_add_f64 v[120:121], v[120:121], v[126:127]
	s_waitcnt vmcnt(34)
	v_fmac_f64_e32 v[130:131], v[110:111], v[48:49]
	v_add_f64 v[120:121], v[120:121], v[128:129]
	s_waitcnt vmcnt(32) lgkmcnt(2)
	v_mul_f64 v[122:123], v[112:113], v[18:19]
	v_add_f64 v[120:121], v[120:121], v[130:131]
	v_fmac_f64_e32 v[122:123], v[114:115], v[20:21]
	v_add_f64 v[124:125], v[120:121], v[122:123]
	ds_read_b128 v[120:123], v24 offset:896
	v_fma_f64 v[4:5], v[34:35], v[44:45], -v[4:5]
	v_add_f64 v[2:3], v[2:3], v[4:5]
	v_mul_f64 v[4:5], v[40:41], v[16:17]
	v_fma_f64 v[4:5], v[38:39], v[46:47], -v[4:5]
	s_waitcnt vmcnt(28) lgkmcnt(2)
	v_mul_f64 v[126:127], v[116:117], v[54:55]
	v_add_f64 v[2:3], v[2:3], v[4:5]
	v_mul_f64 v[4:5], v[106:107], v[12:13]
	s_waitcnt vmcnt(26)
	v_fmac_f64_e32 v[126:127], v[118:119], v[56:57]
	v_fma_f64 v[4:5], v[104:105], v[14:15], -v[4:5]
	v_add_f64 v[128:129], v[124:125], v[126:127]
	ds_read_b128 v[124:127], v24 offset:912
	s_waitcnt vmcnt(24) lgkmcnt(1)
	v_mul_f64 v[130:131], v[120:121], v[50:51]
	v_add_f64 v[2:3], v[2:3], v[4:5]
	v_mul_f64 v[4:5], v[110:111], v[22:23]
	v_fmac_f64_e32 v[130:131], v[122:123], v[52:53]
	v_fma_f64 v[4:5], v[108:109], v[48:49], -v[4:5]
	v_add_f64 v[132:133], v[128:129], v[130:131]
	ds_read_b128 v[128:131], v24 offset:928
	v_add_f64 v[2:3], v[2:3], v[4:5]
	v_mul_f64 v[4:5], v[114:115], v[18:19]
	v_fma_f64 v[4:5], v[112:113], v[20:21], -v[4:5]
	v_add_f64 v[2:3], v[2:3], v[4:5]
	v_mul_f64 v[4:5], v[118:119], v[54:55]
	s_waitcnt vmcnt(20) lgkmcnt(1)
	v_mul_f64 v[134:135], v[124:125], v[62:63]
	v_fma_f64 v[4:5], v[116:117], v[56:57], -v[4:5]
	s_waitcnt vmcnt(18)
	v_fmac_f64_e32 v[134:135], v[126:127], v[64:65]
	v_add_f64 v[2:3], v[2:3], v[4:5]
	v_mul_f64 v[4:5], v[122:123], v[50:51]
	v_add_f64 v[136:137], v[132:133], v[134:135]
	ds_read_b128 v[132:135], v24 offset:944
	s_waitcnt vmcnt(16) lgkmcnt(1)
	v_mul_f64 v[138:139], v[128:129], v[58:59]
	v_fma_f64 v[4:5], v[120:121], v[52:53], -v[4:5]
	v_fmac_f64_e32 v[138:139], v[130:131], v[60:61]
	v_add_f64 v[2:3], v[2:3], v[4:5]
	v_mul_f64 v[4:5], v[126:127], v[62:63]
	v_add_f64 v[146:147], v[136:137], v[138:139]
	ds_read_b128 v[136:139], v24 offset:960
	v_fma_f64 v[4:5], v[124:125], v[64:65], -v[4:5]
	v_add_f64 v[2:3], v[2:3], v[4:5]
	v_mul_f64 v[4:5], v[130:131], v[58:59]
	v_fma_f64 v[4:5], v[128:129], v[60:61], -v[4:5]
	v_add_f64 v[2:3], v[2:3], v[4:5]
	s_waitcnt vmcnt(12) lgkmcnt(1)
	v_mul_f64 v[4:5], v[134:135], v[70:71]
	v_mul_f64 v[148:149], v[132:133], v[70:71]
	s_waitcnt vmcnt(10)
	v_fma_f64 v[4:5], v[132:133], v[72:73], -v[4:5]
	v_fmac_f64_e32 v[148:149], v[134:135], v[72:73]
	v_add_f64 v[2:3], v[2:3], v[4:5]
	s_waitcnt vmcnt(8) lgkmcnt(0)
	v_mul_f64 v[4:5], v[138:139], v[66:67]
	v_add_f64 v[24:25], v[146:147], v[148:149]
	v_mul_f64 v[146:147], v[136:137], v[66:67]
	v_fma_f64 v[4:5], v[136:137], v[68:69], -v[4:5]
	v_fmac_f64_e32 v[146:147], v[138:139], v[68:69]
	v_add_f64 v[2:3], v[2:3], v[4:5]
	s_waitcnt vmcnt(6)
	v_mul_f64 v[4:5], v[142:143], v[74:75]
	v_add_f64 v[24:25], v[24:25], v[146:147]
	v_mul_f64 v[146:147], v[140:141], v[74:75]
	s_waitcnt vmcnt(4)
	v_fma_f64 v[4:5], v[140:141], v[76:77], -v[4:5]
	v_fmac_f64_e32 v[146:147], v[142:143], v[76:77]
	v_add_f64 v[2:3], v[2:3], v[4:5]
	v_add_f64 v[24:25], v[24:25], v[146:147]
	s_waitcnt vmcnt(2)
	v_add_f64 v[2:3], v[78:79], -v[2:3]
	s_waitcnt vmcnt(0)
	v_add_f64 v[4:5], v[144:145], -v[24:25]
	buffer_store_dword v3, off, s[0:3], 0 offset:260
	buffer_store_dword v2, off, s[0:3], 0 offset:256
	buffer_store_dword v5, off, s[0:3], 0 offset:268
	buffer_store_dword v4, off, s[0:3], 0 offset:264
	s_and_saveexec_b64 s[6:7], vcc
	s_cbranch_execz .LBB94_169
; %bb.168:
	v_accvgpr_read_b32 v5, a71
	buffer_load_dword v2, v5, s[0:3], 0 offen
	buffer_load_dword v3, v5, s[0:3], 0 offen offset:4
	buffer_load_dword v4, v5, s[0:3], 0 offen offset:8
	s_nop 0
	buffer_load_dword v5, v5, s[0:3], 0 offen offset:12
	v_mov_b32_e32 v6, 0
	buffer_store_dword v6, off, s[0:3], 0 offset:240
	buffer_store_dword v6, off, s[0:3], 0 offset:244
	;; [unrolled: 1-line block ×4, first 2 shown]
	s_waitcnt vmcnt(4)
	ds_write_b128 v1, v[2:5]
.LBB94_169:
	s_or_b64 exec, exec, s[6:7]
	s_waitcnt lgkmcnt(0)
	; wave barrier
	s_waitcnt lgkmcnt(0)
	buffer_load_dword v2, off, s[0:3], 0 offset:256
	buffer_load_dword v3, off, s[0:3], 0 offset:260
	;; [unrolled: 1-line block ×64, first 2 shown]
	v_mov_b32_e32 v38, 0
	ds_read_b128 v[30:33], v38 offset:752
	ds_read_b128 v[34:37], v38 offset:768
	;; [unrolled: 1-line block ×7, first 2 shown]
	v_cmp_lt_u32_e32 vcc, 14, v243
	s_waitcnt vmcnt(60) lgkmcnt(6)
	v_mul_f64 v[78:79], v[30:31], v[6:7]
	v_fmac_f64_e32 v[78:79], v[32:33], v[2:3]
	v_add_f64 v[78:79], v[78:79], 0
	v_mul_f64 v[6:7], v[32:33], v[6:7]
	s_waitcnt vmcnt(56) lgkmcnt(5)
	v_mul_f64 v[120:121], v[34:35], v[8:9]
	v_fmac_f64_e32 v[120:121], v[36:37], v[4:5]
	s_waitcnt vmcnt(54) lgkmcnt(4)
	v_mul_f64 v[122:123], v[104:105], v[10:11]
	v_add_f64 v[78:79], v[78:79], v[120:121]
	v_fma_f64 v[2:3], v[30:31], v[2:3], -v[6:7]
	v_mul_f64 v[6:7], v[36:37], v[8:9]
	s_waitcnt vmcnt(50) lgkmcnt(3)
	v_mul_f64 v[124:125], v[108:109], v[16:17]
	s_waitcnt vmcnt(49) lgkmcnt(2)
	v_mul_f64 v[126:127], v[112:113], v[12:13]
	v_add_f64 v[2:3], v[2:3], 0
	s_waitcnt vmcnt(47)
	v_fmac_f64_e32 v[122:123], v[106:107], v[20:21]
	v_add_f64 v[78:79], v[78:79], v[122:123]
	s_waitcnt vmcnt(45)
	v_fmac_f64_e32 v[124:125], v[110:111], v[18:19]
	;; [unrolled: 3-line block ×3, first 2 shown]
	ds_read_b128 v[120:123], v38 offset:848
	v_add_f64 v[78:79], v[78:79], v[126:127]
	s_waitcnt vmcnt(40) lgkmcnt(2)
	v_mul_f64 v[124:125], v[116:117], v[26:27]
	v_fma_f64 v[4:5], v[34:35], v[4:5], -v[6:7]
	s_waitcnt vmcnt(38)
	v_fmac_f64_e32 v[124:125], v[118:119], v[28:29]
	v_add_f64 v[78:79], v[78:79], v[124:125]
	ds_read_b128 v[124:127], v38 offset:864
	s_waitcnt vmcnt(36) lgkmcnt(1)
	v_mul_f64 v[128:129], v[120:121], v[22:23]
	v_fmac_f64_e32 v[128:129], v[122:123], v[24:25]
	v_add_f64 v[2:3], v[2:3], v[4:5]
	v_mul_f64 v[4:5], v[106:107], v[10:11]
	v_add_f64 v[78:79], v[78:79], v[128:129]
	ds_read_b128 v[128:131], v38 offset:880
	s_waitcnt vmcnt(32) lgkmcnt(1)
	v_mul_f64 v[132:133], v[124:125], v[46:47]
	v_fma_f64 v[4:5], v[104:105], v[20:21], -v[4:5]
	s_waitcnt vmcnt(30)
	v_fmac_f64_e32 v[132:133], v[126:127], v[48:49]
	v_add_f64 v[2:3], v[2:3], v[4:5]
	v_mul_f64 v[4:5], v[110:111], v[16:17]
	v_add_f64 v[78:79], v[78:79], v[132:133]
	ds_read_b128 v[132:135], v38 offset:896
	v_fma_f64 v[4:5], v[108:109], v[18:19], -v[4:5]
	v_add_f64 v[2:3], v[2:3], v[4:5]
	v_mul_f64 v[4:5], v[114:115], v[12:13]
	v_fma_f64 v[4:5], v[112:113], v[14:15], -v[4:5]
	s_waitcnt vmcnt(28) lgkmcnt(1)
	v_mul_f64 v[136:137], v[128:129], v[40:41]
	v_add_f64 v[2:3], v[2:3], v[4:5]
	v_mul_f64 v[4:5], v[118:119], v[26:27]
	v_fmac_f64_e32 v[136:137], v[130:131], v[44:45]
	v_fma_f64 v[4:5], v[116:117], v[28:29], -v[4:5]
	v_add_f64 v[78:79], v[78:79], v[136:137]
	ds_read_b128 v[136:139], v38 offset:912
	s_waitcnt vmcnt(24) lgkmcnt(1)
	v_mul_f64 v[140:141], v[132:133], v[54:55]
	v_add_f64 v[2:3], v[2:3], v[4:5]
	v_mul_f64 v[4:5], v[122:123], v[22:23]
	s_waitcnt vmcnt(22)
	v_fmac_f64_e32 v[140:141], v[134:135], v[56:57]
	v_fma_f64 v[4:5], v[120:121], v[24:25], -v[4:5]
	v_add_f64 v[78:79], v[78:79], v[140:141]
	ds_read_b128 v[140:143], v38 offset:928
	v_add_f64 v[2:3], v[2:3], v[4:5]
	v_mul_f64 v[4:5], v[126:127], v[46:47]
	v_fma_f64 v[4:5], v[124:125], v[48:49], -v[4:5]
	v_add_f64 v[2:3], v[2:3], v[4:5]
	v_mul_f64 v[4:5], v[130:131], v[40:41]
	s_waitcnt vmcnt(20) lgkmcnt(1)
	v_mul_f64 v[144:145], v[136:137], v[50:51]
	v_fma_f64 v[4:5], v[128:129], v[44:45], -v[4:5]
	v_fmac_f64_e32 v[144:145], v[138:139], v[52:53]
	v_add_f64 v[2:3], v[2:3], v[4:5]
	v_mul_f64 v[4:5], v[134:135], v[54:55]
	v_add_f64 v[78:79], v[78:79], v[144:145]
	ds_read_b128 v[144:147], v38 offset:944
	s_waitcnt vmcnt(16) lgkmcnt(1)
	v_mul_f64 v[148:149], v[140:141], v[62:63]
	v_fma_f64 v[4:5], v[132:133], v[56:57], -v[4:5]
	s_waitcnt vmcnt(14)
	v_fmac_f64_e32 v[148:149], v[142:143], v[64:65]
	v_add_f64 v[2:3], v[2:3], v[4:5]
	v_mul_f64 v[4:5], v[138:139], v[50:51]
	v_add_f64 v[78:79], v[78:79], v[148:149]
	ds_read_b128 v[148:151], v38 offset:960
	v_fma_f64 v[4:5], v[136:137], v[52:53], -v[4:5]
	v_add_f64 v[2:3], v[2:3], v[4:5]
	v_mul_f64 v[4:5], v[142:143], v[62:63]
	v_fma_f64 v[4:5], v[140:141], v[64:65], -v[4:5]
	v_add_f64 v[2:3], v[2:3], v[4:5]
	s_waitcnt vmcnt(12) lgkmcnt(1)
	v_mul_f64 v[4:5], v[146:147], v[58:59]
	v_mul_f64 v[156:157], v[144:145], v[58:59]
	v_fma_f64 v[4:5], v[144:145], v[60:61], -v[4:5]
	v_fmac_f64_e32 v[156:157], v[146:147], v[60:61]
	v_add_f64 v[2:3], v[2:3], v[4:5]
	s_waitcnt vmcnt(8) lgkmcnt(0)
	v_mul_f64 v[4:5], v[150:151], v[70:71]
	v_add_f64 v[78:79], v[78:79], v[156:157]
	v_mul_f64 v[156:157], v[148:149], v[70:71]
	s_waitcnt vmcnt(6)
	v_fma_f64 v[4:5], v[148:149], v[72:73], -v[4:5]
	v_fmac_f64_e32 v[156:157], v[150:151], v[72:73]
	v_add_f64 v[2:3], v[2:3], v[4:5]
	s_waitcnt vmcnt(5)
	v_mul_f64 v[4:5], v[154:155], v[66:67]
	v_add_f64 v[78:79], v[78:79], v[156:157]
	v_mul_f64 v[156:157], v[152:153], v[66:67]
	s_waitcnt vmcnt(4)
	v_fma_f64 v[4:5], v[152:153], v[68:69], -v[4:5]
	v_fmac_f64_e32 v[156:157], v[154:155], v[68:69]
	v_add_f64 v[2:3], v[2:3], v[4:5]
	v_add_f64 v[78:79], v[78:79], v[156:157]
	s_waitcnt vmcnt(2)
	v_add_f64 v[2:3], v[74:75], -v[2:3]
	s_waitcnt vmcnt(0)
	v_add_f64 v[4:5], v[76:77], -v[78:79]
	buffer_store_dword v3, off, s[0:3], 0 offset:244
	buffer_store_dword v2, off, s[0:3], 0 offset:240
	;; [unrolled: 1-line block ×4, first 2 shown]
	s_and_saveexec_b64 s[6:7], vcc
	s_cbranch_execz .LBB94_171
; %bb.170:
	v_accvgpr_read_b32 v5, a72
	buffer_load_dword v2, v5, s[0:3], 0 offen
	buffer_load_dword v3, v5, s[0:3], 0 offen offset:4
	buffer_load_dword v4, v5, s[0:3], 0 offen offset:8
	s_nop 0
	buffer_load_dword v5, v5, s[0:3], 0 offen offset:12
	s_nop 0
	buffer_store_dword v38, off, s[0:3], 0 offset:224
	buffer_store_dword v38, off, s[0:3], 0 offset:228
	;; [unrolled: 1-line block ×4, first 2 shown]
	s_waitcnt vmcnt(4)
	ds_write_b128 v1, v[2:5]
.LBB94_171:
	s_or_b64 exec, exec, s[6:7]
	s_waitcnt lgkmcnt(0)
	; wave barrier
	s_waitcnt lgkmcnt(0)
	buffer_load_dword v2, off, s[0:3], 0 offset:240
	buffer_load_dword v3, off, s[0:3], 0 offset:244
	;; [unrolled: 1-line block ×64, first 2 shown]
	ds_read_b128 v[104:107], v38 offset:736
	ds_read_b128 v[108:111], v38 offset:752
	;; [unrolled: 1-line block ×4, first 2 shown]
	buffer_load_dword v72, off, s[0:3], 0 offset:224
	buffer_load_dword v73, off, s[0:3], 0 offset:228
	;; [unrolled: 1-line block ×4, first 2 shown]
	ds_read_b128 v[120:123], v38 offset:800
	ds_read_b128 v[128:131], v38 offset:832
	;; [unrolled: 1-line block ×10, first 2 shown]
	v_cmp_lt_u32_e32 vcc, 13, v243
	s_waitcnt vmcnt(62) lgkmcnt(13)
	v_mul_f64 v[40:41], v[104:105], v[4:5]
	v_fmac_f64_e32 v[40:41], v[106:107], v[2:3]
	s_waitcnt lgkmcnt(12)
	v_mul_f64 v[76:77], v[108:109], v[6:7]
	v_add_f64 v[40:41], v[40:41], 0
	s_waitcnt vmcnt(60) lgkmcnt(11)
	v_mul_f64 v[78:79], v[112:113], v[8:9]
	v_mul_f64 v[4:5], v[106:107], v[4:5]
	v_fma_f64 v[2:3], v[104:105], v[2:3], -v[4:5]
	v_mul_f64 v[4:5], v[110:111], v[6:7]
	s_waitcnt vmcnt(56) lgkmcnt(10)
	v_mul_f64 v[124:125], v[116:117], v[14:15]
	v_add_f64 v[2:3], v[2:3], 0
	s_waitcnt vmcnt(54)
	v_fmac_f64_e32 v[76:77], v[110:111], v[20:21]
	v_add_f64 v[40:41], v[40:41], v[76:77]
	s_waitcnt vmcnt(52)
	v_fmac_f64_e32 v[78:79], v[114:115], v[18:19]
	;; [unrolled: 3-line block ×3, first 2 shown]
	v_fma_f64 v[4:5], v[108:109], v[20:21], -v[4:5]
	v_add_f64 v[40:41], v[40:41], v[124:125]
	ds_read_b128 v[124:127], v38 offset:816
	v_add_f64 v[2:3], v[2:3], v[4:5]
	v_mul_f64 v[4:5], v[114:115], v[8:9]
	v_fma_f64 v[4:5], v[112:113], v[18:19], -v[4:5]
	v_add_f64 v[2:3], v[2:3], v[4:5]
	v_mul_f64 v[4:5], v[118:119], v[14:15]
	s_waitcnt vmcnt(48) lgkmcnt(10)
	v_mul_f64 v[76:77], v[120:121], v[10:11]
	v_fma_f64 v[4:5], v[116:117], v[16:17], -v[4:5]
	v_fmac_f64_e32 v[76:77], v[122:123], v[12:13]
	v_add_f64 v[2:3], v[2:3], v[4:5]
	v_mul_f64 v[4:5], v[122:123], v[10:11]
	v_add_f64 v[40:41], v[40:41], v[76:77]
	s_waitcnt vmcnt(44) lgkmcnt(0)
	v_mul_f64 v[76:77], v[124:125], v[26:27]
	v_fma_f64 v[4:5], v[120:121], v[12:13], -v[4:5]
	s_waitcnt vmcnt(42)
	v_fmac_f64_e32 v[76:77], v[126:127], v[28:29]
	v_add_f64 v[2:3], v[2:3], v[4:5]
	v_mul_f64 v[4:5], v[126:127], v[26:27]
	v_add_f64 v[40:41], v[40:41], v[76:77]
	s_waitcnt vmcnt(40)
	v_mul_f64 v[76:77], v[128:129], v[22:23]
	v_fma_f64 v[4:5], v[124:125], v[28:29], -v[4:5]
	v_fmac_f64_e32 v[76:77], v[130:131], v[24:25]
	v_add_f64 v[2:3], v[2:3], v[4:5]
	v_mul_f64 v[4:5], v[130:131], v[22:23]
	v_add_f64 v[40:41], v[40:41], v[76:77]
	s_waitcnt vmcnt(36)
	v_mul_f64 v[76:77], v[132:133], v[34:35]
	v_fma_f64 v[4:5], v[128:129], v[24:25], -v[4:5]
	s_waitcnt vmcnt(34)
	v_fmac_f64_e32 v[76:77], v[134:135], v[36:37]
	v_add_f64 v[2:3], v[2:3], v[4:5]
	v_mul_f64 v[4:5], v[134:135], v[34:35]
	v_add_f64 v[40:41], v[40:41], v[76:77]
	s_waitcnt vmcnt(32)
	v_mul_f64 v[76:77], v[136:137], v[30:31]
	v_fma_f64 v[4:5], v[132:133], v[36:37], -v[4:5]
	v_fmac_f64_e32 v[76:77], v[138:139], v[32:33]
	v_add_f64 v[2:3], v[2:3], v[4:5]
	v_mul_f64 v[4:5], v[138:139], v[30:31]
	v_add_f64 v[40:41], v[40:41], v[76:77]
	s_waitcnt vmcnt(28)
	;; [unrolled: 15-line block ×3, first 2 shown]
	v_mul_f64 v[76:77], v[148:149], v[56:57]
	v_fma_f64 v[4:5], v[144:145], v[46:47], -v[4:5]
	s_waitcnt vmcnt(18)
	v_fmac_f64_e32 v[76:77], v[150:151], v[58:59]
	v_add_f64 v[2:3], v[2:3], v[4:5]
	v_mul_f64 v[4:5], v[150:151], v[56:57]
	v_add_f64 v[40:41], v[40:41], v[76:77]
	s_waitcnt vmcnt(16)
	v_mul_f64 v[76:77], v[152:153], v[52:53]
	v_fma_f64 v[4:5], v[148:149], v[58:59], -v[4:5]
	v_fmac_f64_e32 v[76:77], v[154:155], v[54:55]
	v_add_f64 v[2:3], v[2:3], v[4:5]
	v_mul_f64 v[4:5], v[154:155], v[52:53]
	v_add_f64 v[76:77], v[40:41], v[76:77]
	ds_read_b128 v[38:41], v38 offset:976
	v_fma_f64 v[4:5], v[152:153], v[54:55], -v[4:5]
	v_add_f64 v[2:3], v[2:3], v[4:5]
	s_waitcnt vmcnt(12)
	v_mul_f64 v[4:5], v[158:159], v[64:65]
	v_mul_f64 v[78:79], v[156:157], v[64:65]
	s_waitcnt vmcnt(10)
	v_fma_f64 v[4:5], v[156:157], v[66:67], -v[4:5]
	v_fmac_f64_e32 v[78:79], v[158:159], v[66:67]
	v_add_f64 v[2:3], v[2:3], v[4:5]
	s_waitcnt vmcnt(8)
	v_mul_f64 v[4:5], v[162:163], v[60:61]
	v_add_f64 v[76:77], v[76:77], v[78:79]
	v_mul_f64 v[78:79], v[160:161], v[60:61]
	v_fma_f64 v[4:5], v[160:161], v[62:63], -v[4:5]
	v_fmac_f64_e32 v[78:79], v[162:163], v[62:63]
	v_add_f64 v[2:3], v[2:3], v[4:5]
	s_waitcnt vmcnt(6) lgkmcnt(0)
	v_mul_f64 v[4:5], v[40:41], v[68:69]
	v_add_f64 v[76:77], v[76:77], v[78:79]
	v_mul_f64 v[78:79], v[38:39], v[68:69]
	s_waitcnt vmcnt(4)
	v_fma_f64 v[4:5], v[38:39], v[70:71], -v[4:5]
	v_fmac_f64_e32 v[78:79], v[40:41], v[70:71]
	v_add_f64 v[2:3], v[2:3], v[4:5]
	v_add_f64 v[76:77], v[76:77], v[78:79]
	s_waitcnt vmcnt(2)
	v_add_f64 v[2:3], v[72:73], -v[2:3]
	s_waitcnt vmcnt(0)
	v_add_f64 v[4:5], v[74:75], -v[76:77]
	buffer_store_dword v3, off, s[0:3], 0 offset:228
	buffer_store_dword v2, off, s[0:3], 0 offset:224
	;; [unrolled: 1-line block ×4, first 2 shown]
	s_and_saveexec_b64 s[6:7], vcc
	s_cbranch_execz .LBB94_173
; %bb.172:
	v_accvgpr_read_b32 v5, a73
	buffer_load_dword v2, v5, s[0:3], 0 offen
	buffer_load_dword v3, v5, s[0:3], 0 offen offset:4
	buffer_load_dword v4, v5, s[0:3], 0 offen offset:8
	s_nop 0
	buffer_load_dword v5, v5, s[0:3], 0 offen offset:12
	v_mov_b32_e32 v6, 0
	buffer_store_dword v6, off, s[0:3], 0 offset:208
	buffer_store_dword v6, off, s[0:3], 0 offset:212
	;; [unrolled: 1-line block ×4, first 2 shown]
	s_waitcnt vmcnt(4)
	ds_write_b128 v1, v[2:5]
.LBB94_173:
	s_or_b64 exec, exec, s[6:7]
	s_waitcnt lgkmcnt(0)
	; wave barrier
	s_waitcnt lgkmcnt(0)
	buffer_load_dword v2, off, s[0:3], 0 offset:224
	buffer_load_dword v3, off, s[0:3], 0 offset:228
	;; [unrolled: 1-line block ×68, first 2 shown]
	v_mov_b32_e32 v108, 0
	ds_read_b128 v[104:107], v108 offset:720
	ds_read_b128 v[110:113], v108 offset:736
	buffer_load_dword v72, off, s[0:3], 0 offset:208
	buffer_load_dword v73, off, s[0:3], 0 offset:212
	;; [unrolled: 1-line block ×4, first 2 shown]
	ds_read_b128 v[114:117], v108 offset:752
	ds_read_b128 v[118:121], v108 offset:768
	;; [unrolled: 1-line block ×14, first 2 shown]
	s_waitcnt vmcnt(62) lgkmcnt(14)
	v_mul_f64 v[76:77], v[104:105], v[8:9]
	v_mul_f64 v[8:9], v[106:107], v[8:9]
	v_fmac_f64_e32 v[76:77], v[106:107], v[2:3]
	v_mul_f64 v[78:79], v[110:111], v[10:11]
	v_fma_f64 v[2:3], v[104:105], v[2:3], -v[8:9]
	v_mul_f64 v[8:9], v[112:113], v[10:11]
	v_fmac_f64_e32 v[78:79], v[112:113], v[4:5]
	v_add_f64 v[2:3], v[2:3], 0
	v_fma_f64 v[4:5], v[110:111], v[4:5], -v[8:9]
	v_add_f64 v[76:77], v[76:77], 0
	v_add_f64 v[2:3], v[2:3], v[4:5]
	s_waitcnt vmcnt(60) lgkmcnt(13)
	v_mul_f64 v[4:5], v[116:117], v[12:13]
	v_add_f64 v[76:77], v[76:77], v[78:79]
	v_mul_f64 v[78:79], v[114:115], v[12:13]
	v_fma_f64 v[4:5], v[114:115], v[6:7], -v[4:5]
	v_fmac_f64_e32 v[78:79], v[116:117], v[6:7]
	v_add_f64 v[2:3], v[2:3], v[4:5]
	s_waitcnt vmcnt(56) lgkmcnt(12)
	v_mul_f64 v[4:5], v[120:121], v[18:19]
	v_add_f64 v[76:77], v[76:77], v[78:79]
	v_mul_f64 v[78:79], v[118:119], v[18:19]
	s_waitcnt vmcnt(54)
	v_fma_f64 v[4:5], v[118:119], v[20:21], -v[4:5]
	v_fmac_f64_e32 v[78:79], v[120:121], v[20:21]
	v_add_f64 v[2:3], v[2:3], v[4:5]
	s_waitcnt vmcnt(52) lgkmcnt(11)
	v_mul_f64 v[4:5], v[124:125], v[14:15]
	v_add_f64 v[76:77], v[76:77], v[78:79]
	v_mul_f64 v[78:79], v[122:123], v[14:15]
	v_fma_f64 v[4:5], v[122:123], v[16:17], -v[4:5]
	v_fmac_f64_e32 v[78:79], v[124:125], v[16:17]
	v_add_f64 v[2:3], v[2:3], v[4:5]
	s_waitcnt vmcnt(48) lgkmcnt(10)
	v_mul_f64 v[4:5], v[128:129], v[26:27]
	v_add_f64 v[76:77], v[76:77], v[78:79]
	v_mul_f64 v[78:79], v[126:127], v[26:27]
	s_waitcnt vmcnt(46)
	v_fma_f64 v[4:5], v[126:127], v[28:29], -v[4:5]
	v_fmac_f64_e32 v[78:79], v[128:129], v[28:29]
	;; [unrolled: 15-line block ×5, first 2 shown]
	v_add_f64 v[2:3], v[2:3], v[4:5]
	s_waitcnt vmcnt(20) lgkmcnt(3)
	v_mul_f64 v[4:5], v[156:157], v[48:49]
	v_add_f64 v[76:77], v[76:77], v[78:79]
	v_mul_f64 v[78:79], v[154:155], v[48:49]
	v_fma_f64 v[4:5], v[154:155], v[50:51], -v[4:5]
	v_fmac_f64_e32 v[78:79], v[156:157], v[50:51]
	v_add_f64 v[2:3], v[2:3], v[4:5]
	s_waitcnt vmcnt(16) lgkmcnt(2)
	v_mul_f64 v[4:5], v[160:161], v[60:61]
	v_add_f64 v[76:77], v[76:77], v[78:79]
	v_mul_f64 v[78:79], v[158:159], v[60:61]
	ds_read_b128 v[170:173], v108 offset:976
	s_waitcnt vmcnt(14)
	v_fma_f64 v[4:5], v[158:159], v[62:63], -v[4:5]
	v_fmac_f64_e32 v[78:79], v[160:161], v[62:63]
	v_add_f64 v[2:3], v[2:3], v[4:5]
	s_waitcnt vmcnt(12) lgkmcnt(2)
	v_mul_f64 v[4:5], v[164:165], v[56:57]
	v_add_f64 v[76:77], v[76:77], v[78:79]
	v_mul_f64 v[78:79], v[162:163], v[56:57]
	v_fma_f64 v[4:5], v[162:163], v[58:59], -v[4:5]
	v_fmac_f64_e32 v[78:79], v[164:165], v[58:59]
	v_add_f64 v[2:3], v[2:3], v[4:5]
	s_waitcnt vmcnt(8) lgkmcnt(1)
	v_mul_f64 v[4:5], v[168:169], v[68:69]
	v_add_f64 v[76:77], v[76:77], v[78:79]
	v_mul_f64 v[78:79], v[166:167], v[68:69]
	s_waitcnt vmcnt(6)
	v_fma_f64 v[4:5], v[166:167], v[70:71], -v[4:5]
	v_fmac_f64_e32 v[78:79], v[168:169], v[70:71]
	v_add_f64 v[2:3], v[2:3], v[4:5]
	s_waitcnt vmcnt(5) lgkmcnt(0)
	v_mul_f64 v[4:5], v[172:173], v[64:65]
	v_add_f64 v[76:77], v[76:77], v[78:79]
	v_mul_f64 v[78:79], v[170:171], v[64:65]
	s_waitcnt vmcnt(4)
	v_fma_f64 v[4:5], v[170:171], v[66:67], -v[4:5]
	v_fmac_f64_e32 v[78:79], v[172:173], v[66:67]
	v_add_f64 v[2:3], v[2:3], v[4:5]
	v_add_f64 v[76:77], v[76:77], v[78:79]
	s_waitcnt vmcnt(2)
	v_add_f64 v[2:3], v[72:73], -v[2:3]
	v_cmp_lt_u32_e32 vcc, 12, v243
	s_waitcnt vmcnt(0)
	v_add_f64 v[4:5], v[74:75], -v[76:77]
	buffer_store_dword v3, off, s[0:3], 0 offset:212
	buffer_store_dword v2, off, s[0:3], 0 offset:208
	;; [unrolled: 1-line block ×4, first 2 shown]
	s_and_saveexec_b64 s[6:7], vcc
	s_cbranch_execz .LBB94_175
; %bb.174:
	v_accvgpr_read_b32 v5, a74
	buffer_load_dword v2, v5, s[0:3], 0 offen
	buffer_load_dword v3, v5, s[0:3], 0 offen offset:4
	buffer_load_dword v4, v5, s[0:3], 0 offen offset:8
	s_nop 0
	buffer_load_dword v5, v5, s[0:3], 0 offen offset:12
	s_nop 0
	buffer_store_dword v108, off, s[0:3], 0 offset:192
	buffer_store_dword v108, off, s[0:3], 0 offset:196
	;; [unrolled: 1-line block ×4, first 2 shown]
	s_waitcnt vmcnt(4)
	ds_write_b128 v1, v[2:5]
.LBB94_175:
	s_or_b64 exec, exec, s[6:7]
	s_waitcnt lgkmcnt(0)
	; wave barrier
	s_waitcnt lgkmcnt(0)
	buffer_load_dword v2, off, s[0:3], 0 offset:208
	buffer_load_dword v3, off, s[0:3], 0 offset:212
	;; [unrolled: 1-line block ×72, first 2 shown]
	ds_read_b128 v[110:113], v108 offset:704
	buffer_load_dword v72, off, s[0:3], 0 offset:192
	buffer_load_dword v73, off, s[0:3], 0 offset:196
	buffer_load_dword v74, off, s[0:3], 0 offset:200
	buffer_load_dword v75, off, s[0:3], 0 offset:204
	ds_read_b128 v[114:117], v108 offset:720
	ds_read_b128 v[118:121], v108 offset:736
	;; [unrolled: 1-line block ×11, first 2 shown]
	s_waitcnt vmcnt(62) lgkmcnt(11)
	v_mul_f64 v[76:77], v[110:111], v[8:9]
	v_mul_f64 v[8:9], v[112:113], v[8:9]
	v_fmac_f64_e32 v[76:77], v[112:113], v[2:3]
	v_fma_f64 v[2:3], v[110:111], v[2:3], -v[8:9]
	s_waitcnt lgkmcnt(10)
	v_mul_f64 v[78:79], v[114:115], v[10:11]
	v_mul_f64 v[8:9], v[116:117], v[10:11]
	v_fmac_f64_e32 v[78:79], v[116:117], v[4:5]
	v_add_f64 v[2:3], v[2:3], 0
	v_fma_f64 v[4:5], v[114:115], v[4:5], -v[8:9]
	v_add_f64 v[76:77], v[76:77], 0
	v_add_f64 v[2:3], v[2:3], v[4:5]
	s_waitcnt lgkmcnt(9)
	v_mul_f64 v[4:5], v[120:121], v[12:13]
	v_add_f64 v[76:77], v[76:77], v[78:79]
	v_mul_f64 v[78:79], v[118:119], v[12:13]
	v_fma_f64 v[4:5], v[118:119], v[6:7], -v[4:5]
	v_fmac_f64_e32 v[78:79], v[120:121], v[6:7]
	v_add_f64 v[2:3], v[2:3], v[4:5]
	s_waitcnt vmcnt(60) lgkmcnt(8)
	v_mul_f64 v[4:5], v[124:125], v[18:19]
	v_add_f64 v[76:77], v[76:77], v[78:79]
	v_mul_f64 v[78:79], v[122:123], v[18:19]
	s_waitcnt vmcnt(58)
	v_fma_f64 v[4:5], v[122:123], v[20:21], -v[4:5]
	v_fmac_f64_e32 v[78:79], v[124:125], v[20:21]
	v_add_f64 v[2:3], v[2:3], v[4:5]
	s_waitcnt vmcnt(56) lgkmcnt(7)
	v_mul_f64 v[4:5], v[128:129], v[14:15]
	v_add_f64 v[76:77], v[76:77], v[78:79]
	v_mul_f64 v[78:79], v[126:127], v[14:15]
	v_fma_f64 v[4:5], v[126:127], v[16:17], -v[4:5]
	v_fmac_f64_e32 v[78:79], v[128:129], v[16:17]
	v_add_f64 v[2:3], v[2:3], v[4:5]
	s_waitcnt vmcnt(52) lgkmcnt(6)
	v_mul_f64 v[4:5], v[132:133], v[26:27]
	v_add_f64 v[76:77], v[76:77], v[78:79]
	v_mul_f64 v[78:79], v[130:131], v[26:27]
	s_waitcnt vmcnt(50)
	v_fma_f64 v[4:5], v[130:131], v[28:29], -v[4:5]
	v_fmac_f64_e32 v[78:79], v[132:133], v[28:29]
	v_add_f64 v[2:3], v[2:3], v[4:5]
	s_waitcnt vmcnt(48) lgkmcnt(5)
	;; [unrolled: 15-line block ×3, first 2 shown]
	v_mul_f64 v[4:5], v[144:145], v[30:31]
	v_add_f64 v[76:77], v[76:77], v[78:79]
	v_mul_f64 v[78:79], v[142:143], v[30:31]
	v_fma_f64 v[4:5], v[142:143], v[32:33], -v[4:5]
	v_fmac_f64_e32 v[78:79], v[144:145], v[32:33]
	v_add_f64 v[2:3], v[2:3], v[4:5]
	s_waitcnt vmcnt(36) lgkmcnt(2)
	v_mul_f64 v[4:5], v[148:149], v[104:105]
	v_add_f64 v[76:77], v[76:77], v[78:79]
	v_mul_f64 v[78:79], v[146:147], v[104:105]
	ds_read_b128 v[158:161], v108 offset:896
	ds_read_b128 v[162:165], v108 offset:912
	s_waitcnt vmcnt(34)
	v_fma_f64 v[4:5], v[146:147], v[106:107], -v[4:5]
	v_fmac_f64_e32 v[78:79], v[148:149], v[106:107]
	v_add_f64 v[2:3], v[2:3], v[4:5]
	s_waitcnt vmcnt(32) lgkmcnt(3)
	v_mul_f64 v[4:5], v[152:153], v[38:39]
	v_add_f64 v[76:77], v[76:77], v[78:79]
	v_mul_f64 v[78:79], v[150:151], v[38:39]
	v_fma_f64 v[4:5], v[150:151], v[40:41], -v[4:5]
	v_fmac_f64_e32 v[78:79], v[152:153], v[40:41]
	v_add_f64 v[2:3], v[2:3], v[4:5]
	s_waitcnt vmcnt(28) lgkmcnt(2)
	v_mul_f64 v[4:5], v[156:157], v[48:49]
	v_add_f64 v[76:77], v[76:77], v[78:79]
	v_mul_f64 v[78:79], v[154:155], v[48:49]
	ds_read_b128 v[166:169], v108 offset:928
	ds_read_b128 v[170:173], v108 offset:944
	s_waitcnt vmcnt(26)
	v_fma_f64 v[4:5], v[154:155], v[50:51], -v[4:5]
	v_fmac_f64_e32 v[78:79], v[156:157], v[50:51]
	v_add_f64 v[2:3], v[2:3], v[4:5]
	s_waitcnt vmcnt(24) lgkmcnt(3)
	;; [unrolled: 17-line block ×3, first 2 shown]
	v_mul_f64 v[4:5], v[168:169], v[52:53]
	v_add_f64 v[76:77], v[76:77], v[78:79]
	v_mul_f64 v[78:79], v[166:167], v[52:53]
	v_fma_f64 v[4:5], v[166:167], v[54:55], -v[4:5]
	v_fmac_f64_e32 v[78:79], v[168:169], v[54:55]
	v_add_f64 v[2:3], v[2:3], v[4:5]
	s_waitcnt vmcnt(12) lgkmcnt(2)
	v_mul_f64 v[4:5], v[172:173], v[64:65]
	v_add_f64 v[76:77], v[76:77], v[78:79]
	v_mul_f64 v[78:79], v[170:171], v[64:65]
	s_waitcnt vmcnt(10)
	v_fma_f64 v[4:5], v[170:171], v[66:67], -v[4:5]
	v_fmac_f64_e32 v[78:79], v[172:173], v[66:67]
	v_add_f64 v[2:3], v[2:3], v[4:5]
	s_waitcnt vmcnt(8) lgkmcnt(1)
	v_mul_f64 v[4:5], v[176:177], v[60:61]
	v_add_f64 v[76:77], v[76:77], v[78:79]
	v_mul_f64 v[78:79], v[174:175], v[60:61]
	v_fma_f64 v[4:5], v[174:175], v[62:63], -v[4:5]
	v_fmac_f64_e32 v[78:79], v[176:177], v[62:63]
	v_add_f64 v[2:3], v[2:3], v[4:5]
	s_waitcnt vmcnt(6) lgkmcnt(0)
	v_mul_f64 v[4:5], v[180:181], v[68:69]
	v_add_f64 v[76:77], v[76:77], v[78:79]
	v_mul_f64 v[78:79], v[178:179], v[68:69]
	s_waitcnt vmcnt(4)
	v_fma_f64 v[4:5], v[178:179], v[70:71], -v[4:5]
	v_fmac_f64_e32 v[78:79], v[180:181], v[70:71]
	v_add_f64 v[2:3], v[2:3], v[4:5]
	v_add_f64 v[76:77], v[76:77], v[78:79]
	s_waitcnt vmcnt(2)
	v_add_f64 v[2:3], v[72:73], -v[2:3]
	v_cmp_lt_u32_e32 vcc, 11, v243
	s_waitcnt vmcnt(0)
	v_add_f64 v[4:5], v[74:75], -v[76:77]
	buffer_store_dword v3, off, s[0:3], 0 offset:196
	buffer_store_dword v2, off, s[0:3], 0 offset:192
	buffer_store_dword v5, off, s[0:3], 0 offset:204
	buffer_store_dword v4, off, s[0:3], 0 offset:200
	s_and_saveexec_b64 s[6:7], vcc
	s_cbranch_execz .LBB94_177
; %bb.176:
	v_accvgpr_read_b32 v5, a75
	buffer_load_dword v2, v5, s[0:3], 0 offen
	buffer_load_dword v3, v5, s[0:3], 0 offen offset:4
	buffer_load_dword v4, v5, s[0:3], 0 offen offset:8
	s_nop 0
	buffer_load_dword v5, v5, s[0:3], 0 offen offset:12
	v_mov_b32_e32 v6, 0
	buffer_store_dword v6, off, s[0:3], 0 offset:176
	buffer_store_dword v6, off, s[0:3], 0 offset:180
	buffer_store_dword v6, off, s[0:3], 0 offset:184
	buffer_store_dword v6, off, s[0:3], 0 offset:188
	s_waitcnt vmcnt(4)
	ds_write_b128 v1, v[2:5]
.LBB94_177:
	s_or_b64 exec, exec, s[6:7]
	s_waitcnt lgkmcnt(0)
	; wave barrier
	s_waitcnt lgkmcnt(0)
	buffer_load_dword v2, off, s[0:3], 0 offset:192
	buffer_load_dword v3, off, s[0:3], 0 offset:196
	;; [unrolled: 1-line block ×76, first 2 shown]
	v_mov_b32_e32 v116, 0
	ds_read_b128 v[118:121], v116 offset:688
	buffer_load_dword v68, off, s[0:3], 0 offset:176
	buffer_load_dword v69, off, s[0:3], 0 offset:180
	;; [unrolled: 1-line block ×4, first 2 shown]
	ds_read_b128 v[122:125], v116 offset:704
	ds_read_b128 v[126:129], v116 offset:720
	;; [unrolled: 1-line block ×7, first 2 shown]
	s_waitcnt vmcnt(62) lgkmcnt(7)
	v_mul_f64 v[72:73], v[118:119], v[8:9]
	v_mul_f64 v[8:9], v[120:121], v[8:9]
	v_fmac_f64_e32 v[72:73], v[120:121], v[2:3]
	s_waitcnt lgkmcnt(6)
	v_mul_f64 v[74:75], v[122:123], v[10:11]
	v_fma_f64 v[2:3], v[118:119], v[2:3], -v[8:9]
	v_mul_f64 v[8:9], v[124:125], v[10:11]
	v_fmac_f64_e32 v[74:75], v[124:125], v[4:5]
	v_add_f64 v[2:3], v[2:3], 0
	v_fma_f64 v[4:5], v[122:123], v[4:5], -v[8:9]
	v_add_f64 v[72:73], v[72:73], 0
	v_add_f64 v[2:3], v[2:3], v[4:5]
	s_waitcnt lgkmcnt(5)
	v_mul_f64 v[4:5], v[128:129], v[12:13]
	v_add_f64 v[72:73], v[72:73], v[74:75]
	v_mul_f64 v[74:75], v[126:127], v[12:13]
	v_fma_f64 v[4:5], v[126:127], v[6:7], -v[4:5]
	v_fmac_f64_e32 v[74:75], v[128:129], v[6:7]
	v_add_f64 v[2:3], v[2:3], v[4:5]
	s_waitcnt lgkmcnt(4)
	v_mul_f64 v[4:5], v[132:133], v[18:19]
	v_add_f64 v[72:73], v[72:73], v[74:75]
	v_mul_f64 v[74:75], v[130:131], v[18:19]
	v_fma_f64 v[4:5], v[130:131], v[20:21], -v[4:5]
	v_fmac_f64_e32 v[74:75], v[132:133], v[20:21]
	v_add_f64 v[2:3], v[2:3], v[4:5]
	s_waitcnt vmcnt(61) lgkmcnt(3)
	v_mul_f64 v[4:5], v[136:137], v[14:15]
	v_add_f64 v[72:73], v[72:73], v[74:75]
	v_mul_f64 v[74:75], v[134:135], v[14:15]
	s_waitcnt vmcnt(60)
	v_fma_f64 v[4:5], v[134:135], v[16:17], -v[4:5]
	v_fmac_f64_e32 v[74:75], v[136:137], v[16:17]
	v_add_f64 v[2:3], v[2:3], v[4:5]
	s_waitcnt vmcnt(56) lgkmcnt(2)
	v_mul_f64 v[4:5], v[140:141], v[26:27]
	v_add_f64 v[72:73], v[72:73], v[74:75]
	v_mul_f64 v[74:75], v[138:139], v[26:27]
	ds_read_b128 v[150:153], v116 offset:816
	ds_read_b128 v[154:157], v116 offset:832
	s_waitcnt vmcnt(54)
	v_fma_f64 v[4:5], v[138:139], v[28:29], -v[4:5]
	v_fmac_f64_e32 v[74:75], v[140:141], v[28:29]
	v_add_f64 v[2:3], v[2:3], v[4:5]
	s_waitcnt vmcnt(53) lgkmcnt(3)
	v_mul_f64 v[4:5], v[144:145], v[22:23]
	v_add_f64 v[72:73], v[72:73], v[74:75]
	v_mul_f64 v[74:75], v[142:143], v[22:23]
	s_waitcnt vmcnt(52)
	v_fma_f64 v[4:5], v[142:143], v[24:25], -v[4:5]
	v_fmac_f64_e32 v[74:75], v[144:145], v[24:25]
	v_add_f64 v[2:3], v[2:3], v[4:5]
	s_waitcnt vmcnt(48) lgkmcnt(2)
	v_mul_f64 v[4:5], v[148:149], v[34:35]
	v_add_f64 v[72:73], v[72:73], v[74:75]
	v_mul_f64 v[74:75], v[146:147], v[34:35]
	ds_read_b128 v[158:161], v116 offset:848
	ds_read_b128 v[162:165], v116 offset:864
	s_waitcnt vmcnt(46)
	v_fma_f64 v[4:5], v[146:147], v[36:37], -v[4:5]
	v_fmac_f64_e32 v[74:75], v[148:149], v[36:37]
	v_add_f64 v[2:3], v[2:3], v[4:5]
	s_waitcnt vmcnt(45) lgkmcnt(3)
	v_mul_f64 v[4:5], v[152:153], v[30:31]
	v_add_f64 v[72:73], v[72:73], v[74:75]
	v_mul_f64 v[74:75], v[150:151], v[30:31]
	s_waitcnt vmcnt(44)
	v_fma_f64 v[4:5], v[150:151], v[32:33], -v[4:5]
	v_fmac_f64_e32 v[74:75], v[152:153], v[32:33]
	v_add_f64 v[2:3], v[2:3], v[4:5]
	s_waitcnt vmcnt(40) lgkmcnt(2)
	v_mul_f64 v[4:5], v[156:157], v[104:105]
	v_add_f64 v[72:73], v[72:73], v[74:75]
	v_mul_f64 v[74:75], v[154:155], v[104:105]
	ds_read_b128 v[166:169], v116 offset:880
	ds_read_b128 v[170:173], v116 offset:896
	s_waitcnt vmcnt(38)
	v_fma_f64 v[4:5], v[154:155], v[106:107], -v[4:5]
	v_fmac_f64_e32 v[74:75], v[156:157], v[106:107]
	v_add_f64 v[2:3], v[2:3], v[4:5]
	s_waitcnt vmcnt(37) lgkmcnt(3)
	v_mul_f64 v[4:5], v[160:161], v[38:39]
	v_add_f64 v[72:73], v[72:73], v[74:75]
	v_mul_f64 v[74:75], v[158:159], v[38:39]
	s_waitcnt vmcnt(36)
	v_fma_f64 v[4:5], v[158:159], v[40:41], -v[4:5]
	v_fmac_f64_e32 v[74:75], v[160:161], v[40:41]
	v_add_f64 v[2:3], v[2:3], v[4:5]
	s_waitcnt vmcnt(32) lgkmcnt(2)
	v_mul_f64 v[4:5], v[164:165], v[112:113]
	v_add_f64 v[72:73], v[72:73], v[74:75]
	v_mul_f64 v[74:75], v[162:163], v[112:113]
	ds_read_b128 v[174:177], v116 offset:912
	ds_read_b128 v[178:181], v116 offset:928
	s_waitcnt vmcnt(30)
	v_fma_f64 v[4:5], v[162:163], v[114:115], -v[4:5]
	v_fmac_f64_e32 v[74:75], v[164:165], v[114:115]
	v_add_f64 v[2:3], v[2:3], v[4:5]
	s_waitcnt vmcnt(29) lgkmcnt(3)
	v_mul_f64 v[4:5], v[168:169], v[108:109]
	v_add_f64 v[72:73], v[72:73], v[74:75]
	v_mul_f64 v[74:75], v[166:167], v[108:109]
	s_waitcnt vmcnt(28)
	v_fma_f64 v[4:5], v[166:167], v[110:111], -v[4:5]
	v_fmac_f64_e32 v[74:75], v[168:169], v[110:111]
	v_add_f64 v[2:3], v[2:3], v[4:5]
	s_waitcnt vmcnt(24) lgkmcnt(2)
	v_mul_f64 v[4:5], v[172:173], v[48:49]
	v_add_f64 v[72:73], v[72:73], v[74:75]
	v_mul_f64 v[74:75], v[170:171], v[48:49]
	ds_read_b128 v[182:185], v116 offset:944
	ds_read_b128 v[186:189], v116 offset:960
	s_waitcnt vmcnt(22)
	v_fma_f64 v[4:5], v[170:171], v[50:51], -v[4:5]
	v_fmac_f64_e32 v[74:75], v[172:173], v[50:51]
	v_add_f64 v[2:3], v[2:3], v[4:5]
	s_waitcnt vmcnt(21) lgkmcnt(3)
	v_mul_f64 v[4:5], v[176:177], v[44:45]
	v_add_f64 v[72:73], v[72:73], v[74:75]
	v_mul_f64 v[74:75], v[174:175], v[44:45]
	s_waitcnt vmcnt(20)
	v_fma_f64 v[4:5], v[174:175], v[46:47], -v[4:5]
	v_fmac_f64_e32 v[74:75], v[176:177], v[46:47]
	v_add_f64 v[2:3], v[2:3], v[4:5]
	s_waitcnt vmcnt(16) lgkmcnt(2)
	v_mul_f64 v[4:5], v[180:181], v[56:57]
	v_add_f64 v[72:73], v[72:73], v[74:75]
	v_mul_f64 v[74:75], v[178:179], v[56:57]
	ds_read_b128 v[190:193], v116 offset:976
	s_waitcnt vmcnt(14)
	v_fma_f64 v[4:5], v[178:179], v[58:59], -v[4:5]
	v_fmac_f64_e32 v[74:75], v[180:181], v[58:59]
	v_add_f64 v[2:3], v[2:3], v[4:5]
	s_waitcnt vmcnt(13) lgkmcnt(2)
	v_mul_f64 v[4:5], v[184:185], v[52:53]
	v_add_f64 v[72:73], v[72:73], v[74:75]
	v_mul_f64 v[74:75], v[182:183], v[52:53]
	s_waitcnt vmcnt(12)
	v_fma_f64 v[4:5], v[182:183], v[54:55], -v[4:5]
	v_fmac_f64_e32 v[74:75], v[184:185], v[54:55]
	v_add_f64 v[2:3], v[2:3], v[4:5]
	s_waitcnt vmcnt(8) lgkmcnt(1)
	v_mul_f64 v[4:5], v[188:189], v[64:65]
	v_add_f64 v[72:73], v[72:73], v[74:75]
	v_mul_f64 v[74:75], v[186:187], v[64:65]
	;; [unrolled: 8-line block ×3, first 2 shown]
	s_waitcnt vmcnt(4)
	v_fma_f64 v[4:5], v[190:191], v[62:63], -v[4:5]
	v_fmac_f64_e32 v[74:75], v[192:193], v[62:63]
	v_add_f64 v[2:3], v[2:3], v[4:5]
	v_add_f64 v[72:73], v[72:73], v[74:75]
	s_waitcnt vmcnt(2)
	v_add_f64 v[2:3], v[68:69], -v[2:3]
	v_cmp_lt_u32_e32 vcc, 10, v243
	s_waitcnt vmcnt(0)
	v_add_f64 v[4:5], v[70:71], -v[72:73]
	buffer_store_dword v3, off, s[0:3], 0 offset:180
	buffer_store_dword v2, off, s[0:3], 0 offset:176
	;; [unrolled: 1-line block ×4, first 2 shown]
	s_and_saveexec_b64 s[6:7], vcc
	s_cbranch_execz .LBB94_179
; %bb.178:
	v_accvgpr_read_b32 v5, a76
	buffer_load_dword v2, v5, s[0:3], 0 offen
	buffer_load_dword v3, v5, s[0:3], 0 offen offset:4
	buffer_load_dword v4, v5, s[0:3], 0 offen offset:8
	s_nop 0
	buffer_load_dword v5, v5, s[0:3], 0 offen offset:12
	s_nop 0
	buffer_store_dword v116, off, s[0:3], 0 offset:160
	buffer_store_dword v116, off, s[0:3], 0 offset:164
	;; [unrolled: 1-line block ×4, first 2 shown]
	s_waitcnt vmcnt(4)
	ds_write_b128 v1, v[2:5]
.LBB94_179:
	s_or_b64 exec, exec, s[6:7]
	s_waitcnt lgkmcnt(0)
	; wave barrier
	s_waitcnt lgkmcnt(0)
	buffer_load_dword v2, off, s[0:3], 0 offset:176
	buffer_load_dword v3, off, s[0:3], 0 offset:180
	;; [unrolled: 1-line block ×76, first 2 shown]
	ds_read_b128 v[118:121], v116 offset:672
	buffer_load_dword v69, off, s[0:3], 0 offset:492
	buffer_load_dword v68, off, s[0:3], 0 offset:488
	;; [unrolled: 1-line block ×8, first 2 shown]
	ds_read_b128 v[122:125], v116 offset:688
	ds_read_b128 v[126:129], v116 offset:704
	;; [unrolled: 1-line block ×7, first 2 shown]
	s_waitcnt vmcnt(62) lgkmcnt(7)
	v_mul_f64 v[76:77], v[118:119], v[8:9]
	v_mul_f64 v[8:9], v[120:121], v[8:9]
	v_fmac_f64_e32 v[76:77], v[120:121], v[2:3]
	v_fma_f64 v[2:3], v[118:119], v[2:3], -v[8:9]
	s_waitcnt lgkmcnt(6)
	v_mul_f64 v[78:79], v[122:123], v[10:11]
	v_mul_f64 v[8:9], v[124:125], v[10:11]
	v_fmac_f64_e32 v[78:79], v[124:125], v[4:5]
	v_add_f64 v[2:3], v[2:3], 0
	v_fma_f64 v[4:5], v[122:123], v[4:5], -v[8:9]
	v_add_f64 v[76:77], v[76:77], 0
	v_add_f64 v[2:3], v[2:3], v[4:5]
	s_waitcnt lgkmcnt(5)
	v_mul_f64 v[4:5], v[128:129], v[12:13]
	v_add_f64 v[76:77], v[76:77], v[78:79]
	v_mul_f64 v[78:79], v[126:127], v[12:13]
	v_fma_f64 v[4:5], v[126:127], v[6:7], -v[4:5]
	v_fmac_f64_e32 v[78:79], v[128:129], v[6:7]
	v_add_f64 v[2:3], v[2:3], v[4:5]
	s_waitcnt lgkmcnt(4)
	v_mul_f64 v[4:5], v[132:133], v[18:19]
	v_add_f64 v[76:77], v[76:77], v[78:79]
	v_mul_f64 v[78:79], v[130:131], v[18:19]
	v_fma_f64 v[4:5], v[130:131], v[20:21], -v[4:5]
	v_fmac_f64_e32 v[78:79], v[132:133], v[20:21]
	;; [unrolled: 7-line block ×3, first 2 shown]
	v_add_f64 v[2:3], v[2:3], v[4:5]
	s_waitcnt vmcnt(58) lgkmcnt(2)
	v_mul_f64 v[4:5], v[140:141], v[26:27]
	v_add_f64 v[76:77], v[76:77], v[78:79]
	v_mul_f64 v[78:79], v[138:139], v[26:27]
	ds_read_b128 v[150:153], v116 offset:800
	ds_read_b128 v[154:157], v116 offset:816
	s_waitcnt vmcnt(56)
	v_fma_f64 v[4:5], v[138:139], v[28:29], -v[4:5]
	v_fmac_f64_e32 v[78:79], v[140:141], v[28:29]
	v_add_f64 v[2:3], v[2:3], v[4:5]
	s_waitcnt lgkmcnt(3)
	v_mul_f64 v[4:5], v[144:145], v[22:23]
	v_add_f64 v[76:77], v[76:77], v[78:79]
	v_mul_f64 v[78:79], v[142:143], v[22:23]
	v_fma_f64 v[4:5], v[142:143], v[24:25], -v[4:5]
	v_fmac_f64_e32 v[78:79], v[144:145], v[24:25]
	v_add_f64 v[2:3], v[2:3], v[4:5]
	s_waitcnt vmcnt(50) lgkmcnt(2)
	v_mul_f64 v[4:5], v[148:149], v[34:35]
	v_add_f64 v[76:77], v[76:77], v[78:79]
	v_mul_f64 v[78:79], v[146:147], v[34:35]
	ds_read_b128 v[158:161], v116 offset:832
	ds_read_b128 v[162:165], v116 offset:848
	s_waitcnt vmcnt(48)
	v_fma_f64 v[4:5], v[146:147], v[36:37], -v[4:5]
	v_fmac_f64_e32 v[78:79], v[148:149], v[36:37]
	v_add_f64 v[2:3], v[2:3], v[4:5]
	s_waitcnt lgkmcnt(3)
	v_mul_f64 v[4:5], v[152:153], v[30:31]
	v_add_f64 v[76:77], v[76:77], v[78:79]
	v_mul_f64 v[78:79], v[150:151], v[30:31]
	v_fma_f64 v[4:5], v[150:151], v[32:33], -v[4:5]
	v_fmac_f64_e32 v[78:79], v[152:153], v[32:33]
	;; [unrolled: 17-line block ×6, first 2 shown]
	v_add_f64 v[2:3], v[2:3], v[4:5]
	s_waitcnt vmcnt(10) lgkmcnt(2)
	v_mul_f64 v[4:5], v[188:189], v[64:65]
	v_add_f64 v[76:77], v[76:77], v[78:79]
	v_mul_f64 v[78:79], v[186:187], v[64:65]
	s_waitcnt vmcnt(8)
	v_fma_f64 v[4:5], v[186:187], v[66:67], -v[4:5]
	v_fmac_f64_e32 v[78:79], v[188:189], v[66:67]
	v_add_f64 v[2:3], v[2:3], v[4:5]
	s_waitcnt lgkmcnt(1)
	v_mul_f64 v[4:5], v[192:193], v[60:61]
	v_add_f64 v[76:77], v[76:77], v[78:79]
	v_mul_f64 v[78:79], v[190:191], v[60:61]
	v_fma_f64 v[4:5], v[190:191], v[62:63], -v[4:5]
	v_fmac_f64_e32 v[78:79], v[192:193], v[62:63]
	v_add_f64 v[2:3], v[2:3], v[4:5]
	s_waitcnt vmcnt(6) lgkmcnt(0)
	v_mul_f64 v[4:5], v[196:197], v[68:69]
	v_add_f64 v[76:77], v[76:77], v[78:79]
	v_mul_f64 v[78:79], v[194:195], v[68:69]
	s_waitcnt vmcnt(4)
	v_fma_f64 v[4:5], v[194:195], v[70:71], -v[4:5]
	v_fmac_f64_e32 v[78:79], v[196:197], v[70:71]
	v_add_f64 v[2:3], v[2:3], v[4:5]
	v_add_f64 v[76:77], v[76:77], v[78:79]
	s_waitcnt vmcnt(2)
	v_add_f64 v[2:3], v[72:73], -v[2:3]
	v_cmp_lt_u32_e32 vcc, 9, v243
	s_waitcnt vmcnt(0)
	v_add_f64 v[4:5], v[74:75], -v[76:77]
	buffer_store_dword v3, off, s[0:3], 0 offset:164
	buffer_store_dword v2, off, s[0:3], 0 offset:160
	buffer_store_dword v5, off, s[0:3], 0 offset:172
	buffer_store_dword v4, off, s[0:3], 0 offset:168
	s_and_saveexec_b64 s[6:7], vcc
	s_cbranch_execz .LBB94_181
; %bb.180:
	v_accvgpr_read_b32 v5, a78
	buffer_load_dword v2, v5, s[0:3], 0 offen
	buffer_load_dword v3, v5, s[0:3], 0 offen offset:4
	buffer_load_dword v4, v5, s[0:3], 0 offen offset:8
	s_nop 0
	buffer_load_dword v5, v5, s[0:3], 0 offen offset:12
	v_mov_b32_e32 v6, 0
	buffer_store_dword v6, off, s[0:3], 0 offset:144
	buffer_store_dword v6, off, s[0:3], 0 offset:148
	;; [unrolled: 1-line block ×4, first 2 shown]
	s_waitcnt vmcnt(4)
	ds_write_b128 v1, v[2:5]
.LBB94_181:
	s_or_b64 exec, exec, s[6:7]
	s_waitcnt lgkmcnt(0)
	; wave barrier
	s_waitcnt lgkmcnt(0)
	buffer_load_dword v4, off, s[0:3], 0 offset:144
	buffer_load_dword v5, off, s[0:3], 0 offset:148
	;; [unrolled: 1-line block ×84, first 2 shown]
	v_mov_b32_e32 v148, 0
	ds_read_b128 v[128:131], v148 offset:656
	buffer_load_dword v65, off, s[0:3], 0 offset:492
	buffer_load_dword v64, off, s[0:3], 0 offset:488
	;; [unrolled: 1-line block ×4, first 2 shown]
	ds_read_b128 v[132:135], v148 offset:672
	ds_read_b128 v[136:139], v148 offset:688
	;; [unrolled: 1-line block ×5, first 2 shown]
	s_waitcnt vmcnt(62) lgkmcnt(5)
	v_mul_f64 v[68:69], v[128:129], v[12:13]
	v_mul_f64 v[12:13], v[130:131], v[12:13]
	v_fmac_f64_e32 v[68:69], v[130:131], v[6:7]
	s_waitcnt lgkmcnt(4)
	v_mul_f64 v[70:71], v[132:133], v[14:15]
	v_fma_f64 v[6:7], v[128:129], v[6:7], -v[12:13]
	v_mul_f64 v[12:13], v[134:135], v[14:15]
	v_fmac_f64_e32 v[70:71], v[134:135], v[8:9]
	v_add_f64 v[6:7], v[6:7], 0
	v_fma_f64 v[8:9], v[132:133], v[8:9], -v[12:13]
	v_add_f64 v[68:69], v[68:69], 0
	v_add_f64 v[6:7], v[6:7], v[8:9]
	s_waitcnt lgkmcnt(3)
	v_mul_f64 v[8:9], v[138:139], v[16:17]
	v_add_f64 v[68:69], v[68:69], v[70:71]
	v_mul_f64 v[70:71], v[136:137], v[16:17]
	v_fma_f64 v[8:9], v[136:137], v[10:11], -v[8:9]
	v_fmac_f64_e32 v[70:71], v[138:139], v[10:11]
	v_add_f64 v[6:7], v[6:7], v[8:9]
	s_waitcnt lgkmcnt(2)
	v_mul_f64 v[8:9], v[142:143], v[22:23]
	v_add_f64 v[68:69], v[68:69], v[70:71]
	v_mul_f64 v[70:71], v[140:141], v[22:23]
	ds_read_b128 v[154:157], v148 offset:752
	ds_read_b128 v[158:161], v148 offset:768
	v_fma_f64 v[8:9], v[140:141], v[24:25], -v[8:9]
	v_fmac_f64_e32 v[70:71], v[142:143], v[24:25]
	v_add_f64 v[6:7], v[6:7], v[8:9]
	s_waitcnt lgkmcnt(3)
	v_mul_f64 v[8:9], v[146:147], v[18:19]
	v_add_f64 v[68:69], v[68:69], v[70:71]
	v_mul_f64 v[70:71], v[144:145], v[18:19]
	v_fma_f64 v[8:9], v[144:145], v[20:21], -v[8:9]
	v_fmac_f64_e32 v[70:71], v[146:147], v[20:21]
	v_add_f64 v[6:7], v[6:7], v[8:9]
	s_waitcnt vmcnt(58) lgkmcnt(2)
	v_mul_f64 v[8:9], v[152:153], v[30:31]
	v_add_f64 v[68:69], v[68:69], v[70:71]
	v_mul_f64 v[70:71], v[150:151], v[30:31]
	ds_read_b128 v[162:165], v148 offset:784
	ds_read_b128 v[166:169], v148 offset:800
	s_waitcnt vmcnt(56)
	v_fma_f64 v[8:9], v[150:151], v[32:33], -v[8:9]
	v_fmac_f64_e32 v[70:71], v[152:153], v[32:33]
	v_add_f64 v[6:7], v[6:7], v[8:9]
	s_waitcnt lgkmcnt(3)
	v_mul_f64 v[8:9], v[156:157], v[26:27]
	v_add_f64 v[68:69], v[68:69], v[70:71]
	v_mul_f64 v[70:71], v[154:155], v[26:27]
	v_fma_f64 v[8:9], v[154:155], v[28:29], -v[8:9]
	v_fmac_f64_e32 v[70:71], v[156:157], v[28:29]
	v_add_f64 v[6:7], v[6:7], v[8:9]
	s_waitcnt vmcnt(50) lgkmcnt(2)
	v_mul_f64 v[8:9], v[160:161], v[38:39]
	v_add_f64 v[68:69], v[68:69], v[70:71]
	v_mul_f64 v[70:71], v[158:159], v[38:39]
	ds_read_b128 v[170:173], v148 offset:816
	ds_read_b128 v[174:177], v148 offset:832
	s_waitcnt vmcnt(48)
	v_fma_f64 v[8:9], v[158:159], v[40:41], -v[8:9]
	v_fmac_f64_e32 v[70:71], v[160:161], v[40:41]
	v_add_f64 v[6:7], v[6:7], v[8:9]
	s_waitcnt lgkmcnt(3)
	v_mul_f64 v[8:9], v[164:165], v[34:35]
	v_add_f64 v[68:69], v[68:69], v[70:71]
	v_mul_f64 v[70:71], v[162:163], v[34:35]
	v_fma_f64 v[8:9], v[162:163], v[36:37], -v[8:9]
	v_fmac_f64_e32 v[70:71], v[164:165], v[36:37]
	v_add_f64 v[6:7], v[6:7], v[8:9]
	s_waitcnt vmcnt(42) lgkmcnt(2)
	v_mul_f64 v[8:9], v[168:169], v[108:109]
	v_add_f64 v[68:69], v[68:69], v[70:71]
	v_mul_f64 v[70:71], v[166:167], v[108:109]
	ds_read_b128 v[178:181], v148 offset:848
	ds_read_b128 v[182:185], v148 offset:864
	s_waitcnt vmcnt(40)
	v_fma_f64 v[8:9], v[166:167], v[110:111], -v[8:9]
	v_fmac_f64_e32 v[70:71], v[168:169], v[110:111]
	v_add_f64 v[6:7], v[6:7], v[8:9]
	s_waitcnt lgkmcnt(3)
	v_mul_f64 v[8:9], v[172:173], v[104:105]
	v_add_f64 v[68:69], v[68:69], v[70:71]
	v_mul_f64 v[70:71], v[170:171], v[104:105]
	v_fma_f64 v[8:9], v[170:171], v[106:107], -v[8:9]
	v_fmac_f64_e32 v[70:71], v[172:173], v[106:107]
	v_add_f64 v[6:7], v[6:7], v[8:9]
	s_waitcnt vmcnt(34) lgkmcnt(2)
	v_mul_f64 v[8:9], v[176:177], v[116:117]
	v_add_f64 v[68:69], v[68:69], v[70:71]
	v_mul_f64 v[70:71], v[174:175], v[116:117]
	ds_read_b128 v[186:189], v148 offset:880
	ds_read_b128 v[190:193], v148 offset:896
	s_waitcnt vmcnt(32)
	v_fma_f64 v[8:9], v[174:175], v[118:119], -v[8:9]
	v_fmac_f64_e32 v[70:71], v[176:177], v[118:119]
	v_add_f64 v[6:7], v[6:7], v[8:9]
	s_waitcnt lgkmcnt(3)
	v_mul_f64 v[8:9], v[180:181], v[112:113]
	v_add_f64 v[68:69], v[68:69], v[70:71]
	v_mul_f64 v[70:71], v[178:179], v[112:113]
	v_fma_f64 v[8:9], v[178:179], v[114:115], -v[8:9]
	v_fmac_f64_e32 v[70:71], v[180:181], v[114:115]
	v_add_f64 v[6:7], v[6:7], v[8:9]
	s_waitcnt vmcnt(26) lgkmcnt(2)
	v_mul_f64 v[8:9], v[184:185], v[124:125]
	v_add_f64 v[68:69], v[68:69], v[70:71]
	v_mul_f64 v[70:71], v[182:183], v[124:125]
	ds_read_b128 v[194:197], v148 offset:912
	ds_read_b128 v[198:201], v148 offset:928
	s_waitcnt vmcnt(24)
	v_fma_f64 v[8:9], v[182:183], v[126:127], -v[8:9]
	v_fmac_f64_e32 v[70:71], v[184:185], v[126:127]
	v_add_f64 v[6:7], v[6:7], v[8:9]
	s_waitcnt lgkmcnt(3)
	v_mul_f64 v[8:9], v[188:189], v[120:121]
	v_add_f64 v[68:69], v[68:69], v[70:71]
	v_mul_f64 v[70:71], v[186:187], v[120:121]
	v_fma_f64 v[8:9], v[186:187], v[122:123], -v[8:9]
	v_fmac_f64_e32 v[70:71], v[188:189], v[122:123]
	v_add_f64 v[6:7], v[6:7], v[8:9]
	s_waitcnt vmcnt(18) lgkmcnt(2)
	v_mul_f64 v[8:9], v[192:193], v[48:49]
	v_add_f64 v[68:69], v[68:69], v[70:71]
	v_mul_f64 v[70:71], v[190:191], v[48:49]
	ds_read_b128 v[206:209], v148 offset:944
	ds_read_b128 v[210:213], v148 offset:960
	s_waitcnt vmcnt(16)
	v_fma_f64 v[8:9], v[190:191], v[50:51], -v[8:9]
	v_fmac_f64_e32 v[70:71], v[192:193], v[50:51]
	v_add_f64 v[6:7], v[6:7], v[8:9]
	s_waitcnt lgkmcnt(3)
	v_mul_f64 v[8:9], v[196:197], v[44:45]
	v_add_f64 v[68:69], v[68:69], v[70:71]
	v_mul_f64 v[70:71], v[194:195], v[44:45]
	v_fma_f64 v[8:9], v[194:195], v[46:47], -v[8:9]
	v_fmac_f64_e32 v[70:71], v[196:197], v[46:47]
	v_add_f64 v[6:7], v[6:7], v[8:9]
	s_waitcnt vmcnt(10) lgkmcnt(2)
	v_mul_f64 v[8:9], v[200:201], v[56:57]
	v_add_f64 v[68:69], v[68:69], v[70:71]
	v_mul_f64 v[70:71], v[198:199], v[56:57]
	ds_read_b128 v[244:247], v148 offset:976
	s_waitcnt vmcnt(8)
	v_fma_f64 v[8:9], v[198:199], v[58:59], -v[8:9]
	v_fmac_f64_e32 v[70:71], v[200:201], v[58:59]
	v_add_f64 v[6:7], v[6:7], v[8:9]
	s_waitcnt lgkmcnt(2)
	v_mul_f64 v[8:9], v[208:209], v[52:53]
	v_add_f64 v[68:69], v[68:69], v[70:71]
	v_mul_f64 v[70:71], v[206:207], v[52:53]
	v_fma_f64 v[8:9], v[206:207], v[54:55], -v[8:9]
	v_fmac_f64_e32 v[70:71], v[208:209], v[54:55]
	v_add_f64 v[6:7], v[6:7], v[8:9]
	s_waitcnt vmcnt(6) lgkmcnt(1)
	v_mul_f64 v[8:9], v[212:213], v[60:61]
	v_add_f64 v[68:69], v[68:69], v[70:71]
	v_mul_f64 v[70:71], v[210:211], v[60:61]
	s_waitcnt vmcnt(4)
	v_fma_f64 v[8:9], v[210:211], v[62:63], -v[8:9]
	v_fmac_f64_e32 v[70:71], v[212:213], v[62:63]
	v_add_f64 v[6:7], v[6:7], v[8:9]
	s_waitcnt vmcnt(2) lgkmcnt(0)
	v_mul_f64 v[8:9], v[246:247], v[64:65]
	v_add_f64 v[68:69], v[68:69], v[70:71]
	v_mul_f64 v[70:71], v[244:245], v[64:65]
	s_waitcnt vmcnt(0)
	v_fma_f64 v[8:9], v[244:245], v[66:67], -v[8:9]
	v_fmac_f64_e32 v[70:71], v[246:247], v[66:67]
	v_add_f64 v[6:7], v[6:7], v[8:9]
	v_add_f64 v[68:69], v[68:69], v[70:71]
	v_add_f64 v[4:5], v[4:5], -v[6:7]
	v_cmp_lt_u32_e32 vcc, 8, v243
	v_add_f64 v[2:3], v[2:3], -v[68:69]
	buffer_store_dword v5, off, s[0:3], 0 offset:148
	buffer_store_dword v4, off, s[0:3], 0 offset:144
	;; [unrolled: 1-line block ×4, first 2 shown]
	s_and_saveexec_b64 s[6:7], vcc
	s_cbranch_execz .LBB94_183
; %bb.182:
	v_accvgpr_read_b32 v5, a77
	buffer_load_dword v2, v5, s[0:3], 0 offen
	buffer_load_dword v3, v5, s[0:3], 0 offen offset:4
	buffer_load_dword v4, v5, s[0:3], 0 offen offset:8
	s_nop 0
	buffer_load_dword v5, v5, s[0:3], 0 offen offset:12
	s_nop 0
	buffer_store_dword v148, off, s[0:3], 0 offset:128
	buffer_store_dword v148, off, s[0:3], 0 offset:132
	;; [unrolled: 1-line block ×4, first 2 shown]
	s_waitcnt vmcnt(4)
	ds_write_b128 v1, v[2:5]
.LBB94_183:
	s_or_b64 exec, exec, s[6:7]
	s_waitcnt lgkmcnt(0)
	; wave barrier
	s_waitcnt lgkmcnt(0)
	ds_read_b128 v[14:17], v148 offset:640
	ds_read_b128 v[10:13], v148 offset:656
	;; [unrolled: 1-line block ×4, first 2 shown]
	buffer_load_dword v20, off, s[0:3], 0 offset:128
	buffer_load_dword v21, off, s[0:3], 0 offset:132
	;; [unrolled: 1-line block ×92, first 2 shown]
	s_waitcnt vmcnt(62) lgkmcnt(3)
	v_mul_f64 v[64:65], v[14:15], v[28:29]
	v_fmac_f64_e32 v[64:65], v[16:17], v[22:23]
	s_waitcnt lgkmcnt(2)
	v_mul_f64 v[70:71], v[10:11], v[30:31]
	v_add_f64 v[64:65], v[64:65], 0
	v_fmac_f64_e32 v[70:71], v[12:13], v[24:25]
	ds_read_b128 v[150:153], v148 offset:704
	ds_read_b128 v[154:157], v148 offset:720
	v_add_f64 v[64:65], v[64:65], v[70:71]
	s_waitcnt lgkmcnt(3)
	v_mul_f64 v[70:71], v[6:7], v[32:33]
	v_mul_f64 v[16:17], v[16:17], v[28:29]
	v_fmac_f64_e32 v[70:71], v[8:9], v[26:27]
	v_fma_f64 v[14:15], v[14:15], v[22:23], -v[16:17]
	v_mul_f64 v[12:13], v[12:13], v[30:31]
	v_add_f64 v[64:65], v[64:65], v[70:71]
	s_waitcnt lgkmcnt(2)
	v_mul_f64 v[70:71], v[2:3], v[38:39]
	v_add_f64 v[14:15], v[14:15], 0
	v_fma_f64 v[10:11], v[10:11], v[24:25], -v[12:13]
	v_mul_f64 v[8:9], v[8:9], v[32:33]
	v_fmac_f64_e32 v[70:71], v[4:5], v[40:41]
	ds_read_b128 v[158:161], v148 offset:736
	ds_read_b128 v[162:165], v148 offset:752
	v_add_f64 v[10:11], v[14:15], v[10:11]
	v_fma_f64 v[6:7], v[6:7], v[26:27], -v[8:9]
	v_mul_f64 v[4:5], v[4:5], v[38:39]
	v_add_f64 v[6:7], v[10:11], v[6:7]
	v_fma_f64 v[2:3], v[2:3], v[40:41], -v[4:5]
	s_waitcnt lgkmcnt(3)
	v_mul_f64 v[4:5], v[152:153], v[34:35]
	v_add_f64 v[64:65], v[64:65], v[70:71]
	v_mul_f64 v[70:71], v[150:151], v[34:35]
	v_add_f64 v[2:3], v[6:7], v[2:3]
	v_fma_f64 v[4:5], v[150:151], v[36:37], -v[4:5]
	v_fmac_f64_e32 v[70:71], v[152:153], v[36:37]
	v_add_f64 v[2:3], v[2:3], v[4:5]
	s_waitcnt lgkmcnt(2)
	v_mul_f64 v[4:5], v[156:157], v[108:109]
	v_add_f64 v[64:65], v[64:65], v[70:71]
	v_mul_f64 v[70:71], v[154:155], v[108:109]
	ds_read_b128 v[166:169], v148 offset:768
	ds_read_b128 v[170:173], v148 offset:784
	s_waitcnt vmcnt(60)
	v_fma_f64 v[4:5], v[154:155], v[110:111], -v[4:5]
	v_fmac_f64_e32 v[70:71], v[156:157], v[110:111]
	v_add_f64 v[2:3], v[2:3], v[4:5]
	s_waitcnt lgkmcnt(3)
	v_mul_f64 v[4:5], v[160:161], v[104:105]
	v_add_f64 v[64:65], v[64:65], v[70:71]
	v_mul_f64 v[70:71], v[158:159], v[104:105]
	v_fma_f64 v[4:5], v[158:159], v[106:107], -v[4:5]
	v_fmac_f64_e32 v[70:71], v[160:161], v[106:107]
	v_add_f64 v[2:3], v[2:3], v[4:5]
	s_waitcnt vmcnt(54) lgkmcnt(2)
	v_mul_f64 v[4:5], v[164:165], v[116:117]
	v_add_f64 v[64:65], v[64:65], v[70:71]
	v_mul_f64 v[70:71], v[162:163], v[116:117]
	ds_read_b128 v[174:177], v148 offset:800
	ds_read_b128 v[178:181], v148 offset:816
	s_waitcnt vmcnt(52)
	v_fma_f64 v[4:5], v[162:163], v[118:119], -v[4:5]
	v_fmac_f64_e32 v[70:71], v[164:165], v[118:119]
	v_add_f64 v[2:3], v[2:3], v[4:5]
	s_waitcnt lgkmcnt(3)
	v_mul_f64 v[4:5], v[168:169], v[112:113]
	v_add_f64 v[64:65], v[64:65], v[70:71]
	v_mul_f64 v[70:71], v[166:167], v[112:113]
	v_fma_f64 v[4:5], v[166:167], v[114:115], -v[4:5]
	v_fmac_f64_e32 v[70:71], v[168:169], v[114:115]
	v_add_f64 v[2:3], v[2:3], v[4:5]
	s_waitcnt vmcnt(46) lgkmcnt(2)
	;; [unrolled: 17-line block ×7, first 2 shown]
	v_mul_f64 v[4:5], v[246:247], v[60:61]
	v_add_f64 v[64:65], v[64:65], v[70:71]
	v_mul_f64 v[70:71], v[244:245], v[60:61]
	s_waitcnt vmcnt(4)
	v_fma_f64 v[4:5], v[244:245], v[62:63], -v[4:5]
	v_fmac_f64_e32 v[70:71], v[246:247], v[62:63]
	v_add_f64 v[2:3], v[2:3], v[4:5]
	s_waitcnt lgkmcnt(1)
	v_mul_f64 v[4:5], v[250:251], v[56:57]
	v_add_f64 v[64:65], v[64:65], v[70:71]
	v_mul_f64 v[70:71], v[248:249], v[56:57]
	v_fma_f64 v[4:5], v[248:249], v[58:59], -v[4:5]
	v_fmac_f64_e32 v[70:71], v[250:251], v[58:59]
	v_add_f64 v[2:3], v[2:3], v[4:5]
	s_waitcnt vmcnt(2) lgkmcnt(0)
	v_mul_f64 v[4:5], v[254:255], v[66:67]
	v_add_f64 v[64:65], v[64:65], v[70:71]
	v_mul_f64 v[70:71], v[252:253], v[66:67]
	s_waitcnt vmcnt(0)
	v_fma_f64 v[4:5], v[252:253], v[68:69], -v[4:5]
	v_fmac_f64_e32 v[70:71], v[254:255], v[68:69]
	v_add_f64 v[2:3], v[2:3], v[4:5]
	v_add_f64 v[64:65], v[64:65], v[70:71]
	v_add_f64 v[2:3], v[20:21], -v[2:3]
	v_cmp_lt_u32_e32 vcc, 7, v243
	v_add_f64 v[4:5], v[18:19], -v[64:65]
	buffer_store_dword v3, off, s[0:3], 0 offset:132
	buffer_store_dword v2, off, s[0:3], 0 offset:128
	;; [unrolled: 1-line block ×4, first 2 shown]
	s_and_saveexec_b64 s[6:7], vcc
	s_cbranch_execz .LBB94_185
; %bb.184:
	v_accvgpr_read_b32 v5, a82
	buffer_load_dword v2, v5, s[0:3], 0 offen
	buffer_load_dword v3, v5, s[0:3], 0 offen offset:4
	buffer_load_dword v4, v5, s[0:3], 0 offen offset:8
	s_nop 0
	buffer_load_dword v5, v5, s[0:3], 0 offen offset:12
	v_mov_b32_e32 v6, 0
	buffer_store_dword v6, off, s[0:3], 0 offset:112
	buffer_store_dword v6, off, s[0:3], 0 offset:116
	;; [unrolled: 1-line block ×4, first 2 shown]
	s_waitcnt vmcnt(4)
	ds_write_b128 v1, v[2:5]
.LBB94_185:
	s_or_b64 exec, exec, s[6:7]
	s_waitcnt lgkmcnt(0)
	; wave barrier
	s_waitcnt lgkmcnt(0)
	buffer_load_dword v9, off, s[0:3], 0 offset:140
	buffer_load_dword v6, off, s[0:3], 0 offset:152
	;; [unrolled: 1-line block ×64, first 2 shown]
	v_mov_b32_e32 v160, 0
	ds_read_b128 v[136:139], v160 offset:624
	ds_read_b128 v[140:143], v160 offset:640
	buffer_load_dword v129, off, s[0:3], 0 offset:396
	buffer_load_dword v128, off, s[0:3], 0 offset:392
	;; [unrolled: 1-line block ×8, first 2 shown]
	ds_read_b128 v[144:147], v160 offset:656
	ds_read_b128 v[148:151], v160 offset:672
	buffer_load_dword v49, off, s[0:3], 0 offset:428
	buffer_load_dword v48, off, s[0:3], 0 offset:424
	;; [unrolled: 1-line block ×24, first 2 shown]
	ds_read_b128 v[152:155], v160 offset:688
	ds_read_b128 v[156:159], v160 offset:704
	;; [unrolled: 1-line block ×19, first 2 shown]
	v_cmp_lt_u32_e32 vcc, 6, v243
	s_waitcnt vmcnt(62) lgkmcnt(14)
	v_mul_f64 v[46:47], v[140:141], v[6:7]
	v_mul_f64 v[44:45], v[136:137], v[8:9]
	;; [unrolled: 1-line block ×3, first 2 shown]
	v_fma_f64 v[8:9], v[136:137], v[10:11], -v[8:9]
	v_mul_f64 v[6:7], v[142:143], v[6:7]
	v_fmac_f64_e32 v[44:45], v[138:139], v[10:11]
	v_add_f64 v[8:9], v[8:9], 0
	v_add_f64 v[44:45], v[44:45], 0
	v_fma_f64 v[6:7], v[140:141], v[14:15], -v[6:7]
	v_fmac_f64_e32 v[46:47], v[142:143], v[14:15]
	v_add_f64 v[6:7], v[8:9], v[6:7]
	v_mul_f64 v[8:9], v[146:147], v[16:17]
	v_add_f64 v[44:45], v[44:45], v[46:47]
	v_mul_f64 v[46:47], v[144:145], v[16:17]
	v_fma_f64 v[8:9], v[144:145], v[12:13], -v[8:9]
	v_fmac_f64_e32 v[46:47], v[146:147], v[12:13]
	v_add_f64 v[6:7], v[6:7], v[8:9]
	v_mul_f64 v[8:9], v[150:151], v[22:23]
	v_add_f64 v[44:45], v[44:45], v[46:47]
	v_mul_f64 v[46:47], v[148:149], v[22:23]
	;; [unrolled: 6-line block ×5, first 2 shown]
	v_fma_f64 v[8:9], v[162:163], v[28:29], -v[8:9]
	v_fmac_f64_e32 v[46:47], v[164:165], v[28:29]
	v_add_f64 v[6:7], v[6:7], v[8:9]
	s_waitcnt vmcnt(58)
	v_mul_f64 v[8:9], v[168:169], v[38:39]
	v_add_f64 v[44:45], v[44:45], v[46:47]
	v_mul_f64 v[46:47], v[166:167], v[38:39]
	s_waitcnt vmcnt(56)
	v_fma_f64 v[8:9], v[166:167], v[40:41], -v[8:9]
	v_fmac_f64_e32 v[46:47], v[168:169], v[40:41]
	v_add_f64 v[6:7], v[6:7], v[8:9]
	v_mul_f64 v[8:9], v[172:173], v[34:35]
	v_add_f64 v[44:45], v[44:45], v[46:47]
	v_mul_f64 v[46:47], v[170:171], v[34:35]
	v_fma_f64 v[8:9], v[170:171], v[36:37], -v[8:9]
	v_fmac_f64_e32 v[46:47], v[172:173], v[36:37]
	v_add_f64 v[6:7], v[6:7], v[8:9]
	s_waitcnt vmcnt(50) lgkmcnt(13)
	v_mul_f64 v[8:9], v[176:177], v[108:109]
	v_add_f64 v[44:45], v[44:45], v[46:47]
	v_mul_f64 v[46:47], v[174:175], v[108:109]
	s_waitcnt vmcnt(48)
	v_fma_f64 v[8:9], v[174:175], v[110:111], -v[8:9]
	v_fmac_f64_e32 v[46:47], v[176:177], v[110:111]
	v_add_f64 v[6:7], v[6:7], v[8:9]
	s_waitcnt lgkmcnt(12)
	v_mul_f64 v[8:9], v[180:181], v[104:105]
	v_add_f64 v[44:45], v[44:45], v[46:47]
	v_mul_f64 v[46:47], v[178:179], v[104:105]
	v_fma_f64 v[8:9], v[178:179], v[106:107], -v[8:9]
	v_fmac_f64_e32 v[46:47], v[180:181], v[106:107]
	v_add_f64 v[6:7], v[6:7], v[8:9]
	s_waitcnt vmcnt(42) lgkmcnt(11)
	v_mul_f64 v[8:9], v[184:185], v[116:117]
	v_add_f64 v[44:45], v[44:45], v[46:47]
	v_mul_f64 v[46:47], v[182:183], v[116:117]
	s_waitcnt vmcnt(40)
	v_fma_f64 v[8:9], v[182:183], v[118:119], -v[8:9]
	v_fmac_f64_e32 v[46:47], v[184:185], v[118:119]
	v_add_f64 v[6:7], v[6:7], v[8:9]
	s_waitcnt lgkmcnt(10)
	;; [unrolled: 15-line block ×7, first 2 shown]
	v_mul_f64 v[8:9], v[220:221], v[64:65]
	v_add_f64 v[44:45], v[44:45], v[46:47]
	v_mul_f64 v[46:47], v[218:219], v[64:65]
	v_fma_f64 v[8:9], v[218:219], v[66:67], -v[8:9]
	v_fmac_f64_e32 v[46:47], v[220:221], v[66:67]
	v_add_f64 v[6:7], v[6:7], v[8:9]
	v_add_f64 v[44:45], v[44:45], v[46:47]
	v_add_f64 v[4:5], v[4:5], -v[6:7]
	v_add_f64 v[2:3], v[2:3], -v[44:45]
	buffer_store_dword v5, off, s[0:3], 0 offset:116
	buffer_store_dword v4, off, s[0:3], 0 offset:112
	;; [unrolled: 1-line block ×4, first 2 shown]
	s_and_saveexec_b64 s[6:7], vcc
	s_cbranch_execz .LBB94_187
; %bb.186:
	v_accvgpr_read_b32 v5, a80
	buffer_load_dword v2, v5, s[0:3], 0 offen
	buffer_load_dword v3, v5, s[0:3], 0 offen offset:4
	buffer_load_dword v4, v5, s[0:3], 0 offen offset:8
	s_nop 0
	buffer_load_dword v5, v5, s[0:3], 0 offen offset:12
	s_nop 0
	buffer_store_dword v160, off, s[0:3], 0 offset:96
	buffer_store_dword v160, off, s[0:3], 0 offset:100
	;; [unrolled: 1-line block ×4, first 2 shown]
	s_waitcnt vmcnt(4)
	ds_write_b128 v1, v[2:5]
.LBB94_187:
	s_or_b64 exec, exec, s[6:7]
	s_waitcnt lgkmcnt(0)
	; wave barrier
	s_waitcnt lgkmcnt(0)
	buffer_load_dword v22, off, s[0:3], 0 offset:112
	buffer_load_dword v23, off, s[0:3], 0 offset:116
	;; [unrolled: 1-line block ×16, first 2 shown]
	ds_read_b128 v[2:5], v160 offset:608
	ds_read_b128 v[6:9], v160 offset:624
	;; [unrolled: 1-line block ×4, first 2 shown]
	buffer_load_dword v35, off, s[0:3], 0 offset:188
	buffer_load_dword v34, off, s[0:3], 0 offset:184
	;; [unrolled: 1-line block ×48, first 2 shown]
	v_cmp_lt_u32_e32 vcc, 5, v243
	s_waitcnt vmcnt(60) lgkmcnt(3)
	v_mul_f64 v[44:45], v[2:3], v[24:25]
	v_fmac_f64_e32 v[44:45], v[4:5], v[22:23]
	v_add_f64 v[44:45], v[44:45], 0
	v_mul_f64 v[4:5], v[4:5], v[24:25]
	s_waitcnt vmcnt(56) lgkmcnt(2)
	v_mul_f64 v[46:47], v[6:7], v[32:33]
	v_fma_f64 v[2:3], v[2:3], v[22:23], -v[4:5]
	v_mul_f64 v[4:5], v[8:9], v[32:33]
	v_add_f64 v[2:3], v[2:3], 0
	s_waitcnt vmcnt(52)
	v_fmac_f64_e32 v[46:47], v[8:9], v[28:29]
	v_add_f64 v[44:45], v[44:45], v[46:47]
	buffer_load_dword v145, off, s[0:3], 0 offset:380
	buffer_load_dword v144, off, s[0:3], 0 offset:376
	;; [unrolled: 1-line block ×32, first 2 shown]
	ds_read_b128 v[162:165], v160 offset:672
	buffer_load_dword v65, off, s[0:3], 0 offset:492
	buffer_load_dword v64, off, s[0:3], 0 offset:488
	;; [unrolled: 1-line block ×4, first 2 shown]
	v_fma_f64 v[4:5], v[6:7], v[28:29], -v[4:5]
	v_add_f64 v[2:3], v[2:3], v[4:5]
	s_waitcnt lgkmcnt(2)
	v_mul_f64 v[4:5], v[12:13], v[26:27]
	v_mul_f64 v[48:49], v[10:11], v[26:27]
	ds_read_b128 v[166:169], v160 offset:688
	ds_read_b128 v[170:173], v160 offset:704
	v_fma_f64 v[4:5], v[10:11], v[30:31], -v[4:5]
	v_fmac_f64_e32 v[48:49], v[12:13], v[30:31]
	v_add_f64 v[2:3], v[2:3], v[4:5]
	s_waitcnt vmcnt(62) lgkmcnt(3)
	v_mul_f64 v[4:5], v[16:17], v[38:39]
	v_add_f64 v[44:45], v[44:45], v[48:49]
	v_mul_f64 v[48:49], v[14:15], v[38:39]
	v_fma_f64 v[4:5], v[14:15], v[40:41], -v[4:5]
	v_fmac_f64_e32 v[48:49], v[16:17], v[40:41]
	v_add_f64 v[2:3], v[2:3], v[4:5]
	s_waitcnt lgkmcnt(2)
	v_mul_f64 v[4:5], v[164:165], v[34:35]
	v_add_f64 v[44:45], v[44:45], v[48:49]
	v_mul_f64 v[48:49], v[162:163], v[34:35]
	ds_read_b128 v[174:177], v160 offset:720
	ds_read_b128 v[178:181], v160 offset:736
	v_fma_f64 v[4:5], v[162:163], v[36:37], -v[4:5]
	v_fmac_f64_e32 v[48:49], v[164:165], v[36:37]
	v_add_f64 v[2:3], v[2:3], v[4:5]
	s_waitcnt lgkmcnt(3)
	v_mul_f64 v[4:5], v[168:169], v[108:109]
	v_add_f64 v[44:45], v[44:45], v[48:49]
	v_mul_f64 v[48:49], v[166:167], v[108:109]
	v_fma_f64 v[4:5], v[166:167], v[110:111], -v[4:5]
	v_fmac_f64_e32 v[48:49], v[168:169], v[110:111]
	v_add_f64 v[2:3], v[2:3], v[4:5]
	s_waitcnt lgkmcnt(2)
	v_mul_f64 v[4:5], v[172:173], v[104:105]
	v_add_f64 v[44:45], v[44:45], v[48:49]
	v_mul_f64 v[48:49], v[170:171], v[104:105]
	ds_read_b128 v[182:185], v160 offset:752
	ds_read_b128 v[186:189], v160 offset:768
	v_fma_f64 v[4:5], v[170:171], v[106:107], -v[4:5]
	v_fmac_f64_e32 v[48:49], v[172:173], v[106:107]
	v_add_f64 v[2:3], v[2:3], v[4:5]
	s_waitcnt lgkmcnt(3)
	v_mul_f64 v[4:5], v[176:177], v[116:117]
	v_add_f64 v[44:45], v[44:45], v[48:49]
	v_mul_f64 v[48:49], v[174:175], v[116:117]
	s_waitcnt vmcnt(60)
	v_fma_f64 v[4:5], v[174:175], v[118:119], -v[4:5]
	v_fmac_f64_e32 v[48:49], v[176:177], v[118:119]
	v_add_f64 v[2:3], v[2:3], v[4:5]
	s_waitcnt lgkmcnt(2)
	v_mul_f64 v[4:5], v[180:181], v[112:113]
	v_add_f64 v[44:45], v[44:45], v[48:49]
	v_mul_f64 v[48:49], v[178:179], v[112:113]
	ds_read_b128 v[190:193], v160 offset:784
	ds_read_b128 v[194:197], v160 offset:800
	v_fma_f64 v[4:5], v[178:179], v[114:115], -v[4:5]
	v_fmac_f64_e32 v[48:49], v[180:181], v[114:115]
	v_add_f64 v[2:3], v[2:3], v[4:5]
	s_waitcnt vmcnt(54) lgkmcnt(3)
	v_mul_f64 v[4:5], v[184:185], v[124:125]
	v_add_f64 v[44:45], v[44:45], v[48:49]
	v_mul_f64 v[48:49], v[182:183], v[124:125]
	s_waitcnt vmcnt(52)
	v_fma_f64 v[4:5], v[182:183], v[126:127], -v[4:5]
	v_fmac_f64_e32 v[48:49], v[184:185], v[126:127]
	v_add_f64 v[2:3], v[2:3], v[4:5]
	s_waitcnt lgkmcnt(2)
	v_mul_f64 v[4:5], v[188:189], v[120:121]
	v_add_f64 v[44:45], v[44:45], v[48:49]
	v_mul_f64 v[48:49], v[186:187], v[120:121]
	ds_read_b128 v[198:201], v160 offset:816
	ds_read_b128 v[206:209], v160 offset:832
	v_fma_f64 v[4:5], v[186:187], v[122:123], -v[4:5]
	v_fmac_f64_e32 v[48:49], v[188:189], v[122:123]
	v_add_f64 v[2:3], v[2:3], v[4:5]
	s_waitcnt vmcnt(46) lgkmcnt(3)
	;; [unrolled: 17-line block ×6, first 2 shown]
	v_mul_f64 v[4:5], v[250:251], v[52:53]
	v_add_f64 v[44:45], v[44:45], v[48:49]
	v_mul_f64 v[48:49], v[248:249], v[52:53]
	s_waitcnt vmcnt(12)
	v_fma_f64 v[4:5], v[248:249], v[54:55], -v[4:5]
	v_fmac_f64_e32 v[48:49], v[250:251], v[54:55]
	v_add_f64 v[2:3], v[2:3], v[4:5]
	s_waitcnt lgkmcnt(2)
	v_mul_f64 v[4:5], v[254:255], v[46:47]
	v_add_f64 v[44:45], v[44:45], v[48:49]
	v_mul_f64 v[48:49], v[252:253], v[46:47]
	ds_read_b128 v[230:233], v160 offset:976
	v_fma_f64 v[4:5], v[252:253], v[50:51], -v[4:5]
	v_fmac_f64_e32 v[48:49], v[254:255], v[50:51]
	v_add_f64 v[2:3], v[2:3], v[4:5]
	s_waitcnt vmcnt(6) lgkmcnt(2)
	v_mul_f64 v[4:5], v[224:225], v[60:61]
	v_add_f64 v[44:45], v[44:45], v[48:49]
	v_mul_f64 v[48:49], v[222:223], v[60:61]
	s_waitcnt vmcnt(4)
	v_fma_f64 v[4:5], v[222:223], v[62:63], -v[4:5]
	v_fmac_f64_e32 v[48:49], v[224:225], v[62:63]
	v_add_f64 v[2:3], v[2:3], v[4:5]
	s_waitcnt lgkmcnt(1)
	v_mul_f64 v[4:5], v[228:229], v[56:57]
	v_add_f64 v[44:45], v[44:45], v[48:49]
	v_mul_f64 v[48:49], v[226:227], v[56:57]
	v_fma_f64 v[4:5], v[226:227], v[58:59], -v[4:5]
	v_fmac_f64_e32 v[48:49], v[228:229], v[58:59]
	v_add_f64 v[2:3], v[2:3], v[4:5]
	s_waitcnt vmcnt(2) lgkmcnt(0)
	v_mul_f64 v[4:5], v[232:233], v[64:65]
	v_add_f64 v[44:45], v[44:45], v[48:49]
	v_mul_f64 v[48:49], v[230:231], v[64:65]
	s_waitcnt vmcnt(0)
	v_fma_f64 v[4:5], v[230:231], v[66:67], -v[4:5]
	v_fmac_f64_e32 v[48:49], v[232:233], v[66:67]
	v_add_f64 v[2:3], v[2:3], v[4:5]
	v_add_f64 v[44:45], v[44:45], v[48:49]
	v_add_f64 v[2:3], v[20:21], -v[2:3]
	v_add_f64 v[4:5], v[18:19], -v[44:45]
	buffer_store_dword v3, off, s[0:3], 0 offset:100
	buffer_store_dword v2, off, s[0:3], 0 offset:96
	;; [unrolled: 1-line block ×4, first 2 shown]
	s_and_saveexec_b64 s[6:7], vcc
	s_cbranch_execz .LBB94_189
; %bb.188:
	v_accvgpr_read_b32 v5, a81
	buffer_load_dword v2, v5, s[0:3], 0 offen
	buffer_load_dword v3, v5, s[0:3], 0 offen offset:4
	buffer_load_dword v4, v5, s[0:3], 0 offen offset:8
	s_nop 0
	buffer_load_dword v5, v5, s[0:3], 0 offen offset:12
	v_mov_b32_e32 v6, 0
	buffer_store_dword v6, off, s[0:3], 0 offset:80
	buffer_store_dword v6, off, s[0:3], 0 offset:84
	;; [unrolled: 1-line block ×4, first 2 shown]
	s_waitcnt vmcnt(4)
	ds_write_b128 v1, v[2:5]
.LBB94_189:
	s_or_b64 exec, exec, s[6:7]
	s_waitcnt lgkmcnt(0)
	; wave barrier
	s_waitcnt lgkmcnt(0)
	buffer_load_dword v22, off, s[0:3], 0 offset:96
	buffer_load_dword v23, off, s[0:3], 0 offset:100
	;; [unrolled: 1-line block ×64, first 2 shown]
	v_mov_b32_e32 v176, 0
	ds_read_b128 v[18:21], v176 offset:592
	ds_read_b128 v[14:17], v176 offset:608
	ds_read_b128 v[10:13], v176 offset:624
	ds_read_b128 v[6:9], v176 offset:640
	ds_read_b128 v[2:5], v176 offset:656
	v_cmp_lt_u32_e32 vcc, 4, v243
	s_waitcnt vmcnt(60) lgkmcnt(4)
	v_mul_f64 v[44:45], v[18:19], v[26:27]
	v_fmac_f64_e32 v[44:45], v[20:21], v[22:23]
	v_add_f64 v[44:45], v[44:45], 0
	v_mul_f64 v[20:21], v[20:21], v[26:27]
	s_waitcnt vmcnt(56) lgkmcnt(3)
	v_mul_f64 v[46:47], v[14:15], v[28:29]
	v_fmac_f64_e32 v[46:47], v[16:17], v[24:25]
	s_waitcnt vmcnt(54) lgkmcnt(2)
	v_mul_f64 v[48:49], v[10:11], v[30:31]
	v_add_f64 v[44:45], v[44:45], v[46:47]
	v_fma_f64 v[18:19], v[18:19], v[22:23], -v[20:21]
	v_mul_f64 v[16:17], v[16:17], v[28:29]
	s_waitcnt vmcnt(50) lgkmcnt(1)
	v_mul_f64 v[50:51], v[6:7], v[40:41]
	v_add_f64 v[18:19], v[18:19], 0
	s_waitcnt vmcnt(48)
	v_fmac_f64_e32 v[48:49], v[12:13], v[106:107]
	v_add_f64 v[44:45], v[44:45], v[48:49]
	buffer_load_dword v149, off, s[0:3], 0 offset:364
	buffer_load_dword v148, off, s[0:3], 0 offset:360
	;; [unrolled: 1-line block ×40, first 2 shown]
	ds_read_b128 v[164:167], v176 offset:672
	ds_read_b128 v[168:171], v176 offset:688
	s_waitcnt vmcnt(62)
	v_fmac_f64_e32 v[50:51], v[8:9], v[104:105]
	v_fma_f64 v[14:15], v[14:15], v[24:25], -v[16:17]
	v_mul_f64 v[12:13], v[12:13], v[30:31]
	v_add_f64 v[44:45], v[44:45], v[50:51]
	s_waitcnt lgkmcnt(2)
	v_mul_f64 v[50:51], v[2:3], v[36:37]
	v_add_f64 v[14:15], v[18:19], v[14:15]
	v_fma_f64 v[10:11], v[10:11], v[106:107], -v[12:13]
	v_mul_f64 v[8:9], v[8:9], v[40:41]
	v_fmac_f64_e32 v[50:51], v[4:5], v[38:39]
	ds_read_b128 v[172:175], v176 offset:704
	ds_read_b128 v[178:181], v176 offset:720
	v_add_f64 v[10:11], v[14:15], v[10:11]
	v_fma_f64 v[6:7], v[6:7], v[104:105], -v[8:9]
	v_mul_f64 v[4:5], v[4:5], v[36:37]
	v_add_f64 v[6:7], v[10:11], v[6:7]
	v_fma_f64 v[2:3], v[2:3], v[38:39], -v[4:5]
	s_waitcnt lgkmcnt(3)
	v_mul_f64 v[4:5], v[166:167], v[112:113]
	v_add_f64 v[44:45], v[44:45], v[50:51]
	v_mul_f64 v[50:51], v[164:165], v[112:113]
	v_add_f64 v[2:3], v[6:7], v[2:3]
	v_fma_f64 v[4:5], v[164:165], v[114:115], -v[4:5]
	v_fmac_f64_e32 v[50:51], v[166:167], v[114:115]
	v_add_f64 v[2:3], v[2:3], v[4:5]
	s_waitcnt lgkmcnt(2)
	v_mul_f64 v[4:5], v[170:171], v[108:109]
	v_add_f64 v[44:45], v[44:45], v[50:51]
	v_mul_f64 v[50:51], v[168:169], v[108:109]
	ds_read_b128 v[182:185], v176 offset:736
	ds_read_b128 v[186:189], v176 offset:752
	v_fma_f64 v[4:5], v[168:169], v[110:111], -v[4:5]
	v_fmac_f64_e32 v[50:51], v[170:171], v[110:111]
	v_add_f64 v[2:3], v[2:3], v[4:5]
	s_waitcnt lgkmcnt(3)
	v_mul_f64 v[4:5], v[174:175], v[120:121]
	v_add_f64 v[44:45], v[44:45], v[50:51]
	v_mul_f64 v[50:51], v[172:173], v[120:121]
	v_fma_f64 v[4:5], v[172:173], v[122:123], -v[4:5]
	v_fmac_f64_e32 v[50:51], v[174:175], v[122:123]
	v_add_f64 v[2:3], v[2:3], v[4:5]
	s_waitcnt lgkmcnt(2)
	v_mul_f64 v[4:5], v[180:181], v[116:117]
	v_add_f64 v[44:45], v[44:45], v[50:51]
	v_mul_f64 v[50:51], v[178:179], v[116:117]
	ds_read_b128 v[190:193], v176 offset:768
	ds_read_b128 v[194:197], v176 offset:784
	v_fma_f64 v[4:5], v[178:179], v[118:119], -v[4:5]
	v_fmac_f64_e32 v[50:51], v[180:181], v[118:119]
	v_add_f64 v[2:3], v[2:3], v[4:5]
	s_waitcnt vmcnt(58) lgkmcnt(3)
	v_mul_f64 v[4:5], v[184:185], v[128:129]
	v_add_f64 v[44:45], v[44:45], v[50:51]
	v_mul_f64 v[50:51], v[182:183], v[128:129]
	s_waitcnt vmcnt(56)
	v_fma_f64 v[4:5], v[182:183], v[130:131], -v[4:5]
	v_fmac_f64_e32 v[50:51], v[184:185], v[130:131]
	v_add_f64 v[2:3], v[2:3], v[4:5]
	s_waitcnt lgkmcnt(2)
	v_mul_f64 v[4:5], v[188:189], v[124:125]
	v_add_f64 v[44:45], v[44:45], v[50:51]
	v_mul_f64 v[50:51], v[186:187], v[124:125]
	ds_read_b128 v[198:201], v176 offset:800
	ds_read_b128 v[206:209], v176 offset:816
	v_fma_f64 v[4:5], v[186:187], v[126:127], -v[4:5]
	v_fmac_f64_e32 v[50:51], v[188:189], v[126:127]
	v_add_f64 v[2:3], v[2:3], v[4:5]
	s_waitcnt vmcnt(50) lgkmcnt(3)
	v_mul_f64 v[4:5], v[192:193], v[136:137]
	v_add_f64 v[44:45], v[44:45], v[50:51]
	v_mul_f64 v[50:51], v[190:191], v[136:137]
	s_waitcnt vmcnt(48)
	v_fma_f64 v[4:5], v[190:191], v[138:139], -v[4:5]
	v_fmac_f64_e32 v[50:51], v[192:193], v[138:139]
	v_add_f64 v[2:3], v[2:3], v[4:5]
	s_waitcnt lgkmcnt(2)
	v_mul_f64 v[4:5], v[196:197], v[132:133]
	v_add_f64 v[44:45], v[44:45], v[50:51]
	v_mul_f64 v[50:51], v[194:195], v[132:133]
	ds_read_b128 v[210:213], v176 offset:832
	ds_read_b128 v[214:217], v176 offset:848
	v_fma_f64 v[4:5], v[194:195], v[134:135], -v[4:5]
	v_fmac_f64_e32 v[50:51], v[196:197], v[134:135]
	v_add_f64 v[2:3], v[2:3], v[4:5]
	s_waitcnt vmcnt(42) lgkmcnt(3)
	v_mul_f64 v[4:5], v[200:201], v[144:145]
	v_add_f64 v[44:45], v[44:45], v[50:51]
	v_mul_f64 v[50:51], v[198:199], v[144:145]
	s_waitcnt vmcnt(40)
	v_fma_f64 v[4:5], v[198:199], v[146:147], -v[4:5]
	v_fmac_f64_e32 v[50:51], v[200:201], v[146:147]
	v_add_f64 v[2:3], v[2:3], v[4:5]
	s_waitcnt lgkmcnt(2)
	v_mul_f64 v[4:5], v[208:209], v[140:141]
	v_add_f64 v[44:45], v[44:45], v[50:51]
	v_mul_f64 v[50:51], v[206:207], v[140:141]
	ds_read_b128 v[218:221], v176 offset:864
	ds_read_b128 v[222:225], v176 offset:880
	v_fma_f64 v[4:5], v[206:207], v[142:143], -v[4:5]
	v_fmac_f64_e32 v[50:51], v[208:209], v[142:143]
	v_add_f64 v[2:3], v[2:3], v[4:5]
	s_waitcnt vmcnt(34) lgkmcnt(3)
	v_mul_f64 v[4:5], v[212:213], v[152:153]
	v_add_f64 v[44:45], v[44:45], v[50:51]
	v_mul_f64 v[50:51], v[210:211], v[152:153]
	s_waitcnt vmcnt(32)
	v_fma_f64 v[4:5], v[210:211], v[154:155], -v[4:5]
	v_fmac_f64_e32 v[50:51], v[212:213], v[154:155]
	v_add_f64 v[2:3], v[2:3], v[4:5]
	s_waitcnt lgkmcnt(2)
	v_mul_f64 v[4:5], v[216:217], v[148:149]
	v_add_f64 v[44:45], v[44:45], v[50:51]
	v_mul_f64 v[50:51], v[214:215], v[148:149]
	ds_read_b128 v[226:229], v176 offset:896
	ds_read_b128 v[230:233], v176 offset:912
	v_fma_f64 v[4:5], v[214:215], v[150:151], -v[4:5]
	v_fmac_f64_e32 v[50:51], v[216:217], v[150:151]
	v_add_f64 v[2:3], v[2:3], v[4:5]
	s_waitcnt vmcnt(26) lgkmcnt(3)
	v_mul_f64 v[4:5], v[220:221], v[160:161]
	v_add_f64 v[44:45], v[44:45], v[50:51]
	v_mul_f64 v[50:51], v[218:219], v[160:161]
	s_waitcnt vmcnt(24)
	v_fma_f64 v[4:5], v[218:219], v[162:163], -v[4:5]
	v_fmac_f64_e32 v[50:51], v[220:221], v[162:163]
	v_add_f64 v[2:3], v[2:3], v[4:5]
	s_waitcnt lgkmcnt(2)
	v_mul_f64 v[4:5], v[224:225], v[156:157]
	v_add_f64 v[44:45], v[44:45], v[50:51]
	v_mul_f64 v[50:51], v[222:223], v[156:157]
	ds_read_b128 v[244:247], v176 offset:928
	ds_read_b128 v[248:251], v176 offset:944
	v_fma_f64 v[4:5], v[222:223], v[158:159], -v[4:5]
	v_fmac_f64_e32 v[50:51], v[224:225], v[158:159]
	v_add_f64 v[2:3], v[2:3], v[4:5]
	s_waitcnt vmcnt(18) lgkmcnt(3)
	v_mul_f64 v[4:5], v[228:229], v[52:53]
	v_add_f64 v[44:45], v[44:45], v[50:51]
	v_mul_f64 v[50:51], v[226:227], v[52:53]
	s_waitcnt vmcnt(16)
	v_fma_f64 v[4:5], v[226:227], v[54:55], -v[4:5]
	v_fmac_f64_e32 v[50:51], v[228:229], v[54:55]
	v_add_f64 v[2:3], v[2:3], v[4:5]
	s_waitcnt lgkmcnt(2)
	v_mul_f64 v[4:5], v[232:233], v[46:47]
	v_add_f64 v[44:45], v[44:45], v[50:51]
	v_mul_f64 v[50:51], v[230:231], v[46:47]
	ds_read_b128 v[252:255], v176 offset:960
	ds_read_b128 v[234:237], v176 offset:976
	v_fma_f64 v[4:5], v[230:231], v[48:49], -v[4:5]
	v_fmac_f64_e32 v[50:51], v[232:233], v[48:49]
	v_add_f64 v[2:3], v[2:3], v[4:5]
	s_waitcnt vmcnt(10) lgkmcnt(3)
	v_mul_f64 v[4:5], v[246:247], v[60:61]
	v_add_f64 v[44:45], v[44:45], v[50:51]
	v_mul_f64 v[50:51], v[244:245], v[60:61]
	s_waitcnt vmcnt(8)
	v_fma_f64 v[4:5], v[244:245], v[62:63], -v[4:5]
	v_fmac_f64_e32 v[50:51], v[246:247], v[62:63]
	v_add_f64 v[2:3], v[2:3], v[4:5]
	s_waitcnt lgkmcnt(2)
	v_mul_f64 v[4:5], v[250:251], v[56:57]
	v_add_f64 v[44:45], v[44:45], v[50:51]
	v_mul_f64 v[50:51], v[248:249], v[56:57]
	v_fma_f64 v[4:5], v[248:249], v[58:59], -v[4:5]
	v_fmac_f64_e32 v[50:51], v[250:251], v[58:59]
	v_add_f64 v[2:3], v[2:3], v[4:5]
	s_waitcnt vmcnt(2) lgkmcnt(1)
	v_mul_f64 v[4:5], v[254:255], v[68:69]
	v_add_f64 v[44:45], v[44:45], v[50:51]
	v_mul_f64 v[50:51], v[252:253], v[68:69]
	s_waitcnt vmcnt(0)
	v_fma_f64 v[4:5], v[252:253], v[70:71], -v[4:5]
	v_fmac_f64_e32 v[50:51], v[254:255], v[70:71]
	v_add_f64 v[2:3], v[2:3], v[4:5]
	s_waitcnt lgkmcnt(0)
	v_mul_f64 v[4:5], v[236:237], v[64:65]
	v_add_f64 v[44:45], v[44:45], v[50:51]
	v_mul_f64 v[50:51], v[234:235], v[64:65]
	v_fma_f64 v[4:5], v[234:235], v[66:67], -v[4:5]
	v_fmac_f64_e32 v[50:51], v[236:237], v[66:67]
	v_add_f64 v[2:3], v[2:3], v[4:5]
	v_add_f64 v[44:45], v[44:45], v[50:51]
	v_add_f64 v[2:3], v[34:35], -v[2:3]
	v_add_f64 v[4:5], v[32:33], -v[44:45]
	buffer_store_dword v3, off, s[0:3], 0 offset:84
	buffer_store_dword v2, off, s[0:3], 0 offset:80
	;; [unrolled: 1-line block ×4, first 2 shown]
	s_and_saveexec_b64 s[6:7], vcc
	s_cbranch_execz .LBB94_191
; %bb.190:
	v_accvgpr_read_b32 v5, a79
	buffer_load_dword v2, v5, s[0:3], 0 offen
	buffer_load_dword v3, v5, s[0:3], 0 offen offset:4
	buffer_load_dword v4, v5, s[0:3], 0 offen offset:8
	s_nop 0
	buffer_load_dword v5, v5, s[0:3], 0 offen offset:12
	s_nop 0
	buffer_store_dword v176, off, s[0:3], 0 offset:64
	buffer_store_dword v176, off, s[0:3], 0 offset:68
	;; [unrolled: 1-line block ×4, first 2 shown]
	s_waitcnt vmcnt(4)
	ds_write_b128 v1, v[2:5]
.LBB94_191:
	s_or_b64 exec, exec, s[6:7]
	s_waitcnt lgkmcnt(0)
	; wave barrier
	s_waitcnt lgkmcnt(0)
	buffer_load_dword v26, off, s[0:3], 0 offset:80
	buffer_load_dword v27, off, s[0:3], 0 offset:84
	;; [unrolled: 1-line block ×24, first 2 shown]
	ds_read_b128 v[22:25], v176 offset:576
	ds_read_b128 v[18:21], v176 offset:592
	;; [unrolled: 1-line block ×6, first 2 shown]
	buffer_load_dword v113, off, s[0:3], 0 offset:188
	buffer_load_dword v112, off, s[0:3], 0 offset:184
	;; [unrolled: 1-line block ×40, first 2 shown]
	v_cmp_lt_u32_e32 vcc, 3, v243
	s_waitcnt vmcnt(60) lgkmcnt(5)
	v_mul_f64 v[44:45], v[22:23], v[28:29]
	v_fmac_f64_e32 v[44:45], v[24:25], v[26:27]
	s_waitcnt vmcnt(58) lgkmcnt(4)
	v_mul_f64 v[46:47], v[18:19], v[30:31]
	v_add_f64 v[44:45], v[44:45], 0
	s_waitcnt vmcnt(56) lgkmcnt(3)
	v_mul_f64 v[48:49], v[10:11], v[32:33]
	v_mul_f64 v[24:25], v[24:25], v[28:29]
	s_waitcnt vmcnt(54) lgkmcnt(1)
	v_mul_f64 v[52:53], v[2:3], v[38:39]
	v_fma_f64 v[22:23], v[22:23], v[26:27], -v[24:25]
	v_add_f64 v[22:23], v[22:23], 0
	s_waitcnt vmcnt(51)
	v_mul_f64 v[50:51], v[6:7], v[104:105]
	s_waitcnt vmcnt(49)
	v_fmac_f64_e32 v[46:47], v[20:21], v[110:111]
	v_add_f64 v[44:45], v[44:45], v[46:47]
	s_waitcnt vmcnt(47)
	v_fmac_f64_e32 v[48:49], v[12:13], v[108:109]
	v_add_f64 v[44:45], v[44:45], v[48:49]
	;; [unrolled: 3-line block ×3, first 2 shown]
	buffer_load_dword v153, off, s[0:3], 0 offset:348
	buffer_load_dword v152, off, s[0:3], 0 offset:344
	;; [unrolled: 1-line block ×40, first 2 shown]
	s_waitcnt vmcnt(62)
	v_fmac_f64_e32 v[52:53], v[4:5], v[40:41]
	v_add_f64 v[44:45], v[44:45], v[52:53]
	ds_read_b128 v[178:181], v176 offset:672
	buffer_load_dword v53, off, s[0:3], 0 offset:492
	buffer_load_dword v52, off, s[0:3], 0 offset:488
	;; [unrolled: 1-line block ×4, first 2 shown]
	v_mul_f64 v[20:21], v[20:21], v[30:31]
	v_fma_f64 v[18:19], v[18:19], v[110:111], -v[20:21]
	v_mul_f64 v[12:13], v[12:13], v[32:33]
	ds_read_b128 v[182:185], v176 offset:688
	ds_read_b128 v[186:189], v176 offset:704
	v_add_f64 v[18:19], v[22:23], v[18:19]
	v_fma_f64 v[10:11], v[10:11], v[108:109], -v[12:13]
	v_mul_f64 v[8:9], v[8:9], v[104:105]
	s_waitcnt lgkmcnt(3)
	v_mul_f64 v[46:47], v[14:15], v[116:117]
	v_add_f64 v[10:11], v[18:19], v[10:11]
	v_fma_f64 v[6:7], v[6:7], v[106:107], -v[8:9]
	v_mul_f64 v[4:5], v[4:5], v[38:39]
	v_fmac_f64_e32 v[46:47], v[16:17], v[118:119]
	v_add_f64 v[6:7], v[10:11], v[6:7]
	v_fma_f64 v[2:3], v[2:3], v[40:41], -v[4:5]
	v_mul_f64 v[4:5], v[16:17], v[116:117]
	v_add_f64 v[44:45], v[44:45], v[46:47]
	s_waitcnt lgkmcnt(2)
	v_mul_f64 v[46:47], v[178:179], v[112:113]
	v_add_f64 v[2:3], v[6:7], v[2:3]
	v_fma_f64 v[4:5], v[14:15], v[118:119], -v[4:5]
	v_fmac_f64_e32 v[46:47], v[180:181], v[114:115]
	ds_read_b128 v[190:193], v176 offset:720
	ds_read_b128 v[194:197], v176 offset:736
	v_add_f64 v[2:3], v[2:3], v[4:5]
	v_mul_f64 v[4:5], v[180:181], v[112:113]
	v_add_f64 v[44:45], v[44:45], v[46:47]
	s_waitcnt lgkmcnt(3)
	v_mul_f64 v[46:47], v[182:183], v[124:125]
	v_fma_f64 v[4:5], v[178:179], v[114:115], -v[4:5]
	v_fmac_f64_e32 v[46:47], v[184:185], v[126:127]
	v_add_f64 v[2:3], v[2:3], v[4:5]
	v_mul_f64 v[4:5], v[184:185], v[124:125]
	v_add_f64 v[44:45], v[44:45], v[46:47]
	s_waitcnt lgkmcnt(2)
	v_mul_f64 v[46:47], v[186:187], v[120:121]
	v_fma_f64 v[4:5], v[182:183], v[126:127], -v[4:5]
	v_fmac_f64_e32 v[46:47], v[188:189], v[122:123]
	ds_read_b128 v[198:201], v176 offset:752
	ds_read_b128 v[206:209], v176 offset:768
	v_add_f64 v[2:3], v[2:3], v[4:5]
	v_mul_f64 v[4:5], v[188:189], v[120:121]
	v_add_f64 v[44:45], v[44:45], v[46:47]
	s_waitcnt vmcnt(62) lgkmcnt(3)
	v_mul_f64 v[46:47], v[190:191], v[132:133]
	v_fma_f64 v[4:5], v[186:187], v[122:123], -v[4:5]
	s_waitcnt vmcnt(60)
	v_fmac_f64_e32 v[46:47], v[192:193], v[134:135]
	v_add_f64 v[2:3], v[2:3], v[4:5]
	v_mul_f64 v[4:5], v[192:193], v[132:133]
	v_add_f64 v[44:45], v[44:45], v[46:47]
	s_waitcnt lgkmcnt(2)
	v_mul_f64 v[46:47], v[194:195], v[128:129]
	v_fma_f64 v[4:5], v[190:191], v[134:135], -v[4:5]
	v_fmac_f64_e32 v[46:47], v[196:197], v[130:131]
	ds_read_b128 v[210:213], v176 offset:784
	ds_read_b128 v[214:217], v176 offset:800
	v_add_f64 v[2:3], v[2:3], v[4:5]
	v_mul_f64 v[4:5], v[196:197], v[128:129]
	v_add_f64 v[44:45], v[44:45], v[46:47]
	s_waitcnt vmcnt(54) lgkmcnt(3)
	v_mul_f64 v[46:47], v[198:199], v[140:141]
	v_fma_f64 v[4:5], v[194:195], v[130:131], -v[4:5]
	s_waitcnt vmcnt(52)
	;; [unrolled: 17-line block ×6, first 2 shown]
	v_fmac_f64_e32 v[46:47], v[236:237], v[174:175]
	v_add_f64 v[2:3], v[2:3], v[4:5]
	v_mul_f64 v[4:5], v[236:237], v[172:173]
	v_add_f64 v[44:45], v[44:45], v[46:47]
	s_waitcnt lgkmcnt(2)
	v_mul_f64 v[46:47], v[244:245], v[168:169]
	v_fma_f64 v[4:5], v[234:235], v[174:175], -v[4:5]
	v_fmac_f64_e32 v[46:47], v[246:247], v[170:171]
	v_add_f64 v[2:3], v[2:3], v[4:5]
	v_mul_f64 v[4:5], v[246:247], v[168:169]
	v_add_f64 v[44:45], v[44:45], v[46:47]
	s_waitcnt vmcnt(14) lgkmcnt(1)
	v_mul_f64 v[46:47], v[248:249], v[54:55]
	ds_read_b128 v[238:241], v176 offset:944
	ds_read_b128 v[202:205], v176 offset:960
	v_fma_f64 v[4:5], v[244:245], v[170:171], -v[4:5]
	s_waitcnt vmcnt(12)
	v_fmac_f64_e32 v[46:47], v[250:251], v[56:57]
	v_add_f64 v[2:3], v[2:3], v[4:5]
	v_mul_f64 v[4:5], v[250:251], v[54:55]
	v_add_f64 v[44:45], v[44:45], v[46:47]
	s_waitcnt lgkmcnt(2)
	v_mul_f64 v[46:47], v[252:253], v[48:49]
	v_fma_f64 v[4:5], v[248:249], v[56:57], -v[4:5]
	v_fmac_f64_e32 v[46:47], v[254:255], v[50:51]
	v_add_f64 v[2:3], v[2:3], v[4:5]
	v_mul_f64 v[4:5], v[254:255], v[48:49]
	v_add_f64 v[68:69], v[44:45], v[46:47]
	ds_read_b128 v[44:47], v176 offset:976
	v_fma_f64 v[4:5], v[252:253], v[50:51], -v[4:5]
	v_add_f64 v[2:3], v[2:3], v[4:5]
	s_waitcnt vmcnt(6) lgkmcnt(2)
	v_mul_f64 v[4:5], v[240:241], v[62:63]
	v_mul_f64 v[70:71], v[238:239], v[62:63]
	s_waitcnt vmcnt(4)
	v_fma_f64 v[4:5], v[238:239], v[64:65], -v[4:5]
	v_fmac_f64_e32 v[70:71], v[240:241], v[64:65]
	v_add_f64 v[2:3], v[2:3], v[4:5]
	s_waitcnt lgkmcnt(1)
	v_mul_f64 v[4:5], v[204:205], v[58:59]
	v_add_f64 v[68:69], v[68:69], v[70:71]
	v_mul_f64 v[70:71], v[202:203], v[58:59]
	v_fma_f64 v[4:5], v[202:203], v[60:61], -v[4:5]
	v_fmac_f64_e32 v[70:71], v[204:205], v[60:61]
	v_add_f64 v[2:3], v[2:3], v[4:5]
	s_waitcnt vmcnt(2) lgkmcnt(0)
	v_mul_f64 v[4:5], v[46:47], v[52:53]
	v_add_f64 v[68:69], v[68:69], v[70:71]
	v_mul_f64 v[70:71], v[44:45], v[52:53]
	s_waitcnt vmcnt(0)
	v_fma_f64 v[4:5], v[44:45], v[66:67], -v[4:5]
	v_fmac_f64_e32 v[70:71], v[46:47], v[66:67]
	v_add_f64 v[2:3], v[2:3], v[4:5]
	v_add_f64 v[68:69], v[68:69], v[70:71]
	v_add_f64 v[2:3], v[36:37], -v[2:3]
	v_add_f64 v[4:5], v[34:35], -v[68:69]
	buffer_store_dword v3, off, s[0:3], 0 offset:68
	buffer_store_dword v2, off, s[0:3], 0 offset:64
	;; [unrolled: 1-line block ×4, first 2 shown]
	s_and_saveexec_b64 s[6:7], vcc
	s_cbranch_execz .LBB94_193
; %bb.192:
	v_accvgpr_read_b32 v5, a84
	buffer_load_dword v2, v5, s[0:3], 0 offen
	buffer_load_dword v3, v5, s[0:3], 0 offen offset:4
	buffer_load_dword v4, v5, s[0:3], 0 offen offset:8
	s_nop 0
	buffer_load_dword v5, v5, s[0:3], 0 offen offset:12
	v_mov_b32_e32 v6, 0
	buffer_store_dword v6, off, s[0:3], 0 offset:48
	buffer_store_dword v6, off, s[0:3], 0 offset:52
	;; [unrolled: 1-line block ×4, first 2 shown]
	s_waitcnt vmcnt(4)
	ds_write_b128 v1, v[2:5]
.LBB94_193:
	s_or_b64 exec, exec, s[6:7]
	s_waitcnt lgkmcnt(0)
	; wave barrier
	s_waitcnt lgkmcnt(0)
	buffer_load_dword v30, off, s[0:3], 0 offset:64
	buffer_load_dword v31, off, s[0:3], 0 offset:68
	;; [unrolled: 1-line block ×56, first 2 shown]
	v_mov_b32_e32 v196, 0
	ds_read_b128 v[26:29], v196 offset:560
	ds_read_b128 v[22:25], v196 offset:576
	;; [unrolled: 1-line block ×7, first 2 shown]
	buffer_load_dword v149, off, s[0:3], 0 offset:300
	buffer_load_dword v148, off, s[0:3], 0 offset:296
	buffer_load_dword v151, off, s[0:3], 0 offset:292
	buffer_load_dword v150, off, s[0:3], 0 offset:288
	buffer_load_dword v153, off, s[0:3], 0 offset:284
	buffer_load_dword v152, off, s[0:3], 0 offset:280
	buffer_load_dword v155, off, s[0:3], 0 offset:276
	buffer_load_dword v154, off, s[0:3], 0 offset:272
	buffer_load_dword v157, off, s[0:3], 0 offset:332
	buffer_load_dword v156, off, s[0:3], 0 offset:328
	buffer_load_dword v159, off, s[0:3], 0 offset:324
	buffer_load_dword v158, off, s[0:3], 0 offset:320
	buffer_load_dword v161, off, s[0:3], 0 offset:316
	buffer_load_dword v160, off, s[0:3], 0 offset:312
	buffer_load_dword v163, off, s[0:3], 0 offset:308
	buffer_load_dword v162, off, s[0:3], 0 offset:304
	buffer_load_dword v165, off, s[0:3], 0 offset:364
	buffer_load_dword v164, off, s[0:3], 0 offset:360
	buffer_load_dword v167, off, s[0:3], 0 offset:356
	buffer_load_dword v166, off, s[0:3], 0 offset:352
	buffer_load_dword v169, off, s[0:3], 0 offset:348
	buffer_load_dword v168, off, s[0:3], 0 offset:344
	buffer_load_dword v171, off, s[0:3], 0 offset:340
	buffer_load_dword v170, off, s[0:3], 0 offset:336
	buffer_load_dword v175, off, s[0:3], 0 offset:396
	buffer_load_dword v174, off, s[0:3], 0 offset:392
	buffer_load_dword v177, off, s[0:3], 0 offset:388
	buffer_load_dword v176, off, s[0:3], 0 offset:384
	buffer_load_dword v181, off, s[0:3], 0 offset:380
	buffer_load_dword v180, off, s[0:3], 0 offset:376
	buffer_load_dword v183, off, s[0:3], 0 offset:372
	buffer_load_dword v182, off, s[0:3], 0 offset:368
	buffer_load_dword v185, off, s[0:3], 0 offset:428
	buffer_load_dword v184, off, s[0:3], 0 offset:424
	buffer_load_dword v61, off, s[0:3], 0 offset:420
	buffer_load_dword v60, off, s[0:3], 0 offset:416
	buffer_load_dword v63, off, s[0:3], 0 offset:412
	buffer_load_dword v62, off, s[0:3], 0 offset:408
	buffer_load_dword v65, off, s[0:3], 0 offset:404
	buffer_load_dword v64, off, s[0:3], 0 offset:400
	buffer_load_dword v67, off, s[0:3], 0 offset:460
	buffer_load_dword v66, off, s[0:3], 0 offset:456
	buffer_load_dword v69, off, s[0:3], 0 offset:452
	buffer_load_dword v68, off, s[0:3], 0 offset:448
	buffer_load_dword v71, off, s[0:3], 0 offset:444
	buffer_load_dword v70, off, s[0:3], 0 offset:440
	buffer_load_dword v73, off, s[0:3], 0 offset:436
	buffer_load_dword v72, off, s[0:3], 0 offset:432
	buffer_load_dword v75, off, s[0:3], 0 offset:492
	buffer_load_dword v74, off, s[0:3], 0 offset:488
	buffer_load_dword v77, off, s[0:3], 0 offset:484
	buffer_load_dword v76, off, s[0:3], 0 offset:480
	buffer_load_dword v79, off, s[0:3], 0 offset:476
	buffer_load_dword v78, off, s[0:3], 0 offset:472
	buffer_load_dword v195, off, s[0:3], 0 offset:468
	buffer_load_dword v194, off, s[0:3], 0 offset:464
	ds_read_b128 v[190:193], v196 offset:704
	ds_read_b128 v[198:201], v196 offset:720
	;; [unrolled: 1-line block ×15, first 2 shown]
	v_cmp_lt_u32_e32 vcc, 2, v243
	ds_read_b128 v[186:189], v196 offset:688
	ds_read_b128 v[56:59], v196 offset:976
	s_waitcnt vmcnt(62) lgkmcnt(14)
	v_mul_f64 v[44:45], v[26:27], v[34:35]
	v_fmac_f64_e32 v[44:45], v[28:29], v[30:31]
	v_add_f64 v[44:45], v[44:45], 0
	v_mul_f64 v[28:29], v[28:29], v[34:35]
	v_mul_f64 v[46:47], v[22:23], v[36:37]
	v_fmac_f64_e32 v[46:47], v[24:25], v[32:33]
	v_mul_f64 v[48:49], v[18:19], v[38:39]
	v_add_f64 v[44:45], v[44:45], v[46:47]
	v_mul_f64 v[52:53], v[10:11], v[40:41]
	v_fma_f64 v[26:27], v[26:27], v[30:31], -v[28:29]
	v_fmac_f64_e32 v[52:53], v[12:13], v[104:105]
	v_mul_f64 v[24:25], v[24:25], v[36:37]
	v_mul_f64 v[50:51], v[14:15], v[110:111]
	v_add_f64 v[26:27], v[26:27], 0
	v_fma_f64 v[22:23], v[22:23], v[32:33], -v[24:25]
	v_add_f64 v[22:23], v[26:27], v[22:23]
	v_mul_f64 v[172:173], v[6:7], v[116:117]
	v_mul_f64 v[12:13], v[12:13], v[40:41]
	v_fmac_f64_e32 v[48:49], v[20:21], v[122:123]
	v_add_f64 v[44:45], v[44:45], v[48:49]
	v_fmac_f64_e32 v[50:51], v[16:17], v[120:121]
	v_add_f64 v[44:45], v[44:45], v[50:51]
	v_add_f64 v[178:179], v[44:45], v[52:53]
	ds_read_b128 v[44:47], v196 offset:672
	v_fmac_f64_e32 v[172:173], v[8:9], v[118:119]
	v_mul_f64 v[50:51], v[2:3], v[112:113]
	v_mul_f64 v[20:21], v[20:21], v[38:39]
	v_add_f64 v[48:49], v[178:179], v[172:173]
	v_fmac_f64_e32 v[50:51], v[4:5], v[114:115]
	v_fma_f64 v[18:19], v[18:19], v[122:123], -v[20:21]
	v_mul_f64 v[16:17], v[16:17], v[110:111]
	v_add_f64 v[48:49], v[48:49], v[50:51]
	s_waitcnt lgkmcnt(0)
	v_mul_f64 v[50:51], v[44:45], v[128:129]
	v_add_f64 v[18:19], v[22:23], v[18:19]
	v_fma_f64 v[14:15], v[14:15], v[120:121], -v[16:17]
	v_fmac_f64_e32 v[50:51], v[46:47], v[130:131]
	v_add_f64 v[14:15], v[18:19], v[14:15]
	v_fma_f64 v[10:11], v[10:11], v[104:105], -v[12:13]
	v_mul_f64 v[8:9], v[8:9], v[116:117]
	v_add_f64 v[48:49], v[48:49], v[50:51]
	v_mul_f64 v[50:51], v[186:187], v[124:125]
	v_add_f64 v[10:11], v[14:15], v[10:11]
	v_fma_f64 v[6:7], v[6:7], v[118:119], -v[8:9]
	v_mul_f64 v[4:5], v[4:5], v[112:113]
	v_fmac_f64_e32 v[50:51], v[188:189], v[126:127]
	v_add_f64 v[6:7], v[10:11], v[6:7]
	v_fma_f64 v[2:3], v[2:3], v[114:115], -v[4:5]
	v_mul_f64 v[4:5], v[46:47], v[128:129]
	v_add_f64 v[48:49], v[48:49], v[50:51]
	v_mul_f64 v[50:51], v[190:191], v[136:137]
	v_add_f64 v[2:3], v[6:7], v[2:3]
	v_fma_f64 v[4:5], v[44:45], v[130:131], -v[4:5]
	v_fmac_f64_e32 v[50:51], v[192:193], v[138:139]
	v_add_f64 v[2:3], v[2:3], v[4:5]
	v_mul_f64 v[4:5], v[188:189], v[124:125]
	v_add_f64 v[48:49], v[48:49], v[50:51]
	v_mul_f64 v[50:51], v[198:199], v[132:133]
	v_fma_f64 v[4:5], v[186:187], v[126:127], -v[4:5]
	v_fmac_f64_e32 v[50:51], v[200:201], v[134:135]
	v_add_f64 v[2:3], v[2:3], v[4:5]
	v_mul_f64 v[4:5], v[192:193], v[136:137]
	v_add_f64 v[48:49], v[48:49], v[50:51]
	s_waitcnt vmcnt(58)
	v_mul_f64 v[50:51], v[202:203], v[144:145]
	v_fma_f64 v[4:5], v[190:191], v[138:139], -v[4:5]
	s_waitcnt vmcnt(56)
	v_fmac_f64_e32 v[50:51], v[204:205], v[146:147]
	v_add_f64 v[2:3], v[2:3], v[4:5]
	v_mul_f64 v[4:5], v[200:201], v[132:133]
	v_add_f64 v[48:49], v[48:49], v[50:51]
	v_mul_f64 v[50:51], v[206:207], v[140:141]
	v_fma_f64 v[4:5], v[198:199], v[134:135], -v[4:5]
	v_fmac_f64_e32 v[50:51], v[208:209], v[142:143]
	v_add_f64 v[2:3], v[2:3], v[4:5]
	v_mul_f64 v[4:5], v[204:205], v[144:145]
	v_add_f64 v[48:49], v[48:49], v[50:51]
	s_waitcnt vmcnt(50)
	v_mul_f64 v[50:51], v[210:211], v[152:153]
	v_fma_f64 v[4:5], v[202:203], v[146:147], -v[4:5]
	s_waitcnt vmcnt(48)
	;; [unrolled: 14-line block ×6, first 2 shown]
	v_fmac_f64_e32 v[50:51], v[246:247], v[64:65]
	v_add_f64 v[2:3], v[2:3], v[4:5]
	v_mul_f64 v[4:5], v[240:241], v[174:175]
	v_add_f64 v[48:49], v[48:49], v[50:51]
	v_mul_f64 v[50:51], v[248:249], v[184:185]
	v_fma_f64 v[4:5], v[238:239], v[176:177], -v[4:5]
	v_fmac_f64_e32 v[50:51], v[250:251], v[60:61]
	v_add_f64 v[2:3], v[2:3], v[4:5]
	v_mul_f64 v[4:5], v[246:247], v[62:63]
	v_add_f64 v[52:53], v[48:49], v[50:51]
	ds_read_b128 v[48:51], v196 offset:944
	s_waitcnt vmcnt(10)
	v_mul_f64 v[54:55], v[252:253], v[70:71]
	v_fma_f64 v[4:5], v[244:245], v[64:65], -v[4:5]
	s_waitcnt vmcnt(8)
	v_fmac_f64_e32 v[54:55], v[254:255], v[72:73]
	v_add_f64 v[2:3], v[2:3], v[4:5]
	v_mul_f64 v[4:5], v[250:251], v[184:185]
	v_add_f64 v[172:173], v[52:53], v[54:55]
	ds_read_b128 v[52:55], v196 offset:960
	v_fma_f64 v[4:5], v[248:249], v[60:61], -v[4:5]
	v_add_f64 v[2:3], v[2:3], v[4:5]
	v_mul_f64 v[4:5], v[254:255], v[70:71]
	v_fma_f64 v[4:5], v[252:253], v[72:73], -v[4:5]
	v_add_f64 v[2:3], v[2:3], v[4:5]
	s_waitcnt lgkmcnt(1)
	v_mul_f64 v[4:5], v[50:51], v[66:67]
	v_mul_f64 v[178:179], v[48:49], v[66:67]
	v_fma_f64 v[4:5], v[48:49], v[68:69], -v[4:5]
	v_fmac_f64_e32 v[178:179], v[50:51], v[68:69]
	v_add_f64 v[2:3], v[2:3], v[4:5]
	s_waitcnt vmcnt(2) lgkmcnt(0)
	v_mul_f64 v[4:5], v[54:55], v[78:79]
	v_add_f64 v[172:173], v[172:173], v[178:179]
	v_mul_f64 v[178:179], v[52:53], v[78:79]
	s_waitcnt vmcnt(0)
	v_fma_f64 v[4:5], v[52:53], v[194:195], -v[4:5]
	v_fmac_f64_e32 v[178:179], v[54:55], v[194:195]
	v_add_f64 v[2:3], v[2:3], v[4:5]
	v_mul_f64 v[4:5], v[58:59], v[74:75]
	v_add_f64 v[172:173], v[172:173], v[178:179]
	v_mul_f64 v[178:179], v[56:57], v[74:75]
	v_fma_f64 v[4:5], v[56:57], v[76:77], -v[4:5]
	v_fmac_f64_e32 v[178:179], v[58:59], v[76:77]
	v_add_f64 v[2:3], v[2:3], v[4:5]
	v_add_f64 v[172:173], v[172:173], v[178:179]
	v_add_f64 v[2:3], v[108:109], -v[2:3]
	v_add_f64 v[4:5], v[106:107], -v[172:173]
	buffer_store_dword v3, off, s[0:3], 0 offset:52
	buffer_store_dword v2, off, s[0:3], 0 offset:48
	;; [unrolled: 1-line block ×4, first 2 shown]
	s_and_saveexec_b64 s[6:7], vcc
	s_cbranch_execz .LBB94_195
; %bb.194:
	buffer_load_dword v2, v242, s[0:3], 0 offen
	buffer_load_dword v3, v242, s[0:3], 0 offen offset:4
	buffer_load_dword v4, v242, s[0:3], 0 offen offset:8
	;; [unrolled: 1-line block ×3, first 2 shown]
	s_nop 0
	buffer_store_dword v196, off, s[0:3], 0 offset:32
	buffer_store_dword v196, off, s[0:3], 0 offset:36
	;; [unrolled: 1-line block ×4, first 2 shown]
	s_waitcnt vmcnt(4)
	ds_write_b128 v1, v[2:5]
.LBB94_195:
	s_or_b64 exec, exec, s[6:7]
	s_waitcnt lgkmcnt(0)
	; wave barrier
	s_waitcnt lgkmcnt(0)
	buffer_load_dword v34, off, s[0:3], 0 offset:48
	buffer_load_dword v35, off, s[0:3], 0 offset:52
	;; [unrolled: 1-line block ×32, first 2 shown]
	ds_read_b128 v[30:33], v196 offset:544
	ds_read_b128 v[26:29], v196 offset:560
	;; [unrolled: 1-line block ×8, first 2 shown]
	buffer_load_dword v129, off, s[0:3], 0 offset:188
	buffer_load_dword v128, off, s[0:3], 0 offset:184
	;; [unrolled: 1-line block ×80, first 2 shown]
	v_cmp_lt_u32_e32 vcc, 1, v243
	s_waitcnt vmcnt(62) lgkmcnt(7)
	v_mul_f64 v[44:45], v[30:31], v[38:39]
	v_fmac_f64_e32 v[44:45], v[32:33], v[34:35]
	v_add_f64 v[44:45], v[44:45], 0
	v_mul_f64 v[32:33], v[32:33], v[38:39]
	s_waitcnt lgkmcnt(6)
	v_mul_f64 v[46:47], v[26:27], v[40:41]
	v_fmac_f64_e32 v[46:47], v[28:29], v[36:37]
	s_waitcnt lgkmcnt(5)
	v_mul_f64 v[48:49], v[22:23], v[104:105]
	v_add_f64 v[44:45], v[44:45], v[46:47]
	s_waitcnt lgkmcnt(4)
	v_mul_f64 v[50:51], v[18:19], v[110:111]
	v_fma_f64 v[30:31], v[30:31], v[34:35], -v[32:33]
	s_waitcnt lgkmcnt(1)
	v_mul_f64 v[184:185], v[2:3], v[112:113]
	v_mul_f64 v[28:29], v[28:29], v[40:41]
	v_add_f64 v[30:31], v[30:31], 0
	v_mul_f64 v[54:55], v[6:7], v[116:117]
	v_fma_f64 v[26:27], v[26:27], v[36:37], -v[28:29]
	v_mul_f64 v[52:53], v[10:11], v[118:119]
	v_add_f64 v[26:27], v[30:31], v[26:27]
	v_fmac_f64_e32 v[52:53], v[12:13], v[120:121]
	v_mul_f64 v[12:13], v[12:13], v[118:119]
	v_fmac_f64_e32 v[48:49], v[24:25], v[126:127]
	v_add_f64 v[44:45], v[44:45], v[48:49]
	v_fmac_f64_e32 v[50:51], v[20:21], v[124:125]
	v_add_f64 v[44:45], v[44:45], v[50:51]
	;; [unrolled: 2-line block ×3, first 2 shown]
	v_add_f64 v[186:187], v[44:45], v[54:55]
	ds_read_b128 v[44:47], v196 offset:672
	buffer_load_dword v81, off, s[0:3], 0 offset:492
	buffer_load_dword v80, off, s[0:3], 0 offset:488
	;; [unrolled: 1-line block ×4, first 2 shown]
	v_fmac_f64_e32 v[184:185], v[4:5], v[114:115]
	s_waitcnt lgkmcnt(1)
	v_mul_f64 v[50:51], v[14:15], v[132:133]
	v_add_f64 v[48:49], v[186:187], v[184:185]
	v_fmac_f64_e32 v[50:51], v[16:17], v[134:135]
	v_add_f64 v[52:53], v[48:49], v[50:51]
	ds_read_b128 v[48:51], v196 offset:688
	v_mul_f64 v[24:25], v[24:25], v[104:105]
	v_fma_f64 v[22:23], v[22:23], v[126:127], -v[24:25]
	v_mul_f64 v[20:21], v[20:21], v[110:111]
	v_add_f64 v[22:23], v[26:27], v[22:23]
	v_fma_f64 v[18:19], v[18:19], v[124:125], -v[20:21]
	s_waitcnt lgkmcnt(1)
	v_mul_f64 v[54:55], v[44:45], v[128:129]
	v_add_f64 v[18:19], v[22:23], v[18:19]
	v_fma_f64 v[10:11], v[10:11], v[120:121], -v[12:13]
	v_mul_f64 v[8:9], v[8:9], v[116:117]
	v_fmac_f64_e32 v[54:55], v[46:47], v[130:131]
	v_add_f64 v[10:11], v[18:19], v[10:11]
	v_fma_f64 v[6:7], v[6:7], v[122:123], -v[8:9]
	v_mul_f64 v[4:5], v[4:5], v[112:113]
	v_add_f64 v[56:57], v[52:53], v[54:55]
	ds_read_b128 v[52:55], v196 offset:704
	s_waitcnt lgkmcnt(1)
	v_mul_f64 v[58:59], v[48:49], v[140:141]
	v_add_f64 v[6:7], v[10:11], v[6:7]
	v_fma_f64 v[2:3], v[2:3], v[114:115], -v[4:5]
	v_mul_f64 v[4:5], v[16:17], v[132:133]
	v_fmac_f64_e32 v[58:59], v[50:51], v[142:143]
	v_add_f64 v[2:3], v[6:7], v[2:3]
	v_fma_f64 v[4:5], v[14:15], v[134:135], -v[4:5]
	v_add_f64 v[60:61], v[56:57], v[58:59]
	ds_read_b128 v[56:59], v196 offset:720
	ds_read_b128 v[184:187], v196 offset:736
	v_add_f64 v[2:3], v[2:3], v[4:5]
	v_mul_f64 v[4:5], v[46:47], v[128:129]
	v_fma_f64 v[4:5], v[44:45], v[130:131], -v[4:5]
	v_add_f64 v[2:3], v[2:3], v[4:5]
	v_mul_f64 v[4:5], v[50:51], v[140:141]
	s_waitcnt lgkmcnt(2)
	v_mul_f64 v[62:63], v[52:53], v[136:137]
	v_fma_f64 v[4:5], v[48:49], v[142:143], -v[4:5]
	v_fmac_f64_e32 v[62:63], v[54:55], v[138:139]
	ds_read_b128 v[198:201], v196 offset:752
	ds_read_b128 v[202:205], v196 offset:768
	v_add_f64 v[2:3], v[2:3], v[4:5]
	v_mul_f64 v[4:5], v[54:55], v[136:137]
	v_add_f64 v[60:61], v[60:61], v[62:63]
	s_waitcnt vmcnt(62) lgkmcnt(3)
	v_mul_f64 v[62:63], v[56:57], v[148:149]
	v_fma_f64 v[4:5], v[52:53], v[138:139], -v[4:5]
	s_waitcnt vmcnt(60)
	v_fmac_f64_e32 v[62:63], v[58:59], v[150:151]
	v_add_f64 v[2:3], v[2:3], v[4:5]
	v_mul_f64 v[4:5], v[58:59], v[148:149]
	v_add_f64 v[60:61], v[60:61], v[62:63]
	s_waitcnt lgkmcnt(2)
	v_mul_f64 v[62:63], v[184:185], v[144:145]
	v_fma_f64 v[4:5], v[56:57], v[150:151], -v[4:5]
	v_fmac_f64_e32 v[62:63], v[186:187], v[146:147]
	ds_read_b128 v[206:209], v196 offset:784
	ds_read_b128 v[210:213], v196 offset:800
	v_add_f64 v[2:3], v[2:3], v[4:5]
	v_mul_f64 v[4:5], v[186:187], v[144:145]
	v_add_f64 v[60:61], v[60:61], v[62:63]
	s_waitcnt vmcnt(54) lgkmcnt(3)
	v_mul_f64 v[62:63], v[198:199], v[156:157]
	v_fma_f64 v[4:5], v[184:185], v[146:147], -v[4:5]
	s_waitcnt vmcnt(52)
	v_fmac_f64_e32 v[62:63], v[200:201], v[158:159]
	v_add_f64 v[2:3], v[2:3], v[4:5]
	v_mul_f64 v[4:5], v[200:201], v[156:157]
	v_add_f64 v[60:61], v[60:61], v[62:63]
	;; [unrolled: 17-line block ×6, first 2 shown]
	s_waitcnt lgkmcnt(2)
	v_mul_f64 v[62:63], v[234:235], v[188:189]
	v_fma_f64 v[4:5], v[230:231], v[194:195], -v[4:5]
	v_fmac_f64_e32 v[62:63], v[236:237], v[190:191]
	v_add_f64 v[2:3], v[2:3], v[4:5]
	v_mul_f64 v[4:5], v[236:237], v[188:189]
	v_add_f64 v[60:61], v[60:61], v[62:63]
	s_waitcnt vmcnt(14) lgkmcnt(1)
	v_mul_f64 v[62:63], v[238:239], v[68:69]
	ds_read_b128 v[248:251], v196 offset:944
	ds_read_b128 v[252:255], v196 offset:960
	v_fma_f64 v[4:5], v[234:235], v[190:191], -v[4:5]
	s_waitcnt vmcnt(12)
	v_fmac_f64_e32 v[62:63], v[240:241], v[70:71]
	v_add_f64 v[2:3], v[2:3], v[4:5]
	v_mul_f64 v[4:5], v[240:241], v[68:69]
	v_add_f64 v[60:61], v[60:61], v[62:63]
	s_waitcnt lgkmcnt(2)
	v_mul_f64 v[62:63], v[244:245], v[64:65]
	v_fma_f64 v[4:5], v[238:239], v[70:71], -v[4:5]
	v_fmac_f64_e32 v[62:63], v[246:247], v[66:67]
	v_add_f64 v[2:3], v[2:3], v[4:5]
	v_mul_f64 v[4:5], v[246:247], v[64:65]
	v_add_f64 v[84:85], v[60:61], v[62:63]
	ds_read_b128 v[60:63], v196 offset:976
	v_fma_f64 v[4:5], v[244:245], v[66:67], -v[4:5]
	v_add_f64 v[2:3], v[2:3], v[4:5]
	s_waitcnt vmcnt(6) lgkmcnt(2)
	v_mul_f64 v[4:5], v[250:251], v[76:77]
	v_mul_f64 v[86:87], v[248:249], v[76:77]
	s_waitcnt vmcnt(4)
	v_fma_f64 v[4:5], v[248:249], v[78:79], -v[4:5]
	v_fmac_f64_e32 v[86:87], v[250:251], v[78:79]
	v_add_f64 v[2:3], v[2:3], v[4:5]
	s_waitcnt lgkmcnt(1)
	v_mul_f64 v[4:5], v[254:255], v[72:73]
	v_add_f64 v[84:85], v[84:85], v[86:87]
	v_mul_f64 v[86:87], v[252:253], v[72:73]
	v_fma_f64 v[4:5], v[252:253], v[74:75], -v[4:5]
	v_fmac_f64_e32 v[86:87], v[254:255], v[74:75]
	v_add_f64 v[2:3], v[2:3], v[4:5]
	s_waitcnt vmcnt(2) lgkmcnt(0)
	v_mul_f64 v[4:5], v[62:63], v[80:81]
	v_add_f64 v[84:85], v[84:85], v[86:87]
	v_mul_f64 v[86:87], v[60:61], v[80:81]
	s_waitcnt vmcnt(0)
	v_fma_f64 v[4:5], v[60:61], v[82:83], -v[4:5]
	v_fmac_f64_e32 v[86:87], v[62:63], v[82:83]
	v_add_f64 v[2:3], v[2:3], v[4:5]
	v_add_f64 v[84:85], v[84:85], v[86:87]
	v_add_f64 v[2:3], v[108:109], -v[2:3]
	v_add_f64 v[4:5], v[106:107], -v[84:85]
	buffer_store_dword v3, off, s[0:3], 0 offset:36
	buffer_store_dword v2, off, s[0:3], 0 offset:32
	;; [unrolled: 1-line block ×4, first 2 shown]
	s_and_saveexec_b64 s[6:7], vcc
	s_cbranch_execz .LBB94_197
; %bb.196:
	v_accvgpr_read_b32 v5, a83
	buffer_load_dword v2, v5, s[0:3], 0 offen
	buffer_load_dword v3, v5, s[0:3], 0 offen offset:4
	buffer_load_dword v4, v5, s[0:3], 0 offen offset:8
	s_nop 0
	buffer_load_dword v5, v5, s[0:3], 0 offen offset:12
	v_mov_b32_e32 v6, 0
	buffer_store_dword v6, off, s[0:3], 0 offset:16
	buffer_store_dword v6, off, s[0:3], 0 offset:20
	;; [unrolled: 1-line block ×4, first 2 shown]
	s_waitcnt vmcnt(4)
	ds_write_b128 v1, v[2:5]
.LBB94_197:
	s_or_b64 exec, exec, s[6:7]
	s_waitcnt lgkmcnt(0)
	; wave barrier
	s_waitcnt lgkmcnt(0)
	buffer_load_dword v38, off, s[0:3], 0 offset:32
	buffer_load_dword v39, off, s[0:3], 0 offset:36
	buffer_load_dword v104, off, s[0:3], 0 offset:40
	buffer_load_dword v105, off, s[0:3], 0 offset:44
	buffer_load_dword v40, off, s[0:3], 0 offset:48
	buffer_load_dword v41, off, s[0:3], 0 offset:52
	buffer_load_dword v106, off, s[0:3], 0 offset:56
	buffer_load_dword v107, off, s[0:3], 0 offset:60
	buffer_load_dword v108, off, s[0:3], 0 offset:72
	buffer_load_dword v109, off, s[0:3], 0 offset:76
	buffer_load_dword v111, off, s[0:3], 0 offset:108
	buffer_load_dword v110, off, s[0:3], 0 offset:104
	buffer_load_dword v113, off, s[0:3], 0 offset:100
	buffer_load_dword v112, off, s[0:3], 0 offset:96
	buffer_load_dword v115, off, s[0:3], 0 offset:92
	buffer_load_dword v114, off, s[0:3], 0 offset:88
	buffer_load_dword v117, off, s[0:3], 0 offset:140
	buffer_load_dword v116, off, s[0:3], 0 offset:136
	buffer_load_dword v119, off, s[0:3], 0 offset:132
	buffer_load_dword v118, off, s[0:3], 0 offset:128
	buffer_load_dword v121, off, s[0:3], 0 offset:124
	buffer_load_dword v120, off, s[0:3], 0 offset:120
	buffer_load_dword v127, off, s[0:3], 0 offset:172
	buffer_load_dword v129, off, s[0:3], 0 offset:164
	buffer_load_dword v131, off, s[0:3], 0 offset:156
	buffer_load_dword v130, off, s[0:3], 0 offset:152
	buffer_load_dword v138, off, s[0:3], 0 offset:64
	buffer_load_dword v139, off, s[0:3], 0 offset:68
	buffer_load_dword v137, off, s[0:3], 0 offset:84
	buffer_load_dword v136, off, s[0:3], 0 offset:80
	buffer_load_dword v135, off, s[0:3], 0 offset:116
	buffer_load_dword v134, off, s[0:3], 0 offset:112
	buffer_load_dword v133, off, s[0:3], 0 offset:148
	buffer_load_dword v132, off, s[0:3], 0 offset:144
	buffer_load_dword v126, off, s[0:3], 0 offset:168
	buffer_load_dword v128, off, s[0:3], 0 offset:160
	buffer_load_dword v124, off, s[0:3], 0 offset:16
	buffer_load_dword v125, off, s[0:3], 0 offset:20
	buffer_load_dword v122, off, s[0:3], 0 offset:24
	buffer_load_dword v123, off, s[0:3], 0 offset:28
	buffer_load_dword v141, off, s[0:3], 0 offset:204
	buffer_load_dword v140, off, s[0:3], 0 offset:200
	buffer_load_dword v143, off, s[0:3], 0 offset:196
	buffer_load_dword v142, off, s[0:3], 0 offset:192
	buffer_load_dword v145, off, s[0:3], 0 offset:188
	buffer_load_dword v144, off, s[0:3], 0 offset:184
	buffer_load_dword v147, off, s[0:3], 0 offset:180
	buffer_load_dword v146, off, s[0:3], 0 offset:176
	v_mov_b32_e32 v244, 0
	ds_read_b128 v[34:37], v244 offset:528
	ds_read_b128 v[30:33], v244 offset:544
	;; [unrolled: 1-line block ×9, first 2 shown]
	buffer_load_dword v149, off, s[0:3], 0 offset:236
	buffer_load_dword v148, off, s[0:3], 0 offset:232
	;; [unrolled: 1-line block ×72, first 2 shown]
	ds_read_b128 v[204:207], v244 offset:768
	ds_read_b128 v[208:211], v244 offset:784
	;; [unrolled: 1-line block ×11, first 2 shown]
	v_cmp_ne_u32_e32 vcc, 0, v243
	ds_read_b128 v[72:75], v244 offset:976
	s_waitcnt vmcnt(62) lgkmcnt(14)
	v_mul_f64 v[44:45], v[34:35], v[104:105]
	v_fmac_f64_e32 v[44:45], v[36:37], v[38:39]
	v_add_f64 v[44:45], v[44:45], 0
	v_mul_f64 v[36:37], v[36:37], v[104:105]
	v_mul_f64 v[46:47], v[30:31], v[106:107]
	v_fmac_f64_e32 v[46:47], v[32:33], v[40:41]
	v_mul_f64 v[48:49], v[26:27], v[108:109]
	v_add_f64 v[44:45], v[44:45], v[46:47]
	v_mul_f64 v[52:53], v[18:19], v[110:111]
	v_fma_f64 v[34:35], v[34:35], v[38:39], -v[36:37]
	v_fmac_f64_e32 v[52:53], v[20:21], v[112:113]
	v_mul_f64 v[32:33], v[32:33], v[106:107]
	v_mul_f64 v[50:51], v[22:23], v[114:115]
	v_add_f64 v[34:35], v[34:35], 0
	v_mul_f64 v[56:57], v[10:11], v[116:117]
	v_fma_f64 v[30:31], v[30:31], v[40:41], -v[32:33]
	v_fmac_f64_e32 v[56:57], v[12:13], v[118:119]
	v_add_f64 v[30:31], v[34:35], v[30:31]
	v_mul_f64 v[54:55], v[14:15], v[120:121]
	v_mul_f64 v[20:21], v[20:21], v[110:111]
	v_fma_f64 v[18:19], v[18:19], v[112:113], -v[20:21]
	v_mul_f64 v[12:13], v[12:13], v[116:117]
	s_waitcnt lgkmcnt(13)
	v_mul_f64 v[172:173], v[6:7], v[130:131]
	v_fma_f64 v[10:11], v[10:11], v[118:119], -v[12:13]
	v_fmac_f64_e32 v[48:49], v[28:29], v[138:139]
	v_add_f64 v[44:45], v[44:45], v[48:49]
	v_fmac_f64_e32 v[50:51], v[24:25], v[136:137]
	v_add_f64 v[44:45], v[44:45], v[50:51]
	;; [unrolled: 2-line block ×3, first 2 shown]
	v_add_f64 v[44:45], v[44:45], v[54:55]
	v_add_f64 v[174:175], v[44:45], v[56:57]
	ds_read_b128 v[44:47], v244 offset:672
	v_fmac_f64_e32 v[172:173], v[8:9], v[132:133]
	s_waitcnt lgkmcnt(13)
	v_mul_f64 v[50:51], v[2:3], v[126:127]
	v_add_f64 v[48:49], v[174:175], v[172:173]
	v_fmac_f64_e32 v[50:51], v[4:5], v[128:129]
	v_add_f64 v[52:53], v[48:49], v[50:51]
	ds_read_b128 v[48:51], v244 offset:688
	s_waitcnt lgkmcnt(1)
	v_mul_f64 v[54:55], v[44:45], v[144:145]
	v_fmac_f64_e32 v[54:55], v[46:47], v[146:147]
	v_add_f64 v[56:57], v[52:53], v[54:55]
	ds_read_b128 v[52:55], v244 offset:704
	v_mul_f64 v[28:29], v[28:29], v[108:109]
	v_fma_f64 v[26:27], v[26:27], v[138:139], -v[28:29]
	v_mul_f64 v[24:25], v[24:25], v[114:115]
	v_add_f64 v[26:27], v[30:31], v[26:27]
	v_fma_f64 v[22:23], v[22:23], v[136:137], -v[24:25]
	s_waitcnt lgkmcnt(1)
	v_mul_f64 v[58:59], v[48:49], v[140:141]
	v_add_f64 v[22:23], v[26:27], v[22:23]
	v_mul_f64 v[16:17], v[16:17], v[120:121]
	v_fmac_f64_e32 v[58:59], v[50:51], v[142:143]
	v_add_f64 v[18:19], v[22:23], v[18:19]
	v_fma_f64 v[14:15], v[14:15], v[134:135], -v[16:17]
	v_add_f64 v[60:61], v[56:57], v[58:59]
	ds_read_b128 v[56:59], v244 offset:720
	s_waitcnt lgkmcnt(1)
	v_mul_f64 v[62:63], v[52:53], v[152:153]
	v_add_f64 v[14:15], v[18:19], v[14:15]
	v_mul_f64 v[8:9], v[8:9], v[130:131]
	v_fmac_f64_e32 v[62:63], v[54:55], v[154:155]
	v_add_f64 v[10:11], v[14:15], v[10:11]
	v_fma_f64 v[6:7], v[6:7], v[132:133], -v[8:9]
	v_mul_f64 v[4:5], v[4:5], v[126:127]
	v_add_f64 v[64:65], v[60:61], v[62:63]
	ds_read_b128 v[60:63], v244 offset:736
	ds_read_b128 v[172:175], v244 offset:752
	v_add_f64 v[6:7], v[10:11], v[6:7]
	v_fma_f64 v[2:3], v[2:3], v[128:129], -v[4:5]
	v_mul_f64 v[4:5], v[46:47], v[144:145]
	v_add_f64 v[2:3], v[6:7], v[2:3]
	v_fma_f64 v[4:5], v[44:45], v[146:147], -v[4:5]
	v_add_f64 v[2:3], v[2:3], v[4:5]
	v_mul_f64 v[4:5], v[50:51], v[140:141]
	s_waitcnt lgkmcnt(2)
	v_mul_f64 v[66:67], v[56:57], v[148:149]
	v_fma_f64 v[4:5], v[48:49], v[142:143], -v[4:5]
	v_fmac_f64_e32 v[66:67], v[58:59], v[150:151]
	v_add_f64 v[2:3], v[2:3], v[4:5]
	v_mul_f64 v[4:5], v[54:55], v[152:153]
	v_add_f64 v[64:65], v[64:65], v[66:67]
	s_waitcnt vmcnt(58) lgkmcnt(1)
	v_mul_f64 v[66:67], v[60:61], v[160:161]
	v_fma_f64 v[4:5], v[52:53], v[154:155], -v[4:5]
	s_waitcnt vmcnt(56)
	v_fmac_f64_e32 v[66:67], v[62:63], v[162:163]
	v_add_f64 v[2:3], v[2:3], v[4:5]
	v_mul_f64 v[4:5], v[58:59], v[148:149]
	v_add_f64 v[64:65], v[64:65], v[66:67]
	s_waitcnt lgkmcnt(0)
	v_mul_f64 v[66:67], v[172:173], v[156:157]
	v_fma_f64 v[4:5], v[56:57], v[150:151], -v[4:5]
	v_fmac_f64_e32 v[66:67], v[174:175], v[158:159]
	v_add_f64 v[2:3], v[2:3], v[4:5]
	v_mul_f64 v[4:5], v[62:63], v[160:161]
	v_add_f64 v[64:65], v[64:65], v[66:67]
	s_waitcnt vmcnt(50)
	v_mul_f64 v[66:67], v[204:205], v[168:169]
	v_fma_f64 v[4:5], v[60:61], v[162:163], -v[4:5]
	s_waitcnt vmcnt(48)
	v_fmac_f64_e32 v[66:67], v[206:207], v[170:171]
	v_add_f64 v[2:3], v[2:3], v[4:5]
	v_mul_f64 v[4:5], v[174:175], v[156:157]
	v_add_f64 v[64:65], v[64:65], v[66:67]
	v_mul_f64 v[66:67], v[208:209], v[164:165]
	v_fma_f64 v[4:5], v[172:173], v[158:159], -v[4:5]
	v_fmac_f64_e32 v[66:67], v[210:211], v[166:167]
	v_add_f64 v[2:3], v[2:3], v[4:5]
	v_mul_f64 v[4:5], v[206:207], v[168:169]
	v_add_f64 v[64:65], v[64:65], v[66:67]
	s_waitcnt vmcnt(42)
	v_mul_f64 v[66:67], v[212:213], v[180:181]
	v_fma_f64 v[4:5], v[204:205], v[170:171], -v[4:5]
	s_waitcnt vmcnt(40)
	v_fmac_f64_e32 v[66:67], v[214:215], v[182:183]
	v_add_f64 v[2:3], v[2:3], v[4:5]
	v_mul_f64 v[4:5], v[210:211], v[164:165]
	v_add_f64 v[64:65], v[64:65], v[66:67]
	;; [unrolled: 14-line block ×5, first 2 shown]
	v_mul_f64 v[66:67], v[246:247], v[200:201]
	v_fma_f64 v[4:5], v[232:233], v[194:195], -v[4:5]
	v_fmac_f64_e32 v[66:67], v[248:249], v[202:203]
	v_add_f64 v[2:3], v[2:3], v[4:5]
	v_mul_f64 v[4:5], v[238:239], v[76:77]
	v_add_f64 v[68:69], v[64:65], v[66:67]
	ds_read_b128 v[64:67], v244 offset:944
	s_waitcnt vmcnt(10)
	v_mul_f64 v[70:71], v[250:251], v[84:85]
	v_fma_f64 v[4:5], v[236:237], v[78:79], -v[4:5]
	s_waitcnt vmcnt(8)
	v_fmac_f64_e32 v[70:71], v[252:253], v[86:87]
	v_add_f64 v[2:3], v[2:3], v[4:5]
	v_mul_f64 v[4:5], v[248:249], v[200:201]
	v_add_f64 v[92:93], v[68:69], v[70:71]
	ds_read_b128 v[68:71], v244 offset:960
	v_fma_f64 v[4:5], v[246:247], v[202:203], -v[4:5]
	v_add_f64 v[2:3], v[2:3], v[4:5]
	v_mul_f64 v[4:5], v[252:253], v[84:85]
	v_fma_f64 v[4:5], v[250:251], v[86:87], -v[4:5]
	v_add_f64 v[2:3], v[2:3], v[4:5]
	s_waitcnt lgkmcnt(1)
	v_mul_f64 v[4:5], v[66:67], v[80:81]
	v_mul_f64 v[94:95], v[64:65], v[80:81]
	v_fma_f64 v[4:5], v[64:65], v[82:83], -v[4:5]
	v_fmac_f64_e32 v[94:95], v[66:67], v[82:83]
	v_add_f64 v[2:3], v[2:3], v[4:5]
	s_waitcnt vmcnt(2) lgkmcnt(0)
	v_mul_f64 v[4:5], v[70:71], v[88:89]
	v_add_f64 v[92:93], v[92:93], v[94:95]
	v_mul_f64 v[94:95], v[68:69], v[88:89]
	s_waitcnt vmcnt(0)
	v_fma_f64 v[4:5], v[68:69], v[90:91], -v[4:5]
	v_fmac_f64_e32 v[94:95], v[70:71], v[90:91]
	v_add_f64 v[2:3], v[2:3], v[4:5]
	v_mul_f64 v[4:5], v[74:75], v[240:241]
	v_add_f64 v[92:93], v[92:93], v[94:95]
	v_mul_f64 v[94:95], v[72:73], v[240:241]
	v_fma_f64 v[4:5], v[72:73], v[254:255], -v[4:5]
	v_fmac_f64_e32 v[94:95], v[74:75], v[254:255]
	v_add_f64 v[2:3], v[2:3], v[4:5]
	v_add_f64 v[92:93], v[92:93], v[94:95]
	v_add_f64 v[2:3], v[124:125], -v[2:3]
	v_add_f64 v[4:5], v[122:123], -v[92:93]
	buffer_store_dword v3, off, s[0:3], 0 offset:20
	buffer_store_dword v2, off, s[0:3], 0 offset:16
	;; [unrolled: 1-line block ×4, first 2 shown]
	s_and_saveexec_b64 s[6:7], vcc
	s_cbranch_execz .LBB94_199
; %bb.198:
	buffer_load_dword v2, off, s[0:3], 0
	buffer_load_dword v3, off, s[0:3], 0 offset:4
	buffer_load_dword v4, off, s[0:3], 0 offset:8
	;; [unrolled: 1-line block ×3, first 2 shown]
	s_nop 0
	buffer_store_dword v244, off, s[0:3], 0
	buffer_store_dword v244, off, s[0:3], 0 offset:4
	buffer_store_dword v244, off, s[0:3], 0 offset:8
	;; [unrolled: 1-line block ×3, first 2 shown]
	s_waitcnt vmcnt(4)
	ds_write_b128 v1, v[2:5]
.LBB94_199:
	s_or_b64 exec, exec, s[6:7]
	s_waitcnt lgkmcnt(0)
	; wave barrier
	s_waitcnt lgkmcnt(0)
	buffer_load_dword v110, off, s[0:3], 0 offset:16
	buffer_load_dword v111, off, s[0:3], 0 offset:20
	;; [unrolled: 1-line block ×36, first 2 shown]
	buffer_load_dword v122, off, s[0:3], 0
	buffer_load_dword v123, off, s[0:3], 0 offset:4
	buffer_load_dword v120, off, s[0:3], 0 offset:8
	;; [unrolled: 1-line block ×3, first 2 shown]
	ds_read_b128 v[38:41], v244 offset:512
	ds_read_b128 v[34:37], v244 offset:528
	;; [unrolled: 1-line block ×10, first 2 shown]
	buffer_load_dword v145, off, s[0:3], 0 offset:188
	buffer_load_dword v144, off, s[0:3], 0 offset:184
	;; [unrolled: 1-line block ×80, first 2 shown]
	s_and_b64 vcc, exec, s[18:19]
	s_waitcnt vmcnt(62) lgkmcnt(9)
	v_mul_f64 v[44:45], v[38:39], v[112:113]
	v_fmac_f64_e32 v[44:45], v[40:41], v[110:111]
	v_add_f64 v[44:45], v[44:45], 0
	v_mul_f64 v[40:41], v[40:41], v[112:113]
	s_waitcnt lgkmcnt(8)
	v_mul_f64 v[46:47], v[34:35], v[106:107]
	v_fmac_f64_e32 v[46:47], v[36:37], v[104:105]
	s_waitcnt lgkmcnt(7)
	v_mul_f64 v[48:49], v[30:31], v[108:109]
	v_add_f64 v[44:45], v[44:45], v[46:47]
	s_waitcnt lgkmcnt(5)
	v_mul_f64 v[52:53], v[22:23], v[114:115]
	v_fma_f64 v[110:111], v[38:39], v[110:111], -v[40:41]
	v_fmac_f64_e32 v[52:53], v[24:25], v[116:117]
	v_mul_f64 v[36:37], v[36:37], v[106:107]
	v_mul_f64 v[50:51], v[26:27], v[118:119]
	v_fma_f64 v[34:35], v[34:35], v[104:105], -v[36:37]
	s_waitcnt lgkmcnt(4)
	v_mul_f64 v[54:55], v[18:19], v[124:125]
	v_mul_f64 v[24:25], v[24:25], v[114:115]
	s_waitcnt lgkmcnt(1)
	v_mul_f64 v[186:187], v[2:3], v[126:127]
	v_fma_f64 v[22:23], v[22:23], v[116:117], -v[24:25]
	v_mul_f64 v[184:185], v[6:7], v[130:131]
	v_mul_f64 v[56:57], v[10:11], v[132:133]
	v_fmac_f64_e32 v[56:57], v[12:13], v[134:135]
	v_mul_f64 v[12:13], v[12:13], v[132:133]
	v_fmac_f64_e32 v[48:49], v[32:33], v[142:143]
	v_add_f64 v[44:45], v[44:45], v[48:49]
	v_fmac_f64_e32 v[50:51], v[28:29], v[140:141]
	v_add_f64 v[44:45], v[44:45], v[50:51]
	;; [unrolled: 2-line block ×3, first 2 shown]
	v_add_f64 v[44:45], v[44:45], v[54:55]
	v_fmac_f64_e32 v[184:185], v[8:9], v[136:137]
	v_add_f64 v[188:189], v[44:45], v[56:57]
	v_fmac_f64_e32 v[186:187], v[4:5], v[128:129]
	v_add_f64 v[44:45], v[188:189], v[184:185]
	v_add_f64 v[48:49], v[44:45], v[186:187]
	ds_read_b128 v[44:47], v244 offset:672
	buffer_load_dword v189, off, s[0:3], 0 offset:492
	buffer_load_dword v188, off, s[0:3], 0 offset:488
	;; [unrolled: 1-line block ×4, first 2 shown]
	s_waitcnt lgkmcnt(1)
	v_mul_f64 v[50:51], v[14:15], v[148:149]
	v_fmac_f64_e32 v[50:51], v[16:17], v[150:151]
	v_add_f64 v[52:53], v[48:49], v[50:51]
	ds_read_b128 v[48:51], v244 offset:688
	s_waitcnt lgkmcnt(1)
	v_mul_f64 v[54:55], v[44:45], v[144:145]
	v_fmac_f64_e32 v[54:55], v[46:47], v[146:147]
	v_add_f64 v[56:57], v[52:53], v[54:55]
	ds_read_b128 v[52:55], v244 offset:704
	;; [unrolled: 5-line block ×4, first 2 shown]
	s_waitcnt vmcnt(62) lgkmcnt(1)
	v_mul_f64 v[66:67], v[56:57], v[164:165]
	s_waitcnt vmcnt(60)
	v_fmac_f64_e32 v[66:67], v[58:59], v[166:167]
	v_add_f64 v[68:69], v[64:65], v[66:67]
	ds_read_b128 v[64:67], v244 offset:752
	s_waitcnt lgkmcnt(1)
	v_mul_f64 v[70:71], v[60:61], v[160:161]
	v_fmac_f64_e32 v[70:71], v[62:63], v[162:163]
	v_add_f64 v[72:73], v[68:69], v[70:71]
	ds_read_b128 v[68:71], v244 offset:768
	s_waitcnt vmcnt(54) lgkmcnt(1)
	v_mul_f64 v[74:75], v[64:65], v[172:173]
	s_waitcnt vmcnt(52)
	v_fmac_f64_e32 v[74:75], v[66:67], v[174:175]
	v_add_f64 v[76:77], v[72:73], v[74:75]
	ds_read_b128 v[72:75], v244 offset:784
	ds_read_b128 v[184:187], v244 offset:800
	s_waitcnt lgkmcnt(2)
	v_mul_f64 v[78:79], v[68:69], v[168:169]
	v_fmac_f64_e32 v[78:79], v[70:71], v[170:171]
	ds_read_b128 v[214:217], v244 offset:816
	ds_read_b128 v[218:221], v244 offset:832
	v_add_f64 v[76:77], v[76:77], v[78:79]
	s_waitcnt vmcnt(46) lgkmcnt(3)
	v_mul_f64 v[78:79], v[72:73], v[180:181]
	s_waitcnt vmcnt(44)
	v_fmac_f64_e32 v[78:79], v[74:75], v[182:183]
	v_add_f64 v[76:77], v[76:77], v[78:79]
	s_waitcnt lgkmcnt(2)
	v_mul_f64 v[78:79], v[184:185], v[176:177]
	v_fmac_f64_e32 v[78:79], v[186:187], v[178:179]
	ds_read_b128 v[222:225], v244 offset:848
	ds_read_b128 v[226:229], v244 offset:864
	v_add_f64 v[76:77], v[76:77], v[78:79]
	s_waitcnt vmcnt(38) lgkmcnt(3)
	v_mul_f64 v[78:79], v[214:215], v[194:195]
	s_waitcnt vmcnt(36)
	v_fmac_f64_e32 v[78:79], v[216:217], v[196:197]
	v_add_f64 v[76:77], v[76:77], v[78:79]
	;; [unrolled: 11-line block ×4, first 2 shown]
	s_waitcnt lgkmcnt(2)
	v_mul_f64 v[78:79], v[234:235], v[206:207]
	v_fmac_f64_e32 v[78:79], v[236:237], v[208:209]
	v_add_f64 v[76:77], v[76:77], v[78:79]
	s_waitcnt vmcnt(14) lgkmcnt(1)
	v_mul_f64 v[78:79], v[238:239], v[84:85]
	s_waitcnt vmcnt(12)
	v_fmac_f64_e32 v[78:79], v[240:241], v[86:87]
	ds_read_b128 v[250:253], v244 offset:944
	v_add_f64 v[76:77], v[76:77], v[78:79]
	s_waitcnt lgkmcnt(1)
	v_mul_f64 v[78:79], v[246:247], v[80:81]
	v_fmac_f64_e32 v[78:79], v[248:249], v[82:83]
	v_add_f64 v[96:97], v[76:77], v[78:79]
	ds_read_b128 v[76:79], v244 offset:960
	ds_read_b128 v[38:41], v244 offset:976
	s_waitcnt vmcnt(6) lgkmcnt(2)
	v_mul_f64 v[98:99], v[250:251], v[92:93]
	s_waitcnt vmcnt(4)
	v_fmac_f64_e32 v[98:99], v[252:253], v[94:95]
	v_add_f64 v[96:97], v[96:97], v[98:99]
	s_waitcnt lgkmcnt(1)
	v_mul_f64 v[98:99], v[76:77], v[88:89]
	v_fmac_f64_e32 v[98:99], v[78:79], v[90:91]
	v_add_f64 v[96:97], v[96:97], v[98:99]
	s_waitcnt vmcnt(2) lgkmcnt(0)
	v_mul_f64 v[98:99], v[38:39], v[188:189]
	s_waitcnt vmcnt(0)
	v_fmac_f64_e32 v[98:99], v[40:41], v[254:255]
	v_add_f64 v[96:97], v[96:97], v[98:99]
	v_add_f64 v[98:99], v[110:111], 0
	v_mul_f64 v[32:33], v[32:33], v[108:109]
	v_add_f64 v[34:35], v[98:99], v[34:35]
	v_fma_f64 v[30:31], v[30:31], v[142:143], -v[32:33]
	v_mul_f64 v[28:29], v[28:29], v[118:119]
	v_add_f64 v[30:31], v[34:35], v[30:31]
	v_fma_f64 v[26:27], v[26:27], v[140:141], -v[28:29]
	v_add_f64 v[26:27], v[30:31], v[26:27]
	v_mul_f64 v[20:21], v[20:21], v[124:125]
	v_add_f64 v[22:23], v[26:27], v[22:23]
	v_fma_f64 v[18:19], v[18:19], v[138:139], -v[20:21]
	v_add_f64 v[18:19], v[22:23], v[18:19]
	v_fma_f64 v[10:11], v[10:11], v[134:135], -v[12:13]
	v_mul_f64 v[8:9], v[8:9], v[130:131]
	v_add_f64 v[10:11], v[18:19], v[10:11]
	v_fma_f64 v[6:7], v[6:7], v[136:137], -v[8:9]
	v_mul_f64 v[4:5], v[4:5], v[126:127]
	;; [unrolled: 3-line block ×3, first 2 shown]
	v_add_f64 v[2:3], v[6:7], v[2:3]
	v_fma_f64 v[4:5], v[14:15], v[150:151], -v[4:5]
	v_add_f64 v[2:3], v[2:3], v[4:5]
	v_mul_f64 v[4:5], v[46:47], v[144:145]
	v_fma_f64 v[4:5], v[44:45], v[146:147], -v[4:5]
	v_add_f64 v[2:3], v[2:3], v[4:5]
	v_mul_f64 v[4:5], v[50:51], v[156:157]
	;; [unrolled: 3-line block ×20, first 2 shown]
	v_fma_f64 v[4:5], v[38:39], v[254:255], -v[4:5]
	v_add_f64 v[2:3], v[2:3], v[4:5]
	v_add_f64 v[2:3], v[122:123], -v[2:3]
	v_add_f64 v[4:5], v[120:121], -v[96:97]
	buffer_store_dword v3, off, s[0:3], 0 offset:4
	buffer_store_dword v2, off, s[0:3], 0
	buffer_store_dword v5, off, s[0:3], 0 offset:12
	buffer_store_dword v4, off, s[0:3], 0 offset:8
	s_cbranch_vccz .LBB94_261
; %bb.200:
	v_pk_mov_b32 v[2:3], s[16:17], s[16:17] op_sel:[0,1]
	flat_load_dword v1, v[2:3] offset:116
	s_load_dwordx2 s[4:5], s[4:5], 0x4
	v_bfe_u32 v3, v0, 10, 10
	v_bfe_u32 v0, v0, 20, 10
	s_waitcnt lgkmcnt(0)
	s_lshr_b32 s4, s4, 16
	s_mul_i32 s4, s4, s5
	v_mul_u32_u24_e32 v2, s4, v243
	v_mul_u32_u24_e32 v3, s5, v3
	v_add3_u32 v0, v2, v3, v0
	v_mov_b32_e32 v2, 0x3e8
	v_lshl_add_u32 v0, v0, 4, v2
	s_waitcnt vmcnt(0)
	v_add_u32_e32 v2, -1, v1
	v_cmp_ne_u32_e32 vcc, 29, v2
	s_and_saveexec_b64 s[4:5], vcc
	s_cbranch_execz .LBB94_202
; %bb.201:
	v_mov_b32_e32 v1, 0
	v_accvgpr_read_b32 v10, a57
	v_lshl_add_u32 v1, v2, 4, v1
	buffer_load_dword v2, v10, s[0:3], 0 offen
	buffer_load_dword v3, v10, s[0:3], 0 offen offset:4
	buffer_load_dword v4, v10, s[0:3], 0 offen offset:8
	buffer_load_dword v5, v10, s[0:3], 0 offen offset:12
	buffer_load_dword v6, v1, s[0:3], 0 offen
	buffer_load_dword v7, v1, s[0:3], 0 offen offset:4
	buffer_load_dword v8, v1, s[0:3], 0 offen offset:8
	buffer_load_dword v9, v1, s[0:3], 0 offen offset:12
	s_waitcnt vmcnt(4)
	ds_write2_b64 v0, v[2:3], v[4:5] offset1:1
	s_waitcnt vmcnt(3)
	buffer_store_dword v6, v10, s[0:3], 0 offen
	s_waitcnt vmcnt(3)
	buffer_store_dword v7, v10, s[0:3], 0 offen offset:4
	s_waitcnt vmcnt(3)
	buffer_store_dword v8, v10, s[0:3], 0 offen offset:8
	s_waitcnt vmcnt(3)
	buffer_store_dword v9, v10, s[0:3], 0 offen offset:12
	buffer_store_dword v5, v1, s[0:3], 0 offen offset:12
	buffer_store_dword v4, v1, s[0:3], 0 offen offset:8
	buffer_store_dword v3, v1, s[0:3], 0 offen offset:4
	buffer_store_dword v2, v1, s[0:3], 0 offen
.LBB94_202:
	s_or_b64 exec, exec, s[4:5]
	v_pk_mov_b32 v[2:3], s[16:17], s[16:17] op_sel:[0,1]
	flat_load_dword v1, v[2:3] offset:112
	s_waitcnt vmcnt(0) lgkmcnt(0)
	v_add_u32_e32 v2, -1, v1
	v_cmp_ne_u32_e32 vcc, 28, v2
	s_and_saveexec_b64 s[4:5], vcc
	s_cbranch_execz .LBB94_204
; %bb.203:
	v_mov_b32_e32 v1, 0
	v_accvgpr_read_b32 v10, a58
	v_lshl_add_u32 v1, v2, 4, v1
	buffer_load_dword v2, v10, s[0:3], 0 offen
	buffer_load_dword v3, v10, s[0:3], 0 offen offset:4
	buffer_load_dword v4, v10, s[0:3], 0 offen offset:8
	buffer_load_dword v5, v10, s[0:3], 0 offen offset:12
	buffer_load_dword v6, v1, s[0:3], 0 offen
	buffer_load_dword v7, v1, s[0:3], 0 offen offset:4
	buffer_load_dword v8, v1, s[0:3], 0 offen offset:8
	buffer_load_dword v9, v1, s[0:3], 0 offen offset:12
	s_waitcnt vmcnt(4)
	ds_write2_b64 v0, v[2:3], v[4:5] offset1:1
	s_waitcnt vmcnt(3)
	buffer_store_dword v6, v10, s[0:3], 0 offen
	s_waitcnt vmcnt(3)
	buffer_store_dword v7, v10, s[0:3], 0 offen offset:4
	s_waitcnt vmcnt(3)
	buffer_store_dword v8, v10, s[0:3], 0 offen offset:8
	s_waitcnt vmcnt(3)
	buffer_store_dword v9, v10, s[0:3], 0 offen offset:12
	buffer_store_dword v5, v1, s[0:3], 0 offen offset:12
	buffer_store_dword v4, v1, s[0:3], 0 offen offset:8
	buffer_store_dword v3, v1, s[0:3], 0 offen offset:4
	buffer_store_dword v2, v1, s[0:3], 0 offen
.LBB94_204:
	s_or_b64 exec, exec, s[4:5]
	v_pk_mov_b32 v[2:3], s[16:17], s[16:17] op_sel:[0,1]
	flat_load_dword v1, v[2:3] offset:108
	s_waitcnt vmcnt(0) lgkmcnt(0)
	;; [unrolled: 35-line block ×27, first 2 shown]
	v_add_u32_e32 v2, -1, v1
	v_cmp_ne_u32_e32 vcc, 2, v2
	s_and_saveexec_b64 s[4:5], vcc
	s_cbranch_execz .LBB94_256
; %bb.255:
	v_mov_b32_e32 v1, 0
	v_lshl_add_u32 v1, v2, 4, v1
	buffer_load_dword v2, v242, s[0:3], 0 offen
	buffer_load_dword v3, v242, s[0:3], 0 offen offset:4
	buffer_load_dword v4, v242, s[0:3], 0 offen offset:8
	;; [unrolled: 1-line block ×3, first 2 shown]
	buffer_load_dword v6, v1, s[0:3], 0 offen
	buffer_load_dword v7, v1, s[0:3], 0 offen offset:4
	buffer_load_dword v8, v1, s[0:3], 0 offen offset:8
	;; [unrolled: 1-line block ×3, first 2 shown]
	s_waitcnt vmcnt(4)
	ds_write2_b64 v0, v[2:3], v[4:5] offset1:1
	s_waitcnt vmcnt(3)
	buffer_store_dword v6, v242, s[0:3], 0 offen
	s_waitcnt vmcnt(3)
	buffer_store_dword v7, v242, s[0:3], 0 offen offset:4
	s_waitcnt vmcnt(3)
	buffer_store_dword v8, v242, s[0:3], 0 offen offset:8
	;; [unrolled: 2-line block ×3, first 2 shown]
	buffer_store_dword v5, v1, s[0:3], 0 offen offset:12
	buffer_store_dword v4, v1, s[0:3], 0 offen offset:8
	;; [unrolled: 1-line block ×3, first 2 shown]
	buffer_store_dword v2, v1, s[0:3], 0 offen
.LBB94_256:
	s_or_b64 exec, exec, s[4:5]
	v_pk_mov_b32 v[2:3], s[16:17], s[16:17] op_sel:[0,1]
	flat_load_dword v1, v[2:3] offset:4
	s_waitcnt vmcnt(0) lgkmcnt(0)
	v_add_u32_e32 v2, -1, v1
	v_cmp_ne_u32_e32 vcc, 1, v2
	s_and_saveexec_b64 s[4:5], vcc
	s_cbranch_execz .LBB94_258
; %bb.257:
	v_mov_b32_e32 v1, 0
	v_accvgpr_read_b32 v10, a83
	v_lshl_add_u32 v1, v2, 4, v1
	buffer_load_dword v2, v10, s[0:3], 0 offen
	buffer_load_dword v3, v10, s[0:3], 0 offen offset:4
	buffer_load_dword v4, v10, s[0:3], 0 offen offset:8
	;; [unrolled: 1-line block ×3, first 2 shown]
	buffer_load_dword v6, v1, s[0:3], 0 offen
	buffer_load_dword v7, v1, s[0:3], 0 offen offset:4
	buffer_load_dword v8, v1, s[0:3], 0 offen offset:8
	;; [unrolled: 1-line block ×3, first 2 shown]
	s_waitcnt vmcnt(4)
	ds_write2_b64 v0, v[2:3], v[4:5] offset1:1
	s_waitcnt vmcnt(3)
	buffer_store_dword v6, v10, s[0:3], 0 offen
	s_waitcnt vmcnt(3)
	buffer_store_dword v7, v10, s[0:3], 0 offen offset:4
	s_waitcnt vmcnt(3)
	buffer_store_dword v8, v10, s[0:3], 0 offen offset:8
	;; [unrolled: 2-line block ×3, first 2 shown]
	buffer_store_dword v5, v1, s[0:3], 0 offen offset:12
	buffer_store_dword v4, v1, s[0:3], 0 offen offset:8
	;; [unrolled: 1-line block ×3, first 2 shown]
	buffer_store_dword v2, v1, s[0:3], 0 offen
.LBB94_258:
	s_or_b64 exec, exec, s[4:5]
	v_pk_mov_b32 v[2:3], s[16:17], s[16:17] op_sel:[0,1]
	flat_load_dword v1, v[2:3]
	s_waitcnt vmcnt(0) lgkmcnt(0)
	v_add_u32_e32 v2, -1, v1
	v_cmp_ne_u32_e32 vcc, 0, v2
	s_and_saveexec_b64 s[4:5], vcc
	s_cbranch_execz .LBB94_260
; %bb.259:
	v_mov_b32_e32 v1, 0
	v_lshl_add_u32 v1, v2, 4, v1
	buffer_load_dword v2, off, s[0:3], 0
	buffer_load_dword v3, off, s[0:3], 0 offset:4
	buffer_load_dword v4, off, s[0:3], 0 offset:8
	buffer_load_dword v5, off, s[0:3], 0 offset:12
	buffer_load_dword v6, v1, s[0:3], 0 offen
	buffer_load_dword v7, v1, s[0:3], 0 offen offset:4
	buffer_load_dword v8, v1, s[0:3], 0 offen offset:8
	;; [unrolled: 1-line block ×3, first 2 shown]
	s_waitcnt vmcnt(4)
	ds_write2_b64 v0, v[2:3], v[4:5] offset1:1
	s_waitcnt vmcnt(3)
	buffer_store_dword v6, off, s[0:3], 0
	s_waitcnt vmcnt(3)
	buffer_store_dword v7, off, s[0:3], 0 offset:4
	s_waitcnt vmcnt(3)
	buffer_store_dword v8, off, s[0:3], 0 offset:8
	;; [unrolled: 2-line block ×3, first 2 shown]
	buffer_store_dword v5, v1, s[0:3], 0 offen offset:12
	buffer_store_dword v4, v1, s[0:3], 0 offen offset:8
	;; [unrolled: 1-line block ×3, first 2 shown]
	buffer_store_dword v2, v1, s[0:3], 0 offen
.LBB94_260:
	s_or_b64 exec, exec, s[4:5]
.LBB94_261:
	buffer_load_dword v0, off, s[0:3], 0
	buffer_load_dword v1, off, s[0:3], 0 offset:4
	buffer_load_dword v2, off, s[0:3], 0 offset:8
	;; [unrolled: 1-line block ×3, first 2 shown]
	v_accvgpr_read_b32 v16, a83
	buffer_load_dword v4, v16, s[0:3], 0 offen
	buffer_load_dword v5, v16, s[0:3], 0 offen offset:4
	buffer_load_dword v6, v16, s[0:3], 0 offen offset:8
	;; [unrolled: 1-line block ×6, first 2 shown]
	v_accvgpr_read_b32 v20, a84
	buffer_load_dword v12, v20, s[0:3], 0 offen
	buffer_load_dword v13, v20, s[0:3], 0 offen offset:4
	buffer_load_dword v14, v20, s[0:3], 0 offen offset:8
	buffer_load_dword v8, v242, s[0:3], 0 offen
	buffer_load_dword v15, v20, s[0:3], 0 offen offset:12
	v_accvgpr_read_b32 v32, a79
	buffer_load_dword v17, v32, s[0:3], 0 offen offset:4
	buffer_load_dword v18, v32, s[0:3], 0 offen offset:8
	;; [unrolled: 1-line block ×3, first 2 shown]
	v_accvgpr_read_b32 v36, a81
                                        ; kill: killed $vgpr16
                                        ; kill: killed $vgpr20
	buffer_load_dword v20, v36, s[0:3], 0 offen
	buffer_load_dword v21, v36, s[0:3], 0 offen offset:4
	buffer_load_dword v22, v36, s[0:3], 0 offen offset:8
	buffer_load_dword v16, v32, s[0:3], 0 offen
	buffer_load_dword v23, v36, s[0:3], 0 offen offset:12
	v_accvgpr_read_b32 v35, a80
	buffer_load_dword v25, v35, s[0:3], 0 offen offset:4
	buffer_load_dword v26, v35, s[0:3], 0 offen offset:8
	;; [unrolled: 1-line block ×3, first 2 shown]
	v_accvgpr_read_b32 v37, a82
	buffer_load_dword v28, v37, s[0:3], 0 offen
	buffer_load_dword v29, v37, s[0:3], 0 offen offset:4
	buffer_load_dword v30, v37, s[0:3], 0 offen offset:8
	buffer_load_dword v24, v35, s[0:3], 0 offen
	buffer_load_dword v31, v37, s[0:3], 0 offen offset:12
	v_accvgpr_read_b32 v40, a77
	buffer_load_dword v33, v40, s[0:3], 0 offen offset:4
	buffer_load_dword v34, v40, s[0:3], 0 offen offset:8
                                        ; kill: killed $vgpr36
                                        ; kill: killed $vgpr37
                                        ; kill: killed $vgpr32
                                        ; kill: killed $vgpr35
	buffer_load_dword v35, v40, s[0:3], 0 offen offset:12
	v_accvgpr_read_b32 v44, a78
	buffer_load_dword v36, v44, s[0:3], 0 offen
	buffer_load_dword v37, v44, s[0:3], 0 offen offset:4
	buffer_load_dword v38, v44, s[0:3], 0 offen offset:8
	buffer_load_dword v32, v40, s[0:3], 0 offen
	buffer_load_dword v39, v44, s[0:3], 0 offen offset:12
	v_accvgpr_read_b32 v41, a76
	buffer_load_dword v45, v41, s[0:3], 0 offen offset:4
	buffer_load_dword v46, v41, s[0:3], 0 offen offset:8
	;; [unrolled: 1-line block ×3, first 2 shown]
                                        ; kill: killed $vgpr40
	v_accvgpr_read_b32 v40, a75
                                        ; kill: killed $vgpr44
	buffer_load_dword v48, v40, s[0:3], 0 offen
	buffer_load_dword v49, v40, s[0:3], 0 offen offset:4
	buffer_load_dword v50, v40, s[0:3], 0 offen offset:8
	buffer_load_dword v44, v41, s[0:3], 0 offen
	buffer_load_dword v51, v40, s[0:3], 0 offen offset:12
	v_accvgpr_read_b32 v41, a74
	buffer_load_dword v53, v41, s[0:3], 0 offen offset:4
	buffer_load_dword v54, v41, s[0:3], 0 offen offset:8
	buffer_load_dword v55, v41, s[0:3], 0 offen offset:12
	v_accvgpr_read_b32 v40, a73
	buffer_load_dword v56, v40, s[0:3], 0 offen
	buffer_load_dword v57, v40, s[0:3], 0 offen offset:4
	buffer_load_dword v58, v40, s[0:3], 0 offen offset:8
	buffer_load_dword v52, v41, s[0:3], 0 offen
	buffer_load_dword v59, v40, s[0:3], 0 offen offset:12
	v_accvgpr_read_b32 v41, a72
	buffer_load_dword v61, v41, s[0:3], 0 offen offset:4
	buffer_load_dword v62, v41, s[0:3], 0 offen offset:8
	buffer_load_dword v63, v41, s[0:3], 0 offen offset:12
	v_accvgpr_read_b32 v40, a71
	;; [unrolled: 10-line block ×8, first 2 shown]
	buffer_load_dword v136, v40, s[0:3], 0 offen
	buffer_load_dword v137, v40, s[0:3], 0 offen offset:4
	buffer_load_dword v138, v40, s[0:3], 0 offen offset:8
	buffer_load_dword v132, v41, s[0:3], 0 offen
	buffer_load_dword v139, v40, s[0:3], 0 offen offset:12
	v_accvgpr_read_b32 v41, a58
	v_accvgpr_read_b32 v40, a57
	buffer_load_dword v141, v41, s[0:3], 0 offen offset:4
	buffer_load_dword v142, v41, s[0:3], 0 offen offset:8
	buffer_load_dword v143, v41, s[0:3], 0 offen offset:12
	buffer_load_dword v144, v40, s[0:3], 0 offen
	buffer_load_dword v145, v40, s[0:3], 0 offen offset:4
	buffer_load_dword v146, v40, s[0:3], 0 offen offset:8
	buffer_load_dword v140, v41, s[0:3], 0 offen
	buffer_load_dword v147, v40, s[0:3], 0 offen offset:12
	v_accvgpr_read_b32 v40, a56
	buffer_load_dword v148, v40, s[0:3], 0 offen
	buffer_load_dword v149, v40, s[0:3], 0 offen offset:4
	buffer_load_dword v150, v40, s[0:3], 0 offen offset:8
	;; [unrolled: 1-line block ×3, first 2 shown]
                                        ; kill: killed $vgpr242
	s_waitcnt vmcnt(62)
	global_store_dwordx4 v[42:43], v[0:3], off
	s_nop 0
	v_accvgpr_read_b32 v0, a0
	v_accvgpr_read_b32 v1, a1
	global_store_dwordx4 v[0:1], v[4:7], off
	v_accvgpr_read_b32 v0, a2
	v_accvgpr_read_b32 v1, a3
	global_store_dwordx4 v[0:1], v[8:11], off
	v_accvgpr_read_b32 v0, a4
	v_accvgpr_read_b32 v1, a5
	global_store_dwordx4 v[0:1], v[12:15], off
	v_accvgpr_read_b32 v0, a6
	v_accvgpr_read_b32 v1, a7
	global_store_dwordx4 v[0:1], v[16:19], off
	v_accvgpr_read_b32 v0, a8
	v_accvgpr_read_b32 v1, a9
	global_store_dwordx4 v[0:1], v[20:23], off
	v_accvgpr_read_b32 v0, a10
	v_accvgpr_read_b32 v1, a11
	global_store_dwordx4 v[0:1], v[24:27], off
	v_accvgpr_read_b32 v0, a12
	v_accvgpr_read_b32 v1, a13
	global_store_dwordx4 v[0:1], v[28:31], off
	v_accvgpr_read_b32 v0, a14
	v_accvgpr_read_b32 v1, a15
	global_store_dwordx4 v[0:1], v[32:35], off
	v_accvgpr_read_b32 v0, a16
	v_accvgpr_read_b32 v1, a17
	global_store_dwordx4 v[0:1], v[36:39], off
	v_accvgpr_read_b32 v0, a18
	v_accvgpr_read_b32 v1, a19
	global_store_dwordx4 v[0:1], v[44:47], off
	v_accvgpr_read_b32 v0, a20
	v_accvgpr_read_b32 v1, a21
	global_store_dwordx4 v[0:1], v[48:51], off
	v_accvgpr_read_b32 v0, a22
	v_accvgpr_read_b32 v1, a23
	global_store_dwordx4 v[0:1], v[52:55], off
	v_accvgpr_read_b32 v0, a24
	v_accvgpr_read_b32 v1, a25
	global_store_dwordx4 v[0:1], v[56:59], off
	v_accvgpr_read_b32 v0, a26
	v_accvgpr_read_b32 v1, a27
	s_waitcnt vmcnt(62)
	global_store_dwordx4 v[0:1], v[60:63], off
	v_accvgpr_read_b32 v0, a28
	v_accvgpr_read_b32 v1, a29
	global_store_dwordx4 v[0:1], v[64:67], off
	v_accvgpr_read_b32 v0, a30
	v_accvgpr_read_b32 v1, a31
	;; [unrolled: 3-line block ×4, first 2 shown]
	s_waitcnt vmcnt(62)
	global_store_dwordx4 v[0:1], v[76:79], off
	v_accvgpr_read_b32 v0, a36
	v_accvgpr_read_b32 v1, a37
	global_store_dwordx4 v[0:1], v[104:107], off
	v_accvgpr_read_b32 v0, a38
	v_accvgpr_read_b32 v1, a39
	s_waitcnt vmcnt(57)
	global_store_dwordx4 v[0:1], v[108:111], off
	v_accvgpr_read_b32 v0, a40
	v_accvgpr_read_b32 v1, a41
	s_waitcnt vmcnt(57)
	;; [unrolled: 4-line block ×9, first 2 shown]
	global_store_dwordx4 v[0:1], v[140:143], off
	s_waitcnt vmcnt(33)
	global_store_dwordx4 v[100:101], v[144:147], off
	s_waitcnt vmcnt(30)
	global_store_dwordx4 v[102:103], v[148:151], off
	s_endpgm
	.section	.rodata,"a",@progbits
	.p2align	6, 0x0
	.amdhsa_kernel _ZN9rocsolver6v33100L18getri_kernel_smallILi31E19rocblas_complex_numIdEPKPS3_EEvT1_iilPiilS8_bb
		.amdhsa_group_segment_fixed_size 2024
		.amdhsa_private_segment_fixed_size 512
		.amdhsa_kernarg_size 60
		.amdhsa_user_sgpr_count 10
		.amdhsa_user_sgpr_private_segment_buffer 1
		.amdhsa_user_sgpr_dispatch_ptr 1
		.amdhsa_user_sgpr_queue_ptr 0
		.amdhsa_user_sgpr_kernarg_segment_ptr 1
		.amdhsa_user_sgpr_dispatch_id 0
		.amdhsa_user_sgpr_flat_scratch_init 1
		.amdhsa_user_sgpr_kernarg_preload_length 0
		.amdhsa_user_sgpr_kernarg_preload_offset 0
		.amdhsa_user_sgpr_private_segment_size 0
		.amdhsa_uses_dynamic_stack 0
		.amdhsa_system_sgpr_private_segment_wavefront_offset 1
		.amdhsa_system_sgpr_workgroup_id_x 1
		.amdhsa_system_sgpr_workgroup_id_y 0
		.amdhsa_system_sgpr_workgroup_id_z 0
		.amdhsa_system_sgpr_workgroup_info 0
		.amdhsa_system_vgpr_workitem_id 2
		.amdhsa_next_free_vgpr 341
		.amdhsa_next_free_sgpr 24
		.amdhsa_accum_offset 256
		.amdhsa_reserve_vcc 1
		.amdhsa_reserve_flat_scratch 1
		.amdhsa_float_round_mode_32 0
		.amdhsa_float_round_mode_16_64 0
		.amdhsa_float_denorm_mode_32 3
		.amdhsa_float_denorm_mode_16_64 3
		.amdhsa_dx10_clamp 1
		.amdhsa_ieee_mode 1
		.amdhsa_fp16_overflow 0
		.amdhsa_tg_split 0
		.amdhsa_exception_fp_ieee_invalid_op 0
		.amdhsa_exception_fp_denorm_src 0
		.amdhsa_exception_fp_ieee_div_zero 0
		.amdhsa_exception_fp_ieee_overflow 0
		.amdhsa_exception_fp_ieee_underflow 0
		.amdhsa_exception_fp_ieee_inexact 0
		.amdhsa_exception_int_div_zero 0
	.end_amdhsa_kernel
	.section	.text._ZN9rocsolver6v33100L18getri_kernel_smallILi31E19rocblas_complex_numIdEPKPS3_EEvT1_iilPiilS8_bb,"axG",@progbits,_ZN9rocsolver6v33100L18getri_kernel_smallILi31E19rocblas_complex_numIdEPKPS3_EEvT1_iilPiilS8_bb,comdat
.Lfunc_end94:
	.size	_ZN9rocsolver6v33100L18getri_kernel_smallILi31E19rocblas_complex_numIdEPKPS3_EEvT1_iilPiilS8_bb, .Lfunc_end94-_ZN9rocsolver6v33100L18getri_kernel_smallILi31E19rocblas_complex_numIdEPKPS3_EEvT1_iilPiilS8_bb
                                        ; -- End function
	.section	.AMDGPU.csdata,"",@progbits
; Kernel info:
; codeLenInByte = 69788
; NumSgprs: 30
; NumVgprs: 256
; NumAgprs: 85
; TotalNumVgprs: 341
; ScratchSize: 512
; MemoryBound: 0
; FloatMode: 240
; IeeeMode: 1
; LDSByteSize: 2024 bytes/workgroup (compile time only)
; SGPRBlocks: 3
; VGPRBlocks: 42
; NumSGPRsForWavesPerEU: 30
; NumVGPRsForWavesPerEU: 341
; AccumOffset: 256
; Occupancy: 1
; WaveLimiterHint : 1
; COMPUTE_PGM_RSRC2:SCRATCH_EN: 1
; COMPUTE_PGM_RSRC2:USER_SGPR: 10
; COMPUTE_PGM_RSRC2:TRAP_HANDLER: 0
; COMPUTE_PGM_RSRC2:TGID_X_EN: 1
; COMPUTE_PGM_RSRC2:TGID_Y_EN: 0
; COMPUTE_PGM_RSRC2:TGID_Z_EN: 0
; COMPUTE_PGM_RSRC2:TIDIG_COMP_CNT: 2
; COMPUTE_PGM_RSRC3_GFX90A:ACCUM_OFFSET: 63
; COMPUTE_PGM_RSRC3_GFX90A:TG_SPLIT: 0
	.section	.text._ZN9rocsolver6v33100L18getri_kernel_smallILi32E19rocblas_complex_numIdEPKPS3_EEvT1_iilPiilS8_bb,"axG",@progbits,_ZN9rocsolver6v33100L18getri_kernel_smallILi32E19rocblas_complex_numIdEPKPS3_EEvT1_iilPiilS8_bb,comdat
	.globl	_ZN9rocsolver6v33100L18getri_kernel_smallILi32E19rocblas_complex_numIdEPKPS3_EEvT1_iilPiilS8_bb ; -- Begin function _ZN9rocsolver6v33100L18getri_kernel_smallILi32E19rocblas_complex_numIdEPKPS3_EEvT1_iilPiilS8_bb
	.p2align	8
	.type	_ZN9rocsolver6v33100L18getri_kernel_smallILi32E19rocblas_complex_numIdEPKPS3_EEvT1_iilPiilS8_bb,@function
_ZN9rocsolver6v33100L18getri_kernel_smallILi32E19rocblas_complex_numIdEPKPS3_EEvT1_iilPiilS8_bb: ; @_ZN9rocsolver6v33100L18getri_kernel_smallILi32E19rocblas_complex_numIdEPKPS3_EEvT1_iilPiilS8_bb
; %bb.0:
	s_add_u32 flat_scratch_lo, s6, s9
	s_addc_u32 flat_scratch_hi, s7, 0
	s_add_u32 s0, s0, s9
	s_addc_u32 s1, s1, 0
	v_cmp_gt_u32_e32 vcc, 32, v0
	s_and_saveexec_b64 s[6:7], vcc
	s_cbranch_execz .LBB95_142
; %bb.1:
	s_load_dword s18, s[4:5], 0x38
	s_load_dwordx2 s[6:7], s[4:5], 0x0
	s_load_dwordx4 s[12:15], s[4:5], 0x28
	s_waitcnt lgkmcnt(0)
	s_bitcmp1_b32 s18, 8
	s_cselect_b64 s[16:17], -1, 0
	s_ashr_i32 s9, s8, 31
	s_lshl_b64 s[10:11], s[8:9], 3
	s_add_u32 s6, s6, s10
	s_addc_u32 s7, s7, s11
	s_load_dwordx2 s[6:7], s[6:7], 0x0
	s_bfe_u32 s10, s18, 0x10008
	s_cmp_eq_u32 s10, 0
                                        ; implicit-def: $sgpr10_sgpr11
	s_cbranch_scc1 .LBB95_3
; %bb.2:
	s_load_dword s10, s[4:5], 0x20
	s_load_dwordx2 s[20:21], s[4:5], 0x18
	s_mul_i32 s11, s8, s13
	s_mul_hi_u32 s13, s8, s12
	s_add_i32 s13, s13, s11
	s_mul_i32 s19, s9, s12
	s_add_i32 s13, s13, s19
	s_mul_i32 s12, s8, s12
	s_waitcnt lgkmcnt(0)
	s_ashr_i32 s11, s10, 31
	s_lshl_b64 s[12:13], s[12:13], 2
	s_add_u32 s12, s20, s12
	s_addc_u32 s13, s21, s13
	s_lshl_b64 s[10:11], s[10:11], 2
	s_add_u32 s10, s12, s10
	s_addc_u32 s11, s13, s11
.LBB95_3:
	s_load_dwordx2 s[4:5], s[4:5], 0x8
	v_lshlrev_b32_e32 v1, 4, v0
	s_waitcnt lgkmcnt(0)
	s_ashr_i32 s13, s4, 31
	s_mov_b32 s12, s4
	s_lshl_b64 s[12:13], s[12:13], 4
	s_add_u32 s6, s6, s12
	s_addc_u32 s7, s7, s13
	s_add_i32 s4, s5, s5
	v_add_u32_e32 v2, s4, v0
	v_ashrrev_i32_e32 v3, 31, v2
	v_add_u32_e32 v4, s5, v2
	v_lshlrev_b64 v[2:3], 4, v[2:3]
	v_mov_b32_e32 v5, s7
	v_add_co_u32_e32 v18, vcc, s6, v2
	v_addc_co_u32_e32 v19, vcc, v5, v3, vcc
	global_load_dwordx4 v[10:13], v1, s[6:7]
	v_mov_b32_e32 v2, s7
	v_add_co_u32_e32 v44, vcc, s6, v1
	s_mov_b32 s12, s5
	s_ashr_i32 s13, s5, 31
	v_addc_co_u32_e32 v45, vcc, 0, v2, vcc
	s_lshl_b64 s[12:13], s[12:13], 4
	v_mov_b32_e32 v2, s13
	v_add_co_u32_e32 v14, vcc, s12, v44
	v_addc_co_u32_e32 v15, vcc, v45, v2, vcc
	v_accvgpr_write_b32 a2, v14
	v_accvgpr_write_b32 a3, v15
	global_load_dwordx4 v[14:17], v[14:15], off
	v_accvgpr_write_b32 a0, v18
	v_accvgpr_write_b32 a1, v19
	global_load_dwordx4 v[18:21], v[18:19], off
	v_ashrrev_i32_e32 v5, 31, v4
	v_lshlrev_b64 v[2:3], 4, v[4:5]
	v_add_u32_e32 v6, s5, v4
	v_mov_b32_e32 v4, s7
	v_add_co_u32_e32 v22, vcc, s6, v2
	v_addc_co_u32_e32 v23, vcc, v4, v3, vcc
	v_accvgpr_write_b32 a4, v22
	v_ashrrev_i32_e32 v7, 31, v6
	v_accvgpr_write_b32 a5, v23
	global_load_dwordx4 v[22:25], v[22:23], off
	v_lshlrev_b64 v[2:3], 4, v[6:7]
	v_add_co_u32_e32 v2, vcc, s6, v2
	v_add_u32_e32 v8, s5, v6
	v_addc_co_u32_e32 v3, vcc, v4, v3, vcc
	v_accvgpr_write_b32 a7, v3
	global_load_dwordx4 v[26:29], v[2:3], off
	v_ashrrev_i32_e32 v9, 31, v8
	v_accvgpr_write_b32 a6, v2
	v_lshlrev_b64 v[2:3], 4, v[8:9]
	v_add_u32_e32 v30, s5, v8
	v_add_co_u32_e32 v6, vcc, s6, v2
	v_addc_co_u32_e32 v7, vcc, v4, v3, vcc
	v_ashrrev_i32_e32 v31, 31, v30
	v_add_u32_e32 v38, s5, v30
	v_lshlrev_b64 v[2:3], 4, v[30:31]
	global_load_dwordx4 v[30:33], v[6:7], off
	v_add_co_u32_e32 v2, vcc, s6, v2
	v_addc_co_u32_e32 v3, vcc, v4, v3, vcc
	global_load_dwordx4 v[34:37], v[2:3], off
	v_accvgpr_write_b32 a11, v3
	v_ashrrev_i32_e32 v39, 31, v38
	v_accvgpr_write_b32 a9, v7
	v_accvgpr_write_b32 a10, v2
	v_lshlrev_b64 v[2:3], 4, v[38:39]
	v_add_u32_e32 v40, s5, v38
	v_accvgpr_write_b32 a8, v6
	v_add_co_u32_e32 v6, vcc, s6, v2
	v_addc_co_u32_e32 v7, vcc, v4, v3, vcc
	v_ashrrev_i32_e32 v41, 31, v40
	v_add_u32_e32 v42, s5, v40
	v_lshlrev_b64 v[2:3], 4, v[40:41]
	global_load_dwordx4 v[38:41], v[6:7], off
	v_add_co_u32_e32 v2, vcc, s6, v2
	v_addc_co_u32_e32 v3, vcc, v4, v3, vcc
	global_load_dwordx4 v[66:69], v[2:3], off
	v_accvgpr_write_b32 a15, v3
	v_ashrrev_i32_e32 v43, 31, v42
	v_accvgpr_write_b32 a13, v7
	v_accvgpr_write_b32 a14, v2
	v_lshlrev_b64 v[2:3], 4, v[42:43]
	v_accvgpr_write_b32 a12, v6
	v_add_co_u32_e32 v6, vcc, s6, v2
	v_add_u32_e32 v46, s5, v42
	v_addc_co_u32_e32 v7, vcc, v4, v3, vcc
	v_ashrrev_i32_e32 v47, 31, v46
	global_load_dwordx4 v[70:73], v[6:7], off
	v_lshlrev_b64 v[2:3], 4, v[46:47]
	v_add_co_u32_e32 v2, vcc, s6, v2
	v_accvgpr_write_b32 a17, v7
	v_addc_co_u32_e32 v3, vcc, v4, v3, vcc
	v_accvgpr_write_b32 a16, v6
	global_load_dwordx4 v[6:9], v[2:3], off
	v_add_u32_e32 v42, s5, v46
	v_add_u32_e32 v46, s5, v42
	;; [unrolled: 1-line block ×19, first 2 shown]
	v_accvgpr_write_b32 a19, v3
	v_add_u32_e32 v104, s5, v102
	v_accvgpr_write_b32 a18, v2
	v_add_u32_e32 v2, s5, v104
	v_ashrrev_i32_e32 v3, 31, v2
	v_lshlrev_b64 v[2:3], 4, v[2:3]
	v_add_co_u32_e32 v2, vcc, s6, v2
	v_addc_co_u32_e32 v3, vcc, v4, v3, vcc
	v_accvgpr_write_b32 a21, v3
	v_ashrrev_i32_e32 v43, 31, v42
	v_accvgpr_write_b32 a20, v2
	global_load_dwordx4 v[2:5], v[2:3], off
	s_waitcnt vmcnt(11)
	buffer_store_dword v13, off, s[0:3], 0 offset:28
	buffer_store_dword v12, off, s[0:3], 0 offset:24
	buffer_store_dword v11, off, s[0:3], 0 offset:20
	buffer_store_dword v10, off, s[0:3], 0 offset:16
	s_waitcnt vmcnt(14)
	buffer_store_dword v17, off, s[0:3], 0 offset:44
	buffer_store_dword v16, off, s[0:3], 0 offset:40
	buffer_store_dword v15, off, s[0:3], 0 offset:36
	buffer_store_dword v14, off, s[0:3], 0 offset:32
	;; [unrolled: 5-line block ×10, first 2 shown]
	s_waitcnt vmcnt(41)
	buffer_store_dword v6, off, s[0:3], 0 offset:176
	v_lshlrev_b64 v[10:11], 4, v[42:43]
	v_mov_b32_e32 v6, s7
	v_add_co_u32_e32 v12, vcc, s6, v10
	v_ashrrev_i32_e32 v47, 31, v46
	v_addc_co_u32_e32 v13, vcc, v6, v11, vcc
	v_lshlrev_b64 v[10:11], 4, v[46:47]
	v_add_co_u32_e32 v14, vcc, s6, v10
	v_ashrrev_i32_e32 v49, 31, v48
	v_addc_co_u32_e32 v15, vcc, v6, v11, vcc
	v_lshlrev_b64 v[18:19], 4, v[48:49]
	;; [unrolled: 4-line block ×9, first 2 shown]
	v_add_co_u32_e32 v46, vcc, s6, v46
	v_addc_co_u32_e32 v47, vcc, v6, v47, vcc
	v_accvgpr_write_b32 a40, v46
	v_ashrrev_i32_e32 v65, 31, v64
	v_accvgpr_write_b32 a38, v42
	global_load_dwordx4 v[106:109], v[42:43], off
	global_load_dwordx4 v[110:113], v[46:47], off
	v_accvgpr_write_b32 a41, v47
	v_lshlrev_b64 v[46:47], 4, v[64:65]
	v_accvgpr_write_b32 a39, v43
	v_add_co_u32_e32 v42, vcc, s6, v46
	v_ashrrev_i32_e32 v75, 31, v74
	v_addc_co_u32_e32 v43, vcc, v6, v47, vcc
	v_lshlrev_b64 v[46:47], 4, v[74:75]
	v_add_co_u32_e32 v46, vcc, s6, v46
	v_addc_co_u32_e32 v47, vcc, v6, v47, vcc
	v_accvgpr_write_b32 a44, v46
	v_ashrrev_i32_e32 v77, 31, v76
	v_accvgpr_write_b32 a42, v42
	global_load_dwordx4 v[114:117], v[42:43], off
	global_load_dwordx4 v[118:121], v[46:47], off
	v_accvgpr_write_b32 a45, v47
	v_lshlrev_b64 v[46:47], 4, v[76:77]
	v_accvgpr_write_b32 a43, v43
	v_add_co_u32_e32 v42, vcc, s6, v46
	v_ashrrev_i32_e32 v79, 31, v78
	v_addc_co_u32_e32 v43, vcc, v6, v47, vcc
	v_lshlrev_b64 v[46:47], 4, v[78:79]
	;; [unrolled: 14-line block ×4, first 2 shown]
	v_accvgpr_write_b32 a23, v13
	v_accvgpr_write_b32 a25, v15
	;; [unrolled: 1-line block ×8, first 2 shown]
	v_add_co_u32_e32 v100, vcc, s6, v46
	v_accvgpr_write_b32 a22, v12
	global_load_dwordx4 v[10:13], v[12:13], off
	v_accvgpr_write_b32 a24, v14
	global_load_dwordx4 v[14:17], v[14:15], off
	;; [unrolled: 2-line block ×8, first 2 shown]
	v_addc_co_u32_e32 v101, vcc, v6, v47, vcc
	global_load_dwordx4 v[138:141], v[42:43], off
	global_load_dwordx4 v[142:145], v[100:101], off
	v_ashrrev_i32_e32 v103, 31, v102
	v_lshlrev_b64 v[46:47], 4, v[102:103]
	v_add_co_u32_e32 v102, vcc, s6, v46
	v_addc_co_u32_e32 v103, vcc, v6, v47, vcc
	v_ashrrev_i32_e32 v105, 31, v104
	global_load_dwordx4 v[146:149], v[102:103], off
	v_lshlrev_b64 v[46:47], 4, v[104:105]
	v_add_co_u32_e32 v104, vcc, s6, v46
	v_addc_co_u32_e32 v105, vcc, v6, v47, vcc
	global_load_dwordx4 v[150:153], v[104:105], off
	s_nop 0
	buffer_store_dword v7, off, s[0:3], 0 offset:180
	buffer_store_dword v8, off, s[0:3], 0 offset:184
	buffer_store_dword v9, off, s[0:3], 0 offset:188
	s_waitcnt vmcnt(14)
	buffer_store_dword v10, off, s[0:3], 0 offset:192
	buffer_store_dword v11, off, s[0:3], 0 offset:196
	buffer_store_dword v12, off, s[0:3], 0 offset:200
	buffer_store_dword v13, off, s[0:3], 0 offset:204
	s_waitcnt vmcnt(17)
	buffer_store_dword v17, off, s[0:3], 0 offset:220
	;; [unrolled: 5-line block ×8, first 2 shown]
	buffer_store_dword v40, off, s[0:3], 0 offset:312
	buffer_store_dword v39, off, s[0:3], 0 offset:308
	;; [unrolled: 1-line block ×35, first 2 shown]
	s_waitcnt vmcnt(62)
	buffer_store_dword v141, off, s[0:3], 0 offset:460
	buffer_store_dword v140, off, s[0:3], 0 offset:456
	;; [unrolled: 1-line block ×20, first 2 shown]
	v_mov_b32_e32 v2, 16
	v_add_u32_e32 v3, 16, v2
	v_accvgpr_write_b32 a85, v3
	v_add_u32_e32 v3, 32, v2
	v_accvgpr_write_b32 a84, v3
	;; [unrolled: 2-line block ×29, first 2 shown]
	v_accvgpr_write_b32 a58, v3
	v_add_u32_e32 v3, 0x1e0, v2
	v_add_u32_e32 v2, 0x1f0, v2
	v_accvgpr_write_b32 a54, v42
	v_accvgpr_write_b32 a57, v3
	;; [unrolled: 1-line block ×3, first 2 shown]
	s_bitcmp0_b32 s18, 0
	s_mov_b64 s[6:7], -1
	s_cbranch_scc1 .LBB95_140
; %bb.4:
	v_cmp_eq_u32_e64 s[4:5], 0, v0
	s_and_saveexec_b64 s[6:7], s[4:5]
	s_cbranch_execz .LBB95_6
; %bb.5:
	v_mov_b32_e32 v2, 0
	ds_write_b32 v2, v2 offset:1024
.LBB95_6:
	s_or_b64 exec, exec, s[6:7]
	v_mov_b32_e32 v2, 16
	v_lshl_add_u32 v12, v0, 4, v2
	s_waitcnt lgkmcnt(0)
	; wave barrier
	s_waitcnt lgkmcnt(0)
	buffer_load_dword v2, v12, s[0:3], 0 offen
	buffer_load_dword v3, v12, s[0:3], 0 offen offset:4
	buffer_load_dword v4, v12, s[0:3], 0 offen offset:8
	;; [unrolled: 1-line block ×3, first 2 shown]
	s_waitcnt vmcnt(2)
	v_cmp_eq_f64_e32 vcc, 0, v[2:3]
	s_waitcnt vmcnt(0)
	v_cmp_eq_f64_e64 s[6:7], 0, v[4:5]
	s_and_b64 s[6:7], vcc, s[6:7]
	s_and_saveexec_b64 s[12:13], s[6:7]
	s_cbranch_execz .LBB95_10
; %bb.7:
	v_mov_b32_e32 v2, 0
	ds_read_b32 v4, v2 offset:1024
	v_add_u32_e32 v3, 1, v0
	s_waitcnt lgkmcnt(0)
	v_readfirstlane_b32 s6, v4
	s_cmp_eq_u32 s6, 0
	s_cselect_b64 s[18:19], -1, 0
	v_cmp_gt_i32_e32 vcc, s6, v3
	s_or_b64 s[18:19], s[18:19], vcc
	s_and_b64 exec, exec, s[18:19]
	s_cbranch_execz .LBB95_10
; %bb.8:
	s_mov_b64 s[18:19], 0
	v_mov_b32_e32 v4, s6
.LBB95_9:                               ; =>This Inner Loop Header: Depth=1
	ds_cmpst_rtn_b32 v4, v2, v4, v3 offset:1024
	s_waitcnt lgkmcnt(0)
	v_cmp_ne_u32_e32 vcc, 0, v4
	v_cmp_le_i32_e64 s[6:7], v4, v3
	s_and_b64 s[6:7], vcc, s[6:7]
	s_and_b64 s[6:7], exec, s[6:7]
	s_or_b64 s[18:19], s[6:7], s[18:19]
	s_andn2_b64 exec, exec, s[18:19]
	s_cbranch_execnz .LBB95_9
.LBB95_10:
	s_or_b64 exec, exec, s[12:13]
	v_mov_b32_e32 v3, 0
	s_waitcnt lgkmcnt(0)
	; wave barrier
	ds_read_b32 v2, v3 offset:1024
	s_and_saveexec_b64 s[6:7], s[4:5]
	s_cbranch_execz .LBB95_12
; %bb.11:
	s_lshl_b64 s[12:13], s[8:9], 2
	s_add_u32 s12, s14, s12
	s_addc_u32 s13, s15, s13
	s_waitcnt lgkmcnt(0)
	global_store_dword v3, v2, s[12:13]
.LBB95_12:
	s_or_b64 exec, exec, s[6:7]
	s_waitcnt lgkmcnt(0)
	v_cmp_ne_u32_e32 vcc, 0, v2
	s_mov_b64 s[6:7], 0
	s_cbranch_vccnz .LBB95_140
; %bb.13:
	buffer_load_dword v7, v12, s[0:3], 0 offen offset:4
	buffer_load_dword v6, v12, s[0:3], 0 offen
	buffer_load_dword v9, v12, s[0:3], 0 offen offset:12
	buffer_load_dword v8, v12, s[0:3], 0 offen offset:8
                                        ; implicit-def: $vgpr10_vgpr11
	s_waitcnt vmcnt(3)
	v_xor_b32_e32 v3, 0x80000000, v7
	s_waitcnt vmcnt(2)
	v_cmp_gt_f64_e32 vcc, 0, v[6:7]
	s_waitcnt vmcnt(1)
	v_xor_b32_e32 v4, 0x80000000, v9
	v_cndmask_b32_e32 v3, v7, v3, vcc
	s_waitcnt vmcnt(0)
	v_cmp_gt_f64_e32 vcc, 0, v[8:9]
	v_mov_b32_e32 v2, v6
	v_cndmask_b32_e32 v5, v9, v4, vcc
	v_mov_b32_e32 v4, v8
	v_cmp_ngt_f64_e32 vcc, v[2:3], v[4:5]
                                        ; implicit-def: $vgpr4_vgpr5
	s_and_saveexec_b64 s[6:7], vcc
	s_xor_b64 s[6:7], exec, s[6:7]
	s_cbranch_execz .LBB95_15
; %bb.14:
	v_div_scale_f64 v[2:3], s[12:13], v[8:9], v[8:9], v[6:7]
	v_rcp_f64_e32 v[4:5], v[2:3]
	v_div_scale_f64 v[10:11], vcc, v[6:7], v[8:9], v[6:7]
	v_fma_f64 v[14:15], -v[2:3], v[4:5], 1.0
	v_fmac_f64_e32 v[4:5], v[4:5], v[14:15]
	v_fma_f64 v[14:15], -v[2:3], v[4:5], 1.0
	v_fmac_f64_e32 v[4:5], v[4:5], v[14:15]
	v_mul_f64 v[14:15], v[10:11], v[4:5]
	v_fma_f64 v[2:3], -v[2:3], v[14:15], v[10:11]
	v_div_fmas_f64 v[2:3], v[2:3], v[4:5], v[14:15]
	v_div_fixup_f64 v[2:3], v[2:3], v[8:9], v[6:7]
	v_fmac_f64_e32 v[8:9], v[6:7], v[2:3]
	v_div_scale_f64 v[4:5], s[12:13], v[8:9], v[8:9], 1.0
	v_rcp_f64_e32 v[6:7], v[4:5]
	v_fma_f64 v[10:11], -v[4:5], v[6:7], 1.0
	v_fmac_f64_e32 v[6:7], v[6:7], v[10:11]
	v_fma_f64 v[10:11], -v[4:5], v[6:7], 1.0
	v_fmac_f64_e32 v[6:7], v[6:7], v[10:11]
	v_div_scale_f64 v[10:11], vcc, 1.0, v[8:9], 1.0
	v_mul_f64 v[14:15], v[10:11], v[6:7]
	v_fma_f64 v[4:5], -v[4:5], v[14:15], v[10:11]
	s_nop 1
	v_div_fmas_f64 v[4:5], v[4:5], v[6:7], v[14:15]
	v_div_fixup_f64 v[4:5], v[4:5], v[8:9], 1.0
	v_mul_f64 v[10:11], v[2:3], v[4:5]
	v_xor_b32_e32 v5, 0x80000000, v5
	v_xor_b32_e32 v3, 0x80000000, v11
	v_mov_b32_e32 v2, v10
                                        ; implicit-def: $vgpr6_vgpr7
                                        ; implicit-def: $vgpr8_vgpr9
.LBB95_15:
	s_andn2_saveexec_b64 s[6:7], s[6:7]
	s_cbranch_execz .LBB95_17
; %bb.16:
	v_div_scale_f64 v[2:3], s[12:13], v[6:7], v[6:7], v[8:9]
	v_rcp_f64_e32 v[4:5], v[2:3]
	v_div_scale_f64 v[10:11], vcc, v[8:9], v[6:7], v[8:9]
	v_fma_f64 v[14:15], -v[2:3], v[4:5], 1.0
	v_fmac_f64_e32 v[4:5], v[4:5], v[14:15]
	v_fma_f64 v[14:15], -v[2:3], v[4:5], 1.0
	v_fmac_f64_e32 v[4:5], v[4:5], v[14:15]
	v_mul_f64 v[14:15], v[10:11], v[4:5]
	v_fma_f64 v[2:3], -v[2:3], v[14:15], v[10:11]
	v_div_fmas_f64 v[2:3], v[2:3], v[4:5], v[14:15]
	v_div_fixup_f64 v[4:5], v[2:3], v[6:7], v[8:9]
	v_fmac_f64_e32 v[6:7], v[8:9], v[4:5]
	v_div_scale_f64 v[2:3], s[12:13], v[6:7], v[6:7], 1.0
	v_rcp_f64_e32 v[8:9], v[2:3]
	v_fma_f64 v[10:11], -v[2:3], v[8:9], 1.0
	v_fmac_f64_e32 v[8:9], v[8:9], v[10:11]
	v_fma_f64 v[10:11], -v[2:3], v[8:9], 1.0
	v_fmac_f64_e32 v[8:9], v[8:9], v[10:11]
	v_div_scale_f64 v[10:11], vcc, 1.0, v[6:7], 1.0
	v_mul_f64 v[14:15], v[10:11], v[8:9]
	v_fma_f64 v[2:3], -v[2:3], v[14:15], v[10:11]
	s_nop 1
	v_div_fmas_f64 v[2:3], v[2:3], v[8:9], v[14:15]
	v_div_fixup_f64 v[10:11], v[2:3], v[6:7], 1.0
	v_xor_b32_e32 v3, 0x80000000, v11
	v_mov_b32_e32 v2, v10
	v_mul_f64 v[4:5], v[4:5], -v[10:11]
.LBB95_17:
	s_or_b64 exec, exec, s[6:7]
	buffer_store_dword v11, v12, s[0:3], 0 offen offset:4
	buffer_store_dword v10, v12, s[0:3], 0 offen
	buffer_store_dword v5, v12, s[0:3], 0 offen offset:12
	buffer_store_dword v4, v12, s[0:3], 0 offen offset:8
	v_accvgpr_read_b32 v6, a85
	buffer_load_dword v11, v6, s[0:3], 0 offen offset:12
	buffer_load_dword v10, v6, s[0:3], 0 offen offset:8
	buffer_load_dword v9, v6, s[0:3], 0 offen offset:4
	buffer_load_dword v8, v6, s[0:3], 0 offen
	v_xor_b32_e32 v5, 0x80000000, v5
	v_add_u32_e32 v6, 0x200, v1
	ds_write_b128 v1, v[2:5]
	s_waitcnt vmcnt(0)
	ds_write_b128 v1, v[8:11] offset:512
	s_waitcnt lgkmcnt(0)
	; wave barrier
	s_waitcnt lgkmcnt(0)
	s_and_saveexec_b64 s[6:7], s[4:5]
	s_cbranch_execz .LBB95_19
; %bb.18:
	buffer_load_dword v14, v12, s[0:3], 0 offen offset:8
	buffer_load_dword v15, v12, s[0:3], 0 offen offset:12
	buffer_load_dword v16, v12, s[0:3], 0 offen
	buffer_load_dword v17, v12, s[0:3], 0 offen offset:4
	ds_read_b128 v[2:5], v6
	v_mov_b32_e32 v7, 0
	ds_read_b128 v[8:11], v7 offset:16
	s_waitcnt vmcnt(2) lgkmcnt(1)
	v_mul_f64 v[18:19], v[4:5], v[14:15]
	v_mul_f64 v[14:15], v[2:3], v[14:15]
	s_waitcnt vmcnt(0)
	v_fmac_f64_e32 v[14:15], v[4:5], v[16:17]
	v_fma_f64 v[2:3], v[2:3], v[16:17], -v[18:19]
	v_add_f64 v[4:5], v[14:15], 0
	v_add_f64 v[2:3], v[2:3], 0
	s_waitcnt lgkmcnt(0)
	v_mul_f64 v[14:15], v[4:5], v[10:11]
	v_mul_f64 v[10:11], v[2:3], v[10:11]
	v_fma_f64 v[2:3], v[2:3], v[8:9], -v[14:15]
	v_fmac_f64_e32 v[10:11], v[4:5], v[8:9]
	buffer_store_dword v2, off, s[0:3], 0 offset:32
	buffer_store_dword v3, off, s[0:3], 0 offset:36
	buffer_store_dword v10, off, s[0:3], 0 offset:40
	buffer_store_dword v11, off, s[0:3], 0 offset:44
.LBB95_19:
	s_or_b64 exec, exec, s[6:7]
	v_accvgpr_read_b32 v5, a84
	s_waitcnt lgkmcnt(0)
	; wave barrier
	buffer_load_dword v2, v5, s[0:3], 0 offen
	buffer_load_dword v3, v5, s[0:3], 0 offen offset:4
	buffer_load_dword v4, v5, s[0:3], 0 offen offset:8
	s_nop 0
	buffer_load_dword v5, v5, s[0:3], 0 offen offset:12
	v_cmp_gt_u32_e32 vcc, 2, v0
	s_waitcnt vmcnt(0)
	ds_write_b128 v6, v[2:5]
	s_waitcnt lgkmcnt(0)
	; wave barrier
	s_waitcnt lgkmcnt(0)
	s_and_saveexec_b64 s[6:7], vcc
	s_cbranch_execz .LBB95_23
; %bb.20:
	buffer_load_dword v8, v12, s[0:3], 0 offen offset:8
	buffer_load_dword v9, v12, s[0:3], 0 offen offset:12
	buffer_load_dword v10, v12, s[0:3], 0 offen
	buffer_load_dword v11, v12, s[0:3], 0 offen offset:4
	ds_read_b128 v[2:5], v6
	s_waitcnt vmcnt(2) lgkmcnt(0)
	v_mul_f64 v[12:13], v[4:5], v[8:9]
	v_mul_f64 v[8:9], v[2:3], v[8:9]
	s_waitcnt vmcnt(0)
	v_fma_f64 v[2:3], v[2:3], v[10:11], -v[12:13]
	v_fmac_f64_e32 v[8:9], v[4:5], v[10:11]
	v_add_f64 v[4:5], v[2:3], 0
	v_add_f64 v[2:3], v[8:9], 0
	s_and_saveexec_b64 s[12:13], s[4:5]
	s_cbranch_execz .LBB95_22
; %bb.21:
	buffer_load_dword v12, off, s[0:3], 0 offset:40
	buffer_load_dword v13, off, s[0:3], 0 offset:44
	buffer_load_dword v14, off, s[0:3], 0 offset:32
	buffer_load_dword v15, off, s[0:3], 0 offset:36
	v_mov_b32_e32 v7, 0
	ds_read_b128 v[8:11], v7 offset:528
	s_waitcnt vmcnt(2) lgkmcnt(0)
	v_mul_f64 v[16:17], v[8:9], v[12:13]
	v_mul_f64 v[12:13], v[10:11], v[12:13]
	s_waitcnt vmcnt(0)
	v_fmac_f64_e32 v[16:17], v[10:11], v[14:15]
	v_fma_f64 v[8:9], v[8:9], v[14:15], -v[12:13]
	v_add_f64 v[2:3], v[2:3], v[16:17]
	v_add_f64 v[4:5], v[4:5], v[8:9]
.LBB95_22:
	s_or_b64 exec, exec, s[12:13]
	v_mov_b32_e32 v7, 0
	ds_read_b128 v[8:11], v7 offset:32
	s_waitcnt lgkmcnt(0)
	v_mul_f64 v[12:13], v[2:3], v[10:11]
	v_mul_f64 v[10:11], v[4:5], v[10:11]
	v_fma_f64 v[4:5], v[4:5], v[8:9], -v[12:13]
	v_fmac_f64_e32 v[10:11], v[2:3], v[8:9]
	buffer_store_dword v5, off, s[0:3], 0 offset:52
	buffer_store_dword v4, off, s[0:3], 0 offset:48
	;; [unrolled: 1-line block ×4, first 2 shown]
.LBB95_23:
	s_or_b64 exec, exec, s[6:7]
	v_accvgpr_read_b32 v5, a86
	s_waitcnt lgkmcnt(0)
	; wave barrier
	buffer_load_dword v2, v5, s[0:3], 0 offen
	buffer_load_dword v3, v5, s[0:3], 0 offen offset:4
	buffer_load_dword v4, v5, s[0:3], 0 offen offset:8
	s_nop 0
	buffer_load_dword v5, v5, s[0:3], 0 offen offset:12
	v_cmp_gt_u32_e32 vcc, 3, v0
	v_add_u32_e32 v7, -1, v0
	s_waitcnt vmcnt(0)
	ds_write_b128 v6, v[2:5]
	s_waitcnt lgkmcnt(0)
	; wave barrier
	s_waitcnt lgkmcnt(0)
	s_and_saveexec_b64 s[4:5], vcc
	s_cbranch_execz .LBB95_27
; %bb.24:
	v_pk_mov_b32 v[2:3], 0, 0
	v_add_u32_e32 v8, -1, v0
	v_add_u32_e32 v9, 0x200, v1
	v_add_u32_e32 v10, 16, v1
	s_mov_b64 s[6:7], 0
	v_pk_mov_b32 v[4:5], v[2:3], v[2:3] op_sel:[0,1]
.LBB95_25:                              ; =>This Inner Loop Header: Depth=1
	buffer_load_dword v16, v10, s[0:3], 0 offen offset:8
	buffer_load_dword v17, v10, s[0:3], 0 offen offset:12
	buffer_load_dword v18, v10, s[0:3], 0 offen
	buffer_load_dword v19, v10, s[0:3], 0 offen offset:4
	ds_read_b128 v[12:15], v9
	v_add_u32_e32 v8, 1, v8
	v_cmp_lt_u32_e32 vcc, 1, v8
	v_add_u32_e32 v9, 16, v9
	v_add_u32_e32 v10, 16, v10
	s_or_b64 s[6:7], vcc, s[6:7]
	s_waitcnt vmcnt(2) lgkmcnt(0)
	v_mul_f64 v[20:21], v[14:15], v[16:17]
	v_mul_f64 v[16:17], v[12:13], v[16:17]
	s_waitcnt vmcnt(0)
	v_fma_f64 v[12:13], v[12:13], v[18:19], -v[20:21]
	v_fmac_f64_e32 v[16:17], v[14:15], v[18:19]
	v_add_f64 v[4:5], v[4:5], v[12:13]
	v_add_f64 v[2:3], v[2:3], v[16:17]
	s_andn2_b64 exec, exec, s[6:7]
	s_cbranch_execnz .LBB95_25
; %bb.26:
	s_or_b64 exec, exec, s[6:7]
	v_mov_b32_e32 v8, 0
	ds_read_b128 v[8:11], v8 offset:48
	s_waitcnt lgkmcnt(0)
	v_mul_f64 v[12:13], v[2:3], v[10:11]
	v_mul_f64 v[10:11], v[4:5], v[10:11]
	v_fma_f64 v[4:5], v[4:5], v[8:9], -v[12:13]
	v_fmac_f64_e32 v[10:11], v[2:3], v[8:9]
	buffer_store_dword v5, off, s[0:3], 0 offset:68
	buffer_store_dword v4, off, s[0:3], 0 offset:64
	buffer_store_dword v11, off, s[0:3], 0 offset:76
	buffer_store_dword v10, off, s[0:3], 0 offset:72
.LBB95_27:
	s_or_b64 exec, exec, s[4:5]
	v_accvgpr_read_b32 v5, a81
	s_waitcnt lgkmcnt(0)
	; wave barrier
	buffer_load_dword v2, v5, s[0:3], 0 offen
	buffer_load_dword v3, v5, s[0:3], 0 offen offset:4
	buffer_load_dword v4, v5, s[0:3], 0 offen offset:8
	s_nop 0
	buffer_load_dword v5, v5, s[0:3], 0 offen offset:12
	v_cmp_gt_u32_e32 vcc, 4, v0
	s_waitcnt vmcnt(0)
	ds_write_b128 v6, v[2:5]
	s_waitcnt lgkmcnt(0)
	; wave barrier
	s_waitcnt lgkmcnt(0)
	s_and_saveexec_b64 s[4:5], vcc
	s_cbranch_execz .LBB95_31
; %bb.28:
	v_pk_mov_b32 v[2:3], 0, 0
	v_add_u32_e32 v8, -1, v0
	v_add_u32_e32 v9, 0x200, v1
	v_add_u32_e32 v10, 16, v1
	s_mov_b64 s[6:7], 0
	v_pk_mov_b32 v[4:5], v[2:3], v[2:3] op_sel:[0,1]
.LBB95_29:                              ; =>This Inner Loop Header: Depth=1
	buffer_load_dword v16, v10, s[0:3], 0 offen offset:8
	buffer_load_dword v17, v10, s[0:3], 0 offen offset:12
	buffer_load_dword v18, v10, s[0:3], 0 offen
	buffer_load_dword v19, v10, s[0:3], 0 offen offset:4
	ds_read_b128 v[12:15], v9
	v_add_u32_e32 v8, 1, v8
	v_cmp_lt_u32_e32 vcc, 2, v8
	v_add_u32_e32 v9, 16, v9
	v_add_u32_e32 v10, 16, v10
	s_or_b64 s[6:7], vcc, s[6:7]
	s_waitcnt vmcnt(2) lgkmcnt(0)
	v_mul_f64 v[20:21], v[14:15], v[16:17]
	v_mul_f64 v[16:17], v[12:13], v[16:17]
	s_waitcnt vmcnt(0)
	v_fma_f64 v[12:13], v[12:13], v[18:19], -v[20:21]
	v_fmac_f64_e32 v[16:17], v[14:15], v[18:19]
	v_add_f64 v[4:5], v[4:5], v[12:13]
	v_add_f64 v[2:3], v[2:3], v[16:17]
	s_andn2_b64 exec, exec, s[6:7]
	s_cbranch_execnz .LBB95_29
; %bb.30:
	s_or_b64 exec, exec, s[6:7]
	v_mov_b32_e32 v8, 0
	ds_read_b128 v[8:11], v8 offset:64
	s_waitcnt lgkmcnt(0)
	v_mul_f64 v[12:13], v[2:3], v[10:11]
	v_mul_f64 v[10:11], v[4:5], v[10:11]
	v_fma_f64 v[4:5], v[4:5], v[8:9], -v[12:13]
	v_fmac_f64_e32 v[10:11], v[2:3], v[8:9]
	buffer_store_dword v5, off, s[0:3], 0 offset:84
	buffer_store_dword v4, off, s[0:3], 0 offset:80
	buffer_store_dword v11, off, s[0:3], 0 offset:92
	buffer_store_dword v10, off, s[0:3], 0 offset:88
.LBB95_31:
	s_or_b64 exec, exec, s[4:5]
	v_accvgpr_read_b32 v5, a82
	s_waitcnt lgkmcnt(0)
	; wave barrier
	buffer_load_dword v2, v5, s[0:3], 0 offen
	buffer_load_dword v3, v5, s[0:3], 0 offen offset:4
	buffer_load_dword v4, v5, s[0:3], 0 offen offset:8
	s_nop 0
	buffer_load_dword v5, v5, s[0:3], 0 offen offset:12
	v_cmp_gt_u32_e32 vcc, 5, v0
	;; [unrolled: 59-line block ×19, first 2 shown]
	s_waitcnt vmcnt(0)
	ds_write_b128 v6, v[2:5]
	s_waitcnt lgkmcnt(0)
	; wave barrier
	s_waitcnt lgkmcnt(0)
	s_and_saveexec_b64 s[4:5], vcc
	s_cbranch_execz .LBB95_103
; %bb.100:
	v_pk_mov_b32 v[2:3], 0, 0
	v_add_u32_e32 v8, -1, v0
	v_add_u32_e32 v9, 0x200, v1
	v_add_u32_e32 v10, 16, v1
	s_mov_b64 s[6:7], 0
	v_pk_mov_b32 v[4:5], v[2:3], v[2:3] op_sel:[0,1]
.LBB95_101:                             ; =>This Inner Loop Header: Depth=1
	buffer_load_dword v16, v10, s[0:3], 0 offen offset:8
	buffer_load_dword v17, v10, s[0:3], 0 offen offset:12
	buffer_load_dword v18, v10, s[0:3], 0 offen
	buffer_load_dword v19, v10, s[0:3], 0 offen offset:4
	ds_read_b128 v[12:15], v9
	v_add_u32_e32 v8, 1, v8
	v_cmp_lt_u32_e32 vcc, 20, v8
	v_add_u32_e32 v9, 16, v9
	v_add_u32_e32 v10, 16, v10
	s_or_b64 s[6:7], vcc, s[6:7]
	s_waitcnt vmcnt(2) lgkmcnt(0)
	v_mul_f64 v[20:21], v[14:15], v[16:17]
	v_mul_f64 v[16:17], v[12:13], v[16:17]
	s_waitcnt vmcnt(0)
	v_fma_f64 v[12:13], v[12:13], v[18:19], -v[20:21]
	v_fmac_f64_e32 v[16:17], v[14:15], v[18:19]
	v_add_f64 v[4:5], v[4:5], v[12:13]
	v_add_f64 v[2:3], v[2:3], v[16:17]
	s_andn2_b64 exec, exec, s[6:7]
	s_cbranch_execnz .LBB95_101
; %bb.102:
	s_or_b64 exec, exec, s[6:7]
	v_mov_b32_e32 v8, 0
	ds_read_b128 v[8:11], v8 offset:352
	s_waitcnt lgkmcnt(0)
	v_mul_f64 v[12:13], v[2:3], v[10:11]
	v_mul_f64 v[10:11], v[4:5], v[10:11]
	v_fma_f64 v[4:5], v[4:5], v[8:9], -v[12:13]
	v_fmac_f64_e32 v[10:11], v[2:3], v[8:9]
	buffer_store_dword v5, off, s[0:3], 0 offset:372
	buffer_store_dword v4, off, s[0:3], 0 offset:368
	buffer_store_dword v11, off, s[0:3], 0 offset:380
	buffer_store_dword v10, off, s[0:3], 0 offset:376
.LBB95_103:
	s_or_b64 exec, exec, s[4:5]
	v_accvgpr_read_b32 v5, a64
	s_waitcnt lgkmcnt(0)
	; wave barrier
	buffer_load_dword v2, v5, s[0:3], 0 offen
	buffer_load_dword v3, v5, s[0:3], 0 offen offset:4
	buffer_load_dword v4, v5, s[0:3], 0 offen offset:8
	s_nop 0
	buffer_load_dword v5, v5, s[0:3], 0 offen offset:12
	v_cmp_gt_u32_e32 vcc, 23, v0
	s_waitcnt vmcnt(0)
	ds_write_b128 v6, v[2:5]
	s_waitcnt lgkmcnt(0)
	; wave barrier
	s_waitcnt lgkmcnt(0)
	s_and_saveexec_b64 s[4:5], vcc
	s_cbranch_execz .LBB95_107
; %bb.104:
	v_pk_mov_b32 v[2:3], 0, 0
	v_add_u32_e32 v8, -1, v0
	v_add_u32_e32 v9, 0x200, v1
	v_add_u32_e32 v10, 16, v1
	s_mov_b64 s[6:7], 0
	v_pk_mov_b32 v[4:5], v[2:3], v[2:3] op_sel:[0,1]
.LBB95_105:                             ; =>This Inner Loop Header: Depth=1
	buffer_load_dword v16, v10, s[0:3], 0 offen offset:8
	buffer_load_dword v17, v10, s[0:3], 0 offen offset:12
	buffer_load_dword v18, v10, s[0:3], 0 offen
	buffer_load_dword v19, v10, s[0:3], 0 offen offset:4
	ds_read_b128 v[12:15], v9
	v_add_u32_e32 v8, 1, v8
	v_cmp_lt_u32_e32 vcc, 21, v8
	v_add_u32_e32 v9, 16, v9
	v_add_u32_e32 v10, 16, v10
	s_or_b64 s[6:7], vcc, s[6:7]
	s_waitcnt vmcnt(2) lgkmcnt(0)
	v_mul_f64 v[20:21], v[14:15], v[16:17]
	v_mul_f64 v[16:17], v[12:13], v[16:17]
	s_waitcnt vmcnt(0)
	v_fma_f64 v[12:13], v[12:13], v[18:19], -v[20:21]
	v_fmac_f64_e32 v[16:17], v[14:15], v[18:19]
	v_add_f64 v[4:5], v[4:5], v[12:13]
	v_add_f64 v[2:3], v[2:3], v[16:17]
	s_andn2_b64 exec, exec, s[6:7]
	s_cbranch_execnz .LBB95_105
; %bb.106:
	s_or_b64 exec, exec, s[6:7]
	v_mov_b32_e32 v8, 0
	ds_read_b128 v[8:11], v8 offset:368
	s_waitcnt lgkmcnt(0)
	v_mul_f64 v[12:13], v[2:3], v[10:11]
	v_mul_f64 v[10:11], v[4:5], v[10:11]
	v_fma_f64 v[4:5], v[4:5], v[8:9], -v[12:13]
	v_fmac_f64_e32 v[10:11], v[2:3], v[8:9]
	buffer_store_dword v5, off, s[0:3], 0 offset:388
	buffer_store_dword v4, off, s[0:3], 0 offset:384
	buffer_store_dword v11, off, s[0:3], 0 offset:396
	buffer_store_dword v10, off, s[0:3], 0 offset:392
.LBB95_107:
	s_or_b64 exec, exec, s[4:5]
	v_accvgpr_read_b32 v5, a63
	s_waitcnt lgkmcnt(0)
	; wave barrier
	buffer_load_dword v2, v5, s[0:3], 0 offen
	buffer_load_dword v3, v5, s[0:3], 0 offen offset:4
	buffer_load_dword v4, v5, s[0:3], 0 offen offset:8
	s_nop 0
	buffer_load_dword v5, v5, s[0:3], 0 offen offset:12
	v_cmp_gt_u32_e32 vcc, 24, v0
	;; [unrolled: 59-line block ×8, first 2 shown]
	s_waitcnt vmcnt(0)
	ds_write_b128 v6, v[2:5]
	s_waitcnt lgkmcnt(0)
	; wave barrier
	s_waitcnt lgkmcnt(0)
	s_and_saveexec_b64 s[4:5], vcc
	s_cbranch_execz .LBB95_135
; %bb.132:
	v_pk_mov_b32 v[2:3], 0, 0
	v_add_u32_e32 v8, -1, v0
	v_add_u32_e32 v9, 0x200, v1
	v_add_u32_e32 v10, 16, v1
	s_mov_b64 s[6:7], 0
	v_pk_mov_b32 v[4:5], v[2:3], v[2:3] op_sel:[0,1]
.LBB95_133:                             ; =>This Inner Loop Header: Depth=1
	buffer_load_dword v16, v10, s[0:3], 0 offen offset:8
	buffer_load_dword v17, v10, s[0:3], 0 offen offset:12
	buffer_load_dword v18, v10, s[0:3], 0 offen
	buffer_load_dword v19, v10, s[0:3], 0 offen offset:4
	ds_read_b128 v[12:15], v9
	v_add_u32_e32 v8, 1, v8
	v_cmp_lt_u32_e32 vcc, 28, v8
	v_add_u32_e32 v9, 16, v9
	v_add_u32_e32 v10, 16, v10
	s_or_b64 s[6:7], vcc, s[6:7]
	s_waitcnt vmcnt(2) lgkmcnt(0)
	v_mul_f64 v[20:21], v[14:15], v[16:17]
	v_mul_f64 v[16:17], v[12:13], v[16:17]
	s_waitcnt vmcnt(0)
	v_fma_f64 v[12:13], v[12:13], v[18:19], -v[20:21]
	v_fmac_f64_e32 v[16:17], v[14:15], v[18:19]
	v_add_f64 v[4:5], v[4:5], v[12:13]
	v_add_f64 v[2:3], v[2:3], v[16:17]
	s_andn2_b64 exec, exec, s[6:7]
	s_cbranch_execnz .LBB95_133
; %bb.134:
	s_or_b64 exec, exec, s[6:7]
	v_mov_b32_e32 v8, 0
	ds_read_b128 v[8:11], v8 offset:480
	s_waitcnt lgkmcnt(0)
	v_mul_f64 v[12:13], v[2:3], v[10:11]
	v_mul_f64 v[10:11], v[4:5], v[10:11]
	v_fma_f64 v[4:5], v[4:5], v[8:9], -v[12:13]
	v_fmac_f64_e32 v[10:11], v[2:3], v[8:9]
	buffer_store_dword v5, off, s[0:3], 0 offset:500
	buffer_store_dword v4, off, s[0:3], 0 offset:496
	;; [unrolled: 1-line block ×4, first 2 shown]
.LBB95_135:
	s_or_b64 exec, exec, s[4:5]
	v_accvgpr_read_b32 v5, a56
	s_waitcnt lgkmcnt(0)
	; wave barrier
	buffer_load_dword v2, v5, s[0:3], 0 offen
	buffer_load_dword v3, v5, s[0:3], 0 offen offset:4
	buffer_load_dword v4, v5, s[0:3], 0 offen offset:8
	s_nop 0
	buffer_load_dword v5, v5, s[0:3], 0 offen offset:12
	v_cmp_ne_u32_e32 vcc, 31, v0
	s_waitcnt vmcnt(0)
	ds_write_b128 v6, v[2:5]
	s_waitcnt lgkmcnt(0)
	; wave barrier
	s_waitcnt lgkmcnt(0)
	s_and_saveexec_b64 s[4:5], vcc
	s_cbranch_execz .LBB95_139
; %bb.136:
	v_pk_mov_b32 v[2:3], 0, 0
	v_add_u32_e32 v6, 0x200, v1
	v_add_u32_e32 v1, 16, v1
	s_mov_b64 s[6:7], 0
	v_pk_mov_b32 v[4:5], v[2:3], v[2:3] op_sel:[0,1]
.LBB95_137:                             ; =>This Inner Loop Header: Depth=1
	buffer_load_dword v12, v1, s[0:3], 0 offen offset:8
	buffer_load_dword v13, v1, s[0:3], 0 offen offset:12
	buffer_load_dword v14, v1, s[0:3], 0 offen
	buffer_load_dword v15, v1, s[0:3], 0 offen offset:4
	ds_read_b128 v[8:11], v6
	v_add_u32_e32 v7, 1, v7
	v_cmp_lt_u32_e32 vcc, 29, v7
	v_add_u32_e32 v6, 16, v6
	v_add_u32_e32 v1, 16, v1
	s_or_b64 s[6:7], vcc, s[6:7]
	s_waitcnt vmcnt(2) lgkmcnt(0)
	v_mul_f64 v[16:17], v[10:11], v[12:13]
	v_mul_f64 v[12:13], v[8:9], v[12:13]
	s_waitcnt vmcnt(0)
	v_fma_f64 v[8:9], v[8:9], v[14:15], -v[16:17]
	v_fmac_f64_e32 v[12:13], v[10:11], v[14:15]
	v_add_f64 v[4:5], v[4:5], v[8:9]
	v_add_f64 v[2:3], v[2:3], v[12:13]
	s_andn2_b64 exec, exec, s[6:7]
	s_cbranch_execnz .LBB95_137
; %bb.138:
	s_or_b64 exec, exec, s[6:7]
	v_mov_b32_e32 v1, 0
	ds_read_b128 v[6:9], v1 offset:496
	s_waitcnt lgkmcnt(0)
	v_mul_f64 v[10:11], v[2:3], v[8:9]
	v_mul_f64 v[8:9], v[4:5], v[8:9]
	v_fma_f64 v[4:5], v[4:5], v[6:7], -v[10:11]
	v_fmac_f64_e32 v[8:9], v[2:3], v[6:7]
	buffer_store_dword v5, off, s[0:3], 0 offset:516
	buffer_store_dword v4, off, s[0:3], 0 offset:512
	;; [unrolled: 1-line block ×4, first 2 shown]
.LBB95_139:
	s_or_b64 exec, exec, s[4:5]
	s_mov_b64 s[6:7], -1
	s_waitcnt lgkmcnt(0)
	; wave barrier
.LBB95_140:
	s_and_b64 vcc, exec, s[6:7]
	s_cbranch_vccz .LBB95_142
; %bb.141:
	s_lshl_b64 s[4:5], s[8:9], 2
	s_add_u32 s4, s14, s4
	s_addc_u32 s5, s15, s5
	v_mov_b32_e32 v1, 0
	global_load_dword v1, v1, s[4:5]
	s_waitcnt vmcnt(0)
	v_cmp_ne_u32_e32 vcc, 0, v1
	s_cbranch_vccz .LBB95_143
.LBB95_142:
	s_endpgm
.LBB95_143:
	v_mov_b32_e32 v1, 0x200
	v_lshl_add_u32 v1, v0, 4, v1
	v_cmp_eq_u32_e32 vcc, 31, v0
	s_and_saveexec_b64 s[4:5], vcc
	s_cbranch_execz .LBB95_145
; %bb.144:
	v_accvgpr_read_b32 v5, a57
	buffer_load_dword v2, v5, s[0:3], 0 offen
	buffer_load_dword v3, v5, s[0:3], 0 offen offset:4
	buffer_load_dword v4, v5, s[0:3], 0 offen offset:8
	s_nop 0
	buffer_load_dword v5, v5, s[0:3], 0 offen offset:12
	v_mov_b32_e32 v6, 0
	buffer_store_dword v6, off, s[0:3], 0 offset:496
	buffer_store_dword v6, off, s[0:3], 0 offset:500
	;; [unrolled: 1-line block ×4, first 2 shown]
	s_waitcnt vmcnt(4)
	ds_write_b128 v1, v[2:5]
.LBB95_145:
	s_or_b64 exec, exec, s[4:5]
	s_waitcnt lgkmcnt(0)
	; wave barrier
	s_waitcnt lgkmcnt(0)
	buffer_load_dword v8, off, s[0:3], 0 offset:520
	buffer_load_dword v9, off, s[0:3], 0 offset:524
	;; [unrolled: 1-line block ×8, first 2 shown]
	v_mov_b32_e32 v2, 0
	ds_read_b128 v[4:7], v2 offset:1008
	v_cmp_lt_u32_e32 vcc, 29, v0
	s_waitcnt vmcnt(6) lgkmcnt(0)
	v_mul_f64 v[16:17], v[4:5], v[8:9]
	v_mul_f64 v[8:9], v[6:7], v[8:9]
	s_waitcnt vmcnt(4)
	v_fma_f64 v[4:5], v[4:5], v[10:11], -v[8:9]
	v_fmac_f64_e32 v[16:17], v[6:7], v[10:11]
	v_add_f64 v[4:5], v[4:5], 0
	v_add_f64 v[6:7], v[16:17], 0
	s_waitcnt vmcnt(2)
	v_add_f64 v[4:5], v[12:13], -v[4:5]
	s_waitcnt vmcnt(0)
	v_add_f64 v[6:7], v[14:15], -v[6:7]
	buffer_store_dword v4, off, s[0:3], 0 offset:496
	buffer_store_dword v5, off, s[0:3], 0 offset:500
	;; [unrolled: 1-line block ×4, first 2 shown]
	s_and_saveexec_b64 s[4:5], vcc
	s_cbranch_execz .LBB95_147
; %bb.146:
	v_accvgpr_read_b32 v3, a58
	buffer_load_dword v4, v3, s[0:3], 0 offen
	buffer_load_dword v5, v3, s[0:3], 0 offen offset:4
	buffer_load_dword v6, v3, s[0:3], 0 offen offset:8
	;; [unrolled: 1-line block ×3, first 2 shown]
	s_nop 0
	buffer_store_dword v2, off, s[0:3], 0 offset:480
	buffer_store_dword v2, off, s[0:3], 0 offset:484
	;; [unrolled: 1-line block ×4, first 2 shown]
	s_waitcnt vmcnt(4)
	ds_write_b128 v1, v[4:7]
.LBB95_147:
	s_or_b64 exec, exec, s[4:5]
	s_waitcnt lgkmcnt(0)
	; wave barrier
	s_waitcnt lgkmcnt(0)
	buffer_load_dword v12, off, s[0:3], 0 offset:504
	buffer_load_dword v13, off, s[0:3], 0 offset:508
	;; [unrolled: 1-line block ×12, first 2 shown]
	ds_read_b128 v[4:7], v2 offset:992
	ds_read_b128 v[8:11], v2 offset:1008
	v_cmp_lt_u32_e32 vcc, 28, v0
	s_waitcnt vmcnt(10) lgkmcnt(1)
	v_mul_f64 v[2:3], v[4:5], v[12:13]
	v_mul_f64 v[12:13], v[6:7], v[12:13]
	s_waitcnt vmcnt(8) lgkmcnt(0)
	v_mul_f64 v[24:25], v[8:9], v[14:15]
	v_mul_f64 v[14:15], v[10:11], v[14:15]
	s_waitcnt vmcnt(6)
	v_fma_f64 v[4:5], v[4:5], v[16:17], -v[12:13]
	v_fmac_f64_e32 v[2:3], v[6:7], v[16:17]
	s_waitcnt vmcnt(4)
	v_fma_f64 v[6:7], v[8:9], v[18:19], -v[14:15]
	v_add_f64 v[4:5], v[4:5], 0
	v_fmac_f64_e32 v[24:25], v[10:11], v[18:19]
	v_add_f64 v[2:3], v[2:3], 0
	v_add_f64 v[4:5], v[4:5], v[6:7]
	;; [unrolled: 1-line block ×3, first 2 shown]
	s_waitcnt vmcnt(2)
	v_add_f64 v[4:5], v[20:21], -v[4:5]
	s_waitcnt vmcnt(0)
	v_add_f64 v[2:3], v[22:23], -v[2:3]
	buffer_store_dword v4, off, s[0:3], 0 offset:480
	buffer_store_dword v5, off, s[0:3], 0 offset:484
	;; [unrolled: 1-line block ×4, first 2 shown]
	s_and_saveexec_b64 s[4:5], vcc
	s_cbranch_execz .LBB95_149
; %bb.148:
	v_accvgpr_read_b32 v5, a59
	buffer_load_dword v2, v5, s[0:3], 0 offen
	buffer_load_dword v3, v5, s[0:3], 0 offen offset:4
	buffer_load_dword v4, v5, s[0:3], 0 offen offset:8
	s_nop 0
	buffer_load_dword v5, v5, s[0:3], 0 offen offset:12
	v_mov_b32_e32 v6, 0
	buffer_store_dword v6, off, s[0:3], 0 offset:464
	buffer_store_dword v6, off, s[0:3], 0 offset:468
	;; [unrolled: 1-line block ×4, first 2 shown]
	s_waitcnt vmcnt(4)
	ds_write_b128 v1, v[2:5]
.LBB95_149:
	s_or_b64 exec, exec, s[4:5]
	s_waitcnt lgkmcnt(0)
	; wave barrier
	s_waitcnt lgkmcnt(0)
	buffer_load_dword v16, off, s[0:3], 0 offset:488
	buffer_load_dword v17, off, s[0:3], 0 offset:492
	;; [unrolled: 1-line block ×16, first 2 shown]
	v_mov_b32_e32 v2, 0
	ds_read_b128 v[4:7], v2 offset:976
	ds_read_b128 v[8:11], v2 offset:992
	;; [unrolled: 1-line block ×3, first 2 shown]
	v_cmp_lt_u32_e32 vcc, 27, v0
	s_waitcnt vmcnt(14) lgkmcnt(2)
	v_mul_f64 v[32:33], v[4:5], v[16:17]
	v_mul_f64 v[16:17], v[6:7], v[16:17]
	s_waitcnt vmcnt(12) lgkmcnt(1)
	v_mul_f64 v[34:35], v[8:9], v[18:19]
	v_mul_f64 v[18:19], v[10:11], v[18:19]
	;; [unrolled: 3-line block ×3, first 2 shown]
	s_waitcnt vmcnt(8)
	v_fma_f64 v[4:5], v[4:5], v[22:23], -v[16:17]
	v_fmac_f64_e32 v[32:33], v[6:7], v[22:23]
	s_waitcnt vmcnt(6)
	v_fma_f64 v[6:7], v[8:9], v[24:25], -v[18:19]
	v_add_f64 v[4:5], v[4:5], 0
	v_fmac_f64_e32 v[34:35], v[10:11], v[24:25]
	s_waitcnt vmcnt(4)
	v_fma_f64 v[8:9], v[12:13], v[26:27], -v[20:21]
	v_add_f64 v[10:11], v[32:33], 0
	v_add_f64 v[4:5], v[4:5], v[6:7]
	v_fmac_f64_e32 v[36:37], v[14:15], v[26:27]
	v_add_f64 v[10:11], v[10:11], v[34:35]
	v_add_f64 v[4:5], v[4:5], v[8:9]
	;; [unrolled: 1-line block ×3, first 2 shown]
	s_waitcnt vmcnt(2)
	v_add_f64 v[4:5], v[28:29], -v[4:5]
	s_waitcnt vmcnt(0)
	v_add_f64 v[6:7], v[30:31], -v[6:7]
	buffer_store_dword v4, off, s[0:3], 0 offset:464
	buffer_store_dword v5, off, s[0:3], 0 offset:468
	;; [unrolled: 1-line block ×4, first 2 shown]
	s_and_saveexec_b64 s[4:5], vcc
	s_cbranch_execz .LBB95_151
; %bb.150:
	v_accvgpr_read_b32 v3, a60
	buffer_load_dword v4, v3, s[0:3], 0 offen
	buffer_load_dword v5, v3, s[0:3], 0 offen offset:4
	buffer_load_dword v6, v3, s[0:3], 0 offen offset:8
	;; [unrolled: 1-line block ×3, first 2 shown]
	s_nop 0
	buffer_store_dword v2, off, s[0:3], 0 offset:448
	buffer_store_dword v2, off, s[0:3], 0 offset:452
	;; [unrolled: 1-line block ×4, first 2 shown]
	s_waitcnt vmcnt(4)
	ds_write_b128 v1, v[4:7]
.LBB95_151:
	s_or_b64 exec, exec, s[4:5]
	s_waitcnt lgkmcnt(0)
	; wave barrier
	s_waitcnt lgkmcnt(0)
	buffer_load_dword v20, off, s[0:3], 0 offset:472
	buffer_load_dword v21, off, s[0:3], 0 offset:476
	;; [unrolled: 1-line block ×20, first 2 shown]
	ds_read_b128 v[4:7], v2 offset:960
	ds_read_b128 v[8:11], v2 offset:976
	ds_read_b128 v[12:15], v2 offset:992
	ds_read_b128 v[16:19], v2 offset:1008
	v_cmp_lt_u32_e32 vcc, 26, v0
	s_waitcnt vmcnt(18) lgkmcnt(3)
	v_mul_f64 v[2:3], v[4:5], v[20:21]
	v_mul_f64 v[20:21], v[6:7], v[20:21]
	s_waitcnt vmcnt(16) lgkmcnt(2)
	v_mul_f64 v[40:41], v[8:9], v[22:23]
	v_mul_f64 v[22:23], v[10:11], v[22:23]
	;; [unrolled: 3-line block ×4, first 2 shown]
	s_waitcnt vmcnt(10)
	v_fma_f64 v[4:5], v[4:5], v[28:29], -v[20:21]
	v_fmac_f64_e32 v[2:3], v[6:7], v[28:29]
	s_waitcnt vmcnt(8)
	v_fma_f64 v[6:7], v[8:9], v[30:31], -v[22:23]
	v_add_f64 v[4:5], v[4:5], 0
	v_fmac_f64_e32 v[40:41], v[10:11], v[30:31]
	s_waitcnt vmcnt(6)
	v_fma_f64 v[8:9], v[12:13], v[32:33], -v[24:25]
	v_add_f64 v[2:3], v[2:3], 0
	v_add_f64 v[4:5], v[4:5], v[6:7]
	v_fmac_f64_e32 v[46:47], v[14:15], v[32:33]
	s_waitcnt vmcnt(4)
	v_fma_f64 v[10:11], v[16:17], v[34:35], -v[26:27]
	v_add_f64 v[2:3], v[2:3], v[40:41]
	v_add_f64 v[4:5], v[4:5], v[8:9]
	v_fmac_f64_e32 v[48:49], v[18:19], v[34:35]
	v_add_f64 v[2:3], v[2:3], v[46:47]
	v_add_f64 v[4:5], v[4:5], v[10:11]
	;; [unrolled: 1-line block ×3, first 2 shown]
	s_waitcnt vmcnt(2)
	v_add_f64 v[4:5], v[36:37], -v[4:5]
	s_waitcnt vmcnt(0)
	v_add_f64 v[2:3], v[38:39], -v[2:3]
	buffer_store_dword v4, off, s[0:3], 0 offset:448
	buffer_store_dword v5, off, s[0:3], 0 offset:452
	buffer_store_dword v2, off, s[0:3], 0 offset:456
	buffer_store_dword v3, off, s[0:3], 0 offset:460
	s_and_saveexec_b64 s[4:5], vcc
	s_cbranch_execz .LBB95_153
; %bb.152:
	v_accvgpr_read_b32 v5, a61
	buffer_load_dword v2, v5, s[0:3], 0 offen
	buffer_load_dword v3, v5, s[0:3], 0 offen offset:4
	buffer_load_dword v4, v5, s[0:3], 0 offen offset:8
	s_nop 0
	buffer_load_dword v5, v5, s[0:3], 0 offen offset:12
	v_mov_b32_e32 v6, 0
	buffer_store_dword v6, off, s[0:3], 0 offset:432
	buffer_store_dword v6, off, s[0:3], 0 offset:436
	;; [unrolled: 1-line block ×4, first 2 shown]
	s_waitcnt vmcnt(4)
	ds_write_b128 v1, v[2:5]
.LBB95_153:
	s_or_b64 exec, exec, s[4:5]
	s_waitcnt lgkmcnt(0)
	; wave barrier
	s_waitcnt lgkmcnt(0)
	buffer_load_dword v24, off, s[0:3], 0 offset:456
	buffer_load_dword v25, off, s[0:3], 0 offset:460
	;; [unrolled: 1-line block ×24, first 2 shown]
	v_mov_b32_e32 v2, 0
	ds_read_b128 v[4:7], v2 offset:944
	ds_read_b128 v[8:11], v2 offset:960
	;; [unrolled: 1-line block ×5, first 2 shown]
	v_cmp_lt_u32_e32 vcc, 25, v0
	s_waitcnt vmcnt(22) lgkmcnt(4)
	v_mul_f64 v[52:53], v[4:5], v[24:25]
	v_mul_f64 v[24:25], v[6:7], v[24:25]
	s_waitcnt vmcnt(20) lgkmcnt(3)
	v_mul_f64 v[54:55], v[8:9], v[26:27]
	v_mul_f64 v[26:27], v[10:11], v[26:27]
	;; [unrolled: 3-line block ×4, first 2 shown]
	s_waitcnt vmcnt(13) lgkmcnt(0)
	v_mul_f64 v[60:61], v[20:21], v[30:31]
	s_waitcnt vmcnt(11)
	v_fma_f64 v[4:5], v[4:5], v[36:37], -v[24:25]
	v_fmac_f64_e32 v[52:53], v[6:7], v[36:37]
	s_waitcnt vmcnt(9)
	v_fma_f64 v[6:7], v[8:9], v[38:39], -v[26:27]
	v_add_f64 v[4:5], v[4:5], 0
	v_fmac_f64_e32 v[54:55], v[10:11], v[38:39]
	s_waitcnt vmcnt(7)
	v_fmac_f64_e32 v[56:57], v[14:15], v[40:41]
	v_fma_f64 v[8:9], v[12:13], v[40:41], -v[28:29]
	v_add_f64 v[14:15], v[52:53], 0
	v_add_f64 v[4:5], v[4:5], v[6:7]
	v_mul_f64 v[30:31], v[22:23], v[30:31]
	s_waitcnt vmcnt(5)
	v_fma_f64 v[10:11], v[16:17], v[46:47], -v[34:35]
	v_add_f64 v[14:15], v[14:15], v[54:55]
	v_add_f64 v[4:5], v[4:5], v[8:9]
	v_fmac_f64_e32 v[58:59], v[18:19], v[46:47]
	s_waitcnt vmcnt(4)
	v_fma_f64 v[12:13], v[20:21], v[32:33], -v[30:31]
	v_add_f64 v[6:7], v[14:15], v[56:57]
	v_add_f64 v[4:5], v[4:5], v[10:11]
	v_fmac_f64_e32 v[60:61], v[22:23], v[32:33]
	v_add_f64 v[6:7], v[6:7], v[58:59]
	v_add_f64 v[4:5], v[4:5], v[12:13]
	;; [unrolled: 1-line block ×3, first 2 shown]
	s_waitcnt vmcnt(2)
	v_add_f64 v[4:5], v[48:49], -v[4:5]
	s_waitcnt vmcnt(0)
	v_add_f64 v[6:7], v[50:51], -v[6:7]
	buffer_store_dword v5, off, s[0:3], 0 offset:436
	buffer_store_dword v4, off, s[0:3], 0 offset:432
	;; [unrolled: 1-line block ×4, first 2 shown]
	s_and_saveexec_b64 s[4:5], vcc
	s_cbranch_execz .LBB95_155
; %bb.154:
	v_accvgpr_read_b32 v3, a62
	buffer_load_dword v4, v3, s[0:3], 0 offen
	buffer_load_dword v5, v3, s[0:3], 0 offen offset:4
	buffer_load_dword v6, v3, s[0:3], 0 offen offset:8
	;; [unrolled: 1-line block ×3, first 2 shown]
	s_nop 0
	buffer_store_dword v2, off, s[0:3], 0 offset:416
	buffer_store_dword v2, off, s[0:3], 0 offset:420
	buffer_store_dword v2, off, s[0:3], 0 offset:424
	buffer_store_dword v2, off, s[0:3], 0 offset:428
	s_waitcnt vmcnt(4)
	ds_write_b128 v1, v[4:7]
.LBB95_155:
	s_or_b64 exec, exec, s[4:5]
	s_waitcnt lgkmcnt(0)
	; wave barrier
	s_waitcnt lgkmcnt(0)
	buffer_load_dword v28, off, s[0:3], 0 offset:440
	buffer_load_dword v29, off, s[0:3], 0 offset:444
	;; [unrolled: 1-line block ×28, first 2 shown]
	ds_read_b128 v[4:7], v2 offset:928
	ds_read_b128 v[8:11], v2 offset:944
	;; [unrolled: 1-line block ×6, first 2 shown]
	v_cmp_lt_u32_e32 vcc, 24, v0
	s_waitcnt vmcnt(26) lgkmcnt(5)
	v_mul_f64 v[2:3], v[4:5], v[28:29]
	v_mul_f64 v[28:29], v[6:7], v[28:29]
	s_waitcnt vmcnt(24) lgkmcnt(4)
	v_mul_f64 v[60:61], v[8:9], v[30:31]
	v_mul_f64 v[30:31], v[10:11], v[30:31]
	;; [unrolled: 3-line block ×4, first 2 shown]
	s_waitcnt vmcnt(17)
	v_mul_f64 v[64:65], v[16:17], v[38:39]
	v_mul_f64 v[38:39], v[18:19], v[38:39]
	s_waitcnt vmcnt(15) lgkmcnt(0)
	v_mul_f64 v[68:69], v[24:25], v[40:41]
	v_mul_f64 v[40:41], v[26:27], v[40:41]
	s_waitcnt vmcnt(14)
	v_fmac_f64_e32 v[66:67], v[22:23], v[36:37]
	s_waitcnt vmcnt(12)
	v_fma_f64 v[4:5], v[4:5], v[46:47], -v[28:29]
	v_fmac_f64_e32 v[2:3], v[6:7], v[46:47]
	s_waitcnt vmcnt(10)
	v_fma_f64 v[6:7], v[8:9], v[48:49], -v[30:31]
	v_add_f64 v[4:5], v[4:5], 0
	v_fmac_f64_e32 v[60:61], v[10:11], v[48:49]
	s_waitcnt vmcnt(8)
	v_fma_f64 v[8:9], v[12:13], v[50:51], -v[32:33]
	v_add_f64 v[2:3], v[2:3], 0
	v_add_f64 v[4:5], v[4:5], v[6:7]
	v_fmac_f64_e32 v[62:63], v[14:15], v[50:51]
	s_waitcnt vmcnt(6)
	v_fma_f64 v[10:11], v[16:17], v[52:53], -v[38:39]
	v_add_f64 v[2:3], v[2:3], v[60:61]
	v_add_f64 v[4:5], v[4:5], v[8:9]
	v_fmac_f64_e32 v[64:65], v[18:19], v[52:53]
	v_fma_f64 v[12:13], v[20:21], v[36:37], -v[34:35]
	v_add_f64 v[2:3], v[2:3], v[62:63]
	v_add_f64 v[4:5], v[4:5], v[10:11]
	s_waitcnt vmcnt(4)
	v_fma_f64 v[14:15], v[24:25], v[54:55], -v[40:41]
	v_add_f64 v[2:3], v[2:3], v[64:65]
	v_add_f64 v[4:5], v[4:5], v[12:13]
	v_fmac_f64_e32 v[68:69], v[26:27], v[54:55]
	v_add_f64 v[2:3], v[2:3], v[66:67]
	v_add_f64 v[4:5], v[4:5], v[14:15]
	v_add_f64 v[2:3], v[2:3], v[68:69]
	s_waitcnt vmcnt(2)
	v_add_f64 v[4:5], v[56:57], -v[4:5]
	s_waitcnt vmcnt(0)
	v_add_f64 v[2:3], v[58:59], -v[2:3]
	buffer_store_dword v5, off, s[0:3], 0 offset:420
	buffer_store_dword v4, off, s[0:3], 0 offset:416
	;; [unrolled: 1-line block ×4, first 2 shown]
	s_and_saveexec_b64 s[4:5], vcc
	s_cbranch_execz .LBB95_157
; %bb.156:
	v_accvgpr_read_b32 v5, a63
	buffer_load_dword v2, v5, s[0:3], 0 offen
	buffer_load_dword v3, v5, s[0:3], 0 offen offset:4
	buffer_load_dword v4, v5, s[0:3], 0 offen offset:8
	s_nop 0
	buffer_load_dword v5, v5, s[0:3], 0 offen offset:12
	v_mov_b32_e32 v6, 0
	buffer_store_dword v6, off, s[0:3], 0 offset:400
	buffer_store_dword v6, off, s[0:3], 0 offset:404
	buffer_store_dword v6, off, s[0:3], 0 offset:408
	buffer_store_dword v6, off, s[0:3], 0 offset:412
	s_waitcnt vmcnt(4)
	ds_write_b128 v1, v[2:5]
.LBB95_157:
	s_or_b64 exec, exec, s[4:5]
	v_mov_b32_e32 v6, 0
	s_waitcnt lgkmcnt(0)
	; wave barrier
	s_waitcnt lgkmcnt(0)
	ds_read_b128 v[8:11], v6 offset:912
	ds_read_b128 v[12:15], v6 offset:928
	;; [unrolled: 1-line block ×4, first 2 shown]
	buffer_load_dword v4, off, s[0:3], 0 offset:400
	buffer_load_dword v5, off, s[0:3], 0 offset:404
	;; [unrolled: 1-line block ×20, first 2 shown]
	v_cmp_lt_u32_e32 vcc, 23, v0
	s_waitcnt vmcnt(12) lgkmcnt(3)
	v_mul_f64 v[24:25], v[8:9], v[38:39]
	v_fmac_f64_e32 v[24:25], v[10:11], v[36:37]
	v_add_f64 v[24:25], v[24:25], 0
	v_mul_f64 v[10:11], v[10:11], v[38:39]
	s_waitcnt vmcnt(8) lgkmcnt(2)
	v_mul_f64 v[26:27], v[12:13], v[46:47]
	v_fmac_f64_e32 v[26:27], v[14:15], v[40:41]
	v_add_f64 v[24:25], v[24:25], v[26:27]
	v_fma_f64 v[8:9], v[8:9], v[36:37], -v[10:11]
	s_waitcnt vmcnt(4) lgkmcnt(1)
	v_mul_f64 v[26:27], v[16:17], v[50:51]
	v_fmac_f64_e32 v[26:27], v[18:19], v[48:49]
	v_add_f64 v[24:25], v[24:25], v[26:27]
	s_waitcnt vmcnt(0) lgkmcnt(0)
	v_mul_f64 v[26:27], v[20:21], v[54:55]
	v_fmac_f64_e32 v[26:27], v[22:23], v[52:53]
	v_add_f64 v[28:29], v[24:25], v[26:27]
	ds_read_b128 v[24:27], v6 offset:976
	buffer_load_dword v57, off, s[0:3], 0 offset:484
	buffer_load_dword v56, off, s[0:3], 0 offset:480
	;; [unrolled: 1-line block ×4, first 2 shown]
	v_mul_f64 v[10:11], v[14:15], v[46:47]
	v_add_f64 v[8:9], v[8:9], 0
	v_fma_f64 v[10:11], v[12:13], v[40:41], -v[10:11]
	v_add_f64 v[8:9], v[8:9], v[10:11]
	v_mul_f64 v[10:11], v[18:19], v[50:51]
	v_fma_f64 v[10:11], v[16:17], v[48:49], -v[10:11]
	v_add_f64 v[8:9], v[8:9], v[10:11]
	v_mul_f64 v[10:11], v[22:23], v[54:55]
	v_fma_f64 v[10:11], v[20:21], v[52:53], -v[10:11]
	v_add_f64 v[8:9], v[8:9], v[10:11]
	s_waitcnt vmcnt(0) lgkmcnt(0)
	v_mul_f64 v[30:31], v[24:25], v[58:59]
	v_fmac_f64_e32 v[30:31], v[26:27], v[56:57]
	v_add_f64 v[32:33], v[28:29], v[30:31]
	ds_read_b128 v[28:31], v6 offset:992
	buffer_load_dword v61, off, s[0:3], 0 offset:500
	buffer_load_dword v60, off, s[0:3], 0 offset:496
	;; [unrolled: 1-line block ×4, first 2 shown]
	v_mul_f64 v[10:11], v[26:27], v[58:59]
	v_fma_f64 v[10:11], v[24:25], v[56:57], -v[10:11]
	v_add_f64 v[8:9], v[8:9], v[10:11]
	s_waitcnt vmcnt(0) lgkmcnt(0)
	v_mul_f64 v[34:35], v[28:29], v[62:63]
	v_fmac_f64_e32 v[34:35], v[30:31], v[60:61]
	v_add_f64 v[64:65], v[32:33], v[34:35]
	ds_read_b128 v[32:35], v6 offset:1008
	buffer_load_dword v67, off, s[0:3], 0 offset:516
	buffer_load_dword v66, off, s[0:3], 0 offset:512
	;; [unrolled: 1-line block ×4, first 2 shown]
	v_mul_f64 v[10:11], v[30:31], v[62:63]
	v_fma_f64 v[10:11], v[28:29], v[60:61], -v[10:11]
	v_add_f64 v[8:9], v[8:9], v[10:11]
	s_waitcnt vmcnt(0) lgkmcnt(0)
	v_mul_f64 v[10:11], v[34:35], v[68:69]
	v_mul_f64 v[70:71], v[32:33], v[68:69]
	v_fma_f64 v[10:11], v[32:33], v[66:67], -v[10:11]
	v_fmac_f64_e32 v[70:71], v[34:35], v[66:67]
	v_add_f64 v[8:9], v[8:9], v[10:11]
	v_add_f64 v[64:65], v[64:65], v[70:71]
	v_add_f64 v[4:5], v[4:5], -v[8:9]
	v_add_f64 v[2:3], v[2:3], -v[64:65]
	buffer_store_dword v5, off, s[0:3], 0 offset:404
	buffer_store_dword v4, off, s[0:3], 0 offset:400
	;; [unrolled: 1-line block ×4, first 2 shown]
	s_and_saveexec_b64 s[4:5], vcc
	s_cbranch_execz .LBB95_159
; %bb.158:
	v_accvgpr_read_b32 v5, a64
	buffer_load_dword v2, v5, s[0:3], 0 offen
	buffer_load_dword v3, v5, s[0:3], 0 offen offset:4
	buffer_load_dword v4, v5, s[0:3], 0 offen offset:8
	s_nop 0
	buffer_load_dword v5, v5, s[0:3], 0 offen offset:12
	s_nop 0
	buffer_store_dword v6, off, s[0:3], 0 offset:384
	buffer_store_dword v6, off, s[0:3], 0 offset:388
	;; [unrolled: 1-line block ×4, first 2 shown]
	s_waitcnt vmcnt(4)
	ds_write_b128 v1, v[2:5]
.LBB95_159:
	s_or_b64 exec, exec, s[4:5]
	s_waitcnt lgkmcnt(0)
	; wave barrier
	s_waitcnt lgkmcnt(0)
	buffer_load_dword v36, off, s[0:3], 0 offset:408
	buffer_load_dword v37, off, s[0:3], 0 offset:412
	;; [unrolled: 1-line block ×36, first 2 shown]
	ds_read_b128 v[2:5], v6 offset:896
	ds_read_b128 v[8:11], v6 offset:912
	;; [unrolled: 1-line block ×8, first 2 shown]
	v_cmp_lt_u32_e32 vcc, 22, v0
	s_waitcnt vmcnt(34) lgkmcnt(7)
	v_mul_f64 v[6:7], v[2:3], v[36:37]
	v_mul_f64 v[36:37], v[4:5], v[36:37]
	s_waitcnt vmcnt(32) lgkmcnt(6)
	v_mul_f64 v[76:77], v[8:9], v[38:39]
	v_mul_f64 v[38:39], v[10:11], v[38:39]
	;; [unrolled: 3-line block ×4, first 2 shown]
	s_waitcnt vmcnt(25)
	v_mul_f64 v[80:81], v[16:17], v[50:51]
	v_mul_f64 v[50:51], v[18:19], v[50:51]
	s_waitcnt vmcnt(23) lgkmcnt(1)
	v_mul_f64 v[106:107], v[28:29], v[52:53]
	v_mul_f64 v[52:53], v[30:31], v[52:53]
	s_waitcnt vmcnt(20)
	v_mul_f64 v[84:85], v[24:25], v[56:57]
	v_mul_f64 v[56:57], v[26:27], v[56:57]
	s_waitcnt vmcnt(18) lgkmcnt(0)
	v_mul_f64 v[108:109], v[32:33], v[58:59]
	s_waitcnt vmcnt(17)
	v_fmac_f64_e32 v[82:83], v[22:23], v[48:49]
	s_waitcnt vmcnt(16)
	v_fmac_f64_e32 v[106:107], v[30:31], v[54:55]
	s_waitcnt vmcnt(14)
	v_fma_f64 v[2:3], v[2:3], v[60:61], -v[36:37]
	v_fmac_f64_e32 v[6:7], v[4:5], v[60:61]
	s_waitcnt vmcnt(12)
	v_fma_f64 v[4:5], v[8:9], v[62:63], -v[38:39]
	v_add_f64 v[2:3], v[2:3], 0
	v_fmac_f64_e32 v[76:77], v[10:11], v[62:63]
	s_waitcnt vmcnt(10)
	v_fma_f64 v[8:9], v[12:13], v[64:65], -v[40:41]
	v_add_f64 v[6:7], v[6:7], 0
	v_add_f64 v[2:3], v[2:3], v[4:5]
	v_fmac_f64_e32 v[78:79], v[14:15], v[64:65]
	s_waitcnt vmcnt(8)
	v_fma_f64 v[10:11], v[16:17], v[66:67], -v[50:51]
	v_add_f64 v[6:7], v[6:7], v[76:77]
	v_add_f64 v[2:3], v[2:3], v[8:9]
	v_fmac_f64_e32 v[80:81], v[18:19], v[66:67]
	v_fma_f64 v[12:13], v[20:21], v[48:49], -v[46:47]
	v_add_f64 v[4:5], v[6:7], v[78:79]
	v_add_f64 v[2:3], v[2:3], v[10:11]
	s_waitcnt vmcnt(6)
	v_fma_f64 v[14:15], v[24:25], v[68:69], -v[56:57]
	v_add_f64 v[4:5], v[4:5], v[80:81]
	v_add_f64 v[2:3], v[2:3], v[12:13]
	v_fmac_f64_e32 v[84:85], v[26:27], v[68:69]
	v_fma_f64 v[16:17], v[28:29], v[54:55], -v[52:53]
	v_add_f64 v[4:5], v[4:5], v[82:83]
	v_add_f64 v[2:3], v[2:3], v[14:15]
	v_mul_f64 v[6:7], v[34:35], v[58:59]
	v_add_f64 v[4:5], v[4:5], v[84:85]
	v_add_f64 v[2:3], v[2:3], v[16:17]
	s_waitcnt vmcnt(4)
	v_fma_f64 v[6:7], v[32:33], v[70:71], -v[6:7]
	v_fmac_f64_e32 v[108:109], v[34:35], v[70:71]
	v_add_f64 v[4:5], v[4:5], v[106:107]
	v_add_f64 v[2:3], v[2:3], v[6:7]
	;; [unrolled: 1-line block ×3, first 2 shown]
	s_waitcnt vmcnt(2)
	v_add_f64 v[2:3], v[72:73], -v[2:3]
	s_waitcnt vmcnt(0)
	v_add_f64 v[4:5], v[74:75], -v[4:5]
	buffer_store_dword v3, off, s[0:3], 0 offset:388
	buffer_store_dword v2, off, s[0:3], 0 offset:384
	;; [unrolled: 1-line block ×4, first 2 shown]
	s_and_saveexec_b64 s[4:5], vcc
	s_cbranch_execz .LBB95_161
; %bb.160:
	v_accvgpr_read_b32 v5, a65
	buffer_load_dword v2, v5, s[0:3], 0 offen
	buffer_load_dword v3, v5, s[0:3], 0 offen offset:4
	buffer_load_dword v4, v5, s[0:3], 0 offen offset:8
	s_nop 0
	buffer_load_dword v5, v5, s[0:3], 0 offen offset:12
	v_mov_b32_e32 v6, 0
	buffer_store_dword v6, off, s[0:3], 0 offset:368
	buffer_store_dword v6, off, s[0:3], 0 offset:372
	;; [unrolled: 1-line block ×4, first 2 shown]
	s_waitcnt vmcnt(4)
	ds_write_b128 v1, v[2:5]
.LBB95_161:
	s_or_b64 exec, exec, s[4:5]
	s_waitcnt lgkmcnt(0)
	; wave barrier
	s_waitcnt lgkmcnt(0)
	buffer_load_dword v40, off, s[0:3], 0 offset:392
	buffer_load_dword v41, off, s[0:3], 0 offset:396
	buffer_load_dword v46, off, s[0:3], 0 offset:408
	buffer_load_dword v47, off, s[0:3], 0 offset:412
	buffer_load_dword v48, off, s[0:3], 0 offset:424
	buffer_load_dword v49, off, s[0:3], 0 offset:428
	buffer_load_dword v51, off, s[0:3], 0 offset:460
	buffer_load_dword v50, off, s[0:3], 0 offset:456
	buffer_load_dword v53, off, s[0:3], 0 offset:452
	buffer_load_dword v52, off, s[0:3], 0 offset:448
	buffer_load_dword v55, off, s[0:3], 0 offset:444
	buffer_load_dword v54, off, s[0:3], 0 offset:440
	buffer_load_dword v57, off, s[0:3], 0 offset:492
	buffer_load_dword v56, off, s[0:3], 0 offset:488
	buffer_load_dword v59, off, s[0:3], 0 offset:484
	buffer_load_dword v58, off, s[0:3], 0 offset:480
	buffer_load_dword v61, off, s[0:3], 0 offset:476
	buffer_load_dword v60, off, s[0:3], 0 offset:472
	buffer_load_dword v62, off, s[0:3], 0 offset:520
	buffer_load_dword v64, off, s[0:3], 0 offset:512
	buffer_load_dword v67, off, s[0:3], 0 offset:508
	buffer_load_dword v66, off, s[0:3], 0 offset:504
	buffer_load_dword v63, off, s[0:3], 0 offset:524
	buffer_load_dword v68, off, s[0:3], 0 offset:384
	buffer_load_dword v69, off, s[0:3], 0 offset:388
	buffer_load_dword v70, off, s[0:3], 0 offset:400
	buffer_load_dword v71, off, s[0:3], 0 offset:404
	buffer_load_dword v72, off, s[0:3], 0 offset:416
	buffer_load_dword v73, off, s[0:3], 0 offset:420
	buffer_load_dword v75, off, s[0:3], 0 offset:436
	buffer_load_dword v74, off, s[0:3], 0 offset:432
	buffer_load_dword v77, off, s[0:3], 0 offset:468
	buffer_load_dword v76, off, s[0:3], 0 offset:464
	buffer_load_dword v79, off, s[0:3], 0 offset:500
	buffer_load_dword v78, off, s[0:3], 0 offset:496
	buffer_load_dword v65, off, s[0:3], 0 offset:516
	buffer_load_dword v80, off, s[0:3], 0 offset:368
	buffer_load_dword v81, off, s[0:3], 0 offset:372
	buffer_load_dword v82, off, s[0:3], 0 offset:376
	buffer_load_dword v83, off, s[0:3], 0 offset:380
	v_mov_b32_e32 v6, 0
	ds_read_b128 v[2:5], v6 offset:880
	ds_read_b128 v[8:11], v6 offset:896
	;; [unrolled: 1-line block ×9, first 2 shown]
	v_cmp_lt_u32_e32 vcc, 21, v0
	s_waitcnt vmcnt(38) lgkmcnt(8)
	v_mul_f64 v[84:85], v[2:3], v[40:41]
	v_mul_f64 v[40:41], v[4:5], v[40:41]
	s_waitcnt vmcnt(36) lgkmcnt(7)
	v_mul_f64 v[106:107], v[8:9], v[46:47]
	v_mul_f64 v[46:47], v[10:11], v[46:47]
	s_waitcnt vmcnt(34) lgkmcnt(6)
	v_mul_f64 v[108:109], v[12:13], v[48:49]
	v_mul_f64 v[48:49], v[14:15], v[48:49]
	s_waitcnt vmcnt(32) lgkmcnt(4)
	v_mul_f64 v[112:113], v[20:21], v[50:51]
	s_waitcnt vmcnt(30)
	v_fmac_f64_e32 v[112:113], v[22:23], v[52:53]
	s_waitcnt vmcnt(28)
	v_mul_f64 v[110:111], v[16:17], v[54:55]
	v_mul_f64 v[54:55], v[18:19], v[54:55]
	s_waitcnt vmcnt(26) lgkmcnt(2)
	v_mul_f64 v[116:117], v[28:29], v[56:57]
	s_waitcnt vmcnt(24)
	v_fmac_f64_e32 v[116:117], v[30:31], v[58:59]
	s_waitcnt vmcnt(22)
	v_mul_f64 v[114:115], v[24:25], v[60:61]
	s_waitcnt vmcnt(18) lgkmcnt(1)
	v_mul_f64 v[118:119], v[32:33], v[66:67]
	s_waitcnt vmcnt(17) lgkmcnt(0)
	v_mul_f64 v[120:121], v[36:37], v[62:63]
	s_waitcnt vmcnt(15)
	v_fma_f64 v[2:3], v[2:3], v[68:69], -v[40:41]
	v_fmac_f64_e32 v[84:85], v[4:5], v[68:69]
	s_waitcnt vmcnt(13)
	v_fma_f64 v[4:5], v[8:9], v[70:71], -v[46:47]
	v_add_f64 v[2:3], v[2:3], 0
	s_waitcnt vmcnt(11)
	v_fma_f64 v[8:9], v[12:13], v[72:73], -v[48:49]
	v_add_f64 v[2:3], v[2:3], v[4:5]
	v_fmac_f64_e32 v[106:107], v[10:11], v[70:71]
	s_waitcnt vmcnt(9)
	v_fma_f64 v[10:11], v[16:17], v[74:75], -v[54:55]
	v_add_f64 v[2:3], v[2:3], v[8:9]
	v_mul_f64 v[8:9], v[22:23], v[50:51]
	v_add_f64 v[2:3], v[2:3], v[10:11]
	v_fma_f64 v[8:9], v[20:21], v[52:53], -v[8:9]
	v_add_f64 v[2:3], v[2:3], v[8:9]
	v_mul_f64 v[8:9], v[26:27], v[60:61]
	v_add_f64 v[12:13], v[84:85], 0
	s_waitcnt vmcnt(7)
	v_fma_f64 v[8:9], v[24:25], v[76:77], -v[8:9]
	v_fmac_f64_e32 v[108:109], v[14:15], v[72:73]
	v_add_f64 v[12:13], v[12:13], v[106:107]
	v_add_f64 v[2:3], v[2:3], v[8:9]
	v_mul_f64 v[8:9], v[30:31], v[56:57]
	v_fmac_f64_e32 v[110:111], v[18:19], v[74:75]
	v_add_f64 v[4:5], v[12:13], v[108:109]
	v_fma_f64 v[8:9], v[28:29], v[58:59], -v[8:9]
	v_add_f64 v[4:5], v[4:5], v[110:111]
	v_add_f64 v[2:3], v[2:3], v[8:9]
	v_mul_f64 v[8:9], v[34:35], v[66:67]
	v_fmac_f64_e32 v[114:115], v[26:27], v[76:77]
	v_add_f64 v[4:5], v[4:5], v[112:113]
	s_waitcnt vmcnt(5)
	v_fma_f64 v[8:9], v[32:33], v[78:79], -v[8:9]
	v_add_f64 v[4:5], v[4:5], v[114:115]
	v_add_f64 v[2:3], v[2:3], v[8:9]
	v_mul_f64 v[8:9], v[38:39], v[62:63]
	v_fmac_f64_e32 v[118:119], v[34:35], v[78:79]
	v_add_f64 v[4:5], v[4:5], v[116:117]
	s_waitcnt vmcnt(4)
	v_fma_f64 v[8:9], v[36:37], v[64:65], -v[8:9]
	v_fmac_f64_e32 v[120:121], v[38:39], v[64:65]
	v_add_f64 v[4:5], v[4:5], v[118:119]
	v_add_f64 v[2:3], v[2:3], v[8:9]
	;; [unrolled: 1-line block ×3, first 2 shown]
	s_waitcnt vmcnt(2)
	v_add_f64 v[2:3], v[80:81], -v[2:3]
	s_waitcnt vmcnt(0)
	v_add_f64 v[4:5], v[82:83], -v[4:5]
	buffer_store_dword v3, off, s[0:3], 0 offset:372
	buffer_store_dword v2, off, s[0:3], 0 offset:368
	;; [unrolled: 1-line block ×4, first 2 shown]
	s_and_saveexec_b64 s[4:5], vcc
	s_cbranch_execz .LBB95_163
; %bb.162:
	v_accvgpr_read_b32 v5, a66
	buffer_load_dword v2, v5, s[0:3], 0 offen
	buffer_load_dword v3, v5, s[0:3], 0 offen offset:4
	buffer_load_dword v4, v5, s[0:3], 0 offen offset:8
	s_nop 0
	buffer_load_dword v5, v5, s[0:3], 0 offen offset:12
	s_nop 0
	buffer_store_dword v6, off, s[0:3], 0 offset:352
	buffer_store_dword v6, off, s[0:3], 0 offset:356
	;; [unrolled: 1-line block ×4, first 2 shown]
	s_waitcnt vmcnt(4)
	ds_write_b128 v1, v[2:5]
.LBB95_163:
	s_or_b64 exec, exec, s[4:5]
	s_waitcnt lgkmcnt(0)
	; wave barrier
	s_waitcnt lgkmcnt(0)
	buffer_load_dword v4, off, s[0:3], 0 offset:368
	buffer_load_dword v5, off, s[0:3], 0 offset:372
	;; [unrolled: 1-line block ×44, first 2 shown]
	ds_read_b128 v[8:11], v6 offset:864
	ds_read_b128 v[12:15], v6 offset:880
	;; [unrolled: 1-line block ×10, first 2 shown]
	v_cmp_lt_u32_e32 vcc, 20, v0
	s_waitcnt vmcnt(40) lgkmcnt(9)
	v_mul_f64 v[6:7], v[8:9], v[40:41]
	v_mul_f64 v[40:41], v[10:11], v[40:41]
	s_waitcnt vmcnt(38) lgkmcnt(8)
	v_mul_f64 v[84:85], v[12:13], v[46:47]
	v_mul_f64 v[46:47], v[14:15], v[46:47]
	v_fmac_f64_e32 v[6:7], v[10:11], v[4:5]
	v_fma_f64 v[4:5], v[8:9], v[4:5], -v[40:41]
	s_waitcnt vmcnt(36) lgkmcnt(7)
	v_mul_f64 v[114:115], v[16:17], v[2:3]
	v_add_f64 v[4:5], v[4:5], 0
	v_mul_f64 v[2:3], v[18:19], v[2:3]
	v_add_f64 v[6:7], v[6:7], 0
	s_waitcnt vmcnt(30) lgkmcnt(6)
	v_mul_f64 v[116:117], v[20:21], v[52:53]
	s_waitcnt lgkmcnt(5)
	v_mul_f64 v[118:119], v[24:25], v[48:49]
	v_fmac_f64_e32 v[118:119], v[26:27], v[50:51]
	s_waitcnt vmcnt(28) lgkmcnt(3)
	v_mul_f64 v[122:123], v[32:33], v[54:55]
	s_waitcnt vmcnt(26)
	v_fmac_f64_e32 v[122:123], v[34:35], v[56:57]
	s_waitcnt vmcnt(24)
	v_mul_f64 v[120:121], v[28:29], v[58:59]
	s_waitcnt vmcnt(22) lgkmcnt(1)
	v_mul_f64 v[126:127], v[106:107], v[60:61]
	s_waitcnt vmcnt(20)
	v_fmac_f64_e32 v[126:127], v[108:109], v[62:63]
	s_waitcnt vmcnt(18)
	v_mul_f64 v[124:125], v[36:37], v[64:65]
	s_waitcnt vmcnt(16) lgkmcnt(0)
	v_mul_f64 v[128:129], v[110:111], v[66:67]
	s_waitcnt vmcnt(14)
	v_fma_f64 v[8:9], v[12:13], v[68:69], -v[46:47]
	v_add_f64 v[4:5], v[4:5], v[8:9]
	s_waitcnt vmcnt(12)
	v_fma_f64 v[2:3], v[16:17], v[70:71], -v[2:3]
	v_add_f64 v[2:3], v[4:5], v[2:3]
	v_mul_f64 v[4:5], v[22:23], v[52:53]
	s_waitcnt vmcnt(10)
	v_fma_f64 v[4:5], v[20:21], v[72:73], -v[4:5]
	v_add_f64 v[2:3], v[2:3], v[4:5]
	v_mul_f64 v[4:5], v[26:27], v[48:49]
	v_fma_f64 v[4:5], v[24:25], v[50:51], -v[4:5]
	v_add_f64 v[2:3], v[2:3], v[4:5]
	v_mul_f64 v[4:5], v[30:31], v[58:59]
	s_waitcnt vmcnt(8)
	v_fma_f64 v[4:5], v[28:29], v[74:75], -v[4:5]
	v_fmac_f64_e32 v[84:85], v[14:15], v[68:69]
	v_add_f64 v[2:3], v[2:3], v[4:5]
	v_mul_f64 v[4:5], v[34:35], v[54:55]
	v_fmac_f64_e32 v[114:115], v[18:19], v[70:71]
	v_add_f64 v[6:7], v[6:7], v[84:85]
	v_fma_f64 v[4:5], v[32:33], v[56:57], -v[4:5]
	v_fmac_f64_e32 v[116:117], v[22:23], v[72:73]
	v_add_f64 v[6:7], v[6:7], v[114:115]
	v_add_f64 v[2:3], v[2:3], v[4:5]
	v_mul_f64 v[4:5], v[38:39], v[64:65]
	v_add_f64 v[6:7], v[6:7], v[116:117]
	s_waitcnt vmcnt(6)
	v_fma_f64 v[4:5], v[36:37], v[76:77], -v[4:5]
	v_fmac_f64_e32 v[120:121], v[30:31], v[74:75]
	v_add_f64 v[6:7], v[6:7], v[118:119]
	v_add_f64 v[2:3], v[2:3], v[4:5]
	v_mul_f64 v[4:5], v[108:109], v[60:61]
	v_add_f64 v[6:7], v[6:7], v[120:121]
	v_fma_f64 v[4:5], v[106:107], v[62:63], -v[4:5]
	v_fmac_f64_e32 v[124:125], v[38:39], v[76:77]
	v_add_f64 v[6:7], v[6:7], v[122:123]
	v_add_f64 v[2:3], v[2:3], v[4:5]
	v_mul_f64 v[4:5], v[112:113], v[66:67]
	v_add_f64 v[6:7], v[6:7], v[124:125]
	s_waitcnt vmcnt(4)
	v_fma_f64 v[4:5], v[110:111], v[78:79], -v[4:5]
	v_fmac_f64_e32 v[128:129], v[112:113], v[78:79]
	v_add_f64 v[6:7], v[6:7], v[126:127]
	v_add_f64 v[2:3], v[2:3], v[4:5]
	;; [unrolled: 1-line block ×3, first 2 shown]
	s_waitcnt vmcnt(2)
	v_add_f64 v[2:3], v[80:81], -v[2:3]
	s_waitcnt vmcnt(0)
	v_add_f64 v[4:5], v[82:83], -v[6:7]
	buffer_store_dword v3, off, s[0:3], 0 offset:356
	buffer_store_dword v2, off, s[0:3], 0 offset:352
	;; [unrolled: 1-line block ×4, first 2 shown]
	s_and_saveexec_b64 s[4:5], vcc
	s_cbranch_execz .LBB95_165
; %bb.164:
	v_accvgpr_read_b32 v5, a67
	buffer_load_dword v2, v5, s[0:3], 0 offen
	buffer_load_dword v3, v5, s[0:3], 0 offen offset:4
	buffer_load_dword v4, v5, s[0:3], 0 offen offset:8
	s_nop 0
	buffer_load_dword v5, v5, s[0:3], 0 offen offset:12
	v_mov_b32_e32 v6, 0
	buffer_store_dword v6, off, s[0:3], 0 offset:336
	buffer_store_dword v6, off, s[0:3], 0 offset:340
	;; [unrolled: 1-line block ×4, first 2 shown]
	s_waitcnt vmcnt(4)
	ds_write_b128 v1, v[2:5]
.LBB95_165:
	s_or_b64 exec, exec, s[4:5]
	s_waitcnt lgkmcnt(0)
	; wave barrier
	s_waitcnt lgkmcnt(0)
	buffer_load_dword v2, off, s[0:3], 0 offset:352
	buffer_load_dword v3, off, s[0:3], 0 offset:356
	;; [unrolled: 1-line block ×48, first 2 shown]
	v_mov_b32_e32 v12, 0
	ds_read_b128 v[14:17], v12 offset:848
	ds_read_b128 v[18:21], v12 offset:864
	;; [unrolled: 1-line block ×11, first 2 shown]
	v_cmp_lt_u32_e32 vcc, 19, v0
	s_waitcnt vmcnt(44) lgkmcnt(10)
	v_mul_f64 v[84:85], v[14:15], v[6:7]
	v_mul_f64 v[6:7], v[16:17], v[6:7]
	v_fmac_f64_e32 v[84:85], v[16:17], v[2:3]
	v_fma_f64 v[2:3], v[14:15], v[2:3], -v[6:7]
	s_waitcnt vmcnt(40) lgkmcnt(9)
	v_mul_f64 v[122:123], v[18:19], v[8:9]
	v_mul_f64 v[6:7], v[20:21], v[8:9]
	v_fmac_f64_e32 v[122:123], v[20:21], v[4:5]
	v_add_f64 v[2:3], v[2:3], 0
	v_fma_f64 v[4:5], v[18:19], v[4:5], -v[6:7]
	v_add_f64 v[2:3], v[2:3], v[4:5]
	s_waitcnt vmcnt(38) lgkmcnt(8)
	v_mul_f64 v[4:5], v[24:25], v[10:11]
	v_mul_f64 v[124:125], v[22:23], v[10:11]
	v_add_f64 v[84:85], v[84:85], 0
	s_waitcnt vmcnt(32) lgkmcnt(7)
	v_mul_f64 v[126:127], v[26:27], v[50:51]
	v_add_f64 v[84:85], v[84:85], v[122:123]
	s_waitcnt lgkmcnt(6)
	v_mul_f64 v[128:129], v[30:31], v[46:47]
	v_fmac_f64_e32 v[128:129], v[32:33], v[48:49]
	s_waitcnt vmcnt(30) lgkmcnt(4)
	v_mul_f64 v[132:133], v[38:39], v[52:53]
	s_waitcnt vmcnt(26)
	v_mul_f64 v[130:131], v[34:35], v[56:57]
	v_fmac_f64_e32 v[132:133], v[40:41], v[54:55]
	s_waitcnt vmcnt(24) lgkmcnt(2)
	v_mul_f64 v[136:137], v[110:111], v[58:59]
	s_waitcnt vmcnt(22)
	v_fmac_f64_e32 v[136:137], v[112:113], v[60:61]
	s_waitcnt vmcnt(20)
	v_mul_f64 v[134:135], v[106:107], v[62:63]
	s_waitcnt vmcnt(16) lgkmcnt(1)
	v_mul_f64 v[138:139], v[114:115], v[68:69]
	s_waitcnt vmcnt(14)
	v_fma_f64 v[4:5], v[22:23], v[70:71], -v[4:5]
	v_add_f64 v[2:3], v[2:3], v[4:5]
	v_mul_f64 v[4:5], v[28:29], v[50:51]
	s_waitcnt vmcnt(12)
	v_fma_f64 v[4:5], v[26:27], v[72:73], -v[4:5]
	v_add_f64 v[2:3], v[2:3], v[4:5]
	v_mul_f64 v[4:5], v[32:33], v[46:47]
	v_fma_f64 v[4:5], v[30:31], v[48:49], -v[4:5]
	v_add_f64 v[2:3], v[2:3], v[4:5]
	v_mul_f64 v[4:5], v[36:37], v[56:57]
	s_waitcnt vmcnt(10)
	v_fma_f64 v[4:5], v[34:35], v[74:75], -v[4:5]
	v_add_f64 v[2:3], v[2:3], v[4:5]
	v_mul_f64 v[4:5], v[40:41], v[52:53]
	v_fma_f64 v[4:5], v[38:39], v[54:55], -v[4:5]
	v_fmac_f64_e32 v[124:125], v[24:25], v[70:71]
	v_add_f64 v[2:3], v[2:3], v[4:5]
	v_mul_f64 v[4:5], v[108:109], v[62:63]
	v_fmac_f64_e32 v[126:127], v[28:29], v[72:73]
	v_add_f64 v[84:85], v[84:85], v[124:125]
	s_waitcnt vmcnt(8)
	v_fma_f64 v[4:5], v[106:107], v[76:77], -v[4:5]
	v_add_f64 v[84:85], v[84:85], v[126:127]
	v_add_f64 v[2:3], v[2:3], v[4:5]
	v_mul_f64 v[4:5], v[112:113], v[58:59]
	v_fmac_f64_e32 v[130:131], v[36:37], v[74:75]
	v_add_f64 v[84:85], v[84:85], v[128:129]
	v_fma_f64 v[4:5], v[110:111], v[60:61], -v[4:5]
	v_add_f64 v[84:85], v[84:85], v[130:131]
	v_add_f64 v[2:3], v[2:3], v[4:5]
	v_mul_f64 v[4:5], v[116:117], v[68:69]
	v_fmac_f64_e32 v[134:135], v[108:109], v[76:77]
	v_add_f64 v[84:85], v[84:85], v[132:133]
	s_waitcnt vmcnt(6)
	v_fma_f64 v[4:5], v[114:115], v[78:79], -v[4:5]
	v_add_f64 v[84:85], v[84:85], v[134:135]
	v_add_f64 v[2:3], v[2:3], v[4:5]
	s_waitcnt vmcnt(5) lgkmcnt(0)
	v_mul_f64 v[4:5], v[120:121], v[64:65]
	v_fmac_f64_e32 v[138:139], v[116:117], v[78:79]
	v_add_f64 v[84:85], v[84:85], v[136:137]
	v_mul_f64 v[122:123], v[118:119], v[64:65]
	s_waitcnt vmcnt(4)
	v_fma_f64 v[4:5], v[118:119], v[66:67], -v[4:5]
	v_add_f64 v[84:85], v[84:85], v[138:139]
	v_fmac_f64_e32 v[122:123], v[120:121], v[66:67]
	v_add_f64 v[2:3], v[2:3], v[4:5]
	v_add_f64 v[84:85], v[84:85], v[122:123]
	s_waitcnt vmcnt(2)
	v_add_f64 v[2:3], v[80:81], -v[2:3]
	s_waitcnt vmcnt(0)
	v_add_f64 v[4:5], v[82:83], -v[84:85]
	buffer_store_dword v3, off, s[0:3], 0 offset:340
	buffer_store_dword v2, off, s[0:3], 0 offset:336
	buffer_store_dword v5, off, s[0:3], 0 offset:348
	buffer_store_dword v4, off, s[0:3], 0 offset:344
	s_and_saveexec_b64 s[4:5], vcc
	s_cbranch_execz .LBB95_167
; %bb.166:
	v_accvgpr_read_b32 v5, a68
	buffer_load_dword v2, v5, s[0:3], 0 offen
	buffer_load_dword v3, v5, s[0:3], 0 offen offset:4
	buffer_load_dword v4, v5, s[0:3], 0 offen offset:8
	s_nop 0
	buffer_load_dword v5, v5, s[0:3], 0 offen offset:12
	s_nop 0
	buffer_store_dword v12, off, s[0:3], 0 offset:320
	buffer_store_dword v12, off, s[0:3], 0 offset:324
	;; [unrolled: 1-line block ×4, first 2 shown]
	s_waitcnt vmcnt(4)
	ds_write_b128 v1, v[2:5]
.LBB95_167:
	s_or_b64 exec, exec, s[4:5]
	s_waitcnt lgkmcnt(0)
	; wave barrier
	s_waitcnt lgkmcnt(0)
	buffer_load_dword v2, off, s[0:3], 0 offset:336
	buffer_load_dword v3, off, s[0:3], 0 offset:340
	;; [unrolled: 1-line block ×52, first 2 shown]
	ds_read_b128 v[14:17], v12 offset:832
	ds_read_b128 v[18:21], v12 offset:848
	;; [unrolled: 1-line block ×10, first 2 shown]
	v_cmp_lt_u32_e32 vcc, 18, v0
	s_waitcnt vmcnt(48) lgkmcnt(9)
	v_mul_f64 v[118:119], v[14:15], v[6:7]
	v_mul_f64 v[6:7], v[16:17], v[6:7]
	v_fmac_f64_e32 v[118:119], v[16:17], v[2:3]
	v_fma_f64 v[2:3], v[14:15], v[2:3], -v[6:7]
	s_waitcnt vmcnt(44) lgkmcnt(8)
	v_mul_f64 v[120:121], v[18:19], v[8:9]
	v_mul_f64 v[6:7], v[20:21], v[8:9]
	v_fmac_f64_e32 v[120:121], v[20:21], v[4:5]
	v_add_f64 v[2:3], v[2:3], 0
	v_fma_f64 v[4:5], v[18:19], v[4:5], -v[6:7]
	v_add_f64 v[2:3], v[2:3], v[4:5]
	s_waitcnt vmcnt(42) lgkmcnt(7)
	v_mul_f64 v[4:5], v[24:25], v[10:11]
	v_mul_f64 v[122:123], v[22:23], v[10:11]
	v_add_f64 v[118:119], v[118:119], 0
	s_waitcnt vmcnt(36) lgkmcnt(6)
	v_mul_f64 v[124:125], v[26:27], v[50:51]
	v_add_f64 v[118:119], v[118:119], v[120:121]
	s_waitcnt lgkmcnt(5)
	v_mul_f64 v[128:129], v[30:31], v[46:47]
	v_fmac_f64_e32 v[128:129], v[32:33], v[48:49]
	s_waitcnt vmcnt(34) lgkmcnt(3)
	v_mul_f64 v[132:133], v[38:39], v[52:53]
	s_waitcnt vmcnt(30)
	v_mul_f64 v[130:131], v[34:35], v[56:57]
	v_fmac_f64_e32 v[132:133], v[40:41], v[54:55]
	s_waitcnt vmcnt(26) lgkmcnt(2)
	v_mul_f64 v[134:135], v[106:107], v[62:63]
	s_waitcnt vmcnt(25) lgkmcnt(1)
	v_mul_f64 v[136:137], v[110:111], v[58:59]
	s_waitcnt vmcnt(23)
	v_fma_f64 v[4:5], v[22:23], v[64:65], -v[4:5]
	v_add_f64 v[2:3], v[2:3], v[4:5]
	v_mul_f64 v[4:5], v[28:29], v[50:51]
	s_waitcnt vmcnt(21)
	v_fma_f64 v[4:5], v[26:27], v[66:67], -v[4:5]
	v_fmac_f64_e32 v[122:123], v[24:25], v[64:65]
	v_add_f64 v[2:3], v[2:3], v[4:5]
	v_mul_f64 v[4:5], v[32:33], v[46:47]
	v_fmac_f64_e32 v[124:125], v[28:29], v[66:67]
	v_add_f64 v[118:119], v[118:119], v[122:123]
	v_fma_f64 v[4:5], v[30:31], v[48:49], -v[4:5]
	v_add_f64 v[118:119], v[118:119], v[124:125]
	v_add_f64 v[2:3], v[2:3], v[4:5]
	v_mul_f64 v[4:5], v[36:37], v[56:57]
	s_waitcnt vmcnt(19)
	v_fmac_f64_e32 v[130:131], v[36:37], v[68:69]
	v_add_f64 v[118:119], v[118:119], v[128:129]
	v_fma_f64 v[4:5], v[34:35], v[68:69], -v[4:5]
	v_add_f64 v[118:119], v[118:119], v[130:131]
	v_add_f64 v[2:3], v[2:3], v[4:5]
	v_mul_f64 v[4:5], v[40:41], v[52:53]
	s_waitcnt vmcnt(17)
	v_fmac_f64_e32 v[134:135], v[108:109], v[70:71]
	v_add_f64 v[118:119], v[118:119], v[132:133]
	v_fma_f64 v[4:5], v[38:39], v[54:55], -v[4:5]
	s_waitcnt vmcnt(16)
	v_fmac_f64_e32 v[136:137], v[112:113], v[60:61]
	v_add_f64 v[118:119], v[118:119], v[134:135]
	v_add_f64 v[2:3], v[2:3], v[4:5]
	v_mul_f64 v[4:5], v[108:109], v[62:63]
	v_add_f64 v[128:129], v[118:119], v[136:137]
	ds_read_b128 v[118:121], v12 offset:992
	ds_read_b128 v[122:125], v12 offset:1008
	v_fma_f64 v[4:5], v[106:107], v[70:71], -v[4:5]
	v_add_f64 v[2:3], v[2:3], v[4:5]
	v_mul_f64 v[4:5], v[112:113], v[58:59]
	v_fma_f64 v[4:5], v[110:111], v[60:61], -v[4:5]
	v_add_f64 v[2:3], v[2:3], v[4:5]
	s_waitcnt vmcnt(12) lgkmcnt(2)
	v_mul_f64 v[4:5], v[116:117], v[76:77]
	v_mul_f64 v[130:131], v[114:115], v[76:77]
	s_waitcnt vmcnt(10)
	v_fma_f64 v[4:5], v[114:115], v[78:79], -v[4:5]
	v_fmac_f64_e32 v[130:131], v[116:117], v[78:79]
	v_add_f64 v[2:3], v[2:3], v[4:5]
	s_waitcnt vmcnt(8) lgkmcnt(1)
	v_mul_f64 v[4:5], v[120:121], v[72:73]
	v_add_f64 v[12:13], v[128:129], v[130:131]
	v_mul_f64 v[128:129], v[118:119], v[72:73]
	v_fma_f64 v[4:5], v[118:119], v[74:75], -v[4:5]
	v_fmac_f64_e32 v[128:129], v[120:121], v[74:75]
	v_add_f64 v[2:3], v[2:3], v[4:5]
	s_waitcnt vmcnt(6) lgkmcnt(0)
	v_mul_f64 v[4:5], v[124:125], v[80:81]
	v_add_f64 v[12:13], v[12:13], v[128:129]
	v_mul_f64 v[128:129], v[122:123], v[80:81]
	s_waitcnt vmcnt(4)
	v_fma_f64 v[4:5], v[122:123], v[82:83], -v[4:5]
	v_fmac_f64_e32 v[128:129], v[124:125], v[82:83]
	v_add_f64 v[2:3], v[2:3], v[4:5]
	v_add_f64 v[12:13], v[12:13], v[128:129]
	s_waitcnt vmcnt(2)
	v_add_f64 v[2:3], v[84:85], -v[2:3]
	s_waitcnt vmcnt(0)
	v_add_f64 v[4:5], v[126:127], -v[12:13]
	buffer_store_dword v3, off, s[0:3], 0 offset:324
	buffer_store_dword v2, off, s[0:3], 0 offset:320
	;; [unrolled: 1-line block ×4, first 2 shown]
	s_and_saveexec_b64 s[4:5], vcc
	s_cbranch_execz .LBB95_169
; %bb.168:
	v_accvgpr_read_b32 v5, a69
	buffer_load_dword v2, v5, s[0:3], 0 offen
	buffer_load_dword v3, v5, s[0:3], 0 offen offset:4
	buffer_load_dword v4, v5, s[0:3], 0 offen offset:8
	s_nop 0
	buffer_load_dword v5, v5, s[0:3], 0 offen offset:12
	v_mov_b32_e32 v6, 0
	buffer_store_dword v6, off, s[0:3], 0 offset:304
	buffer_store_dword v6, off, s[0:3], 0 offset:308
	;; [unrolled: 1-line block ×4, first 2 shown]
	s_waitcnt vmcnt(4)
	ds_write_b128 v1, v[2:5]
.LBB95_169:
	s_or_b64 exec, exec, s[4:5]
	s_waitcnt lgkmcnt(0)
	; wave barrier
	s_waitcnt lgkmcnt(0)
	buffer_load_dword v2, off, s[0:3], 0 offset:320
	buffer_load_dword v3, off, s[0:3], 0 offset:324
	buffer_load_dword v6, off, s[0:3], 0 offset:328
	buffer_load_dword v7, off, s[0:3], 0 offset:332
	buffer_load_dword v4, off, s[0:3], 0 offset:336
	buffer_load_dword v5, off, s[0:3], 0 offset:340
	buffer_load_dword v8, off, s[0:3], 0 offset:344
	buffer_load_dword v9, off, s[0:3], 0 offset:348
	buffer_load_dword v10, off, s[0:3], 0 offset:360
	buffer_load_dword v11, off, s[0:3], 0 offset:364
	buffer_load_dword v13, off, s[0:3], 0 offset:396
	buffer_load_dword v12, off, s[0:3], 0 offset:392
	buffer_load_dword v15, off, s[0:3], 0 offset:388
	buffer_load_dword v14, off, s[0:3], 0 offset:384
	buffer_load_dword v17, off, s[0:3], 0 offset:380
	buffer_load_dword v16, off, s[0:3], 0 offset:376
	buffer_load_dword v22, off, s[0:3], 0 offset:424
	buffer_load_dword v46, off, s[0:3], 0 offset:416
	buffer_load_dword v49, off, s[0:3], 0 offset:412
	buffer_load_dword v48, off, s[0:3], 0 offset:408
	buffer_load_dword v23, off, s[0:3], 0 offset:428
	buffer_load_dword v50, off, s[0:3], 0 offset:352
	buffer_load_dword v51, off, s[0:3], 0 offset:356
	buffer_load_dword v53, off, s[0:3], 0 offset:372
	buffer_load_dword v52, off, s[0:3], 0 offset:368
	buffer_load_dword v55, off, s[0:3], 0 offset:404
	buffer_load_dword v54, off, s[0:3], 0 offset:400
	buffer_load_dword v47, off, s[0:3], 0 offset:420
	buffer_load_dword v56, off, s[0:3], 0 offset:456
	buffer_load_dword v58, off, s[0:3], 0 offset:448
	buffer_load_dword v61, off, s[0:3], 0 offset:444
	buffer_load_dword v60, off, s[0:3], 0 offset:440
	buffer_load_dword v63, off, s[0:3], 0 offset:436
	buffer_load_dword v62, off, s[0:3], 0 offset:432
	buffer_load_dword v59, off, s[0:3], 0 offset:452
	buffer_load_dword v57, off, s[0:3], 0 offset:460
	buffer_load_dword v64, off, s[0:3], 0 offset:488
	buffer_load_dword v66, off, s[0:3], 0 offset:480
	buffer_load_dword v69, off, s[0:3], 0 offset:476
	buffer_load_dword v68, off, s[0:3], 0 offset:472
	buffer_load_dword v71, off, s[0:3], 0 offset:468
	buffer_load_dword v70, off, s[0:3], 0 offset:464
	buffer_load_dword v67, off, s[0:3], 0 offset:484
	buffer_load_dword v65, off, s[0:3], 0 offset:492
	buffer_load_dword v72, off, s[0:3], 0 offset:520
	buffer_load_dword v74, off, s[0:3], 0 offset:512
	buffer_load_dword v77, off, s[0:3], 0 offset:508
	buffer_load_dword v76, off, s[0:3], 0 offset:504
	buffer_load_dword v79, off, s[0:3], 0 offset:500
	buffer_load_dword v78, off, s[0:3], 0 offset:496
	buffer_load_dword v73, off, s[0:3], 0 offset:524
	buffer_load_dword v75, off, s[0:3], 0 offset:516
	buffer_load_dword v80, off, s[0:3], 0 offset:304
	buffer_load_dword v81, off, s[0:3], 0 offset:308
	buffer_load_dword v82, off, s[0:3], 0 offset:312
	buffer_load_dword v83, off, s[0:3], 0 offset:316
	v_mov_b32_e32 v24, 0
	ds_read_b128 v[18:21], v24 offset:816
	ds_read_b128 v[26:29], v24 offset:832
	;; [unrolled: 1-line block ×9, first 2 shown]
	v_cmp_lt_u32_e32 vcc, 17, v0
	s_waitcnt vmcnt(52) lgkmcnt(8)
	v_mul_f64 v[84:85], v[18:19], v[6:7]
	v_mul_f64 v[6:7], v[20:21], v[6:7]
	v_fmac_f64_e32 v[84:85], v[20:21], v[2:3]
	v_fma_f64 v[2:3], v[18:19], v[2:3], -v[6:7]
	s_waitcnt vmcnt(48) lgkmcnt(7)
	v_mul_f64 v[118:119], v[26:27], v[8:9]
	v_mul_f64 v[6:7], v[28:29], v[8:9]
	s_waitcnt vmcnt(46) lgkmcnt(6)
	v_mul_f64 v[120:121], v[30:31], v[10:11]
	v_fmac_f64_e32 v[118:119], v[28:29], v[4:5]
	v_add_f64 v[84:85], v[84:85], 0
	v_add_f64 v[2:3], v[2:3], 0
	v_fma_f64 v[4:5], v[26:27], v[4:5], -v[6:7]
	v_add_f64 v[84:85], v[84:85], v[118:119]
	s_waitcnt vmcnt(40) lgkmcnt(5)
	v_mul_f64 v[122:123], v[34:35], v[16:17]
	v_add_f64 v[2:3], v[2:3], v[4:5]
	v_mul_f64 v[4:5], v[32:33], v[10:11]
	s_waitcnt lgkmcnt(4)
	v_mul_f64 v[124:125], v[38:39], v[12:13]
	s_waitcnt vmcnt(36) lgkmcnt(3)
	v_mul_f64 v[126:127], v[106:107], v[48:49]
	v_fmac_f64_e32 v[124:125], v[40:41], v[14:15]
	s_waitcnt vmcnt(35) lgkmcnt(2)
	v_mul_f64 v[128:129], v[110:111], v[22:23]
	s_waitcnt vmcnt(33)
	v_fmac_f64_e32 v[120:121], v[32:33], v[50:51]
	v_add_f64 v[84:85], v[84:85], v[120:121]
	s_waitcnt vmcnt(31)
	v_fmac_f64_e32 v[122:123], v[36:37], v[52:53]
	v_fma_f64 v[4:5], v[30:31], v[50:51], -v[4:5]
	v_add_f64 v[84:85], v[84:85], v[122:123]
	v_add_f64 v[2:3], v[2:3], v[4:5]
	v_mul_f64 v[4:5], v[36:37], v[16:17]
	s_waitcnt vmcnt(29)
	v_fmac_f64_e32 v[126:127], v[108:109], v[54:55]
	v_add_f64 v[84:85], v[84:85], v[124:125]
	v_fma_f64 v[4:5], v[34:35], v[52:53], -v[4:5]
	s_waitcnt vmcnt(28)
	v_fmac_f64_e32 v[128:129], v[112:113], v[46:47]
	v_add_f64 v[84:85], v[84:85], v[126:127]
	ds_read_b128 v[118:121], v24 offset:944
	s_waitcnt vmcnt(24) lgkmcnt(2)
	v_mul_f64 v[122:123], v[114:115], v[60:61]
	v_add_f64 v[2:3], v[2:3], v[4:5]
	v_mul_f64 v[4:5], v[40:41], v[12:13]
	v_add_f64 v[84:85], v[84:85], v[128:129]
	s_waitcnt vmcnt(22)
	v_fmac_f64_e32 v[122:123], v[116:117], v[62:63]
	v_fma_f64 v[4:5], v[38:39], v[14:15], -v[4:5]
	v_add_f64 v[84:85], v[84:85], v[122:123]
	ds_read_b128 v[122:125], v24 offset:960
	v_add_f64 v[2:3], v[2:3], v[4:5]
	v_mul_f64 v[4:5], v[108:109], v[48:49]
	v_fma_f64 v[4:5], v[106:107], v[54:55], -v[4:5]
	v_add_f64 v[2:3], v[2:3], v[4:5]
	v_mul_f64 v[4:5], v[112:113], v[22:23]
	s_waitcnt vmcnt(20) lgkmcnt(1)
	v_mul_f64 v[126:127], v[118:119], v[56:57]
	v_fma_f64 v[4:5], v[110:111], v[46:47], -v[4:5]
	v_fmac_f64_e32 v[126:127], v[120:121], v[58:59]
	v_add_f64 v[2:3], v[2:3], v[4:5]
	v_mul_f64 v[4:5], v[116:117], v[60:61]
	v_add_f64 v[84:85], v[84:85], v[126:127]
	ds_read_b128 v[126:129], v24 offset:976
	s_waitcnt vmcnt(16) lgkmcnt(1)
	v_mul_f64 v[130:131], v[122:123], v[68:69]
	v_fma_f64 v[4:5], v[114:115], v[62:63], -v[4:5]
	s_waitcnt vmcnt(14)
	v_fmac_f64_e32 v[130:131], v[124:125], v[70:71]
	v_add_f64 v[2:3], v[2:3], v[4:5]
	v_mul_f64 v[4:5], v[120:121], v[56:57]
	v_add_f64 v[84:85], v[84:85], v[130:131]
	ds_read_b128 v[130:133], v24 offset:992
	v_fma_f64 v[4:5], v[118:119], v[58:59], -v[4:5]
	v_add_f64 v[2:3], v[2:3], v[4:5]
	v_mul_f64 v[4:5], v[124:125], v[68:69]
	v_fma_f64 v[4:5], v[122:123], v[70:71], -v[4:5]
	v_add_f64 v[2:3], v[2:3], v[4:5]
	s_waitcnt vmcnt(12) lgkmcnt(1)
	v_mul_f64 v[4:5], v[128:129], v[64:65]
	v_mul_f64 v[138:139], v[126:127], v[64:65]
	v_fma_f64 v[4:5], v[126:127], v[66:67], -v[4:5]
	v_fmac_f64_e32 v[138:139], v[128:129], v[66:67]
	v_add_f64 v[2:3], v[2:3], v[4:5]
	s_waitcnt vmcnt(8) lgkmcnt(0)
	v_mul_f64 v[4:5], v[132:133], v[76:77]
	v_add_f64 v[84:85], v[84:85], v[138:139]
	v_mul_f64 v[138:139], v[130:131], v[76:77]
	s_waitcnt vmcnt(6)
	v_fma_f64 v[4:5], v[130:131], v[78:79], -v[4:5]
	v_fmac_f64_e32 v[138:139], v[132:133], v[78:79]
	v_add_f64 v[2:3], v[2:3], v[4:5]
	s_waitcnt vmcnt(5)
	v_mul_f64 v[4:5], v[136:137], v[72:73]
	v_add_f64 v[84:85], v[84:85], v[138:139]
	v_mul_f64 v[138:139], v[134:135], v[72:73]
	s_waitcnt vmcnt(4)
	v_fma_f64 v[4:5], v[134:135], v[74:75], -v[4:5]
	v_fmac_f64_e32 v[138:139], v[136:137], v[74:75]
	v_add_f64 v[2:3], v[2:3], v[4:5]
	v_add_f64 v[84:85], v[84:85], v[138:139]
	s_waitcnt vmcnt(2)
	v_add_f64 v[2:3], v[80:81], -v[2:3]
	s_waitcnt vmcnt(0)
	v_add_f64 v[4:5], v[82:83], -v[84:85]
	buffer_store_dword v3, off, s[0:3], 0 offset:308
	buffer_store_dword v2, off, s[0:3], 0 offset:304
	;; [unrolled: 1-line block ×4, first 2 shown]
	s_and_saveexec_b64 s[4:5], vcc
	s_cbranch_execz .LBB95_171
; %bb.170:
	v_accvgpr_read_b32 v5, a70
	buffer_load_dword v2, v5, s[0:3], 0 offen
	buffer_load_dword v3, v5, s[0:3], 0 offen offset:4
	buffer_load_dword v4, v5, s[0:3], 0 offen offset:8
	s_nop 0
	buffer_load_dword v5, v5, s[0:3], 0 offen offset:12
	s_nop 0
	buffer_store_dword v24, off, s[0:3], 0 offset:288
	buffer_store_dword v24, off, s[0:3], 0 offset:292
	;; [unrolled: 1-line block ×4, first 2 shown]
	s_waitcnt vmcnt(4)
	ds_write_b128 v1, v[2:5]
.LBB95_171:
	s_or_b64 exec, exec, s[4:5]
	s_waitcnt lgkmcnt(0)
	; wave barrier
	s_waitcnt lgkmcnt(0)
	buffer_load_dword v2, off, s[0:3], 0 offset:304
	buffer_load_dword v3, off, s[0:3], 0 offset:308
	buffer_load_dword v6, off, s[0:3], 0 offset:312
	buffer_load_dword v7, off, s[0:3], 0 offset:316
	buffer_load_dword v4, off, s[0:3], 0 offset:320
	buffer_load_dword v5, off, s[0:3], 0 offset:324
	buffer_load_dword v8, off, s[0:3], 0 offset:328
	buffer_load_dword v9, off, s[0:3], 0 offset:332
	buffer_load_dword v10, off, s[0:3], 0 offset:344
	buffer_load_dword v11, off, s[0:3], 0 offset:348
	buffer_load_dword v13, off, s[0:3], 0 offset:380
	buffer_load_dword v12, off, s[0:3], 0 offset:376
	buffer_load_dword v15, off, s[0:3], 0 offset:372
	buffer_load_dword v14, off, s[0:3], 0 offset:368
	buffer_load_dword v17, off, s[0:3], 0 offset:364
	buffer_load_dword v16, off, s[0:3], 0 offset:360
	buffer_load_dword v18, off, s[0:3], 0 offset:408
	buffer_load_dword v20, off, s[0:3], 0 offset:400
	buffer_load_dword v23, off, s[0:3], 0 offset:396
	buffer_load_dword v22, off, s[0:3], 0 offset:392
	buffer_load_dword v46, off, s[0:3], 0 offset:336
	buffer_load_dword v47, off, s[0:3], 0 offset:340
	buffer_load_dword v49, off, s[0:3], 0 offset:356
	buffer_load_dword v48, off, s[0:3], 0 offset:352
	buffer_load_dword v51, off, s[0:3], 0 offset:388
	buffer_load_dword v50, off, s[0:3], 0 offset:384
	buffer_load_dword v21, off, s[0:3], 0 offset:404
	buffer_load_dword v19, off, s[0:3], 0 offset:412
	buffer_load_dword v52, off, s[0:3], 0 offset:440
	buffer_load_dword v54, off, s[0:3], 0 offset:432
	buffer_load_dword v57, off, s[0:3], 0 offset:428
	buffer_load_dword v56, off, s[0:3], 0 offset:424
	buffer_load_dword v59, off, s[0:3], 0 offset:420
	buffer_load_dword v58, off, s[0:3], 0 offset:416
	buffer_load_dword v55, off, s[0:3], 0 offset:436
	buffer_load_dword v53, off, s[0:3], 0 offset:444
	buffer_load_dword v60, off, s[0:3], 0 offset:472
	buffer_load_dword v62, off, s[0:3], 0 offset:464
	buffer_load_dword v65, off, s[0:3], 0 offset:460
	buffer_load_dword v64, off, s[0:3], 0 offset:456
	buffer_load_dword v67, off, s[0:3], 0 offset:452
	buffer_load_dword v66, off, s[0:3], 0 offset:448
	buffer_load_dword v63, off, s[0:3], 0 offset:468
	buffer_load_dword v61, off, s[0:3], 0 offset:476
	buffer_load_dword v68, off, s[0:3], 0 offset:504
	buffer_load_dword v70, off, s[0:3], 0 offset:496
	buffer_load_dword v73, off, s[0:3], 0 offset:492
	buffer_load_dword v72, off, s[0:3], 0 offset:488
	buffer_load_dword v75, off, s[0:3], 0 offset:484
	buffer_load_dword v74, off, s[0:3], 0 offset:480
	buffer_load_dword v71, off, s[0:3], 0 offset:500
	buffer_load_dword v69, off, s[0:3], 0 offset:508
	buffer_load_dword v77, off, s[0:3], 0 offset:524
	buffer_load_dword v76, off, s[0:3], 0 offset:520
	buffer_load_dword v79, off, s[0:3], 0 offset:516
	buffer_load_dword v78, off, s[0:3], 0 offset:512
	buffer_load_dword v80, off, s[0:3], 0 offset:288
	buffer_load_dword v81, off, s[0:3], 0 offset:292
	buffer_load_dword v82, off, s[0:3], 0 offset:296
	buffer_load_dword v83, off, s[0:3], 0 offset:300
	ds_read_b128 v[26:29], v24 offset:800
	ds_read_b128 v[30:33], v24 offset:816
	;; [unrolled: 1-line block ×8, first 2 shown]
	v_cmp_lt_u32_e32 vcc, 16, v0
	ds_read_b128 v[142:145], v24 offset:1008
	s_waitcnt vmcnt(56) lgkmcnt(8)
	v_mul_f64 v[84:85], v[26:27], v[6:7]
	v_fmac_f64_e32 v[84:85], v[28:29], v[2:3]
	v_add_f64 v[84:85], v[84:85], 0
	v_mul_f64 v[6:7], v[28:29], v[6:7]
	s_waitcnt vmcnt(52) lgkmcnt(7)
	v_mul_f64 v[122:123], v[30:31], v[8:9]
	v_fmac_f64_e32 v[122:123], v[32:33], v[4:5]
	s_waitcnt vmcnt(50) lgkmcnt(6)
	v_mul_f64 v[124:125], v[34:35], v[10:11]
	v_add_f64 v[84:85], v[84:85], v[122:123]
	s_waitcnt vmcnt(48) lgkmcnt(4)
	v_mul_f64 v[128:129], v[106:107], v[12:13]
	v_fma_f64 v[2:3], v[26:27], v[2:3], -v[6:7]
	s_waitcnt vmcnt(46)
	v_fmac_f64_e32 v[128:129], v[108:109], v[14:15]
	v_mul_f64 v[6:7], v[32:33], v[8:9]
	s_waitcnt vmcnt(44)
	v_mul_f64 v[126:127], v[38:39], v[16:17]
	v_add_f64 v[2:3], v[2:3], 0
	v_fma_f64 v[4:5], v[30:31], v[4:5], -v[6:7]
	v_add_f64 v[2:3], v[2:3], v[4:5]
	s_waitcnt vmcnt(40) lgkmcnt(3)
	v_mul_f64 v[130:131], v[110:111], v[22:23]
	v_mul_f64 v[4:5], v[36:37], v[10:11]
	s_waitcnt vmcnt(38)
	v_fmac_f64_e32 v[124:125], v[36:37], v[46:47]
	v_add_f64 v[84:85], v[84:85], v[124:125]
	s_waitcnt vmcnt(36)
	v_fmac_f64_e32 v[126:127], v[40:41], v[48:49]
	v_add_f64 v[84:85], v[84:85], v[126:127]
	;; [unrolled: 3-line block ×3, first 2 shown]
	s_waitcnt vmcnt(32) lgkmcnt(2)
	v_mul_f64 v[122:123], v[114:115], v[18:19]
	v_add_f64 v[84:85], v[84:85], v[130:131]
	v_fmac_f64_e32 v[122:123], v[116:117], v[20:21]
	v_add_f64 v[84:85], v[84:85], v[122:123]
	ds_read_b128 v[122:125], v24 offset:928
	v_fma_f64 v[4:5], v[34:35], v[46:47], -v[4:5]
	v_add_f64 v[2:3], v[2:3], v[4:5]
	v_mul_f64 v[4:5], v[40:41], v[16:17]
	v_fma_f64 v[4:5], v[38:39], v[48:49], -v[4:5]
	s_waitcnt vmcnt(28) lgkmcnt(2)
	v_mul_f64 v[126:127], v[118:119], v[56:57]
	v_add_f64 v[2:3], v[2:3], v[4:5]
	v_mul_f64 v[4:5], v[108:109], v[12:13]
	s_waitcnt vmcnt(26)
	v_fmac_f64_e32 v[126:127], v[120:121], v[58:59]
	v_fma_f64 v[4:5], v[106:107], v[14:15], -v[4:5]
	v_add_f64 v[84:85], v[84:85], v[126:127]
	ds_read_b128 v[126:129], v24 offset:944
	s_waitcnt vmcnt(24) lgkmcnt(1)
	v_mul_f64 v[130:131], v[122:123], v[52:53]
	v_add_f64 v[2:3], v[2:3], v[4:5]
	v_mul_f64 v[4:5], v[112:113], v[22:23]
	v_fmac_f64_e32 v[130:131], v[124:125], v[54:55]
	v_fma_f64 v[4:5], v[110:111], v[50:51], -v[4:5]
	v_add_f64 v[84:85], v[84:85], v[130:131]
	ds_read_b128 v[130:133], v24 offset:960
	v_add_f64 v[2:3], v[2:3], v[4:5]
	v_mul_f64 v[4:5], v[116:117], v[18:19]
	v_fma_f64 v[4:5], v[114:115], v[20:21], -v[4:5]
	v_add_f64 v[2:3], v[2:3], v[4:5]
	v_mul_f64 v[4:5], v[120:121], v[56:57]
	s_waitcnt vmcnt(20) lgkmcnt(1)
	v_mul_f64 v[134:135], v[126:127], v[64:65]
	v_fma_f64 v[4:5], v[118:119], v[58:59], -v[4:5]
	s_waitcnt vmcnt(18)
	v_fmac_f64_e32 v[134:135], v[128:129], v[66:67]
	v_add_f64 v[2:3], v[2:3], v[4:5]
	v_mul_f64 v[4:5], v[124:125], v[52:53]
	v_add_f64 v[84:85], v[84:85], v[134:135]
	ds_read_b128 v[134:137], v24 offset:976
	s_waitcnt vmcnt(16) lgkmcnt(1)
	v_mul_f64 v[138:139], v[130:131], v[60:61]
	v_fma_f64 v[4:5], v[122:123], v[54:55], -v[4:5]
	v_fmac_f64_e32 v[138:139], v[132:133], v[62:63]
	v_add_f64 v[2:3], v[2:3], v[4:5]
	v_mul_f64 v[4:5], v[128:129], v[64:65]
	v_add_f64 v[84:85], v[84:85], v[138:139]
	ds_read_b128 v[138:141], v24 offset:992
	v_fma_f64 v[4:5], v[126:127], v[66:67], -v[4:5]
	v_add_f64 v[2:3], v[2:3], v[4:5]
	v_mul_f64 v[4:5], v[132:133], v[60:61]
	v_fma_f64 v[4:5], v[130:131], v[62:63], -v[4:5]
	v_add_f64 v[2:3], v[2:3], v[4:5]
	s_waitcnt vmcnt(12) lgkmcnt(1)
	v_mul_f64 v[4:5], v[136:137], v[72:73]
	v_mul_f64 v[146:147], v[134:135], v[72:73]
	s_waitcnt vmcnt(10)
	v_fma_f64 v[4:5], v[134:135], v[74:75], -v[4:5]
	v_fmac_f64_e32 v[146:147], v[136:137], v[74:75]
	v_add_f64 v[2:3], v[2:3], v[4:5]
	s_waitcnt vmcnt(8) lgkmcnt(0)
	v_mul_f64 v[4:5], v[140:141], v[68:69]
	v_add_f64 v[24:25], v[84:85], v[146:147]
	v_mul_f64 v[84:85], v[138:139], v[68:69]
	v_fma_f64 v[4:5], v[138:139], v[70:71], -v[4:5]
	v_fmac_f64_e32 v[84:85], v[140:141], v[70:71]
	v_add_f64 v[2:3], v[2:3], v[4:5]
	s_waitcnt vmcnt(6)
	v_mul_f64 v[4:5], v[144:145], v[76:77]
	v_add_f64 v[24:25], v[24:25], v[84:85]
	v_mul_f64 v[84:85], v[142:143], v[76:77]
	s_waitcnt vmcnt(4)
	v_fma_f64 v[4:5], v[142:143], v[78:79], -v[4:5]
	v_fmac_f64_e32 v[84:85], v[144:145], v[78:79]
	v_add_f64 v[2:3], v[2:3], v[4:5]
	v_add_f64 v[24:25], v[24:25], v[84:85]
	s_waitcnt vmcnt(2)
	v_add_f64 v[2:3], v[80:81], -v[2:3]
	s_waitcnt vmcnt(0)
	v_add_f64 v[4:5], v[82:83], -v[24:25]
	buffer_store_dword v3, off, s[0:3], 0 offset:292
	buffer_store_dword v2, off, s[0:3], 0 offset:288
	;; [unrolled: 1-line block ×4, first 2 shown]
	s_and_saveexec_b64 s[4:5], vcc
	s_cbranch_execz .LBB95_173
; %bb.172:
	v_accvgpr_read_b32 v5, a71
	buffer_load_dword v2, v5, s[0:3], 0 offen
	buffer_load_dword v3, v5, s[0:3], 0 offen offset:4
	buffer_load_dword v4, v5, s[0:3], 0 offen offset:8
	s_nop 0
	buffer_load_dword v5, v5, s[0:3], 0 offen offset:12
	v_mov_b32_e32 v6, 0
	buffer_store_dword v6, off, s[0:3], 0 offset:272
	buffer_store_dword v6, off, s[0:3], 0 offset:276
	;; [unrolled: 1-line block ×4, first 2 shown]
	s_waitcnt vmcnt(4)
	ds_write_b128 v1, v[2:5]
.LBB95_173:
	s_or_b64 exec, exec, s[4:5]
	s_waitcnt lgkmcnt(0)
	; wave barrier
	s_waitcnt lgkmcnt(0)
	buffer_load_dword v2, off, s[0:3], 0 offset:288
	buffer_load_dword v3, off, s[0:3], 0 offset:292
	;; [unrolled: 1-line block ×64, first 2 shown]
	v_mov_b32_e32 v38, 0
	ds_read_b128 v[30:33], v38 offset:784
	ds_read_b128 v[34:37], v38 offset:800
	;; [unrolled: 1-line block ×13, first 2 shown]
	v_cmp_lt_u32_e32 vcc, 15, v0
	ds_read_b128 v[126:129], v38 offset:896
	s_waitcnt vmcnt(60) lgkmcnt(13)
	v_mul_f64 v[80:81], v[30:31], v[6:7]
	v_mul_f64 v[6:7], v[32:33], v[6:7]
	v_fmac_f64_e32 v[80:81], v[32:33], v[2:3]
	v_fma_f64 v[2:3], v[30:31], v[2:3], -v[6:7]
	s_waitcnt vmcnt(56) lgkmcnt(12)
	v_mul_f64 v[82:83], v[34:35], v[8:9]
	v_mul_f64 v[6:7], v[36:37], v[8:9]
	s_waitcnt vmcnt(54) lgkmcnt(11)
	v_mul_f64 v[84:85], v[106:107], v[10:11]
	v_fmac_f64_e32 v[82:83], v[36:37], v[4:5]
	v_add_f64 v[80:81], v[80:81], 0
	v_add_f64 v[2:3], v[2:3], 0
	v_fma_f64 v[4:5], v[34:35], v[4:5], -v[6:7]
	s_waitcnt vmcnt(50) lgkmcnt(10)
	v_mul_f64 v[122:123], v[110:111], v[16:17]
	v_add_f64 v[80:81], v[80:81], v[82:83]
	s_waitcnt vmcnt(47)
	v_fmac_f64_e32 v[84:85], v[108:109], v[20:21]
	v_add_f64 v[2:3], v[2:3], v[4:5]
	v_mul_f64 v[4:5], v[108:109], v[10:11]
	s_waitcnt lgkmcnt(9)
	v_mul_f64 v[124:125], v[114:115], v[12:13]
	s_waitcnt vmcnt(45)
	v_fmac_f64_e32 v[122:123], v[112:113], v[18:19]
	v_add_f64 v[80:81], v[80:81], v[84:85]
	v_fma_f64 v[4:5], v[106:107], v[20:21], -v[4:5]
	v_add_f64 v[80:81], v[80:81], v[122:123]
	s_waitcnt vmcnt(44)
	v_fmac_f64_e32 v[124:125], v[116:117], v[14:15]
	v_add_f64 v[2:3], v[2:3], v[4:5]
	v_mul_f64 v[4:5], v[112:113], v[16:17]
	v_add_f64 v[80:81], v[80:81], v[124:125]
	ds_read_b128 v[122:125], v38 offset:880
	v_fma_f64 v[4:5], v[110:111], v[18:19], -v[4:5]
	v_add_f64 v[2:3], v[2:3], v[4:5]
	v_mul_f64 v[4:5], v[116:117], v[12:13]
	v_fma_f64 v[4:5], v[114:115], v[14:15], -v[4:5]
	v_add_f64 v[2:3], v[2:3], v[4:5]
	s_waitcnt vmcnt(40) lgkmcnt(9)
	v_mul_f64 v[4:5], v[120:121], v[26:27]
	v_mul_f64 v[82:83], v[118:119], v[26:27]
	s_waitcnt vmcnt(38)
	v_fma_f64 v[4:5], v[118:119], v[28:29], -v[4:5]
	v_fmac_f64_e32 v[82:83], v[120:121], v[28:29]
	v_add_f64 v[2:3], v[2:3], v[4:5]
	s_waitcnt vmcnt(36) lgkmcnt(0)
	v_mul_f64 v[4:5], v[124:125], v[22:23]
	v_add_f64 v[80:81], v[80:81], v[82:83]
	v_mul_f64 v[82:83], v[122:123], v[22:23]
	v_fma_f64 v[4:5], v[122:123], v[24:25], -v[4:5]
	v_fmac_f64_e32 v[82:83], v[124:125], v[24:25]
	v_add_f64 v[2:3], v[2:3], v[4:5]
	s_waitcnt vmcnt(32)
	v_mul_f64 v[4:5], v[128:129], v[48:49]
	v_add_f64 v[80:81], v[80:81], v[82:83]
	v_mul_f64 v[82:83], v[126:127], v[48:49]
	s_waitcnt vmcnt(30)
	v_fma_f64 v[4:5], v[126:127], v[50:51], -v[4:5]
	v_fmac_f64_e32 v[82:83], v[128:129], v[50:51]
	v_add_f64 v[2:3], v[2:3], v[4:5]
	s_waitcnt vmcnt(28)
	v_mul_f64 v[4:5], v[132:133], v[40:41]
	v_add_f64 v[80:81], v[80:81], v[82:83]
	v_mul_f64 v[82:83], v[130:131], v[40:41]
	v_fma_f64 v[4:5], v[130:131], v[46:47], -v[4:5]
	v_fmac_f64_e32 v[82:83], v[132:133], v[46:47]
	v_add_f64 v[2:3], v[2:3], v[4:5]
	s_waitcnt vmcnt(24)
	v_mul_f64 v[4:5], v[136:137], v[56:57]
	v_add_f64 v[80:81], v[80:81], v[82:83]
	v_mul_f64 v[82:83], v[134:135], v[56:57]
	s_waitcnt vmcnt(22)
	v_fma_f64 v[4:5], v[134:135], v[58:59], -v[4:5]
	v_fmac_f64_e32 v[82:83], v[136:137], v[58:59]
	v_add_f64 v[2:3], v[2:3], v[4:5]
	s_waitcnt vmcnt(20)
	;; [unrolled: 15-line block ×4, first 2 shown]
	v_mul_f64 v[4:5], v[156:157], v[68:69]
	v_add_f64 v[80:81], v[80:81], v[82:83]
	v_mul_f64 v[82:83], v[154:155], v[68:69]
	s_waitcnt vmcnt(4)
	v_fma_f64 v[4:5], v[154:155], v[70:71], -v[4:5]
	v_fmac_f64_e32 v[82:83], v[156:157], v[70:71]
	v_add_f64 v[2:3], v[2:3], v[4:5]
	v_add_f64 v[80:81], v[80:81], v[82:83]
	s_waitcnt vmcnt(2)
	v_add_f64 v[2:3], v[76:77], -v[2:3]
	s_waitcnt vmcnt(0)
	v_add_f64 v[4:5], v[78:79], -v[80:81]
	buffer_store_dword v3, off, s[0:3], 0 offset:276
	buffer_store_dword v2, off, s[0:3], 0 offset:272
	buffer_store_dword v5, off, s[0:3], 0 offset:284
	buffer_store_dword v4, off, s[0:3], 0 offset:280
	s_and_saveexec_b64 s[4:5], vcc
	s_cbranch_execz .LBB95_175
; %bb.174:
	v_accvgpr_read_b32 v5, a72
	buffer_load_dword v2, v5, s[0:3], 0 offen
	buffer_load_dword v3, v5, s[0:3], 0 offen offset:4
	buffer_load_dword v4, v5, s[0:3], 0 offen offset:8
	s_nop 0
	buffer_load_dword v5, v5, s[0:3], 0 offen offset:12
	s_nop 0
	buffer_store_dword v38, off, s[0:3], 0 offset:256
	buffer_store_dword v38, off, s[0:3], 0 offset:260
	;; [unrolled: 1-line block ×4, first 2 shown]
	s_waitcnt vmcnt(4)
	ds_write_b128 v1, v[2:5]
.LBB95_175:
	s_or_b64 exec, exec, s[4:5]
	s_waitcnt lgkmcnt(0)
	; wave barrier
	s_waitcnt lgkmcnt(0)
	buffer_load_dword v2, off, s[0:3], 0 offset:272
	buffer_load_dword v3, off, s[0:3], 0 offset:276
	;; [unrolled: 1-line block ×64, first 2 shown]
	ds_read_b128 v[106:109], v38 offset:768
	ds_read_b128 v[110:113], v38 offset:784
	;; [unrolled: 1-line block ×4, first 2 shown]
	buffer_load_dword v74, off, s[0:3], 0 offset:256
	buffer_load_dword v75, off, s[0:3], 0 offset:260
	;; [unrolled: 1-line block ×4, first 2 shown]
	ds_read_b128 v[122:125], v38 offset:832
	ds_read_b128 v[126:129], v38 offset:848
	;; [unrolled: 1-line block ×11, first 2 shown]
	v_cmp_lt_u32_e32 vcc, 14, v0
	s_waitcnt vmcnt(62) lgkmcnt(14)
	v_mul_f64 v[40:41], v[106:107], v[4:5]
	v_mul_f64 v[4:5], v[108:109], v[4:5]
	v_fmac_f64_e32 v[40:41], v[108:109], v[2:3]
	v_fma_f64 v[2:3], v[106:107], v[2:3], -v[4:5]
	s_waitcnt lgkmcnt(13)
	v_mul_f64 v[4:5], v[112:113], v[6:7]
	v_add_f64 v[2:3], v[2:3], 0
	v_mul_f64 v[78:79], v[110:111], v[6:7]
	s_waitcnt vmcnt(60) lgkmcnt(12)
	v_mul_f64 v[80:81], v[114:115], v[8:9]
	v_add_f64 v[40:41], v[40:41], 0
	s_waitcnt vmcnt(56) lgkmcnt(11)
	v_mul_f64 v[82:83], v[118:119], v[14:15]
	s_waitcnt vmcnt(54)
	v_fma_f64 v[4:5], v[110:111], v[20:21], -v[4:5]
	v_add_f64 v[2:3], v[2:3], v[4:5]
	v_mul_f64 v[4:5], v[116:117], v[8:9]
	v_fmac_f64_e32 v[78:79], v[112:113], v[20:21]
	s_waitcnt vmcnt(52)
	v_fma_f64 v[4:5], v[114:115], v[18:19], -v[4:5]
	v_fmac_f64_e32 v[80:81], v[116:117], v[18:19]
	v_add_f64 v[40:41], v[40:41], v[78:79]
	v_add_f64 v[2:3], v[2:3], v[4:5]
	v_mul_f64 v[4:5], v[120:121], v[14:15]
	v_add_f64 v[40:41], v[40:41], v[80:81]
	s_waitcnt vmcnt(50)
	v_fmac_f64_e32 v[82:83], v[120:121], v[16:17]
	s_waitcnt vmcnt(48) lgkmcnt(10)
	v_mul_f64 v[78:79], v[122:123], v[10:11]
	v_fma_f64 v[4:5], v[118:119], v[16:17], -v[4:5]
	v_add_f64 v[40:41], v[40:41], v[82:83]
	v_fmac_f64_e32 v[78:79], v[124:125], v[12:13]
	v_add_f64 v[2:3], v[2:3], v[4:5]
	v_mul_f64 v[4:5], v[124:125], v[10:11]
	v_add_f64 v[40:41], v[40:41], v[78:79]
	s_waitcnt vmcnt(44) lgkmcnt(9)
	v_mul_f64 v[78:79], v[126:127], v[26:27]
	v_fma_f64 v[4:5], v[122:123], v[12:13], -v[4:5]
	s_waitcnt vmcnt(42)
	v_fmac_f64_e32 v[78:79], v[128:129], v[28:29]
	v_add_f64 v[2:3], v[2:3], v[4:5]
	v_mul_f64 v[4:5], v[128:129], v[26:27]
	v_add_f64 v[40:41], v[40:41], v[78:79]
	s_waitcnt vmcnt(40) lgkmcnt(8)
	v_mul_f64 v[78:79], v[130:131], v[22:23]
	v_fma_f64 v[4:5], v[126:127], v[28:29], -v[4:5]
	v_fmac_f64_e32 v[78:79], v[132:133], v[24:25]
	v_add_f64 v[2:3], v[2:3], v[4:5]
	v_mul_f64 v[4:5], v[132:133], v[22:23]
	v_add_f64 v[40:41], v[40:41], v[78:79]
	s_waitcnt vmcnt(36) lgkmcnt(7)
	v_mul_f64 v[78:79], v[134:135], v[34:35]
	v_fma_f64 v[4:5], v[130:131], v[24:25], -v[4:5]
	s_waitcnt vmcnt(34)
	v_fmac_f64_e32 v[78:79], v[136:137], v[36:37]
	v_add_f64 v[2:3], v[2:3], v[4:5]
	v_mul_f64 v[4:5], v[136:137], v[34:35]
	v_add_f64 v[40:41], v[40:41], v[78:79]
	s_waitcnt vmcnt(32) lgkmcnt(6)
	v_mul_f64 v[78:79], v[138:139], v[30:31]
	v_fma_f64 v[4:5], v[134:135], v[36:37], -v[4:5]
	;; [unrolled: 15-line block ×4, first 2 shown]
	v_fmac_f64_e32 v[78:79], v[156:157], v[56:57]
	v_add_f64 v[2:3], v[2:3], v[4:5]
	v_mul_f64 v[4:5], v[156:157], v[54:55]
	v_add_f64 v[78:79], v[40:41], v[78:79]
	ds_read_b128 v[38:41], v38 offset:1008
	v_fma_f64 v[4:5], v[154:155], v[56:57], -v[4:5]
	v_add_f64 v[2:3], v[2:3], v[4:5]
	s_waitcnt vmcnt(12) lgkmcnt(2)
	v_mul_f64 v[4:5], v[160:161], v[66:67]
	v_mul_f64 v[80:81], v[158:159], v[66:67]
	s_waitcnt vmcnt(10)
	v_fma_f64 v[4:5], v[158:159], v[68:69], -v[4:5]
	v_fmac_f64_e32 v[80:81], v[160:161], v[68:69]
	v_add_f64 v[2:3], v[2:3], v[4:5]
	s_waitcnt vmcnt(8) lgkmcnt(1)
	v_mul_f64 v[4:5], v[164:165], v[62:63]
	v_add_f64 v[78:79], v[78:79], v[80:81]
	v_mul_f64 v[80:81], v[162:163], v[62:63]
	v_fma_f64 v[4:5], v[162:163], v[64:65], -v[4:5]
	v_fmac_f64_e32 v[80:81], v[164:165], v[64:65]
	v_add_f64 v[2:3], v[2:3], v[4:5]
	s_waitcnt vmcnt(6) lgkmcnt(0)
	v_mul_f64 v[4:5], v[40:41], v[70:71]
	v_add_f64 v[78:79], v[78:79], v[80:81]
	v_mul_f64 v[80:81], v[38:39], v[70:71]
	s_waitcnt vmcnt(4)
	v_fma_f64 v[4:5], v[38:39], v[72:73], -v[4:5]
	v_fmac_f64_e32 v[80:81], v[40:41], v[72:73]
	v_add_f64 v[2:3], v[2:3], v[4:5]
	v_add_f64 v[78:79], v[78:79], v[80:81]
	s_waitcnt vmcnt(2)
	v_add_f64 v[2:3], v[74:75], -v[2:3]
	s_waitcnt vmcnt(0)
	v_add_f64 v[4:5], v[76:77], -v[78:79]
	buffer_store_dword v3, off, s[0:3], 0 offset:260
	buffer_store_dword v2, off, s[0:3], 0 offset:256
	;; [unrolled: 1-line block ×4, first 2 shown]
	s_and_saveexec_b64 s[4:5], vcc
	s_cbranch_execz .LBB95_177
; %bb.176:
	v_accvgpr_read_b32 v5, a73
	buffer_load_dword v2, v5, s[0:3], 0 offen
	buffer_load_dword v3, v5, s[0:3], 0 offen offset:4
	buffer_load_dword v4, v5, s[0:3], 0 offen offset:8
	s_nop 0
	buffer_load_dword v5, v5, s[0:3], 0 offen offset:12
	v_mov_b32_e32 v6, 0
	buffer_store_dword v6, off, s[0:3], 0 offset:240
	buffer_store_dword v6, off, s[0:3], 0 offset:244
	;; [unrolled: 1-line block ×4, first 2 shown]
	s_waitcnt vmcnt(4)
	ds_write_b128 v1, v[2:5]
.LBB95_177:
	s_or_b64 exec, exec, s[4:5]
	s_waitcnt lgkmcnt(0)
	; wave barrier
	s_waitcnt lgkmcnt(0)
	buffer_load_dword v2, off, s[0:3], 0 offset:256
	buffer_load_dword v3, off, s[0:3], 0 offset:260
	;; [unrolled: 1-line block ×68, first 2 shown]
	v_mov_b32_e32 v110, 0
	ds_read_b128 v[106:109], v110 offset:752
	ds_read_b128 v[112:115], v110 offset:768
	buffer_load_dword v74, off, s[0:3], 0 offset:240
	buffer_load_dword v75, off, s[0:3], 0 offset:244
	;; [unrolled: 1-line block ×4, first 2 shown]
	ds_read_b128 v[116:119], v110 offset:784
	ds_read_b128 v[120:123], v110 offset:800
	;; [unrolled: 1-line block ×14, first 2 shown]
	s_waitcnt vmcnt(62) lgkmcnt(14)
	v_mul_f64 v[78:79], v[106:107], v[8:9]
	v_mul_f64 v[8:9], v[108:109], v[8:9]
	v_fmac_f64_e32 v[78:79], v[108:109], v[2:3]
	v_mul_f64 v[80:81], v[112:113], v[10:11]
	v_fma_f64 v[2:3], v[106:107], v[2:3], -v[8:9]
	v_mul_f64 v[8:9], v[114:115], v[10:11]
	v_fmac_f64_e32 v[80:81], v[114:115], v[4:5]
	v_add_f64 v[2:3], v[2:3], 0
	v_fma_f64 v[4:5], v[112:113], v[4:5], -v[8:9]
	v_add_f64 v[78:79], v[78:79], 0
	v_add_f64 v[2:3], v[2:3], v[4:5]
	s_waitcnt vmcnt(60) lgkmcnt(13)
	v_mul_f64 v[4:5], v[118:119], v[12:13]
	v_add_f64 v[78:79], v[78:79], v[80:81]
	v_mul_f64 v[80:81], v[116:117], v[12:13]
	v_fma_f64 v[4:5], v[116:117], v[6:7], -v[4:5]
	v_fmac_f64_e32 v[80:81], v[118:119], v[6:7]
	v_add_f64 v[2:3], v[2:3], v[4:5]
	s_waitcnt vmcnt(56) lgkmcnt(12)
	v_mul_f64 v[4:5], v[122:123], v[18:19]
	v_add_f64 v[78:79], v[78:79], v[80:81]
	v_mul_f64 v[80:81], v[120:121], v[18:19]
	s_waitcnt vmcnt(54)
	v_fma_f64 v[4:5], v[120:121], v[20:21], -v[4:5]
	v_fmac_f64_e32 v[80:81], v[122:123], v[20:21]
	v_add_f64 v[2:3], v[2:3], v[4:5]
	s_waitcnt vmcnt(52) lgkmcnt(11)
	v_mul_f64 v[4:5], v[126:127], v[14:15]
	v_add_f64 v[78:79], v[78:79], v[80:81]
	v_mul_f64 v[80:81], v[124:125], v[14:15]
	v_fma_f64 v[4:5], v[124:125], v[16:17], -v[4:5]
	v_fmac_f64_e32 v[80:81], v[126:127], v[16:17]
	v_add_f64 v[2:3], v[2:3], v[4:5]
	s_waitcnt vmcnt(48) lgkmcnt(10)
	v_mul_f64 v[4:5], v[130:131], v[26:27]
	v_add_f64 v[78:79], v[78:79], v[80:81]
	v_mul_f64 v[80:81], v[128:129], v[26:27]
	s_waitcnt vmcnt(46)
	v_fma_f64 v[4:5], v[128:129], v[28:29], -v[4:5]
	v_fmac_f64_e32 v[80:81], v[130:131], v[28:29]
	;; [unrolled: 15-line block ×5, first 2 shown]
	v_add_f64 v[2:3], v[2:3], v[4:5]
	s_waitcnt vmcnt(20) lgkmcnt(3)
	v_mul_f64 v[4:5], v[158:159], v[50:51]
	v_add_f64 v[78:79], v[78:79], v[80:81]
	v_mul_f64 v[80:81], v[156:157], v[50:51]
	v_fma_f64 v[4:5], v[156:157], v[52:53], -v[4:5]
	v_fmac_f64_e32 v[80:81], v[158:159], v[52:53]
	v_add_f64 v[2:3], v[2:3], v[4:5]
	s_waitcnt vmcnt(16) lgkmcnt(2)
	v_mul_f64 v[4:5], v[162:163], v[62:63]
	v_add_f64 v[78:79], v[78:79], v[80:81]
	v_mul_f64 v[80:81], v[160:161], v[62:63]
	ds_read_b128 v[172:175], v110 offset:1008
	s_waitcnt vmcnt(14)
	v_fma_f64 v[4:5], v[160:161], v[64:65], -v[4:5]
	v_fmac_f64_e32 v[80:81], v[162:163], v[64:65]
	v_add_f64 v[2:3], v[2:3], v[4:5]
	s_waitcnt vmcnt(12) lgkmcnt(2)
	v_mul_f64 v[4:5], v[166:167], v[58:59]
	v_add_f64 v[78:79], v[78:79], v[80:81]
	v_mul_f64 v[80:81], v[164:165], v[58:59]
	v_fma_f64 v[4:5], v[164:165], v[60:61], -v[4:5]
	v_fmac_f64_e32 v[80:81], v[166:167], v[60:61]
	v_add_f64 v[2:3], v[2:3], v[4:5]
	s_waitcnt vmcnt(8) lgkmcnt(1)
	v_mul_f64 v[4:5], v[170:171], v[70:71]
	v_add_f64 v[78:79], v[78:79], v[80:81]
	v_mul_f64 v[80:81], v[168:169], v[70:71]
	s_waitcnt vmcnt(6)
	v_fma_f64 v[4:5], v[168:169], v[72:73], -v[4:5]
	v_fmac_f64_e32 v[80:81], v[170:171], v[72:73]
	v_add_f64 v[2:3], v[2:3], v[4:5]
	s_waitcnt vmcnt(5) lgkmcnt(0)
	v_mul_f64 v[4:5], v[174:175], v[66:67]
	v_add_f64 v[78:79], v[78:79], v[80:81]
	v_mul_f64 v[80:81], v[172:173], v[66:67]
	s_waitcnt vmcnt(4)
	v_fma_f64 v[4:5], v[172:173], v[68:69], -v[4:5]
	v_fmac_f64_e32 v[80:81], v[174:175], v[68:69]
	v_add_f64 v[2:3], v[2:3], v[4:5]
	v_add_f64 v[78:79], v[78:79], v[80:81]
	s_waitcnt vmcnt(2)
	v_add_f64 v[2:3], v[74:75], -v[2:3]
	v_cmp_lt_u32_e32 vcc, 13, v0
	s_waitcnt vmcnt(0)
	v_add_f64 v[4:5], v[76:77], -v[78:79]
	buffer_store_dword v3, off, s[0:3], 0 offset:244
	buffer_store_dword v2, off, s[0:3], 0 offset:240
	;; [unrolled: 1-line block ×4, first 2 shown]
	s_and_saveexec_b64 s[4:5], vcc
	s_cbranch_execz .LBB95_179
; %bb.178:
	v_accvgpr_read_b32 v5, a74
	buffer_load_dword v2, v5, s[0:3], 0 offen
	buffer_load_dword v3, v5, s[0:3], 0 offen offset:4
	buffer_load_dword v4, v5, s[0:3], 0 offen offset:8
	s_nop 0
	buffer_load_dword v5, v5, s[0:3], 0 offen offset:12
	s_nop 0
	buffer_store_dword v110, off, s[0:3], 0 offset:224
	buffer_store_dword v110, off, s[0:3], 0 offset:228
	;; [unrolled: 1-line block ×4, first 2 shown]
	s_waitcnt vmcnt(4)
	ds_write_b128 v1, v[2:5]
.LBB95_179:
	s_or_b64 exec, exec, s[4:5]
	s_waitcnt lgkmcnt(0)
	; wave barrier
	s_waitcnt lgkmcnt(0)
	buffer_load_dword v2, off, s[0:3], 0 offset:240
	buffer_load_dword v3, off, s[0:3], 0 offset:244
	;; [unrolled: 1-line block ×72, first 2 shown]
	ds_read_b128 v[112:115], v110 offset:736
	buffer_load_dword v74, off, s[0:3], 0 offset:224
	buffer_load_dword v75, off, s[0:3], 0 offset:228
	;; [unrolled: 1-line block ×4, first 2 shown]
	ds_read_b128 v[116:119], v110 offset:752
	ds_read_b128 v[120:123], v110 offset:768
	;; [unrolled: 1-line block ×11, first 2 shown]
	s_waitcnt vmcnt(62) lgkmcnt(11)
	v_mul_f64 v[78:79], v[112:113], v[8:9]
	v_mul_f64 v[8:9], v[114:115], v[8:9]
	v_fmac_f64_e32 v[78:79], v[114:115], v[2:3]
	v_fma_f64 v[2:3], v[112:113], v[2:3], -v[8:9]
	s_waitcnt lgkmcnt(10)
	v_mul_f64 v[80:81], v[116:117], v[10:11]
	v_mul_f64 v[8:9], v[118:119], v[10:11]
	v_fmac_f64_e32 v[80:81], v[118:119], v[4:5]
	v_add_f64 v[2:3], v[2:3], 0
	v_fma_f64 v[4:5], v[116:117], v[4:5], -v[8:9]
	v_add_f64 v[78:79], v[78:79], 0
	v_add_f64 v[2:3], v[2:3], v[4:5]
	s_waitcnt lgkmcnt(9)
	v_mul_f64 v[4:5], v[122:123], v[12:13]
	v_add_f64 v[78:79], v[78:79], v[80:81]
	v_mul_f64 v[80:81], v[120:121], v[12:13]
	v_fma_f64 v[4:5], v[120:121], v[6:7], -v[4:5]
	v_fmac_f64_e32 v[80:81], v[122:123], v[6:7]
	v_add_f64 v[2:3], v[2:3], v[4:5]
	s_waitcnt vmcnt(60) lgkmcnt(8)
	v_mul_f64 v[4:5], v[126:127], v[18:19]
	v_add_f64 v[78:79], v[78:79], v[80:81]
	v_mul_f64 v[80:81], v[124:125], v[18:19]
	s_waitcnt vmcnt(58)
	v_fma_f64 v[4:5], v[124:125], v[20:21], -v[4:5]
	v_fmac_f64_e32 v[80:81], v[126:127], v[20:21]
	v_add_f64 v[2:3], v[2:3], v[4:5]
	s_waitcnt vmcnt(56) lgkmcnt(7)
	v_mul_f64 v[4:5], v[130:131], v[14:15]
	v_add_f64 v[78:79], v[78:79], v[80:81]
	v_mul_f64 v[80:81], v[128:129], v[14:15]
	v_fma_f64 v[4:5], v[128:129], v[16:17], -v[4:5]
	v_fmac_f64_e32 v[80:81], v[130:131], v[16:17]
	v_add_f64 v[2:3], v[2:3], v[4:5]
	s_waitcnt vmcnt(52) lgkmcnt(6)
	v_mul_f64 v[4:5], v[134:135], v[26:27]
	v_add_f64 v[78:79], v[78:79], v[80:81]
	v_mul_f64 v[80:81], v[132:133], v[26:27]
	s_waitcnt vmcnt(50)
	v_fma_f64 v[4:5], v[132:133], v[28:29], -v[4:5]
	v_fmac_f64_e32 v[80:81], v[134:135], v[28:29]
	v_add_f64 v[2:3], v[2:3], v[4:5]
	s_waitcnt vmcnt(48) lgkmcnt(5)
	;; [unrolled: 15-line block ×3, first 2 shown]
	v_mul_f64 v[4:5], v[146:147], v[30:31]
	v_add_f64 v[78:79], v[78:79], v[80:81]
	v_mul_f64 v[80:81], v[144:145], v[30:31]
	v_fma_f64 v[4:5], v[144:145], v[32:33], -v[4:5]
	v_fmac_f64_e32 v[80:81], v[146:147], v[32:33]
	v_add_f64 v[2:3], v[2:3], v[4:5]
	s_waitcnt vmcnt(36) lgkmcnt(2)
	v_mul_f64 v[4:5], v[150:151], v[106:107]
	v_add_f64 v[78:79], v[78:79], v[80:81]
	v_mul_f64 v[80:81], v[148:149], v[106:107]
	ds_read_b128 v[160:163], v110 offset:928
	ds_read_b128 v[164:167], v110 offset:944
	s_waitcnt vmcnt(34)
	v_fma_f64 v[4:5], v[148:149], v[108:109], -v[4:5]
	v_fmac_f64_e32 v[80:81], v[150:151], v[108:109]
	v_add_f64 v[2:3], v[2:3], v[4:5]
	s_waitcnt vmcnt(32) lgkmcnt(3)
	v_mul_f64 v[4:5], v[154:155], v[38:39]
	v_add_f64 v[78:79], v[78:79], v[80:81]
	v_mul_f64 v[80:81], v[152:153], v[38:39]
	v_fma_f64 v[4:5], v[152:153], v[40:41], -v[4:5]
	v_fmac_f64_e32 v[80:81], v[154:155], v[40:41]
	v_add_f64 v[2:3], v[2:3], v[4:5]
	s_waitcnt vmcnt(28) lgkmcnt(2)
	v_mul_f64 v[4:5], v[158:159], v[50:51]
	v_add_f64 v[78:79], v[78:79], v[80:81]
	v_mul_f64 v[80:81], v[156:157], v[50:51]
	ds_read_b128 v[168:171], v110 offset:960
	ds_read_b128 v[172:175], v110 offset:976
	s_waitcnt vmcnt(26)
	v_fma_f64 v[4:5], v[156:157], v[52:53], -v[4:5]
	v_fmac_f64_e32 v[80:81], v[158:159], v[52:53]
	v_add_f64 v[2:3], v[2:3], v[4:5]
	s_waitcnt vmcnt(24) lgkmcnt(3)
	;; [unrolled: 17-line block ×3, first 2 shown]
	v_mul_f64 v[4:5], v[170:171], v[54:55]
	v_add_f64 v[78:79], v[78:79], v[80:81]
	v_mul_f64 v[80:81], v[168:169], v[54:55]
	v_fma_f64 v[4:5], v[168:169], v[56:57], -v[4:5]
	v_fmac_f64_e32 v[80:81], v[170:171], v[56:57]
	v_add_f64 v[2:3], v[2:3], v[4:5]
	s_waitcnt vmcnt(12) lgkmcnt(2)
	v_mul_f64 v[4:5], v[174:175], v[66:67]
	v_add_f64 v[78:79], v[78:79], v[80:81]
	v_mul_f64 v[80:81], v[172:173], v[66:67]
	s_waitcnt vmcnt(10)
	v_fma_f64 v[4:5], v[172:173], v[68:69], -v[4:5]
	v_fmac_f64_e32 v[80:81], v[174:175], v[68:69]
	v_add_f64 v[2:3], v[2:3], v[4:5]
	s_waitcnt vmcnt(8) lgkmcnt(1)
	v_mul_f64 v[4:5], v[178:179], v[62:63]
	v_add_f64 v[78:79], v[78:79], v[80:81]
	v_mul_f64 v[80:81], v[176:177], v[62:63]
	v_fma_f64 v[4:5], v[176:177], v[64:65], -v[4:5]
	v_fmac_f64_e32 v[80:81], v[178:179], v[64:65]
	v_add_f64 v[2:3], v[2:3], v[4:5]
	s_waitcnt vmcnt(6) lgkmcnt(0)
	v_mul_f64 v[4:5], v[182:183], v[70:71]
	v_add_f64 v[78:79], v[78:79], v[80:81]
	v_mul_f64 v[80:81], v[180:181], v[70:71]
	s_waitcnt vmcnt(4)
	v_fma_f64 v[4:5], v[180:181], v[72:73], -v[4:5]
	v_fmac_f64_e32 v[80:81], v[182:183], v[72:73]
	v_add_f64 v[2:3], v[2:3], v[4:5]
	v_add_f64 v[78:79], v[78:79], v[80:81]
	s_waitcnt vmcnt(2)
	v_add_f64 v[2:3], v[74:75], -v[2:3]
	v_cmp_lt_u32_e32 vcc, 12, v0
	s_waitcnt vmcnt(0)
	v_add_f64 v[4:5], v[76:77], -v[78:79]
	buffer_store_dword v3, off, s[0:3], 0 offset:228
	buffer_store_dword v2, off, s[0:3], 0 offset:224
	;; [unrolled: 1-line block ×4, first 2 shown]
	s_and_saveexec_b64 s[4:5], vcc
	s_cbranch_execz .LBB95_181
; %bb.180:
	v_accvgpr_read_b32 v5, a75
	buffer_load_dword v2, v5, s[0:3], 0 offen
	buffer_load_dword v3, v5, s[0:3], 0 offen offset:4
	buffer_load_dword v4, v5, s[0:3], 0 offen offset:8
	s_nop 0
	buffer_load_dword v5, v5, s[0:3], 0 offen offset:12
	v_mov_b32_e32 v6, 0
	buffer_store_dword v6, off, s[0:3], 0 offset:208
	buffer_store_dword v6, off, s[0:3], 0 offset:212
	buffer_store_dword v6, off, s[0:3], 0 offset:216
	buffer_store_dword v6, off, s[0:3], 0 offset:220
	s_waitcnt vmcnt(4)
	ds_write_b128 v1, v[2:5]
.LBB95_181:
	s_or_b64 exec, exec, s[4:5]
	s_waitcnt lgkmcnt(0)
	; wave barrier
	s_waitcnt lgkmcnt(0)
	buffer_load_dword v2, off, s[0:3], 0 offset:224
	buffer_load_dword v3, off, s[0:3], 0 offset:228
	;; [unrolled: 1-line block ×76, first 2 shown]
	v_mov_b32_e32 v118, 0
	ds_read_b128 v[120:123], v118 offset:720
	buffer_load_dword v70, off, s[0:3], 0 offset:208
	buffer_load_dword v71, off, s[0:3], 0 offset:212
	;; [unrolled: 1-line block ×4, first 2 shown]
	ds_read_b128 v[124:127], v118 offset:736
	ds_read_b128 v[128:131], v118 offset:752
	;; [unrolled: 1-line block ×7, first 2 shown]
	s_waitcnt vmcnt(62) lgkmcnt(7)
	v_mul_f64 v[74:75], v[120:121], v[8:9]
	v_mul_f64 v[8:9], v[122:123], v[8:9]
	v_fmac_f64_e32 v[74:75], v[122:123], v[2:3]
	s_waitcnt lgkmcnt(6)
	v_mul_f64 v[76:77], v[124:125], v[10:11]
	v_fma_f64 v[2:3], v[120:121], v[2:3], -v[8:9]
	v_mul_f64 v[8:9], v[126:127], v[10:11]
	v_fmac_f64_e32 v[76:77], v[126:127], v[4:5]
	v_add_f64 v[2:3], v[2:3], 0
	v_fma_f64 v[4:5], v[124:125], v[4:5], -v[8:9]
	v_add_f64 v[74:75], v[74:75], 0
	v_add_f64 v[2:3], v[2:3], v[4:5]
	s_waitcnt lgkmcnt(5)
	v_mul_f64 v[4:5], v[130:131], v[12:13]
	v_add_f64 v[74:75], v[74:75], v[76:77]
	v_mul_f64 v[76:77], v[128:129], v[12:13]
	v_fma_f64 v[4:5], v[128:129], v[6:7], -v[4:5]
	v_fmac_f64_e32 v[76:77], v[130:131], v[6:7]
	v_add_f64 v[2:3], v[2:3], v[4:5]
	s_waitcnt lgkmcnt(4)
	v_mul_f64 v[4:5], v[134:135], v[18:19]
	v_add_f64 v[74:75], v[74:75], v[76:77]
	v_mul_f64 v[76:77], v[132:133], v[18:19]
	v_fma_f64 v[4:5], v[132:133], v[20:21], -v[4:5]
	v_fmac_f64_e32 v[76:77], v[134:135], v[20:21]
	v_add_f64 v[2:3], v[2:3], v[4:5]
	s_waitcnt vmcnt(61) lgkmcnt(3)
	v_mul_f64 v[4:5], v[138:139], v[14:15]
	v_add_f64 v[74:75], v[74:75], v[76:77]
	v_mul_f64 v[76:77], v[136:137], v[14:15]
	s_waitcnt vmcnt(60)
	v_fma_f64 v[4:5], v[136:137], v[16:17], -v[4:5]
	v_fmac_f64_e32 v[76:77], v[138:139], v[16:17]
	v_add_f64 v[2:3], v[2:3], v[4:5]
	s_waitcnt vmcnt(56) lgkmcnt(2)
	v_mul_f64 v[4:5], v[142:143], v[26:27]
	v_add_f64 v[74:75], v[74:75], v[76:77]
	v_mul_f64 v[76:77], v[140:141], v[26:27]
	ds_read_b128 v[152:155], v118 offset:848
	ds_read_b128 v[156:159], v118 offset:864
	s_waitcnt vmcnt(54)
	v_fma_f64 v[4:5], v[140:141], v[28:29], -v[4:5]
	v_fmac_f64_e32 v[76:77], v[142:143], v[28:29]
	v_add_f64 v[2:3], v[2:3], v[4:5]
	s_waitcnt vmcnt(53) lgkmcnt(3)
	v_mul_f64 v[4:5], v[146:147], v[22:23]
	v_add_f64 v[74:75], v[74:75], v[76:77]
	v_mul_f64 v[76:77], v[144:145], v[22:23]
	s_waitcnt vmcnt(52)
	v_fma_f64 v[4:5], v[144:145], v[24:25], -v[4:5]
	v_fmac_f64_e32 v[76:77], v[146:147], v[24:25]
	v_add_f64 v[2:3], v[2:3], v[4:5]
	s_waitcnt vmcnt(48) lgkmcnt(2)
	v_mul_f64 v[4:5], v[150:151], v[34:35]
	v_add_f64 v[74:75], v[74:75], v[76:77]
	v_mul_f64 v[76:77], v[148:149], v[34:35]
	ds_read_b128 v[160:163], v118 offset:880
	ds_read_b128 v[164:167], v118 offset:896
	s_waitcnt vmcnt(46)
	;; [unrolled: 18-line block ×5, first 2 shown]
	v_fma_f64 v[4:5], v[172:173], v[52:53], -v[4:5]
	v_fmac_f64_e32 v[76:77], v[174:175], v[52:53]
	v_add_f64 v[2:3], v[2:3], v[4:5]
	s_waitcnt vmcnt(21) lgkmcnt(3)
	v_mul_f64 v[4:5], v[178:179], v[46:47]
	v_add_f64 v[74:75], v[74:75], v[76:77]
	v_mul_f64 v[76:77], v[176:177], v[46:47]
	s_waitcnt vmcnt(20)
	v_fma_f64 v[4:5], v[176:177], v[48:49], -v[4:5]
	v_fmac_f64_e32 v[76:77], v[178:179], v[48:49]
	v_add_f64 v[2:3], v[2:3], v[4:5]
	s_waitcnt vmcnt(16) lgkmcnt(2)
	v_mul_f64 v[4:5], v[182:183], v[58:59]
	v_add_f64 v[74:75], v[74:75], v[76:77]
	v_mul_f64 v[76:77], v[180:181], v[58:59]
	ds_read_b128 v[192:195], v118 offset:1008
	s_waitcnt vmcnt(14)
	v_fma_f64 v[4:5], v[180:181], v[60:61], -v[4:5]
	v_fmac_f64_e32 v[76:77], v[182:183], v[60:61]
	v_add_f64 v[2:3], v[2:3], v[4:5]
	s_waitcnt vmcnt(13) lgkmcnt(2)
	v_mul_f64 v[4:5], v[186:187], v[54:55]
	v_add_f64 v[74:75], v[74:75], v[76:77]
	v_mul_f64 v[76:77], v[184:185], v[54:55]
	s_waitcnt vmcnt(12)
	v_fma_f64 v[4:5], v[184:185], v[56:57], -v[4:5]
	v_fmac_f64_e32 v[76:77], v[186:187], v[56:57]
	v_add_f64 v[2:3], v[2:3], v[4:5]
	s_waitcnt vmcnt(8) lgkmcnt(1)
	v_mul_f64 v[4:5], v[190:191], v[66:67]
	v_add_f64 v[74:75], v[74:75], v[76:77]
	v_mul_f64 v[76:77], v[188:189], v[66:67]
	;; [unrolled: 8-line block ×3, first 2 shown]
	s_waitcnt vmcnt(4)
	v_fma_f64 v[4:5], v[192:193], v[64:65], -v[4:5]
	v_fmac_f64_e32 v[76:77], v[194:195], v[64:65]
	v_add_f64 v[2:3], v[2:3], v[4:5]
	v_add_f64 v[74:75], v[74:75], v[76:77]
	s_waitcnt vmcnt(2)
	v_add_f64 v[2:3], v[70:71], -v[2:3]
	v_cmp_lt_u32_e32 vcc, 11, v0
	s_waitcnt vmcnt(0)
	v_add_f64 v[4:5], v[72:73], -v[74:75]
	buffer_store_dword v3, off, s[0:3], 0 offset:212
	buffer_store_dword v2, off, s[0:3], 0 offset:208
	;; [unrolled: 1-line block ×4, first 2 shown]
	s_and_saveexec_b64 s[4:5], vcc
	s_cbranch_execz .LBB95_183
; %bb.182:
	v_accvgpr_read_b32 v5, a76
	buffer_load_dword v2, v5, s[0:3], 0 offen
	buffer_load_dword v3, v5, s[0:3], 0 offen offset:4
	buffer_load_dword v4, v5, s[0:3], 0 offen offset:8
	s_nop 0
	buffer_load_dword v5, v5, s[0:3], 0 offen offset:12
	s_nop 0
	buffer_store_dword v118, off, s[0:3], 0 offset:192
	buffer_store_dword v118, off, s[0:3], 0 offset:196
	;; [unrolled: 1-line block ×4, first 2 shown]
	s_waitcnt vmcnt(4)
	ds_write_b128 v1, v[2:5]
.LBB95_183:
	s_or_b64 exec, exec, s[4:5]
	s_waitcnt lgkmcnt(0)
	; wave barrier
	s_waitcnt lgkmcnt(0)
	buffer_load_dword v2, off, s[0:3], 0 offset:208
	buffer_load_dword v3, off, s[0:3], 0 offset:212
	buffer_load_dword v8, off, s[0:3], 0 offset:216
	buffer_load_dword v9, off, s[0:3], 0 offset:220
	buffer_load_dword v4, off, s[0:3], 0 offset:224
	buffer_load_dword v5, off, s[0:3], 0 offset:228
	buffer_load_dword v10, off, s[0:3], 0 offset:232
	buffer_load_dword v11, off, s[0:3], 0 offset:236
	buffer_load_dword v6, off, s[0:3], 0 offset:240
	buffer_load_dword v7, off, s[0:3], 0 offset:244
	buffer_load_dword v12, off, s[0:3], 0 offset:248
	buffer_load_dword v13, off, s[0:3], 0 offset:252
	buffer_load_dword v15, off, s[0:3], 0 offset:284
	buffer_load_dword v14, off, s[0:3], 0 offset:280
	buffer_load_dword v17, off, s[0:3], 0 offset:276
	buffer_load_dword v16, off, s[0:3], 0 offset:272
	buffer_load_dword v19, off, s[0:3], 0 offset:268
	buffer_load_dword v18, off, s[0:3], 0 offset:264
	buffer_load_dword v21, off, s[0:3], 0 offset:260
	buffer_load_dword v20, off, s[0:3], 0 offset:256
	buffer_load_dword v23, off, s[0:3], 0 offset:316
	buffer_load_dword v22, off, s[0:3], 0 offset:312
	buffer_load_dword v25, off, s[0:3], 0 offset:308
	buffer_load_dword v24, off, s[0:3], 0 offset:304
	buffer_load_dword v27, off, s[0:3], 0 offset:300
	buffer_load_dword v26, off, s[0:3], 0 offset:296
	buffer_load_dword v29, off, s[0:3], 0 offset:292
	buffer_load_dword v28, off, s[0:3], 0 offset:288
	buffer_load_dword v31, off, s[0:3], 0 offset:348
	buffer_load_dword v30, off, s[0:3], 0 offset:344
	buffer_load_dword v33, off, s[0:3], 0 offset:340
	buffer_load_dword v32, off, s[0:3], 0 offset:336
	buffer_load_dword v35, off, s[0:3], 0 offset:332
	buffer_load_dword v34, off, s[0:3], 0 offset:328
	buffer_load_dword v37, off, s[0:3], 0 offset:324
	buffer_load_dword v36, off, s[0:3], 0 offset:320
	buffer_load_dword v39, off, s[0:3], 0 offset:380
	buffer_load_dword v38, off, s[0:3], 0 offset:376
	buffer_load_dword v41, off, s[0:3], 0 offset:372
	buffer_load_dword v40, off, s[0:3], 0 offset:368
	buffer_load_dword v107, off, s[0:3], 0 offset:364
	buffer_load_dword v106, off, s[0:3], 0 offset:360
	buffer_load_dword v109, off, s[0:3], 0 offset:356
	buffer_load_dword v108, off, s[0:3], 0 offset:352
	buffer_load_dword v111, off, s[0:3], 0 offset:412
	buffer_load_dword v110, off, s[0:3], 0 offset:408
	buffer_load_dword v113, off, s[0:3], 0 offset:404
	buffer_load_dword v112, off, s[0:3], 0 offset:400
	buffer_load_dword v115, off, s[0:3], 0 offset:396
	buffer_load_dword v114, off, s[0:3], 0 offset:392
	buffer_load_dword v117, off, s[0:3], 0 offset:388
	buffer_load_dword v116, off, s[0:3], 0 offset:384
	buffer_load_dword v47, off, s[0:3], 0 offset:444
	buffer_load_dword v46, off, s[0:3], 0 offset:440
	buffer_load_dword v49, off, s[0:3], 0 offset:436
	buffer_load_dword v48, off, s[0:3], 0 offset:432
	buffer_load_dword v51, off, s[0:3], 0 offset:428
	buffer_load_dword v50, off, s[0:3], 0 offset:424
	buffer_load_dword v53, off, s[0:3], 0 offset:420
	buffer_load_dword v52, off, s[0:3], 0 offset:416
	buffer_load_dword v55, off, s[0:3], 0 offset:476
	buffer_load_dword v54, off, s[0:3], 0 offset:472
	buffer_load_dword v57, off, s[0:3], 0 offset:468
	buffer_load_dword v56, off, s[0:3], 0 offset:464
	buffer_load_dword v59, off, s[0:3], 0 offset:460
	buffer_load_dword v58, off, s[0:3], 0 offset:456
	buffer_load_dword v61, off, s[0:3], 0 offset:452
	buffer_load_dword v60, off, s[0:3], 0 offset:448
	buffer_load_dword v63, off, s[0:3], 0 offset:508
	buffer_load_dword v62, off, s[0:3], 0 offset:504
	buffer_load_dword v65, off, s[0:3], 0 offset:500
	buffer_load_dword v64, off, s[0:3], 0 offset:496
	buffer_load_dword v67, off, s[0:3], 0 offset:492
	buffer_load_dword v66, off, s[0:3], 0 offset:488
	buffer_load_dword v69, off, s[0:3], 0 offset:484
	buffer_load_dword v68, off, s[0:3], 0 offset:480
	ds_read_b128 v[120:123], v118 offset:704
	buffer_load_dword v71, off, s[0:3], 0 offset:524
	buffer_load_dword v70, off, s[0:3], 0 offset:520
	;; [unrolled: 1-line block ×8, first 2 shown]
	ds_read_b128 v[124:127], v118 offset:720
	ds_read_b128 v[128:131], v118 offset:736
	;; [unrolled: 1-line block ×7, first 2 shown]
	s_waitcnt vmcnt(62) lgkmcnt(7)
	v_mul_f64 v[78:79], v[120:121], v[8:9]
	v_mul_f64 v[8:9], v[122:123], v[8:9]
	v_fmac_f64_e32 v[78:79], v[122:123], v[2:3]
	v_fma_f64 v[2:3], v[120:121], v[2:3], -v[8:9]
	s_waitcnt lgkmcnt(6)
	v_mul_f64 v[80:81], v[124:125], v[10:11]
	v_mul_f64 v[8:9], v[126:127], v[10:11]
	v_fmac_f64_e32 v[80:81], v[126:127], v[4:5]
	v_add_f64 v[2:3], v[2:3], 0
	v_fma_f64 v[4:5], v[124:125], v[4:5], -v[8:9]
	v_add_f64 v[78:79], v[78:79], 0
	v_add_f64 v[2:3], v[2:3], v[4:5]
	s_waitcnt lgkmcnt(5)
	v_mul_f64 v[4:5], v[130:131], v[12:13]
	v_add_f64 v[78:79], v[78:79], v[80:81]
	v_mul_f64 v[80:81], v[128:129], v[12:13]
	v_fma_f64 v[4:5], v[128:129], v[6:7], -v[4:5]
	v_fmac_f64_e32 v[80:81], v[130:131], v[6:7]
	v_add_f64 v[2:3], v[2:3], v[4:5]
	s_waitcnt lgkmcnt(4)
	v_mul_f64 v[4:5], v[134:135], v[18:19]
	v_add_f64 v[78:79], v[78:79], v[80:81]
	v_mul_f64 v[80:81], v[132:133], v[18:19]
	v_fma_f64 v[4:5], v[132:133], v[20:21], -v[4:5]
	v_fmac_f64_e32 v[80:81], v[134:135], v[20:21]
	;; [unrolled: 7-line block ×3, first 2 shown]
	v_add_f64 v[2:3], v[2:3], v[4:5]
	s_waitcnt vmcnt(58) lgkmcnt(2)
	v_mul_f64 v[4:5], v[142:143], v[26:27]
	v_add_f64 v[78:79], v[78:79], v[80:81]
	v_mul_f64 v[80:81], v[140:141], v[26:27]
	ds_read_b128 v[152:155], v118 offset:832
	ds_read_b128 v[156:159], v118 offset:848
	s_waitcnt vmcnt(56)
	v_fma_f64 v[4:5], v[140:141], v[28:29], -v[4:5]
	v_fmac_f64_e32 v[80:81], v[142:143], v[28:29]
	v_add_f64 v[2:3], v[2:3], v[4:5]
	s_waitcnt lgkmcnt(3)
	v_mul_f64 v[4:5], v[146:147], v[22:23]
	v_add_f64 v[78:79], v[78:79], v[80:81]
	v_mul_f64 v[80:81], v[144:145], v[22:23]
	v_fma_f64 v[4:5], v[144:145], v[24:25], -v[4:5]
	v_fmac_f64_e32 v[80:81], v[146:147], v[24:25]
	v_add_f64 v[2:3], v[2:3], v[4:5]
	s_waitcnt vmcnt(50) lgkmcnt(2)
	v_mul_f64 v[4:5], v[150:151], v[34:35]
	v_add_f64 v[78:79], v[78:79], v[80:81]
	v_mul_f64 v[80:81], v[148:149], v[34:35]
	ds_read_b128 v[160:163], v118 offset:864
	ds_read_b128 v[164:167], v118 offset:880
	s_waitcnt vmcnt(48)
	v_fma_f64 v[4:5], v[148:149], v[36:37], -v[4:5]
	v_fmac_f64_e32 v[80:81], v[150:151], v[36:37]
	v_add_f64 v[2:3], v[2:3], v[4:5]
	s_waitcnt lgkmcnt(3)
	v_mul_f64 v[4:5], v[154:155], v[30:31]
	v_add_f64 v[78:79], v[78:79], v[80:81]
	v_mul_f64 v[80:81], v[152:153], v[30:31]
	v_fma_f64 v[4:5], v[152:153], v[32:33], -v[4:5]
	v_fmac_f64_e32 v[80:81], v[154:155], v[32:33]
	;; [unrolled: 17-line block ×6, first 2 shown]
	v_add_f64 v[2:3], v[2:3], v[4:5]
	s_waitcnt vmcnt(10) lgkmcnt(2)
	v_mul_f64 v[4:5], v[190:191], v[66:67]
	v_add_f64 v[78:79], v[78:79], v[80:81]
	v_mul_f64 v[80:81], v[188:189], v[66:67]
	s_waitcnt vmcnt(8)
	v_fma_f64 v[4:5], v[188:189], v[68:69], -v[4:5]
	v_fmac_f64_e32 v[80:81], v[190:191], v[68:69]
	v_add_f64 v[2:3], v[2:3], v[4:5]
	s_waitcnt lgkmcnt(1)
	v_mul_f64 v[4:5], v[194:195], v[62:63]
	v_add_f64 v[78:79], v[78:79], v[80:81]
	v_mul_f64 v[80:81], v[192:193], v[62:63]
	v_fma_f64 v[4:5], v[192:193], v[64:65], -v[4:5]
	v_fmac_f64_e32 v[80:81], v[194:195], v[64:65]
	v_add_f64 v[2:3], v[2:3], v[4:5]
	s_waitcnt vmcnt(6) lgkmcnt(0)
	v_mul_f64 v[4:5], v[198:199], v[70:71]
	v_add_f64 v[78:79], v[78:79], v[80:81]
	v_mul_f64 v[80:81], v[196:197], v[70:71]
	s_waitcnt vmcnt(4)
	v_fma_f64 v[4:5], v[196:197], v[72:73], -v[4:5]
	v_fmac_f64_e32 v[80:81], v[198:199], v[72:73]
	v_add_f64 v[2:3], v[2:3], v[4:5]
	v_add_f64 v[78:79], v[78:79], v[80:81]
	s_waitcnt vmcnt(2)
	v_add_f64 v[2:3], v[74:75], -v[2:3]
	v_cmp_lt_u32_e32 vcc, 10, v0
	s_waitcnt vmcnt(0)
	v_add_f64 v[4:5], v[76:77], -v[78:79]
	buffer_store_dword v3, off, s[0:3], 0 offset:196
	buffer_store_dword v2, off, s[0:3], 0 offset:192
	;; [unrolled: 1-line block ×4, first 2 shown]
	s_and_saveexec_b64 s[4:5], vcc
	s_cbranch_execz .LBB95_185
; %bb.184:
	v_accvgpr_read_b32 v5, a77
	buffer_load_dword v2, v5, s[0:3], 0 offen
	buffer_load_dword v3, v5, s[0:3], 0 offen offset:4
	buffer_load_dword v4, v5, s[0:3], 0 offen offset:8
	s_nop 0
	buffer_load_dword v5, v5, s[0:3], 0 offen offset:12
	v_mov_b32_e32 v6, 0
	buffer_store_dword v6, off, s[0:3], 0 offset:176
	buffer_store_dword v6, off, s[0:3], 0 offset:180
	;; [unrolled: 1-line block ×4, first 2 shown]
	s_waitcnt vmcnt(4)
	ds_write_b128 v1, v[2:5]
.LBB95_185:
	s_or_b64 exec, exec, s[4:5]
	s_waitcnt lgkmcnt(0)
	; wave barrier
	s_waitcnt lgkmcnt(0)
	buffer_load_dword v4, off, s[0:3], 0 offset:176
	buffer_load_dword v5, off, s[0:3], 0 offset:180
	;; [unrolled: 1-line block ×84, first 2 shown]
	v_mov_b32_e32 v150, 0
	ds_read_b128 v[130:133], v150 offset:688
	buffer_load_dword v67, off, s[0:3], 0 offset:524
	buffer_load_dword v66, off, s[0:3], 0 offset:520
	;; [unrolled: 1-line block ×4, first 2 shown]
	ds_read_b128 v[134:137], v150 offset:704
	ds_read_b128 v[138:141], v150 offset:720
	;; [unrolled: 1-line block ×5, first 2 shown]
	s_waitcnt vmcnt(62) lgkmcnt(5)
	v_mul_f64 v[70:71], v[130:131], v[12:13]
	v_mul_f64 v[12:13], v[132:133], v[12:13]
	v_fmac_f64_e32 v[70:71], v[132:133], v[6:7]
	s_waitcnt lgkmcnt(4)
	v_mul_f64 v[72:73], v[134:135], v[14:15]
	v_fma_f64 v[6:7], v[130:131], v[6:7], -v[12:13]
	v_mul_f64 v[12:13], v[136:137], v[14:15]
	v_fmac_f64_e32 v[72:73], v[136:137], v[8:9]
	v_add_f64 v[6:7], v[6:7], 0
	v_fma_f64 v[8:9], v[134:135], v[8:9], -v[12:13]
	v_add_f64 v[70:71], v[70:71], 0
	v_add_f64 v[6:7], v[6:7], v[8:9]
	s_waitcnt lgkmcnt(3)
	v_mul_f64 v[8:9], v[140:141], v[16:17]
	v_add_f64 v[70:71], v[70:71], v[72:73]
	v_mul_f64 v[72:73], v[138:139], v[16:17]
	v_fma_f64 v[8:9], v[138:139], v[10:11], -v[8:9]
	v_fmac_f64_e32 v[72:73], v[140:141], v[10:11]
	v_add_f64 v[6:7], v[6:7], v[8:9]
	s_waitcnt lgkmcnt(2)
	v_mul_f64 v[8:9], v[144:145], v[22:23]
	v_add_f64 v[70:71], v[70:71], v[72:73]
	v_mul_f64 v[72:73], v[142:143], v[22:23]
	ds_read_b128 v[156:159], v150 offset:784
	ds_read_b128 v[160:163], v150 offset:800
	v_fma_f64 v[8:9], v[142:143], v[24:25], -v[8:9]
	v_fmac_f64_e32 v[72:73], v[144:145], v[24:25]
	v_add_f64 v[6:7], v[6:7], v[8:9]
	s_waitcnt lgkmcnt(3)
	v_mul_f64 v[8:9], v[148:149], v[18:19]
	v_add_f64 v[70:71], v[70:71], v[72:73]
	v_mul_f64 v[72:73], v[146:147], v[18:19]
	v_fma_f64 v[8:9], v[146:147], v[20:21], -v[8:9]
	v_fmac_f64_e32 v[72:73], v[148:149], v[20:21]
	v_add_f64 v[6:7], v[6:7], v[8:9]
	s_waitcnt vmcnt(58) lgkmcnt(2)
	v_mul_f64 v[8:9], v[154:155], v[30:31]
	v_add_f64 v[70:71], v[70:71], v[72:73]
	v_mul_f64 v[72:73], v[152:153], v[30:31]
	ds_read_b128 v[164:167], v150 offset:816
	ds_read_b128 v[168:171], v150 offset:832
	s_waitcnt vmcnt(56)
	v_fma_f64 v[8:9], v[152:153], v[32:33], -v[8:9]
	v_fmac_f64_e32 v[72:73], v[154:155], v[32:33]
	v_add_f64 v[6:7], v[6:7], v[8:9]
	s_waitcnt lgkmcnt(3)
	v_mul_f64 v[8:9], v[158:159], v[26:27]
	v_add_f64 v[70:71], v[70:71], v[72:73]
	v_mul_f64 v[72:73], v[156:157], v[26:27]
	v_fma_f64 v[8:9], v[156:157], v[28:29], -v[8:9]
	v_fmac_f64_e32 v[72:73], v[158:159], v[28:29]
	v_add_f64 v[6:7], v[6:7], v[8:9]
	s_waitcnt vmcnt(50) lgkmcnt(2)
	v_mul_f64 v[8:9], v[162:163], v[38:39]
	v_add_f64 v[70:71], v[70:71], v[72:73]
	v_mul_f64 v[72:73], v[160:161], v[38:39]
	ds_read_b128 v[172:175], v150 offset:848
	ds_read_b128 v[176:179], v150 offset:864
	s_waitcnt vmcnt(48)
	;; [unrolled: 17-line block ×6, first 2 shown]
	v_fma_f64 v[8:9], v[192:193], v[52:53], -v[8:9]
	v_fmac_f64_e32 v[72:73], v[194:195], v[52:53]
	v_add_f64 v[6:7], v[6:7], v[8:9]
	s_waitcnt lgkmcnt(3)
	v_mul_f64 v[8:9], v[198:199], v[46:47]
	v_add_f64 v[70:71], v[70:71], v[72:73]
	v_mul_f64 v[72:73], v[196:197], v[46:47]
	v_fma_f64 v[8:9], v[196:197], v[48:49], -v[8:9]
	v_fmac_f64_e32 v[72:73], v[198:199], v[48:49]
	v_add_f64 v[6:7], v[6:7], v[8:9]
	s_waitcnt vmcnt(10) lgkmcnt(2)
	v_mul_f64 v[8:9], v[202:203], v[58:59]
	v_add_f64 v[70:71], v[70:71], v[72:73]
	v_mul_f64 v[72:73], v[200:201], v[58:59]
	ds_read_b128 v[212:215], v150 offset:1008
	s_waitcnt vmcnt(8)
	v_fma_f64 v[8:9], v[200:201], v[60:61], -v[8:9]
	v_fmac_f64_e32 v[72:73], v[202:203], v[60:61]
	v_add_f64 v[6:7], v[6:7], v[8:9]
	s_waitcnt lgkmcnt(2)
	v_mul_f64 v[8:9], v[206:207], v[54:55]
	v_add_f64 v[70:71], v[70:71], v[72:73]
	v_mul_f64 v[72:73], v[204:205], v[54:55]
	v_fma_f64 v[8:9], v[204:205], v[56:57], -v[8:9]
	v_fmac_f64_e32 v[72:73], v[206:207], v[56:57]
	v_add_f64 v[6:7], v[6:7], v[8:9]
	s_waitcnt vmcnt(6) lgkmcnt(1)
	v_mul_f64 v[8:9], v[210:211], v[62:63]
	v_add_f64 v[70:71], v[70:71], v[72:73]
	v_mul_f64 v[72:73], v[208:209], v[62:63]
	s_waitcnt vmcnt(4)
	v_fma_f64 v[8:9], v[208:209], v[64:65], -v[8:9]
	v_fmac_f64_e32 v[72:73], v[210:211], v[64:65]
	v_add_f64 v[6:7], v[6:7], v[8:9]
	s_waitcnt vmcnt(2) lgkmcnt(0)
	v_mul_f64 v[8:9], v[214:215], v[66:67]
	v_add_f64 v[70:71], v[70:71], v[72:73]
	v_mul_f64 v[72:73], v[212:213], v[66:67]
	s_waitcnt vmcnt(0)
	v_fma_f64 v[8:9], v[212:213], v[68:69], -v[8:9]
	v_fmac_f64_e32 v[72:73], v[214:215], v[68:69]
	v_add_f64 v[6:7], v[6:7], v[8:9]
	v_add_f64 v[70:71], v[70:71], v[72:73]
	v_add_f64 v[4:5], v[4:5], -v[6:7]
	v_cmp_lt_u32_e32 vcc, 9, v0
	v_add_f64 v[2:3], v[2:3], -v[70:71]
	buffer_store_dword v5, off, s[0:3], 0 offset:180
	buffer_store_dword v4, off, s[0:3], 0 offset:176
	;; [unrolled: 1-line block ×4, first 2 shown]
	s_and_saveexec_b64 s[4:5], vcc
	s_cbranch_execz .LBB95_187
; %bb.186:
	v_accvgpr_read_b32 v5, a78
	buffer_load_dword v2, v5, s[0:3], 0 offen
	buffer_load_dword v3, v5, s[0:3], 0 offen offset:4
	buffer_load_dword v4, v5, s[0:3], 0 offen offset:8
	s_nop 0
	buffer_load_dword v5, v5, s[0:3], 0 offen offset:12
	s_nop 0
	buffer_store_dword v150, off, s[0:3], 0 offset:160
	buffer_store_dword v150, off, s[0:3], 0 offset:164
	;; [unrolled: 1-line block ×4, first 2 shown]
	s_waitcnt vmcnt(4)
	ds_write_b128 v1, v[2:5]
.LBB95_187:
	s_or_b64 exec, exec, s[4:5]
	s_waitcnt lgkmcnt(0)
	; wave barrier
	s_waitcnt lgkmcnt(0)
	ds_read_b128 v[14:17], v150 offset:672
	ds_read_b128 v[10:13], v150 offset:688
	;; [unrolled: 1-line block ×4, first 2 shown]
	buffer_load_dword v20, off, s[0:3], 0 offset:160
	buffer_load_dword v21, off, s[0:3], 0 offset:164
	buffer_load_dword v18, off, s[0:3], 0 offset:168
	buffer_load_dword v19, off, s[0:3], 0 offset:172
	buffer_load_dword v22, off, s[0:3], 0 offset:176
	buffer_load_dword v23, off, s[0:3], 0 offset:180
	buffer_load_dword v28, off, s[0:3], 0 offset:184
	buffer_load_dword v29, off, s[0:3], 0 offset:188
	buffer_load_dword v24, off, s[0:3], 0 offset:192
	buffer_load_dword v25, off, s[0:3], 0 offset:196
	buffer_load_dword v30, off, s[0:3], 0 offset:200
	buffer_load_dword v31, off, s[0:3], 0 offset:204
	buffer_load_dword v26, off, s[0:3], 0 offset:208
	buffer_load_dword v27, off, s[0:3], 0 offset:212
	buffer_load_dword v32, off, s[0:3], 0 offset:216
	buffer_load_dword v33, off, s[0:3], 0 offset:220
	buffer_load_dword v35, off, s[0:3], 0 offset:252
	buffer_load_dword v34, off, s[0:3], 0 offset:248
	buffer_load_dword v37, off, s[0:3], 0 offset:244
	buffer_load_dword v36, off, s[0:3], 0 offset:240
	buffer_load_dword v39, off, s[0:3], 0 offset:236
	buffer_load_dword v38, off, s[0:3], 0 offset:232
	buffer_load_dword v41, off, s[0:3], 0 offset:228
	buffer_load_dword v40, off, s[0:3], 0 offset:224
	buffer_load_dword v107, off, s[0:3], 0 offset:284
	buffer_load_dword v106, off, s[0:3], 0 offset:280
	buffer_load_dword v109, off, s[0:3], 0 offset:276
	buffer_load_dword v108, off, s[0:3], 0 offset:272
	buffer_load_dword v111, off, s[0:3], 0 offset:268
	buffer_load_dword v110, off, s[0:3], 0 offset:264
	buffer_load_dword v113, off, s[0:3], 0 offset:260
	buffer_load_dword v112, off, s[0:3], 0 offset:256
	buffer_load_dword v115, off, s[0:3], 0 offset:316
	buffer_load_dword v114, off, s[0:3], 0 offset:312
	buffer_load_dword v117, off, s[0:3], 0 offset:308
	buffer_load_dword v116, off, s[0:3], 0 offset:304
	buffer_load_dword v119, off, s[0:3], 0 offset:300
	buffer_load_dword v118, off, s[0:3], 0 offset:296
	buffer_load_dword v121, off, s[0:3], 0 offset:292
	buffer_load_dword v120, off, s[0:3], 0 offset:288
	buffer_load_dword v123, off, s[0:3], 0 offset:348
	buffer_load_dword v122, off, s[0:3], 0 offset:344
	buffer_load_dword v125, off, s[0:3], 0 offset:340
	buffer_load_dword v124, off, s[0:3], 0 offset:336
	buffer_load_dword v127, off, s[0:3], 0 offset:332
	buffer_load_dword v126, off, s[0:3], 0 offset:328
	buffer_load_dword v129, off, s[0:3], 0 offset:324
	buffer_load_dword v128, off, s[0:3], 0 offset:320
	buffer_load_dword v131, off, s[0:3], 0 offset:380
	buffer_load_dword v130, off, s[0:3], 0 offset:376
	buffer_load_dword v133, off, s[0:3], 0 offset:372
	buffer_load_dword v132, off, s[0:3], 0 offset:368
	buffer_load_dword v135, off, s[0:3], 0 offset:364
	buffer_load_dword v134, off, s[0:3], 0 offset:360
	buffer_load_dword v137, off, s[0:3], 0 offset:356
	buffer_load_dword v136, off, s[0:3], 0 offset:352
	buffer_load_dword v139, off, s[0:3], 0 offset:412
	buffer_load_dword v138, off, s[0:3], 0 offset:408
	buffer_load_dword v141, off, s[0:3], 0 offset:404
	buffer_load_dword v140, off, s[0:3], 0 offset:400
	buffer_load_dword v143, off, s[0:3], 0 offset:396
	buffer_load_dword v142, off, s[0:3], 0 offset:392
	buffer_load_dword v145, off, s[0:3], 0 offset:388
	buffer_load_dword v144, off, s[0:3], 0 offset:384
	buffer_load_dword v147, off, s[0:3], 0 offset:444
	buffer_load_dword v146, off, s[0:3], 0 offset:440
	buffer_load_dword v149, off, s[0:3], 0 offset:436
	buffer_load_dword v148, off, s[0:3], 0 offset:432
	buffer_load_dword v47, off, s[0:3], 0 offset:428
	buffer_load_dword v46, off, s[0:3], 0 offset:424
	buffer_load_dword v49, off, s[0:3], 0 offset:420
	buffer_load_dword v48, off, s[0:3], 0 offset:416
	buffer_load_dword v51, off, s[0:3], 0 offset:476
	buffer_load_dword v50, off, s[0:3], 0 offset:472
	buffer_load_dword v53, off, s[0:3], 0 offset:468
	buffer_load_dword v52, off, s[0:3], 0 offset:464
	buffer_load_dword v55, off, s[0:3], 0 offset:460
	buffer_load_dword v54, off, s[0:3], 0 offset:456
	buffer_load_dword v57, off, s[0:3], 0 offset:452
	buffer_load_dword v56, off, s[0:3], 0 offset:448
	buffer_load_dword v59, off, s[0:3], 0 offset:508
	buffer_load_dword v58, off, s[0:3], 0 offset:504
	buffer_load_dword v61, off, s[0:3], 0 offset:500
	buffer_load_dword v60, off, s[0:3], 0 offset:496
	buffer_load_dword v63, off, s[0:3], 0 offset:492
	buffer_load_dword v62, off, s[0:3], 0 offset:488
	buffer_load_dword v65, off, s[0:3], 0 offset:484
	buffer_load_dword v64, off, s[0:3], 0 offset:480
	buffer_load_dword v69, off, s[0:3], 0 offset:524
	buffer_load_dword v68, off, s[0:3], 0 offset:520
	buffer_load_dword v71, off, s[0:3], 0 offset:516
	buffer_load_dword v70, off, s[0:3], 0 offset:512
	s_waitcnt vmcnt(62) lgkmcnt(3)
	v_mul_f64 v[66:67], v[14:15], v[28:29]
	v_fmac_f64_e32 v[66:67], v[16:17], v[22:23]
	s_waitcnt lgkmcnt(2)
	v_mul_f64 v[72:73], v[10:11], v[30:31]
	v_add_f64 v[66:67], v[66:67], 0
	v_fmac_f64_e32 v[72:73], v[12:13], v[24:25]
	ds_read_b128 v[152:155], v150 offset:736
	ds_read_b128 v[156:159], v150 offset:752
	v_add_f64 v[66:67], v[66:67], v[72:73]
	s_waitcnt lgkmcnt(3)
	v_mul_f64 v[72:73], v[6:7], v[32:33]
	v_mul_f64 v[16:17], v[16:17], v[28:29]
	v_fmac_f64_e32 v[72:73], v[8:9], v[26:27]
	v_fma_f64 v[14:15], v[14:15], v[22:23], -v[16:17]
	v_mul_f64 v[12:13], v[12:13], v[30:31]
	v_add_f64 v[66:67], v[66:67], v[72:73]
	s_waitcnt lgkmcnt(2)
	v_mul_f64 v[72:73], v[2:3], v[38:39]
	v_add_f64 v[14:15], v[14:15], 0
	v_fma_f64 v[10:11], v[10:11], v[24:25], -v[12:13]
	v_mul_f64 v[8:9], v[8:9], v[32:33]
	v_fmac_f64_e32 v[72:73], v[4:5], v[40:41]
	ds_read_b128 v[160:163], v150 offset:768
	ds_read_b128 v[164:167], v150 offset:784
	v_add_f64 v[10:11], v[14:15], v[10:11]
	v_fma_f64 v[6:7], v[6:7], v[26:27], -v[8:9]
	v_mul_f64 v[4:5], v[4:5], v[38:39]
	v_add_f64 v[6:7], v[10:11], v[6:7]
	v_fma_f64 v[2:3], v[2:3], v[40:41], -v[4:5]
	s_waitcnt lgkmcnt(3)
	v_mul_f64 v[4:5], v[154:155], v[34:35]
	v_add_f64 v[66:67], v[66:67], v[72:73]
	v_mul_f64 v[72:73], v[152:153], v[34:35]
	v_add_f64 v[2:3], v[6:7], v[2:3]
	v_fma_f64 v[4:5], v[152:153], v[36:37], -v[4:5]
	v_fmac_f64_e32 v[72:73], v[154:155], v[36:37]
	v_add_f64 v[2:3], v[2:3], v[4:5]
	s_waitcnt lgkmcnt(2)
	v_mul_f64 v[4:5], v[158:159], v[110:111]
	v_add_f64 v[66:67], v[66:67], v[72:73]
	v_mul_f64 v[72:73], v[156:157], v[110:111]
	ds_read_b128 v[168:171], v150 offset:800
	ds_read_b128 v[172:175], v150 offset:816
	s_waitcnt vmcnt(60)
	v_fma_f64 v[4:5], v[156:157], v[112:113], -v[4:5]
	v_fmac_f64_e32 v[72:73], v[158:159], v[112:113]
	v_add_f64 v[2:3], v[2:3], v[4:5]
	s_waitcnt lgkmcnt(3)
	v_mul_f64 v[4:5], v[162:163], v[106:107]
	v_add_f64 v[66:67], v[66:67], v[72:73]
	v_mul_f64 v[72:73], v[160:161], v[106:107]
	v_fma_f64 v[4:5], v[160:161], v[108:109], -v[4:5]
	v_fmac_f64_e32 v[72:73], v[162:163], v[108:109]
	v_add_f64 v[2:3], v[2:3], v[4:5]
	s_waitcnt vmcnt(54) lgkmcnt(2)
	v_mul_f64 v[4:5], v[166:167], v[118:119]
	v_add_f64 v[66:67], v[66:67], v[72:73]
	v_mul_f64 v[72:73], v[164:165], v[118:119]
	ds_read_b128 v[176:179], v150 offset:832
	ds_read_b128 v[180:183], v150 offset:848
	s_waitcnt vmcnt(52)
	v_fma_f64 v[4:5], v[164:165], v[120:121], -v[4:5]
	v_fmac_f64_e32 v[72:73], v[166:167], v[120:121]
	v_add_f64 v[2:3], v[2:3], v[4:5]
	s_waitcnt lgkmcnt(3)
	v_mul_f64 v[4:5], v[170:171], v[114:115]
	v_add_f64 v[66:67], v[66:67], v[72:73]
	v_mul_f64 v[72:73], v[168:169], v[114:115]
	v_fma_f64 v[4:5], v[168:169], v[116:117], -v[4:5]
	v_fmac_f64_e32 v[72:73], v[170:171], v[116:117]
	v_add_f64 v[2:3], v[2:3], v[4:5]
	s_waitcnt vmcnt(46) lgkmcnt(2)
	;; [unrolled: 17-line block ×7, first 2 shown]
	v_mul_f64 v[4:5], v[214:215], v[62:63]
	v_add_f64 v[66:67], v[66:67], v[72:73]
	v_mul_f64 v[72:73], v[212:213], v[62:63]
	s_waitcnt vmcnt(4)
	v_fma_f64 v[4:5], v[212:213], v[64:65], -v[4:5]
	v_fmac_f64_e32 v[72:73], v[214:215], v[64:65]
	v_add_f64 v[2:3], v[2:3], v[4:5]
	s_waitcnt lgkmcnt(1)
	v_mul_f64 v[4:5], v[218:219], v[58:59]
	v_add_f64 v[66:67], v[66:67], v[72:73]
	v_mul_f64 v[72:73], v[216:217], v[58:59]
	v_fma_f64 v[4:5], v[216:217], v[60:61], -v[4:5]
	v_fmac_f64_e32 v[72:73], v[218:219], v[60:61]
	v_add_f64 v[2:3], v[2:3], v[4:5]
	s_waitcnt vmcnt(2) lgkmcnt(0)
	v_mul_f64 v[4:5], v[254:255], v[68:69]
	v_add_f64 v[66:67], v[66:67], v[72:73]
	v_mul_f64 v[72:73], v[252:253], v[68:69]
	s_waitcnt vmcnt(0)
	v_fma_f64 v[4:5], v[252:253], v[70:71], -v[4:5]
	v_fmac_f64_e32 v[72:73], v[254:255], v[70:71]
	v_add_f64 v[2:3], v[2:3], v[4:5]
	v_add_f64 v[66:67], v[66:67], v[72:73]
	v_add_f64 v[2:3], v[20:21], -v[2:3]
	v_cmp_lt_u32_e32 vcc, 8, v0
	v_add_f64 v[4:5], v[18:19], -v[66:67]
	buffer_store_dword v3, off, s[0:3], 0 offset:164
	buffer_store_dword v2, off, s[0:3], 0 offset:160
	;; [unrolled: 1-line block ×4, first 2 shown]
	s_and_saveexec_b64 s[4:5], vcc
	s_cbranch_execz .LBB95_189
; %bb.188:
	v_accvgpr_read_b32 v5, a80
	buffer_load_dword v2, v5, s[0:3], 0 offen
	buffer_load_dword v3, v5, s[0:3], 0 offen offset:4
	buffer_load_dword v4, v5, s[0:3], 0 offen offset:8
	s_nop 0
	buffer_load_dword v5, v5, s[0:3], 0 offen offset:12
	v_mov_b32_e32 v6, 0
	buffer_store_dword v6, off, s[0:3], 0 offset:144
	buffer_store_dword v6, off, s[0:3], 0 offset:148
	;; [unrolled: 1-line block ×4, first 2 shown]
	s_waitcnt vmcnt(4)
	ds_write_b128 v1, v[2:5]
.LBB95_189:
	s_or_b64 exec, exec, s[4:5]
	s_waitcnt lgkmcnt(0)
	; wave barrier
	s_waitcnt lgkmcnt(0)
	buffer_load_dword v9, off, s[0:3], 0 offset:172
	buffer_load_dword v6, off, s[0:3], 0 offset:184
	;; [unrolled: 1-line block ×64, first 2 shown]
	v_mov_b32_e32 v162, 0
	ds_read_b128 v[138:141], v162 offset:656
	ds_read_b128 v[142:145], v162 offset:672
	buffer_load_dword v131, off, s[0:3], 0 offset:428
	buffer_load_dword v130, off, s[0:3], 0 offset:424
	buffer_load_dword v133, off, s[0:3], 0 offset:420
	buffer_load_dword v132, off, s[0:3], 0 offset:416
	buffer_load_dword v135, off, s[0:3], 0 offset:412
	buffer_load_dword v134, off, s[0:3], 0 offset:408
	buffer_load_dword v137, off, s[0:3], 0 offset:404
	buffer_load_dword v136, off, s[0:3], 0 offset:400
	ds_read_b128 v[146:149], v162 offset:688
	ds_read_b128 v[150:153], v162 offset:704
	buffer_load_dword v51, off, s[0:3], 0 offset:460
	buffer_load_dword v50, off, s[0:3], 0 offset:456
	;; [unrolled: 1-line block ×24, first 2 shown]
	ds_read_b128 v[154:157], v162 offset:720
	ds_read_b128 v[158:161], v162 offset:736
	;; [unrolled: 1-line block ×19, first 2 shown]
	v_cmp_lt_u32_e32 vcc, 7, v0
	s_waitcnt vmcnt(62) lgkmcnt(14)
	v_mul_f64 v[48:49], v[142:143], v[6:7]
	v_mul_f64 v[46:47], v[138:139], v[8:9]
	;; [unrolled: 1-line block ×3, first 2 shown]
	v_fma_f64 v[8:9], v[138:139], v[10:11], -v[8:9]
	v_mul_f64 v[6:7], v[144:145], v[6:7]
	v_fmac_f64_e32 v[46:47], v[140:141], v[10:11]
	v_add_f64 v[8:9], v[8:9], 0
	v_add_f64 v[46:47], v[46:47], 0
	v_fma_f64 v[6:7], v[142:143], v[14:15], -v[6:7]
	v_fmac_f64_e32 v[48:49], v[144:145], v[14:15]
	v_add_f64 v[6:7], v[8:9], v[6:7]
	v_mul_f64 v[8:9], v[148:149], v[16:17]
	v_add_f64 v[46:47], v[46:47], v[48:49]
	v_mul_f64 v[48:49], v[146:147], v[16:17]
	v_fma_f64 v[8:9], v[146:147], v[12:13], -v[8:9]
	v_fmac_f64_e32 v[48:49], v[148:149], v[12:13]
	v_add_f64 v[6:7], v[6:7], v[8:9]
	v_mul_f64 v[8:9], v[152:153], v[22:23]
	v_add_f64 v[46:47], v[46:47], v[48:49]
	v_mul_f64 v[48:49], v[150:151], v[22:23]
	;; [unrolled: 6-line block ×5, first 2 shown]
	v_fma_f64 v[8:9], v[164:165], v[28:29], -v[8:9]
	v_fmac_f64_e32 v[48:49], v[166:167], v[28:29]
	v_add_f64 v[6:7], v[6:7], v[8:9]
	s_waitcnt vmcnt(58)
	v_mul_f64 v[8:9], v[170:171], v[38:39]
	v_add_f64 v[46:47], v[46:47], v[48:49]
	v_mul_f64 v[48:49], v[168:169], v[38:39]
	s_waitcnt vmcnt(56)
	v_fma_f64 v[8:9], v[168:169], v[40:41], -v[8:9]
	v_fmac_f64_e32 v[48:49], v[170:171], v[40:41]
	v_add_f64 v[6:7], v[6:7], v[8:9]
	v_mul_f64 v[8:9], v[174:175], v[34:35]
	v_add_f64 v[46:47], v[46:47], v[48:49]
	v_mul_f64 v[48:49], v[172:173], v[34:35]
	v_fma_f64 v[8:9], v[172:173], v[36:37], -v[8:9]
	v_fmac_f64_e32 v[48:49], v[174:175], v[36:37]
	v_add_f64 v[6:7], v[6:7], v[8:9]
	s_waitcnt vmcnt(50) lgkmcnt(13)
	v_mul_f64 v[8:9], v[178:179], v[110:111]
	v_add_f64 v[46:47], v[46:47], v[48:49]
	v_mul_f64 v[48:49], v[176:177], v[110:111]
	s_waitcnt vmcnt(48)
	v_fma_f64 v[8:9], v[176:177], v[112:113], -v[8:9]
	v_fmac_f64_e32 v[48:49], v[178:179], v[112:113]
	v_add_f64 v[6:7], v[6:7], v[8:9]
	s_waitcnt lgkmcnt(12)
	v_mul_f64 v[8:9], v[182:183], v[106:107]
	v_add_f64 v[46:47], v[46:47], v[48:49]
	v_mul_f64 v[48:49], v[180:181], v[106:107]
	v_fma_f64 v[8:9], v[180:181], v[108:109], -v[8:9]
	v_fmac_f64_e32 v[48:49], v[182:183], v[108:109]
	v_add_f64 v[6:7], v[6:7], v[8:9]
	s_waitcnt vmcnt(42) lgkmcnt(11)
	v_mul_f64 v[8:9], v[186:187], v[118:119]
	v_add_f64 v[46:47], v[46:47], v[48:49]
	v_mul_f64 v[48:49], v[184:185], v[118:119]
	s_waitcnt vmcnt(40)
	v_fma_f64 v[8:9], v[184:185], v[120:121], -v[8:9]
	v_fmac_f64_e32 v[48:49], v[186:187], v[120:121]
	v_add_f64 v[6:7], v[6:7], v[8:9]
	s_waitcnt lgkmcnt(10)
	;; [unrolled: 15-line block ×7, first 2 shown]
	v_mul_f64 v[8:9], v[226:227], v[66:67]
	v_add_f64 v[46:47], v[46:47], v[48:49]
	v_mul_f64 v[48:49], v[224:225], v[66:67]
	v_fma_f64 v[8:9], v[224:225], v[68:69], -v[8:9]
	v_fmac_f64_e32 v[48:49], v[226:227], v[68:69]
	v_add_f64 v[6:7], v[6:7], v[8:9]
	v_add_f64 v[46:47], v[46:47], v[48:49]
	v_add_f64 v[4:5], v[4:5], -v[6:7]
	v_add_f64 v[2:3], v[2:3], -v[46:47]
	buffer_store_dword v5, off, s[0:3], 0 offset:148
	buffer_store_dword v4, off, s[0:3], 0 offset:144
	;; [unrolled: 1-line block ×4, first 2 shown]
	s_and_saveexec_b64 s[4:5], vcc
	s_cbranch_execz .LBB95_191
; %bb.190:
	v_accvgpr_read_b32 v5, a79
	buffer_load_dword v2, v5, s[0:3], 0 offen
	buffer_load_dword v3, v5, s[0:3], 0 offen offset:4
	buffer_load_dword v4, v5, s[0:3], 0 offen offset:8
	s_nop 0
	buffer_load_dword v5, v5, s[0:3], 0 offen offset:12
	s_nop 0
	buffer_store_dword v162, off, s[0:3], 0 offset:128
	buffer_store_dword v162, off, s[0:3], 0 offset:132
	;; [unrolled: 1-line block ×4, first 2 shown]
	s_waitcnt vmcnt(4)
	ds_write_b128 v1, v[2:5]
.LBB95_191:
	s_or_b64 exec, exec, s[4:5]
	s_waitcnt lgkmcnt(0)
	; wave barrier
	s_waitcnt lgkmcnt(0)
	buffer_load_dword v22, off, s[0:3], 0 offset:144
	buffer_load_dword v23, off, s[0:3], 0 offset:148
	;; [unrolled: 1-line block ×16, first 2 shown]
	ds_read_b128 v[2:5], v162 offset:640
	ds_read_b128 v[6:9], v162 offset:656
	;; [unrolled: 1-line block ×4, first 2 shown]
	buffer_load_dword v35, off, s[0:3], 0 offset:220
	buffer_load_dword v34, off, s[0:3], 0 offset:216
	;; [unrolled: 1-line block ×48, first 2 shown]
	v_cmp_lt_u32_e32 vcc, 6, v0
	s_waitcnt vmcnt(60) lgkmcnt(3)
	v_mul_f64 v[46:47], v[2:3], v[24:25]
	v_fmac_f64_e32 v[46:47], v[4:5], v[22:23]
	v_add_f64 v[46:47], v[46:47], 0
	v_mul_f64 v[4:5], v[4:5], v[24:25]
	s_waitcnt vmcnt(56) lgkmcnt(2)
	v_mul_f64 v[48:49], v[6:7], v[32:33]
	v_fma_f64 v[2:3], v[2:3], v[22:23], -v[4:5]
	v_mul_f64 v[4:5], v[8:9], v[32:33]
	v_add_f64 v[2:3], v[2:3], 0
	s_waitcnt vmcnt(52)
	v_fmac_f64_e32 v[48:49], v[8:9], v[28:29]
	v_add_f64 v[46:47], v[46:47], v[48:49]
	buffer_load_dword v147, off, s[0:3], 0 offset:412
	buffer_load_dword v146, off, s[0:3], 0 offset:408
	;; [unrolled: 1-line block ×32, first 2 shown]
	ds_read_b128 v[164:167], v162 offset:704
	buffer_load_dword v67, off, s[0:3], 0 offset:524
	buffer_load_dword v66, off, s[0:3], 0 offset:520
	;; [unrolled: 1-line block ×4, first 2 shown]
	v_fma_f64 v[4:5], v[6:7], v[28:29], -v[4:5]
	v_add_f64 v[2:3], v[2:3], v[4:5]
	s_waitcnt lgkmcnt(2)
	v_mul_f64 v[4:5], v[12:13], v[26:27]
	v_mul_f64 v[50:51], v[10:11], v[26:27]
	ds_read_b128 v[168:171], v162 offset:720
	ds_read_b128 v[172:175], v162 offset:736
	v_fma_f64 v[4:5], v[10:11], v[30:31], -v[4:5]
	v_fmac_f64_e32 v[50:51], v[12:13], v[30:31]
	v_add_f64 v[2:3], v[2:3], v[4:5]
	s_waitcnt vmcnt(62) lgkmcnt(3)
	v_mul_f64 v[4:5], v[16:17], v[38:39]
	v_add_f64 v[46:47], v[46:47], v[50:51]
	v_mul_f64 v[50:51], v[14:15], v[38:39]
	v_fma_f64 v[4:5], v[14:15], v[40:41], -v[4:5]
	v_fmac_f64_e32 v[50:51], v[16:17], v[40:41]
	v_add_f64 v[2:3], v[2:3], v[4:5]
	s_waitcnt lgkmcnt(2)
	v_mul_f64 v[4:5], v[166:167], v[34:35]
	v_add_f64 v[46:47], v[46:47], v[50:51]
	v_mul_f64 v[50:51], v[164:165], v[34:35]
	ds_read_b128 v[176:179], v162 offset:752
	ds_read_b128 v[180:183], v162 offset:768
	v_fma_f64 v[4:5], v[164:165], v[36:37], -v[4:5]
	v_fmac_f64_e32 v[50:51], v[166:167], v[36:37]
	v_add_f64 v[2:3], v[2:3], v[4:5]
	s_waitcnt lgkmcnt(3)
	v_mul_f64 v[4:5], v[170:171], v[110:111]
	v_add_f64 v[46:47], v[46:47], v[50:51]
	v_mul_f64 v[50:51], v[168:169], v[110:111]
	v_fma_f64 v[4:5], v[168:169], v[112:113], -v[4:5]
	v_fmac_f64_e32 v[50:51], v[170:171], v[112:113]
	v_add_f64 v[2:3], v[2:3], v[4:5]
	s_waitcnt lgkmcnt(2)
	v_mul_f64 v[4:5], v[174:175], v[106:107]
	v_add_f64 v[46:47], v[46:47], v[50:51]
	v_mul_f64 v[50:51], v[172:173], v[106:107]
	ds_read_b128 v[184:187], v162 offset:784
	ds_read_b128 v[188:191], v162 offset:800
	v_fma_f64 v[4:5], v[172:173], v[108:109], -v[4:5]
	v_fmac_f64_e32 v[50:51], v[174:175], v[108:109]
	v_add_f64 v[2:3], v[2:3], v[4:5]
	s_waitcnt lgkmcnt(3)
	v_mul_f64 v[4:5], v[178:179], v[118:119]
	v_add_f64 v[46:47], v[46:47], v[50:51]
	v_mul_f64 v[50:51], v[176:177], v[118:119]
	s_waitcnt vmcnt(60)
	v_fma_f64 v[4:5], v[176:177], v[120:121], -v[4:5]
	v_fmac_f64_e32 v[50:51], v[178:179], v[120:121]
	v_add_f64 v[2:3], v[2:3], v[4:5]
	s_waitcnt lgkmcnt(2)
	v_mul_f64 v[4:5], v[182:183], v[114:115]
	v_add_f64 v[46:47], v[46:47], v[50:51]
	v_mul_f64 v[50:51], v[180:181], v[114:115]
	ds_read_b128 v[192:195], v162 offset:816
	ds_read_b128 v[196:199], v162 offset:832
	v_fma_f64 v[4:5], v[180:181], v[116:117], -v[4:5]
	v_fmac_f64_e32 v[50:51], v[182:183], v[116:117]
	v_add_f64 v[2:3], v[2:3], v[4:5]
	s_waitcnt vmcnt(54) lgkmcnt(3)
	v_mul_f64 v[4:5], v[186:187], v[126:127]
	v_add_f64 v[46:47], v[46:47], v[50:51]
	v_mul_f64 v[50:51], v[184:185], v[126:127]
	s_waitcnt vmcnt(52)
	v_fma_f64 v[4:5], v[184:185], v[128:129], -v[4:5]
	v_fmac_f64_e32 v[50:51], v[186:187], v[128:129]
	v_add_f64 v[2:3], v[2:3], v[4:5]
	s_waitcnt lgkmcnt(2)
	v_mul_f64 v[4:5], v[190:191], v[122:123]
	v_add_f64 v[46:47], v[46:47], v[50:51]
	v_mul_f64 v[50:51], v[188:189], v[122:123]
	ds_read_b128 v[200:203], v162 offset:848
	ds_read_b128 v[204:207], v162 offset:864
	v_fma_f64 v[4:5], v[188:189], v[124:125], -v[4:5]
	v_fmac_f64_e32 v[50:51], v[190:191], v[124:125]
	v_add_f64 v[2:3], v[2:3], v[4:5]
	s_waitcnt vmcnt(46) lgkmcnt(3)
	;; [unrolled: 17-line block ×6, first 2 shown]
	v_mul_f64 v[4:5], v[226:227], v[54:55]
	v_add_f64 v[46:47], v[46:47], v[50:51]
	v_mul_f64 v[50:51], v[224:225], v[54:55]
	s_waitcnt vmcnt(12)
	v_fma_f64 v[4:5], v[224:225], v[56:57], -v[4:5]
	v_fmac_f64_e32 v[50:51], v[226:227], v[56:57]
	v_add_f64 v[2:3], v[2:3], v[4:5]
	s_waitcnt lgkmcnt(2)
	v_mul_f64 v[4:5], v[254:255], v[48:49]
	v_add_f64 v[46:47], v[46:47], v[50:51]
	v_mul_f64 v[50:51], v[252:253], v[48:49]
	ds_read_b128 v[236:239], v162 offset:1008
	v_fma_f64 v[4:5], v[252:253], v[52:53], -v[4:5]
	v_fmac_f64_e32 v[50:51], v[254:255], v[52:53]
	v_add_f64 v[2:3], v[2:3], v[4:5]
	s_waitcnt vmcnt(6) lgkmcnt(2)
	v_mul_f64 v[4:5], v[230:231], v[62:63]
	v_add_f64 v[46:47], v[46:47], v[50:51]
	v_mul_f64 v[50:51], v[228:229], v[62:63]
	s_waitcnt vmcnt(4)
	v_fma_f64 v[4:5], v[228:229], v[64:65], -v[4:5]
	v_fmac_f64_e32 v[50:51], v[230:231], v[64:65]
	v_add_f64 v[2:3], v[2:3], v[4:5]
	s_waitcnt lgkmcnt(1)
	v_mul_f64 v[4:5], v[234:235], v[58:59]
	v_add_f64 v[46:47], v[46:47], v[50:51]
	v_mul_f64 v[50:51], v[232:233], v[58:59]
	v_fma_f64 v[4:5], v[232:233], v[60:61], -v[4:5]
	v_fmac_f64_e32 v[50:51], v[234:235], v[60:61]
	v_add_f64 v[2:3], v[2:3], v[4:5]
	s_waitcnt vmcnt(2) lgkmcnt(0)
	v_mul_f64 v[4:5], v[238:239], v[66:67]
	v_add_f64 v[46:47], v[46:47], v[50:51]
	v_mul_f64 v[50:51], v[236:237], v[66:67]
	s_waitcnt vmcnt(0)
	v_fma_f64 v[4:5], v[236:237], v[68:69], -v[4:5]
	v_fmac_f64_e32 v[50:51], v[238:239], v[68:69]
	v_add_f64 v[2:3], v[2:3], v[4:5]
	v_add_f64 v[46:47], v[46:47], v[50:51]
	v_add_f64 v[2:3], v[20:21], -v[2:3]
	v_add_f64 v[4:5], v[18:19], -v[46:47]
	buffer_store_dword v3, off, s[0:3], 0 offset:132
	buffer_store_dword v2, off, s[0:3], 0 offset:128
	;; [unrolled: 1-line block ×4, first 2 shown]
	s_and_saveexec_b64 s[4:5], vcc
	s_cbranch_execz .LBB95_193
; %bb.192:
	v_accvgpr_read_b32 v5, a83
	buffer_load_dword v2, v5, s[0:3], 0 offen
	buffer_load_dword v3, v5, s[0:3], 0 offen offset:4
	buffer_load_dword v4, v5, s[0:3], 0 offen offset:8
	s_nop 0
	buffer_load_dword v5, v5, s[0:3], 0 offen offset:12
	v_mov_b32_e32 v6, 0
	buffer_store_dword v6, off, s[0:3], 0 offset:112
	buffer_store_dword v6, off, s[0:3], 0 offset:116
	;; [unrolled: 1-line block ×4, first 2 shown]
	s_waitcnt vmcnt(4)
	ds_write_b128 v1, v[2:5]
.LBB95_193:
	s_or_b64 exec, exec, s[4:5]
	s_waitcnt lgkmcnt(0)
	; wave barrier
	s_waitcnt lgkmcnt(0)
	buffer_load_dword v22, off, s[0:3], 0 offset:128
	buffer_load_dword v23, off, s[0:3], 0 offset:132
	;; [unrolled: 1-line block ×64, first 2 shown]
	v_mov_b32_e32 v178, 0
	ds_read_b128 v[18:21], v178 offset:624
	ds_read_b128 v[14:17], v178 offset:640
	ds_read_b128 v[10:13], v178 offset:656
	ds_read_b128 v[6:9], v178 offset:672
	ds_read_b128 v[2:5], v178 offset:688
	v_cmp_lt_u32_e32 vcc, 5, v0
	s_waitcnt vmcnt(60) lgkmcnt(4)
	v_mul_f64 v[46:47], v[18:19], v[26:27]
	v_fmac_f64_e32 v[46:47], v[20:21], v[22:23]
	v_add_f64 v[46:47], v[46:47], 0
	v_mul_f64 v[20:21], v[20:21], v[26:27]
	s_waitcnt vmcnt(56) lgkmcnt(3)
	v_mul_f64 v[48:49], v[14:15], v[28:29]
	v_fmac_f64_e32 v[48:49], v[16:17], v[24:25]
	s_waitcnt vmcnt(54) lgkmcnt(2)
	v_mul_f64 v[50:51], v[10:11], v[30:31]
	v_add_f64 v[46:47], v[46:47], v[48:49]
	v_fma_f64 v[18:19], v[18:19], v[22:23], -v[20:21]
	v_mul_f64 v[16:17], v[16:17], v[28:29]
	s_waitcnt vmcnt(50) lgkmcnt(1)
	v_mul_f64 v[52:53], v[6:7], v[40:41]
	v_add_f64 v[18:19], v[18:19], 0
	s_waitcnt vmcnt(48)
	v_fmac_f64_e32 v[50:51], v[12:13], v[108:109]
	v_add_f64 v[46:47], v[46:47], v[50:51]
	buffer_load_dword v151, off, s[0:3], 0 offset:396
	buffer_load_dword v150, off, s[0:3], 0 offset:392
	buffer_load_dword v153, off, s[0:3], 0 offset:388
	buffer_load_dword v152, off, s[0:3], 0 offset:384
	buffer_load_dword v155, off, s[0:3], 0 offset:380
	buffer_load_dword v154, off, s[0:3], 0 offset:376
	buffer_load_dword v157, off, s[0:3], 0 offset:372
	buffer_load_dword v156, off, s[0:3], 0 offset:368
	buffer_load_dword v159, off, s[0:3], 0 offset:428
	buffer_load_dword v158, off, s[0:3], 0 offset:424
	buffer_load_dword v161, off, s[0:3], 0 offset:420
	buffer_load_dword v160, off, s[0:3], 0 offset:416
	buffer_load_dword v163, off, s[0:3], 0 offset:412
	buffer_load_dword v162, off, s[0:3], 0 offset:408
	buffer_load_dword v165, off, s[0:3], 0 offset:404
	buffer_load_dword v164, off, s[0:3], 0 offset:400
	buffer_load_dword v49, off, s[0:3], 0 offset:460
	buffer_load_dword v48, off, s[0:3], 0 offset:456
	buffer_load_dword v51, off, s[0:3], 0 offset:452
	buffer_load_dword v50, off, s[0:3], 0 offset:448
	buffer_load_dword v55, off, s[0:3], 0 offset:444
	buffer_load_dword v54, off, s[0:3], 0 offset:440
	buffer_load_dword v57, off, s[0:3], 0 offset:436
	buffer_load_dword v56, off, s[0:3], 0 offset:432
	buffer_load_dword v59, off, s[0:3], 0 offset:492
	buffer_load_dword v58, off, s[0:3], 0 offset:488
	buffer_load_dword v61, off, s[0:3], 0 offset:484
	buffer_load_dword v60, off, s[0:3], 0 offset:480
	buffer_load_dword v63, off, s[0:3], 0 offset:476
	buffer_load_dword v62, off, s[0:3], 0 offset:472
	buffer_load_dword v65, off, s[0:3], 0 offset:468
	buffer_load_dword v64, off, s[0:3], 0 offset:464
	buffer_load_dword v67, off, s[0:3], 0 offset:524
	buffer_load_dword v66, off, s[0:3], 0 offset:520
	buffer_load_dword v69, off, s[0:3], 0 offset:516
	buffer_load_dword v68, off, s[0:3], 0 offset:512
	buffer_load_dword v71, off, s[0:3], 0 offset:508
	buffer_load_dword v70, off, s[0:3], 0 offset:504
	buffer_load_dword v73, off, s[0:3], 0 offset:500
	buffer_load_dword v72, off, s[0:3], 0 offset:496
	ds_read_b128 v[166:169], v178 offset:704
	ds_read_b128 v[170:173], v178 offset:720
	s_waitcnt vmcnt(62)
	v_fmac_f64_e32 v[52:53], v[8:9], v[106:107]
	v_fma_f64 v[14:15], v[14:15], v[24:25], -v[16:17]
	v_mul_f64 v[12:13], v[12:13], v[30:31]
	v_add_f64 v[46:47], v[46:47], v[52:53]
	s_waitcnt lgkmcnt(2)
	v_mul_f64 v[52:53], v[2:3], v[36:37]
	v_add_f64 v[14:15], v[18:19], v[14:15]
	v_fma_f64 v[10:11], v[10:11], v[108:109], -v[12:13]
	v_mul_f64 v[8:9], v[8:9], v[40:41]
	v_fmac_f64_e32 v[52:53], v[4:5], v[38:39]
	ds_read_b128 v[174:177], v178 offset:736
	ds_read_b128 v[180:183], v178 offset:752
	v_add_f64 v[10:11], v[14:15], v[10:11]
	v_fma_f64 v[6:7], v[6:7], v[106:107], -v[8:9]
	v_mul_f64 v[4:5], v[4:5], v[36:37]
	v_add_f64 v[6:7], v[10:11], v[6:7]
	v_fma_f64 v[2:3], v[2:3], v[38:39], -v[4:5]
	s_waitcnt lgkmcnt(3)
	v_mul_f64 v[4:5], v[168:169], v[114:115]
	v_add_f64 v[46:47], v[46:47], v[52:53]
	v_mul_f64 v[52:53], v[166:167], v[114:115]
	v_add_f64 v[2:3], v[6:7], v[2:3]
	v_fma_f64 v[4:5], v[166:167], v[116:117], -v[4:5]
	v_fmac_f64_e32 v[52:53], v[168:169], v[116:117]
	v_add_f64 v[2:3], v[2:3], v[4:5]
	s_waitcnt lgkmcnt(2)
	v_mul_f64 v[4:5], v[172:173], v[110:111]
	v_add_f64 v[46:47], v[46:47], v[52:53]
	v_mul_f64 v[52:53], v[170:171], v[110:111]
	ds_read_b128 v[184:187], v178 offset:768
	ds_read_b128 v[188:191], v178 offset:784
	v_fma_f64 v[4:5], v[170:171], v[112:113], -v[4:5]
	v_fmac_f64_e32 v[52:53], v[172:173], v[112:113]
	v_add_f64 v[2:3], v[2:3], v[4:5]
	s_waitcnt lgkmcnt(3)
	v_mul_f64 v[4:5], v[176:177], v[122:123]
	v_add_f64 v[46:47], v[46:47], v[52:53]
	v_mul_f64 v[52:53], v[174:175], v[122:123]
	v_fma_f64 v[4:5], v[174:175], v[124:125], -v[4:5]
	v_fmac_f64_e32 v[52:53], v[176:177], v[124:125]
	v_add_f64 v[2:3], v[2:3], v[4:5]
	s_waitcnt lgkmcnt(2)
	v_mul_f64 v[4:5], v[182:183], v[118:119]
	v_add_f64 v[46:47], v[46:47], v[52:53]
	v_mul_f64 v[52:53], v[180:181], v[118:119]
	ds_read_b128 v[192:195], v178 offset:800
	ds_read_b128 v[196:199], v178 offset:816
	v_fma_f64 v[4:5], v[180:181], v[120:121], -v[4:5]
	v_fmac_f64_e32 v[52:53], v[182:183], v[120:121]
	v_add_f64 v[2:3], v[2:3], v[4:5]
	s_waitcnt vmcnt(58) lgkmcnt(3)
	v_mul_f64 v[4:5], v[186:187], v[130:131]
	v_add_f64 v[46:47], v[46:47], v[52:53]
	v_mul_f64 v[52:53], v[184:185], v[130:131]
	s_waitcnt vmcnt(56)
	v_fma_f64 v[4:5], v[184:185], v[132:133], -v[4:5]
	v_fmac_f64_e32 v[52:53], v[186:187], v[132:133]
	v_add_f64 v[2:3], v[2:3], v[4:5]
	s_waitcnt lgkmcnt(2)
	v_mul_f64 v[4:5], v[190:191], v[126:127]
	v_add_f64 v[46:47], v[46:47], v[52:53]
	v_mul_f64 v[52:53], v[188:189], v[126:127]
	ds_read_b128 v[200:203], v178 offset:832
	ds_read_b128 v[204:207], v178 offset:848
	v_fma_f64 v[4:5], v[188:189], v[128:129], -v[4:5]
	v_fmac_f64_e32 v[52:53], v[190:191], v[128:129]
	v_add_f64 v[2:3], v[2:3], v[4:5]
	s_waitcnt vmcnt(50) lgkmcnt(3)
	v_mul_f64 v[4:5], v[194:195], v[138:139]
	v_add_f64 v[46:47], v[46:47], v[52:53]
	v_mul_f64 v[52:53], v[192:193], v[138:139]
	s_waitcnt vmcnt(48)
	;; [unrolled: 17-line block ×7, first 2 shown]
	v_fma_f64 v[4:5], v[232:233], v[64:65], -v[4:5]
	v_fmac_f64_e32 v[52:53], v[234:235], v[64:65]
	v_add_f64 v[2:3], v[2:3], v[4:5]
	s_waitcnt lgkmcnt(2)
	v_mul_f64 v[4:5], v[238:239], v[58:59]
	v_add_f64 v[46:47], v[46:47], v[52:53]
	v_mul_f64 v[52:53], v[236:237], v[58:59]
	v_fma_f64 v[4:5], v[236:237], v[60:61], -v[4:5]
	v_fmac_f64_e32 v[52:53], v[238:239], v[60:61]
	v_add_f64 v[2:3], v[2:3], v[4:5]
	s_waitcnt vmcnt(2) lgkmcnt(1)
	v_mul_f64 v[4:5], v[254:255], v[70:71]
	v_add_f64 v[46:47], v[46:47], v[52:53]
	v_mul_f64 v[52:53], v[252:253], v[70:71]
	s_waitcnt vmcnt(0)
	v_fma_f64 v[4:5], v[252:253], v[72:73], -v[4:5]
	v_fmac_f64_e32 v[52:53], v[254:255], v[72:73]
	v_add_f64 v[2:3], v[2:3], v[4:5]
	s_waitcnt lgkmcnt(0)
	v_mul_f64 v[4:5], v[242:243], v[66:67]
	v_add_f64 v[46:47], v[46:47], v[52:53]
	v_mul_f64 v[52:53], v[240:241], v[66:67]
	v_fma_f64 v[4:5], v[240:241], v[68:69], -v[4:5]
	v_fmac_f64_e32 v[52:53], v[242:243], v[68:69]
	v_add_f64 v[2:3], v[2:3], v[4:5]
	v_add_f64 v[46:47], v[46:47], v[52:53]
	v_add_f64 v[2:3], v[34:35], -v[2:3]
	v_add_f64 v[4:5], v[32:33], -v[46:47]
	buffer_store_dword v3, off, s[0:3], 0 offset:116
	buffer_store_dword v2, off, s[0:3], 0 offset:112
	;; [unrolled: 1-line block ×4, first 2 shown]
	s_and_saveexec_b64 s[4:5], vcc
	s_cbranch_execz .LBB95_195
; %bb.194:
	v_accvgpr_read_b32 v5, a82
	buffer_load_dword v2, v5, s[0:3], 0 offen
	buffer_load_dword v3, v5, s[0:3], 0 offen offset:4
	buffer_load_dword v4, v5, s[0:3], 0 offen offset:8
	s_nop 0
	buffer_load_dword v5, v5, s[0:3], 0 offen offset:12
	s_nop 0
	buffer_store_dword v178, off, s[0:3], 0 offset:96
	buffer_store_dword v178, off, s[0:3], 0 offset:100
	;; [unrolled: 1-line block ×4, first 2 shown]
	s_waitcnt vmcnt(4)
	ds_write_b128 v1, v[2:5]
.LBB95_195:
	s_or_b64 exec, exec, s[4:5]
	s_waitcnt lgkmcnt(0)
	; wave barrier
	s_waitcnt lgkmcnt(0)
	buffer_load_dword v26, off, s[0:3], 0 offset:112
	buffer_load_dword v27, off, s[0:3], 0 offset:116
	;; [unrolled: 1-line block ×24, first 2 shown]
	ds_read_b128 v[22:25], v178 offset:608
	ds_read_b128 v[18:21], v178 offset:624
	;; [unrolled: 1-line block ×6, first 2 shown]
	buffer_load_dword v115, off, s[0:3], 0 offset:220
	buffer_load_dword v114, off, s[0:3], 0 offset:216
	;; [unrolled: 1-line block ×40, first 2 shown]
	v_cmp_lt_u32_e32 vcc, 4, v0
	s_waitcnt vmcnt(60) lgkmcnt(5)
	v_mul_f64 v[46:47], v[22:23], v[28:29]
	v_fmac_f64_e32 v[46:47], v[24:25], v[26:27]
	s_waitcnt vmcnt(58) lgkmcnt(4)
	v_mul_f64 v[48:49], v[18:19], v[30:31]
	v_add_f64 v[46:47], v[46:47], 0
	s_waitcnt vmcnt(56) lgkmcnt(3)
	v_mul_f64 v[50:51], v[10:11], v[32:33]
	v_mul_f64 v[24:25], v[24:25], v[28:29]
	s_waitcnt vmcnt(54) lgkmcnt(1)
	v_mul_f64 v[54:55], v[2:3], v[38:39]
	v_fma_f64 v[22:23], v[22:23], v[26:27], -v[24:25]
	v_add_f64 v[22:23], v[22:23], 0
	s_waitcnt vmcnt(51)
	v_mul_f64 v[52:53], v[6:7], v[106:107]
	s_waitcnt vmcnt(49)
	v_fmac_f64_e32 v[48:49], v[20:21], v[112:113]
	v_add_f64 v[46:47], v[46:47], v[48:49]
	s_waitcnt vmcnt(47)
	v_fmac_f64_e32 v[50:51], v[12:13], v[110:111]
	v_add_f64 v[46:47], v[46:47], v[50:51]
	;; [unrolled: 3-line block ×3, first 2 shown]
	buffer_load_dword v155, off, s[0:3], 0 offset:380
	buffer_load_dword v154, off, s[0:3], 0 offset:376
	;; [unrolled: 1-line block ×40, first 2 shown]
	s_waitcnt vmcnt(62)
	v_fmac_f64_e32 v[54:55], v[4:5], v[40:41]
	v_add_f64 v[46:47], v[46:47], v[54:55]
	ds_read_b128 v[180:183], v178 offset:704
	buffer_load_dword v55, off, s[0:3], 0 offset:524
	buffer_load_dword v54, off, s[0:3], 0 offset:520
	;; [unrolled: 1-line block ×4, first 2 shown]
	v_mul_f64 v[20:21], v[20:21], v[30:31]
	v_fma_f64 v[18:19], v[18:19], v[112:113], -v[20:21]
	v_mul_f64 v[12:13], v[12:13], v[32:33]
	ds_read_b128 v[184:187], v178 offset:720
	ds_read_b128 v[188:191], v178 offset:736
	v_add_f64 v[18:19], v[22:23], v[18:19]
	v_fma_f64 v[10:11], v[10:11], v[110:111], -v[12:13]
	v_mul_f64 v[8:9], v[8:9], v[106:107]
	s_waitcnt lgkmcnt(3)
	v_mul_f64 v[48:49], v[14:15], v[118:119]
	v_add_f64 v[10:11], v[18:19], v[10:11]
	v_fma_f64 v[6:7], v[6:7], v[108:109], -v[8:9]
	v_mul_f64 v[4:5], v[4:5], v[38:39]
	v_fmac_f64_e32 v[48:49], v[16:17], v[120:121]
	v_add_f64 v[6:7], v[10:11], v[6:7]
	v_fma_f64 v[2:3], v[2:3], v[40:41], -v[4:5]
	v_mul_f64 v[4:5], v[16:17], v[118:119]
	v_add_f64 v[46:47], v[46:47], v[48:49]
	s_waitcnt lgkmcnt(2)
	v_mul_f64 v[48:49], v[180:181], v[114:115]
	v_add_f64 v[2:3], v[6:7], v[2:3]
	v_fma_f64 v[4:5], v[14:15], v[120:121], -v[4:5]
	v_fmac_f64_e32 v[48:49], v[182:183], v[116:117]
	ds_read_b128 v[192:195], v178 offset:752
	ds_read_b128 v[196:199], v178 offset:768
	v_add_f64 v[2:3], v[2:3], v[4:5]
	v_mul_f64 v[4:5], v[182:183], v[114:115]
	v_add_f64 v[46:47], v[46:47], v[48:49]
	s_waitcnt lgkmcnt(3)
	v_mul_f64 v[48:49], v[184:185], v[126:127]
	v_fma_f64 v[4:5], v[180:181], v[116:117], -v[4:5]
	v_fmac_f64_e32 v[48:49], v[186:187], v[128:129]
	v_add_f64 v[2:3], v[2:3], v[4:5]
	v_mul_f64 v[4:5], v[186:187], v[126:127]
	v_add_f64 v[46:47], v[46:47], v[48:49]
	s_waitcnt lgkmcnt(2)
	v_mul_f64 v[48:49], v[188:189], v[122:123]
	v_fma_f64 v[4:5], v[184:185], v[128:129], -v[4:5]
	v_fmac_f64_e32 v[48:49], v[190:191], v[124:125]
	ds_read_b128 v[200:203], v178 offset:784
	ds_read_b128 v[204:207], v178 offset:800
	v_add_f64 v[2:3], v[2:3], v[4:5]
	v_mul_f64 v[4:5], v[190:191], v[122:123]
	v_add_f64 v[46:47], v[46:47], v[48:49]
	s_waitcnt vmcnt(62) lgkmcnt(3)
	v_mul_f64 v[48:49], v[192:193], v[134:135]
	v_fma_f64 v[4:5], v[188:189], v[124:125], -v[4:5]
	s_waitcnt vmcnt(60)
	v_fmac_f64_e32 v[48:49], v[194:195], v[136:137]
	v_add_f64 v[2:3], v[2:3], v[4:5]
	v_mul_f64 v[4:5], v[194:195], v[134:135]
	v_add_f64 v[46:47], v[46:47], v[48:49]
	s_waitcnt lgkmcnt(2)
	v_mul_f64 v[48:49], v[196:197], v[130:131]
	v_fma_f64 v[4:5], v[192:193], v[136:137], -v[4:5]
	v_fmac_f64_e32 v[48:49], v[198:199], v[132:133]
	ds_read_b128 v[208:211], v178 offset:816
	ds_read_b128 v[212:215], v178 offset:832
	v_add_f64 v[2:3], v[2:3], v[4:5]
	v_mul_f64 v[4:5], v[198:199], v[130:131]
	v_add_f64 v[46:47], v[46:47], v[48:49]
	s_waitcnt vmcnt(54) lgkmcnt(3)
	v_mul_f64 v[48:49], v[200:201], v[142:143]
	v_fma_f64 v[4:5], v[196:197], v[132:133], -v[4:5]
	s_waitcnt vmcnt(52)
	;; [unrolled: 17-line block ×6, first 2 shown]
	v_fmac_f64_e32 v[48:49], v[234:235], v[176:177]
	v_add_f64 v[2:3], v[2:3], v[4:5]
	v_mul_f64 v[4:5], v[234:235], v[174:175]
	v_add_f64 v[46:47], v[46:47], v[48:49]
	s_waitcnt lgkmcnt(2)
	v_mul_f64 v[48:49], v[236:237], v[170:171]
	v_fma_f64 v[4:5], v[232:233], v[176:177], -v[4:5]
	v_fmac_f64_e32 v[48:49], v[238:239], v[172:173]
	v_add_f64 v[2:3], v[2:3], v[4:5]
	v_mul_f64 v[4:5], v[238:239], v[170:171]
	v_add_f64 v[46:47], v[46:47], v[48:49]
	s_waitcnt vmcnt(14) lgkmcnt(1)
	v_mul_f64 v[48:49], v[240:241], v[56:57]
	ds_read_b128 v[244:247], v178 offset:976
	ds_read_b128 v[248:251], v178 offset:992
	v_fma_f64 v[4:5], v[236:237], v[172:173], -v[4:5]
	s_waitcnt vmcnt(12)
	v_fmac_f64_e32 v[48:49], v[242:243], v[58:59]
	v_add_f64 v[2:3], v[2:3], v[4:5]
	v_mul_f64 v[4:5], v[242:243], v[56:57]
	v_add_f64 v[46:47], v[46:47], v[48:49]
	s_waitcnt lgkmcnt(2)
	v_mul_f64 v[48:49], v[252:253], v[50:51]
	v_fma_f64 v[4:5], v[240:241], v[58:59], -v[4:5]
	v_fmac_f64_e32 v[48:49], v[254:255], v[52:53]
	v_add_f64 v[2:3], v[2:3], v[4:5]
	v_mul_f64 v[4:5], v[254:255], v[50:51]
	v_add_f64 v[70:71], v[46:47], v[48:49]
	ds_read_b128 v[46:49], v178 offset:1008
	v_fma_f64 v[4:5], v[252:253], v[52:53], -v[4:5]
	v_add_f64 v[2:3], v[2:3], v[4:5]
	s_waitcnt vmcnt(6) lgkmcnt(2)
	v_mul_f64 v[4:5], v[246:247], v[64:65]
	v_mul_f64 v[72:73], v[244:245], v[64:65]
	s_waitcnt vmcnt(4)
	v_fma_f64 v[4:5], v[244:245], v[66:67], -v[4:5]
	v_fmac_f64_e32 v[72:73], v[246:247], v[66:67]
	v_add_f64 v[2:3], v[2:3], v[4:5]
	s_waitcnt lgkmcnt(1)
	v_mul_f64 v[4:5], v[250:251], v[60:61]
	v_add_f64 v[70:71], v[70:71], v[72:73]
	v_mul_f64 v[72:73], v[248:249], v[60:61]
	v_fma_f64 v[4:5], v[248:249], v[62:63], -v[4:5]
	v_fmac_f64_e32 v[72:73], v[250:251], v[62:63]
	v_add_f64 v[2:3], v[2:3], v[4:5]
	s_waitcnt vmcnt(2) lgkmcnt(0)
	v_mul_f64 v[4:5], v[48:49], v[54:55]
	v_add_f64 v[70:71], v[70:71], v[72:73]
	v_mul_f64 v[72:73], v[46:47], v[54:55]
	s_waitcnt vmcnt(0)
	v_fma_f64 v[4:5], v[46:47], v[68:69], -v[4:5]
	v_fmac_f64_e32 v[72:73], v[48:49], v[68:69]
	v_add_f64 v[2:3], v[2:3], v[4:5]
	v_add_f64 v[70:71], v[70:71], v[72:73]
	v_add_f64 v[2:3], v[36:37], -v[2:3]
	v_add_f64 v[4:5], v[34:35], -v[70:71]
	buffer_store_dword v3, off, s[0:3], 0 offset:100
	buffer_store_dword v2, off, s[0:3], 0 offset:96
	;; [unrolled: 1-line block ×4, first 2 shown]
	s_and_saveexec_b64 s[4:5], vcc
	s_cbranch_execz .LBB95_197
; %bb.196:
	v_accvgpr_read_b32 v5, a81
	buffer_load_dword v2, v5, s[0:3], 0 offen
	buffer_load_dword v3, v5, s[0:3], 0 offen offset:4
	buffer_load_dword v4, v5, s[0:3], 0 offen offset:8
	s_nop 0
	buffer_load_dword v5, v5, s[0:3], 0 offen offset:12
	v_mov_b32_e32 v6, 0
	buffer_store_dword v6, off, s[0:3], 0 offset:80
	buffer_store_dword v6, off, s[0:3], 0 offset:84
	;; [unrolled: 1-line block ×4, first 2 shown]
	s_waitcnt vmcnt(4)
	ds_write_b128 v1, v[2:5]
.LBB95_197:
	s_or_b64 exec, exec, s[4:5]
	s_waitcnt lgkmcnt(0)
	; wave barrier
	s_waitcnt lgkmcnt(0)
	buffer_load_dword v30, off, s[0:3], 0 offset:96
	buffer_load_dword v31, off, s[0:3], 0 offset:100
	;; [unrolled: 1-line block ×56, first 2 shown]
	v_mov_b32_e32 v198, 0
	ds_read_b128 v[26:29], v198 offset:592
	ds_read_b128 v[22:25], v198 offset:608
	;; [unrolled: 1-line block ×7, first 2 shown]
	buffer_load_dword v151, off, s[0:3], 0 offset:332
	buffer_load_dword v150, off, s[0:3], 0 offset:328
	;; [unrolled: 1-line block ×56, first 2 shown]
	ds_read_b128 v[192:195], v198 offset:736
	ds_read_b128 v[200:203], v198 offset:752
	;; [unrolled: 1-line block ×15, first 2 shown]
	v_cmp_lt_u32_e32 vcc, 3, v0
	ds_read_b128 v[188:191], v198 offset:720
	ds_read_b128 v[58:61], v198 offset:1008
	s_waitcnt vmcnt(62) lgkmcnt(14)
	v_mul_f64 v[46:47], v[26:27], v[34:35]
	v_fmac_f64_e32 v[46:47], v[28:29], v[30:31]
	v_add_f64 v[46:47], v[46:47], 0
	v_mul_f64 v[28:29], v[28:29], v[34:35]
	v_mul_f64 v[48:49], v[22:23], v[36:37]
	v_fmac_f64_e32 v[48:49], v[24:25], v[32:33]
	v_mul_f64 v[50:51], v[18:19], v[38:39]
	v_add_f64 v[46:47], v[46:47], v[48:49]
	v_mul_f64 v[54:55], v[10:11], v[40:41]
	v_fma_f64 v[26:27], v[26:27], v[30:31], -v[28:29]
	v_fmac_f64_e32 v[54:55], v[12:13], v[106:107]
	v_mul_f64 v[24:25], v[24:25], v[36:37]
	v_mul_f64 v[52:53], v[14:15], v[112:113]
	v_add_f64 v[26:27], v[26:27], 0
	v_fma_f64 v[22:23], v[22:23], v[32:33], -v[24:25]
	v_add_f64 v[22:23], v[26:27], v[22:23]
	v_mul_f64 v[174:175], v[6:7], v[118:119]
	v_mul_f64 v[12:13], v[12:13], v[40:41]
	v_fmac_f64_e32 v[50:51], v[20:21], v[124:125]
	v_add_f64 v[46:47], v[46:47], v[50:51]
	v_fmac_f64_e32 v[52:53], v[16:17], v[122:123]
	v_add_f64 v[46:47], v[46:47], v[52:53]
	v_add_f64 v[180:181], v[46:47], v[54:55]
	ds_read_b128 v[46:49], v198 offset:704
	v_fmac_f64_e32 v[174:175], v[8:9], v[120:121]
	v_mul_f64 v[52:53], v[2:3], v[114:115]
	v_mul_f64 v[20:21], v[20:21], v[38:39]
	v_add_f64 v[50:51], v[180:181], v[174:175]
	v_fmac_f64_e32 v[52:53], v[4:5], v[116:117]
	v_fma_f64 v[18:19], v[18:19], v[124:125], -v[20:21]
	v_mul_f64 v[16:17], v[16:17], v[112:113]
	v_add_f64 v[50:51], v[50:51], v[52:53]
	s_waitcnt lgkmcnt(0)
	v_mul_f64 v[52:53], v[46:47], v[130:131]
	v_add_f64 v[18:19], v[22:23], v[18:19]
	v_fma_f64 v[14:15], v[14:15], v[122:123], -v[16:17]
	v_fmac_f64_e32 v[52:53], v[48:49], v[132:133]
	v_add_f64 v[14:15], v[18:19], v[14:15]
	v_fma_f64 v[10:11], v[10:11], v[106:107], -v[12:13]
	v_mul_f64 v[8:9], v[8:9], v[118:119]
	v_add_f64 v[50:51], v[50:51], v[52:53]
	v_mul_f64 v[52:53], v[188:189], v[126:127]
	v_add_f64 v[10:11], v[14:15], v[10:11]
	v_fma_f64 v[6:7], v[6:7], v[120:121], -v[8:9]
	v_mul_f64 v[4:5], v[4:5], v[114:115]
	v_fmac_f64_e32 v[52:53], v[190:191], v[128:129]
	v_add_f64 v[6:7], v[10:11], v[6:7]
	v_fma_f64 v[2:3], v[2:3], v[116:117], -v[4:5]
	v_mul_f64 v[4:5], v[48:49], v[130:131]
	v_add_f64 v[50:51], v[50:51], v[52:53]
	v_mul_f64 v[52:53], v[192:193], v[138:139]
	v_add_f64 v[2:3], v[6:7], v[2:3]
	v_fma_f64 v[4:5], v[46:47], v[132:133], -v[4:5]
	v_fmac_f64_e32 v[52:53], v[194:195], v[140:141]
	v_add_f64 v[2:3], v[2:3], v[4:5]
	v_mul_f64 v[4:5], v[190:191], v[126:127]
	v_add_f64 v[50:51], v[50:51], v[52:53]
	v_mul_f64 v[52:53], v[200:201], v[134:135]
	v_fma_f64 v[4:5], v[188:189], v[128:129], -v[4:5]
	v_fmac_f64_e32 v[52:53], v[202:203], v[136:137]
	v_add_f64 v[2:3], v[2:3], v[4:5]
	v_mul_f64 v[4:5], v[194:195], v[138:139]
	v_add_f64 v[50:51], v[50:51], v[52:53]
	s_waitcnt vmcnt(58)
	v_mul_f64 v[52:53], v[204:205], v[146:147]
	v_fma_f64 v[4:5], v[192:193], v[140:141], -v[4:5]
	s_waitcnt vmcnt(56)
	v_fmac_f64_e32 v[52:53], v[206:207], v[148:149]
	v_add_f64 v[2:3], v[2:3], v[4:5]
	v_mul_f64 v[4:5], v[202:203], v[134:135]
	v_add_f64 v[50:51], v[50:51], v[52:53]
	v_mul_f64 v[52:53], v[208:209], v[142:143]
	v_fma_f64 v[4:5], v[200:201], v[136:137], -v[4:5]
	v_fmac_f64_e32 v[52:53], v[210:211], v[144:145]
	v_add_f64 v[2:3], v[2:3], v[4:5]
	v_mul_f64 v[4:5], v[206:207], v[146:147]
	v_add_f64 v[50:51], v[50:51], v[52:53]
	s_waitcnt vmcnt(50)
	v_mul_f64 v[52:53], v[212:213], v[154:155]
	v_fma_f64 v[4:5], v[204:205], v[148:149], -v[4:5]
	s_waitcnt vmcnt(48)
	;; [unrolled: 14-line block ×6, first 2 shown]
	v_fmac_f64_e32 v[52:53], v[246:247], v[66:67]
	v_add_f64 v[2:3], v[2:3], v[4:5]
	v_mul_f64 v[4:5], v[242:243], v[176:177]
	v_add_f64 v[50:51], v[50:51], v[52:53]
	v_mul_f64 v[52:53], v[248:249], v[186:187]
	v_fma_f64 v[4:5], v[240:241], v[178:179], -v[4:5]
	v_fmac_f64_e32 v[52:53], v[250:251], v[62:63]
	v_add_f64 v[2:3], v[2:3], v[4:5]
	v_mul_f64 v[4:5], v[246:247], v[64:65]
	v_add_f64 v[54:55], v[50:51], v[52:53]
	ds_read_b128 v[50:53], v198 offset:976
	s_waitcnt vmcnt(10)
	v_mul_f64 v[56:57], v[252:253], v[72:73]
	v_fma_f64 v[4:5], v[244:245], v[66:67], -v[4:5]
	s_waitcnt vmcnt(8)
	v_fmac_f64_e32 v[56:57], v[254:255], v[74:75]
	v_add_f64 v[2:3], v[2:3], v[4:5]
	v_mul_f64 v[4:5], v[250:251], v[186:187]
	v_add_f64 v[84:85], v[54:55], v[56:57]
	ds_read_b128 v[54:57], v198 offset:992
	v_fma_f64 v[4:5], v[248:249], v[62:63], -v[4:5]
	v_add_f64 v[2:3], v[2:3], v[4:5]
	v_mul_f64 v[4:5], v[254:255], v[72:73]
	v_fma_f64 v[4:5], v[252:253], v[74:75], -v[4:5]
	v_add_f64 v[2:3], v[2:3], v[4:5]
	s_waitcnt lgkmcnt(1)
	v_mul_f64 v[4:5], v[52:53], v[68:69]
	v_mul_f64 v[174:175], v[50:51], v[68:69]
	v_fma_f64 v[4:5], v[50:51], v[70:71], -v[4:5]
	v_fmac_f64_e32 v[174:175], v[52:53], v[70:71]
	v_add_f64 v[2:3], v[2:3], v[4:5]
	s_waitcnt vmcnt(2) lgkmcnt(0)
	v_mul_f64 v[4:5], v[56:57], v[80:81]
	v_add_f64 v[84:85], v[84:85], v[174:175]
	v_mul_f64 v[174:175], v[54:55], v[80:81]
	s_waitcnt vmcnt(0)
	v_fma_f64 v[4:5], v[54:55], v[82:83], -v[4:5]
	v_fmac_f64_e32 v[174:175], v[56:57], v[82:83]
	v_add_f64 v[2:3], v[2:3], v[4:5]
	v_mul_f64 v[4:5], v[60:61], v[76:77]
	v_add_f64 v[84:85], v[84:85], v[174:175]
	v_mul_f64 v[174:175], v[58:59], v[76:77]
	v_fma_f64 v[4:5], v[58:59], v[78:79], -v[4:5]
	v_fmac_f64_e32 v[174:175], v[60:61], v[78:79]
	v_add_f64 v[2:3], v[2:3], v[4:5]
	v_add_f64 v[84:85], v[84:85], v[174:175]
	v_add_f64 v[2:3], v[110:111], -v[2:3]
	v_add_f64 v[4:5], v[108:109], -v[84:85]
	buffer_store_dword v3, off, s[0:3], 0 offset:84
	buffer_store_dword v2, off, s[0:3], 0 offset:80
	;; [unrolled: 1-line block ×4, first 2 shown]
	s_and_saveexec_b64 s[4:5], vcc
	s_cbranch_execz .LBB95_199
; %bb.198:
	v_accvgpr_read_b32 v5, a86
	buffer_load_dword v2, v5, s[0:3], 0 offen
	buffer_load_dword v3, v5, s[0:3], 0 offen offset:4
	buffer_load_dword v4, v5, s[0:3], 0 offen offset:8
	s_nop 0
	buffer_load_dword v5, v5, s[0:3], 0 offen offset:12
	s_nop 0
	buffer_store_dword v198, off, s[0:3], 0 offset:64
	buffer_store_dword v198, off, s[0:3], 0 offset:68
	;; [unrolled: 1-line block ×4, first 2 shown]
	s_waitcnt vmcnt(4)
	ds_write_b128 v1, v[2:5]
.LBB95_199:
	s_or_b64 exec, exec, s[4:5]
	s_waitcnt lgkmcnt(0)
	; wave barrier
	s_waitcnt lgkmcnt(0)
	buffer_load_dword v34, off, s[0:3], 0 offset:80
	buffer_load_dword v35, off, s[0:3], 0 offset:84
	;; [unrolled: 1-line block ×32, first 2 shown]
	ds_read_b128 v[30:33], v198 offset:576
	ds_read_b128 v[26:29], v198 offset:592
	;; [unrolled: 1-line block ×8, first 2 shown]
	buffer_load_dword v131, off, s[0:3], 0 offset:220
	buffer_load_dword v130, off, s[0:3], 0 offset:216
	;; [unrolled: 1-line block ×80, first 2 shown]
	v_cmp_lt_u32_e32 vcc, 2, v0
	s_waitcnt vmcnt(62) lgkmcnt(7)
	v_mul_f64 v[46:47], v[30:31], v[38:39]
	v_fmac_f64_e32 v[46:47], v[32:33], v[34:35]
	v_add_f64 v[46:47], v[46:47], 0
	v_mul_f64 v[32:33], v[32:33], v[38:39]
	s_waitcnt lgkmcnt(6)
	v_mul_f64 v[48:49], v[26:27], v[40:41]
	v_fmac_f64_e32 v[48:49], v[28:29], v[36:37]
	s_waitcnt lgkmcnt(5)
	v_mul_f64 v[50:51], v[22:23], v[106:107]
	v_add_f64 v[46:47], v[46:47], v[48:49]
	s_waitcnt lgkmcnt(4)
	v_mul_f64 v[52:53], v[18:19], v[112:113]
	v_fma_f64 v[30:31], v[30:31], v[34:35], -v[32:33]
	s_waitcnt lgkmcnt(1)
	v_mul_f64 v[186:187], v[2:3], v[114:115]
	v_mul_f64 v[28:29], v[28:29], v[40:41]
	v_add_f64 v[30:31], v[30:31], 0
	v_mul_f64 v[56:57], v[6:7], v[118:119]
	v_fma_f64 v[26:27], v[26:27], v[36:37], -v[28:29]
	v_mul_f64 v[54:55], v[10:11], v[120:121]
	v_add_f64 v[26:27], v[30:31], v[26:27]
	v_fmac_f64_e32 v[54:55], v[12:13], v[122:123]
	v_mul_f64 v[12:13], v[12:13], v[120:121]
	v_fmac_f64_e32 v[50:51], v[24:25], v[128:129]
	v_add_f64 v[46:47], v[46:47], v[50:51]
	v_fmac_f64_e32 v[52:53], v[20:21], v[126:127]
	v_add_f64 v[46:47], v[46:47], v[52:53]
	;; [unrolled: 2-line block ×3, first 2 shown]
	v_add_f64 v[188:189], v[46:47], v[56:57]
	ds_read_b128 v[46:49], v198 offset:704
	buffer_load_dword v83, off, s[0:3], 0 offset:524
	buffer_load_dword v82, off, s[0:3], 0 offset:520
	;; [unrolled: 1-line block ×4, first 2 shown]
	v_fmac_f64_e32 v[186:187], v[4:5], v[116:117]
	s_waitcnt lgkmcnt(1)
	v_mul_f64 v[52:53], v[14:15], v[134:135]
	v_add_f64 v[50:51], v[188:189], v[186:187]
	v_fmac_f64_e32 v[52:53], v[16:17], v[136:137]
	v_add_f64 v[54:55], v[50:51], v[52:53]
	ds_read_b128 v[50:53], v198 offset:720
	v_mul_f64 v[24:25], v[24:25], v[106:107]
	v_fma_f64 v[22:23], v[22:23], v[128:129], -v[24:25]
	v_mul_f64 v[20:21], v[20:21], v[112:113]
	v_add_f64 v[22:23], v[26:27], v[22:23]
	v_fma_f64 v[18:19], v[18:19], v[126:127], -v[20:21]
	s_waitcnt lgkmcnt(1)
	v_mul_f64 v[56:57], v[46:47], v[130:131]
	v_add_f64 v[18:19], v[22:23], v[18:19]
	v_fma_f64 v[10:11], v[10:11], v[122:123], -v[12:13]
	v_mul_f64 v[8:9], v[8:9], v[118:119]
	v_fmac_f64_e32 v[56:57], v[48:49], v[132:133]
	v_add_f64 v[10:11], v[18:19], v[10:11]
	v_fma_f64 v[6:7], v[6:7], v[124:125], -v[8:9]
	v_mul_f64 v[4:5], v[4:5], v[114:115]
	v_add_f64 v[58:59], v[54:55], v[56:57]
	ds_read_b128 v[54:57], v198 offset:736
	s_waitcnt lgkmcnt(1)
	v_mul_f64 v[60:61], v[50:51], v[142:143]
	v_add_f64 v[6:7], v[10:11], v[6:7]
	v_fma_f64 v[2:3], v[2:3], v[116:117], -v[4:5]
	v_mul_f64 v[4:5], v[16:17], v[134:135]
	v_fmac_f64_e32 v[60:61], v[52:53], v[144:145]
	v_add_f64 v[2:3], v[6:7], v[2:3]
	v_fma_f64 v[4:5], v[14:15], v[136:137], -v[4:5]
	v_add_f64 v[62:63], v[58:59], v[60:61]
	ds_read_b128 v[58:61], v198 offset:752
	ds_read_b128 v[186:189], v198 offset:768
	v_add_f64 v[2:3], v[2:3], v[4:5]
	v_mul_f64 v[4:5], v[48:49], v[130:131]
	v_fma_f64 v[4:5], v[46:47], v[132:133], -v[4:5]
	v_add_f64 v[2:3], v[2:3], v[4:5]
	v_mul_f64 v[4:5], v[52:53], v[142:143]
	s_waitcnt lgkmcnt(2)
	v_mul_f64 v[64:65], v[54:55], v[138:139]
	v_fma_f64 v[4:5], v[50:51], v[144:145], -v[4:5]
	v_fmac_f64_e32 v[64:65], v[56:57], v[140:141]
	ds_read_b128 v[200:203], v198 offset:784
	ds_read_b128 v[204:207], v198 offset:800
	v_add_f64 v[2:3], v[2:3], v[4:5]
	v_mul_f64 v[4:5], v[56:57], v[138:139]
	v_add_f64 v[62:63], v[62:63], v[64:65]
	s_waitcnt vmcnt(62) lgkmcnt(3)
	v_mul_f64 v[64:65], v[58:59], v[150:151]
	v_fma_f64 v[4:5], v[54:55], v[140:141], -v[4:5]
	s_waitcnt vmcnt(60)
	v_fmac_f64_e32 v[64:65], v[60:61], v[152:153]
	v_add_f64 v[2:3], v[2:3], v[4:5]
	v_mul_f64 v[4:5], v[60:61], v[150:151]
	v_add_f64 v[62:63], v[62:63], v[64:65]
	s_waitcnt lgkmcnt(2)
	v_mul_f64 v[64:65], v[186:187], v[146:147]
	v_fma_f64 v[4:5], v[58:59], v[152:153], -v[4:5]
	v_fmac_f64_e32 v[64:65], v[188:189], v[148:149]
	ds_read_b128 v[208:211], v198 offset:816
	ds_read_b128 v[212:215], v198 offset:832
	v_add_f64 v[2:3], v[2:3], v[4:5]
	v_mul_f64 v[4:5], v[188:189], v[146:147]
	v_add_f64 v[62:63], v[62:63], v[64:65]
	s_waitcnt vmcnt(54) lgkmcnt(3)
	v_mul_f64 v[64:65], v[200:201], v[158:159]
	v_fma_f64 v[4:5], v[186:187], v[148:149], -v[4:5]
	s_waitcnt vmcnt(52)
	v_fmac_f64_e32 v[64:65], v[202:203], v[160:161]
	v_add_f64 v[2:3], v[2:3], v[4:5]
	v_mul_f64 v[4:5], v[202:203], v[158:159]
	v_add_f64 v[62:63], v[62:63], v[64:65]
	;; [unrolled: 17-line block ×6, first 2 shown]
	s_waitcnt lgkmcnt(2)
	v_mul_f64 v[64:65], v[236:237], v[190:191]
	v_fma_f64 v[4:5], v[232:233], v[196:197], -v[4:5]
	v_fmac_f64_e32 v[64:65], v[238:239], v[192:193]
	v_add_f64 v[2:3], v[2:3], v[4:5]
	v_mul_f64 v[4:5], v[238:239], v[190:191]
	v_add_f64 v[62:63], v[62:63], v[64:65]
	s_waitcnt vmcnt(14) lgkmcnt(1)
	v_mul_f64 v[64:65], v[240:241], v[70:71]
	ds_read_b128 v[248:251], v198 offset:976
	ds_read_b128 v[252:255], v198 offset:992
	v_fma_f64 v[4:5], v[236:237], v[192:193], -v[4:5]
	s_waitcnt vmcnt(12)
	v_fmac_f64_e32 v[64:65], v[242:243], v[72:73]
	v_add_f64 v[2:3], v[2:3], v[4:5]
	v_mul_f64 v[4:5], v[242:243], v[70:71]
	v_add_f64 v[62:63], v[62:63], v[64:65]
	s_waitcnt lgkmcnt(2)
	v_mul_f64 v[64:65], v[244:245], v[66:67]
	v_fma_f64 v[4:5], v[240:241], v[72:73], -v[4:5]
	v_fmac_f64_e32 v[64:65], v[246:247], v[68:69]
	v_add_f64 v[2:3], v[2:3], v[4:5]
	v_mul_f64 v[4:5], v[246:247], v[66:67]
	v_add_f64 v[42:43], v[62:63], v[64:65]
	ds_read_b128 v[62:65], v198 offset:1008
	v_fma_f64 v[4:5], v[244:245], v[68:69], -v[4:5]
	v_add_f64 v[2:3], v[2:3], v[4:5]
	s_waitcnt vmcnt(6) lgkmcnt(2)
	v_mul_f64 v[4:5], v[250:251], v[78:79]
	v_mul_f64 v[86:87], v[248:249], v[78:79]
	s_waitcnt vmcnt(4)
	v_fma_f64 v[4:5], v[248:249], v[80:81], -v[4:5]
	v_fmac_f64_e32 v[86:87], v[250:251], v[80:81]
	v_add_f64 v[2:3], v[2:3], v[4:5]
	s_waitcnt lgkmcnt(1)
	v_mul_f64 v[4:5], v[254:255], v[74:75]
	v_add_f64 v[42:43], v[42:43], v[86:87]
	v_mul_f64 v[86:87], v[252:253], v[74:75]
	v_fma_f64 v[4:5], v[252:253], v[76:77], -v[4:5]
	v_fmac_f64_e32 v[86:87], v[254:255], v[76:77]
	v_add_f64 v[2:3], v[2:3], v[4:5]
	s_waitcnt vmcnt(2) lgkmcnt(0)
	v_mul_f64 v[4:5], v[64:65], v[82:83]
	v_add_f64 v[42:43], v[42:43], v[86:87]
	v_mul_f64 v[86:87], v[62:63], v[82:83]
	s_waitcnt vmcnt(0)
	v_fma_f64 v[4:5], v[62:63], v[84:85], -v[4:5]
	v_fmac_f64_e32 v[86:87], v[64:65], v[84:85]
	v_add_f64 v[2:3], v[2:3], v[4:5]
	v_add_f64 v[42:43], v[42:43], v[86:87]
	v_add_f64 v[2:3], v[110:111], -v[2:3]
	v_add_f64 v[4:5], v[108:109], -v[42:43]
	buffer_store_dword v3, off, s[0:3], 0 offset:68
	buffer_store_dword v2, off, s[0:3], 0 offset:64
	;; [unrolled: 1-line block ×4, first 2 shown]
	s_and_saveexec_b64 s[4:5], vcc
	s_cbranch_execz .LBB95_201
; %bb.200:
	v_accvgpr_read_b32 v5, a84
	buffer_load_dword v2, v5, s[0:3], 0 offen
	buffer_load_dword v3, v5, s[0:3], 0 offen offset:4
	buffer_load_dword v4, v5, s[0:3], 0 offen offset:8
	s_nop 0
	buffer_load_dword v5, v5, s[0:3], 0 offen offset:12
	v_mov_b32_e32 v6, 0
	buffer_store_dword v6, off, s[0:3], 0 offset:48
	buffer_store_dword v6, off, s[0:3], 0 offset:52
	buffer_store_dword v6, off, s[0:3], 0 offset:56
	buffer_store_dword v6, off, s[0:3], 0 offset:60
	s_waitcnt vmcnt(4)
	ds_write_b128 v1, v[2:5]
.LBB95_201:
	s_or_b64 exec, exec, s[4:5]
	s_waitcnt lgkmcnt(0)
	; wave barrier
	s_waitcnt lgkmcnt(0)
	buffer_load_dword v38, off, s[0:3], 0 offset:64
	buffer_load_dword v39, off, s[0:3], 0 offset:68
	;; [unrolled: 1-line block ×48, first 2 shown]
	v_mov_b32_e32 v214, 0
	ds_read_b128 v[34:37], v214 offset:560
	ds_read_b128 v[30:33], v214 offset:576
	;; [unrolled: 1-line block ×9, first 2 shown]
	v_cmp_lt_u32_e32 vcc, 1, v0
	s_waitcnt vmcnt(44) lgkmcnt(8)
	v_mul_f64 v[42:43], v[34:35], v[106:107]
	v_fmac_f64_e32 v[42:43], v[36:37], v[38:39]
	v_add_f64 v[42:43], v[42:43], 0
	v_mul_f64 v[36:37], v[36:37], v[106:107]
	s_waitcnt vmcnt(40) lgkmcnt(7)
	v_mul_f64 v[46:47], v[30:31], v[108:109]
	v_fmac_f64_e32 v[46:47], v[32:33], v[40:41]
	s_waitcnt vmcnt(38) lgkmcnt(6)
	v_mul_f64 v[48:49], v[26:27], v[110:111]
	v_add_f64 v[42:43], v[42:43], v[46:47]
	s_waitcnt vmcnt(36) lgkmcnt(4)
	v_mul_f64 v[52:53], v[18:19], v[112:113]
	v_fma_f64 v[34:35], v[34:35], v[38:39], -v[36:37]
	s_waitcnt vmcnt(34)
	v_fmac_f64_e32 v[52:53], v[20:21], v[114:115]
	v_mul_f64 v[32:33], v[32:33], v[108:109]
	s_waitcnt vmcnt(32)
	v_mul_f64 v[50:51], v[22:23], v[116:117]
	v_add_f64 v[34:35], v[34:35], 0
	s_waitcnt vmcnt(30) lgkmcnt(2)
	v_mul_f64 v[56:57], v[10:11], v[118:119]
	v_fma_f64 v[30:31], v[30:31], v[40:41], -v[32:33]
	s_waitcnt vmcnt(28)
	v_fmac_f64_e32 v[56:57], v[12:13], v[120:121]
	v_add_f64 v[30:31], v[34:35], v[30:31]
	s_waitcnt vmcnt(26)
	v_mul_f64 v[54:55], v[14:15], v[122:123]
	v_mul_f64 v[20:21], v[20:21], v[112:113]
	v_fma_f64 v[18:19], v[18:19], v[114:115], -v[20:21]
	v_mul_f64 v[12:13], v[12:13], v[118:119]
	s_waitcnt vmcnt(22) lgkmcnt(1)
	v_mul_f64 v[174:175], v[6:7], v[132:133]
	v_fma_f64 v[10:11], v[10:11], v[120:121], -v[12:13]
	s_waitcnt vmcnt(20)
	v_fmac_f64_e32 v[48:49], v[28:29], v[140:141]
	v_add_f64 v[42:43], v[42:43], v[48:49]
	s_waitcnt vmcnt(18)
	v_fmac_f64_e32 v[50:51], v[24:25], v[138:139]
	v_add_f64 v[42:43], v[42:43], v[50:51]
	;; [unrolled: 3-line block ×3, first 2 shown]
	v_add_f64 v[42:43], v[42:43], v[54:55]
	v_add_f64 v[176:177], v[42:43], v[56:57]
	buffer_load_dword v151, off, s[0:3], 0 offset:268
	buffer_load_dword v150, off, s[0:3], 0 offset:264
	;; [unrolled: 1-line block ×72, first 2 shown]
	ds_read_b128 v[46:49], v214 offset:704
	s_waitcnt vmcnt(62)
	v_fmac_f64_e32 v[174:175], v[8:9], v[134:135]
	s_waitcnt lgkmcnt(1)
	v_mul_f64 v[52:53], v[2:3], v[128:129]
	v_add_f64 v[50:51], v[176:177], v[174:175]
	v_fmac_f64_e32 v[52:53], v[4:5], v[130:131]
	v_add_f64 v[54:55], v[50:51], v[52:53]
	ds_read_b128 v[50:53], v214 offset:720
	s_waitcnt lgkmcnt(1)
	v_mul_f64 v[56:57], v[46:47], v[146:147]
	v_fmac_f64_e32 v[56:57], v[48:49], v[148:149]
	v_add_f64 v[58:59], v[54:55], v[56:57]
	ds_read_b128 v[54:57], v214 offset:736
	v_mul_f64 v[28:29], v[28:29], v[110:111]
	v_fma_f64 v[26:27], v[26:27], v[140:141], -v[28:29]
	v_mul_f64 v[24:25], v[24:25], v[116:117]
	v_add_f64 v[26:27], v[30:31], v[26:27]
	v_fma_f64 v[22:23], v[22:23], v[138:139], -v[24:25]
	s_waitcnt lgkmcnt(1)
	v_mul_f64 v[60:61], v[50:51], v[142:143]
	v_add_f64 v[22:23], v[26:27], v[22:23]
	v_mul_f64 v[16:17], v[16:17], v[122:123]
	v_fmac_f64_e32 v[60:61], v[52:53], v[144:145]
	v_add_f64 v[18:19], v[22:23], v[18:19]
	v_fma_f64 v[14:15], v[14:15], v[136:137], -v[16:17]
	v_add_f64 v[62:63], v[58:59], v[60:61]
	ds_read_b128 v[58:61], v214 offset:752
	s_waitcnt lgkmcnt(1)
	v_mul_f64 v[64:65], v[54:55], v[154:155]
	v_add_f64 v[14:15], v[18:19], v[14:15]
	v_mul_f64 v[8:9], v[8:9], v[132:133]
	v_fmac_f64_e32 v[64:65], v[56:57], v[156:157]
	v_add_f64 v[10:11], v[14:15], v[10:11]
	v_fma_f64 v[6:7], v[6:7], v[134:135], -v[8:9]
	v_mul_f64 v[4:5], v[4:5], v[128:129]
	v_add_f64 v[66:67], v[62:63], v[64:65]
	ds_read_b128 v[62:65], v214 offset:768
	ds_read_b128 v[174:177], v214 offset:784
	v_add_f64 v[6:7], v[10:11], v[6:7]
	v_fma_f64 v[2:3], v[2:3], v[130:131], -v[4:5]
	v_mul_f64 v[4:5], v[48:49], v[146:147]
	v_add_f64 v[2:3], v[6:7], v[2:3]
	v_fma_f64 v[4:5], v[46:47], v[148:149], -v[4:5]
	v_add_f64 v[2:3], v[2:3], v[4:5]
	v_mul_f64 v[4:5], v[52:53], v[142:143]
	s_waitcnt lgkmcnt(2)
	v_mul_f64 v[68:69], v[58:59], v[150:151]
	v_fma_f64 v[4:5], v[50:51], v[144:145], -v[4:5]
	v_fmac_f64_e32 v[68:69], v[60:61], v[152:153]
	ds_read_b128 v[206:209], v214 offset:800
	ds_read_b128 v[210:213], v214 offset:816
	v_add_f64 v[2:3], v[2:3], v[4:5]
	v_mul_f64 v[4:5], v[56:57], v[154:155]
	v_add_f64 v[66:67], v[66:67], v[68:69]
	s_waitcnt vmcnt(58) lgkmcnt(3)
	v_mul_f64 v[68:69], v[62:63], v[162:163]
	v_fma_f64 v[4:5], v[54:55], v[156:157], -v[4:5]
	s_waitcnt vmcnt(56)
	v_fmac_f64_e32 v[68:69], v[64:65], v[164:165]
	v_add_f64 v[2:3], v[2:3], v[4:5]
	v_mul_f64 v[4:5], v[60:61], v[150:151]
	v_add_f64 v[66:67], v[66:67], v[68:69]
	s_waitcnt lgkmcnt(2)
	v_mul_f64 v[68:69], v[174:175], v[158:159]
	v_fma_f64 v[4:5], v[58:59], v[152:153], -v[4:5]
	v_fmac_f64_e32 v[68:69], v[176:177], v[160:161]
	ds_read_b128 v[216:219], v214 offset:832
	ds_read_b128 v[220:223], v214 offset:848
	v_add_f64 v[2:3], v[2:3], v[4:5]
	v_mul_f64 v[4:5], v[64:65], v[162:163]
	v_add_f64 v[66:67], v[66:67], v[68:69]
	s_waitcnt vmcnt(50) lgkmcnt(3)
	v_mul_f64 v[68:69], v[206:207], v[170:171]
	v_fma_f64 v[4:5], v[62:63], v[164:165], -v[4:5]
	s_waitcnt vmcnt(48)
	v_fmac_f64_e32 v[68:69], v[208:209], v[172:173]
	v_add_f64 v[2:3], v[2:3], v[4:5]
	v_mul_f64 v[4:5], v[176:177], v[158:159]
	v_add_f64 v[66:67], v[66:67], v[68:69]
	;; [unrolled: 17-line block ×6, first 2 shown]
	s_waitcnt lgkmcnt(2)
	v_mul_f64 v[68:69], v[244:245], v[202:203]
	v_fma_f64 v[4:5], v[236:237], v[196:197], -v[4:5]
	v_fmac_f64_e32 v[68:69], v[246:247], v[204:205]
	v_add_f64 v[2:3], v[2:3], v[4:5]
	v_mul_f64 v[4:5], v[242:243], v[42:43]
	v_add_f64 v[66:67], v[66:67], v[68:69]
	s_waitcnt vmcnt(10) lgkmcnt(1)
	v_mul_f64 v[68:69], v[248:249], v[80:81]
	v_fma_f64 v[4:5], v[240:241], v[74:75], -v[4:5]
	s_waitcnt vmcnt(8)
	v_fmac_f64_e32 v[68:69], v[250:251], v[82:83]
	v_add_f64 v[2:3], v[2:3], v[4:5]
	v_mul_f64 v[4:5], v[246:247], v[202:203]
	v_add_f64 v[92:93], v[66:67], v[68:69]
	ds_read_b128 v[66:69], v214 offset:992
	ds_read_b128 v[70:73], v214 offset:1008
	v_fma_f64 v[4:5], v[244:245], v[204:205], -v[4:5]
	v_add_f64 v[2:3], v[2:3], v[4:5]
	v_mul_f64 v[4:5], v[250:251], v[80:81]
	v_fma_f64 v[4:5], v[248:249], v[82:83], -v[4:5]
	v_add_f64 v[2:3], v[2:3], v[4:5]
	s_waitcnt lgkmcnt(2)
	v_mul_f64 v[4:5], v[254:255], v[76:77]
	v_mul_f64 v[94:95], v[252:253], v[76:77]
	v_fma_f64 v[4:5], v[252:253], v[78:79], -v[4:5]
	v_fmac_f64_e32 v[94:95], v[254:255], v[78:79]
	v_add_f64 v[2:3], v[2:3], v[4:5]
	s_waitcnt vmcnt(2) lgkmcnt(1)
	v_mul_f64 v[4:5], v[68:69], v[88:89]
	v_add_f64 v[92:93], v[92:93], v[94:95]
	v_mul_f64 v[94:95], v[66:67], v[88:89]
	s_waitcnt vmcnt(0)
	v_fma_f64 v[4:5], v[66:67], v[90:91], -v[4:5]
	v_fmac_f64_e32 v[94:95], v[68:69], v[90:91]
	v_add_f64 v[2:3], v[2:3], v[4:5]
	s_waitcnt lgkmcnt(0)
	v_mul_f64 v[4:5], v[72:73], v[84:85]
	v_add_f64 v[92:93], v[92:93], v[94:95]
	v_mul_f64 v[94:95], v[70:71], v[84:85]
	v_fma_f64 v[4:5], v[70:71], v[86:87], -v[4:5]
	v_fmac_f64_e32 v[94:95], v[72:73], v[86:87]
	v_add_f64 v[2:3], v[2:3], v[4:5]
	v_add_f64 v[92:93], v[92:93], v[94:95]
	v_add_f64 v[2:3], v[126:127], -v[2:3]
	v_add_f64 v[4:5], v[124:125], -v[92:93]
	buffer_store_dword v3, off, s[0:3], 0 offset:52
	buffer_store_dword v2, off, s[0:3], 0 offset:48
	;; [unrolled: 1-line block ×4, first 2 shown]
	s_and_saveexec_b64 s[4:5], vcc
	s_cbranch_execz .LBB95_203
; %bb.202:
	v_accvgpr_read_b32 v5, a85
	buffer_load_dword v2, v5, s[0:3], 0 offen
	buffer_load_dword v3, v5, s[0:3], 0 offen offset:4
	buffer_load_dword v4, v5, s[0:3], 0 offen offset:8
	s_nop 0
	buffer_load_dword v5, v5, s[0:3], 0 offen offset:12
	s_nop 0
	buffer_store_dword v214, off, s[0:3], 0 offset:32
	buffer_store_dword v214, off, s[0:3], 0 offset:36
	;; [unrolled: 1-line block ×4, first 2 shown]
	s_waitcnt vmcnt(4)
	ds_write_b128 v1, v[2:5]
.LBB95_203:
	s_or_b64 exec, exec, s[4:5]
	s_waitcnt lgkmcnt(0)
	; wave barrier
	s_waitcnt lgkmcnt(0)
	buffer_load_dword v112, off, s[0:3], 0 offset:48
	buffer_load_dword v113, off, s[0:3], 0 offset:52
	;; [unrolled: 1-line block ×40, first 2 shown]
	ds_read_b128 v[38:41], v214 offset:544
	ds_read_b128 v[34:37], v214 offset:560
	;; [unrolled: 1-line block ×10, first 2 shown]
	buffer_load_dword v147, off, s[0:3], 0 offset:220
	buffer_load_dword v146, off, s[0:3], 0 offset:216
	;; [unrolled: 1-line block ×8, first 2 shown]
	v_cmp_ne_u32_e32 vcc, 0, v0
	s_waitcnt vmcnt(44) lgkmcnt(9)
	v_mul_f64 v[42:43], v[38:39], v[114:115]
	v_fmac_f64_e32 v[42:43], v[40:41], v[112:113]
	v_add_f64 v[42:43], v[42:43], 0
	v_mul_f64 v[40:41], v[40:41], v[114:115]
	s_waitcnt vmcnt(40) lgkmcnt(8)
	v_mul_f64 v[46:47], v[34:35], v[108:109]
	v_fmac_f64_e32 v[46:47], v[36:37], v[106:107]
	s_waitcnt vmcnt(38) lgkmcnt(7)
	v_mul_f64 v[48:49], v[30:31], v[110:111]
	v_add_f64 v[42:43], v[42:43], v[46:47]
	s_waitcnt vmcnt(36) lgkmcnt(5)
	v_mul_f64 v[52:53], v[22:23], v[116:117]
	v_mul_f64 v[36:37], v[36:37], v[108:109]
	s_waitcnt vmcnt(34)
	v_fmac_f64_e32 v[52:53], v[24:25], v[118:119]
	v_fma_f64 v[34:35], v[34:35], v[106:107], -v[36:37]
	s_waitcnt vmcnt(32)
	v_mul_f64 v[50:51], v[26:27], v[120:121]
	v_mul_f64 v[24:25], v[24:25], v[116:117]
	s_waitcnt vmcnt(30) lgkmcnt(4)
	v_mul_f64 v[54:55], v[18:19], v[126:127]
	v_fma_f64 v[22:23], v[22:23], v[118:119], -v[24:25]
	s_waitcnt vmcnt(28) lgkmcnt(1)
	v_mul_f64 v[186:187], v[2:3], v[128:129]
	s_waitcnt vmcnt(25)
	v_mul_f64 v[58:59], v[6:7], v[132:133]
	s_waitcnt vmcnt(23)
	;; [unrolled: 2-line block ×3, first 2 shown]
	v_fmac_f64_e32 v[56:57], v[12:13], v[136:137]
	v_mul_f64 v[12:13], v[12:13], v[134:135]
	s_waitcnt vmcnt(19)
	v_fmac_f64_e32 v[48:49], v[32:33], v[144:145]
	v_add_f64 v[42:43], v[42:43], v[48:49]
	s_waitcnt vmcnt(17)
	v_fmac_f64_e32 v[50:51], v[28:29], v[142:143]
	v_add_f64 v[42:43], v[42:43], v[50:51]
	;; [unrolled: 3-line block ×3, first 2 shown]
	v_add_f64 v[42:43], v[42:43], v[54:55]
	s_waitcnt vmcnt(13)
	v_fmac_f64_e32 v[58:59], v[8:9], v[138:139]
	v_add_f64 v[42:43], v[42:43], v[56:57]
	v_add_f64 v[188:189], v[42:43], v[58:59]
	buffer_load_dword v155, off, s[0:3], 0 offset:252
	buffer_load_dword v154, off, s[0:3], 0 offset:248
	;; [unrolled: 1-line block ×72, first 2 shown]
	ds_read_b128 v[46:49], v214 offset:704
	s_waitcnt vmcnt(62)
	v_fmac_f64_e32 v[186:187], v[4:5], v[130:131]
	s_waitcnt lgkmcnt(1)
	v_mul_f64 v[52:53], v[14:15], v[150:151]
	v_add_f64 v[50:51], v[188:189], v[186:187]
	v_fmac_f64_e32 v[52:53], v[16:17], v[152:153]
	buffer_load_dword v89, off, s[0:3], 0 offset:524
	buffer_load_dword v88, off, s[0:3], 0 offset:520
	;; [unrolled: 1-line block ×4, first 2 shown]
	v_add_f64 v[54:55], v[50:51], v[52:53]
	ds_read_b128 v[50:53], v214 offset:720
	s_waitcnt lgkmcnt(1)
	v_mul_f64 v[56:57], v[46:47], v[146:147]
	v_fmac_f64_e32 v[56:57], v[48:49], v[148:149]
	v_add_f64 v[58:59], v[54:55], v[56:57]
	ds_read_b128 v[54:57], v214 offset:736
	ds_read_b128 v[186:189], v214 offset:816
	;; [unrolled: 1-line block ×3, first 2 shown]
	s_waitcnt lgkmcnt(3)
	v_mul_f64 v[60:61], v[50:51], v[158:159]
	v_fmac_f64_e32 v[60:61], v[52:53], v[160:161]
	v_add_f64 v[62:63], v[58:59], v[60:61]
	ds_read_b128 v[58:61], v214 offset:752
	s_waitcnt lgkmcnt(3)
	v_mul_f64 v[64:65], v[54:55], v[154:155]
	v_fmac_f64_e32 v[64:65], v[56:57], v[156:157]
	v_add_f64 v[66:67], v[62:63], v[64:65]
	ds_read_b128 v[62:65], v214 offset:768
	s_waitcnt vmcnt(62) lgkmcnt(1)
	v_mul_f64 v[68:69], v[58:59], v[166:167]
	s_waitcnt vmcnt(60)
	v_fmac_f64_e32 v[68:69], v[60:61], v[168:169]
	v_add_f64 v[70:71], v[66:67], v[68:69]
	ds_read_b128 v[66:69], v214 offset:784
	s_waitcnt lgkmcnt(1)
	v_mul_f64 v[72:73], v[62:63], v[162:163]
	v_fmac_f64_e32 v[72:73], v[64:65], v[164:165]
	v_add_f64 v[92:93], v[70:71], v[72:73]
	ds_read_b128 v[70:73], v214 offset:800
	s_waitcnt vmcnt(54) lgkmcnt(1)
	v_mul_f64 v[94:95], v[66:67], v[174:175]
	s_waitcnt vmcnt(52)
	v_fmac_f64_e32 v[94:95], v[68:69], v[176:177]
	v_add_f64 v[92:93], v[92:93], v[94:95]
	ds_read_b128 v[220:223], v214 offset:848
	ds_read_b128 v[224:227], v214 offset:864
	s_waitcnt lgkmcnt(2)
	v_mul_f64 v[94:95], v[70:71], v[170:171]
	v_fmac_f64_e32 v[94:95], v[72:73], v[172:173]
	v_add_f64 v[92:93], v[92:93], v[94:95]
	s_waitcnt vmcnt(46)
	v_mul_f64 v[94:95], v[186:187], v[182:183]
	s_waitcnt vmcnt(44)
	v_fmac_f64_e32 v[94:95], v[188:189], v[184:185]
	v_add_f64 v[92:93], v[92:93], v[94:95]
	v_mul_f64 v[94:95], v[216:217], v[178:179]
	v_fmac_f64_e32 v[94:95], v[218:219], v[180:181]
	ds_read_b128 v[228:231], v214 offset:880
	ds_read_b128 v[232:235], v214 offset:896
	v_add_f64 v[92:93], v[92:93], v[94:95]
	s_waitcnt vmcnt(38) lgkmcnt(3)
	v_mul_f64 v[94:95], v[220:221], v[194:195]
	s_waitcnt vmcnt(36)
	v_fmac_f64_e32 v[94:95], v[222:223], v[196:197]
	v_add_f64 v[92:93], v[92:93], v[94:95]
	s_waitcnt lgkmcnt(2)
	v_mul_f64 v[94:95], v[224:225], v[190:191]
	v_fmac_f64_e32 v[94:95], v[226:227], v[192:193]
	ds_read_b128 v[236:239], v214 offset:912
	ds_read_b128 v[240:243], v214 offset:928
	v_add_f64 v[92:93], v[92:93], v[94:95]
	s_waitcnt vmcnt(30) lgkmcnt(3)
	v_mul_f64 v[94:95], v[228:229], v[202:203]
	s_waitcnt vmcnt(28)
	v_fmac_f64_e32 v[94:95], v[230:231], v[204:205]
	v_add_f64 v[92:93], v[92:93], v[94:95]
	s_waitcnt lgkmcnt(2)
	v_mul_f64 v[94:95], v[232:233], v[198:199]
	v_fmac_f64_e32 v[94:95], v[234:235], v[200:201]
	ds_read_b128 v[244:247], v214 offset:944
	ds_read_b128 v[248:251], v214 offset:960
	v_add_f64 v[92:93], v[92:93], v[94:95]
	s_waitcnt vmcnt(22) lgkmcnt(3)
	v_mul_f64 v[94:95], v[236:237], v[210:211]
	s_waitcnt vmcnt(20)
	v_fmac_f64_e32 v[94:95], v[238:239], v[212:213]
	v_add_f64 v[92:93], v[92:93], v[94:95]
	s_waitcnt lgkmcnt(2)
	v_mul_f64 v[94:95], v[240:241], v[206:207]
	v_fmac_f64_e32 v[94:95], v[242:243], v[208:209]
	v_add_f64 v[92:93], v[92:93], v[94:95]
	v_mul_f64 v[32:33], v[32:33], v[110:111]
	s_waitcnt vmcnt(14) lgkmcnt(1)
	v_mul_f64 v[94:95], v[244:245], v[76:77]
	v_fma_f64 v[30:31], v[30:31], v[144:145], -v[32:33]
	s_waitcnt vmcnt(12)
	v_fmac_f64_e32 v[94:95], v[246:247], v[78:79]
	v_add_f64 v[92:93], v[92:93], v[94:95]
	s_waitcnt lgkmcnt(0)
	v_mul_f64 v[94:95], v[248:249], v[42:43]
	v_fmac_f64_e32 v[94:95], v[250:251], v[74:75]
	v_add_f64 v[92:93], v[92:93], v[94:95]
	v_fma_f64 v[94:95], v[38:39], v[112:113], -v[40:41]
	v_add_f64 v[94:95], v[94:95], 0
	v_add_f64 v[34:35], v[94:95], v[34:35]
	v_mul_f64 v[28:29], v[28:29], v[120:121]
	v_add_f64 v[30:31], v[34:35], v[30:31]
	v_fma_f64 v[26:27], v[26:27], v[142:143], -v[28:29]
	v_add_f64 v[26:27], v[30:31], v[26:27]
	v_mul_f64 v[20:21], v[20:21], v[126:127]
	v_add_f64 v[22:23], v[26:27], v[22:23]
	v_fma_f64 v[18:19], v[18:19], v[140:141], -v[20:21]
	v_add_f64 v[18:19], v[22:23], v[18:19]
	v_fma_f64 v[10:11], v[10:11], v[136:137], -v[12:13]
	v_mul_f64 v[8:9], v[8:9], v[132:133]
	v_add_f64 v[10:11], v[18:19], v[10:11]
	v_fma_f64 v[6:7], v[6:7], v[138:139], -v[8:9]
	v_mul_f64 v[4:5], v[4:5], v[128:129]
	;; [unrolled: 3-line block ×3, first 2 shown]
	v_add_f64 v[2:3], v[6:7], v[2:3]
	v_fma_f64 v[4:5], v[14:15], v[152:153], -v[4:5]
	v_add_f64 v[2:3], v[2:3], v[4:5]
	v_mul_f64 v[4:5], v[48:49], v[146:147]
	v_fma_f64 v[4:5], v[46:47], v[148:149], -v[4:5]
	v_add_f64 v[2:3], v[2:3], v[4:5]
	v_mul_f64 v[4:5], v[52:53], v[158:159]
	;; [unrolled: 3-line block ×15, first 2 shown]
	ds_read_b128 v[252:255], v214 offset:976
	ds_read_b128 v[38:41], v214 offset:992
	v_fma_f64 v[4:5], v[240:241], v[208:209], -v[4:5]
	v_add_f64 v[2:3], v[2:3], v[4:5]
	v_mul_f64 v[4:5], v[246:247], v[76:77]
	v_fma_f64 v[4:5], v[244:245], v[78:79], -v[4:5]
	v_add_f64 v[2:3], v[2:3], v[4:5]
	v_mul_f64 v[4:5], v[250:251], v[42:43]
	ds_read_b128 v[112:115], v214 offset:1008
	v_fma_f64 v[4:5], v[248:249], v[74:75], -v[4:5]
	v_add_f64 v[2:3], v[2:3], v[4:5]
	s_waitcnt vmcnt(6) lgkmcnt(2)
	v_mul_f64 v[4:5], v[254:255], v[84:85]
	v_mul_f64 v[96:97], v[252:253], v[84:85]
	s_waitcnt vmcnt(4)
	v_fma_f64 v[4:5], v[252:253], v[86:87], -v[4:5]
	v_fmac_f64_e32 v[96:97], v[254:255], v[86:87]
	v_add_f64 v[2:3], v[2:3], v[4:5]
	s_waitcnt lgkmcnt(1)
	v_mul_f64 v[4:5], v[40:41], v[80:81]
	v_add_f64 v[92:93], v[92:93], v[96:97]
	v_mul_f64 v[96:97], v[38:39], v[80:81]
	v_fma_f64 v[4:5], v[38:39], v[82:83], -v[4:5]
	v_fmac_f64_e32 v[96:97], v[40:41], v[82:83]
	v_add_f64 v[2:3], v[2:3], v[4:5]
	s_waitcnt vmcnt(2) lgkmcnt(0)
	v_mul_f64 v[4:5], v[114:115], v[88:89]
	v_add_f64 v[92:93], v[92:93], v[96:97]
	v_mul_f64 v[96:97], v[112:113], v[88:89]
	s_waitcnt vmcnt(0)
	v_fma_f64 v[4:5], v[112:113], v[90:91], -v[4:5]
	v_fmac_f64_e32 v[96:97], v[114:115], v[90:91]
	v_add_f64 v[2:3], v[2:3], v[4:5]
	v_add_f64 v[92:93], v[92:93], v[96:97]
	v_add_f64 v[2:3], v[124:125], -v[2:3]
	v_add_f64 v[4:5], v[122:123], -v[92:93]
	buffer_store_dword v3, off, s[0:3], 0 offset:36
	buffer_store_dword v2, off, s[0:3], 0 offset:32
	;; [unrolled: 1-line block ×4, first 2 shown]
	s_and_saveexec_b64 s[4:5], vcc
	s_cbranch_execz .LBB95_205
; %bb.204:
	buffer_load_dword v2, off, s[0:3], 0 offset:16
	buffer_load_dword v3, off, s[0:3], 0 offset:20
	;; [unrolled: 1-line block ×4, first 2 shown]
	v_mov_b32_e32 v0, 0
	buffer_store_dword v0, off, s[0:3], 0 offset:16
	buffer_store_dword v0, off, s[0:3], 0 offset:20
	;; [unrolled: 1-line block ×4, first 2 shown]
	s_waitcnt vmcnt(4)
	ds_write_b128 v1, v[2:5]
.LBB95_205:
	s_or_b64 exec, exec, s[4:5]
	s_waitcnt lgkmcnt(0)
	; wave barrier
	s_waitcnt lgkmcnt(0)
	buffer_load_dword v110, off, s[0:3], 0 offset:32
	buffer_load_dword v111, off, s[0:3], 0 offset:36
	;; [unrolled: 1-line block ×48, first 2 shown]
	v_mov_b32_e32 v251, 0
	ds_read_b128 v[36:39], v251 offset:528
	ds_read_b128 v[32:35], v251 offset:544
	;; [unrolled: 1-line block ×10, first 2 shown]
	s_and_b64 vcc, exec, s[16:17]
	s_waitcnt vmcnt(44) lgkmcnt(9)
	v_mul_f64 v[42:43], v[36:37], v[112:113]
	v_fmac_f64_e32 v[42:43], v[38:39], v[110:111]
	v_add_f64 v[42:43], v[42:43], 0
	v_mul_f64 v[38:39], v[38:39], v[112:113]
	s_waitcnt vmcnt(40) lgkmcnt(8)
	v_mul_f64 v[46:47], v[32:33], v[108:109]
	v_fmac_f64_e32 v[46:47], v[34:35], v[106:107]
	s_waitcnt vmcnt(38) lgkmcnt(7)
	v_mul_f64 v[48:49], v[28:29], v[40:41]
	v_add_f64 v[42:43], v[42:43], v[46:47]
	s_waitcnt vmcnt(36) lgkmcnt(5)
	v_mul_f64 v[52:53], v[20:21], v[114:115]
	v_fma_f64 v[98:99], v[36:37], v[110:111], -v[38:39]
	s_waitcnt vmcnt(34)
	v_fmac_f64_e32 v[52:53], v[22:23], v[116:117]
	v_mul_f64 v[34:35], v[34:35], v[108:109]
	s_waitcnt vmcnt(32)
	v_mul_f64 v[50:51], v[24:25], v[118:119]
	v_fma_f64 v[106:107], v[32:33], v[106:107], -v[34:35]
	s_waitcnt vmcnt(30) lgkmcnt(3)
	v_mul_f64 v[56:57], v[12:13], v[120:121]
	v_add_f64 v[98:99], v[98:99], 0
	s_waitcnt vmcnt(28)
	v_fmac_f64_e32 v[56:57], v[14:15], v[122:123]
	v_add_f64 v[98:99], v[98:99], v[106:107]
	s_waitcnt vmcnt(26)
	v_mul_f64 v[54:55], v[16:17], v[124:125]
	v_mul_f64 v[22:23], v[22:23], v[114:115]
	s_waitcnt vmcnt(24) lgkmcnt(1)
	v_mul_f64 v[60:61], v[4:5], v[126:127]
	v_fma_f64 v[20:21], v[20:21], v[116:117], -v[22:23]
	s_waitcnt vmcnt(22)
	v_fmac_f64_e32 v[60:61], v[6:7], v[128:129]
	v_mul_f64 v[14:15], v[14:15], v[120:121]
	s_waitcnt vmcnt(20)
	v_mul_f64 v[58:59], v[8:9], v[130:131]
	v_fma_f64 v[12:13], v[12:13], v[122:123], -v[14:15]
	v_mul_f64 v[6:7], v[6:7], v[126:127]
	v_fma_f64 v[4:5], v[4:5], v[128:129], -v[6:7]
	s_waitcnt vmcnt(15) lgkmcnt(0)
	v_mul_f64 v[186:187], v[0:1], v[140:141]
	s_waitcnt vmcnt(13)
	v_fmac_f64_e32 v[48:49], v[30:31], v[150:151]
	v_add_f64 v[42:43], v[42:43], v[48:49]
	s_waitcnt vmcnt(11)
	v_fmac_f64_e32 v[50:51], v[26:27], v[148:149]
	v_add_f64 v[42:43], v[42:43], v[50:51]
	;; [unrolled: 3-line block ×3, first 2 shown]
	v_add_f64 v[42:43], v[42:43], v[54:55]
	s_waitcnt vmcnt(7)
	v_fmac_f64_e32 v[58:59], v[10:11], v[144:145]
	v_add_f64 v[42:43], v[42:43], v[56:57]
	v_add_f64 v[42:43], v[42:43], v[58:59]
	;; [unrolled: 1-line block ×3, first 2 shown]
	buffer_load_dword v153, off, s[0:3], 0 offset:236
	buffer_load_dword v152, off, s[0:3], 0 offset:232
	;; [unrolled: 1-line block ×72, first 2 shown]
	s_waitcnt vmcnt(62)
	v_fmac_f64_e32 v[186:187], v[2:3], v[142:143]
	v_add_f64 v[54:55], v[194:195], v[186:187]
	ds_read_b128 v[46:49], v251 offset:688
	ds_read_b128 v[50:53], v251 offset:704
	buffer_load_dword v93, off, s[0:3], 0 offset:524
	buffer_load_dword v92, off, s[0:3], 0 offset:520
	;; [unrolled: 1-line block ×8, first 2 shown]
	v_mul_f64 v[30:31], v[30:31], v[40:41]
	v_fma_f64 v[28:29], v[28:29], v[150:151], -v[30:31]
	s_waitcnt lgkmcnt(1)
	v_mul_f64 v[56:57], v[46:47], v[138:139]
	v_fmac_f64_e32 v[56:57], v[48:49], v[136:137]
	v_add_f64 v[58:59], v[54:55], v[56:57]
	ds_read_b128 v[54:57], v251 offset:720
	v_mul_f64 v[26:27], v[26:27], v[118:119]
	v_add_f64 v[28:29], v[98:99], v[28:29]
	v_fma_f64 v[24:25], v[24:25], v[148:149], -v[26:27]
	s_waitcnt lgkmcnt(1)
	v_mul_f64 v[60:61], v[50:51], v[156:157]
	v_add_f64 v[24:25], v[28:29], v[24:25]
	v_fmac_f64_e32 v[60:61], v[52:53], v[158:159]
	v_add_f64 v[62:63], v[58:59], v[60:61]
	ds_read_b128 v[58:61], v251 offset:736
	s_waitcnt lgkmcnt(1)
	v_mul_f64 v[64:65], v[54:55], v[152:153]
	v_mul_f64 v[18:19], v[18:19], v[124:125]
	v_fmac_f64_e32 v[64:65], v[56:57], v[154:155]
	v_add_f64 v[20:21], v[24:25], v[20:21]
	v_fma_f64 v[16:17], v[16:17], v[146:147], -v[18:19]
	v_add_f64 v[66:67], v[62:63], v[64:65]
	ds_read_b128 v[62:65], v251 offset:752
	v_add_f64 v[16:17], v[20:21], v[16:17]
	v_mul_f64 v[10:11], v[10:11], v[130:131]
	v_add_f64 v[12:13], v[16:17], v[12:13]
	v_fma_f64 v[8:9], v[8:9], v[144:145], -v[10:11]
	v_add_f64 v[8:9], v[12:13], v[8:9]
	v_mul_f64 v[2:3], v[2:3], v[140:141]
	s_waitcnt vmcnt(62) lgkmcnt(1)
	v_mul_f64 v[68:69], v[58:59], v[164:165]
	v_add_f64 v[4:5], v[8:9], v[4:5]
	v_fma_f64 v[0:1], v[0:1], v[142:143], -v[2:3]
	v_mul_f64 v[2:3], v[48:49], v[138:139]
	v_fmac_f64_e32 v[68:69], v[60:61], v[166:167]
	v_add_f64 v[0:1], v[4:5], v[0:1]
	v_fma_f64 v[2:3], v[46:47], v[136:137], -v[2:3]
	v_add_f64 v[70:71], v[66:67], v[68:69]
	ds_read_b128 v[66:69], v251 offset:768
	s_waitcnt lgkmcnt(1)
	v_mul_f64 v[72:73], v[62:63], v[160:161]
	v_add_f64 v[0:1], v[0:1], v[2:3]
	v_mul_f64 v[2:3], v[52:53], v[156:157]
	v_fmac_f64_e32 v[72:73], v[64:65], v[162:163]
	v_fma_f64 v[2:3], v[50:51], v[158:159], -v[2:3]
	v_add_f64 v[74:75], v[70:71], v[72:73]
	ds_read_b128 v[70:73], v251 offset:784
	ds_read_b128 v[220:223], v251 offset:800
	v_add_f64 v[0:1], v[0:1], v[2:3]
	v_mul_f64 v[2:3], v[56:57], v[152:153]
	v_fma_f64 v[2:3], v[54:55], v[154:155], -v[2:3]
	v_add_f64 v[0:1], v[0:1], v[2:3]
	v_mul_f64 v[2:3], v[60:61], v[164:165]
	s_waitcnt vmcnt(58) lgkmcnt(2)
	v_mul_f64 v[76:77], v[66:67], v[172:173]
	v_fma_f64 v[2:3], v[58:59], v[166:167], -v[2:3]
	s_waitcnt vmcnt(56)
	v_fmac_f64_e32 v[76:77], v[68:69], v[174:175]
	ds_read_b128 v[224:227], v251 offset:816
	ds_read_b128 v[228:231], v251 offset:832
	v_add_f64 v[0:1], v[0:1], v[2:3]
	v_mul_f64 v[2:3], v[64:65], v[160:161]
	v_add_f64 v[74:75], v[74:75], v[76:77]
	s_waitcnt lgkmcnt(3)
	v_mul_f64 v[76:77], v[70:71], v[168:169]
	v_fma_f64 v[2:3], v[62:63], v[162:163], -v[2:3]
	v_fmac_f64_e32 v[76:77], v[72:73], v[170:171]
	v_add_f64 v[0:1], v[0:1], v[2:3]
	v_mul_f64 v[2:3], v[68:69], v[172:173]
	v_add_f64 v[74:75], v[74:75], v[76:77]
	s_waitcnt vmcnt(50) lgkmcnt(2)
	v_mul_f64 v[76:77], v[220:221], v[180:181]
	v_fma_f64 v[2:3], v[66:67], v[174:175], -v[2:3]
	s_waitcnt vmcnt(48)
	v_fmac_f64_e32 v[76:77], v[222:223], v[182:183]
	ds_read_b128 v[232:235], v251 offset:848
	ds_read_b128 v[236:239], v251 offset:864
	v_add_f64 v[0:1], v[0:1], v[2:3]
	v_mul_f64 v[2:3], v[72:73], v[168:169]
	v_add_f64 v[74:75], v[74:75], v[76:77]
	s_waitcnt lgkmcnt(3)
	v_mul_f64 v[76:77], v[224:225], v[176:177]
	v_fma_f64 v[2:3], v[70:71], v[170:171], -v[2:3]
	v_fmac_f64_e32 v[76:77], v[226:227], v[178:179]
	v_add_f64 v[0:1], v[0:1], v[2:3]
	v_mul_f64 v[2:3], v[222:223], v[180:181]
	v_add_f64 v[74:75], v[74:75], v[76:77]
	;; [unrolled: 17-line block ×3, first 2 shown]
	s_waitcnt vmcnt(34) lgkmcnt(2)
	v_mul_f64 v[76:77], v[236:237], v[200:201]
	v_fma_f64 v[2:3], v[228:229], v[192:193], -v[2:3]
	s_waitcnt vmcnt(32)
	v_fmac_f64_e32 v[76:77], v[238:239], v[202:203]
	ds_read_b128 v[252:255], v251 offset:912
	v_add_f64 v[0:1], v[0:1], v[2:3]
	v_mul_f64 v[2:3], v[234:235], v[184:185]
	v_add_f64 v[74:75], v[74:75], v[76:77]
	s_waitcnt lgkmcnt(2)
	v_mul_f64 v[76:77], v[240:241], v[196:197]
	v_fma_f64 v[2:3], v[232:233], v[188:189], -v[2:3]
	v_fmac_f64_e32 v[76:77], v[242:243], v[198:199]
	v_add_f64 v[0:1], v[0:1], v[2:3]
	v_mul_f64 v[2:3], v[238:239], v[200:201]
	v_add_f64 v[74:75], v[74:75], v[76:77]
	s_waitcnt vmcnt(26) lgkmcnt(1)
	v_mul_f64 v[76:77], v[244:245], v[208:209]
	v_fma_f64 v[2:3], v[236:237], v[202:203], -v[2:3]
	s_waitcnt vmcnt(24)
	v_fmac_f64_e32 v[76:77], v[246:247], v[210:211]
	v_add_f64 v[0:1], v[0:1], v[2:3]
	v_mul_f64 v[2:3], v[242:243], v[196:197]
	v_add_f64 v[78:79], v[74:75], v[76:77]
	ds_read_b128 v[74:77], v251 offset:928
	s_waitcnt lgkmcnt(1)
	v_mul_f64 v[80:81], v[252:253], v[204:205]
	v_fma_f64 v[2:3], v[240:241], v[198:199], -v[2:3]
	v_fmac_f64_e32 v[80:81], v[254:255], v[206:207]
	v_add_f64 v[0:1], v[0:1], v[2:3]
	v_mul_f64 v[2:3], v[246:247], v[208:209]
	v_add_f64 v[194:195], v[78:79], v[80:81]
	ds_read_b128 v[78:81], v251 offset:944
	ds_read_b128 v[82:85], v251 offset:960
	v_fma_f64 v[2:3], v[244:245], v[210:211], -v[2:3]
	v_add_f64 v[0:1], v[0:1], v[2:3]
	v_mul_f64 v[2:3], v[254:255], v[204:205]
	v_fma_f64 v[2:3], v[252:253], v[206:207], -v[2:3]
	v_add_f64 v[0:1], v[0:1], v[2:3]
	s_waitcnt vmcnt(18) lgkmcnt(2)
	v_mul_f64 v[2:3], v[76:77], v[216:217]
	ds_read_b128 v[36:39], v251 offset:976
	ds_read_b128 v[110:113], v251 offset:992
	s_waitcnt vmcnt(16)
	v_fma_f64 v[2:3], v[74:75], v[218:219], -v[2:3]
	v_mul_f64 v[248:249], v[74:75], v[216:217]
	v_add_f64 v[0:1], v[0:1], v[2:3]
	s_waitcnt lgkmcnt(3)
	v_mul_f64 v[2:3], v[80:81], v[212:213]
	v_fmac_f64_e32 v[248:249], v[76:77], v[218:219]
	v_fma_f64 v[2:3], v[78:79], v[214:215], -v[2:3]
	v_add_f64 v[194:195], v[194:195], v[248:249]
	v_mul_f64 v[248:249], v[78:79], v[212:213]
	v_add_f64 v[0:1], v[0:1], v[2:3]
	s_waitcnt vmcnt(10) lgkmcnt(2)
	v_mul_f64 v[2:3], v[84:85], v[88:89]
	v_fmac_f64_e32 v[248:249], v[80:81], v[214:215]
	ds_read_b128 v[32:35], v251 offset:1008
	s_waitcnt vmcnt(8)
	v_fma_f64 v[2:3], v[82:83], v[90:91], -v[2:3]
	v_add_f64 v[194:195], v[194:195], v[248:249]
	v_mul_f64 v[248:249], v[82:83], v[88:89]
	v_add_f64 v[0:1], v[0:1], v[2:3]
	s_waitcnt lgkmcnt(2)
	v_mul_f64 v[2:3], v[38:39], v[42:43]
	v_fmac_f64_e32 v[248:249], v[84:85], v[90:91]
	v_mul_f64 v[108:109], v[36:37], v[42:43]
	v_fma_f64 v[2:3], v[36:37], v[86:87], -v[2:3]
	v_add_f64 v[194:195], v[194:195], v[248:249]
	v_fmac_f64_e32 v[108:109], v[38:39], v[86:87]
	v_add_f64 v[0:1], v[0:1], v[2:3]
	s_waitcnt vmcnt(2) lgkmcnt(1)
	v_mul_f64 v[2:3], v[112:113], v[96:97]
	v_add_f64 v[108:109], v[194:195], v[108:109]
	v_mul_f64 v[194:195], v[110:111], v[96:97]
	s_waitcnt vmcnt(0)
	v_fma_f64 v[2:3], v[110:111], v[186:187], -v[2:3]
	v_fmac_f64_e32 v[194:195], v[112:113], v[186:187]
	v_add_f64 v[0:1], v[0:1], v[2:3]
	s_waitcnt lgkmcnt(0)
	v_mul_f64 v[2:3], v[34:35], v[92:93]
	v_add_f64 v[108:109], v[108:109], v[194:195]
	v_mul_f64 v[194:195], v[32:33], v[92:93]
	v_fma_f64 v[2:3], v[32:33], v[94:95], -v[2:3]
	v_fmac_f64_e32 v[194:195], v[34:35], v[94:95]
	v_add_f64 v[0:1], v[0:1], v[2:3]
	v_add_f64 v[108:109], v[108:109], v[194:195]
	v_add_f64 v[0:1], v[134:135], -v[0:1]
	v_add_f64 v[2:3], v[132:133], -v[108:109]
	buffer_store_dword v1, off, s[0:3], 0 offset:20
	buffer_store_dword v0, off, s[0:3], 0 offset:16
	;; [unrolled: 1-line block ×4, first 2 shown]
	s_cbranch_vccz .LBB95_269
; %bb.206:
	v_pk_mov_b32 v[0:1], s[10:11], s[10:11] op_sel:[0,1]
	flat_load_dword v0, v[0:1] offset:120
	s_waitcnt vmcnt(0) lgkmcnt(0)
	v_add_u32_e32 v0, -1, v0
	v_cmp_ne_u32_e32 vcc, 30, v0
	s_and_saveexec_b64 s[4:5], vcc
	s_cbranch_execz .LBB95_208
; %bb.207:
	v_mov_b32_e32 v1, 16
	v_accvgpr_read_b32 v9, a57
	v_lshl_add_u32 v0, v0, 4, v1
	buffer_load_dword v1, v9, s[0:3], 0 offen offset:4
	buffer_load_dword v2, v9, s[0:3], 0 offen offset:8
	buffer_load_dword v3, v9, s[0:3], 0 offen offset:12
	buffer_load_dword v4, v0, s[0:3], 0 offen
	buffer_load_dword v5, v0, s[0:3], 0 offen offset:4
	buffer_load_dword v6, v0, s[0:3], 0 offen offset:8
	buffer_load_dword v7, v0, s[0:3], 0 offen offset:12
	buffer_load_dword v8, v9, s[0:3], 0 offen
	s_waitcnt vmcnt(4)
	buffer_store_dword v4, v9, s[0:3], 0 offen
	s_waitcnt vmcnt(4)
	buffer_store_dword v5, v9, s[0:3], 0 offen offset:4
	s_waitcnt vmcnt(4)
	buffer_store_dword v6, v9, s[0:3], 0 offen offset:8
	s_waitcnt vmcnt(4)
	buffer_store_dword v7, v9, s[0:3], 0 offen offset:12
	buffer_store_dword v3, v0, s[0:3], 0 offen offset:12
	buffer_store_dword v2, v0, s[0:3], 0 offen offset:8
	buffer_store_dword v1, v0, s[0:3], 0 offen offset:4
	s_waitcnt vmcnt(7)
	buffer_store_dword v8, v0, s[0:3], 0 offen
.LBB95_208:
	s_or_b64 exec, exec, s[4:5]
	v_pk_mov_b32 v[0:1], s[10:11], s[10:11] op_sel:[0,1]
	flat_load_dword v0, v[0:1] offset:116
	s_waitcnt vmcnt(0) lgkmcnt(0)
	v_add_u32_e32 v0, -1, v0
	v_cmp_ne_u32_e32 vcc, 29, v0
	s_and_saveexec_b64 s[4:5], vcc
	s_cbranch_execz .LBB95_210
; %bb.209:
	v_mov_b32_e32 v1, 16
	v_accvgpr_read_b32 v9, a58
	v_lshl_add_u32 v0, v0, 4, v1
	buffer_load_dword v1, v9, s[0:3], 0 offen offset:4
	buffer_load_dword v2, v9, s[0:3], 0 offen offset:8
	buffer_load_dword v3, v9, s[0:3], 0 offen offset:12
	buffer_load_dword v4, v0, s[0:3], 0 offen
	buffer_load_dword v5, v0, s[0:3], 0 offen offset:4
	buffer_load_dword v6, v0, s[0:3], 0 offen offset:8
	buffer_load_dword v7, v0, s[0:3], 0 offen offset:12
	buffer_load_dword v8, v9, s[0:3], 0 offen
	s_waitcnt vmcnt(4)
	buffer_store_dword v4, v9, s[0:3], 0 offen
	s_waitcnt vmcnt(4)
	buffer_store_dword v5, v9, s[0:3], 0 offen offset:4
	s_waitcnt vmcnt(4)
	buffer_store_dword v6, v9, s[0:3], 0 offen offset:8
	s_waitcnt vmcnt(4)
	buffer_store_dword v7, v9, s[0:3], 0 offen offset:12
	buffer_store_dword v3, v0, s[0:3], 0 offen offset:12
	buffer_store_dword v2, v0, s[0:3], 0 offen offset:8
	buffer_store_dword v1, v0, s[0:3], 0 offen offset:4
	s_waitcnt vmcnt(7)
	buffer_store_dword v8, v0, s[0:3], 0 offen
.LBB95_210:
	s_or_b64 exec, exec, s[4:5]
	;; [unrolled: 34-line block ×30, first 2 shown]
	v_pk_mov_b32 v[0:1], s[10:11], s[10:11] op_sel:[0,1]
	flat_load_dword v0, v[0:1]
	s_waitcnt vmcnt(0) lgkmcnt(0)
	v_add_u32_e32 v0, -1, v0
	v_cmp_ne_u32_e32 vcc, 0, v0
	s_and_saveexec_b64 s[4:5], vcc
	s_cbranch_execz .LBB95_268
; %bb.267:
	v_mov_b32_e32 v1, 16
	v_lshl_add_u32 v0, v0, 4, v1
	buffer_load_dword v1, v0, s[0:3], 0 offen
	buffer_load_dword v2, v0, s[0:3], 0 offen offset:4
	buffer_load_dword v3, v0, s[0:3], 0 offen offset:8
	;; [unrolled: 1-line block ×3, first 2 shown]
	buffer_load_dword v5, off, s[0:3], 0 offset:28
	buffer_load_dword v6, off, s[0:3], 0 offset:24
	;; [unrolled: 1-line block ×4, first 2 shown]
	s_waitcnt vmcnt(7)
	buffer_store_dword v1, off, s[0:3], 0 offset:16
	s_waitcnt vmcnt(7)
	buffer_store_dword v2, off, s[0:3], 0 offset:20
	;; [unrolled: 2-line block ×4, first 2 shown]
	s_waitcnt vmcnt(7)
	buffer_store_dword v5, v0, s[0:3], 0 offen offset:12
	s_waitcnt vmcnt(7)
	buffer_store_dword v6, v0, s[0:3], 0 offen offset:8
	s_waitcnt vmcnt(7)
	buffer_store_dword v7, v0, s[0:3], 0 offen offset:4
	s_waitcnt vmcnt(7)
	buffer_store_dword v8, v0, s[0:3], 0 offen
.LBB95_268:
	s_or_b64 exec, exec, s[4:5]
.LBB95_269:
	buffer_load_dword v0, off, s[0:3], 0 offset:16
	buffer_load_dword v1, off, s[0:3], 0 offset:20
	;; [unrolled: 1-line block ×4, first 2 shown]
	v_accvgpr_read_b32 v20, a85
	buffer_load_dword v5, v20, s[0:3], 0 offen offset:4
	buffer_load_dword v6, v20, s[0:3], 0 offen offset:8
	;; [unrolled: 1-line block ×3, first 2 shown]
	v_accvgpr_read_b32 v19, a84
	buffer_load_dword v8, v19, s[0:3], 0 offen
	buffer_load_dword v9, v19, s[0:3], 0 offen offset:4
	buffer_load_dword v10, v19, s[0:3], 0 offen offset:8
	buffer_load_dword v4, v20, s[0:3], 0 offen
	buffer_load_dword v11, v19, s[0:3], 0 offen offset:12
	v_accvgpr_read_b32 v21, a86
	buffer_load_dword v13, v21, s[0:3], 0 offen offset:4
	buffer_load_dword v14, v21, s[0:3], 0 offen offset:8
	;; [unrolled: 1-line block ×3, first 2 shown]
	v_accvgpr_read_b32 v28, a81
	buffer_load_dword v16, v28, s[0:3], 0 offen
	buffer_load_dword v17, v28, s[0:3], 0 offen offset:4
	buffer_load_dword v18, v28, s[0:3], 0 offen offset:8
	buffer_load_dword v12, v21, s[0:3], 0 offen
                                        ; kill: killed $vgpr20
                                        ; kill: killed $vgpr21
                                        ; kill: killed $vgpr19
	buffer_load_dword v19, v28, s[0:3], 0 offen offset:12
	v_accvgpr_read_b32 v35, a82
	buffer_load_dword v21, v35, s[0:3], 0 offen offset:4
	buffer_load_dword v22, v35, s[0:3], 0 offen offset:8
	;; [unrolled: 1-line block ×3, first 2 shown]
	v_accvgpr_read_b32 v36, a83
	buffer_load_dword v24, v36, s[0:3], 0 offen
	buffer_load_dword v25, v36, s[0:3], 0 offen offset:4
	buffer_load_dword v26, v36, s[0:3], 0 offen offset:8
	buffer_load_dword v20, v35, s[0:3], 0 offen
	buffer_load_dword v27, v36, s[0:3], 0 offen offset:12
	v_accvgpr_read_b32 v40, a79
	buffer_load_dword v29, v40, s[0:3], 0 offen offset:4
	buffer_load_dword v30, v40, s[0:3], 0 offen offset:8
	;; [unrolled: 1-line block ×3, first 2 shown]
	v_accvgpr_read_b32 v41, a80
	buffer_load_dword v32, v41, s[0:3], 0 offen
	buffer_load_dword v33, v41, s[0:3], 0 offen offset:4
	buffer_load_dword v34, v41, s[0:3], 0 offen offset:8
                                        ; kill: killed $vgpr36
                                        ; kill: killed $vgpr35
                                        ; kill: killed $vgpr28
	buffer_load_dword v28, v40, s[0:3], 0 offen
	buffer_load_dword v35, v41, s[0:3], 0 offen offset:12
	v_accvgpr_read_b32 v36, a78
	buffer_load_dword v37, v36, s[0:3], 0 offen offset:4
	buffer_load_dword v38, v36, s[0:3], 0 offen offset:8
	;; [unrolled: 1-line block ×3, first 2 shown]
                                        ; kill: killed $vgpr40
	v_accvgpr_read_b32 v40, a77
	buffer_load_dword v46, v40, s[0:3], 0 offen
	buffer_load_dword v47, v40, s[0:3], 0 offen offset:4
	buffer_load_dword v48, v40, s[0:3], 0 offen offset:8
	s_nop 0
	buffer_load_dword v36, v36, s[0:3], 0 offen
	s_nop 0
	buffer_load_dword v49, v40, s[0:3], 0 offen offset:12
                                        ; kill: killed $vgpr41
	v_accvgpr_read_b32 v41, a76
	buffer_load_dword v51, v41, s[0:3], 0 offen offset:4
	buffer_load_dword v52, v41, s[0:3], 0 offen offset:8
	buffer_load_dword v53, v41, s[0:3], 0 offen offset:12
	v_accvgpr_read_b32 v40, a75
	buffer_load_dword v54, v40, s[0:3], 0 offen
	buffer_load_dword v55, v40, s[0:3], 0 offen offset:4
	buffer_load_dword v56, v40, s[0:3], 0 offen offset:8
	buffer_load_dword v50, v41, s[0:3], 0 offen
	buffer_load_dword v57, v40, s[0:3], 0 offen offset:12
	v_accvgpr_read_b32 v41, a74
	buffer_load_dword v59, v41, s[0:3], 0 offen offset:4
	buffer_load_dword v60, v41, s[0:3], 0 offen offset:8
	buffer_load_dword v61, v41, s[0:3], 0 offen offset:12
	v_accvgpr_read_b32 v40, a73
	buffer_load_dword v62, v40, s[0:3], 0 offen
	buffer_load_dword v63, v40, s[0:3], 0 offen offset:4
	buffer_load_dword v64, v40, s[0:3], 0 offen offset:8
	buffer_load_dword v58, v41, s[0:3], 0 offen
	buffer_load_dword v65, v40, s[0:3], 0 offen offset:12
	;; [unrolled: 10-line block ×8, first 2 shown]
	v_accvgpr_read_b32 v41, a60
	v_accvgpr_read_b32 v40, a59
	buffer_load_dword v135, v41, s[0:3], 0 offen offset:4
	buffer_load_dword v136, v41, s[0:3], 0 offen offset:8
	buffer_load_dword v137, v41, s[0:3], 0 offen offset:12
	buffer_load_dword v138, v40, s[0:3], 0 offen
	buffer_load_dword v139, v40, s[0:3], 0 offen offset:4
	buffer_load_dword v140, v40, s[0:3], 0 offen offset:8
	buffer_load_dword v134, v41, s[0:3], 0 offen
	buffer_load_dword v141, v40, s[0:3], 0 offen offset:12
	v_accvgpr_read_b32 v41, a58
	v_accvgpr_read_b32 v40, a57
	buffer_load_dword v143, v41, s[0:3], 0 offen offset:4
	buffer_load_dword v144, v41, s[0:3], 0 offen offset:8
	;; [unrolled: 1-line block ×3, first 2 shown]
	buffer_load_dword v146, v40, s[0:3], 0 offen
	buffer_load_dword v147, v40, s[0:3], 0 offen offset:4
	buffer_load_dword v148, v40, s[0:3], 0 offen offset:8
	buffer_load_dword v142, v41, s[0:3], 0 offen
	buffer_load_dword v149, v40, s[0:3], 0 offen offset:12
	v_accvgpr_read_b32 v40, a56
	buffer_load_dword v150, v40, s[0:3], 0 offen
	buffer_load_dword v151, v40, s[0:3], 0 offen offset:4
	buffer_load_dword v152, v40, s[0:3], 0 offen offset:8
	;; [unrolled: 1-line block ×3, first 2 shown]
	s_waitcnt vmcnt(62)
	global_store_dwordx4 v[44:45], v[0:3], off
	s_nop 0
	v_accvgpr_read_b32 v0, a2
	v_accvgpr_read_b32 v1, a3
	global_store_dwordx4 v[0:1], v[4:7], off
	v_accvgpr_read_b32 v0, a0
	v_accvgpr_read_b32 v1, a1
	global_store_dwordx4 v[0:1], v[8:11], off
	;; [unrolled: 3-line block ×14, first 2 shown]
	v_accvgpr_read_b32 v0, a30
	v_accvgpr_read_b32 v1, a31
	s_waitcnt vmcnt(62)
	global_store_dwordx4 v[0:1], v[66:69], off
	v_accvgpr_read_b32 v0, a32
	v_accvgpr_read_b32 v1, a33
	global_store_dwordx4 v[0:1], v[70:73], off
	v_accvgpr_read_b32 v0, a34
	v_accvgpr_read_b32 v1, a35
	;; [unrolled: 3-line block ×4, first 2 shown]
	s_waitcnt vmcnt(62)
	global_store_dwordx4 v[0:1], v[82:85], off
	v_accvgpr_read_b32 v0, a40
	v_accvgpr_read_b32 v1, a41
	global_store_dwordx4 v[0:1], v[106:109], off
	v_accvgpr_read_b32 v0, a42
	v_accvgpr_read_b32 v1, a43
	s_waitcnt vmcnt(58)
	global_store_dwordx4 v[0:1], v[110:113], off
	v_accvgpr_read_b32 v0, a44
	v_accvgpr_read_b32 v1, a45
	s_waitcnt vmcnt(58)
	;; [unrolled: 4-line block ×7, first 2 shown]
	global_store_dwordx4 v[0:1], v[134:137], off
	s_waitcnt vmcnt(40)
	global_store_dwordx4 v[100:101], v[138:141], off
	s_waitcnt vmcnt(34)
	;; [unrolled: 2-line block ×3, first 2 shown]
	global_store_dwordx4 v[104:105], v[146:149], off
	v_accvgpr_read_b32 v0, a20
	v_accvgpr_read_b32 v1, a21
	s_waitcnt vmcnt(31)
	global_store_dwordx4 v[0:1], v[150:153], off
	s_endpgm
	.section	.rodata,"a",@progbits
	.p2align	6, 0x0
	.amdhsa_kernel _ZN9rocsolver6v33100L18getri_kernel_smallILi32E19rocblas_complex_numIdEPKPS3_EEvT1_iilPiilS8_bb
		.amdhsa_group_segment_fixed_size 1032
		.amdhsa_private_segment_fixed_size 544
		.amdhsa_kernarg_size 60
		.amdhsa_user_sgpr_count 8
		.amdhsa_user_sgpr_private_segment_buffer 1
		.amdhsa_user_sgpr_dispatch_ptr 0
		.amdhsa_user_sgpr_queue_ptr 0
		.amdhsa_user_sgpr_kernarg_segment_ptr 1
		.amdhsa_user_sgpr_dispatch_id 0
		.amdhsa_user_sgpr_flat_scratch_init 1
		.amdhsa_user_sgpr_kernarg_preload_length 0
		.amdhsa_user_sgpr_kernarg_preload_offset 0
		.amdhsa_user_sgpr_private_segment_size 0
		.amdhsa_uses_dynamic_stack 0
		.amdhsa_system_sgpr_private_segment_wavefront_offset 1
		.amdhsa_system_sgpr_workgroup_id_x 1
		.amdhsa_system_sgpr_workgroup_id_y 0
		.amdhsa_system_sgpr_workgroup_id_z 0
		.amdhsa_system_sgpr_workgroup_info 0
		.amdhsa_system_vgpr_workitem_id 0
		.amdhsa_next_free_vgpr 343
		.amdhsa_next_free_sgpr 22
		.amdhsa_accum_offset 256
		.amdhsa_reserve_vcc 1
		.amdhsa_reserve_flat_scratch 1
		.amdhsa_float_round_mode_32 0
		.amdhsa_float_round_mode_16_64 0
		.amdhsa_float_denorm_mode_32 3
		.amdhsa_float_denorm_mode_16_64 3
		.amdhsa_dx10_clamp 1
		.amdhsa_ieee_mode 1
		.amdhsa_fp16_overflow 0
		.amdhsa_tg_split 0
		.amdhsa_exception_fp_ieee_invalid_op 0
		.amdhsa_exception_fp_denorm_src 0
		.amdhsa_exception_fp_ieee_div_zero 0
		.amdhsa_exception_fp_ieee_overflow 0
		.amdhsa_exception_fp_ieee_underflow 0
		.amdhsa_exception_fp_ieee_inexact 0
		.amdhsa_exception_int_div_zero 0
	.end_amdhsa_kernel
	.section	.text._ZN9rocsolver6v33100L18getri_kernel_smallILi32E19rocblas_complex_numIdEPKPS3_EEvT1_iilPiilS8_bb,"axG",@progbits,_ZN9rocsolver6v33100L18getri_kernel_smallILi32E19rocblas_complex_numIdEPKPS3_EEvT1_iilPiilS8_bb,comdat
.Lfunc_end95:
	.size	_ZN9rocsolver6v33100L18getri_kernel_smallILi32E19rocblas_complex_numIdEPKPS3_EEvT1_iilPiilS8_bb, .Lfunc_end95-_ZN9rocsolver6v33100L18getri_kernel_smallILi32E19rocblas_complex_numIdEPKPS3_EEvT1_iilPiilS8_bb
                                        ; -- End function
	.section	.AMDGPU.csdata,"",@progbits
; Kernel info:
; codeLenInByte = 73408
; NumSgprs: 28
; NumVgprs: 256
; NumAgprs: 87
; TotalNumVgprs: 343
; ScratchSize: 544
; MemoryBound: 0
; FloatMode: 240
; IeeeMode: 1
; LDSByteSize: 1032 bytes/workgroup (compile time only)
; SGPRBlocks: 3
; VGPRBlocks: 42
; NumSGPRsForWavesPerEU: 28
; NumVGPRsForWavesPerEU: 343
; AccumOffset: 256
; Occupancy: 1
; WaveLimiterHint : 1
; COMPUTE_PGM_RSRC2:SCRATCH_EN: 1
; COMPUTE_PGM_RSRC2:USER_SGPR: 8
; COMPUTE_PGM_RSRC2:TRAP_HANDLER: 0
; COMPUTE_PGM_RSRC2:TGID_X_EN: 1
; COMPUTE_PGM_RSRC2:TGID_Y_EN: 0
; COMPUTE_PGM_RSRC2:TGID_Z_EN: 0
; COMPUTE_PGM_RSRC2:TIDIG_COMP_CNT: 0
; COMPUTE_PGM_RSRC3_GFX90A:ACCUM_OFFSET: 63
; COMPUTE_PGM_RSRC3_GFX90A:TG_SPLIT: 0
	.section	.text._ZN9rocsolver6v33100L18getri_kernel_smallILi33E19rocblas_complex_numIdEPKPS3_EEvT1_iilPiilS8_bb,"axG",@progbits,_ZN9rocsolver6v33100L18getri_kernel_smallILi33E19rocblas_complex_numIdEPKPS3_EEvT1_iilPiilS8_bb,comdat
	.globl	_ZN9rocsolver6v33100L18getri_kernel_smallILi33E19rocblas_complex_numIdEPKPS3_EEvT1_iilPiilS8_bb ; -- Begin function _ZN9rocsolver6v33100L18getri_kernel_smallILi33E19rocblas_complex_numIdEPKPS3_EEvT1_iilPiilS8_bb
	.p2align	8
	.type	_ZN9rocsolver6v33100L18getri_kernel_smallILi33E19rocblas_complex_numIdEPKPS3_EEvT1_iilPiilS8_bb,@function
_ZN9rocsolver6v33100L18getri_kernel_smallILi33E19rocblas_complex_numIdEPKPS3_EEvT1_iilPiilS8_bb: ; @_ZN9rocsolver6v33100L18getri_kernel_smallILi33E19rocblas_complex_numIdEPKPS3_EEvT1_iilPiilS8_bb
; %bb.0:
	s_add_u32 flat_scratch_lo, s6, s9
	s_addc_u32 flat_scratch_hi, s7, 0
	s_add_u32 s0, s0, s9
	s_addc_u32 s1, s1, 0
	v_cmp_gt_u32_e32 vcc, 33, v0
	s_and_saveexec_b64 s[6:7], vcc
	s_cbranch_execz .LBB96_146
; %bb.1:
	s_load_dword s18, s[4:5], 0x38
	s_load_dwordx2 s[6:7], s[4:5], 0x0
	s_load_dwordx4 s[12:15], s[4:5], 0x28
	s_waitcnt lgkmcnt(0)
	s_bitcmp1_b32 s18, 8
	s_cselect_b64 s[16:17], -1, 0
	s_ashr_i32 s9, s8, 31
	s_lshl_b64 s[10:11], s[8:9], 3
	s_add_u32 s6, s6, s10
	s_addc_u32 s7, s7, s11
	s_load_dwordx2 s[6:7], s[6:7], 0x0
	s_bfe_u32 s10, s18, 0x10008
	s_cmp_eq_u32 s10, 0
                                        ; implicit-def: $sgpr10_sgpr11
	s_cbranch_scc1 .LBB96_3
; %bb.2:
	s_load_dword s10, s[4:5], 0x20
	s_load_dwordx2 s[20:21], s[4:5], 0x18
	s_mul_i32 s11, s8, s13
	s_mul_hi_u32 s13, s8, s12
	s_add_i32 s13, s13, s11
	s_mul_i32 s19, s9, s12
	s_add_i32 s13, s13, s19
	s_mul_i32 s12, s8, s12
	s_waitcnt lgkmcnt(0)
	s_ashr_i32 s11, s10, 31
	s_lshl_b64 s[12:13], s[12:13], 2
	s_add_u32 s12, s20, s12
	s_addc_u32 s13, s21, s13
	s_lshl_b64 s[10:11], s[10:11], 2
	s_add_u32 s10, s12, s10
	s_addc_u32 s11, s13, s11
.LBB96_3:
	s_load_dwordx2 s[4:5], s[4:5], 0x8
	v_lshlrev_b32_e32 v1, 4, v0
	s_waitcnt lgkmcnt(0)
	s_ashr_i32 s13, s4, 31
	s_mov_b32 s12, s4
	s_lshl_b64 s[12:13], s[12:13], 4
	s_add_u32 s6, s6, s12
	s_addc_u32 s7, s7, s13
	v_mov_b32_e32 v2, s7
	v_add_co_u32_e32 v118, vcc, s6, v1
	s_ashr_i32 s13, s5, 31
	s_mov_b32 s12, s5
	s_add_i32 s4, s5, s5
	v_addc_co_u32_e32 v119, vcc, 0, v2, vcc
	global_load_dwordx4 v[2:5], v1, s[6:7]
	s_lshl_b64 s[12:13], s[12:13], 4
	v_add_u32_e32 v14, s4, v0
	v_mov_b32_e32 v6, s13
	v_add_co_u32_e32 v10, vcc, s12, v118
	v_ashrrev_i32_e32 v15, 31, v14
	v_addc_co_u32_e32 v11, vcc, v119, v6, vcc
	v_lshlrev_b64 v[6:7], 4, v[14:15]
	v_mov_b32_e32 v8, s7
	v_add_co_u32_e32 v12, vcc, s6, v6
	v_addc_co_u32_e32 v13, vcc, v8, v7, vcc
	global_load_dwordx4 v[6:9], v[10:11], off
	v_add_u32_e32 v14, s5, v14
	v_ashrrev_i32_e32 v15, 31, v14
	v_lshlrev_b64 v[16:17], 4, v[14:15]
	v_mov_b32_e32 v15, s7
	v_add_co_u32_e32 v20, vcc, s6, v16
	v_add_u32_e32 v14, s5, v14
	v_addc_co_u32_e32 v21, vcc, v15, v17, vcc
	v_ashrrev_i32_e32 v15, 31, v14
	v_add_u32_e32 v16, s5, v14
	v_lshlrev_b64 v[14:15], 4, v[14:15]
	v_mov_b32_e32 v18, s7
	v_ashrrev_i32_e32 v17, 31, v16
	v_add_co_u32_e32 v30, vcc, s6, v14
	v_add_u32_e32 v22, s5, v16
	v_addc_co_u32_e32 v31, vcc, v18, v15, vcc
	v_lshlrev_b64 v[24:25], 4, v[16:17]
	v_mov_b32_e32 v27, s7
	v_ashrrev_i32_e32 v23, 31, v22
	v_add_co_u32_e32 v24, vcc, s6, v24
	v_accvgpr_write_b32 a0, v10
	v_accvgpr_write_b32 a2, v12
	v_add_u32_e32 v26, s5, v22
	v_addc_co_u32_e32 v25, vcc, v27, v25, vcc
	v_lshlrev_b64 v[22:23], 4, v[22:23]
	v_accvgpr_write_b32 a1, v11
	v_accvgpr_write_b32 a3, v13
	global_load_dwordx4 v[10:13], v[12:13], off
	v_mov_b32_e32 v28, s7
	global_load_dwordx4 v[14:17], v[20:21], off
	v_accvgpr_write_b32 a4, v20
	v_accvgpr_write_b32 a6, v30
	v_ashrrev_i32_e32 v27, 31, v26
	v_add_co_u32_e32 v34, vcc, s6, v22
	v_accvgpr_write_b32 a8, v24
	v_accvgpr_write_b32 a5, v21
	v_accvgpr_write_b32 a7, v31
	global_load_dwordx4 v[18:21], v[30:31], off
	v_add_u32_e32 v38, s5, v26
	v_addc_co_u32_e32 v35, vcc, v28, v23, vcc
	v_accvgpr_write_b32 a9, v25
	global_load_dwordx4 v[22:25], v[24:25], off
	v_lshlrev_b64 v[30:31], 4, v[26:27]
	v_accvgpr_write_b32 a10, v34
	v_mov_b32_e32 v32, s7
	v_ashrrev_i32_e32 v39, 31, v38
	v_accvgpr_write_b32 a11, v35
	global_load_dwordx4 v[26:29], v[34:35], off
	v_add_co_u32_e32 v34, vcc, s6, v30
	v_addc_co_u32_e32 v35, vcc, v32, v31, vcc
	v_lshlrev_b64 v[30:31], 4, v[38:39]
	v_add_u32_e32 v38, s5, v38
	v_add_co_u32_e32 v36, vcc, s6, v30
	v_ashrrev_i32_e32 v39, 31, v38
	v_addc_co_u32_e32 v37, vcc, v32, v31, vcc
	v_lshlrev_b64 v[40:41], 4, v[38:39]
	v_add_u32_e32 v46, s5, v38
	v_mov_b32_e32 v39, s7
	v_add_co_u32_e32 v42, vcc, s6, v40
	v_ashrrev_i32_e32 v47, 31, v46
	v_addc_co_u32_e32 v43, vcc, v39, v41, vcc
	v_lshlrev_b64 v[38:39], 4, v[46:47]
	v_add_u32_e32 v50, s5, v46
	v_mov_b32_e32 v40, s7
	v_add_co_u32_e32 v44, vcc, s6, v38
	v_ashrrev_i32_e32 v51, 31, v50
	v_addc_co_u32_e32 v45, vcc, v40, v39, vcc
	v_lshlrev_b64 v[46:47], 4, v[50:51]
	v_mov_b32_e32 v48, s7
	v_add_co_u32_e32 v46, vcc, s6, v46
	v_add_u32_e32 v50, s5, v50
	v_accvgpr_write_b32 a12, v34
	v_accvgpr_write_b32 a14, v36
	;; [unrolled: 1-line block ×4, first 2 shown]
	v_addc_co_u32_e32 v47, vcc, v48, v47, vcc
	v_accvgpr_write_b32 a20, v46
	v_ashrrev_i32_e32 v51, 31, v50
	v_accvgpr_write_b32 a13, v35
	global_load_dwordx4 v[30:33], v[34:35], off
	global_load_dwordx4 v[38:41], v[42:43], off
	v_accvgpr_write_b32 a15, v37
	global_load_dwordx4 v[34:37], v[36:37], off
	v_accvgpr_write_b32 a17, v43
	v_accvgpr_write_b32 a19, v45
	global_load_dwordx4 v[42:45], v[44:45], off
	v_accvgpr_write_b32 a21, v47
	global_load_dwordx4 v[46:49], v[46:47], off
	s_waitcnt vmcnt(11)
	buffer_store_dword v5, off, s[0:3], 0 offset:28
	buffer_store_dword v4, off, s[0:3], 0 offset:24
	;; [unrolled: 1-line block ×4, first 2 shown]
	s_waitcnt vmcnt(14)
	buffer_store_dword v9, off, s[0:3], 0 offset:44
	v_lshlrev_b64 v[2:3], 4, v[50:51]
	v_mov_b32_e32 v4, s7
	v_add_co_u32_e32 v2, vcc, s6, v2
	v_addc_co_u32_e32 v3, vcc, v4, v3, vcc
	v_accvgpr_write_b32 a23, v3
	v_accvgpr_write_b32 a22, v2
	global_load_dwordx4 v[2:5], v[2:3], off
	s_nop 0
	buffer_store_dword v8, off, s[0:3], 0 offset:40
	buffer_store_dword v7, off, s[0:3], 0 offset:36
	buffer_store_dword v6, off, s[0:3], 0 offset:32
	s_waitcnt vmcnt(18)
	buffer_store_dword v13, off, s[0:3], 0 offset:60
	buffer_store_dword v12, off, s[0:3], 0 offset:56
	buffer_store_dword v11, off, s[0:3], 0 offset:52
	buffer_store_dword v10, off, s[0:3], 0 offset:48
	s_waitcnt vmcnt(21)
	buffer_store_dword v17, off, s[0:3], 0 offset:76
	;; [unrolled: 5-line block ×7, first 2 shown]
	buffer_store_dword v36, off, s[0:3], 0 offset:152
	buffer_store_dword v35, off, s[0:3], 0 offset:148
	;; [unrolled: 1-line block ×7, first 2 shown]
	s_waitcnt vmcnt(42)
	buffer_store_dword v42, off, s[0:3], 0 offset:176
	buffer_store_dword v43, off, s[0:3], 0 offset:180
	;; [unrolled: 1-line block ×4, first 2 shown]
	s_waitcnt vmcnt(45)
	buffer_store_dword v46, off, s[0:3], 0 offset:192
	buffer_store_dword v47, off, s[0:3], 0 offset:196
	buffer_store_dword v48, off, s[0:3], 0 offset:200
	buffer_store_dword v49, off, s[0:3], 0 offset:204
	v_add_u32_e32 v6, s5, v50
	v_ashrrev_i32_e32 v7, 31, v6
	v_lshlrev_b64 v[8:9], 4, v[6:7]
	v_add_u32_e32 v14, s5, v6
	v_mov_b32_e32 v7, s7
	v_add_co_u32_e32 v10, vcc, s6, v8
	v_ashrrev_i32_e32 v15, 31, v14
	v_addc_co_u32_e32 v11, vcc, v7, v9, vcc
	v_lshlrev_b64 v[6:7], 4, v[14:15]
	v_add_u32_e32 v14, s5, v14
	v_mov_b32_e32 v8, s7
	v_add_co_u32_e32 v12, vcc, s6, v6
	v_ashrrev_i32_e32 v15, 31, v14
	v_addc_co_u32_e32 v13, vcc, v8, v7, vcc
	global_load_dwordx4 v[6:9], v[10:11], off
	v_lshlrev_b64 v[16:17], 4, v[14:15]
	v_add_u32_e32 v22, s5, v14
	v_mov_b32_e32 v15, s7
	v_add_co_u32_e32 v18, vcc, s6, v16
	v_ashrrev_i32_e32 v23, 31, v22
	v_addc_co_u32_e32 v19, vcc, v15, v17, vcc
	v_lshlrev_b64 v[14:15], 4, v[22:23]
	v_accvgpr_write_b32 a25, v11
	v_accvgpr_write_b32 a27, v13
	v_mov_b32_e32 v16, s7
	v_add_co_u32_e32 v20, vcc, s6, v14
	v_accvgpr_write_b32 a24, v10
	v_accvgpr_write_b32 a26, v12
	v_addc_co_u32_e32 v21, vcc, v16, v15, vcc
	global_load_dwordx4 v[14:17], v[18:19], off
	v_add_u32_e32 v22, s5, v22
	global_load_dwordx4 v[10:13], v[12:13], off
	v_accvgpr_write_b32 a29, v19
	v_accvgpr_write_b32 a31, v21
	v_ashrrev_i32_e32 v23, 31, v22
	v_accvgpr_write_b32 a28, v18
	v_accvgpr_write_b32 a30, v20
	global_load_dwordx4 v[18:21], v[20:21], off
	v_lshlrev_b64 v[24:25], 4, v[22:23]
	v_add_u32_e32 v30, s5, v22
	s_waitcnt vmcnt(47)
	buffer_store_dword v5, off, s[0:3], 0 offset:220
	v_mov_b32_e32 v5, s7
	v_add_co_u32_e32 v24, vcc, s6, v24
	v_ashrrev_i32_e32 v31, 31, v30
	v_addc_co_u32_e32 v25, vcc, v5, v25, vcc
	v_lshlrev_b64 v[22:23], 4, v[30:31]
	v_add_co_u32_e32 v26, vcc, s6, v22
	v_accvgpr_write_b32 a33, v25
	v_addc_co_u32_e32 v27, vcc, v5, v23, vcc
	v_accvgpr_write_b32 a32, v24
	global_load_dwordx4 v[22:25], v[24:25], off
	v_add_u32_e32 v30, s5, v30
	v_accvgpr_write_b32 a35, v27
	v_ashrrev_i32_e32 v31, 31, v30
	v_accvgpr_write_b32 a34, v26
	global_load_dwordx4 v[26:29], v[26:27], off
	v_lshlrev_b64 v[32:33], 4, v[30:31]
	v_add_u32_e32 v38, s5, v30
	v_add_co_u32_e32 v32, vcc, s6, v32
	v_ashrrev_i32_e32 v39, 31, v38
	v_addc_co_u32_e32 v33, vcc, v5, v33, vcc
	v_lshlrev_b64 v[30:31], 4, v[38:39]
	v_add_co_u32_e32 v34, vcc, s6, v30
	v_accvgpr_write_b32 a37, v33
	v_addc_co_u32_e32 v35, vcc, v5, v31, vcc
	v_accvgpr_write_b32 a36, v32
	global_load_dwordx4 v[30:33], v[32:33], off
	v_add_u32_e32 v38, s5, v38
	v_accvgpr_write_b32 a39, v35
	v_ashrrev_i32_e32 v39, 31, v38
	v_accvgpr_write_b32 a38, v34
	global_load_dwordx4 v[34:37], v[34:35], off
	v_lshlrev_b64 v[40:41], 4, v[38:39]
	v_add_u32_e32 v46, s5, v38
	;; [unrolled: 16-line block ×6, first 2 shown]
	v_add_co_u32_e32 v72, vcc, s6, v72
	v_ashrrev_i32_e32 v79, 31, v78
	v_addc_co_u32_e32 v73, vcc, v5, v73, vcc
	v_lshlrev_b64 v[70:71], 4, v[78:79]
	v_add_co_u32_e32 v74, vcc, s6, v70
	v_accvgpr_write_b32 a56, v72
	v_addc_co_u32_e32 v75, vcc, v5, v71, vcc
	v_accvgpr_write_b32 a57, v73
	global_load_dwordx4 v[70:73], v[72:73], off
	v_accvgpr_write_b32 a58, v74
	v_add_u32_e32 v78, s5, v78
	v_accvgpr_write_b32 a59, v75
	global_load_dwordx4 v[74:77], v[74:75], off
	v_ashrrev_i32_e32 v79, 31, v78
	v_lshlrev_b64 v[80:81], 4, v[78:79]
	v_add_co_u32_e32 v180, vcc, s6, v80
	v_add_u32_e32 v78, s5, v78
	v_addc_co_u32_e32 v181, vcc, v5, v81, vcc
	v_ashrrev_i32_e32 v79, 31, v78
	v_lshlrev_b64 v[82:83], 4, v[78:79]
	global_load_dwordx4 v[78:81], v[180:181], off
	v_add_co_u32_e32 v182, vcc, s6, v82
	v_addc_co_u32_e32 v183, vcc, v5, v83, vcc
	global_load_dwordx4 v[82:85], v[182:183], off
	s_nop 0
	buffer_store_dword v4, off, s[0:3], 0 offset:216
	buffer_store_dword v3, off, s[0:3], 0 offset:212
	;; [unrolled: 1-line block ×3, first 2 shown]
	s_waitcnt vmcnt(23)
	buffer_store_dword v9, off, s[0:3], 0 offset:236
	buffer_store_dword v8, off, s[0:3], 0 offset:232
	;; [unrolled: 1-line block ×4, first 2 shown]
	s_waitcnt vmcnt(25)
	buffer_store_dword v13, off, s[0:3], 0 offset:252
	buffer_store_dword v12, off, s[0:3], 0 offset:248
	;; [unrolled: 1-line block ×8, first 2 shown]
	s_waitcnt vmcnt(32)
	buffer_store_dword v21, off, s[0:3], 0 offset:284
	buffer_store_dword v20, off, s[0:3], 0 offset:280
	buffer_store_dword v19, off, s[0:3], 0 offset:276
	buffer_store_dword v18, off, s[0:3], 0 offset:272
	s_waitcnt vmcnt(34)
	buffer_store_dword v25, off, s[0:3], 0 offset:300
	buffer_store_dword v24, off, s[0:3], 0 offset:296
	buffer_store_dword v23, off, s[0:3], 0 offset:292
	buffer_store_dword v22, off, s[0:3], 0 offset:288
	;; [unrolled: 5-line block ×12, first 2 shown]
	buffer_store_dword v69, off, s[0:3], 0 offset:476
	buffer_store_dword v68, off, s[0:3], 0 offset:472
	;; [unrolled: 1-line block ×8, first 2 shown]
	s_waitcnt vmcnt(62)
	buffer_store_dword v77, off, s[0:3], 0 offset:508
	buffer_store_dword v76, off, s[0:3], 0 offset:504
	;; [unrolled: 1-line block ×12, first 2 shown]
	v_mov_b32_e32 v2, 16
	v_add_u32_e32 v3, 16, v2
	v_accvgpr_write_b32 a89, v3
	v_add_u32_e32 v3, 32, v2
	v_accvgpr_write_b32 a91, v3
	;; [unrolled: 2-line block ×30, first 2 shown]
	v_add_u32_e32 v3, 0x1f0, v2
	v_add_u32_e32 v2, 0x200, v2
	v_accvgpr_write_b32 a61, v3
	v_accvgpr_write_b32 a60, v2
	s_bitcmp0_b32 s18, 0
	s_mov_b64 s[6:7], -1
	s_cbranch_scc1 .LBB96_144
; %bb.4:
	v_cmp_eq_u32_e64 s[4:5], 0, v0
	s_and_saveexec_b64 s[6:7], s[4:5]
	s_cbranch_execz .LBB96_6
; %bb.5:
	v_mov_b32_e32 v2, 0
	ds_write_b32 v2, v2 offset:1056
.LBB96_6:
	s_or_b64 exec, exec, s[6:7]
	v_mov_b32_e32 v2, 16
	v_lshl_add_u32 v12, v0, 4, v2
	s_waitcnt lgkmcnt(0)
	; wave barrier
	s_waitcnt lgkmcnt(0)
	buffer_load_dword v2, v12, s[0:3], 0 offen
	buffer_load_dword v3, v12, s[0:3], 0 offen offset:4
	buffer_load_dword v4, v12, s[0:3], 0 offen offset:8
	;; [unrolled: 1-line block ×3, first 2 shown]
	s_waitcnt vmcnt(2)
	v_cmp_eq_f64_e32 vcc, 0, v[2:3]
	s_waitcnt vmcnt(0)
	v_cmp_eq_f64_e64 s[6:7], 0, v[4:5]
	s_and_b64 s[6:7], vcc, s[6:7]
	s_and_saveexec_b64 s[12:13], s[6:7]
	s_cbranch_execz .LBB96_10
; %bb.7:
	v_mov_b32_e32 v2, 0
	ds_read_b32 v4, v2 offset:1056
	v_add_u32_e32 v3, 1, v0
	s_waitcnt lgkmcnt(0)
	v_readfirstlane_b32 s6, v4
	s_cmp_eq_u32 s6, 0
	s_cselect_b64 s[18:19], -1, 0
	v_cmp_gt_i32_e32 vcc, s6, v3
	s_or_b64 s[18:19], s[18:19], vcc
	s_and_b64 exec, exec, s[18:19]
	s_cbranch_execz .LBB96_10
; %bb.8:
	s_mov_b64 s[18:19], 0
	v_mov_b32_e32 v4, s6
.LBB96_9:                               ; =>This Inner Loop Header: Depth=1
	ds_cmpst_rtn_b32 v4, v2, v4, v3 offset:1056
	s_waitcnt lgkmcnt(0)
	v_cmp_ne_u32_e32 vcc, 0, v4
	v_cmp_le_i32_e64 s[6:7], v4, v3
	s_and_b64 s[6:7], vcc, s[6:7]
	s_and_b64 s[6:7], exec, s[6:7]
	s_or_b64 s[18:19], s[6:7], s[18:19]
	s_andn2_b64 exec, exec, s[18:19]
	s_cbranch_execnz .LBB96_9
.LBB96_10:
	s_or_b64 exec, exec, s[12:13]
	v_mov_b32_e32 v3, 0
	s_waitcnt lgkmcnt(0)
	; wave barrier
	ds_read_b32 v2, v3 offset:1056
	s_and_saveexec_b64 s[6:7], s[4:5]
	s_cbranch_execz .LBB96_12
; %bb.11:
	s_lshl_b64 s[12:13], s[8:9], 2
	s_add_u32 s12, s14, s12
	s_addc_u32 s13, s15, s13
	s_waitcnt lgkmcnt(0)
	global_store_dword v3, v2, s[12:13]
.LBB96_12:
	s_or_b64 exec, exec, s[6:7]
	s_waitcnt lgkmcnt(0)
	v_cmp_ne_u32_e32 vcc, 0, v2
	s_mov_b64 s[6:7], 0
	s_cbranch_vccnz .LBB96_144
; %bb.13:
	buffer_load_dword v7, v12, s[0:3], 0 offen offset:4
	buffer_load_dword v6, v12, s[0:3], 0 offen
	buffer_load_dword v9, v12, s[0:3], 0 offen offset:12
	buffer_load_dword v8, v12, s[0:3], 0 offen offset:8
                                        ; implicit-def: $vgpr10_vgpr11
	s_waitcnt vmcnt(3)
	v_xor_b32_e32 v3, 0x80000000, v7
	s_waitcnt vmcnt(2)
	v_cmp_gt_f64_e32 vcc, 0, v[6:7]
	s_waitcnt vmcnt(1)
	v_xor_b32_e32 v4, 0x80000000, v9
	v_cndmask_b32_e32 v3, v7, v3, vcc
	s_waitcnt vmcnt(0)
	v_cmp_gt_f64_e32 vcc, 0, v[8:9]
	v_mov_b32_e32 v2, v6
	v_cndmask_b32_e32 v5, v9, v4, vcc
	v_mov_b32_e32 v4, v8
	v_cmp_ngt_f64_e32 vcc, v[2:3], v[4:5]
                                        ; implicit-def: $vgpr4_vgpr5
	s_and_saveexec_b64 s[6:7], vcc
	s_xor_b64 s[6:7], exec, s[6:7]
	s_cbranch_execz .LBB96_15
; %bb.14:
	v_div_scale_f64 v[2:3], s[12:13], v[8:9], v[8:9], v[6:7]
	v_rcp_f64_e32 v[4:5], v[2:3]
	v_div_scale_f64 v[10:11], vcc, v[6:7], v[8:9], v[6:7]
	v_fma_f64 v[14:15], -v[2:3], v[4:5], 1.0
	v_fmac_f64_e32 v[4:5], v[4:5], v[14:15]
	v_fma_f64 v[14:15], -v[2:3], v[4:5], 1.0
	v_fmac_f64_e32 v[4:5], v[4:5], v[14:15]
	v_mul_f64 v[14:15], v[10:11], v[4:5]
	v_fma_f64 v[2:3], -v[2:3], v[14:15], v[10:11]
	v_div_fmas_f64 v[2:3], v[2:3], v[4:5], v[14:15]
	v_div_fixup_f64 v[2:3], v[2:3], v[8:9], v[6:7]
	v_fmac_f64_e32 v[8:9], v[6:7], v[2:3]
	v_div_scale_f64 v[4:5], s[12:13], v[8:9], v[8:9], 1.0
	v_rcp_f64_e32 v[6:7], v[4:5]
	v_fma_f64 v[10:11], -v[4:5], v[6:7], 1.0
	v_fmac_f64_e32 v[6:7], v[6:7], v[10:11]
	v_fma_f64 v[10:11], -v[4:5], v[6:7], 1.0
	v_fmac_f64_e32 v[6:7], v[6:7], v[10:11]
	v_div_scale_f64 v[10:11], vcc, 1.0, v[8:9], 1.0
	v_mul_f64 v[14:15], v[10:11], v[6:7]
	v_fma_f64 v[4:5], -v[4:5], v[14:15], v[10:11]
	s_nop 1
	v_div_fmas_f64 v[4:5], v[4:5], v[6:7], v[14:15]
	v_div_fixup_f64 v[4:5], v[4:5], v[8:9], 1.0
	v_mul_f64 v[10:11], v[2:3], v[4:5]
	v_xor_b32_e32 v5, 0x80000000, v5
	v_xor_b32_e32 v3, 0x80000000, v11
	v_mov_b32_e32 v2, v10
                                        ; implicit-def: $vgpr6_vgpr7
                                        ; implicit-def: $vgpr8_vgpr9
.LBB96_15:
	s_andn2_saveexec_b64 s[6:7], s[6:7]
	s_cbranch_execz .LBB96_17
; %bb.16:
	v_div_scale_f64 v[2:3], s[12:13], v[6:7], v[6:7], v[8:9]
	v_rcp_f64_e32 v[4:5], v[2:3]
	v_div_scale_f64 v[10:11], vcc, v[8:9], v[6:7], v[8:9]
	v_fma_f64 v[14:15], -v[2:3], v[4:5], 1.0
	v_fmac_f64_e32 v[4:5], v[4:5], v[14:15]
	v_fma_f64 v[14:15], -v[2:3], v[4:5], 1.0
	v_fmac_f64_e32 v[4:5], v[4:5], v[14:15]
	v_mul_f64 v[14:15], v[10:11], v[4:5]
	v_fma_f64 v[2:3], -v[2:3], v[14:15], v[10:11]
	v_div_fmas_f64 v[2:3], v[2:3], v[4:5], v[14:15]
	v_div_fixup_f64 v[4:5], v[2:3], v[6:7], v[8:9]
	v_fmac_f64_e32 v[6:7], v[8:9], v[4:5]
	v_div_scale_f64 v[2:3], s[12:13], v[6:7], v[6:7], 1.0
	v_rcp_f64_e32 v[8:9], v[2:3]
	v_fma_f64 v[10:11], -v[2:3], v[8:9], 1.0
	v_fmac_f64_e32 v[8:9], v[8:9], v[10:11]
	v_fma_f64 v[10:11], -v[2:3], v[8:9], 1.0
	v_fmac_f64_e32 v[8:9], v[8:9], v[10:11]
	v_div_scale_f64 v[10:11], vcc, 1.0, v[6:7], 1.0
	v_mul_f64 v[14:15], v[10:11], v[8:9]
	v_fma_f64 v[2:3], -v[2:3], v[14:15], v[10:11]
	s_nop 1
	v_div_fmas_f64 v[2:3], v[2:3], v[8:9], v[14:15]
	v_div_fixup_f64 v[10:11], v[2:3], v[6:7], 1.0
	v_xor_b32_e32 v3, 0x80000000, v11
	v_mov_b32_e32 v2, v10
	v_mul_f64 v[4:5], v[4:5], -v[10:11]
.LBB96_17:
	s_or_b64 exec, exec, s[6:7]
	buffer_store_dword v11, v12, s[0:3], 0 offen offset:4
	buffer_store_dword v10, v12, s[0:3], 0 offen
	buffer_store_dword v5, v12, s[0:3], 0 offen offset:12
	buffer_store_dword v4, v12, s[0:3], 0 offen offset:8
	v_accvgpr_read_b32 v6, a89
	buffer_load_dword v11, v6, s[0:3], 0 offen offset:12
	buffer_load_dword v10, v6, s[0:3], 0 offen offset:8
	;; [unrolled: 1-line block ×3, first 2 shown]
	buffer_load_dword v8, v6, s[0:3], 0 offen
	v_xor_b32_e32 v5, 0x80000000, v5
	v_add_u32_e32 v6, 0x210, v1
	ds_write_b128 v1, v[2:5]
	s_waitcnt vmcnt(0)
	ds_write_b128 v1, v[8:11] offset:528
	s_waitcnt lgkmcnt(0)
	; wave barrier
	s_waitcnt lgkmcnt(0)
	s_and_saveexec_b64 s[6:7], s[4:5]
	s_cbranch_execz .LBB96_19
; %bb.18:
	buffer_load_dword v14, v12, s[0:3], 0 offen offset:8
	buffer_load_dword v15, v12, s[0:3], 0 offen offset:12
	buffer_load_dword v16, v12, s[0:3], 0 offen
	buffer_load_dword v17, v12, s[0:3], 0 offen offset:4
	ds_read_b128 v[2:5], v6
	v_mov_b32_e32 v7, 0
	ds_read_b128 v[8:11], v7 offset:16
	s_waitcnt vmcnt(2) lgkmcnt(1)
	v_mul_f64 v[18:19], v[4:5], v[14:15]
	v_mul_f64 v[14:15], v[2:3], v[14:15]
	s_waitcnt vmcnt(0)
	v_fmac_f64_e32 v[14:15], v[4:5], v[16:17]
	v_fma_f64 v[2:3], v[2:3], v[16:17], -v[18:19]
	v_add_f64 v[4:5], v[14:15], 0
	v_add_f64 v[2:3], v[2:3], 0
	s_waitcnt lgkmcnt(0)
	v_mul_f64 v[14:15], v[4:5], v[10:11]
	v_mul_f64 v[10:11], v[2:3], v[10:11]
	v_fma_f64 v[2:3], v[2:3], v[8:9], -v[14:15]
	v_fmac_f64_e32 v[10:11], v[4:5], v[8:9]
	buffer_store_dword v2, off, s[0:3], 0 offset:32
	buffer_store_dword v3, off, s[0:3], 0 offset:36
	;; [unrolled: 1-line block ×4, first 2 shown]
.LBB96_19:
	s_or_b64 exec, exec, s[6:7]
	v_accvgpr_read_b32 v5, a91
	s_waitcnt lgkmcnt(0)
	; wave barrier
	buffer_load_dword v2, v5, s[0:3], 0 offen
	buffer_load_dword v3, v5, s[0:3], 0 offen offset:4
	buffer_load_dword v4, v5, s[0:3], 0 offen offset:8
	s_nop 0
	buffer_load_dword v5, v5, s[0:3], 0 offen offset:12
	v_cmp_gt_u32_e32 vcc, 2, v0
	s_waitcnt vmcnt(0)
	ds_write_b128 v6, v[2:5]
	s_waitcnt lgkmcnt(0)
	; wave barrier
	s_waitcnt lgkmcnt(0)
	s_and_saveexec_b64 s[6:7], vcc
	s_cbranch_execz .LBB96_23
; %bb.20:
	buffer_load_dword v8, v12, s[0:3], 0 offen offset:8
	buffer_load_dword v9, v12, s[0:3], 0 offen offset:12
	buffer_load_dword v10, v12, s[0:3], 0 offen
	buffer_load_dword v11, v12, s[0:3], 0 offen offset:4
	ds_read_b128 v[2:5], v6
	s_waitcnt vmcnt(2) lgkmcnt(0)
	v_mul_f64 v[12:13], v[4:5], v[8:9]
	v_mul_f64 v[8:9], v[2:3], v[8:9]
	s_waitcnt vmcnt(0)
	v_fma_f64 v[2:3], v[2:3], v[10:11], -v[12:13]
	v_fmac_f64_e32 v[8:9], v[4:5], v[10:11]
	v_add_f64 v[4:5], v[2:3], 0
	v_add_f64 v[2:3], v[8:9], 0
	s_and_saveexec_b64 s[12:13], s[4:5]
	s_cbranch_execz .LBB96_22
; %bb.21:
	buffer_load_dword v12, off, s[0:3], 0 offset:40
	buffer_load_dword v13, off, s[0:3], 0 offset:44
	;; [unrolled: 1-line block ×4, first 2 shown]
	v_mov_b32_e32 v7, 0
	ds_read_b128 v[8:11], v7 offset:544
	s_waitcnt vmcnt(2) lgkmcnt(0)
	v_mul_f64 v[16:17], v[8:9], v[12:13]
	v_mul_f64 v[12:13], v[10:11], v[12:13]
	s_waitcnt vmcnt(0)
	v_fmac_f64_e32 v[16:17], v[10:11], v[14:15]
	v_fma_f64 v[8:9], v[8:9], v[14:15], -v[12:13]
	v_add_f64 v[2:3], v[2:3], v[16:17]
	v_add_f64 v[4:5], v[4:5], v[8:9]
.LBB96_22:
	s_or_b64 exec, exec, s[12:13]
	v_mov_b32_e32 v7, 0
	ds_read_b128 v[8:11], v7 offset:32
	s_waitcnt lgkmcnt(0)
	v_mul_f64 v[12:13], v[2:3], v[10:11]
	v_mul_f64 v[10:11], v[4:5], v[10:11]
	v_fma_f64 v[4:5], v[4:5], v[8:9], -v[12:13]
	v_fmac_f64_e32 v[10:11], v[2:3], v[8:9]
	buffer_store_dword v5, off, s[0:3], 0 offset:52
	buffer_store_dword v4, off, s[0:3], 0 offset:48
	;; [unrolled: 1-line block ×4, first 2 shown]
.LBB96_23:
	s_or_b64 exec, exec, s[6:7]
	v_accvgpr_read_b32 v5, a90
	s_waitcnt lgkmcnt(0)
	; wave barrier
	buffer_load_dword v2, v5, s[0:3], 0 offen
	buffer_load_dword v3, v5, s[0:3], 0 offen offset:4
	buffer_load_dword v4, v5, s[0:3], 0 offen offset:8
	s_nop 0
	buffer_load_dword v5, v5, s[0:3], 0 offen offset:12
	v_cmp_gt_u32_e32 vcc, 3, v0
	v_add_u32_e32 v7, -1, v0
	s_waitcnt vmcnt(0)
	ds_write_b128 v6, v[2:5]
	s_waitcnt lgkmcnt(0)
	; wave barrier
	s_waitcnt lgkmcnt(0)
	s_and_saveexec_b64 s[4:5], vcc
	s_cbranch_execz .LBB96_27
; %bb.24:
	v_pk_mov_b32 v[2:3], 0, 0
	v_add_u32_e32 v8, -1, v0
	v_add_u32_e32 v9, 0x210, v1
	v_add_u32_e32 v10, 16, v1
	s_mov_b64 s[6:7], 0
	v_pk_mov_b32 v[4:5], v[2:3], v[2:3] op_sel:[0,1]
.LBB96_25:                              ; =>This Inner Loop Header: Depth=1
	buffer_load_dword v16, v10, s[0:3], 0 offen offset:8
	buffer_load_dword v17, v10, s[0:3], 0 offen offset:12
	buffer_load_dword v18, v10, s[0:3], 0 offen
	buffer_load_dword v19, v10, s[0:3], 0 offen offset:4
	ds_read_b128 v[12:15], v9
	v_add_u32_e32 v8, 1, v8
	v_cmp_lt_u32_e32 vcc, 1, v8
	v_add_u32_e32 v9, 16, v9
	v_add_u32_e32 v10, 16, v10
	s_or_b64 s[6:7], vcc, s[6:7]
	s_waitcnt vmcnt(2) lgkmcnt(0)
	v_mul_f64 v[20:21], v[14:15], v[16:17]
	v_mul_f64 v[16:17], v[12:13], v[16:17]
	s_waitcnt vmcnt(0)
	v_fma_f64 v[12:13], v[12:13], v[18:19], -v[20:21]
	v_fmac_f64_e32 v[16:17], v[14:15], v[18:19]
	v_add_f64 v[4:5], v[4:5], v[12:13]
	v_add_f64 v[2:3], v[2:3], v[16:17]
	s_andn2_b64 exec, exec, s[6:7]
	s_cbranch_execnz .LBB96_25
; %bb.26:
	s_or_b64 exec, exec, s[6:7]
	v_mov_b32_e32 v8, 0
	ds_read_b128 v[8:11], v8 offset:48
	s_waitcnt lgkmcnt(0)
	v_mul_f64 v[12:13], v[2:3], v[10:11]
	v_mul_f64 v[10:11], v[4:5], v[10:11]
	v_fma_f64 v[4:5], v[4:5], v[8:9], -v[12:13]
	v_fmac_f64_e32 v[10:11], v[2:3], v[8:9]
	buffer_store_dword v5, off, s[0:3], 0 offset:68
	buffer_store_dword v4, off, s[0:3], 0 offset:64
	buffer_store_dword v11, off, s[0:3], 0 offset:76
	buffer_store_dword v10, off, s[0:3], 0 offset:72
.LBB96_27:
	s_or_b64 exec, exec, s[4:5]
	v_accvgpr_read_b32 v5, a85
	s_waitcnt lgkmcnt(0)
	; wave barrier
	buffer_load_dword v2, v5, s[0:3], 0 offen
	buffer_load_dword v3, v5, s[0:3], 0 offen offset:4
	buffer_load_dword v4, v5, s[0:3], 0 offen offset:8
	s_nop 0
	buffer_load_dword v5, v5, s[0:3], 0 offen offset:12
	v_cmp_gt_u32_e32 vcc, 4, v0
	s_waitcnt vmcnt(0)
	ds_write_b128 v6, v[2:5]
	s_waitcnt lgkmcnt(0)
	; wave barrier
	s_waitcnt lgkmcnt(0)
	s_and_saveexec_b64 s[4:5], vcc
	s_cbranch_execz .LBB96_31
; %bb.28:
	v_pk_mov_b32 v[2:3], 0, 0
	v_add_u32_e32 v8, -1, v0
	v_add_u32_e32 v9, 0x210, v1
	v_add_u32_e32 v10, 16, v1
	s_mov_b64 s[6:7], 0
	v_pk_mov_b32 v[4:5], v[2:3], v[2:3] op_sel:[0,1]
.LBB96_29:                              ; =>This Inner Loop Header: Depth=1
	buffer_load_dword v16, v10, s[0:3], 0 offen offset:8
	buffer_load_dword v17, v10, s[0:3], 0 offen offset:12
	buffer_load_dword v18, v10, s[0:3], 0 offen
	buffer_load_dword v19, v10, s[0:3], 0 offen offset:4
	ds_read_b128 v[12:15], v9
	v_add_u32_e32 v8, 1, v8
	v_cmp_lt_u32_e32 vcc, 2, v8
	v_add_u32_e32 v9, 16, v9
	v_add_u32_e32 v10, 16, v10
	s_or_b64 s[6:7], vcc, s[6:7]
	s_waitcnt vmcnt(2) lgkmcnt(0)
	v_mul_f64 v[20:21], v[14:15], v[16:17]
	v_mul_f64 v[16:17], v[12:13], v[16:17]
	s_waitcnt vmcnt(0)
	v_fma_f64 v[12:13], v[12:13], v[18:19], -v[20:21]
	v_fmac_f64_e32 v[16:17], v[14:15], v[18:19]
	v_add_f64 v[4:5], v[4:5], v[12:13]
	v_add_f64 v[2:3], v[2:3], v[16:17]
	s_andn2_b64 exec, exec, s[6:7]
	s_cbranch_execnz .LBB96_29
; %bb.30:
	s_or_b64 exec, exec, s[6:7]
	v_mov_b32_e32 v8, 0
	ds_read_b128 v[8:11], v8 offset:64
	s_waitcnt lgkmcnt(0)
	v_mul_f64 v[12:13], v[2:3], v[10:11]
	v_mul_f64 v[10:11], v[4:5], v[10:11]
	v_fma_f64 v[4:5], v[4:5], v[8:9], -v[12:13]
	v_fmac_f64_e32 v[10:11], v[2:3], v[8:9]
	buffer_store_dword v5, off, s[0:3], 0 offset:84
	buffer_store_dword v4, off, s[0:3], 0 offset:80
	buffer_store_dword v11, off, s[0:3], 0 offset:92
	buffer_store_dword v10, off, s[0:3], 0 offset:88
.LBB96_31:
	s_or_b64 exec, exec, s[4:5]
	v_accvgpr_read_b32 v5, a87
	s_waitcnt lgkmcnt(0)
	; wave barrier
	buffer_load_dword v2, v5, s[0:3], 0 offen
	buffer_load_dword v3, v5, s[0:3], 0 offen offset:4
	buffer_load_dword v4, v5, s[0:3], 0 offen offset:8
	s_nop 0
	buffer_load_dword v5, v5, s[0:3], 0 offen offset:12
	v_cmp_gt_u32_e32 vcc, 5, v0
	;; [unrolled: 59-line block ×19, first 2 shown]
	s_waitcnt vmcnt(0)
	ds_write_b128 v6, v[2:5]
	s_waitcnt lgkmcnt(0)
	; wave barrier
	s_waitcnt lgkmcnt(0)
	s_and_saveexec_b64 s[4:5], vcc
	s_cbranch_execz .LBB96_103
; %bb.100:
	v_pk_mov_b32 v[2:3], 0, 0
	v_add_u32_e32 v8, -1, v0
	v_add_u32_e32 v9, 0x210, v1
	v_add_u32_e32 v10, 16, v1
	s_mov_b64 s[6:7], 0
	v_pk_mov_b32 v[4:5], v[2:3], v[2:3] op_sel:[0,1]
.LBB96_101:                             ; =>This Inner Loop Header: Depth=1
	buffer_load_dword v16, v10, s[0:3], 0 offen offset:8
	buffer_load_dword v17, v10, s[0:3], 0 offen offset:12
	buffer_load_dword v18, v10, s[0:3], 0 offen
	buffer_load_dword v19, v10, s[0:3], 0 offen offset:4
	ds_read_b128 v[12:15], v9
	v_add_u32_e32 v8, 1, v8
	v_cmp_lt_u32_e32 vcc, 20, v8
	v_add_u32_e32 v9, 16, v9
	v_add_u32_e32 v10, 16, v10
	s_or_b64 s[6:7], vcc, s[6:7]
	s_waitcnt vmcnt(2) lgkmcnt(0)
	v_mul_f64 v[20:21], v[14:15], v[16:17]
	v_mul_f64 v[16:17], v[12:13], v[16:17]
	s_waitcnt vmcnt(0)
	v_fma_f64 v[12:13], v[12:13], v[18:19], -v[20:21]
	v_fmac_f64_e32 v[16:17], v[14:15], v[18:19]
	v_add_f64 v[4:5], v[4:5], v[12:13]
	v_add_f64 v[2:3], v[2:3], v[16:17]
	s_andn2_b64 exec, exec, s[6:7]
	s_cbranch_execnz .LBB96_101
; %bb.102:
	s_or_b64 exec, exec, s[6:7]
	v_mov_b32_e32 v8, 0
	ds_read_b128 v[8:11], v8 offset:352
	s_waitcnt lgkmcnt(0)
	v_mul_f64 v[12:13], v[2:3], v[10:11]
	v_mul_f64 v[10:11], v[4:5], v[10:11]
	v_fma_f64 v[4:5], v[4:5], v[8:9], -v[12:13]
	v_fmac_f64_e32 v[10:11], v[2:3], v[8:9]
	buffer_store_dword v5, off, s[0:3], 0 offset:372
	buffer_store_dword v4, off, s[0:3], 0 offset:368
	buffer_store_dword v11, off, s[0:3], 0 offset:380
	buffer_store_dword v10, off, s[0:3], 0 offset:376
.LBB96_103:
	s_or_b64 exec, exec, s[4:5]
	v_accvgpr_read_b32 v5, a69
	s_waitcnt lgkmcnt(0)
	; wave barrier
	buffer_load_dword v2, v5, s[0:3], 0 offen
	buffer_load_dword v3, v5, s[0:3], 0 offen offset:4
	buffer_load_dword v4, v5, s[0:3], 0 offen offset:8
	s_nop 0
	buffer_load_dword v5, v5, s[0:3], 0 offen offset:12
	v_cmp_gt_u32_e32 vcc, 23, v0
	s_waitcnt vmcnt(0)
	ds_write_b128 v6, v[2:5]
	s_waitcnt lgkmcnt(0)
	; wave barrier
	s_waitcnt lgkmcnt(0)
	s_and_saveexec_b64 s[4:5], vcc
	s_cbranch_execz .LBB96_107
; %bb.104:
	v_pk_mov_b32 v[2:3], 0, 0
	v_add_u32_e32 v8, -1, v0
	v_add_u32_e32 v9, 0x210, v1
	v_add_u32_e32 v10, 16, v1
	s_mov_b64 s[6:7], 0
	v_pk_mov_b32 v[4:5], v[2:3], v[2:3] op_sel:[0,1]
.LBB96_105:                             ; =>This Inner Loop Header: Depth=1
	buffer_load_dword v16, v10, s[0:3], 0 offen offset:8
	buffer_load_dword v17, v10, s[0:3], 0 offen offset:12
	buffer_load_dword v18, v10, s[0:3], 0 offen
	buffer_load_dword v19, v10, s[0:3], 0 offen offset:4
	ds_read_b128 v[12:15], v9
	v_add_u32_e32 v8, 1, v8
	v_cmp_lt_u32_e32 vcc, 21, v8
	v_add_u32_e32 v9, 16, v9
	v_add_u32_e32 v10, 16, v10
	s_or_b64 s[6:7], vcc, s[6:7]
	s_waitcnt vmcnt(2) lgkmcnt(0)
	v_mul_f64 v[20:21], v[14:15], v[16:17]
	v_mul_f64 v[16:17], v[12:13], v[16:17]
	s_waitcnt vmcnt(0)
	v_fma_f64 v[12:13], v[12:13], v[18:19], -v[20:21]
	v_fmac_f64_e32 v[16:17], v[14:15], v[18:19]
	v_add_f64 v[4:5], v[4:5], v[12:13]
	v_add_f64 v[2:3], v[2:3], v[16:17]
	s_andn2_b64 exec, exec, s[6:7]
	s_cbranch_execnz .LBB96_105
; %bb.106:
	s_or_b64 exec, exec, s[6:7]
	v_mov_b32_e32 v8, 0
	ds_read_b128 v[8:11], v8 offset:368
	s_waitcnt lgkmcnt(0)
	v_mul_f64 v[12:13], v[2:3], v[10:11]
	v_mul_f64 v[10:11], v[4:5], v[10:11]
	v_fma_f64 v[4:5], v[4:5], v[8:9], -v[12:13]
	v_fmac_f64_e32 v[10:11], v[2:3], v[8:9]
	buffer_store_dword v5, off, s[0:3], 0 offset:388
	buffer_store_dword v4, off, s[0:3], 0 offset:384
	buffer_store_dword v11, off, s[0:3], 0 offset:396
	buffer_store_dword v10, off, s[0:3], 0 offset:392
.LBB96_107:
	s_or_b64 exec, exec, s[4:5]
	v_accvgpr_read_b32 v5, a68
	s_waitcnt lgkmcnt(0)
	; wave barrier
	buffer_load_dword v2, v5, s[0:3], 0 offen
	buffer_load_dword v3, v5, s[0:3], 0 offen offset:4
	buffer_load_dword v4, v5, s[0:3], 0 offen offset:8
	s_nop 0
	buffer_load_dword v5, v5, s[0:3], 0 offen offset:12
	v_cmp_gt_u32_e32 vcc, 24, v0
	;; [unrolled: 59-line block ×9, first 2 shown]
	s_waitcnt vmcnt(0)
	ds_write_b128 v6, v[2:5]
	s_waitcnt lgkmcnt(0)
	; wave barrier
	s_waitcnt lgkmcnt(0)
	s_and_saveexec_b64 s[4:5], vcc
	s_cbranch_execz .LBB96_139
; %bb.136:
	v_pk_mov_b32 v[2:3], 0, 0
	v_add_u32_e32 v8, -1, v0
	v_add_u32_e32 v9, 0x210, v1
	v_add_u32_e32 v10, 16, v1
	s_mov_b64 s[6:7], 0
	v_pk_mov_b32 v[4:5], v[2:3], v[2:3] op_sel:[0,1]
.LBB96_137:                             ; =>This Inner Loop Header: Depth=1
	buffer_load_dword v16, v10, s[0:3], 0 offen offset:8
	buffer_load_dword v17, v10, s[0:3], 0 offen offset:12
	buffer_load_dword v18, v10, s[0:3], 0 offen
	buffer_load_dword v19, v10, s[0:3], 0 offen offset:4
	ds_read_b128 v[12:15], v9
	v_add_u32_e32 v8, 1, v8
	v_cmp_lt_u32_e32 vcc, 29, v8
	v_add_u32_e32 v9, 16, v9
	v_add_u32_e32 v10, 16, v10
	s_or_b64 s[6:7], vcc, s[6:7]
	s_waitcnt vmcnt(2) lgkmcnt(0)
	v_mul_f64 v[20:21], v[14:15], v[16:17]
	v_mul_f64 v[16:17], v[12:13], v[16:17]
	s_waitcnt vmcnt(0)
	v_fma_f64 v[12:13], v[12:13], v[18:19], -v[20:21]
	v_fmac_f64_e32 v[16:17], v[14:15], v[18:19]
	v_add_f64 v[4:5], v[4:5], v[12:13]
	v_add_f64 v[2:3], v[2:3], v[16:17]
	s_andn2_b64 exec, exec, s[6:7]
	s_cbranch_execnz .LBB96_137
; %bb.138:
	s_or_b64 exec, exec, s[6:7]
	v_mov_b32_e32 v8, 0
	ds_read_b128 v[8:11], v8 offset:496
	s_waitcnt lgkmcnt(0)
	v_mul_f64 v[12:13], v[2:3], v[10:11]
	v_mul_f64 v[10:11], v[4:5], v[10:11]
	v_fma_f64 v[4:5], v[4:5], v[8:9], -v[12:13]
	v_fmac_f64_e32 v[10:11], v[2:3], v[8:9]
	buffer_store_dword v5, off, s[0:3], 0 offset:516
	buffer_store_dword v4, off, s[0:3], 0 offset:512
	;; [unrolled: 1-line block ×4, first 2 shown]
.LBB96_139:
	s_or_b64 exec, exec, s[4:5]
	v_accvgpr_read_b32 v5, a60
	s_waitcnt lgkmcnt(0)
	; wave barrier
	buffer_load_dword v2, v5, s[0:3], 0 offen
	buffer_load_dword v3, v5, s[0:3], 0 offen offset:4
	buffer_load_dword v4, v5, s[0:3], 0 offen offset:8
	s_nop 0
	buffer_load_dword v5, v5, s[0:3], 0 offen offset:12
	v_cmp_ne_u32_e32 vcc, 32, v0
	s_waitcnt vmcnt(0)
	ds_write_b128 v6, v[2:5]
	s_waitcnt lgkmcnt(0)
	; wave barrier
	s_waitcnt lgkmcnt(0)
	s_and_saveexec_b64 s[4:5], vcc
	s_cbranch_execz .LBB96_143
; %bb.140:
	v_pk_mov_b32 v[2:3], 0, 0
	v_add_u32_e32 v6, 0x210, v1
	v_add_u32_e32 v1, 16, v1
	s_mov_b64 s[6:7], 0
	v_pk_mov_b32 v[4:5], v[2:3], v[2:3] op_sel:[0,1]
.LBB96_141:                             ; =>This Inner Loop Header: Depth=1
	buffer_load_dword v12, v1, s[0:3], 0 offen offset:8
	buffer_load_dword v13, v1, s[0:3], 0 offen offset:12
	buffer_load_dword v14, v1, s[0:3], 0 offen
	buffer_load_dword v15, v1, s[0:3], 0 offen offset:4
	ds_read_b128 v[8:11], v6
	v_add_u32_e32 v7, 1, v7
	v_cmp_lt_u32_e32 vcc, 30, v7
	v_add_u32_e32 v6, 16, v6
	v_add_u32_e32 v1, 16, v1
	s_or_b64 s[6:7], vcc, s[6:7]
	s_waitcnt vmcnt(2) lgkmcnt(0)
	v_mul_f64 v[16:17], v[10:11], v[12:13]
	v_mul_f64 v[12:13], v[8:9], v[12:13]
	s_waitcnt vmcnt(0)
	v_fma_f64 v[8:9], v[8:9], v[14:15], -v[16:17]
	v_fmac_f64_e32 v[12:13], v[10:11], v[14:15]
	v_add_f64 v[4:5], v[4:5], v[8:9]
	v_add_f64 v[2:3], v[2:3], v[12:13]
	s_andn2_b64 exec, exec, s[6:7]
	s_cbranch_execnz .LBB96_141
; %bb.142:
	s_or_b64 exec, exec, s[6:7]
	v_mov_b32_e32 v1, 0
	ds_read_b128 v[6:9], v1 offset:512
	s_waitcnt lgkmcnt(0)
	v_mul_f64 v[10:11], v[2:3], v[8:9]
	v_mul_f64 v[8:9], v[4:5], v[8:9]
	v_fma_f64 v[4:5], v[4:5], v[6:7], -v[10:11]
	v_fmac_f64_e32 v[8:9], v[2:3], v[6:7]
	buffer_store_dword v5, off, s[0:3], 0 offset:532
	buffer_store_dword v4, off, s[0:3], 0 offset:528
	;; [unrolled: 1-line block ×4, first 2 shown]
.LBB96_143:
	s_or_b64 exec, exec, s[4:5]
	s_mov_b64 s[6:7], -1
	s_waitcnt lgkmcnt(0)
	; wave barrier
.LBB96_144:
	s_and_b64 vcc, exec, s[6:7]
	s_cbranch_vccz .LBB96_146
; %bb.145:
	s_lshl_b64 s[4:5], s[8:9], 2
	s_add_u32 s4, s14, s4
	s_addc_u32 s5, s15, s5
	v_mov_b32_e32 v1, 0
	global_load_dword v1, v1, s[4:5]
	s_waitcnt vmcnt(0)
	v_cmp_ne_u32_e32 vcc, 0, v1
	s_cbranch_vccz .LBB96_147
.LBB96_146:
	s_endpgm
.LBB96_147:
	v_mov_b32_e32 v1, 0x210
	v_lshl_add_u32 v1, v0, 4, v1
	v_cmp_eq_u32_e32 vcc, 32, v0
	s_and_saveexec_b64 s[4:5], vcc
	s_cbranch_execz .LBB96_149
; %bb.148:
	v_accvgpr_read_b32 v5, a61
	buffer_load_dword v2, v5, s[0:3], 0 offen
	buffer_load_dword v3, v5, s[0:3], 0 offen offset:4
	buffer_load_dword v4, v5, s[0:3], 0 offen offset:8
	s_nop 0
	buffer_load_dword v5, v5, s[0:3], 0 offen offset:12
	v_mov_b32_e32 v6, 0
	buffer_store_dword v6, off, s[0:3], 0 offset:512
	buffer_store_dword v6, off, s[0:3], 0 offset:516
	;; [unrolled: 1-line block ×4, first 2 shown]
	s_waitcnt vmcnt(4)
	ds_write_b128 v1, v[2:5]
.LBB96_149:
	s_or_b64 exec, exec, s[4:5]
	s_waitcnt lgkmcnt(0)
	; wave barrier
	s_waitcnt lgkmcnt(0)
	buffer_load_dword v8, off, s[0:3], 0 offset:536
	buffer_load_dword v9, off, s[0:3], 0 offset:540
	;; [unrolled: 1-line block ×8, first 2 shown]
	v_mov_b32_e32 v2, 0
	ds_read_b128 v[4:7], v2 offset:1040
	v_cmp_lt_u32_e32 vcc, 30, v0
	s_waitcnt vmcnt(6) lgkmcnt(0)
	v_mul_f64 v[16:17], v[4:5], v[8:9]
	v_mul_f64 v[8:9], v[6:7], v[8:9]
	s_waitcnt vmcnt(4)
	v_fma_f64 v[4:5], v[4:5], v[10:11], -v[8:9]
	v_fmac_f64_e32 v[16:17], v[6:7], v[10:11]
	v_add_f64 v[4:5], v[4:5], 0
	v_add_f64 v[6:7], v[16:17], 0
	s_waitcnt vmcnt(2)
	v_add_f64 v[4:5], v[12:13], -v[4:5]
	s_waitcnt vmcnt(0)
	v_add_f64 v[6:7], v[14:15], -v[6:7]
	buffer_store_dword v4, off, s[0:3], 0 offset:512
	buffer_store_dword v5, off, s[0:3], 0 offset:516
	;; [unrolled: 1-line block ×4, first 2 shown]
	s_and_saveexec_b64 s[4:5], vcc
	s_cbranch_execz .LBB96_151
; %bb.150:
	v_accvgpr_read_b32 v3, a62
	buffer_load_dword v4, v3, s[0:3], 0 offen
	buffer_load_dword v5, v3, s[0:3], 0 offen offset:4
	buffer_load_dword v6, v3, s[0:3], 0 offen offset:8
	;; [unrolled: 1-line block ×3, first 2 shown]
	s_nop 0
	buffer_store_dword v2, off, s[0:3], 0 offset:496
	buffer_store_dword v2, off, s[0:3], 0 offset:500
	;; [unrolled: 1-line block ×4, first 2 shown]
	s_waitcnt vmcnt(4)
	ds_write_b128 v1, v[4:7]
.LBB96_151:
	s_or_b64 exec, exec, s[4:5]
	s_waitcnt lgkmcnt(0)
	; wave barrier
	s_waitcnt lgkmcnt(0)
	buffer_load_dword v12, off, s[0:3], 0 offset:520
	buffer_load_dword v13, off, s[0:3], 0 offset:524
	;; [unrolled: 1-line block ×12, first 2 shown]
	ds_read_b128 v[4:7], v2 offset:1024
	ds_read_b128 v[8:11], v2 offset:1040
	v_cmp_lt_u32_e32 vcc, 29, v0
	s_waitcnt vmcnt(10) lgkmcnt(1)
	v_mul_f64 v[2:3], v[4:5], v[12:13]
	v_mul_f64 v[12:13], v[6:7], v[12:13]
	s_waitcnt vmcnt(8) lgkmcnt(0)
	v_mul_f64 v[24:25], v[8:9], v[14:15]
	v_mul_f64 v[14:15], v[10:11], v[14:15]
	s_waitcnt vmcnt(6)
	v_fma_f64 v[4:5], v[4:5], v[16:17], -v[12:13]
	v_fmac_f64_e32 v[2:3], v[6:7], v[16:17]
	s_waitcnt vmcnt(4)
	v_fma_f64 v[6:7], v[8:9], v[18:19], -v[14:15]
	v_add_f64 v[4:5], v[4:5], 0
	v_fmac_f64_e32 v[24:25], v[10:11], v[18:19]
	v_add_f64 v[2:3], v[2:3], 0
	v_add_f64 v[4:5], v[4:5], v[6:7]
	v_add_f64 v[2:3], v[2:3], v[24:25]
	s_waitcnt vmcnt(2)
	v_add_f64 v[4:5], v[20:21], -v[4:5]
	s_waitcnt vmcnt(0)
	v_add_f64 v[2:3], v[22:23], -v[2:3]
	buffer_store_dword v4, off, s[0:3], 0 offset:496
	buffer_store_dword v5, off, s[0:3], 0 offset:500
	;; [unrolled: 1-line block ×4, first 2 shown]
	s_and_saveexec_b64 s[4:5], vcc
	s_cbranch_execz .LBB96_153
; %bb.152:
	v_accvgpr_read_b32 v5, a63
	buffer_load_dword v2, v5, s[0:3], 0 offen
	buffer_load_dword v3, v5, s[0:3], 0 offen offset:4
	buffer_load_dword v4, v5, s[0:3], 0 offen offset:8
	s_nop 0
	buffer_load_dword v5, v5, s[0:3], 0 offen offset:12
	v_mov_b32_e32 v6, 0
	buffer_store_dword v6, off, s[0:3], 0 offset:480
	buffer_store_dword v6, off, s[0:3], 0 offset:484
	;; [unrolled: 1-line block ×4, first 2 shown]
	s_waitcnt vmcnt(4)
	ds_write_b128 v1, v[2:5]
.LBB96_153:
	s_or_b64 exec, exec, s[4:5]
	s_waitcnt lgkmcnt(0)
	; wave barrier
	s_waitcnt lgkmcnt(0)
	buffer_load_dword v16, off, s[0:3], 0 offset:504
	buffer_load_dword v17, off, s[0:3], 0 offset:508
	;; [unrolled: 1-line block ×16, first 2 shown]
	v_mov_b32_e32 v2, 0
	ds_read_b128 v[4:7], v2 offset:1008
	ds_read_b128 v[8:11], v2 offset:1024
	;; [unrolled: 1-line block ×3, first 2 shown]
	v_cmp_lt_u32_e32 vcc, 28, v0
	s_waitcnt vmcnt(14) lgkmcnt(2)
	v_mul_f64 v[32:33], v[4:5], v[16:17]
	v_mul_f64 v[16:17], v[6:7], v[16:17]
	s_waitcnt vmcnt(12) lgkmcnt(1)
	v_mul_f64 v[34:35], v[8:9], v[18:19]
	v_mul_f64 v[18:19], v[10:11], v[18:19]
	;; [unrolled: 3-line block ×3, first 2 shown]
	s_waitcnt vmcnt(8)
	v_fma_f64 v[4:5], v[4:5], v[22:23], -v[16:17]
	v_fmac_f64_e32 v[32:33], v[6:7], v[22:23]
	s_waitcnt vmcnt(6)
	v_fma_f64 v[6:7], v[8:9], v[24:25], -v[18:19]
	v_add_f64 v[4:5], v[4:5], 0
	v_fmac_f64_e32 v[34:35], v[10:11], v[24:25]
	s_waitcnt vmcnt(4)
	v_fma_f64 v[8:9], v[12:13], v[26:27], -v[20:21]
	v_add_f64 v[10:11], v[32:33], 0
	v_add_f64 v[4:5], v[4:5], v[6:7]
	v_fmac_f64_e32 v[36:37], v[14:15], v[26:27]
	v_add_f64 v[10:11], v[10:11], v[34:35]
	v_add_f64 v[4:5], v[4:5], v[8:9]
	;; [unrolled: 1-line block ×3, first 2 shown]
	s_waitcnt vmcnt(2)
	v_add_f64 v[4:5], v[28:29], -v[4:5]
	s_waitcnt vmcnt(0)
	v_add_f64 v[6:7], v[30:31], -v[6:7]
	buffer_store_dword v4, off, s[0:3], 0 offset:480
	buffer_store_dword v5, off, s[0:3], 0 offset:484
	;; [unrolled: 1-line block ×4, first 2 shown]
	s_and_saveexec_b64 s[4:5], vcc
	s_cbranch_execz .LBB96_155
; %bb.154:
	v_accvgpr_read_b32 v3, a64
	buffer_load_dword v4, v3, s[0:3], 0 offen
	buffer_load_dword v5, v3, s[0:3], 0 offen offset:4
	buffer_load_dword v6, v3, s[0:3], 0 offen offset:8
	;; [unrolled: 1-line block ×3, first 2 shown]
	s_nop 0
	buffer_store_dword v2, off, s[0:3], 0 offset:464
	buffer_store_dword v2, off, s[0:3], 0 offset:468
	;; [unrolled: 1-line block ×4, first 2 shown]
	s_waitcnt vmcnt(4)
	ds_write_b128 v1, v[4:7]
.LBB96_155:
	s_or_b64 exec, exec, s[4:5]
	s_waitcnt lgkmcnt(0)
	; wave barrier
	s_waitcnt lgkmcnt(0)
	buffer_load_dword v20, off, s[0:3], 0 offset:488
	buffer_load_dword v21, off, s[0:3], 0 offset:492
	;; [unrolled: 1-line block ×20, first 2 shown]
	ds_read_b128 v[4:7], v2 offset:992
	ds_read_b128 v[8:11], v2 offset:1008
	ds_read_b128 v[12:15], v2 offset:1024
	ds_read_b128 v[16:19], v2 offset:1040
	v_cmp_lt_u32_e32 vcc, 27, v0
	s_waitcnt vmcnt(18) lgkmcnt(3)
	v_mul_f64 v[2:3], v[4:5], v[20:21]
	v_mul_f64 v[20:21], v[6:7], v[20:21]
	s_waitcnt vmcnt(16) lgkmcnt(2)
	v_mul_f64 v[40:41], v[8:9], v[22:23]
	v_mul_f64 v[22:23], v[10:11], v[22:23]
	;; [unrolled: 3-line block ×4, first 2 shown]
	s_waitcnt vmcnt(10)
	v_fma_f64 v[4:5], v[4:5], v[28:29], -v[20:21]
	v_fmac_f64_e32 v[2:3], v[6:7], v[28:29]
	s_waitcnt vmcnt(8)
	v_fma_f64 v[6:7], v[8:9], v[30:31], -v[22:23]
	v_add_f64 v[4:5], v[4:5], 0
	v_fmac_f64_e32 v[40:41], v[10:11], v[30:31]
	s_waitcnt vmcnt(6)
	v_fma_f64 v[8:9], v[12:13], v[32:33], -v[24:25]
	v_add_f64 v[2:3], v[2:3], 0
	v_add_f64 v[4:5], v[4:5], v[6:7]
	v_fmac_f64_e32 v[42:43], v[14:15], v[32:33]
	s_waitcnt vmcnt(4)
	v_fma_f64 v[10:11], v[16:17], v[34:35], -v[26:27]
	v_add_f64 v[2:3], v[2:3], v[40:41]
	v_add_f64 v[4:5], v[4:5], v[8:9]
	v_fmac_f64_e32 v[44:45], v[18:19], v[34:35]
	v_add_f64 v[2:3], v[2:3], v[42:43]
	v_add_f64 v[4:5], v[4:5], v[10:11]
	;; [unrolled: 1-line block ×3, first 2 shown]
	s_waitcnt vmcnt(2)
	v_add_f64 v[4:5], v[36:37], -v[4:5]
	s_waitcnt vmcnt(0)
	v_add_f64 v[2:3], v[38:39], -v[2:3]
	buffer_store_dword v4, off, s[0:3], 0 offset:464
	buffer_store_dword v5, off, s[0:3], 0 offset:468
	;; [unrolled: 1-line block ×4, first 2 shown]
	s_and_saveexec_b64 s[4:5], vcc
	s_cbranch_execz .LBB96_157
; %bb.156:
	v_accvgpr_read_b32 v5, a65
	buffer_load_dword v2, v5, s[0:3], 0 offen
	buffer_load_dword v3, v5, s[0:3], 0 offen offset:4
	buffer_load_dword v4, v5, s[0:3], 0 offen offset:8
	s_nop 0
	buffer_load_dword v5, v5, s[0:3], 0 offen offset:12
	v_mov_b32_e32 v6, 0
	buffer_store_dword v6, off, s[0:3], 0 offset:448
	buffer_store_dword v6, off, s[0:3], 0 offset:452
	;; [unrolled: 1-line block ×4, first 2 shown]
	s_waitcnt vmcnt(4)
	ds_write_b128 v1, v[2:5]
.LBB96_157:
	s_or_b64 exec, exec, s[4:5]
	s_waitcnt lgkmcnt(0)
	; wave barrier
	s_waitcnt lgkmcnt(0)
	buffer_load_dword v24, off, s[0:3], 0 offset:472
	buffer_load_dword v25, off, s[0:3], 0 offset:476
	;; [unrolled: 1-line block ×24, first 2 shown]
	v_mov_b32_e32 v2, 0
	ds_read_b128 v[4:7], v2 offset:976
	ds_read_b128 v[8:11], v2 offset:992
	;; [unrolled: 1-line block ×5, first 2 shown]
	v_cmp_lt_u32_e32 vcc, 26, v0
	s_waitcnt vmcnt(22) lgkmcnt(4)
	v_mul_f64 v[48:49], v[4:5], v[24:25]
	v_mul_f64 v[24:25], v[6:7], v[24:25]
	s_waitcnt vmcnt(20) lgkmcnt(3)
	v_mul_f64 v[50:51], v[8:9], v[26:27]
	v_mul_f64 v[26:27], v[10:11], v[26:27]
	;; [unrolled: 3-line block ×4, first 2 shown]
	s_waitcnt vmcnt(13) lgkmcnt(0)
	v_mul_f64 v[56:57], v[20:21], v[30:31]
	s_waitcnt vmcnt(11)
	v_fma_f64 v[4:5], v[4:5], v[36:37], -v[24:25]
	v_fmac_f64_e32 v[48:49], v[6:7], v[36:37]
	s_waitcnt vmcnt(9)
	v_fma_f64 v[6:7], v[8:9], v[38:39], -v[26:27]
	v_add_f64 v[4:5], v[4:5], 0
	v_fmac_f64_e32 v[50:51], v[10:11], v[38:39]
	s_waitcnt vmcnt(7)
	v_fmac_f64_e32 v[52:53], v[14:15], v[40:41]
	v_fma_f64 v[8:9], v[12:13], v[40:41], -v[28:29]
	v_add_f64 v[14:15], v[48:49], 0
	v_add_f64 v[4:5], v[4:5], v[6:7]
	v_mul_f64 v[30:31], v[22:23], v[30:31]
	s_waitcnt vmcnt(5)
	v_fma_f64 v[10:11], v[16:17], v[42:43], -v[34:35]
	v_add_f64 v[14:15], v[14:15], v[50:51]
	v_add_f64 v[4:5], v[4:5], v[8:9]
	v_fmac_f64_e32 v[54:55], v[18:19], v[42:43]
	s_waitcnt vmcnt(4)
	v_fma_f64 v[12:13], v[20:21], v[32:33], -v[30:31]
	v_add_f64 v[6:7], v[14:15], v[52:53]
	v_add_f64 v[4:5], v[4:5], v[10:11]
	v_fmac_f64_e32 v[56:57], v[22:23], v[32:33]
	v_add_f64 v[6:7], v[6:7], v[54:55]
	v_add_f64 v[4:5], v[4:5], v[12:13]
	;; [unrolled: 1-line block ×3, first 2 shown]
	s_waitcnt vmcnt(2)
	v_add_f64 v[4:5], v[44:45], -v[4:5]
	s_waitcnt vmcnt(0)
	v_add_f64 v[6:7], v[46:47], -v[6:7]
	buffer_store_dword v5, off, s[0:3], 0 offset:452
	buffer_store_dword v4, off, s[0:3], 0 offset:448
	;; [unrolled: 1-line block ×4, first 2 shown]
	s_and_saveexec_b64 s[4:5], vcc
	s_cbranch_execz .LBB96_159
; %bb.158:
	v_accvgpr_read_b32 v3, a66
	buffer_load_dword v4, v3, s[0:3], 0 offen
	buffer_load_dword v5, v3, s[0:3], 0 offen offset:4
	buffer_load_dword v6, v3, s[0:3], 0 offen offset:8
	;; [unrolled: 1-line block ×3, first 2 shown]
	s_nop 0
	buffer_store_dword v2, off, s[0:3], 0 offset:432
	buffer_store_dword v2, off, s[0:3], 0 offset:436
	;; [unrolled: 1-line block ×4, first 2 shown]
	s_waitcnt vmcnt(4)
	ds_write_b128 v1, v[4:7]
.LBB96_159:
	s_or_b64 exec, exec, s[4:5]
	s_waitcnt lgkmcnt(0)
	; wave barrier
	s_waitcnt lgkmcnt(0)
	buffer_load_dword v28, off, s[0:3], 0 offset:456
	buffer_load_dword v29, off, s[0:3], 0 offset:460
	;; [unrolled: 1-line block ×28, first 2 shown]
	ds_read_b128 v[4:7], v2 offset:960
	ds_read_b128 v[8:11], v2 offset:976
	;; [unrolled: 1-line block ×6, first 2 shown]
	v_cmp_lt_u32_e32 vcc, 25, v0
	s_waitcnt vmcnt(26) lgkmcnt(5)
	v_mul_f64 v[2:3], v[4:5], v[28:29]
	v_mul_f64 v[28:29], v[6:7], v[28:29]
	s_waitcnt vmcnt(24) lgkmcnt(4)
	v_mul_f64 v[56:57], v[8:9], v[30:31]
	v_mul_f64 v[30:31], v[10:11], v[30:31]
	s_waitcnt vmcnt(22) lgkmcnt(3)
	v_mul_f64 v[58:59], v[12:13], v[32:33]
	v_mul_f64 v[32:33], v[14:15], v[32:33]
	s_waitcnt vmcnt(20) lgkmcnt(1)
	v_mul_f64 v[62:63], v[20:21], v[34:35]
	v_mul_f64 v[34:35], v[22:23], v[34:35]
	s_waitcnt vmcnt(17)
	v_mul_f64 v[60:61], v[16:17], v[38:39]
	v_mul_f64 v[38:39], v[18:19], v[38:39]
	s_waitcnt vmcnt(15) lgkmcnt(0)
	v_mul_f64 v[64:65], v[24:25], v[40:41]
	v_mul_f64 v[40:41], v[26:27], v[40:41]
	s_waitcnt vmcnt(14)
	v_fmac_f64_e32 v[62:63], v[22:23], v[36:37]
	s_waitcnt vmcnt(12)
	v_fma_f64 v[4:5], v[4:5], v[42:43], -v[28:29]
	v_fmac_f64_e32 v[2:3], v[6:7], v[42:43]
	s_waitcnt vmcnt(10)
	v_fma_f64 v[6:7], v[8:9], v[44:45], -v[30:31]
	v_add_f64 v[4:5], v[4:5], 0
	v_fmac_f64_e32 v[56:57], v[10:11], v[44:45]
	s_waitcnt vmcnt(8)
	v_fma_f64 v[8:9], v[12:13], v[46:47], -v[32:33]
	v_add_f64 v[2:3], v[2:3], 0
	v_add_f64 v[4:5], v[4:5], v[6:7]
	v_fmac_f64_e32 v[58:59], v[14:15], v[46:47]
	s_waitcnt vmcnt(6)
	v_fma_f64 v[10:11], v[16:17], v[48:49], -v[38:39]
	v_add_f64 v[2:3], v[2:3], v[56:57]
	v_add_f64 v[4:5], v[4:5], v[8:9]
	v_fmac_f64_e32 v[60:61], v[18:19], v[48:49]
	v_fma_f64 v[12:13], v[20:21], v[36:37], -v[34:35]
	v_add_f64 v[2:3], v[2:3], v[58:59]
	v_add_f64 v[4:5], v[4:5], v[10:11]
	s_waitcnt vmcnt(4)
	v_fma_f64 v[14:15], v[24:25], v[50:51], -v[40:41]
	v_add_f64 v[2:3], v[2:3], v[60:61]
	v_add_f64 v[4:5], v[4:5], v[12:13]
	v_fmac_f64_e32 v[64:65], v[26:27], v[50:51]
	v_add_f64 v[2:3], v[2:3], v[62:63]
	v_add_f64 v[4:5], v[4:5], v[14:15]
	;; [unrolled: 1-line block ×3, first 2 shown]
	s_waitcnt vmcnt(2)
	v_add_f64 v[4:5], v[52:53], -v[4:5]
	s_waitcnt vmcnt(0)
	v_add_f64 v[2:3], v[54:55], -v[2:3]
	buffer_store_dword v5, off, s[0:3], 0 offset:436
	buffer_store_dword v4, off, s[0:3], 0 offset:432
	;; [unrolled: 1-line block ×4, first 2 shown]
	s_and_saveexec_b64 s[4:5], vcc
	s_cbranch_execz .LBB96_161
; %bb.160:
	v_accvgpr_read_b32 v5, a67
	buffer_load_dword v2, v5, s[0:3], 0 offen
	buffer_load_dword v3, v5, s[0:3], 0 offen offset:4
	buffer_load_dword v4, v5, s[0:3], 0 offen offset:8
	s_nop 0
	buffer_load_dword v5, v5, s[0:3], 0 offen offset:12
	v_mov_b32_e32 v6, 0
	buffer_store_dword v6, off, s[0:3], 0 offset:416
	buffer_store_dword v6, off, s[0:3], 0 offset:420
	buffer_store_dword v6, off, s[0:3], 0 offset:424
	buffer_store_dword v6, off, s[0:3], 0 offset:428
	s_waitcnt vmcnt(4)
	ds_write_b128 v1, v[2:5]
.LBB96_161:
	s_or_b64 exec, exec, s[4:5]
	v_mov_b32_e32 v6, 0
	s_waitcnt lgkmcnt(0)
	; wave barrier
	s_waitcnt lgkmcnt(0)
	ds_read_b128 v[8:11], v6 offset:944
	ds_read_b128 v[12:15], v6 offset:960
	;; [unrolled: 1-line block ×4, first 2 shown]
	buffer_load_dword v4, off, s[0:3], 0 offset:416
	buffer_load_dword v5, off, s[0:3], 0 offset:420
	;; [unrolled: 1-line block ×20, first 2 shown]
	v_cmp_lt_u32_e32 vcc, 24, v0
	s_waitcnt vmcnt(12) lgkmcnt(3)
	v_mul_f64 v[24:25], v[8:9], v[38:39]
	v_fmac_f64_e32 v[24:25], v[10:11], v[36:37]
	v_add_f64 v[24:25], v[24:25], 0
	v_mul_f64 v[10:11], v[10:11], v[38:39]
	s_waitcnt vmcnt(8) lgkmcnt(2)
	v_mul_f64 v[26:27], v[12:13], v[42:43]
	v_fmac_f64_e32 v[26:27], v[14:15], v[40:41]
	v_add_f64 v[24:25], v[24:25], v[26:27]
	v_fma_f64 v[8:9], v[8:9], v[36:37], -v[10:11]
	s_waitcnt vmcnt(4) lgkmcnt(1)
	v_mul_f64 v[26:27], v[16:17], v[46:47]
	v_fmac_f64_e32 v[26:27], v[18:19], v[44:45]
	v_add_f64 v[24:25], v[24:25], v[26:27]
	s_waitcnt vmcnt(0) lgkmcnt(0)
	v_mul_f64 v[26:27], v[20:21], v[50:51]
	v_fmac_f64_e32 v[26:27], v[22:23], v[48:49]
	v_add_f64 v[28:29], v[24:25], v[26:27]
	ds_read_b128 v[24:27], v6 offset:1008
	buffer_load_dword v53, off, s[0:3], 0 offset:500
	buffer_load_dword v52, off, s[0:3], 0 offset:496
	buffer_load_dword v55, off, s[0:3], 0 offset:508
	buffer_load_dword v54, off, s[0:3], 0 offset:504
	v_mul_f64 v[10:11], v[14:15], v[42:43]
	v_add_f64 v[8:9], v[8:9], 0
	v_fma_f64 v[10:11], v[12:13], v[40:41], -v[10:11]
	v_add_f64 v[8:9], v[8:9], v[10:11]
	v_mul_f64 v[10:11], v[18:19], v[46:47]
	v_fma_f64 v[10:11], v[16:17], v[44:45], -v[10:11]
	v_add_f64 v[8:9], v[8:9], v[10:11]
	v_mul_f64 v[10:11], v[22:23], v[50:51]
	v_fma_f64 v[10:11], v[20:21], v[48:49], -v[10:11]
	v_add_f64 v[8:9], v[8:9], v[10:11]
	s_waitcnt vmcnt(0) lgkmcnt(0)
	v_mul_f64 v[30:31], v[24:25], v[54:55]
	v_fmac_f64_e32 v[30:31], v[26:27], v[52:53]
	v_add_f64 v[32:33], v[28:29], v[30:31]
	ds_read_b128 v[28:31], v6 offset:1024
	buffer_load_dword v57, off, s[0:3], 0 offset:516
	buffer_load_dword v56, off, s[0:3], 0 offset:512
	;; [unrolled: 1-line block ×4, first 2 shown]
	v_mul_f64 v[10:11], v[26:27], v[54:55]
	v_fma_f64 v[10:11], v[24:25], v[52:53], -v[10:11]
	v_add_f64 v[8:9], v[8:9], v[10:11]
	s_waitcnt vmcnt(0) lgkmcnt(0)
	v_mul_f64 v[34:35], v[28:29], v[58:59]
	v_fmac_f64_e32 v[34:35], v[30:31], v[56:57]
	v_add_f64 v[60:61], v[32:33], v[34:35]
	ds_read_b128 v[32:35], v6 offset:1040
	buffer_load_dword v63, off, s[0:3], 0 offset:532
	buffer_load_dword v62, off, s[0:3], 0 offset:528
	;; [unrolled: 1-line block ×4, first 2 shown]
	v_mul_f64 v[10:11], v[30:31], v[58:59]
	v_fma_f64 v[10:11], v[28:29], v[56:57], -v[10:11]
	v_add_f64 v[8:9], v[8:9], v[10:11]
	s_waitcnt vmcnt(0) lgkmcnt(0)
	v_mul_f64 v[10:11], v[34:35], v[64:65]
	v_mul_f64 v[66:67], v[32:33], v[64:65]
	v_fma_f64 v[10:11], v[32:33], v[62:63], -v[10:11]
	v_fmac_f64_e32 v[66:67], v[34:35], v[62:63]
	v_add_f64 v[8:9], v[8:9], v[10:11]
	v_add_f64 v[60:61], v[60:61], v[66:67]
	v_add_f64 v[4:5], v[4:5], -v[8:9]
	v_add_f64 v[2:3], v[2:3], -v[60:61]
	buffer_store_dword v5, off, s[0:3], 0 offset:420
	buffer_store_dword v4, off, s[0:3], 0 offset:416
	;; [unrolled: 1-line block ×4, first 2 shown]
	s_and_saveexec_b64 s[4:5], vcc
	s_cbranch_execz .LBB96_163
; %bb.162:
	v_accvgpr_read_b32 v5, a68
	buffer_load_dword v2, v5, s[0:3], 0 offen
	buffer_load_dword v3, v5, s[0:3], 0 offen offset:4
	buffer_load_dword v4, v5, s[0:3], 0 offen offset:8
	s_nop 0
	buffer_load_dword v5, v5, s[0:3], 0 offen offset:12
	s_nop 0
	buffer_store_dword v6, off, s[0:3], 0 offset:400
	buffer_store_dword v6, off, s[0:3], 0 offset:404
	;; [unrolled: 1-line block ×4, first 2 shown]
	s_waitcnt vmcnt(4)
	ds_write_b128 v1, v[2:5]
.LBB96_163:
	s_or_b64 exec, exec, s[4:5]
	s_waitcnt lgkmcnt(0)
	; wave barrier
	s_waitcnt lgkmcnt(0)
	buffer_load_dword v36, off, s[0:3], 0 offset:424
	buffer_load_dword v37, off, s[0:3], 0 offset:428
	;; [unrolled: 1-line block ×36, first 2 shown]
	ds_read_b128 v[2:5], v6 offset:928
	ds_read_b128 v[8:11], v6 offset:944
	;; [unrolled: 1-line block ×8, first 2 shown]
	v_cmp_lt_u32_e32 vcc, 23, v0
	s_waitcnt vmcnt(34) lgkmcnt(7)
	v_mul_f64 v[6:7], v[2:3], v[36:37]
	v_mul_f64 v[36:37], v[4:5], v[36:37]
	s_waitcnt vmcnt(32) lgkmcnt(6)
	v_mul_f64 v[72:73], v[8:9], v[38:39]
	v_mul_f64 v[38:39], v[10:11], v[38:39]
	;; [unrolled: 3-line block ×4, first 2 shown]
	s_waitcnt vmcnt(25)
	v_mul_f64 v[76:77], v[16:17], v[46:47]
	v_mul_f64 v[46:47], v[18:19], v[46:47]
	s_waitcnt vmcnt(23) lgkmcnt(1)
	v_mul_f64 v[82:83], v[28:29], v[48:49]
	v_mul_f64 v[48:49], v[30:31], v[48:49]
	s_waitcnt vmcnt(20)
	v_mul_f64 v[80:81], v[24:25], v[52:53]
	v_mul_f64 v[52:53], v[26:27], v[52:53]
	s_waitcnt vmcnt(18) lgkmcnt(0)
	v_mul_f64 v[84:85], v[32:33], v[54:55]
	s_waitcnt vmcnt(17)
	v_fmac_f64_e32 v[78:79], v[22:23], v[44:45]
	s_waitcnt vmcnt(16)
	v_fmac_f64_e32 v[82:83], v[30:31], v[50:51]
	s_waitcnt vmcnt(14)
	v_fma_f64 v[2:3], v[2:3], v[56:57], -v[36:37]
	v_fmac_f64_e32 v[6:7], v[4:5], v[56:57]
	s_waitcnt vmcnt(12)
	v_fma_f64 v[4:5], v[8:9], v[58:59], -v[38:39]
	v_add_f64 v[2:3], v[2:3], 0
	v_fmac_f64_e32 v[72:73], v[10:11], v[58:59]
	s_waitcnt vmcnt(10)
	v_fma_f64 v[8:9], v[12:13], v[60:61], -v[40:41]
	v_add_f64 v[6:7], v[6:7], 0
	v_add_f64 v[2:3], v[2:3], v[4:5]
	v_fmac_f64_e32 v[74:75], v[14:15], v[60:61]
	s_waitcnt vmcnt(8)
	v_fma_f64 v[10:11], v[16:17], v[62:63], -v[46:47]
	v_add_f64 v[6:7], v[6:7], v[72:73]
	v_add_f64 v[2:3], v[2:3], v[8:9]
	v_fmac_f64_e32 v[76:77], v[18:19], v[62:63]
	v_fma_f64 v[12:13], v[20:21], v[44:45], -v[42:43]
	v_add_f64 v[4:5], v[6:7], v[74:75]
	v_add_f64 v[2:3], v[2:3], v[10:11]
	s_waitcnt vmcnt(6)
	v_fma_f64 v[14:15], v[24:25], v[64:65], -v[52:53]
	v_add_f64 v[4:5], v[4:5], v[76:77]
	v_add_f64 v[2:3], v[2:3], v[12:13]
	v_fmac_f64_e32 v[80:81], v[26:27], v[64:65]
	v_fma_f64 v[16:17], v[28:29], v[50:51], -v[48:49]
	v_add_f64 v[4:5], v[4:5], v[78:79]
	v_add_f64 v[2:3], v[2:3], v[14:15]
	v_mul_f64 v[6:7], v[34:35], v[54:55]
	v_add_f64 v[4:5], v[4:5], v[80:81]
	v_add_f64 v[2:3], v[2:3], v[16:17]
	s_waitcnt vmcnt(4)
	v_fma_f64 v[6:7], v[32:33], v[66:67], -v[6:7]
	v_fmac_f64_e32 v[84:85], v[34:35], v[66:67]
	v_add_f64 v[4:5], v[4:5], v[82:83]
	v_add_f64 v[2:3], v[2:3], v[6:7]
	;; [unrolled: 1-line block ×3, first 2 shown]
	s_waitcnt vmcnt(2)
	v_add_f64 v[2:3], v[68:69], -v[2:3]
	s_waitcnt vmcnt(0)
	v_add_f64 v[4:5], v[70:71], -v[4:5]
	buffer_store_dword v3, off, s[0:3], 0 offset:404
	buffer_store_dword v2, off, s[0:3], 0 offset:400
	;; [unrolled: 1-line block ×4, first 2 shown]
	s_and_saveexec_b64 s[4:5], vcc
	s_cbranch_execz .LBB96_165
; %bb.164:
	v_accvgpr_read_b32 v5, a69
	buffer_load_dword v2, v5, s[0:3], 0 offen
	buffer_load_dword v3, v5, s[0:3], 0 offen offset:4
	buffer_load_dword v4, v5, s[0:3], 0 offen offset:8
	s_nop 0
	buffer_load_dword v5, v5, s[0:3], 0 offen offset:12
	v_mov_b32_e32 v6, 0
	buffer_store_dword v6, off, s[0:3], 0 offset:384
	buffer_store_dword v6, off, s[0:3], 0 offset:388
	;; [unrolled: 1-line block ×4, first 2 shown]
	s_waitcnt vmcnt(4)
	ds_write_b128 v1, v[2:5]
.LBB96_165:
	s_or_b64 exec, exec, s[4:5]
	s_waitcnt lgkmcnt(0)
	; wave barrier
	s_waitcnt lgkmcnt(0)
	buffer_load_dword v40, off, s[0:3], 0 offset:408
	buffer_load_dword v41, off, s[0:3], 0 offset:412
	;; [unrolled: 1-line block ×40, first 2 shown]
	v_mov_b32_e32 v6, 0
	ds_read_b128 v[2:5], v6 offset:912
	ds_read_b128 v[8:11], v6 offset:928
	;; [unrolled: 1-line block ×9, first 2 shown]
	v_cmp_lt_u32_e32 vcc, 22, v0
	s_waitcnt vmcnt(38) lgkmcnt(8)
	v_mul_f64 v[80:81], v[2:3], v[40:41]
	v_mul_f64 v[40:41], v[4:5], v[40:41]
	s_waitcnt vmcnt(36) lgkmcnt(7)
	v_mul_f64 v[82:83], v[8:9], v[42:43]
	v_mul_f64 v[42:43], v[10:11], v[42:43]
	;; [unrolled: 3-line block ×3, first 2 shown]
	s_waitcnt vmcnt(32) lgkmcnt(4)
	v_mul_f64 v[88:89], v[20:21], v[46:47]
	s_waitcnt vmcnt(30)
	v_fmac_f64_e32 v[88:89], v[22:23], v[48:49]
	s_waitcnt vmcnt(28)
	v_mul_f64 v[86:87], v[16:17], v[50:51]
	v_mul_f64 v[50:51], v[18:19], v[50:51]
	s_waitcnt vmcnt(26) lgkmcnt(2)
	v_mul_f64 v[92:93], v[28:29], v[52:53]
	s_waitcnt vmcnt(24)
	v_fmac_f64_e32 v[92:93], v[30:31], v[54:55]
	s_waitcnt vmcnt(22)
	v_mul_f64 v[90:91], v[24:25], v[56:57]
	s_waitcnt vmcnt(18) lgkmcnt(1)
	v_mul_f64 v[94:95], v[32:33], v[62:63]
	s_waitcnt vmcnt(17) lgkmcnt(0)
	v_mul_f64 v[96:97], v[36:37], v[58:59]
	s_waitcnt vmcnt(15)
	v_fma_f64 v[2:3], v[2:3], v[64:65], -v[40:41]
	v_fmac_f64_e32 v[80:81], v[4:5], v[64:65]
	s_waitcnt vmcnt(13)
	v_fma_f64 v[4:5], v[8:9], v[66:67], -v[42:43]
	v_add_f64 v[2:3], v[2:3], 0
	s_waitcnt vmcnt(11)
	v_fma_f64 v[8:9], v[12:13], v[68:69], -v[44:45]
	v_add_f64 v[2:3], v[2:3], v[4:5]
	v_fmac_f64_e32 v[82:83], v[10:11], v[66:67]
	s_waitcnt vmcnt(9)
	v_fma_f64 v[10:11], v[16:17], v[70:71], -v[50:51]
	v_add_f64 v[2:3], v[2:3], v[8:9]
	v_mul_f64 v[8:9], v[22:23], v[46:47]
	v_add_f64 v[2:3], v[2:3], v[10:11]
	v_fma_f64 v[8:9], v[20:21], v[48:49], -v[8:9]
	v_add_f64 v[2:3], v[2:3], v[8:9]
	v_mul_f64 v[8:9], v[26:27], v[56:57]
	v_add_f64 v[12:13], v[80:81], 0
	s_waitcnt vmcnt(7)
	v_fma_f64 v[8:9], v[24:25], v[72:73], -v[8:9]
	v_fmac_f64_e32 v[84:85], v[14:15], v[68:69]
	v_add_f64 v[12:13], v[12:13], v[82:83]
	v_add_f64 v[2:3], v[2:3], v[8:9]
	v_mul_f64 v[8:9], v[30:31], v[52:53]
	v_fmac_f64_e32 v[86:87], v[18:19], v[70:71]
	v_add_f64 v[4:5], v[12:13], v[84:85]
	v_fma_f64 v[8:9], v[28:29], v[54:55], -v[8:9]
	v_add_f64 v[4:5], v[4:5], v[86:87]
	v_add_f64 v[2:3], v[2:3], v[8:9]
	v_mul_f64 v[8:9], v[34:35], v[62:63]
	v_fmac_f64_e32 v[90:91], v[26:27], v[72:73]
	v_add_f64 v[4:5], v[4:5], v[88:89]
	s_waitcnt vmcnt(5)
	v_fma_f64 v[8:9], v[32:33], v[74:75], -v[8:9]
	v_add_f64 v[4:5], v[4:5], v[90:91]
	v_add_f64 v[2:3], v[2:3], v[8:9]
	v_mul_f64 v[8:9], v[38:39], v[58:59]
	v_fmac_f64_e32 v[94:95], v[34:35], v[74:75]
	v_add_f64 v[4:5], v[4:5], v[92:93]
	s_waitcnt vmcnt(4)
	v_fma_f64 v[8:9], v[36:37], v[60:61], -v[8:9]
	v_fmac_f64_e32 v[96:97], v[38:39], v[60:61]
	v_add_f64 v[4:5], v[4:5], v[94:95]
	v_add_f64 v[2:3], v[2:3], v[8:9]
	v_add_f64 v[4:5], v[4:5], v[96:97]
	s_waitcnt vmcnt(2)
	v_add_f64 v[2:3], v[76:77], -v[2:3]
	s_waitcnt vmcnt(0)
	v_add_f64 v[4:5], v[78:79], -v[4:5]
	buffer_store_dword v3, off, s[0:3], 0 offset:388
	buffer_store_dword v2, off, s[0:3], 0 offset:384
	;; [unrolled: 1-line block ×4, first 2 shown]
	s_and_saveexec_b64 s[4:5], vcc
	s_cbranch_execz .LBB96_167
; %bb.166:
	v_accvgpr_read_b32 v5, a70
	buffer_load_dword v2, v5, s[0:3], 0 offen
	buffer_load_dword v3, v5, s[0:3], 0 offen offset:4
	buffer_load_dword v4, v5, s[0:3], 0 offen offset:8
	s_nop 0
	buffer_load_dword v5, v5, s[0:3], 0 offen offset:12
	s_nop 0
	buffer_store_dword v6, off, s[0:3], 0 offset:368
	buffer_store_dword v6, off, s[0:3], 0 offset:372
	;; [unrolled: 1-line block ×4, first 2 shown]
	s_waitcnt vmcnt(4)
	ds_write_b128 v1, v[2:5]
.LBB96_167:
	s_or_b64 exec, exec, s[4:5]
	s_waitcnt lgkmcnt(0)
	; wave barrier
	s_waitcnt lgkmcnt(0)
	buffer_load_dword v4, off, s[0:3], 0 offset:384
	buffer_load_dword v5, off, s[0:3], 0 offset:388
	;; [unrolled: 1-line block ×44, first 2 shown]
	ds_read_b128 v[8:11], v6 offset:896
	ds_read_b128 v[12:15], v6 offset:912
	;; [unrolled: 1-line block ×10, first 2 shown]
	v_cmp_lt_u32_e32 vcc, 21, v0
	s_waitcnt vmcnt(40) lgkmcnt(9)
	v_mul_f64 v[6:7], v[8:9], v[48:49]
	v_mul_f64 v[48:49], v[10:11], v[48:49]
	s_waitcnt vmcnt(38) lgkmcnt(8)
	v_mul_f64 v[88:89], v[12:13], v[50:51]
	v_mul_f64 v[50:51], v[14:15], v[50:51]
	v_fmac_f64_e32 v[6:7], v[10:11], v[4:5]
	v_fma_f64 v[4:5], v[8:9], v[4:5], -v[48:49]
	s_waitcnt vmcnt(36) lgkmcnt(7)
	v_mul_f64 v[90:91], v[16:17], v[2:3]
	v_add_f64 v[4:5], v[4:5], 0
	v_mul_f64 v[2:3], v[18:19], v[2:3]
	v_add_f64 v[6:7], v[6:7], 0
	s_waitcnt vmcnt(30) lgkmcnt(6)
	v_mul_f64 v[92:93], v[20:21], v[56:57]
	s_waitcnt lgkmcnt(5)
	v_mul_f64 v[94:95], v[24:25], v[52:53]
	v_fmac_f64_e32 v[94:95], v[26:27], v[54:55]
	s_waitcnt vmcnt(28) lgkmcnt(3)
	v_mul_f64 v[98:99], v[32:33], v[58:59]
	s_waitcnt vmcnt(26)
	v_fmac_f64_e32 v[98:99], v[34:35], v[60:61]
	s_waitcnt vmcnt(24)
	v_mul_f64 v[96:97], v[28:29], v[62:63]
	s_waitcnt vmcnt(22) lgkmcnt(1)
	v_mul_f64 v[102:103], v[40:41], v[64:65]
	s_waitcnt vmcnt(20)
	v_fmac_f64_e32 v[102:103], v[42:43], v[66:67]
	s_waitcnt vmcnt(18)
	v_mul_f64 v[100:101], v[36:37], v[68:69]
	s_waitcnt vmcnt(16) lgkmcnt(0)
	v_mul_f64 v[104:105], v[44:45], v[70:71]
	s_waitcnt vmcnt(14)
	v_fma_f64 v[8:9], v[12:13], v[72:73], -v[50:51]
	v_add_f64 v[4:5], v[4:5], v[8:9]
	s_waitcnt vmcnt(12)
	v_fma_f64 v[2:3], v[16:17], v[74:75], -v[2:3]
	v_add_f64 v[2:3], v[4:5], v[2:3]
	v_mul_f64 v[4:5], v[22:23], v[56:57]
	s_waitcnt vmcnt(10)
	v_fma_f64 v[4:5], v[20:21], v[76:77], -v[4:5]
	v_add_f64 v[2:3], v[2:3], v[4:5]
	v_mul_f64 v[4:5], v[26:27], v[52:53]
	v_fma_f64 v[4:5], v[24:25], v[54:55], -v[4:5]
	v_add_f64 v[2:3], v[2:3], v[4:5]
	v_mul_f64 v[4:5], v[30:31], v[62:63]
	s_waitcnt vmcnt(8)
	v_fma_f64 v[4:5], v[28:29], v[78:79], -v[4:5]
	v_fmac_f64_e32 v[88:89], v[14:15], v[72:73]
	v_add_f64 v[2:3], v[2:3], v[4:5]
	v_mul_f64 v[4:5], v[34:35], v[58:59]
	v_fmac_f64_e32 v[90:91], v[18:19], v[74:75]
	v_add_f64 v[6:7], v[6:7], v[88:89]
	v_fma_f64 v[4:5], v[32:33], v[60:61], -v[4:5]
	v_fmac_f64_e32 v[92:93], v[22:23], v[76:77]
	v_add_f64 v[6:7], v[6:7], v[90:91]
	v_add_f64 v[2:3], v[2:3], v[4:5]
	v_mul_f64 v[4:5], v[38:39], v[68:69]
	v_add_f64 v[6:7], v[6:7], v[92:93]
	s_waitcnt vmcnt(6)
	v_fma_f64 v[4:5], v[36:37], v[80:81], -v[4:5]
	v_fmac_f64_e32 v[96:97], v[30:31], v[78:79]
	v_add_f64 v[6:7], v[6:7], v[94:95]
	v_add_f64 v[2:3], v[2:3], v[4:5]
	v_mul_f64 v[4:5], v[42:43], v[64:65]
	v_add_f64 v[6:7], v[6:7], v[96:97]
	v_fma_f64 v[4:5], v[40:41], v[66:67], -v[4:5]
	v_fmac_f64_e32 v[100:101], v[38:39], v[80:81]
	v_add_f64 v[6:7], v[6:7], v[98:99]
	v_add_f64 v[2:3], v[2:3], v[4:5]
	v_mul_f64 v[4:5], v[46:47], v[70:71]
	v_add_f64 v[6:7], v[6:7], v[100:101]
	s_waitcnt vmcnt(4)
	v_fma_f64 v[4:5], v[44:45], v[82:83], -v[4:5]
	v_fmac_f64_e32 v[104:105], v[46:47], v[82:83]
	v_add_f64 v[6:7], v[6:7], v[102:103]
	v_add_f64 v[2:3], v[2:3], v[4:5]
	;; [unrolled: 1-line block ×3, first 2 shown]
	s_waitcnt vmcnt(2)
	v_add_f64 v[2:3], v[84:85], -v[2:3]
	s_waitcnt vmcnt(0)
	v_add_f64 v[4:5], v[86:87], -v[6:7]
	buffer_store_dword v3, off, s[0:3], 0 offset:372
	buffer_store_dword v2, off, s[0:3], 0 offset:368
	;; [unrolled: 1-line block ×4, first 2 shown]
	s_and_saveexec_b64 s[4:5], vcc
	s_cbranch_execz .LBB96_169
; %bb.168:
	v_accvgpr_read_b32 v5, a71
	buffer_load_dword v2, v5, s[0:3], 0 offen
	buffer_load_dword v3, v5, s[0:3], 0 offen offset:4
	buffer_load_dword v4, v5, s[0:3], 0 offen offset:8
	s_nop 0
	buffer_load_dword v5, v5, s[0:3], 0 offen offset:12
	v_mov_b32_e32 v6, 0
	buffer_store_dword v6, off, s[0:3], 0 offset:352
	buffer_store_dword v6, off, s[0:3], 0 offset:356
	;; [unrolled: 1-line block ×4, first 2 shown]
	s_waitcnt vmcnt(4)
	ds_write_b128 v1, v[2:5]
.LBB96_169:
	s_or_b64 exec, exec, s[4:5]
	s_waitcnt lgkmcnt(0)
	; wave barrier
	s_waitcnt lgkmcnt(0)
	buffer_load_dword v2, off, s[0:3], 0 offset:368
	buffer_load_dword v3, off, s[0:3], 0 offset:372
	;; [unrolled: 1-line block ×48, first 2 shown]
	v_mov_b32_e32 v12, 0
	ds_read_b128 v[14:17], v12 offset:880
	ds_read_b128 v[18:21], v12 offset:896
	;; [unrolled: 1-line block ×11, first 2 shown]
	v_cmp_lt_u32_e32 vcc, 20, v0
	s_waitcnt vmcnt(44) lgkmcnt(10)
	v_mul_f64 v[96:97], v[14:15], v[6:7]
	v_mul_f64 v[6:7], v[16:17], v[6:7]
	v_fmac_f64_e32 v[96:97], v[16:17], v[2:3]
	v_fma_f64 v[2:3], v[14:15], v[2:3], -v[6:7]
	s_waitcnt vmcnt(40) lgkmcnt(9)
	v_mul_f64 v[98:99], v[18:19], v[8:9]
	v_mul_f64 v[6:7], v[20:21], v[8:9]
	v_fmac_f64_e32 v[98:99], v[20:21], v[4:5]
	v_add_f64 v[2:3], v[2:3], 0
	v_fma_f64 v[4:5], v[18:19], v[4:5], -v[6:7]
	v_add_f64 v[2:3], v[2:3], v[4:5]
	s_waitcnt vmcnt(38) lgkmcnt(8)
	v_mul_f64 v[4:5], v[24:25], v[10:11]
	v_mul_f64 v[100:101], v[22:23], v[10:11]
	v_add_f64 v[96:97], v[96:97], 0
	s_waitcnt vmcnt(32) lgkmcnt(7)
	v_mul_f64 v[102:103], v[26:27], v[62:63]
	v_add_f64 v[96:97], v[96:97], v[98:99]
	s_waitcnt lgkmcnt(6)
	v_mul_f64 v[104:105], v[30:31], v[58:59]
	v_fmac_f64_e32 v[104:105], v[32:33], v[60:61]
	s_waitcnt vmcnt(30) lgkmcnt(4)
	v_mul_f64 v[108:109], v[38:39], v[64:65]
	s_waitcnt vmcnt(26)
	v_mul_f64 v[106:107], v[34:35], v[68:69]
	v_fmac_f64_e32 v[108:109], v[40:41], v[66:67]
	s_waitcnt vmcnt(24) lgkmcnt(2)
	v_mul_f64 v[112:113], v[46:47], v[70:71]
	s_waitcnt vmcnt(22)
	v_fmac_f64_e32 v[112:113], v[48:49], v[72:73]
	s_waitcnt vmcnt(20)
	v_mul_f64 v[110:111], v[42:43], v[74:75]
	s_waitcnt vmcnt(16) lgkmcnt(1)
	v_mul_f64 v[114:115], v[50:51], v[80:81]
	s_waitcnt vmcnt(14)
	v_fma_f64 v[4:5], v[22:23], v[82:83], -v[4:5]
	v_add_f64 v[2:3], v[2:3], v[4:5]
	v_mul_f64 v[4:5], v[28:29], v[62:63]
	s_waitcnt vmcnt(12)
	v_fma_f64 v[4:5], v[26:27], v[84:85], -v[4:5]
	v_add_f64 v[2:3], v[2:3], v[4:5]
	v_mul_f64 v[4:5], v[32:33], v[58:59]
	v_fma_f64 v[4:5], v[30:31], v[60:61], -v[4:5]
	v_add_f64 v[2:3], v[2:3], v[4:5]
	v_mul_f64 v[4:5], v[36:37], v[68:69]
	s_waitcnt vmcnt(10)
	v_fma_f64 v[4:5], v[34:35], v[86:87], -v[4:5]
	v_add_f64 v[2:3], v[2:3], v[4:5]
	v_mul_f64 v[4:5], v[40:41], v[64:65]
	v_fma_f64 v[4:5], v[38:39], v[66:67], -v[4:5]
	v_fmac_f64_e32 v[100:101], v[24:25], v[82:83]
	v_add_f64 v[2:3], v[2:3], v[4:5]
	v_mul_f64 v[4:5], v[44:45], v[74:75]
	v_fmac_f64_e32 v[102:103], v[28:29], v[84:85]
	v_add_f64 v[96:97], v[96:97], v[100:101]
	s_waitcnt vmcnt(8)
	v_fma_f64 v[4:5], v[42:43], v[88:89], -v[4:5]
	v_add_f64 v[96:97], v[96:97], v[102:103]
	v_add_f64 v[2:3], v[2:3], v[4:5]
	v_mul_f64 v[4:5], v[48:49], v[70:71]
	v_fmac_f64_e32 v[106:107], v[36:37], v[86:87]
	v_add_f64 v[96:97], v[96:97], v[104:105]
	v_fma_f64 v[4:5], v[46:47], v[72:73], -v[4:5]
	v_add_f64 v[96:97], v[96:97], v[106:107]
	v_add_f64 v[2:3], v[2:3], v[4:5]
	v_mul_f64 v[4:5], v[52:53], v[80:81]
	v_fmac_f64_e32 v[110:111], v[44:45], v[88:89]
	v_add_f64 v[96:97], v[96:97], v[108:109]
	s_waitcnt vmcnt(6)
	v_fma_f64 v[4:5], v[50:51], v[90:91], -v[4:5]
	v_add_f64 v[96:97], v[96:97], v[110:111]
	v_add_f64 v[2:3], v[2:3], v[4:5]
	s_waitcnt vmcnt(5) lgkmcnt(0)
	v_mul_f64 v[4:5], v[56:57], v[76:77]
	v_fmac_f64_e32 v[114:115], v[52:53], v[90:91]
	v_add_f64 v[96:97], v[96:97], v[112:113]
	v_mul_f64 v[98:99], v[54:55], v[76:77]
	s_waitcnt vmcnt(4)
	v_fma_f64 v[4:5], v[54:55], v[78:79], -v[4:5]
	v_add_f64 v[96:97], v[96:97], v[114:115]
	v_fmac_f64_e32 v[98:99], v[56:57], v[78:79]
	v_add_f64 v[2:3], v[2:3], v[4:5]
	v_add_f64 v[96:97], v[96:97], v[98:99]
	s_waitcnt vmcnt(2)
	v_add_f64 v[2:3], v[92:93], -v[2:3]
	s_waitcnt vmcnt(0)
	v_add_f64 v[4:5], v[94:95], -v[96:97]
	buffer_store_dword v3, off, s[0:3], 0 offset:356
	buffer_store_dword v2, off, s[0:3], 0 offset:352
	;; [unrolled: 1-line block ×4, first 2 shown]
	s_and_saveexec_b64 s[4:5], vcc
	s_cbranch_execz .LBB96_171
; %bb.170:
	v_accvgpr_read_b32 v5, a72
	buffer_load_dword v2, v5, s[0:3], 0 offen
	buffer_load_dword v3, v5, s[0:3], 0 offen offset:4
	buffer_load_dword v4, v5, s[0:3], 0 offen offset:8
	s_nop 0
	buffer_load_dword v5, v5, s[0:3], 0 offen offset:12
	s_nop 0
	buffer_store_dword v12, off, s[0:3], 0 offset:336
	buffer_store_dword v12, off, s[0:3], 0 offset:340
	;; [unrolled: 1-line block ×4, first 2 shown]
	s_waitcnt vmcnt(4)
	ds_write_b128 v1, v[2:5]
.LBB96_171:
	s_or_b64 exec, exec, s[4:5]
	s_waitcnt lgkmcnt(0)
	; wave barrier
	s_waitcnt lgkmcnt(0)
	buffer_load_dword v2, off, s[0:3], 0 offset:352
	buffer_load_dword v3, off, s[0:3], 0 offset:356
	;; [unrolled: 1-line block ×52, first 2 shown]
	ds_read_b128 v[14:17], v12 offset:864
	ds_read_b128 v[18:21], v12 offset:880
	;; [unrolled: 1-line block ×10, first 2 shown]
	v_cmp_lt_u32_e32 vcc, 19, v0
	s_waitcnt vmcnt(48) lgkmcnt(9)
	v_mul_f64 v[54:55], v[14:15], v[6:7]
	v_mul_f64 v[6:7], v[16:17], v[6:7]
	v_fmac_f64_e32 v[54:55], v[16:17], v[2:3]
	v_fma_f64 v[2:3], v[14:15], v[2:3], -v[6:7]
	s_waitcnt vmcnt(44) lgkmcnt(8)
	v_mul_f64 v[56:57], v[18:19], v[8:9]
	v_mul_f64 v[6:7], v[20:21], v[8:9]
	v_fmac_f64_e32 v[56:57], v[20:21], v[4:5]
	v_add_f64 v[2:3], v[2:3], 0
	v_fma_f64 v[4:5], v[18:19], v[4:5], -v[6:7]
	v_add_f64 v[2:3], v[2:3], v[4:5]
	s_waitcnt vmcnt(42) lgkmcnt(7)
	v_mul_f64 v[4:5], v[24:25], v[10:11]
	v_mul_f64 v[58:59], v[22:23], v[10:11]
	v_add_f64 v[54:55], v[54:55], 0
	s_waitcnt vmcnt(36) lgkmcnt(6)
	v_mul_f64 v[60:61], v[26:27], v[66:67]
	v_add_f64 v[54:55], v[54:55], v[56:57]
	s_waitcnt lgkmcnt(5)
	v_mul_f64 v[104:105], v[30:31], v[62:63]
	v_fmac_f64_e32 v[104:105], v[32:33], v[64:65]
	s_waitcnt vmcnt(34) lgkmcnt(3)
	v_mul_f64 v[108:109], v[38:39], v[68:69]
	s_waitcnt vmcnt(30)
	v_mul_f64 v[106:107], v[34:35], v[72:73]
	v_fmac_f64_e32 v[108:109], v[40:41], v[70:71]
	s_waitcnt vmcnt(26) lgkmcnt(2)
	v_mul_f64 v[110:111], v[42:43], v[78:79]
	s_waitcnt vmcnt(25) lgkmcnt(1)
	v_mul_f64 v[112:113], v[46:47], v[74:75]
	s_waitcnt vmcnt(23)
	v_fma_f64 v[4:5], v[22:23], v[80:81], -v[4:5]
	v_add_f64 v[2:3], v[2:3], v[4:5]
	v_mul_f64 v[4:5], v[28:29], v[66:67]
	s_waitcnt vmcnt(21)
	v_fma_f64 v[4:5], v[26:27], v[82:83], -v[4:5]
	v_fmac_f64_e32 v[58:59], v[24:25], v[80:81]
	v_add_f64 v[2:3], v[2:3], v[4:5]
	v_mul_f64 v[4:5], v[32:33], v[62:63]
	v_fmac_f64_e32 v[60:61], v[28:29], v[82:83]
	v_add_f64 v[54:55], v[54:55], v[58:59]
	v_fma_f64 v[4:5], v[30:31], v[64:65], -v[4:5]
	v_add_f64 v[54:55], v[54:55], v[60:61]
	v_add_f64 v[2:3], v[2:3], v[4:5]
	v_mul_f64 v[4:5], v[36:37], v[72:73]
	s_waitcnt vmcnt(19)
	v_fmac_f64_e32 v[106:107], v[36:37], v[84:85]
	v_add_f64 v[54:55], v[54:55], v[104:105]
	v_fma_f64 v[4:5], v[34:35], v[84:85], -v[4:5]
	v_add_f64 v[54:55], v[54:55], v[106:107]
	v_add_f64 v[2:3], v[2:3], v[4:5]
	v_mul_f64 v[4:5], v[40:41], v[68:69]
	s_waitcnt vmcnt(17)
	v_fmac_f64_e32 v[110:111], v[44:45], v[86:87]
	v_add_f64 v[54:55], v[54:55], v[108:109]
	v_fma_f64 v[4:5], v[38:39], v[70:71], -v[4:5]
	s_waitcnt vmcnt(16)
	v_fmac_f64_e32 v[112:113], v[48:49], v[76:77]
	v_add_f64 v[54:55], v[54:55], v[110:111]
	v_add_f64 v[2:3], v[2:3], v[4:5]
	v_mul_f64 v[4:5], v[44:45], v[78:79]
	v_add_f64 v[104:105], v[54:55], v[112:113]
	ds_read_b128 v[54:57], v12 offset:1024
	ds_read_b128 v[58:61], v12 offset:1040
	v_fma_f64 v[4:5], v[42:43], v[86:87], -v[4:5]
	v_add_f64 v[2:3], v[2:3], v[4:5]
	v_mul_f64 v[4:5], v[48:49], v[74:75]
	v_fma_f64 v[4:5], v[46:47], v[76:77], -v[4:5]
	v_add_f64 v[2:3], v[2:3], v[4:5]
	s_waitcnt vmcnt(12) lgkmcnt(2)
	v_mul_f64 v[4:5], v[52:53], v[92:93]
	v_mul_f64 v[106:107], v[50:51], v[92:93]
	s_waitcnt vmcnt(10)
	v_fma_f64 v[4:5], v[50:51], v[94:95], -v[4:5]
	v_fmac_f64_e32 v[106:107], v[52:53], v[94:95]
	v_add_f64 v[2:3], v[2:3], v[4:5]
	s_waitcnt vmcnt(8) lgkmcnt(1)
	v_mul_f64 v[4:5], v[56:57], v[88:89]
	v_add_f64 v[12:13], v[104:105], v[106:107]
	v_mul_f64 v[104:105], v[54:55], v[88:89]
	v_fma_f64 v[4:5], v[54:55], v[90:91], -v[4:5]
	v_fmac_f64_e32 v[104:105], v[56:57], v[90:91]
	v_add_f64 v[2:3], v[2:3], v[4:5]
	s_waitcnt vmcnt(6) lgkmcnt(0)
	v_mul_f64 v[4:5], v[60:61], v[96:97]
	v_add_f64 v[12:13], v[12:13], v[104:105]
	v_mul_f64 v[104:105], v[58:59], v[96:97]
	s_waitcnt vmcnt(4)
	v_fma_f64 v[4:5], v[58:59], v[98:99], -v[4:5]
	v_fmac_f64_e32 v[104:105], v[60:61], v[98:99]
	v_add_f64 v[2:3], v[2:3], v[4:5]
	v_add_f64 v[12:13], v[12:13], v[104:105]
	s_waitcnt vmcnt(2)
	v_add_f64 v[2:3], v[100:101], -v[2:3]
	s_waitcnt vmcnt(0)
	v_add_f64 v[4:5], v[102:103], -v[12:13]
	buffer_store_dword v3, off, s[0:3], 0 offset:340
	buffer_store_dword v2, off, s[0:3], 0 offset:336
	;; [unrolled: 1-line block ×4, first 2 shown]
	s_and_saveexec_b64 s[4:5], vcc
	s_cbranch_execz .LBB96_173
; %bb.172:
	v_accvgpr_read_b32 v5, a73
	buffer_load_dword v2, v5, s[0:3], 0 offen
	buffer_load_dword v3, v5, s[0:3], 0 offen offset:4
	buffer_load_dword v4, v5, s[0:3], 0 offen offset:8
	s_nop 0
	buffer_load_dword v5, v5, s[0:3], 0 offen offset:12
	v_mov_b32_e32 v6, 0
	buffer_store_dword v6, off, s[0:3], 0 offset:320
	buffer_store_dword v6, off, s[0:3], 0 offset:324
	;; [unrolled: 1-line block ×4, first 2 shown]
	s_waitcnt vmcnt(4)
	ds_write_b128 v1, v[2:5]
.LBB96_173:
	s_or_b64 exec, exec, s[4:5]
	s_waitcnt lgkmcnt(0)
	; wave barrier
	s_waitcnt lgkmcnt(0)
	buffer_load_dword v2, off, s[0:3], 0 offset:336
	buffer_load_dword v3, off, s[0:3], 0 offset:340
	;; [unrolled: 1-line block ×56, first 2 shown]
	v_mov_b32_e32 v24, 0
	ds_read_b128 v[18:21], v24 offset:848
	ds_read_b128 v[26:29], v24 offset:864
	;; [unrolled: 1-line block ×9, first 2 shown]
	v_cmp_lt_u32_e32 vcc, 18, v0
	s_waitcnt vmcnt(52) lgkmcnt(8)
	v_mul_f64 v[54:55], v[18:19], v[6:7]
	v_fmac_f64_e32 v[54:55], v[20:21], v[2:3]
	v_mul_f64 v[6:7], v[20:21], v[6:7]
	v_add_f64 v[54:55], v[54:55], 0
	s_waitcnt vmcnt(48) lgkmcnt(7)
	v_mul_f64 v[56:57], v[26:27], v[8:9]
	v_fmac_f64_e32 v[56:57], v[28:29], v[4:5]
	s_waitcnt vmcnt(46) lgkmcnt(6)
	v_mul_f64 v[58:59], v[30:31], v[10:11]
	v_fma_f64 v[2:3], v[18:19], v[2:3], -v[6:7]
	v_mul_f64 v[6:7], v[28:29], v[8:9]
	v_add_f64 v[54:55], v[54:55], v[56:57]
	v_add_f64 v[2:3], v[2:3], 0
	v_fma_f64 v[4:5], v[26:27], v[4:5], -v[6:7]
	s_waitcnt vmcnt(40) lgkmcnt(5)
	v_mul_f64 v[60:61], v[34:35], v[16:17]
	s_waitcnt lgkmcnt(4)
	v_mul_f64 v[62:63], v[38:39], v[12:13]
	v_add_f64 v[2:3], v[2:3], v[4:5]
	v_mul_f64 v[4:5], v[32:33], v[10:11]
	s_waitcnt vmcnt(36) lgkmcnt(3)
	v_mul_f64 v[64:65], v[42:43], v[76:77]
	v_fmac_f64_e32 v[62:63], v[40:41], v[14:15]
	s_waitcnt vmcnt(35) lgkmcnt(2)
	v_mul_f64 v[66:67], v[46:47], v[22:23]
	s_waitcnt vmcnt(33)
	v_fmac_f64_e32 v[58:59], v[32:33], v[78:79]
	v_add_f64 v[54:55], v[54:55], v[58:59]
	s_waitcnt vmcnt(31)
	v_fmac_f64_e32 v[60:61], v[36:37], v[80:81]
	v_add_f64 v[54:55], v[54:55], v[60:61]
	v_fma_f64 v[4:5], v[30:31], v[78:79], -v[4:5]
	s_waitcnt vmcnt(29)
	v_fmac_f64_e32 v[64:65], v[44:45], v[82:83]
	v_add_f64 v[54:55], v[54:55], v[62:63]
	v_add_f64 v[2:3], v[2:3], v[4:5]
	v_mul_f64 v[4:5], v[36:37], v[16:17]
	s_waitcnt vmcnt(28)
	v_fmac_f64_e32 v[66:67], v[48:49], v[74:75]
	v_add_f64 v[54:55], v[54:55], v[64:65]
	v_fma_f64 v[4:5], v[34:35], v[80:81], -v[4:5]
	v_add_f64 v[58:59], v[54:55], v[66:67]
	ds_read_b128 v[54:57], v24 offset:976
	s_waitcnt vmcnt(24) lgkmcnt(2)
	v_mul_f64 v[60:61], v[50:51], v[88:89]
	v_add_f64 v[2:3], v[2:3], v[4:5]
	v_mul_f64 v[4:5], v[40:41], v[12:13]
	s_waitcnt vmcnt(22)
	v_fmac_f64_e32 v[60:61], v[52:53], v[90:91]
	v_fma_f64 v[4:5], v[38:39], v[14:15], -v[4:5]
	v_add_f64 v[62:63], v[58:59], v[60:61]
	ds_read_b128 v[58:61], v24 offset:992
	v_add_f64 v[2:3], v[2:3], v[4:5]
	v_mul_f64 v[4:5], v[44:45], v[76:77]
	v_fma_f64 v[4:5], v[42:43], v[82:83], -v[4:5]
	v_add_f64 v[2:3], v[2:3], v[4:5]
	v_mul_f64 v[4:5], v[48:49], v[22:23]
	s_waitcnt vmcnt(20) lgkmcnt(1)
	v_mul_f64 v[64:65], v[54:55], v[84:85]
	v_fma_f64 v[4:5], v[46:47], v[74:75], -v[4:5]
	v_fmac_f64_e32 v[64:65], v[56:57], v[86:87]
	v_add_f64 v[2:3], v[2:3], v[4:5]
	v_mul_f64 v[4:5], v[52:53], v[88:89]
	v_add_f64 v[66:67], v[62:63], v[64:65]
	ds_read_b128 v[62:65], v24 offset:1008
	s_waitcnt vmcnt(16) lgkmcnt(1)
	v_mul_f64 v[68:69], v[58:59], v[96:97]
	v_fma_f64 v[4:5], v[50:51], v[90:91], -v[4:5]
	s_waitcnt vmcnt(14)
	v_fmac_f64_e32 v[68:69], v[60:61], v[98:99]
	v_add_f64 v[2:3], v[2:3], v[4:5]
	v_mul_f64 v[4:5], v[56:57], v[84:85]
	v_add_f64 v[112:113], v[66:67], v[68:69]
	ds_read_b128 v[66:69], v24 offset:1024
	v_fma_f64 v[4:5], v[54:55], v[86:87], -v[4:5]
	v_add_f64 v[2:3], v[2:3], v[4:5]
	v_mul_f64 v[4:5], v[60:61], v[96:97]
	v_fma_f64 v[4:5], v[58:59], v[98:99], -v[4:5]
	v_add_f64 v[2:3], v[2:3], v[4:5]
	s_waitcnt vmcnt(12) lgkmcnt(1)
	v_mul_f64 v[4:5], v[64:65], v[92:93]
	v_mul_f64 v[114:115], v[62:63], v[92:93]
	v_fma_f64 v[4:5], v[62:63], v[94:95], -v[4:5]
	v_fmac_f64_e32 v[114:115], v[64:65], v[94:95]
	v_add_f64 v[2:3], v[2:3], v[4:5]
	s_waitcnt vmcnt(8) lgkmcnt(0)
	v_mul_f64 v[4:5], v[68:69], v[104:105]
	v_add_f64 v[112:113], v[112:113], v[114:115]
	v_mul_f64 v[114:115], v[66:67], v[104:105]
	s_waitcnt vmcnt(6)
	v_fma_f64 v[4:5], v[66:67], v[106:107], -v[4:5]
	v_fmac_f64_e32 v[114:115], v[68:69], v[106:107]
	v_add_f64 v[2:3], v[2:3], v[4:5]
	s_waitcnt vmcnt(5)
	v_mul_f64 v[4:5], v[72:73], v[100:101]
	v_add_f64 v[112:113], v[112:113], v[114:115]
	v_mul_f64 v[114:115], v[70:71], v[100:101]
	s_waitcnt vmcnt(4)
	v_fma_f64 v[4:5], v[70:71], v[102:103], -v[4:5]
	v_fmac_f64_e32 v[114:115], v[72:73], v[102:103]
	v_add_f64 v[2:3], v[2:3], v[4:5]
	v_add_f64 v[112:113], v[112:113], v[114:115]
	s_waitcnt vmcnt(2)
	v_add_f64 v[2:3], v[108:109], -v[2:3]
	s_waitcnt vmcnt(0)
	v_add_f64 v[4:5], v[110:111], -v[112:113]
	buffer_store_dword v3, off, s[0:3], 0 offset:324
	buffer_store_dword v2, off, s[0:3], 0 offset:320
	;; [unrolled: 1-line block ×4, first 2 shown]
	s_and_saveexec_b64 s[4:5], vcc
	s_cbranch_execz .LBB96_175
; %bb.174:
	v_accvgpr_read_b32 v5, a74
	buffer_load_dword v2, v5, s[0:3], 0 offen
	buffer_load_dword v3, v5, s[0:3], 0 offen offset:4
	buffer_load_dword v4, v5, s[0:3], 0 offen offset:8
	s_nop 0
	buffer_load_dword v5, v5, s[0:3], 0 offen offset:12
	s_nop 0
	buffer_store_dword v24, off, s[0:3], 0 offset:304
	buffer_store_dword v24, off, s[0:3], 0 offset:308
	buffer_store_dword v24, off, s[0:3], 0 offset:312
	buffer_store_dword v24, off, s[0:3], 0 offset:316
	s_waitcnt vmcnt(4)
	ds_write_b128 v1, v[2:5]
.LBB96_175:
	s_or_b64 exec, exec, s[4:5]
	s_waitcnt lgkmcnt(0)
	; wave barrier
	s_waitcnt lgkmcnt(0)
	buffer_load_dword v2, off, s[0:3], 0 offset:320
	buffer_load_dword v3, off, s[0:3], 0 offset:324
	;; [unrolled: 1-line block ×60, first 2 shown]
	ds_read_b128 v[26:29], v24 offset:832
	ds_read_b128 v[30:33], v24 offset:848
	;; [unrolled: 1-line block ×8, first 2 shown]
	v_cmp_lt_u32_e32 vcc, 17, v0
	ds_read_b128 v[78:81], v24 offset:1040
	s_waitcnt vmcnt(56) lgkmcnt(8)
	v_mul_f64 v[58:59], v[26:27], v[6:7]
	v_fmac_f64_e32 v[58:59], v[28:29], v[2:3]
	v_add_f64 v[58:59], v[58:59], 0
	v_mul_f64 v[6:7], v[28:29], v[6:7]
	s_waitcnt vmcnt(52) lgkmcnt(7)
	v_mul_f64 v[60:61], v[30:31], v[8:9]
	v_fmac_f64_e32 v[60:61], v[32:33], v[4:5]
	s_waitcnt vmcnt(50) lgkmcnt(6)
	v_mul_f64 v[62:63], v[34:35], v[10:11]
	v_add_f64 v[58:59], v[58:59], v[60:61]
	s_waitcnt vmcnt(48) lgkmcnt(4)
	v_mul_f64 v[66:67], v[42:43], v[12:13]
	v_fma_f64 v[2:3], v[26:27], v[2:3], -v[6:7]
	s_waitcnt vmcnt(46)
	v_fmac_f64_e32 v[66:67], v[44:45], v[14:15]
	v_mul_f64 v[6:7], v[32:33], v[8:9]
	s_waitcnt vmcnt(44)
	v_mul_f64 v[64:65], v[38:39], v[16:17]
	v_add_f64 v[2:3], v[2:3], 0
	v_fma_f64 v[4:5], v[30:31], v[4:5], -v[6:7]
	v_add_f64 v[2:3], v[2:3], v[4:5]
	s_waitcnt vmcnt(40) lgkmcnt(3)
	v_mul_f64 v[68:69], v[46:47], v[22:23]
	v_mul_f64 v[4:5], v[36:37], v[10:11]
	s_waitcnt vmcnt(38)
	v_fmac_f64_e32 v[62:63], v[36:37], v[82:83]
	v_add_f64 v[58:59], v[58:59], v[62:63]
	s_waitcnt vmcnt(36)
	v_fmac_f64_e32 v[64:65], v[40:41], v[84:85]
	v_add_f64 v[58:59], v[58:59], v[64:65]
	;; [unrolled: 3-line block ×3, first 2 shown]
	s_waitcnt vmcnt(32) lgkmcnt(2)
	v_mul_f64 v[60:61], v[50:51], v[18:19]
	v_add_f64 v[58:59], v[58:59], v[68:69]
	v_fmac_f64_e32 v[60:61], v[52:53], v[20:21]
	v_add_f64 v[62:63], v[58:59], v[60:61]
	ds_read_b128 v[58:61], v24 offset:960
	v_fma_f64 v[4:5], v[34:35], v[82:83], -v[4:5]
	v_add_f64 v[2:3], v[2:3], v[4:5]
	v_mul_f64 v[4:5], v[40:41], v[16:17]
	v_fma_f64 v[4:5], v[38:39], v[84:85], -v[4:5]
	s_waitcnt vmcnt(28) lgkmcnt(2)
	v_mul_f64 v[64:65], v[54:55], v[92:93]
	v_add_f64 v[2:3], v[2:3], v[4:5]
	v_mul_f64 v[4:5], v[44:45], v[12:13]
	s_waitcnt vmcnt(26)
	v_fmac_f64_e32 v[64:65], v[56:57], v[94:95]
	v_fma_f64 v[4:5], v[42:43], v[14:15], -v[4:5]
	v_add_f64 v[66:67], v[62:63], v[64:65]
	ds_read_b128 v[62:65], v24 offset:976
	s_waitcnt vmcnt(24) lgkmcnt(1)
	v_mul_f64 v[68:69], v[58:59], v[88:89]
	v_add_f64 v[2:3], v[2:3], v[4:5]
	v_mul_f64 v[4:5], v[48:49], v[22:23]
	v_fmac_f64_e32 v[68:69], v[60:61], v[90:91]
	v_fma_f64 v[4:5], v[46:47], v[86:87], -v[4:5]
	v_add_f64 v[70:71], v[66:67], v[68:69]
	ds_read_b128 v[66:69], v24 offset:992
	v_add_f64 v[2:3], v[2:3], v[4:5]
	v_mul_f64 v[4:5], v[52:53], v[18:19]
	v_fma_f64 v[4:5], v[50:51], v[20:21], -v[4:5]
	v_add_f64 v[2:3], v[2:3], v[4:5]
	v_mul_f64 v[4:5], v[56:57], v[92:93]
	s_waitcnt vmcnt(20) lgkmcnt(1)
	v_mul_f64 v[72:73], v[62:63], v[100:101]
	v_fma_f64 v[4:5], v[54:55], v[94:95], -v[4:5]
	s_waitcnt vmcnt(18)
	v_fmac_f64_e32 v[72:73], v[64:65], v[102:103]
	v_add_f64 v[2:3], v[2:3], v[4:5]
	v_mul_f64 v[4:5], v[60:61], v[88:89]
	v_add_f64 v[74:75], v[70:71], v[72:73]
	ds_read_b128 v[70:73], v24 offset:1008
	s_waitcnt vmcnt(16) lgkmcnt(1)
	v_mul_f64 v[76:77], v[66:67], v[96:97]
	v_fma_f64 v[4:5], v[58:59], v[90:91], -v[4:5]
	v_fmac_f64_e32 v[76:77], v[68:69], v[98:99]
	v_add_f64 v[2:3], v[2:3], v[4:5]
	v_mul_f64 v[4:5], v[64:65], v[100:101]
	v_add_f64 v[122:123], v[74:75], v[76:77]
	ds_read_b128 v[74:77], v24 offset:1024
	v_fma_f64 v[4:5], v[62:63], v[102:103], -v[4:5]
	v_add_f64 v[2:3], v[2:3], v[4:5]
	v_mul_f64 v[4:5], v[68:69], v[96:97]
	v_fma_f64 v[4:5], v[66:67], v[98:99], -v[4:5]
	v_add_f64 v[2:3], v[2:3], v[4:5]
	s_waitcnt vmcnt(12) lgkmcnt(1)
	v_mul_f64 v[4:5], v[72:73], v[108:109]
	v_mul_f64 v[124:125], v[70:71], v[108:109]
	s_waitcnt vmcnt(10)
	v_fma_f64 v[4:5], v[70:71], v[110:111], -v[4:5]
	v_fmac_f64_e32 v[124:125], v[72:73], v[110:111]
	v_add_f64 v[2:3], v[2:3], v[4:5]
	s_waitcnt vmcnt(8) lgkmcnt(0)
	v_mul_f64 v[4:5], v[76:77], v[104:105]
	v_add_f64 v[24:25], v[122:123], v[124:125]
	v_mul_f64 v[122:123], v[74:75], v[104:105]
	v_fma_f64 v[4:5], v[74:75], v[106:107], -v[4:5]
	v_fmac_f64_e32 v[122:123], v[76:77], v[106:107]
	v_add_f64 v[2:3], v[2:3], v[4:5]
	s_waitcnt vmcnt(6)
	v_mul_f64 v[4:5], v[80:81], v[112:113]
	v_add_f64 v[24:25], v[24:25], v[122:123]
	v_mul_f64 v[122:123], v[78:79], v[112:113]
	s_waitcnt vmcnt(4)
	v_fma_f64 v[4:5], v[78:79], v[114:115], -v[4:5]
	v_fmac_f64_e32 v[122:123], v[80:81], v[114:115]
	v_add_f64 v[2:3], v[2:3], v[4:5]
	v_add_f64 v[24:25], v[24:25], v[122:123]
	s_waitcnt vmcnt(2)
	v_add_f64 v[2:3], v[116:117], -v[2:3]
	s_waitcnt vmcnt(0)
	v_add_f64 v[4:5], v[120:121], -v[24:25]
	buffer_store_dword v3, off, s[0:3], 0 offset:308
	buffer_store_dword v2, off, s[0:3], 0 offset:304
	;; [unrolled: 1-line block ×4, first 2 shown]
	s_and_saveexec_b64 s[4:5], vcc
	s_cbranch_execz .LBB96_177
; %bb.176:
	v_accvgpr_read_b32 v5, a75
	buffer_load_dword v2, v5, s[0:3], 0 offen
	buffer_load_dword v3, v5, s[0:3], 0 offen offset:4
	buffer_load_dword v4, v5, s[0:3], 0 offen offset:8
	s_nop 0
	buffer_load_dword v5, v5, s[0:3], 0 offen offset:12
	v_mov_b32_e32 v6, 0
	buffer_store_dword v6, off, s[0:3], 0 offset:288
	buffer_store_dword v6, off, s[0:3], 0 offset:292
	;; [unrolled: 1-line block ×4, first 2 shown]
	s_waitcnt vmcnt(4)
	ds_write_b128 v1, v[2:5]
.LBB96_177:
	s_or_b64 exec, exec, s[4:5]
	s_waitcnt lgkmcnt(0)
	; wave barrier
	s_waitcnt lgkmcnt(0)
	buffer_load_dword v2, off, s[0:3], 0 offset:304
	buffer_load_dword v3, off, s[0:3], 0 offset:308
	;; [unrolled: 1-line block ×64, first 2 shown]
	v_mov_b32_e32 v38, 0
	ds_read_b128 v[30:33], v38 offset:816
	ds_read_b128 v[34:37], v38 offset:832
	;; [unrolled: 1-line block ×7, first 2 shown]
	v_cmp_lt_u32_e32 vcc, 16, v0
	s_waitcnt vmcnt(60) lgkmcnt(6)
	v_mul_f64 v[56:57], v[30:31], v[6:7]
	v_fmac_f64_e32 v[56:57], v[32:33], v[2:3]
	v_add_f64 v[56:57], v[56:57], 0
	v_mul_f64 v[6:7], v[32:33], v[6:7]
	s_waitcnt vmcnt(56) lgkmcnt(5)
	v_mul_f64 v[58:59], v[34:35], v[8:9]
	v_fmac_f64_e32 v[58:59], v[36:37], v[4:5]
	s_waitcnt vmcnt(54) lgkmcnt(4)
	v_mul_f64 v[60:61], v[40:41], v[10:11]
	v_add_f64 v[56:57], v[56:57], v[58:59]
	v_fma_f64 v[2:3], v[30:31], v[2:3], -v[6:7]
	v_mul_f64 v[6:7], v[36:37], v[8:9]
	s_waitcnt vmcnt(50) lgkmcnt(3)
	v_mul_f64 v[62:63], v[44:45], v[16:17]
	s_waitcnt vmcnt(49) lgkmcnt(2)
	v_mul_f64 v[64:65], v[48:49], v[12:13]
	v_add_f64 v[2:3], v[2:3], 0
	s_waitcnt vmcnt(47)
	v_fmac_f64_e32 v[60:61], v[42:43], v[20:21]
	v_add_f64 v[56:57], v[56:57], v[60:61]
	s_waitcnt vmcnt(45)
	v_fmac_f64_e32 v[62:63], v[46:47], v[18:19]
	;; [unrolled: 3-line block ×3, first 2 shown]
	v_add_f64 v[60:61], v[56:57], v[64:65]
	ds_read_b128 v[56:59], v38 offset:912
	s_waitcnt vmcnt(40) lgkmcnt(2)
	v_mul_f64 v[62:63], v[52:53], v[26:27]
	v_fma_f64 v[4:5], v[34:35], v[4:5], -v[6:7]
	s_waitcnt vmcnt(38)
	v_fmac_f64_e32 v[62:63], v[54:55], v[28:29]
	v_add_f64 v[64:65], v[60:61], v[62:63]
	ds_read_b128 v[60:63], v38 offset:928
	s_waitcnt vmcnt(36) lgkmcnt(1)
	v_mul_f64 v[66:67], v[56:57], v[22:23]
	v_fmac_f64_e32 v[66:67], v[58:59], v[24:25]
	v_add_f64 v[2:3], v[2:3], v[4:5]
	v_mul_f64 v[4:5], v[42:43], v[10:11]
	v_add_f64 v[68:69], v[64:65], v[66:67]
	ds_read_b128 v[64:67], v38 offset:944
	s_waitcnt vmcnt(32) lgkmcnt(1)
	v_mul_f64 v[70:71], v[60:61], v[96:97]
	v_fma_f64 v[4:5], v[40:41], v[20:21], -v[4:5]
	s_waitcnt vmcnt(30)
	v_fmac_f64_e32 v[70:71], v[62:63], v[98:99]
	v_add_f64 v[2:3], v[2:3], v[4:5]
	v_mul_f64 v[4:5], v[46:47], v[16:17]
	v_add_f64 v[72:73], v[68:69], v[70:71]
	ds_read_b128 v[68:71], v38 offset:960
	v_fma_f64 v[4:5], v[44:45], v[18:19], -v[4:5]
	v_add_f64 v[2:3], v[2:3], v[4:5]
	v_mul_f64 v[4:5], v[50:51], v[12:13]
	v_fma_f64 v[4:5], v[48:49], v[14:15], -v[4:5]
	s_waitcnt vmcnt(28) lgkmcnt(1)
	v_mul_f64 v[74:75], v[64:65], v[92:93]
	v_add_f64 v[2:3], v[2:3], v[4:5]
	v_mul_f64 v[4:5], v[54:55], v[26:27]
	v_fmac_f64_e32 v[74:75], v[66:67], v[94:95]
	v_fma_f64 v[4:5], v[52:53], v[28:29], -v[4:5]
	v_add_f64 v[76:77], v[72:73], v[74:75]
	ds_read_b128 v[72:75], v38 offset:976
	s_waitcnt vmcnt(24) lgkmcnt(1)
	v_mul_f64 v[78:79], v[68:69], v[104:105]
	v_add_f64 v[2:3], v[2:3], v[4:5]
	v_mul_f64 v[4:5], v[58:59], v[22:23]
	s_waitcnt vmcnt(22)
	v_fmac_f64_e32 v[78:79], v[70:71], v[106:107]
	v_fma_f64 v[4:5], v[56:57], v[24:25], -v[4:5]
	v_add_f64 v[80:81], v[76:77], v[78:79]
	ds_read_b128 v[76:79], v38 offset:992
	v_add_f64 v[2:3], v[2:3], v[4:5]
	v_mul_f64 v[4:5], v[62:63], v[96:97]
	v_fma_f64 v[4:5], v[60:61], v[98:99], -v[4:5]
	v_add_f64 v[2:3], v[2:3], v[4:5]
	v_mul_f64 v[4:5], v[66:67], v[92:93]
	s_waitcnt vmcnt(20) lgkmcnt(1)
	v_mul_f64 v[82:83], v[72:73], v[100:101]
	v_fma_f64 v[4:5], v[64:65], v[94:95], -v[4:5]
	v_fmac_f64_e32 v[82:83], v[74:75], v[102:103]
	v_add_f64 v[2:3], v[2:3], v[4:5]
	v_mul_f64 v[4:5], v[70:71], v[104:105]
	v_add_f64 v[84:85], v[80:81], v[82:83]
	ds_read_b128 v[80:83], v38 offset:1008
	s_waitcnt vmcnt(16) lgkmcnt(1)
	v_mul_f64 v[86:87], v[76:77], v[112:113]
	v_fma_f64 v[4:5], v[68:69], v[106:107], -v[4:5]
	s_waitcnt vmcnt(14)
	v_fmac_f64_e32 v[86:87], v[78:79], v[114:115]
	v_add_f64 v[2:3], v[2:3], v[4:5]
	v_mul_f64 v[4:5], v[74:75], v[100:101]
	v_add_f64 v[130:131], v[84:85], v[86:87]
	ds_read_b128 v[84:87], v38 offset:1024
	v_fma_f64 v[4:5], v[72:73], v[102:103], -v[4:5]
	v_add_f64 v[2:3], v[2:3], v[4:5]
	v_mul_f64 v[4:5], v[78:79], v[112:113]
	v_fma_f64 v[4:5], v[76:77], v[114:115], -v[4:5]
	v_add_f64 v[2:3], v[2:3], v[4:5]
	s_waitcnt vmcnt(12) lgkmcnt(1)
	v_mul_f64 v[4:5], v[82:83], v[108:109]
	v_mul_f64 v[132:133], v[80:81], v[108:109]
	v_fma_f64 v[4:5], v[80:81], v[110:111], -v[4:5]
	v_fmac_f64_e32 v[132:133], v[82:83], v[110:111]
	v_add_f64 v[2:3], v[2:3], v[4:5]
	s_waitcnt vmcnt(8) lgkmcnt(0)
	v_mul_f64 v[4:5], v[86:87], v[122:123]
	v_add_f64 v[130:131], v[130:131], v[132:133]
	v_mul_f64 v[132:133], v[84:85], v[122:123]
	s_waitcnt vmcnt(6)
	v_fma_f64 v[4:5], v[84:85], v[124:125], -v[4:5]
	v_fmac_f64_e32 v[132:133], v[86:87], v[124:125]
	v_add_f64 v[2:3], v[2:3], v[4:5]
	s_waitcnt vmcnt(5)
	v_mul_f64 v[4:5], v[90:91], v[116:117]
	v_add_f64 v[130:131], v[130:131], v[132:133]
	v_mul_f64 v[132:133], v[88:89], v[116:117]
	s_waitcnt vmcnt(4)
	v_fma_f64 v[4:5], v[88:89], v[120:121], -v[4:5]
	v_fmac_f64_e32 v[132:133], v[90:91], v[120:121]
	v_add_f64 v[2:3], v[2:3], v[4:5]
	v_add_f64 v[130:131], v[130:131], v[132:133]
	s_waitcnt vmcnt(2)
	v_add_f64 v[2:3], v[126:127], -v[2:3]
	s_waitcnt vmcnt(0)
	v_add_f64 v[4:5], v[128:129], -v[130:131]
	buffer_store_dword v3, off, s[0:3], 0 offset:292
	buffer_store_dword v2, off, s[0:3], 0 offset:288
	;; [unrolled: 1-line block ×4, first 2 shown]
	s_and_saveexec_b64 s[4:5], vcc
	s_cbranch_execz .LBB96_179
; %bb.178:
	v_accvgpr_read_b32 v5, a76
	buffer_load_dword v2, v5, s[0:3], 0 offen
	buffer_load_dword v3, v5, s[0:3], 0 offen offset:4
	buffer_load_dword v4, v5, s[0:3], 0 offen offset:8
	s_nop 0
	buffer_load_dword v5, v5, s[0:3], 0 offen offset:12
	s_nop 0
	buffer_store_dword v38, off, s[0:3], 0 offset:272
	buffer_store_dword v38, off, s[0:3], 0 offset:276
	;; [unrolled: 1-line block ×4, first 2 shown]
	s_waitcnt vmcnt(4)
	ds_write_b128 v1, v[2:5]
.LBB96_179:
	s_or_b64 exec, exec, s[4:5]
	s_waitcnt lgkmcnt(0)
	; wave barrier
	s_waitcnt lgkmcnt(0)
	buffer_load_dword v2, off, s[0:3], 0 offset:288
	buffer_load_dword v3, off, s[0:3], 0 offset:292
	;; [unrolled: 1-line block ×64, first 2 shown]
	ds_read_b128 v[40:43], v38 offset:800
	ds_read_b128 v[44:47], v38 offset:816
	;; [unrolled: 1-line block ×4, first 2 shown]
	buffer_load_dword v134, off, s[0:3], 0 offset:272
	buffer_load_dword v135, off, s[0:3], 0 offset:276
	buffer_load_dword v136, off, s[0:3], 0 offset:280
	buffer_load_dword v137, off, s[0:3], 0 offset:284
	v_cmp_lt_u32_e32 vcc, 15, v0
	ds_read_b128 v[100:103], v38 offset:1040
	s_waitcnt vmcnt(62) lgkmcnt(4)
	v_mul_f64 v[56:57], v[40:41], v[4:5]
	v_fmac_f64_e32 v[56:57], v[42:43], v[2:3]
	s_waitcnt lgkmcnt(3)
	v_mul_f64 v[58:59], v[44:45], v[6:7]
	v_add_f64 v[56:57], v[56:57], 0
	s_waitcnt vmcnt(60) lgkmcnt(2)
	v_mul_f64 v[60:61], v[48:49], v[8:9]
	v_mul_f64 v[4:5], v[42:43], v[4:5]
	v_fma_f64 v[2:3], v[40:41], v[2:3], -v[4:5]
	v_mul_f64 v[4:5], v[46:47], v[6:7]
	s_waitcnt vmcnt(56) lgkmcnt(1)
	v_mul_f64 v[62:63], v[52:53], v[14:15]
	v_add_f64 v[2:3], v[2:3], 0
	s_waitcnt vmcnt(54)
	v_fmac_f64_e32 v[58:59], v[46:47], v[20:21]
	v_add_f64 v[64:65], v[56:57], v[58:59]
	ds_read_b128 v[56:59], v38 offset:864
	s_waitcnt vmcnt(52)
	v_fmac_f64_e32 v[60:61], v[50:51], v[18:19]
	v_add_f64 v[60:61], v[64:65], v[60:61]
	s_waitcnt vmcnt(50)
	v_fmac_f64_e32 v[62:63], v[54:55], v[16:17]
	v_add_f64 v[64:65], v[60:61], v[62:63]
	ds_read_b128 v[60:63], v38 offset:880
	s_waitcnt vmcnt(48) lgkmcnt(1)
	v_mul_f64 v[66:67], v[56:57], v[10:11]
	v_fmac_f64_e32 v[66:67], v[58:59], v[12:13]
	v_add_f64 v[68:69], v[64:65], v[66:67]
	ds_read_b128 v[64:67], v38 offset:896
	s_waitcnt vmcnt(44) lgkmcnt(1)
	v_mul_f64 v[70:71], v[60:61], v[26:27]
	s_waitcnt vmcnt(42)
	v_fmac_f64_e32 v[70:71], v[62:63], v[28:29]
	v_add_f64 v[72:73], v[68:69], v[70:71]
	ds_read_b128 v[68:71], v38 offset:912
	s_waitcnt vmcnt(40) lgkmcnt(1)
	v_mul_f64 v[74:75], v[64:65], v[22:23]
	v_fmac_f64_e32 v[74:75], v[66:67], v[24:25]
	v_add_f64 v[76:77], v[72:73], v[74:75]
	ds_read_b128 v[72:75], v38 offset:928
	v_fma_f64 v[4:5], v[44:45], v[20:21], -v[4:5]
	v_add_f64 v[2:3], v[2:3], v[4:5]
	v_mul_f64 v[4:5], v[50:51], v[8:9]
	s_waitcnt vmcnt(36) lgkmcnt(1)
	v_mul_f64 v[78:79], v[68:69], v[34:35]
	v_fma_f64 v[4:5], v[48:49], v[18:19], -v[4:5]
	s_waitcnt vmcnt(34)
	v_fmac_f64_e32 v[78:79], v[70:71], v[36:37]
	v_add_f64 v[2:3], v[2:3], v[4:5]
	v_mul_f64 v[4:5], v[54:55], v[14:15]
	v_add_f64 v[80:81], v[76:77], v[78:79]
	ds_read_b128 v[76:79], v38 offset:944
	s_waitcnt vmcnt(32) lgkmcnt(1)
	v_mul_f64 v[82:83], v[72:73], v[30:31]
	v_fma_f64 v[4:5], v[52:53], v[16:17], -v[4:5]
	v_fmac_f64_e32 v[82:83], v[74:75], v[32:33]
	v_add_f64 v[2:3], v[2:3], v[4:5]
	v_mul_f64 v[4:5], v[58:59], v[10:11]
	v_add_f64 v[84:85], v[80:81], v[82:83]
	ds_read_b128 v[80:83], v38 offset:960
	v_fma_f64 v[4:5], v[56:57], v[12:13], -v[4:5]
	v_add_f64 v[2:3], v[2:3], v[4:5]
	v_mul_f64 v[4:5], v[62:63], v[26:27]
	v_fma_f64 v[4:5], v[60:61], v[28:29], -v[4:5]
	s_waitcnt vmcnt(28) lgkmcnt(1)
	v_mul_f64 v[86:87], v[76:77], v[108:109]
	v_add_f64 v[2:3], v[2:3], v[4:5]
	v_mul_f64 v[4:5], v[66:67], v[22:23]
	s_waitcnt vmcnt(26)
	v_fmac_f64_e32 v[86:87], v[78:79], v[110:111]
	v_fma_f64 v[4:5], v[64:65], v[24:25], -v[4:5]
	v_add_f64 v[88:89], v[84:85], v[86:87]
	ds_read_b128 v[84:87], v38 offset:976
	s_waitcnt vmcnt(24) lgkmcnt(1)
	v_mul_f64 v[90:91], v[80:81], v[104:105]
	v_add_f64 v[2:3], v[2:3], v[4:5]
	v_mul_f64 v[4:5], v[70:71], v[34:35]
	v_fmac_f64_e32 v[90:91], v[82:83], v[106:107]
	v_fma_f64 v[4:5], v[68:69], v[36:37], -v[4:5]
	v_add_f64 v[92:93], v[88:89], v[90:91]
	ds_read_b128 v[88:91], v38 offset:992
	v_add_f64 v[2:3], v[2:3], v[4:5]
	v_mul_f64 v[4:5], v[74:75], v[30:31]
	v_fma_f64 v[4:5], v[72:73], v[32:33], -v[4:5]
	v_add_f64 v[2:3], v[2:3], v[4:5]
	v_mul_f64 v[4:5], v[78:79], v[108:109]
	s_waitcnt vmcnt(20) lgkmcnt(1)
	v_mul_f64 v[94:95], v[84:85], v[116:117]
	v_fma_f64 v[4:5], v[76:77], v[110:111], -v[4:5]
	s_waitcnt vmcnt(18)
	v_fmac_f64_e32 v[94:95], v[86:87], v[120:121]
	v_add_f64 v[2:3], v[2:3], v[4:5]
	v_mul_f64 v[4:5], v[82:83], v[104:105]
	v_add_f64 v[96:97], v[92:93], v[94:95]
	ds_read_b128 v[92:95], v38 offset:1008
	s_waitcnt vmcnt(16) lgkmcnt(1)
	v_mul_f64 v[98:99], v[88:89], v[112:113]
	v_fma_f64 v[4:5], v[80:81], v[106:107], -v[4:5]
	v_fmac_f64_e32 v[98:99], v[90:91], v[114:115]
	v_add_f64 v[2:3], v[2:3], v[4:5]
	v_mul_f64 v[4:5], v[86:87], v[116:117]
	v_add_f64 v[138:139], v[96:97], v[98:99]
	ds_read_b128 v[96:99], v38 offset:1024
	v_fma_f64 v[4:5], v[84:85], v[120:121], -v[4:5]
	v_add_f64 v[2:3], v[2:3], v[4:5]
	v_mul_f64 v[4:5], v[90:91], v[112:113]
	v_fma_f64 v[4:5], v[88:89], v[114:115], -v[4:5]
	v_add_f64 v[2:3], v[2:3], v[4:5]
	s_waitcnt vmcnt(12) lgkmcnt(1)
	v_mul_f64 v[4:5], v[94:95], v[126:127]
	v_mul_f64 v[140:141], v[92:93], v[126:127]
	s_waitcnt vmcnt(10)
	v_fma_f64 v[4:5], v[92:93], v[128:129], -v[4:5]
	v_fmac_f64_e32 v[140:141], v[94:95], v[128:129]
	v_add_f64 v[2:3], v[2:3], v[4:5]
	s_waitcnt vmcnt(8) lgkmcnt(0)
	v_mul_f64 v[4:5], v[98:99], v[122:123]
	v_add_f64 v[38:39], v[138:139], v[140:141]
	v_mul_f64 v[138:139], v[96:97], v[122:123]
	v_fma_f64 v[4:5], v[96:97], v[124:125], -v[4:5]
	v_fmac_f64_e32 v[138:139], v[98:99], v[124:125]
	v_add_f64 v[2:3], v[2:3], v[4:5]
	s_waitcnt vmcnt(6)
	v_mul_f64 v[4:5], v[102:103], v[130:131]
	v_add_f64 v[38:39], v[38:39], v[138:139]
	v_mul_f64 v[138:139], v[100:101], v[130:131]
	s_waitcnt vmcnt(4)
	v_fma_f64 v[4:5], v[100:101], v[132:133], -v[4:5]
	v_fmac_f64_e32 v[138:139], v[102:103], v[132:133]
	v_add_f64 v[2:3], v[2:3], v[4:5]
	v_add_f64 v[38:39], v[38:39], v[138:139]
	s_waitcnt vmcnt(2)
	v_add_f64 v[2:3], v[134:135], -v[2:3]
	s_waitcnt vmcnt(0)
	v_add_f64 v[4:5], v[136:137], -v[38:39]
	buffer_store_dword v3, off, s[0:3], 0 offset:276
	buffer_store_dword v2, off, s[0:3], 0 offset:272
	;; [unrolled: 1-line block ×4, first 2 shown]
	s_and_saveexec_b64 s[4:5], vcc
	s_cbranch_execz .LBB96_181
; %bb.180:
	v_accvgpr_read_b32 v5, a77
	buffer_load_dword v2, v5, s[0:3], 0 offen
	buffer_load_dword v3, v5, s[0:3], 0 offen offset:4
	buffer_load_dword v4, v5, s[0:3], 0 offen offset:8
	s_nop 0
	buffer_load_dword v5, v5, s[0:3], 0 offen offset:12
	v_mov_b32_e32 v6, 0
	buffer_store_dword v6, off, s[0:3], 0 offset:256
	buffer_store_dword v6, off, s[0:3], 0 offset:260
	;; [unrolled: 1-line block ×4, first 2 shown]
	s_waitcnt vmcnt(4)
	ds_write_b128 v1, v[2:5]
.LBB96_181:
	s_or_b64 exec, exec, s[4:5]
	s_waitcnt lgkmcnt(0)
	; wave barrier
	s_waitcnt lgkmcnt(0)
	buffer_load_dword v2, off, s[0:3], 0 offset:272
	buffer_load_dword v3, off, s[0:3], 0 offset:276
	;; [unrolled: 1-line block ×68, first 2 shown]
	v_mov_b32_e32 v46, 0
	ds_read_b128 v[42:45], v46 offset:784
	ds_read_b128 v[48:51], v46 offset:800
	buffer_load_dword v142, off, s[0:3], 0 offset:256
	buffer_load_dword v143, off, s[0:3], 0 offset:260
	;; [unrolled: 1-line block ×4, first 2 shown]
	ds_read_b128 v[52:55], v46 offset:816
	ds_read_b128 v[56:59], v46 offset:832
	;; [unrolled: 1-line block ×3, first 2 shown]
	v_cmp_lt_u32_e32 vcc, 14, v0
	s_waitcnt vmcnt(62) lgkmcnt(4)
	v_mul_f64 v[60:61], v[42:43], v[8:9]
	v_fmac_f64_e32 v[60:61], v[44:45], v[2:3]
	v_add_f64 v[60:61], v[60:61], 0
	v_mul_f64 v[8:9], v[44:45], v[8:9]
	s_waitcnt lgkmcnt(3)
	v_mul_f64 v[62:63], v[48:49], v[10:11]
	v_fmac_f64_e32 v[62:63], v[50:51], v[4:5]
	v_add_f64 v[60:61], v[60:61], v[62:63]
	v_fma_f64 v[2:3], v[42:43], v[2:3], -v[8:9]
	s_waitcnt vmcnt(60) lgkmcnt(2)
	v_mul_f64 v[62:63], v[52:53], v[12:13]
	v_fmac_f64_e32 v[62:63], v[54:55], v[6:7]
	v_add_f64 v[64:65], v[60:61], v[62:63]
	ds_read_b128 v[60:63], v46 offset:848
	s_waitcnt vmcnt(56) lgkmcnt(2)
	v_mul_f64 v[66:67], v[56:57], v[18:19]
	v_mul_f64 v[8:9], v[50:51], v[10:11]
	s_waitcnt vmcnt(54)
	v_fmac_f64_e32 v[66:67], v[58:59], v[20:21]
	v_add_f64 v[68:69], v[64:65], v[66:67]
	ds_read_b128 v[64:67], v46 offset:864
	s_waitcnt vmcnt(52) lgkmcnt(1)
	v_mul_f64 v[70:71], v[60:61], v[14:15]
	v_fmac_f64_e32 v[70:71], v[62:63], v[16:17]
	v_add_f64 v[72:73], v[68:69], v[70:71]
	ds_read_b128 v[68:71], v46 offset:880
	s_waitcnt vmcnt(48) lgkmcnt(1)
	v_mul_f64 v[74:75], v[64:65], v[26:27]
	s_waitcnt vmcnt(46)
	v_fmac_f64_e32 v[74:75], v[66:67], v[28:29]
	v_add_f64 v[76:77], v[72:73], v[74:75]
	ds_read_b128 v[72:75], v46 offset:896
	s_waitcnt vmcnt(44) lgkmcnt(1)
	v_mul_f64 v[78:79], v[68:69], v[22:23]
	v_fmac_f64_e32 v[78:79], v[70:71], v[24:25]
	v_add_f64 v[80:81], v[76:77], v[78:79]
	ds_read_b128 v[76:79], v46 offset:912
	s_waitcnt vmcnt(40) lgkmcnt(1)
	v_mul_f64 v[82:83], v[72:73], v[34:35]
	s_waitcnt vmcnt(38)
	v_fmac_f64_e32 v[82:83], v[74:75], v[36:37]
	v_add_f64 v[2:3], v[2:3], 0
	v_fma_f64 v[4:5], v[48:49], v[4:5], -v[8:9]
	v_add_f64 v[84:85], v[80:81], v[82:83]
	ds_read_b128 v[80:83], v46 offset:928
	v_add_f64 v[2:3], v[2:3], v[4:5]
	v_mul_f64 v[4:5], v[54:55], v[12:13]
	v_fma_f64 v[4:5], v[52:53], v[6:7], -v[4:5]
	v_add_f64 v[2:3], v[2:3], v[4:5]
	v_mul_f64 v[4:5], v[58:59], v[18:19]
	s_waitcnt vmcnt(36) lgkmcnt(1)
	v_mul_f64 v[86:87], v[76:77], v[30:31]
	v_fma_f64 v[4:5], v[56:57], v[20:21], -v[4:5]
	v_fmac_f64_e32 v[86:87], v[78:79], v[32:33]
	v_add_f64 v[2:3], v[2:3], v[4:5]
	v_mul_f64 v[4:5], v[62:63], v[14:15]
	v_add_f64 v[88:89], v[84:85], v[86:87]
	ds_read_b128 v[84:87], v46 offset:944
	s_waitcnt vmcnt(32) lgkmcnt(1)
	v_mul_f64 v[90:91], v[80:81], v[112:113]
	v_fma_f64 v[4:5], v[60:61], v[16:17], -v[4:5]
	s_waitcnt vmcnt(30)
	v_fmac_f64_e32 v[90:91], v[82:83], v[114:115]
	v_add_f64 v[2:3], v[2:3], v[4:5]
	v_mul_f64 v[4:5], v[66:67], v[26:27]
	v_add_f64 v[92:93], v[88:89], v[90:91]
	ds_read_b128 v[88:91], v46 offset:960
	v_fma_f64 v[4:5], v[64:65], v[28:29], -v[4:5]
	v_add_f64 v[2:3], v[2:3], v[4:5]
	v_mul_f64 v[4:5], v[70:71], v[22:23]
	v_fma_f64 v[4:5], v[68:69], v[24:25], -v[4:5]
	s_waitcnt vmcnt(28) lgkmcnt(1)
	v_mul_f64 v[94:95], v[84:85], v[38:39]
	v_add_f64 v[2:3], v[2:3], v[4:5]
	v_mul_f64 v[4:5], v[74:75], v[34:35]
	v_fmac_f64_e32 v[94:95], v[86:87], v[40:41]
	v_fma_f64 v[4:5], v[72:73], v[36:37], -v[4:5]
	v_add_f64 v[96:97], v[92:93], v[94:95]
	ds_read_b128 v[92:95], v46 offset:976
	s_waitcnt vmcnt(24) lgkmcnt(1)
	v_mul_f64 v[98:99], v[88:89], v[122:123]
	v_add_f64 v[2:3], v[2:3], v[4:5]
	v_mul_f64 v[4:5], v[78:79], v[30:31]
	s_waitcnt vmcnt(22)
	v_fmac_f64_e32 v[98:99], v[90:91], v[124:125]
	v_fma_f64 v[4:5], v[76:77], v[32:33], -v[4:5]
	v_add_f64 v[100:101], v[96:97], v[98:99]
	ds_read_b128 v[96:99], v46 offset:992
	v_add_f64 v[2:3], v[2:3], v[4:5]
	v_mul_f64 v[4:5], v[82:83], v[112:113]
	v_fma_f64 v[4:5], v[80:81], v[114:115], -v[4:5]
	v_add_f64 v[2:3], v[2:3], v[4:5]
	v_mul_f64 v[4:5], v[86:87], v[38:39]
	s_waitcnt vmcnt(20) lgkmcnt(1)
	v_mul_f64 v[102:103], v[92:93], v[116:117]
	v_fma_f64 v[4:5], v[84:85], v[40:41], -v[4:5]
	v_fmac_f64_e32 v[102:103], v[94:95], v[120:121]
	v_add_f64 v[2:3], v[2:3], v[4:5]
	v_mul_f64 v[4:5], v[90:91], v[122:123]
	v_add_f64 v[104:105], v[100:101], v[102:103]
	ds_read_b128 v[100:103], v46 offset:1008
	s_waitcnt vmcnt(16) lgkmcnt(1)
	v_mul_f64 v[106:107], v[96:97], v[130:131]
	v_fma_f64 v[4:5], v[88:89], v[124:125], -v[4:5]
	s_waitcnt vmcnt(14)
	v_fmac_f64_e32 v[106:107], v[98:99], v[132:133]
	v_add_f64 v[2:3], v[2:3], v[4:5]
	v_mul_f64 v[4:5], v[94:95], v[116:117]
	v_add_f64 v[146:147], v[104:105], v[106:107]
	ds_read_b128 v[104:107], v46 offset:1024
	v_fma_f64 v[4:5], v[92:93], v[120:121], -v[4:5]
	v_add_f64 v[2:3], v[2:3], v[4:5]
	v_mul_f64 v[4:5], v[98:99], v[130:131]
	v_fma_f64 v[4:5], v[96:97], v[132:133], -v[4:5]
	v_add_f64 v[2:3], v[2:3], v[4:5]
	s_waitcnt vmcnt(12) lgkmcnt(1)
	v_mul_f64 v[4:5], v[102:103], v[126:127]
	v_mul_f64 v[148:149], v[100:101], v[126:127]
	v_fma_f64 v[4:5], v[100:101], v[128:129], -v[4:5]
	v_fmac_f64_e32 v[148:149], v[102:103], v[128:129]
	v_add_f64 v[2:3], v[2:3], v[4:5]
	s_waitcnt vmcnt(8) lgkmcnt(0)
	v_mul_f64 v[4:5], v[106:107], v[138:139]
	v_add_f64 v[146:147], v[146:147], v[148:149]
	v_mul_f64 v[148:149], v[104:105], v[138:139]
	s_waitcnt vmcnt(6)
	v_fma_f64 v[4:5], v[104:105], v[140:141], -v[4:5]
	v_fmac_f64_e32 v[148:149], v[106:107], v[140:141]
	v_add_f64 v[2:3], v[2:3], v[4:5]
	s_waitcnt vmcnt(5)
	v_mul_f64 v[4:5], v[110:111], v[134:135]
	v_add_f64 v[146:147], v[146:147], v[148:149]
	v_mul_f64 v[148:149], v[108:109], v[134:135]
	s_waitcnt vmcnt(4)
	v_fma_f64 v[4:5], v[108:109], v[136:137], -v[4:5]
	v_fmac_f64_e32 v[148:149], v[110:111], v[136:137]
	v_add_f64 v[2:3], v[2:3], v[4:5]
	v_add_f64 v[146:147], v[146:147], v[148:149]
	s_waitcnt vmcnt(2)
	v_add_f64 v[2:3], v[142:143], -v[2:3]
	s_waitcnt vmcnt(0)
	v_add_f64 v[4:5], v[144:145], -v[146:147]
	buffer_store_dword v3, off, s[0:3], 0 offset:260
	buffer_store_dword v2, off, s[0:3], 0 offset:256
	;; [unrolled: 1-line block ×4, first 2 shown]
	s_and_saveexec_b64 s[4:5], vcc
	s_cbranch_execz .LBB96_183
; %bb.182:
	v_accvgpr_read_b32 v5, a78
	buffer_load_dword v2, v5, s[0:3], 0 offen
	buffer_load_dword v3, v5, s[0:3], 0 offen offset:4
	buffer_load_dword v4, v5, s[0:3], 0 offen offset:8
	s_nop 0
	buffer_load_dword v5, v5, s[0:3], 0 offen offset:12
	s_nop 0
	buffer_store_dword v46, off, s[0:3], 0 offset:240
	buffer_store_dword v46, off, s[0:3], 0 offset:244
	;; [unrolled: 1-line block ×4, first 2 shown]
	s_waitcnt vmcnt(4)
	ds_write_b128 v1, v[2:5]
.LBB96_183:
	s_or_b64 exec, exec, s[4:5]
	s_waitcnt lgkmcnt(0)
	; wave barrier
	s_waitcnt lgkmcnt(0)
	buffer_load_dword v2, off, s[0:3], 0 offset:256
	buffer_load_dword v3, off, s[0:3], 0 offset:260
	;; [unrolled: 1-line block ×72, first 2 shown]
	ds_read_b128 v[48:51], v46 offset:768
	buffer_load_dword v150, off, s[0:3], 0 offset:240
	buffer_load_dword v151, off, s[0:3], 0 offset:244
	;; [unrolled: 1-line block ×4, first 2 shown]
	ds_read_b128 v[52:55], v46 offset:784
	ds_read_b128 v[56:59], v46 offset:800
	;; [unrolled: 1-line block ×3, first 2 shown]
	v_cmp_lt_u32_e32 vcc, 13, v0
	ds_read_b128 v[120:123], v46 offset:1040
	s_waitcnt vmcnt(62) lgkmcnt(4)
	v_mul_f64 v[64:65], v[48:49], v[8:9]
	v_fmac_f64_e32 v[64:65], v[50:51], v[2:3]
	v_add_f64 v[64:65], v[64:65], 0
	v_mul_f64 v[8:9], v[50:51], v[8:9]
	s_waitcnt lgkmcnt(3)
	v_mul_f64 v[66:67], v[52:53], v[10:11]
	v_fmac_f64_e32 v[66:67], v[54:55], v[4:5]
	v_add_f64 v[64:65], v[64:65], v[66:67]
	v_fma_f64 v[2:3], v[48:49], v[2:3], -v[8:9]
	s_waitcnt lgkmcnt(2)
	v_mul_f64 v[66:67], v[56:57], v[12:13]
	v_fmac_f64_e32 v[66:67], v[58:59], v[6:7]
	v_add_f64 v[68:69], v[64:65], v[66:67]
	ds_read_b128 v[64:67], v46 offset:832
	s_waitcnt vmcnt(60) lgkmcnt(2)
	v_mul_f64 v[70:71], v[60:61], v[18:19]
	v_mul_f64 v[8:9], v[54:55], v[10:11]
	s_waitcnt vmcnt(58)
	v_fmac_f64_e32 v[70:71], v[62:63], v[20:21]
	v_add_f64 v[72:73], v[68:69], v[70:71]
	ds_read_b128 v[68:71], v46 offset:848
	s_waitcnt vmcnt(56) lgkmcnt(1)
	v_mul_f64 v[74:75], v[64:65], v[14:15]
	v_fmac_f64_e32 v[74:75], v[66:67], v[16:17]
	v_add_f64 v[76:77], v[72:73], v[74:75]
	ds_read_b128 v[72:75], v46 offset:864
	s_waitcnt vmcnt(52) lgkmcnt(1)
	v_mul_f64 v[78:79], v[68:69], v[26:27]
	s_waitcnt vmcnt(50)
	v_fmac_f64_e32 v[78:79], v[70:71], v[28:29]
	v_add_f64 v[80:81], v[76:77], v[78:79]
	ds_read_b128 v[76:79], v46 offset:880
	s_waitcnt vmcnt(48) lgkmcnt(1)
	v_mul_f64 v[82:83], v[72:73], v[22:23]
	v_fmac_f64_e32 v[82:83], v[74:75], v[24:25]
	v_add_f64 v[84:85], v[80:81], v[82:83]
	ds_read_b128 v[80:83], v46 offset:896
	s_waitcnt vmcnt(44) lgkmcnt(1)
	v_mul_f64 v[86:87], v[76:77], v[34:35]
	s_waitcnt vmcnt(42)
	v_fmac_f64_e32 v[86:87], v[78:79], v[36:37]
	v_add_f64 v[2:3], v[2:3], 0
	v_fma_f64 v[4:5], v[52:53], v[4:5], -v[8:9]
	v_add_f64 v[88:89], v[84:85], v[86:87]
	ds_read_b128 v[84:87], v46 offset:912
	s_waitcnt vmcnt(40) lgkmcnt(1)
	v_mul_f64 v[90:91], v[80:81], v[30:31]
	v_add_f64 v[2:3], v[2:3], v[4:5]
	v_mul_f64 v[4:5], v[58:59], v[12:13]
	v_fmac_f64_e32 v[90:91], v[82:83], v[32:33]
	v_fma_f64 v[4:5], v[56:57], v[6:7], -v[4:5]
	v_add_f64 v[92:93], v[88:89], v[90:91]
	ds_read_b128 v[88:91], v46 offset:928
	v_add_f64 v[2:3], v[2:3], v[4:5]
	v_mul_f64 v[4:5], v[62:63], v[18:19]
	v_fma_f64 v[4:5], v[60:61], v[20:21], -v[4:5]
	v_add_f64 v[2:3], v[2:3], v[4:5]
	v_mul_f64 v[4:5], v[66:67], v[14:15]
	s_waitcnt vmcnt(36) lgkmcnt(1)
	v_mul_f64 v[94:95], v[84:85], v[42:43]
	v_fma_f64 v[4:5], v[64:65], v[16:17], -v[4:5]
	s_waitcnt vmcnt(34)
	v_fmac_f64_e32 v[94:95], v[86:87], v[44:45]
	v_add_f64 v[2:3], v[2:3], v[4:5]
	v_mul_f64 v[4:5], v[70:71], v[26:27]
	v_add_f64 v[96:97], v[92:93], v[94:95]
	ds_read_b128 v[92:95], v46 offset:944
	s_waitcnt vmcnt(32) lgkmcnt(1)
	v_mul_f64 v[98:99], v[88:89], v[38:39]
	v_fma_f64 v[4:5], v[68:69], v[28:29], -v[4:5]
	v_fmac_f64_e32 v[98:99], v[90:91], v[40:41]
	v_add_f64 v[2:3], v[2:3], v[4:5]
	v_mul_f64 v[4:5], v[74:75], v[22:23]
	v_add_f64 v[100:101], v[96:97], v[98:99]
	ds_read_b128 v[96:99], v46 offset:960
	v_fma_f64 v[4:5], v[72:73], v[24:25], -v[4:5]
	v_add_f64 v[2:3], v[2:3], v[4:5]
	v_mul_f64 v[4:5], v[78:79], v[34:35]
	v_fma_f64 v[4:5], v[76:77], v[36:37], -v[4:5]
	s_waitcnt vmcnt(28) lgkmcnt(1)
	v_mul_f64 v[102:103], v[92:93], v[126:127]
	v_add_f64 v[2:3], v[2:3], v[4:5]
	v_mul_f64 v[4:5], v[82:83], v[30:31]
	s_waitcnt vmcnt(26)
	v_fmac_f64_e32 v[102:103], v[94:95], v[128:129]
	v_fma_f64 v[4:5], v[80:81], v[32:33], -v[4:5]
	v_add_f64 v[104:105], v[100:101], v[102:103]
	ds_read_b128 v[100:103], v46 offset:976
	s_waitcnt vmcnt(24) lgkmcnt(1)
	v_mul_f64 v[106:107], v[96:97], v[116:117]
	v_add_f64 v[2:3], v[2:3], v[4:5]
	v_mul_f64 v[4:5], v[86:87], v[42:43]
	v_fmac_f64_e32 v[106:107], v[98:99], v[124:125]
	v_fma_f64 v[4:5], v[84:85], v[44:45], -v[4:5]
	v_add_f64 v[108:109], v[104:105], v[106:107]
	ds_read_b128 v[104:107], v46 offset:992
	v_add_f64 v[2:3], v[2:3], v[4:5]
	v_mul_f64 v[4:5], v[90:91], v[38:39]
	v_fma_f64 v[4:5], v[88:89], v[40:41], -v[4:5]
	v_add_f64 v[2:3], v[2:3], v[4:5]
	v_mul_f64 v[4:5], v[94:95], v[126:127]
	s_waitcnt vmcnt(20) lgkmcnt(1)
	v_mul_f64 v[110:111], v[100:101], v[134:135]
	v_fma_f64 v[4:5], v[92:93], v[128:129], -v[4:5]
	s_waitcnt vmcnt(18)
	v_fmac_f64_e32 v[110:111], v[102:103], v[136:137]
	v_add_f64 v[2:3], v[2:3], v[4:5]
	v_mul_f64 v[4:5], v[98:99], v[116:117]
	v_add_f64 v[112:113], v[108:109], v[110:111]
	ds_read_b128 v[108:111], v46 offset:1008
	s_waitcnt vmcnt(16) lgkmcnt(1)
	v_mul_f64 v[114:115], v[104:105], v[130:131]
	v_fma_f64 v[4:5], v[96:97], v[124:125], -v[4:5]
	v_fmac_f64_e32 v[114:115], v[106:107], v[132:133]
	v_add_f64 v[2:3], v[2:3], v[4:5]
	v_mul_f64 v[4:5], v[102:103], v[134:135]
	v_add_f64 v[154:155], v[112:113], v[114:115]
	ds_read_b128 v[112:115], v46 offset:1024
	v_fma_f64 v[4:5], v[100:101], v[136:137], -v[4:5]
	v_add_f64 v[2:3], v[2:3], v[4:5]
	v_mul_f64 v[4:5], v[106:107], v[130:131]
	v_fma_f64 v[4:5], v[104:105], v[132:133], -v[4:5]
	v_add_f64 v[2:3], v[2:3], v[4:5]
	s_waitcnt vmcnt(12) lgkmcnt(1)
	v_mul_f64 v[4:5], v[110:111], v[142:143]
	v_mul_f64 v[156:157], v[108:109], v[142:143]
	s_waitcnt vmcnt(10)
	v_fma_f64 v[4:5], v[108:109], v[144:145], -v[4:5]
	v_fmac_f64_e32 v[156:157], v[110:111], v[144:145]
	v_add_f64 v[2:3], v[2:3], v[4:5]
	s_waitcnt vmcnt(8) lgkmcnt(0)
	v_mul_f64 v[4:5], v[114:115], v[138:139]
	v_add_f64 v[46:47], v[154:155], v[156:157]
	v_mul_f64 v[154:155], v[112:113], v[138:139]
	v_fma_f64 v[4:5], v[112:113], v[140:141], -v[4:5]
	v_fmac_f64_e32 v[154:155], v[114:115], v[140:141]
	v_add_f64 v[2:3], v[2:3], v[4:5]
	s_waitcnt vmcnt(6)
	v_mul_f64 v[4:5], v[122:123], v[146:147]
	v_add_f64 v[46:47], v[46:47], v[154:155]
	v_mul_f64 v[154:155], v[120:121], v[146:147]
	s_waitcnt vmcnt(4)
	v_fma_f64 v[4:5], v[120:121], v[148:149], -v[4:5]
	v_fmac_f64_e32 v[154:155], v[122:123], v[148:149]
	v_add_f64 v[2:3], v[2:3], v[4:5]
	v_add_f64 v[46:47], v[46:47], v[154:155]
	s_waitcnt vmcnt(2)
	v_add_f64 v[2:3], v[150:151], -v[2:3]
	s_waitcnt vmcnt(0)
	v_add_f64 v[4:5], v[152:153], -v[46:47]
	buffer_store_dword v3, off, s[0:3], 0 offset:244
	buffer_store_dword v2, off, s[0:3], 0 offset:240
	;; [unrolled: 1-line block ×4, first 2 shown]
	s_and_saveexec_b64 s[4:5], vcc
	s_cbranch_execz .LBB96_185
; %bb.184:
	v_accvgpr_read_b32 v5, a79
	buffer_load_dword v2, v5, s[0:3], 0 offen
	buffer_load_dword v3, v5, s[0:3], 0 offen offset:4
	buffer_load_dword v4, v5, s[0:3], 0 offen offset:8
	s_nop 0
	buffer_load_dword v5, v5, s[0:3], 0 offen offset:12
	v_mov_b32_e32 v6, 0
	buffer_store_dword v6, off, s[0:3], 0 offset:224
	buffer_store_dword v6, off, s[0:3], 0 offset:228
	;; [unrolled: 1-line block ×4, first 2 shown]
	s_waitcnt vmcnt(4)
	ds_write_b128 v1, v[2:5]
.LBB96_185:
	s_or_b64 exec, exec, s[4:5]
	s_waitcnt lgkmcnt(0)
	; wave barrier
	s_waitcnt lgkmcnt(0)
	buffer_load_dword v2, off, s[0:3], 0 offset:240
	buffer_load_dword v3, off, s[0:3], 0 offset:244
	;; [unrolled: 1-line block ×76, first 2 shown]
	v_mov_b32_e32 v54, 0
	ds_read_b128 v[56:59], v54 offset:752
	buffer_load_dword v158, off, s[0:3], 0 offset:224
	buffer_load_dword v159, off, s[0:3], 0 offset:228
	;; [unrolled: 1-line block ×4, first 2 shown]
	ds_read_b128 v[60:63], v54 offset:768
	ds_read_b128 v[64:67], v54 offset:784
	;; [unrolled: 1-line block ×4, first 2 shown]
	v_cmp_lt_u32_e32 vcc, 12, v0
	s_waitcnt vmcnt(62) lgkmcnt(4)
	v_mul_f64 v[72:73], v[56:57], v[8:9]
	v_fmac_f64_e32 v[72:73], v[58:59], v[2:3]
	v_add_f64 v[72:73], v[72:73], 0
	v_mul_f64 v[8:9], v[58:59], v[8:9]
	s_waitcnt lgkmcnt(3)
	v_mul_f64 v[74:75], v[60:61], v[10:11]
	v_fmac_f64_e32 v[74:75], v[62:63], v[4:5]
	v_add_f64 v[72:73], v[72:73], v[74:75]
	v_fma_f64 v[2:3], v[56:57], v[2:3], -v[8:9]
	s_waitcnt lgkmcnt(2)
	v_mul_f64 v[74:75], v[64:65], v[12:13]
	v_fmac_f64_e32 v[74:75], v[66:67], v[6:7]
	v_add_f64 v[76:77], v[72:73], v[74:75]
	ds_read_b128 v[72:75], v54 offset:816
	s_waitcnt lgkmcnt(2)
	v_mul_f64 v[78:79], v[68:69], v[18:19]
	v_mul_f64 v[8:9], v[62:63], v[10:11]
	v_fmac_f64_e32 v[78:79], v[70:71], v[20:21]
	v_add_f64 v[80:81], v[76:77], v[78:79]
	ds_read_b128 v[76:79], v54 offset:832
	s_waitcnt vmcnt(61) lgkmcnt(1)
	v_mul_f64 v[82:83], v[72:73], v[14:15]
	s_waitcnt vmcnt(60)
	v_fmac_f64_e32 v[82:83], v[74:75], v[16:17]
	v_add_f64 v[84:85], v[80:81], v[82:83]
	ds_read_b128 v[80:83], v54 offset:848
	s_waitcnt vmcnt(56) lgkmcnt(1)
	v_mul_f64 v[86:87], v[76:77], v[26:27]
	s_waitcnt vmcnt(54)
	;; [unrolled: 6-line block ×4, first 2 shown]
	v_fmac_f64_e32 v[94:95], v[86:87], v[36:37]
	v_add_f64 v[96:97], v[92:93], v[94:95]
	ds_read_b128 v[92:95], v54 offset:896
	v_add_f64 v[2:3], v[2:3], 0
	v_fma_f64 v[4:5], v[60:61], v[4:5], -v[8:9]
	s_waitcnt vmcnt(45) lgkmcnt(1)
	v_mul_f64 v[98:99], v[88:89], v[30:31]
	v_add_f64 v[2:3], v[2:3], v[4:5]
	v_mul_f64 v[4:5], v[66:67], v[12:13]
	s_waitcnt vmcnt(44)
	v_fmac_f64_e32 v[98:99], v[90:91], v[32:33]
	v_fma_f64 v[4:5], v[64:65], v[6:7], -v[4:5]
	v_add_f64 v[100:101], v[96:97], v[98:99]
	ds_read_b128 v[96:99], v54 offset:912
	s_waitcnt vmcnt(40) lgkmcnt(1)
	v_mul_f64 v[102:103], v[92:93], v[42:43]
	v_add_f64 v[2:3], v[2:3], v[4:5]
	v_mul_f64 v[4:5], v[70:71], v[18:19]
	s_waitcnt vmcnt(38)
	v_fmac_f64_e32 v[102:103], v[94:95], v[44:45]
	v_fma_f64 v[4:5], v[68:69], v[20:21], -v[4:5]
	v_add_f64 v[104:105], v[100:101], v[102:103]
	ds_read_b128 v[100:103], v54 offset:928
	v_add_f64 v[2:3], v[2:3], v[4:5]
	v_mul_f64 v[4:5], v[74:75], v[14:15]
	v_fma_f64 v[4:5], v[72:73], v[16:17], -v[4:5]
	v_add_f64 v[2:3], v[2:3], v[4:5]
	v_mul_f64 v[4:5], v[78:79], v[26:27]
	s_waitcnt vmcnt(37) lgkmcnt(1)
	v_mul_f64 v[106:107], v[96:97], v[38:39]
	v_fma_f64 v[4:5], v[76:77], v[28:29], -v[4:5]
	s_waitcnt vmcnt(36)
	v_fmac_f64_e32 v[106:107], v[98:99], v[40:41]
	v_add_f64 v[2:3], v[2:3], v[4:5]
	v_mul_f64 v[4:5], v[82:83], v[22:23]
	v_add_f64 v[108:109], v[104:105], v[106:107]
	ds_read_b128 v[104:107], v54 offset:944
	s_waitcnt vmcnt(32) lgkmcnt(1)
	v_mul_f64 v[110:111], v[100:101], v[50:51]
	v_fma_f64 v[4:5], v[80:81], v[24:25], -v[4:5]
	s_waitcnt vmcnt(30)
	v_fmac_f64_e32 v[110:111], v[102:103], v[52:53]
	v_add_f64 v[2:3], v[2:3], v[4:5]
	v_mul_f64 v[4:5], v[86:87], v[34:35]
	v_add_f64 v[112:113], v[108:109], v[110:111]
	ds_read_b128 v[108:111], v54 offset:960
	v_fma_f64 v[4:5], v[84:85], v[36:37], -v[4:5]
	v_add_f64 v[2:3], v[2:3], v[4:5]
	v_mul_f64 v[4:5], v[90:91], v[30:31]
	v_fma_f64 v[4:5], v[88:89], v[32:33], -v[4:5]
	s_waitcnt vmcnt(29) lgkmcnt(1)
	v_mul_f64 v[114:115], v[104:105], v[46:47]
	v_add_f64 v[2:3], v[2:3], v[4:5]
	v_mul_f64 v[4:5], v[94:95], v[42:43]
	s_waitcnt vmcnt(28)
	v_fmac_f64_e32 v[114:115], v[106:107], v[48:49]
	v_fma_f64 v[4:5], v[92:93], v[44:45], -v[4:5]
	v_add_f64 v[120:121], v[112:113], v[114:115]
	ds_read_b128 v[112:115], v54 offset:976
	s_waitcnt vmcnt(24) lgkmcnt(1)
	v_mul_f64 v[122:123], v[108:109], v[138:139]
	v_add_f64 v[2:3], v[2:3], v[4:5]
	v_mul_f64 v[4:5], v[98:99], v[38:39]
	s_waitcnt vmcnt(22)
	v_fmac_f64_e32 v[122:123], v[110:111], v[140:141]
	v_fma_f64 v[4:5], v[96:97], v[40:41], -v[4:5]
	v_add_f64 v[124:125], v[120:121], v[122:123]
	ds_read_b128 v[120:123], v54 offset:992
	v_add_f64 v[2:3], v[2:3], v[4:5]
	v_mul_f64 v[4:5], v[102:103], v[50:51]
	v_fma_f64 v[4:5], v[100:101], v[52:53], -v[4:5]
	v_add_f64 v[2:3], v[2:3], v[4:5]
	v_mul_f64 v[4:5], v[106:107], v[46:47]
	s_waitcnt vmcnt(21) lgkmcnt(1)
	v_mul_f64 v[126:127], v[112:113], v[116:117]
	v_fma_f64 v[4:5], v[104:105], v[48:49], -v[4:5]
	s_waitcnt vmcnt(20)
	v_fmac_f64_e32 v[126:127], v[114:115], v[136:137]
	v_add_f64 v[2:3], v[2:3], v[4:5]
	v_mul_f64 v[4:5], v[110:111], v[138:139]
	v_add_f64 v[128:129], v[124:125], v[126:127]
	ds_read_b128 v[124:127], v54 offset:1008
	s_waitcnt vmcnt(16) lgkmcnt(1)
	v_mul_f64 v[130:131], v[120:121], v[146:147]
	v_fma_f64 v[4:5], v[108:109], v[140:141], -v[4:5]
	s_waitcnt vmcnt(14)
	v_fmac_f64_e32 v[130:131], v[122:123], v[148:149]
	v_add_f64 v[2:3], v[2:3], v[4:5]
	v_mul_f64 v[4:5], v[114:115], v[116:117]
	v_add_f64 v[162:163], v[128:129], v[130:131]
	ds_read_b128 v[128:131], v54 offset:1024
	v_fma_f64 v[4:5], v[112:113], v[136:137], -v[4:5]
	v_add_f64 v[2:3], v[2:3], v[4:5]
	v_mul_f64 v[4:5], v[122:123], v[146:147]
	v_fma_f64 v[4:5], v[120:121], v[148:149], -v[4:5]
	v_add_f64 v[2:3], v[2:3], v[4:5]
	s_waitcnt vmcnt(13) lgkmcnt(1)
	v_mul_f64 v[4:5], v[126:127], v[142:143]
	v_mul_f64 v[164:165], v[124:125], v[142:143]
	s_waitcnt vmcnt(12)
	v_fma_f64 v[4:5], v[124:125], v[144:145], -v[4:5]
	v_fmac_f64_e32 v[164:165], v[126:127], v[144:145]
	v_add_f64 v[2:3], v[2:3], v[4:5]
	s_waitcnt vmcnt(8) lgkmcnt(0)
	v_mul_f64 v[4:5], v[130:131], v[154:155]
	v_add_f64 v[162:163], v[162:163], v[164:165]
	v_mul_f64 v[164:165], v[128:129], v[154:155]
	s_waitcnt vmcnt(6)
	v_fma_f64 v[4:5], v[128:129], v[156:157], -v[4:5]
	v_fmac_f64_e32 v[164:165], v[130:131], v[156:157]
	v_add_f64 v[2:3], v[2:3], v[4:5]
	s_waitcnt vmcnt(5)
	v_mul_f64 v[4:5], v[134:135], v[150:151]
	v_add_f64 v[162:163], v[162:163], v[164:165]
	v_mul_f64 v[164:165], v[132:133], v[150:151]
	s_waitcnt vmcnt(4)
	v_fma_f64 v[4:5], v[132:133], v[152:153], -v[4:5]
	v_fmac_f64_e32 v[164:165], v[134:135], v[152:153]
	v_add_f64 v[2:3], v[2:3], v[4:5]
	v_add_f64 v[162:163], v[162:163], v[164:165]
	s_waitcnt vmcnt(2)
	v_add_f64 v[2:3], v[158:159], -v[2:3]
	s_waitcnt vmcnt(0)
	v_add_f64 v[4:5], v[160:161], -v[162:163]
	buffer_store_dword v3, off, s[0:3], 0 offset:228
	buffer_store_dword v2, off, s[0:3], 0 offset:224
	;; [unrolled: 1-line block ×4, first 2 shown]
	s_and_saveexec_b64 s[4:5], vcc
	s_cbranch_execz .LBB96_187
; %bb.186:
	v_accvgpr_read_b32 v5, a80
	buffer_load_dword v2, v5, s[0:3], 0 offen
	buffer_load_dword v3, v5, s[0:3], 0 offen offset:4
	buffer_load_dword v4, v5, s[0:3], 0 offen offset:8
	s_nop 0
	buffer_load_dword v5, v5, s[0:3], 0 offen offset:12
	s_nop 0
	buffer_store_dword v54, off, s[0:3], 0 offset:208
	buffer_store_dword v54, off, s[0:3], 0 offset:212
	;; [unrolled: 1-line block ×4, first 2 shown]
	s_waitcnt vmcnt(4)
	ds_write_b128 v1, v[2:5]
.LBB96_187:
	s_or_b64 exec, exec, s[4:5]
	s_waitcnt lgkmcnt(0)
	; wave barrier
	s_waitcnt lgkmcnt(0)
	buffer_load_dword v2, off, s[0:3], 0 offset:224
	buffer_load_dword v3, off, s[0:3], 0 offset:228
	;; [unrolled: 1-line block ×76, first 2 shown]
	ds_read_b128 v[56:59], v54 offset:736
	buffer_load_dword v163, off, s[0:3], 0 offset:540
	buffer_load_dword v162, off, s[0:3], 0 offset:536
	;; [unrolled: 1-line block ×8, first 2 shown]
	ds_read_b128 v[60:63], v54 offset:752
	ds_read_b128 v[64:67], v54 offset:768
	;; [unrolled: 1-line block ×3, first 2 shown]
	v_cmp_lt_u32_e32 vcc, 11, v0
	ds_read_b128 v[136:139], v54 offset:1040
	s_waitcnt vmcnt(62) lgkmcnt(4)
	v_mul_f64 v[72:73], v[56:57], v[8:9]
	v_fmac_f64_e32 v[72:73], v[58:59], v[2:3]
	v_add_f64 v[72:73], v[72:73], 0
	v_mul_f64 v[8:9], v[58:59], v[8:9]
	s_waitcnt lgkmcnt(3)
	v_mul_f64 v[74:75], v[60:61], v[10:11]
	v_fmac_f64_e32 v[74:75], v[62:63], v[4:5]
	v_add_f64 v[72:73], v[72:73], v[74:75]
	v_fma_f64 v[2:3], v[56:57], v[2:3], -v[8:9]
	s_waitcnt lgkmcnt(2)
	v_mul_f64 v[74:75], v[64:65], v[12:13]
	v_fmac_f64_e32 v[74:75], v[66:67], v[6:7]
	v_add_f64 v[76:77], v[72:73], v[74:75]
	ds_read_b128 v[72:75], v54 offset:800
	v_mul_f64 v[8:9], v[62:63], v[10:11]
	v_add_f64 v[2:3], v[2:3], 0
	s_waitcnt lgkmcnt(2)
	v_mul_f64 v[78:79], v[68:69], v[18:19]
	v_fma_f64 v[4:5], v[60:61], v[4:5], -v[8:9]
	v_fmac_f64_e32 v[78:79], v[70:71], v[20:21]
	v_add_f64 v[80:81], v[76:77], v[78:79]
	ds_read_b128 v[76:79], v54 offset:816
	s_waitcnt lgkmcnt(1)
	v_mul_f64 v[82:83], v[72:73], v[14:15]
	v_fmac_f64_e32 v[82:83], v[74:75], v[16:17]
	v_add_f64 v[84:85], v[80:81], v[82:83]
	ds_read_b128 v[80:83], v54 offset:832
	s_waitcnt vmcnt(58) lgkmcnt(1)
	v_mul_f64 v[86:87], v[76:77], v[26:27]
	s_waitcnt vmcnt(56)
	v_fmac_f64_e32 v[86:87], v[78:79], v[28:29]
	v_add_f64 v[88:89], v[84:85], v[86:87]
	ds_read_b128 v[84:87], v54 offset:848
	s_waitcnt lgkmcnt(1)
	v_mul_f64 v[90:91], v[80:81], v[22:23]
	v_fmac_f64_e32 v[90:91], v[82:83], v[24:25]
	v_add_f64 v[92:93], v[88:89], v[90:91]
	ds_read_b128 v[88:91], v54 offset:864
	s_waitcnt vmcnt(50) lgkmcnt(1)
	v_mul_f64 v[94:95], v[84:85], v[34:35]
	s_waitcnt vmcnt(48)
	v_fmac_f64_e32 v[94:95], v[86:87], v[36:37]
	v_add_f64 v[96:97], v[92:93], v[94:95]
	ds_read_b128 v[92:95], v54 offset:880
	s_waitcnt lgkmcnt(1)
	v_mul_f64 v[98:99], v[88:89], v[30:31]
	v_fmac_f64_e32 v[98:99], v[90:91], v[32:33]
	v_add_f64 v[100:101], v[96:97], v[98:99]
	ds_read_b128 v[96:99], v54 offset:896
	v_add_f64 v[2:3], v[2:3], v[4:5]
	v_mul_f64 v[4:5], v[66:67], v[12:13]
	v_fma_f64 v[4:5], v[64:65], v[6:7], -v[4:5]
	s_waitcnt vmcnt(42) lgkmcnt(1)
	v_mul_f64 v[102:103], v[92:93], v[42:43]
	v_add_f64 v[2:3], v[2:3], v[4:5]
	v_mul_f64 v[4:5], v[70:71], v[18:19]
	s_waitcnt vmcnt(40)
	v_fmac_f64_e32 v[102:103], v[94:95], v[44:45]
	v_fma_f64 v[4:5], v[68:69], v[20:21], -v[4:5]
	v_add_f64 v[104:105], v[100:101], v[102:103]
	ds_read_b128 v[100:103], v54 offset:912
	s_waitcnt lgkmcnt(1)
	v_mul_f64 v[106:107], v[96:97], v[38:39]
	v_add_f64 v[2:3], v[2:3], v[4:5]
	v_mul_f64 v[4:5], v[74:75], v[14:15]
	v_fmac_f64_e32 v[106:107], v[98:99], v[40:41]
	v_fma_f64 v[4:5], v[72:73], v[16:17], -v[4:5]
	v_add_f64 v[108:109], v[104:105], v[106:107]
	ds_read_b128 v[104:107], v54 offset:928
	v_add_f64 v[2:3], v[2:3], v[4:5]
	v_mul_f64 v[4:5], v[78:79], v[26:27]
	v_fma_f64 v[4:5], v[76:77], v[28:29], -v[4:5]
	v_add_f64 v[2:3], v[2:3], v[4:5]
	v_mul_f64 v[4:5], v[82:83], v[22:23]
	s_waitcnt vmcnt(34) lgkmcnt(1)
	v_mul_f64 v[110:111], v[100:101], v[50:51]
	v_fma_f64 v[4:5], v[80:81], v[24:25], -v[4:5]
	s_waitcnt vmcnt(32)
	v_fmac_f64_e32 v[110:111], v[102:103], v[52:53]
	v_add_f64 v[2:3], v[2:3], v[4:5]
	v_mul_f64 v[4:5], v[86:87], v[34:35]
	v_add_f64 v[112:113], v[108:109], v[110:111]
	ds_read_b128 v[108:111], v54 offset:944
	s_waitcnt lgkmcnt(1)
	v_mul_f64 v[114:115], v[104:105], v[46:47]
	v_fma_f64 v[4:5], v[84:85], v[36:37], -v[4:5]
	v_fmac_f64_e32 v[114:115], v[106:107], v[48:49]
	v_add_f64 v[2:3], v[2:3], v[4:5]
	v_mul_f64 v[4:5], v[90:91], v[30:31]
	v_add_f64 v[120:121], v[112:113], v[114:115]
	ds_read_b128 v[112:115], v54 offset:960
	v_fma_f64 v[4:5], v[88:89], v[32:33], -v[4:5]
	v_add_f64 v[2:3], v[2:3], v[4:5]
	v_mul_f64 v[4:5], v[94:95], v[42:43]
	v_fma_f64 v[4:5], v[92:93], v[44:45], -v[4:5]
	s_waitcnt vmcnt(26) lgkmcnt(1)
	v_mul_f64 v[122:123], v[108:109], v[142:143]
	v_add_f64 v[2:3], v[2:3], v[4:5]
	v_mul_f64 v[4:5], v[98:99], v[38:39]
	s_waitcnt vmcnt(24)
	v_fmac_f64_e32 v[122:123], v[110:111], v[144:145]
	v_fma_f64 v[4:5], v[96:97], v[40:41], -v[4:5]
	v_add_f64 v[124:125], v[120:121], v[122:123]
	ds_read_b128 v[120:123], v54 offset:976
	s_waitcnt lgkmcnt(1)
	v_mul_f64 v[126:127], v[112:113], v[116:117]
	v_add_f64 v[2:3], v[2:3], v[4:5]
	v_mul_f64 v[4:5], v[102:103], v[50:51]
	v_fmac_f64_e32 v[126:127], v[114:115], v[140:141]
	v_fma_f64 v[4:5], v[100:101], v[52:53], -v[4:5]
	v_add_f64 v[128:129], v[124:125], v[126:127]
	ds_read_b128 v[124:127], v54 offset:992
	v_add_f64 v[2:3], v[2:3], v[4:5]
	v_mul_f64 v[4:5], v[106:107], v[46:47]
	v_fma_f64 v[4:5], v[104:105], v[48:49], -v[4:5]
	v_add_f64 v[2:3], v[2:3], v[4:5]
	v_mul_f64 v[4:5], v[110:111], v[142:143]
	s_waitcnt vmcnt(18) lgkmcnt(1)
	v_mul_f64 v[130:131], v[120:121], v[150:151]
	v_fma_f64 v[4:5], v[108:109], v[144:145], -v[4:5]
	s_waitcnt vmcnt(16)
	v_fmac_f64_e32 v[130:131], v[122:123], v[152:153]
	v_add_f64 v[2:3], v[2:3], v[4:5]
	v_mul_f64 v[4:5], v[114:115], v[116:117]
	v_add_f64 v[132:133], v[128:129], v[130:131]
	ds_read_b128 v[128:131], v54 offset:1008
	s_waitcnt lgkmcnt(1)
	v_mul_f64 v[134:135], v[124:125], v[146:147]
	v_fma_f64 v[4:5], v[112:113], v[140:141], -v[4:5]
	v_fmac_f64_e32 v[134:135], v[126:127], v[148:149]
	v_add_f64 v[2:3], v[2:3], v[4:5]
	v_mul_f64 v[4:5], v[122:123], v[150:151]
	v_add_f64 v[170:171], v[132:133], v[134:135]
	ds_read_b128 v[132:135], v54 offset:1024
	v_fma_f64 v[4:5], v[120:121], v[152:153], -v[4:5]
	v_add_f64 v[2:3], v[2:3], v[4:5]
	v_mul_f64 v[4:5], v[126:127], v[146:147]
	v_fma_f64 v[4:5], v[124:125], v[148:149], -v[4:5]
	v_add_f64 v[2:3], v[2:3], v[4:5]
	s_waitcnt vmcnt(10) lgkmcnt(1)
	v_mul_f64 v[4:5], v[130:131], v[158:159]
	v_mul_f64 v[172:173], v[128:129], v[158:159]
	s_waitcnt vmcnt(8)
	v_fma_f64 v[4:5], v[128:129], v[160:161], -v[4:5]
	v_fmac_f64_e32 v[172:173], v[130:131], v[160:161]
	v_add_f64 v[2:3], v[2:3], v[4:5]
	s_waitcnt lgkmcnt(0)
	v_mul_f64 v[4:5], v[134:135], v[154:155]
	v_add_f64 v[54:55], v[170:171], v[172:173]
	v_mul_f64 v[170:171], v[132:133], v[154:155]
	v_fma_f64 v[4:5], v[132:133], v[156:157], -v[4:5]
	v_fmac_f64_e32 v[170:171], v[134:135], v[156:157]
	v_add_f64 v[2:3], v[2:3], v[4:5]
	s_waitcnt vmcnt(6)
	v_mul_f64 v[4:5], v[138:139], v[162:163]
	v_add_f64 v[54:55], v[54:55], v[170:171]
	v_mul_f64 v[170:171], v[136:137], v[162:163]
	s_waitcnt vmcnt(4)
	v_fma_f64 v[4:5], v[136:137], v[164:165], -v[4:5]
	v_fmac_f64_e32 v[170:171], v[138:139], v[164:165]
	v_add_f64 v[2:3], v[2:3], v[4:5]
	v_add_f64 v[54:55], v[54:55], v[170:171]
	s_waitcnt vmcnt(2)
	v_add_f64 v[2:3], v[166:167], -v[2:3]
	s_waitcnt vmcnt(0)
	v_add_f64 v[4:5], v[168:169], -v[54:55]
	buffer_store_dword v3, off, s[0:3], 0 offset:212
	buffer_store_dword v2, off, s[0:3], 0 offset:208
	;; [unrolled: 1-line block ×4, first 2 shown]
	s_and_saveexec_b64 s[4:5], vcc
	s_cbranch_execz .LBB96_189
; %bb.188:
	v_accvgpr_read_b32 v5, a81
	buffer_load_dword v2, v5, s[0:3], 0 offen
	buffer_load_dword v3, v5, s[0:3], 0 offen offset:4
	buffer_load_dword v4, v5, s[0:3], 0 offen offset:8
	s_nop 0
	buffer_load_dword v5, v5, s[0:3], 0 offen offset:12
	v_mov_b32_e32 v6, 0
	buffer_store_dword v6, off, s[0:3], 0 offset:192
	buffer_store_dword v6, off, s[0:3], 0 offset:196
	;; [unrolled: 1-line block ×4, first 2 shown]
	s_waitcnt vmcnt(4)
	ds_write_b128 v1, v[2:5]
.LBB96_189:
	s_or_b64 exec, exec, s[4:5]
	s_waitcnt lgkmcnt(0)
	; wave barrier
	s_waitcnt lgkmcnt(0)
	buffer_load_dword v4, off, s[0:3], 0 offset:192
	buffer_load_dword v5, off, s[0:3], 0 offset:196
	;; [unrolled: 1-line block ×84, first 2 shown]
	v_mov_b32_e32 v86, 0
	ds_read_b128 v[66:69], v86 offset:720
	buffer_load_dword v175, off, s[0:3], 0 offset:540
	buffer_load_dword v174, off, s[0:3], 0 offset:536
	;; [unrolled: 1-line block ×4, first 2 shown]
	ds_read_b128 v[70:73], v86 offset:736
	ds_read_b128 v[74:77], v86 offset:752
	;; [unrolled: 1-line block ×4, first 2 shown]
	v_cmp_lt_u32_e32 vcc, 10, v0
	s_waitcnt vmcnt(62) lgkmcnt(4)
	v_mul_f64 v[82:83], v[66:67], v[12:13]
	v_fmac_f64_e32 v[82:83], v[68:69], v[6:7]
	s_waitcnt lgkmcnt(3)
	v_mul_f64 v[84:85], v[70:71], v[14:15]
	v_add_f64 v[82:83], v[82:83], 0
	v_fmac_f64_e32 v[84:85], v[72:73], v[8:9]
	v_add_f64 v[82:83], v[82:83], v[84:85]
	s_waitcnt lgkmcnt(2)
	v_mul_f64 v[84:85], v[74:75], v[16:17]
	v_fmac_f64_e32 v[84:85], v[76:77], v[10:11]
	v_add_f64 v[88:89], v[82:83], v[84:85]
	ds_read_b128 v[82:85], v86 offset:784
	v_mul_f64 v[12:13], v[68:69], v[12:13]
	s_waitcnt lgkmcnt(2)
	v_mul_f64 v[90:91], v[78:79], v[22:23]
	v_fma_f64 v[6:7], v[66:67], v[6:7], -v[12:13]
	v_fmac_f64_e32 v[90:91], v[80:81], v[24:25]
	v_add_f64 v[92:93], v[88:89], v[90:91]
	ds_read_b128 v[88:91], v86 offset:800
	s_waitcnt lgkmcnt(1)
	v_mul_f64 v[94:95], v[82:83], v[18:19]
	v_fmac_f64_e32 v[94:95], v[84:85], v[20:21]
	v_add_f64 v[96:97], v[92:93], v[94:95]
	ds_read_b128 v[92:95], v86 offset:816
	s_waitcnt vmcnt(58) lgkmcnt(1)
	v_mul_f64 v[98:99], v[88:89], v[30:31]
	s_waitcnt vmcnt(56)
	v_fmac_f64_e32 v[98:99], v[90:91], v[32:33]
	v_add_f64 v[100:101], v[96:97], v[98:99]
	ds_read_b128 v[96:99], v86 offset:832
	s_waitcnt lgkmcnt(1)
	v_mul_f64 v[102:103], v[92:93], v[26:27]
	v_fmac_f64_e32 v[102:103], v[94:95], v[28:29]
	v_add_f64 v[104:105], v[100:101], v[102:103]
	ds_read_b128 v[100:103], v86 offset:848
	s_waitcnt vmcnt(50) lgkmcnt(1)
	v_mul_f64 v[106:107], v[96:97], v[38:39]
	s_waitcnt vmcnt(48)
	v_fmac_f64_e32 v[106:107], v[98:99], v[40:41]
	v_add_f64 v[108:109], v[104:105], v[106:107]
	ds_read_b128 v[104:107], v86 offset:864
	s_waitcnt lgkmcnt(1)
	v_mul_f64 v[110:111], v[100:101], v[34:35]
	v_fmac_f64_e32 v[110:111], v[102:103], v[36:37]
	v_mul_f64 v[12:13], v[72:73], v[14:15]
	v_add_f64 v[112:113], v[108:109], v[110:111]
	ds_read_b128 v[108:111], v86 offset:880
	s_waitcnt vmcnt(42) lgkmcnt(1)
	v_mul_f64 v[114:115], v[104:105], v[46:47]
	v_add_f64 v[6:7], v[6:7], 0
	v_fma_f64 v[8:9], v[70:71], v[8:9], -v[12:13]
	s_waitcnt vmcnt(40)
	v_fmac_f64_e32 v[114:115], v[106:107], v[48:49]
	v_add_f64 v[6:7], v[6:7], v[8:9]
	v_mul_f64 v[8:9], v[76:77], v[16:17]
	v_add_f64 v[120:121], v[112:113], v[114:115]
	ds_read_b128 v[112:115], v86 offset:896
	v_fma_f64 v[8:9], v[74:75], v[10:11], -v[8:9]
	v_add_f64 v[6:7], v[6:7], v[8:9]
	v_mul_f64 v[8:9], v[80:81], v[22:23]
	v_fma_f64 v[8:9], v[78:79], v[24:25], -v[8:9]
	s_waitcnt lgkmcnt(1)
	v_mul_f64 v[122:123], v[108:109], v[42:43]
	v_add_f64 v[6:7], v[6:7], v[8:9]
	v_mul_f64 v[8:9], v[84:85], v[18:19]
	v_fmac_f64_e32 v[122:123], v[110:111], v[44:45]
	v_fma_f64 v[8:9], v[82:83], v[20:21], -v[8:9]
	v_add_f64 v[124:125], v[120:121], v[122:123]
	ds_read_b128 v[120:123], v86 offset:912
	s_waitcnt vmcnt(34) lgkmcnt(1)
	v_mul_f64 v[126:127], v[112:113], v[54:55]
	v_add_f64 v[6:7], v[6:7], v[8:9]
	v_mul_f64 v[8:9], v[90:91], v[30:31]
	s_waitcnt vmcnt(32)
	v_fmac_f64_e32 v[126:127], v[114:115], v[56:57]
	v_fma_f64 v[8:9], v[88:89], v[32:33], -v[8:9]
	v_add_f64 v[128:129], v[124:125], v[126:127]
	ds_read_b128 v[124:127], v86 offset:928
	v_add_f64 v[6:7], v[6:7], v[8:9]
	v_mul_f64 v[8:9], v[94:95], v[26:27]
	v_fma_f64 v[8:9], v[92:93], v[28:29], -v[8:9]
	v_add_f64 v[6:7], v[6:7], v[8:9]
	v_mul_f64 v[8:9], v[98:99], v[38:39]
	s_waitcnt lgkmcnt(1)
	v_mul_f64 v[130:131], v[120:121], v[50:51]
	v_fma_f64 v[8:9], v[96:97], v[40:41], -v[8:9]
	v_fmac_f64_e32 v[130:131], v[122:123], v[52:53]
	v_add_f64 v[6:7], v[6:7], v[8:9]
	v_mul_f64 v[8:9], v[102:103], v[34:35]
	v_add_f64 v[132:133], v[128:129], v[130:131]
	ds_read_b128 v[128:131], v86 offset:944
	s_waitcnt vmcnt(26) lgkmcnt(1)
	v_mul_f64 v[134:135], v[124:125], v[62:63]
	v_fma_f64 v[8:9], v[100:101], v[36:37], -v[8:9]
	s_waitcnt vmcnt(24)
	v_fmac_f64_e32 v[134:135], v[126:127], v[64:65]
	v_add_f64 v[6:7], v[6:7], v[8:9]
	v_mul_f64 v[8:9], v[106:107], v[46:47]
	v_add_f64 v[136:137], v[132:133], v[134:135]
	ds_read_b128 v[132:135], v86 offset:960
	v_fma_f64 v[8:9], v[104:105], v[48:49], -v[8:9]
	v_add_f64 v[6:7], v[6:7], v[8:9]
	v_mul_f64 v[8:9], v[110:111], v[42:43]
	v_fma_f64 v[8:9], v[108:109], v[44:45], -v[8:9]
	s_waitcnt lgkmcnt(1)
	v_mul_f64 v[138:139], v[128:129], v[58:59]
	v_add_f64 v[6:7], v[6:7], v[8:9]
	v_mul_f64 v[8:9], v[114:115], v[54:55]
	v_fmac_f64_e32 v[138:139], v[130:131], v[60:61]
	v_fma_f64 v[8:9], v[112:113], v[56:57], -v[8:9]
	v_add_f64 v[140:141], v[136:137], v[138:139]
	ds_read_b128 v[136:139], v86 offset:976
	s_waitcnt vmcnt(18) lgkmcnt(1)
	v_mul_f64 v[142:143], v[132:133], v[158:159]
	v_add_f64 v[6:7], v[6:7], v[8:9]
	v_mul_f64 v[8:9], v[122:123], v[50:51]
	s_waitcnt vmcnt(16)
	v_fmac_f64_e32 v[142:143], v[134:135], v[160:161]
	v_fma_f64 v[8:9], v[120:121], v[52:53], -v[8:9]
	v_add_f64 v[144:145], v[140:141], v[142:143]
	ds_read_b128 v[140:143], v86 offset:992
	v_add_f64 v[6:7], v[6:7], v[8:9]
	v_mul_f64 v[8:9], v[126:127], v[62:63]
	v_fma_f64 v[8:9], v[124:125], v[64:65], -v[8:9]
	v_add_f64 v[6:7], v[6:7], v[8:9]
	v_mul_f64 v[8:9], v[130:131], v[58:59]
	s_waitcnt lgkmcnt(1)
	v_mul_f64 v[146:147], v[136:137], v[116:117]
	v_fma_f64 v[8:9], v[128:129], v[60:61], -v[8:9]
	v_fmac_f64_e32 v[146:147], v[138:139], v[156:157]
	v_add_f64 v[6:7], v[6:7], v[8:9]
	v_mul_f64 v[8:9], v[134:135], v[158:159]
	v_add_f64 v[148:149], v[144:145], v[146:147]
	ds_read_b128 v[144:147], v86 offset:1008
	s_waitcnt vmcnt(10) lgkmcnt(1)
	v_mul_f64 v[150:151], v[140:141], v[166:167]
	v_fma_f64 v[8:9], v[132:133], v[160:161], -v[8:9]
	s_waitcnt vmcnt(8)
	v_fmac_f64_e32 v[150:151], v[142:143], v[168:169]
	v_add_f64 v[6:7], v[6:7], v[8:9]
	v_mul_f64 v[8:9], v[138:139], v[116:117]
	v_add_f64 v[178:179], v[148:149], v[150:151]
	ds_read_b128 v[148:151], v86 offset:1024
	v_fma_f64 v[8:9], v[136:137], v[156:157], -v[8:9]
	v_add_f64 v[6:7], v[6:7], v[8:9]
	v_mul_f64 v[8:9], v[142:143], v[166:167]
	v_fma_f64 v[8:9], v[140:141], v[168:169], -v[8:9]
	v_add_f64 v[6:7], v[6:7], v[8:9]
	s_waitcnt lgkmcnt(1)
	v_mul_f64 v[8:9], v[146:147], v[162:163]
	v_mul_f64 v[184:185], v[144:145], v[162:163]
	v_fma_f64 v[8:9], v[144:145], v[164:165], -v[8:9]
	v_fmac_f64_e32 v[184:185], v[146:147], v[164:165]
	v_add_f64 v[6:7], v[6:7], v[8:9]
	s_waitcnt vmcnt(6) lgkmcnt(0)
	v_mul_f64 v[8:9], v[150:151], v[170:171]
	v_add_f64 v[178:179], v[178:179], v[184:185]
	v_mul_f64 v[184:185], v[148:149], v[170:171]
	s_waitcnt vmcnt(4)
	v_fma_f64 v[8:9], v[148:149], v[172:173], -v[8:9]
	v_fmac_f64_e32 v[184:185], v[150:151], v[172:173]
	v_add_f64 v[6:7], v[6:7], v[8:9]
	s_waitcnt vmcnt(2)
	v_mul_f64 v[8:9], v[154:155], v[174:175]
	v_add_f64 v[178:179], v[178:179], v[184:185]
	v_mul_f64 v[184:185], v[152:153], v[174:175]
	s_waitcnt vmcnt(0)
	v_fma_f64 v[8:9], v[152:153], v[176:177], -v[8:9]
	v_fmac_f64_e32 v[184:185], v[154:155], v[176:177]
	v_add_f64 v[6:7], v[6:7], v[8:9]
	v_add_f64 v[178:179], v[178:179], v[184:185]
	v_add_f64 v[4:5], v[4:5], -v[6:7]
	v_add_f64 v[2:3], v[2:3], -v[178:179]
	buffer_store_dword v5, off, s[0:3], 0 offset:196
	buffer_store_dword v4, off, s[0:3], 0 offset:192
	buffer_store_dword v3, off, s[0:3], 0 offset:204
	buffer_store_dword v2, off, s[0:3], 0 offset:200
	s_and_saveexec_b64 s[4:5], vcc
	s_cbranch_execz .LBB96_191
; %bb.190:
	v_accvgpr_read_b32 v5, a82
	buffer_load_dword v2, v5, s[0:3], 0 offen
	buffer_load_dword v3, v5, s[0:3], 0 offen offset:4
	buffer_load_dword v4, v5, s[0:3], 0 offen offset:8
	s_nop 0
	buffer_load_dword v5, v5, s[0:3], 0 offen offset:12
	s_nop 0
	buffer_store_dword v86, off, s[0:3], 0 offset:176
	buffer_store_dword v86, off, s[0:3], 0 offset:180
	;; [unrolled: 1-line block ×4, first 2 shown]
	s_waitcnt vmcnt(4)
	ds_write_b128 v1, v[2:5]
.LBB96_191:
	s_or_b64 exec, exec, s[4:5]
	s_waitcnt lgkmcnt(0)
	; wave barrier
	s_waitcnt lgkmcnt(0)
	ds_read_b128 v[14:17], v86 offset:704
	ds_read_b128 v[10:13], v86 offset:720
	ds_read_b128 v[6:9], v86 offset:736
	ds_read_b128 v[2:5], v86 offset:752
	buffer_load_dword v20, off, s[0:3], 0 offset:176
	buffer_load_dword v21, off, s[0:3], 0 offset:180
	buffer_load_dword v18, off, s[0:3], 0 offset:184
	buffer_load_dword v19, off, s[0:3], 0 offset:188
	buffer_load_dword v22, off, s[0:3], 0 offset:192
	buffer_load_dword v23, off, s[0:3], 0 offset:196
	buffer_load_dword v28, off, s[0:3], 0 offset:200
	buffer_load_dword v29, off, s[0:3], 0 offset:204
	buffer_load_dword v24, off, s[0:3], 0 offset:208
	buffer_load_dword v25, off, s[0:3], 0 offset:212
	buffer_load_dword v30, off, s[0:3], 0 offset:216
	buffer_load_dword v31, off, s[0:3], 0 offset:220
	buffer_load_dword v26, off, s[0:3], 0 offset:224
	buffer_load_dword v27, off, s[0:3], 0 offset:228
	buffer_load_dword v32, off, s[0:3], 0 offset:232
	buffer_load_dword v33, off, s[0:3], 0 offset:236
	buffer_load_dword v35, off, s[0:3], 0 offset:268
	buffer_load_dword v34, off, s[0:3], 0 offset:264
	buffer_load_dword v37, off, s[0:3], 0 offset:260
	buffer_load_dword v36, off, s[0:3], 0 offset:256
	buffer_load_dword v39, off, s[0:3], 0 offset:252
	buffer_load_dword v38, off, s[0:3], 0 offset:248
	buffer_load_dword v41, off, s[0:3], 0 offset:244
	buffer_load_dword v40, off, s[0:3], 0 offset:240
	buffer_load_dword v43, off, s[0:3], 0 offset:300
	buffer_load_dword v42, off, s[0:3], 0 offset:296
	buffer_load_dword v45, off, s[0:3], 0 offset:292
	buffer_load_dword v44, off, s[0:3], 0 offset:288
	buffer_load_dword v47, off, s[0:3], 0 offset:284
	buffer_load_dword v46, off, s[0:3], 0 offset:280
	buffer_load_dword v49, off, s[0:3], 0 offset:276
	buffer_load_dword v48, off, s[0:3], 0 offset:272
	buffer_load_dword v51, off, s[0:3], 0 offset:332
	buffer_load_dword v50, off, s[0:3], 0 offset:328
	buffer_load_dword v53, off, s[0:3], 0 offset:324
	buffer_load_dword v52, off, s[0:3], 0 offset:320
	buffer_load_dword v55, off, s[0:3], 0 offset:316
	buffer_load_dword v54, off, s[0:3], 0 offset:312
	buffer_load_dword v57, off, s[0:3], 0 offset:308
	buffer_load_dword v56, off, s[0:3], 0 offset:304
	buffer_load_dword v59, off, s[0:3], 0 offset:364
	buffer_load_dword v58, off, s[0:3], 0 offset:360
	buffer_load_dword v61, off, s[0:3], 0 offset:356
	buffer_load_dword v60, off, s[0:3], 0 offset:352
	buffer_load_dword v63, off, s[0:3], 0 offset:348
	buffer_load_dword v62, off, s[0:3], 0 offset:344
	buffer_load_dword v65, off, s[0:3], 0 offset:340
	buffer_load_dword v64, off, s[0:3], 0 offset:336
	buffer_load_dword v67, off, s[0:3], 0 offset:396
	buffer_load_dword v66, off, s[0:3], 0 offset:392
	buffer_load_dword v69, off, s[0:3], 0 offset:388
	buffer_load_dword v68, off, s[0:3], 0 offset:384
	buffer_load_dword v71, off, s[0:3], 0 offset:380
	buffer_load_dword v70, off, s[0:3], 0 offset:376
	buffer_load_dword v73, off, s[0:3], 0 offset:372
	buffer_load_dword v72, off, s[0:3], 0 offset:368
	buffer_load_dword v75, off, s[0:3], 0 offset:428
	buffer_load_dword v74, off, s[0:3], 0 offset:424
	buffer_load_dword v77, off, s[0:3], 0 offset:420
	buffer_load_dword v76, off, s[0:3], 0 offset:416
	buffer_load_dword v79, off, s[0:3], 0 offset:412
	buffer_load_dword v78, off, s[0:3], 0 offset:408
	buffer_load_dword v81, off, s[0:3], 0 offset:404
	buffer_load_dword v80, off, s[0:3], 0 offset:400
	buffer_load_dword v83, off, s[0:3], 0 offset:460
	buffer_load_dword v82, off, s[0:3], 0 offset:456
	buffer_load_dword v85, off, s[0:3], 0 offset:452
	buffer_load_dword v84, off, s[0:3], 0 offset:448
	buffer_load_dword v117, off, s[0:3], 0 offset:444
	buffer_load_dword v116, off, s[0:3], 0 offset:440
	buffer_load_dword v165, off, s[0:3], 0 offset:436
	buffer_load_dword v164, off, s[0:3], 0 offset:432
	buffer_load_dword v167, off, s[0:3], 0 offset:492
	buffer_load_dword v166, off, s[0:3], 0 offset:488
	buffer_load_dword v169, off, s[0:3], 0 offset:484
	buffer_load_dword v168, off, s[0:3], 0 offset:480
	buffer_load_dword v171, off, s[0:3], 0 offset:476
	buffer_load_dword v170, off, s[0:3], 0 offset:472
	buffer_load_dword v173, off, s[0:3], 0 offset:468
	buffer_load_dword v172, off, s[0:3], 0 offset:464
	buffer_load_dword v175, off, s[0:3], 0 offset:524
	buffer_load_dword v174, off, s[0:3], 0 offset:520
	buffer_load_dword v177, off, s[0:3], 0 offset:516
	buffer_load_dword v176, off, s[0:3], 0 offset:512
	buffer_load_dword v179, off, s[0:3], 0 offset:508
	buffer_load_dword v178, off, s[0:3], 0 offset:504
	buffer_load_dword v185, off, s[0:3], 0 offset:500
	buffer_load_dword v184, off, s[0:3], 0 offset:496
	buffer_load_dword v187, off, s[0:3], 0 offset:540
	buffer_load_dword v186, off, s[0:3], 0 offset:536
	buffer_load_dword v189, off, s[0:3], 0 offset:532
	buffer_load_dword v188, off, s[0:3], 0 offset:528
	s_waitcnt vmcnt(62) lgkmcnt(3)
	v_mul_f64 v[88:89], v[14:15], v[28:29]
	v_fmac_f64_e32 v[88:89], v[16:17], v[22:23]
	s_waitcnt lgkmcnt(2)
	v_mul_f64 v[90:91], v[10:11], v[30:31]
	v_add_f64 v[88:89], v[88:89], 0
	v_fmac_f64_e32 v[90:91], v[12:13], v[24:25]
	v_add_f64 v[88:89], v[88:89], v[90:91]
	s_waitcnt lgkmcnt(1)
	v_mul_f64 v[90:91], v[6:7], v[32:33]
	v_fmac_f64_e32 v[90:91], v[8:9], v[26:27]
	v_add_f64 v[92:93], v[88:89], v[90:91]
	ds_read_b128 v[88:91], v86 offset:768
	v_mul_f64 v[16:17], v[16:17], v[28:29]
	v_fma_f64 v[14:15], v[14:15], v[22:23], -v[16:17]
	s_waitcnt lgkmcnt(1)
	v_mul_f64 v[94:95], v[2:3], v[38:39]
	v_mul_f64 v[12:13], v[12:13], v[30:31]
	v_fmac_f64_e32 v[94:95], v[4:5], v[40:41]
	v_add_f64 v[96:97], v[92:93], v[94:95]
	ds_read_b128 v[92:95], v86 offset:784
	s_waitcnt lgkmcnt(1)
	v_mul_f64 v[98:99], v[88:89], v[34:35]
	v_fmac_f64_e32 v[98:99], v[90:91], v[36:37]
	v_add_f64 v[100:101], v[96:97], v[98:99]
	ds_read_b128 v[96:99], v86 offset:800
	s_waitcnt lgkmcnt(1)
	v_mul_f64 v[102:103], v[92:93], v[46:47]
	s_waitcnt vmcnt(60)
	v_fmac_f64_e32 v[102:103], v[94:95], v[48:49]
	v_add_f64 v[104:105], v[100:101], v[102:103]
	ds_read_b128 v[100:103], v86 offset:816
	s_waitcnt lgkmcnt(1)
	v_mul_f64 v[106:107], v[96:97], v[42:43]
	v_fmac_f64_e32 v[106:107], v[98:99], v[44:45]
	v_add_f64 v[108:109], v[104:105], v[106:107]
	ds_read_b128 v[104:107], v86 offset:832
	s_waitcnt vmcnt(54) lgkmcnt(1)
	v_mul_f64 v[110:111], v[100:101], v[54:55]
	s_waitcnt vmcnt(52)
	v_fmac_f64_e32 v[110:111], v[102:103], v[56:57]
	v_add_f64 v[112:113], v[108:109], v[110:111]
	ds_read_b128 v[108:111], v86 offset:848
	s_waitcnt lgkmcnt(1)
	v_mul_f64 v[114:115], v[104:105], v[50:51]
	v_fmac_f64_e32 v[114:115], v[106:107], v[52:53]
	v_add_f64 v[120:121], v[112:113], v[114:115]
	ds_read_b128 v[112:115], v86 offset:864
	s_waitcnt vmcnt(46) lgkmcnt(1)
	v_mul_f64 v[122:123], v[108:109], v[62:63]
	s_waitcnt vmcnt(44)
	v_fmac_f64_e32 v[122:123], v[110:111], v[64:65]
	v_add_f64 v[124:125], v[120:121], v[122:123]
	ds_read_b128 v[120:123], v86 offset:880
	s_waitcnt lgkmcnt(1)
	v_mul_f64 v[126:127], v[112:113], v[58:59]
	v_fmac_f64_e32 v[126:127], v[114:115], v[60:61]
	v_add_f64 v[14:15], v[14:15], 0
	v_fma_f64 v[10:11], v[10:11], v[24:25], -v[12:13]
	v_mul_f64 v[8:9], v[8:9], v[32:33]
	v_add_f64 v[128:129], v[124:125], v[126:127]
	ds_read_b128 v[124:127], v86 offset:896
	v_add_f64 v[10:11], v[14:15], v[10:11]
	v_fma_f64 v[6:7], v[6:7], v[26:27], -v[8:9]
	v_mul_f64 v[4:5], v[4:5], v[38:39]
	v_add_f64 v[6:7], v[10:11], v[6:7]
	v_fma_f64 v[2:3], v[2:3], v[40:41], -v[4:5]
	v_mul_f64 v[4:5], v[90:91], v[34:35]
	v_add_f64 v[2:3], v[6:7], v[2:3]
	v_fma_f64 v[4:5], v[88:89], v[36:37], -v[4:5]
	s_waitcnt vmcnt(38) lgkmcnt(1)
	v_mul_f64 v[130:131], v[120:121], v[70:71]
	v_add_f64 v[2:3], v[2:3], v[4:5]
	v_mul_f64 v[4:5], v[94:95], v[46:47]
	s_waitcnt vmcnt(36)
	v_fmac_f64_e32 v[130:131], v[122:123], v[72:73]
	v_fma_f64 v[4:5], v[92:93], v[48:49], -v[4:5]
	v_add_f64 v[132:133], v[128:129], v[130:131]
	ds_read_b128 v[128:131], v86 offset:912
	s_waitcnt lgkmcnt(1)
	v_mul_f64 v[134:135], v[124:125], v[66:67]
	v_add_f64 v[2:3], v[2:3], v[4:5]
	v_mul_f64 v[4:5], v[98:99], v[42:43]
	v_fmac_f64_e32 v[134:135], v[126:127], v[68:69]
	v_fma_f64 v[4:5], v[96:97], v[44:45], -v[4:5]
	v_add_f64 v[136:137], v[132:133], v[134:135]
	ds_read_b128 v[132:135], v86 offset:928
	v_add_f64 v[2:3], v[2:3], v[4:5]
	v_mul_f64 v[4:5], v[102:103], v[54:55]
	v_fma_f64 v[4:5], v[100:101], v[56:57], -v[4:5]
	v_add_f64 v[2:3], v[2:3], v[4:5]
	v_mul_f64 v[4:5], v[106:107], v[50:51]
	s_waitcnt vmcnt(30) lgkmcnt(1)
	v_mul_f64 v[138:139], v[128:129], v[78:79]
	v_fma_f64 v[4:5], v[104:105], v[52:53], -v[4:5]
	s_waitcnt vmcnt(28)
	v_fmac_f64_e32 v[138:139], v[130:131], v[80:81]
	v_add_f64 v[2:3], v[2:3], v[4:5]
	v_mul_f64 v[4:5], v[110:111], v[62:63]
	v_add_f64 v[140:141], v[136:137], v[138:139]
	ds_read_b128 v[136:139], v86 offset:944
	s_waitcnt lgkmcnt(1)
	v_mul_f64 v[142:143], v[132:133], v[74:75]
	v_fma_f64 v[4:5], v[108:109], v[64:65], -v[4:5]
	v_fmac_f64_e32 v[142:143], v[134:135], v[76:77]
	v_add_f64 v[2:3], v[2:3], v[4:5]
	v_mul_f64 v[4:5], v[114:115], v[58:59]
	v_add_f64 v[144:145], v[140:141], v[142:143]
	ds_read_b128 v[140:143], v86 offset:960
	v_fma_f64 v[4:5], v[112:113], v[60:61], -v[4:5]
	v_add_f64 v[2:3], v[2:3], v[4:5]
	v_mul_f64 v[4:5], v[122:123], v[70:71]
	v_fma_f64 v[4:5], v[120:121], v[72:73], -v[4:5]
	s_waitcnt vmcnt(22) lgkmcnt(1)
	v_mul_f64 v[146:147], v[136:137], v[116:117]
	v_add_f64 v[2:3], v[2:3], v[4:5]
	v_mul_f64 v[4:5], v[126:127], v[66:67]
	s_waitcnt vmcnt(20)
	v_fmac_f64_e32 v[146:147], v[138:139], v[164:165]
	v_fma_f64 v[4:5], v[124:125], v[68:69], -v[4:5]
	v_add_f64 v[148:149], v[144:145], v[146:147]
	ds_read_b128 v[144:147], v86 offset:976
	s_waitcnt lgkmcnt(1)
	v_mul_f64 v[150:151], v[140:141], v[82:83]
	v_add_f64 v[2:3], v[2:3], v[4:5]
	v_mul_f64 v[4:5], v[130:131], v[78:79]
	v_fmac_f64_e32 v[150:151], v[142:143], v[84:85]
	v_fma_f64 v[4:5], v[128:129], v[80:81], -v[4:5]
	v_add_f64 v[152:153], v[148:149], v[150:151]
	ds_read_b128 v[148:151], v86 offset:992
	v_add_f64 v[2:3], v[2:3], v[4:5]
	v_mul_f64 v[4:5], v[134:135], v[74:75]
	v_fma_f64 v[4:5], v[132:133], v[76:77], -v[4:5]
	v_add_f64 v[2:3], v[2:3], v[4:5]
	v_mul_f64 v[4:5], v[138:139], v[116:117]
	s_waitcnt vmcnt(14) lgkmcnt(1)
	v_mul_f64 v[154:155], v[144:145], v[170:171]
	v_fma_f64 v[4:5], v[136:137], v[164:165], -v[4:5]
	s_waitcnt vmcnt(12)
	v_fmac_f64_e32 v[154:155], v[146:147], v[172:173]
	v_add_f64 v[2:3], v[2:3], v[4:5]
	v_mul_f64 v[4:5], v[142:143], v[82:83]
	v_add_f64 v[156:157], v[152:153], v[154:155]
	ds_read_b128 v[152:155], v86 offset:1008
	s_waitcnt lgkmcnt(1)
	v_mul_f64 v[158:159], v[148:149], v[166:167]
	v_fma_f64 v[4:5], v[140:141], v[84:85], -v[4:5]
	v_fmac_f64_e32 v[158:159], v[150:151], v[168:169]
	v_add_f64 v[2:3], v[2:3], v[4:5]
	v_mul_f64 v[4:5], v[146:147], v[170:171]
	v_add_f64 v[190:191], v[156:157], v[158:159]
	ds_read_b128 v[156:159], v86 offset:1024
	ds_read_b128 v[160:163], v86 offset:1040
	v_fma_f64 v[4:5], v[144:145], v[172:173], -v[4:5]
	v_add_f64 v[2:3], v[2:3], v[4:5]
	v_mul_f64 v[4:5], v[150:151], v[166:167]
	v_fma_f64 v[4:5], v[148:149], v[168:169], -v[4:5]
	v_add_f64 v[2:3], v[2:3], v[4:5]
	s_waitcnt vmcnt(6) lgkmcnt(2)
	v_mul_f64 v[4:5], v[154:155], v[178:179]
	v_mul_f64 v[192:193], v[152:153], v[178:179]
	s_waitcnt vmcnt(4)
	v_fma_f64 v[4:5], v[152:153], v[184:185], -v[4:5]
	v_fmac_f64_e32 v[192:193], v[154:155], v[184:185]
	v_add_f64 v[2:3], v[2:3], v[4:5]
	s_waitcnt lgkmcnt(1)
	v_mul_f64 v[4:5], v[158:159], v[174:175]
	v_add_f64 v[86:87], v[190:191], v[192:193]
	v_mul_f64 v[190:191], v[156:157], v[174:175]
	v_fma_f64 v[4:5], v[156:157], v[176:177], -v[4:5]
	v_fmac_f64_e32 v[190:191], v[158:159], v[176:177]
	v_add_f64 v[2:3], v[2:3], v[4:5]
	s_waitcnt vmcnt(2) lgkmcnt(0)
	v_mul_f64 v[4:5], v[162:163], v[186:187]
	v_add_f64 v[86:87], v[86:87], v[190:191]
	v_mul_f64 v[190:191], v[160:161], v[186:187]
	s_waitcnt vmcnt(0)
	v_fma_f64 v[4:5], v[160:161], v[188:189], -v[4:5]
	v_fmac_f64_e32 v[190:191], v[162:163], v[188:189]
	v_add_f64 v[2:3], v[2:3], v[4:5]
	v_add_f64 v[86:87], v[86:87], v[190:191]
	v_add_f64 v[2:3], v[20:21], -v[2:3]
	v_cmp_lt_u32_e32 vcc, 9, v0
	v_add_f64 v[4:5], v[18:19], -v[86:87]
	buffer_store_dword v3, off, s[0:3], 0 offset:180
	buffer_store_dword v2, off, s[0:3], 0 offset:176
	;; [unrolled: 1-line block ×4, first 2 shown]
	s_and_saveexec_b64 s[4:5], vcc
	s_cbranch_execz .LBB96_193
; %bb.192:
	v_accvgpr_read_b32 v5, a83
	buffer_load_dword v2, v5, s[0:3], 0 offen
	buffer_load_dword v3, v5, s[0:3], 0 offen offset:4
	buffer_load_dword v4, v5, s[0:3], 0 offen offset:8
	s_nop 0
	buffer_load_dword v5, v5, s[0:3], 0 offen offset:12
	v_mov_b32_e32 v6, 0
	buffer_store_dword v6, off, s[0:3], 0 offset:160
	buffer_store_dword v6, off, s[0:3], 0 offset:164
	;; [unrolled: 1-line block ×4, first 2 shown]
	s_waitcnt vmcnt(4)
	ds_write_b128 v1, v[2:5]
.LBB96_193:
	s_or_b64 exec, exec, s[4:5]
	s_waitcnt lgkmcnt(0)
	; wave barrier
	s_waitcnt lgkmcnt(0)
	buffer_load_dword v9, off, s[0:3], 0 offset:188
	buffer_load_dword v6, off, s[0:3], 0 offset:200
	;; [unrolled: 1-line block ×64, first 2 shown]
	v_mov_b32_e32 v98, 0
	ds_read_b128 v[74:77], v98 offset:688
	ds_read_b128 v[78:81], v98 offset:704
	buffer_load_dword v67, off, s[0:3], 0 offset:444
	buffer_load_dword v66, off, s[0:3], 0 offset:440
	;; [unrolled: 1-line block ×8, first 2 shown]
	ds_read_b128 v[82:85], v98 offset:720
	ds_read_b128 v[86:89], v98 offset:736
	buffer_load_dword v117, off, s[0:3], 0 offset:476
	buffer_load_dword v116, off, s[0:3], 0 offset:472
	;; [unrolled: 1-line block ×24, first 2 shown]
	ds_read_b128 v[168:171], v98 offset:1040
	v_cmp_lt_u32_e32 vcc, 8, v0
	s_waitcnt vmcnt(62) lgkmcnt(1)
	v_mul_f64 v[96:97], v[86:87], v[22:23]
	v_fmac_f64_e32 v[96:97], v[88:89], v[24:25]
	v_mul_f64 v[92:93], v[78:79], v[6:7]
	v_mul_f64 v[90:91], v[74:75], v[8:9]
	;; [unrolled: 1-line block ×3, first 2 shown]
	v_fmac_f64_e32 v[90:91], v[76:77], v[10:11]
	v_add_f64 v[90:91], v[90:91], 0
	v_fma_f64 v[8:9], v[74:75], v[10:11], -v[8:9]
	v_mul_f64 v[6:7], v[80:81], v[6:7]
	v_add_f64 v[8:9], v[8:9], 0
	v_fmac_f64_e32 v[92:93], v[80:81], v[14:15]
	v_add_f64 v[90:91], v[90:91], v[92:93]
	v_mul_f64 v[92:93], v[82:83], v[16:17]
	v_fmac_f64_e32 v[92:93], v[84:85], v[12:13]
	v_add_f64 v[94:95], v[90:91], v[92:93]
	ds_read_b128 v[90:93], v98 offset:752
	v_add_f64 v[100:101], v[94:95], v[96:97]
	ds_read_b128 v[94:97], v98 offset:768
	v_fma_f64 v[6:7], v[78:79], v[14:15], -v[6:7]
	v_add_f64 v[6:7], v[8:9], v[6:7]
	s_waitcnt lgkmcnt(1)
	v_mul_f64 v[102:103], v[90:91], v[18:19]
	v_fmac_f64_e32 v[102:103], v[92:93], v[20:21]
	v_add_f64 v[104:105], v[100:101], v[102:103]
	ds_read_b128 v[100:103], v98 offset:784
	s_waitcnt lgkmcnt(1)
	v_mul_f64 v[106:107], v[94:95], v[30:31]
	v_fmac_f64_e32 v[106:107], v[96:97], v[32:33]
	v_add_f64 v[108:109], v[104:105], v[106:107]
	ds_read_b128 v[104:107], v98 offset:800
	s_waitcnt lgkmcnt(1)
	v_mul_f64 v[110:111], v[100:101], v[26:27]
	v_fmac_f64_e32 v[110:111], v[102:103], v[28:29]
	v_add_f64 v[112:113], v[108:109], v[110:111]
	ds_read_b128 v[108:111], v98 offset:816
	s_waitcnt vmcnt(58) lgkmcnt(1)
	v_mul_f64 v[114:115], v[104:105], v[38:39]
	s_waitcnt vmcnt(56)
	v_fmac_f64_e32 v[114:115], v[106:107], v[40:41]
	v_add_f64 v[120:121], v[112:113], v[114:115]
	ds_read_b128 v[112:115], v98 offset:832
	s_waitcnt lgkmcnt(1)
	v_mul_f64 v[122:123], v[108:109], v[34:35]
	v_fmac_f64_e32 v[122:123], v[110:111], v[36:37]
	v_add_f64 v[124:125], v[120:121], v[122:123]
	ds_read_b128 v[120:123], v98 offset:848
	s_waitcnt vmcnt(50) lgkmcnt(1)
	v_mul_f64 v[126:127], v[112:113], v[46:47]
	s_waitcnt vmcnt(48)
	v_fmac_f64_e32 v[126:127], v[114:115], v[48:49]
	v_add_f64 v[128:129], v[124:125], v[126:127]
	ds_read_b128 v[124:127], v98 offset:864
	v_mul_f64 v[8:9], v[84:85], v[16:17]
	s_waitcnt lgkmcnt(1)
	v_mul_f64 v[130:131], v[120:121], v[42:43]
	v_fma_f64 v[8:9], v[82:83], v[12:13], -v[8:9]
	v_fmac_f64_e32 v[130:131], v[122:123], v[44:45]
	v_add_f64 v[6:7], v[6:7], v[8:9]
	v_mul_f64 v[8:9], v[88:89], v[22:23]
	v_add_f64 v[132:133], v[128:129], v[130:131]
	ds_read_b128 v[128:131], v98 offset:880
	s_waitcnt vmcnt(42) lgkmcnt(1)
	v_mul_f64 v[134:135], v[124:125], v[54:55]
	v_fma_f64 v[8:9], v[86:87], v[24:25], -v[8:9]
	s_waitcnt vmcnt(40)
	v_fmac_f64_e32 v[134:135], v[126:127], v[56:57]
	v_add_f64 v[6:7], v[6:7], v[8:9]
	v_mul_f64 v[8:9], v[92:93], v[18:19]
	v_add_f64 v[136:137], v[132:133], v[134:135]
	ds_read_b128 v[132:135], v98 offset:896
	v_fma_f64 v[8:9], v[90:91], v[20:21], -v[8:9]
	v_add_f64 v[6:7], v[6:7], v[8:9]
	v_mul_f64 v[8:9], v[96:97], v[30:31]
	v_fma_f64 v[8:9], v[94:95], v[32:33], -v[8:9]
	s_waitcnt lgkmcnt(1)
	v_mul_f64 v[138:139], v[128:129], v[50:51]
	v_add_f64 v[6:7], v[6:7], v[8:9]
	v_mul_f64 v[8:9], v[102:103], v[26:27]
	v_fmac_f64_e32 v[138:139], v[130:131], v[52:53]
	v_fma_f64 v[8:9], v[100:101], v[28:29], -v[8:9]
	v_add_f64 v[140:141], v[136:137], v[138:139]
	ds_read_b128 v[136:139], v98 offset:912
	s_waitcnt vmcnt(34) lgkmcnt(1)
	v_mul_f64 v[142:143], v[132:133], v[62:63]
	v_add_f64 v[6:7], v[6:7], v[8:9]
	v_mul_f64 v[8:9], v[106:107], v[38:39]
	s_waitcnt vmcnt(32)
	v_fmac_f64_e32 v[142:143], v[134:135], v[64:65]
	v_fma_f64 v[8:9], v[104:105], v[40:41], -v[8:9]
	v_add_f64 v[144:145], v[140:141], v[142:143]
	ds_read_b128 v[140:143], v98 offset:928
	v_add_f64 v[6:7], v[6:7], v[8:9]
	v_mul_f64 v[8:9], v[110:111], v[34:35]
	v_fma_f64 v[8:9], v[108:109], v[36:37], -v[8:9]
	v_add_f64 v[6:7], v[6:7], v[8:9]
	v_mul_f64 v[8:9], v[114:115], v[46:47]
	s_waitcnt lgkmcnt(1)
	v_mul_f64 v[146:147], v[136:137], v[58:59]
	v_fma_f64 v[8:9], v[112:113], v[48:49], -v[8:9]
	v_fmac_f64_e32 v[146:147], v[138:139], v[60:61]
	v_add_f64 v[6:7], v[6:7], v[8:9]
	v_mul_f64 v[8:9], v[122:123], v[42:43]
	v_add_f64 v[148:149], v[144:145], v[146:147]
	ds_read_b128 v[144:147], v98 offset:944
	s_waitcnt vmcnt(26) lgkmcnt(1)
	v_mul_f64 v[150:151], v[140:141], v[70:71]
	v_fma_f64 v[8:9], v[120:121], v[44:45], -v[8:9]
	s_waitcnt vmcnt(24)
	v_fmac_f64_e32 v[150:151], v[142:143], v[72:73]
	v_add_f64 v[6:7], v[6:7], v[8:9]
	v_mul_f64 v[8:9], v[126:127], v[54:55]
	v_add_f64 v[152:153], v[148:149], v[150:151]
	ds_read_b128 v[148:151], v98 offset:960
	v_fma_f64 v[8:9], v[124:125], v[56:57], -v[8:9]
	v_add_f64 v[6:7], v[6:7], v[8:9]
	v_mul_f64 v[8:9], v[130:131], v[50:51]
	v_fma_f64 v[8:9], v[128:129], v[52:53], -v[8:9]
	s_waitcnt lgkmcnt(1)
	v_mul_f64 v[154:155], v[144:145], v[66:67]
	v_add_f64 v[6:7], v[6:7], v[8:9]
	v_mul_f64 v[8:9], v[134:135], v[62:63]
	v_fmac_f64_e32 v[154:155], v[146:147], v[68:69]
	v_fma_f64 v[8:9], v[132:133], v[64:65], -v[8:9]
	v_add_f64 v[156:157], v[152:153], v[154:155]
	ds_read_b128 v[152:155], v98 offset:976
	s_waitcnt vmcnt(18) lgkmcnt(1)
	v_mul_f64 v[158:159], v[148:149], v[174:175]
	v_add_f64 v[6:7], v[6:7], v[8:9]
	v_mul_f64 v[8:9], v[138:139], v[58:59]
	s_waitcnt vmcnt(16)
	v_fmac_f64_e32 v[158:159], v[150:151], v[176:177]
	v_fma_f64 v[8:9], v[136:137], v[60:61], -v[8:9]
	v_add_f64 v[160:161], v[156:157], v[158:159]
	ds_read_b128 v[156:159], v98 offset:992
	v_add_f64 v[6:7], v[6:7], v[8:9]
	v_mul_f64 v[8:9], v[142:143], v[70:71]
	v_fma_f64 v[8:9], v[140:141], v[72:73], -v[8:9]
	v_add_f64 v[6:7], v[6:7], v[8:9]
	v_mul_f64 v[8:9], v[146:147], v[66:67]
	s_waitcnt lgkmcnt(1)
	v_mul_f64 v[162:163], v[152:153], v[116:117]
	v_fma_f64 v[8:9], v[144:145], v[68:69], -v[8:9]
	v_fmac_f64_e32 v[162:163], v[154:155], v[172:173]
	v_add_f64 v[6:7], v[6:7], v[8:9]
	v_mul_f64 v[8:9], v[150:151], v[174:175]
	v_add_f64 v[164:165], v[160:161], v[162:163]
	ds_read_b128 v[160:163], v98 offset:1008
	s_waitcnt vmcnt(10) lgkmcnt(1)
	v_mul_f64 v[166:167], v[156:157], v[186:187]
	v_fma_f64 v[8:9], v[148:149], v[176:177], -v[8:9]
	s_waitcnt vmcnt(8)
	v_fmac_f64_e32 v[166:167], v[158:159], v[188:189]
	v_add_f64 v[6:7], v[6:7], v[8:9]
	v_mul_f64 v[8:9], v[154:155], v[116:117]
	v_add_f64 v[198:199], v[164:165], v[166:167]
	ds_read_b128 v[164:167], v98 offset:1024
	v_fma_f64 v[8:9], v[152:153], v[172:173], -v[8:9]
	v_add_f64 v[6:7], v[6:7], v[8:9]
	v_mul_f64 v[8:9], v[158:159], v[186:187]
	v_fma_f64 v[8:9], v[156:157], v[188:189], -v[8:9]
	v_add_f64 v[6:7], v[6:7], v[8:9]
	s_waitcnt lgkmcnt(1)
	v_mul_f64 v[8:9], v[162:163], v[178:179]
	v_mul_f64 v[200:201], v[160:161], v[178:179]
	v_fma_f64 v[8:9], v[160:161], v[184:185], -v[8:9]
	v_fmac_f64_e32 v[200:201], v[162:163], v[184:185]
	v_add_f64 v[6:7], v[6:7], v[8:9]
	s_waitcnt vmcnt(2) lgkmcnt(0)
	v_mul_f64 v[8:9], v[166:167], v[194:195]
	v_add_f64 v[198:199], v[198:199], v[200:201]
	v_mul_f64 v[200:201], v[164:165], v[194:195]
	s_waitcnt vmcnt(0)
	v_fma_f64 v[8:9], v[164:165], v[196:197], -v[8:9]
	v_fmac_f64_e32 v[200:201], v[166:167], v[196:197]
	v_add_f64 v[6:7], v[6:7], v[8:9]
	v_mul_f64 v[8:9], v[170:171], v[190:191]
	v_add_f64 v[198:199], v[198:199], v[200:201]
	v_mul_f64 v[200:201], v[168:169], v[190:191]
	v_fma_f64 v[8:9], v[168:169], v[192:193], -v[8:9]
	v_fmac_f64_e32 v[200:201], v[170:171], v[192:193]
	v_add_f64 v[6:7], v[6:7], v[8:9]
	v_add_f64 v[198:199], v[198:199], v[200:201]
	v_add_f64 v[4:5], v[4:5], -v[6:7]
	v_add_f64 v[2:3], v[2:3], -v[198:199]
	buffer_store_dword v5, off, s[0:3], 0 offset:164
	buffer_store_dword v4, off, s[0:3], 0 offset:160
	;; [unrolled: 1-line block ×4, first 2 shown]
	s_and_saveexec_b64 s[4:5], vcc
	s_cbranch_execz .LBB96_195
; %bb.194:
	v_accvgpr_read_b32 v5, a84
	buffer_load_dword v2, v5, s[0:3], 0 offen
	buffer_load_dword v3, v5, s[0:3], 0 offen offset:4
	buffer_load_dword v4, v5, s[0:3], 0 offen offset:8
	s_nop 0
	buffer_load_dword v5, v5, s[0:3], 0 offen offset:12
	s_nop 0
	buffer_store_dword v98, off, s[0:3], 0 offset:144
	buffer_store_dword v98, off, s[0:3], 0 offset:148
	;; [unrolled: 1-line block ×4, first 2 shown]
	s_waitcnt vmcnt(4)
	ds_write_b128 v1, v[2:5]
.LBB96_195:
	s_or_b64 exec, exec, s[4:5]
	s_waitcnt lgkmcnt(0)
	; wave barrier
	s_waitcnt lgkmcnt(0)
	buffer_load_dword v22, off, s[0:3], 0 offset:160
	buffer_load_dword v23, off, s[0:3], 0 offset:164
	;; [unrolled: 1-line block ×16, first 2 shown]
	ds_read_b128 v[2:5], v98 offset:672
	ds_read_b128 v[6:9], v98 offset:688
	;; [unrolled: 1-line block ×4, first 2 shown]
	buffer_load_dword v35, off, s[0:3], 0 offset:236
	buffer_load_dword v34, off, s[0:3], 0 offset:232
	;; [unrolled: 1-line block ×48, first 2 shown]
	v_cmp_lt_u32_e32 vcc, 7, v0
	s_waitcnt vmcnt(42) lgkmcnt(0)
	v_mul_f64 v[106:107], v[14:15], v[38:39]
	s_waitcnt vmcnt(40)
	v_fmac_f64_e32 v[106:107], v[16:17], v[40:41]
	v_mul_f64 v[82:83], v[2:3], v[24:25]
	v_fmac_f64_e32 v[82:83], v[4:5], v[22:23]
	v_add_f64 v[82:83], v[82:83], 0
	v_mul_f64 v[4:5], v[4:5], v[24:25]
	v_mul_f64 v[84:85], v[6:7], v[32:33]
	v_fma_f64 v[2:3], v[2:3], v[22:23], -v[4:5]
	v_mul_f64 v[100:101], v[10:11], v[26:27]
	v_fmac_f64_e32 v[100:101], v[12:13], v[30:31]
	v_fmac_f64_e32 v[84:85], v[8:9], v[28:29]
	v_add_f64 v[102:103], v[82:83], v[84:85]
	buffer_load_dword v83, off, s[0:3], 0 offset:428
	buffer_load_dword v82, off, s[0:3], 0 offset:424
	;; [unrolled: 1-line block ×32, first 2 shown]
	v_add_f64 v[104:105], v[102:103], v[100:101]
	ds_read_b128 v[100:103], v98 offset:736
	buffer_load_dword v203, off, s[0:3], 0 offset:540
	buffer_load_dword v202, off, s[0:3], 0 offset:536
	;; [unrolled: 1-line block ×4, first 2 shown]
	v_add_f64 v[108:109], v[104:105], v[106:107]
	ds_read_b128 v[104:107], v98 offset:752
	v_mul_f64 v[4:5], v[8:9], v[32:33]
	s_waitcnt lgkmcnt(1)
	v_mul_f64 v[110:111], v[100:101], v[34:35]
	v_fmac_f64_e32 v[110:111], v[102:103], v[36:37]
	v_add_f64 v[112:113], v[108:109], v[110:111]
	ds_read_b128 v[108:111], v98 offset:768
	s_waitcnt vmcnt(62) lgkmcnt(1)
	v_mul_f64 v[114:115], v[104:105], v[46:47]
	v_fmac_f64_e32 v[114:115], v[106:107], v[48:49]
	v_add_f64 v[120:121], v[112:113], v[114:115]
	ds_read_b128 v[112:115], v98 offset:784
	s_waitcnt lgkmcnt(1)
	v_mul_f64 v[122:123], v[108:109], v[42:43]
	v_fmac_f64_e32 v[122:123], v[110:111], v[44:45]
	v_add_f64 v[124:125], v[120:121], v[122:123]
	ds_read_b128 v[120:123], v98 offset:800
	s_waitcnt lgkmcnt(1)
	v_mul_f64 v[126:127], v[112:113], v[54:55]
	s_waitcnt vmcnt(60)
	v_fmac_f64_e32 v[126:127], v[114:115], v[56:57]
	v_add_f64 v[128:129], v[124:125], v[126:127]
	ds_read_b128 v[124:127], v98 offset:816
	s_waitcnt lgkmcnt(1)
	v_mul_f64 v[130:131], v[120:121], v[50:51]
	v_fmac_f64_e32 v[130:131], v[122:123], v[52:53]
	v_add_f64 v[132:133], v[128:129], v[130:131]
	ds_read_b128 v[128:131], v98 offset:832
	s_waitcnt vmcnt(54) lgkmcnt(1)
	v_mul_f64 v[134:135], v[124:125], v[62:63]
	s_waitcnt vmcnt(52)
	v_fmac_f64_e32 v[134:135], v[126:127], v[64:65]
	v_add_f64 v[136:137], v[132:133], v[134:135]
	ds_read_b128 v[132:135], v98 offset:848
	s_waitcnt lgkmcnt(1)
	v_mul_f64 v[138:139], v[128:129], v[58:59]
	v_fmac_f64_e32 v[138:139], v[130:131], v[60:61]
	v_add_f64 v[2:3], v[2:3], 0
	v_fma_f64 v[4:5], v[6:7], v[28:29], -v[4:5]
	v_add_f64 v[140:141], v[136:137], v[138:139]
	ds_read_b128 v[136:139], v98 offset:864
	v_add_f64 v[2:3], v[2:3], v[4:5]
	v_mul_f64 v[4:5], v[12:13], v[26:27]
	v_fma_f64 v[4:5], v[10:11], v[30:31], -v[4:5]
	v_add_f64 v[2:3], v[2:3], v[4:5]
	v_mul_f64 v[4:5], v[16:17], v[38:39]
	s_waitcnt vmcnt(46) lgkmcnt(1)
	v_mul_f64 v[142:143], v[132:133], v[70:71]
	v_fma_f64 v[4:5], v[14:15], v[40:41], -v[4:5]
	s_waitcnt vmcnt(44)
	v_fmac_f64_e32 v[142:143], v[134:135], v[72:73]
	v_add_f64 v[2:3], v[2:3], v[4:5]
	v_mul_f64 v[4:5], v[102:103], v[34:35]
	v_add_f64 v[144:145], v[140:141], v[142:143]
	ds_read_b128 v[140:143], v98 offset:880
	s_waitcnt lgkmcnt(1)
	v_mul_f64 v[146:147], v[136:137], v[66:67]
	v_fma_f64 v[4:5], v[100:101], v[36:37], -v[4:5]
	v_fmac_f64_e32 v[146:147], v[138:139], v[68:69]
	v_add_f64 v[2:3], v[2:3], v[4:5]
	v_mul_f64 v[4:5], v[106:107], v[46:47]
	v_add_f64 v[148:149], v[144:145], v[146:147]
	ds_read_b128 v[144:147], v98 offset:896
	v_fma_f64 v[4:5], v[104:105], v[48:49], -v[4:5]
	v_add_f64 v[2:3], v[2:3], v[4:5]
	v_mul_f64 v[4:5], v[110:111], v[42:43]
	v_fma_f64 v[4:5], v[108:109], v[44:45], -v[4:5]
	s_waitcnt vmcnt(38) lgkmcnt(1)
	v_mul_f64 v[150:151], v[140:141], v[78:79]
	v_add_f64 v[2:3], v[2:3], v[4:5]
	v_mul_f64 v[4:5], v[114:115], v[54:55]
	s_waitcnt vmcnt(36)
	v_fmac_f64_e32 v[150:151], v[142:143], v[80:81]
	v_fma_f64 v[4:5], v[112:113], v[56:57], -v[4:5]
	v_add_f64 v[152:153], v[148:149], v[150:151]
	ds_read_b128 v[148:151], v98 offset:912
	s_waitcnt lgkmcnt(1)
	v_mul_f64 v[154:155], v[144:145], v[74:75]
	v_add_f64 v[2:3], v[2:3], v[4:5]
	v_mul_f64 v[4:5], v[122:123], v[50:51]
	v_fmac_f64_e32 v[154:155], v[146:147], v[76:77]
	v_fma_f64 v[4:5], v[120:121], v[52:53], -v[4:5]
	v_add_f64 v[156:157], v[152:153], v[154:155]
	ds_read_b128 v[152:155], v98 offset:928
	v_add_f64 v[2:3], v[2:3], v[4:5]
	v_mul_f64 v[4:5], v[126:127], v[62:63]
	v_fma_f64 v[4:5], v[124:125], v[64:65], -v[4:5]
	v_add_f64 v[2:3], v[2:3], v[4:5]
	v_mul_f64 v[4:5], v[130:131], v[58:59]
	s_waitcnt vmcnt(30) lgkmcnt(1)
	v_mul_f64 v[158:159], v[148:149], v[86:87]
	v_fma_f64 v[4:5], v[128:129], v[60:61], -v[4:5]
	s_waitcnt vmcnt(28)
	v_fmac_f64_e32 v[158:159], v[150:151], v[88:89]
	v_add_f64 v[2:3], v[2:3], v[4:5]
	v_mul_f64 v[4:5], v[134:135], v[70:71]
	v_add_f64 v[160:161], v[156:157], v[158:159]
	ds_read_b128 v[156:159], v98 offset:944
	s_waitcnt lgkmcnt(1)
	v_mul_f64 v[162:163], v[152:153], v[82:83]
	v_fma_f64 v[4:5], v[132:133], v[72:73], -v[4:5]
	v_fmac_f64_e32 v[162:163], v[154:155], v[84:85]
	v_add_f64 v[2:3], v[2:3], v[4:5]
	v_mul_f64 v[4:5], v[138:139], v[66:67]
	v_add_f64 v[164:165], v[160:161], v[162:163]
	ds_read_b128 v[160:163], v98 offset:960
	v_fma_f64 v[4:5], v[136:137], v[68:69], -v[4:5]
	v_add_f64 v[2:3], v[2:3], v[4:5]
	v_mul_f64 v[4:5], v[142:143], v[78:79]
	v_fma_f64 v[4:5], v[140:141], v[80:81], -v[4:5]
	s_waitcnt vmcnt(22) lgkmcnt(1)
	v_mul_f64 v[166:167], v[156:157], v[94:95]
	v_add_f64 v[2:3], v[2:3], v[4:5]
	v_mul_f64 v[4:5], v[146:147], v[74:75]
	s_waitcnt vmcnt(20)
	v_fmac_f64_e32 v[166:167], v[158:159], v[96:97]
	v_fma_f64 v[4:5], v[144:145], v[76:77], -v[4:5]
	v_add_f64 v[168:169], v[164:165], v[166:167]
	ds_read_b128 v[164:167], v98 offset:976
	s_waitcnt lgkmcnt(1)
	v_mul_f64 v[170:171], v[160:161], v[90:91]
	v_add_f64 v[2:3], v[2:3], v[4:5]
	v_mul_f64 v[4:5], v[150:151], v[86:87]
	v_fmac_f64_e32 v[170:171], v[162:163], v[92:93]
	v_fma_f64 v[4:5], v[148:149], v[88:89], -v[4:5]
	v_add_f64 v[172:173], v[168:169], v[170:171]
	ds_read_b128 v[168:171], v98 offset:992
	v_add_f64 v[2:3], v[2:3], v[4:5]
	v_mul_f64 v[4:5], v[154:155], v[82:83]
	v_fma_f64 v[4:5], v[152:153], v[84:85], -v[4:5]
	v_add_f64 v[2:3], v[2:3], v[4:5]
	v_mul_f64 v[4:5], v[158:159], v[94:95]
	s_waitcnt vmcnt(14) lgkmcnt(1)
	v_mul_f64 v[174:175], v[164:165], v[178:179]
	v_fma_f64 v[4:5], v[156:157], v[96:97], -v[4:5]
	s_waitcnt vmcnt(12)
	v_fmac_f64_e32 v[174:175], v[166:167], v[192:193]
	v_add_f64 v[2:3], v[2:3], v[4:5]
	v_mul_f64 v[4:5], v[162:163], v[90:91]
	v_add_f64 v[184:185], v[172:173], v[174:175]
	ds_read_b128 v[172:175], v98 offset:1008
	s_waitcnt lgkmcnt(1)
	v_mul_f64 v[186:187], v[168:169], v[116:117]
	v_fma_f64 v[4:5], v[160:161], v[92:93], -v[4:5]
	v_fmac_f64_e32 v[186:187], v[170:171], v[176:177]
	v_add_f64 v[2:3], v[2:3], v[4:5]
	v_mul_f64 v[4:5], v[166:167], v[178:179]
	v_add_f64 v[206:207], v[184:185], v[186:187]
	ds_read_b128 v[184:187], v98 offset:1024
	v_fma_f64 v[4:5], v[164:165], v[192:193], -v[4:5]
	v_add_f64 v[2:3], v[2:3], v[4:5]
	v_mul_f64 v[4:5], v[170:171], v[116:117]
	ds_read_b128 v[188:191], v98 offset:1040
	v_fma_f64 v[4:5], v[168:169], v[176:177], -v[4:5]
	v_add_f64 v[2:3], v[2:3], v[4:5]
	s_waitcnt vmcnt(6) lgkmcnt(2)
	v_mul_f64 v[4:5], v[174:175], v[198:199]
	v_mul_f64 v[208:209], v[172:173], v[198:199]
	s_waitcnt vmcnt(4)
	v_fma_f64 v[4:5], v[172:173], v[200:201], -v[4:5]
	v_fmac_f64_e32 v[208:209], v[174:175], v[200:201]
	v_add_f64 v[2:3], v[2:3], v[4:5]
	s_waitcnt lgkmcnt(1)
	v_mul_f64 v[4:5], v[186:187], v[194:195]
	v_add_f64 v[98:99], v[206:207], v[208:209]
	v_mul_f64 v[206:207], v[184:185], v[194:195]
	v_fma_f64 v[4:5], v[184:185], v[196:197], -v[4:5]
	v_fmac_f64_e32 v[206:207], v[186:187], v[196:197]
	v_add_f64 v[2:3], v[2:3], v[4:5]
	s_waitcnt vmcnt(2) lgkmcnt(0)
	v_mul_f64 v[4:5], v[190:191], v[202:203]
	v_add_f64 v[98:99], v[98:99], v[206:207]
	v_mul_f64 v[206:207], v[188:189], v[202:203]
	s_waitcnt vmcnt(0)
	v_fma_f64 v[4:5], v[188:189], v[204:205], -v[4:5]
	v_fmac_f64_e32 v[206:207], v[190:191], v[204:205]
	v_add_f64 v[2:3], v[2:3], v[4:5]
	v_add_f64 v[98:99], v[98:99], v[206:207]
	v_add_f64 v[2:3], v[20:21], -v[2:3]
	v_add_f64 v[4:5], v[18:19], -v[98:99]
	buffer_store_dword v3, off, s[0:3], 0 offset:148
	buffer_store_dword v2, off, s[0:3], 0 offset:144
	;; [unrolled: 1-line block ×4, first 2 shown]
	s_and_saveexec_b64 s[4:5], vcc
	s_cbranch_execz .LBB96_197
; %bb.196:
	v_accvgpr_read_b32 v5, a88
	buffer_load_dword v2, v5, s[0:3], 0 offen
	buffer_load_dword v3, v5, s[0:3], 0 offen offset:4
	buffer_load_dword v4, v5, s[0:3], 0 offen offset:8
	s_nop 0
	buffer_load_dword v5, v5, s[0:3], 0 offen offset:12
	v_mov_b32_e32 v6, 0
	buffer_store_dword v6, off, s[0:3], 0 offset:128
	buffer_store_dword v6, off, s[0:3], 0 offset:132
	buffer_store_dword v6, off, s[0:3], 0 offset:136
	buffer_store_dword v6, off, s[0:3], 0 offset:140
	s_waitcnt vmcnt(4)
	ds_write_b128 v1, v[2:5]
.LBB96_197:
	s_or_b64 exec, exec, s[4:5]
	s_waitcnt lgkmcnt(0)
	; wave barrier
	s_waitcnt lgkmcnt(0)
	buffer_load_dword v22, off, s[0:3], 0 offset:144
	buffer_load_dword v23, off, s[0:3], 0 offset:148
	;; [unrolled: 1-line block ×64, first 2 shown]
	v_mov_b32_e32 v114, 0
	ds_read_b128 v[18:21], v114 offset:656
	ds_read_b128 v[14:17], v114 offset:672
	;; [unrolled: 1-line block ×5, first 2 shown]
	v_cmp_lt_u32_e32 vcc, 6, v0
	s_waitcnt vmcnt(60) lgkmcnt(4)
	v_mul_f64 v[86:87], v[18:19], v[26:27]
	v_fmac_f64_e32 v[86:87], v[20:21], v[22:23]
	v_add_f64 v[86:87], v[86:87], 0
	v_mul_f64 v[20:21], v[20:21], v[26:27]
	s_waitcnt vmcnt(56) lgkmcnt(3)
	v_mul_f64 v[88:89], v[14:15], v[28:29]
	v_fmac_f64_e32 v[88:89], v[16:17], v[24:25]
	s_waitcnt vmcnt(54) lgkmcnt(2)
	v_mul_f64 v[90:91], v[10:11], v[30:31]
	v_add_f64 v[86:87], v[86:87], v[88:89]
	v_fma_f64 v[18:19], v[18:19], v[22:23], -v[20:21]
	v_mul_f64 v[16:17], v[16:17], v[28:29]
	s_waitcnt vmcnt(50) lgkmcnt(1)
	v_mul_f64 v[102:103], v[6:7], v[40:41]
	v_add_f64 v[18:19], v[18:19], 0
	s_waitcnt vmcnt(48)
	v_fmac_f64_e32 v[90:91], v[12:13], v[44:45]
	v_add_f64 v[104:105], v[86:87], v[90:91]
	buffer_load_dword v87, off, s[0:3], 0 offset:412
	buffer_load_dword v86, off, s[0:3], 0 offset:408
	;; [unrolled: 1-line block ×40, first 2 shown]
	s_waitcnt vmcnt(62)
	v_fmac_f64_e32 v[102:103], v[8:9], v[42:43]
	v_add_f64 v[106:107], v[104:105], v[102:103]
	ds_read_b128 v[102:105], v114 offset:736
	s_waitcnt lgkmcnt(1)
	v_mul_f64 v[108:109], v[2:3], v[36:37]
	v_fmac_f64_e32 v[108:109], v[4:5], v[38:39]
	v_add_f64 v[110:111], v[106:107], v[108:109]
	ds_read_b128 v[106:109], v114 offset:752
	s_waitcnt lgkmcnt(1)
	v_mul_f64 v[112:113], v[102:103], v[50:51]
	;; [unrolled: 5-line block ×5, first 2 shown]
	v_fmac_f64_e32 v[130:131], v[122:123], v[56:57]
	v_add_f64 v[132:133], v[128:129], v[130:131]
	ds_read_b128 v[128:131], v114 offset:816
	s_waitcnt vmcnt(58) lgkmcnt(1)
	v_mul_f64 v[134:135], v[124:125], v[66:67]
	s_waitcnt vmcnt(56)
	v_fmac_f64_e32 v[134:135], v[126:127], v[68:69]
	v_add_f64 v[136:137], v[132:133], v[134:135]
	ds_read_b128 v[132:135], v114 offset:832
	s_waitcnt lgkmcnt(1)
	v_mul_f64 v[138:139], v[128:129], v[62:63]
	v_fmac_f64_e32 v[138:139], v[130:131], v[64:65]
	v_add_f64 v[140:141], v[136:137], v[138:139]
	ds_read_b128 v[136:139], v114 offset:848
	s_waitcnt vmcnt(50) lgkmcnt(1)
	v_mul_f64 v[142:143], v[132:133], v[74:75]
	s_waitcnt vmcnt(48)
	v_fmac_f64_e32 v[142:143], v[134:135], v[76:77]
	v_add_f64 v[144:145], v[140:141], v[142:143]
	ds_read_b128 v[140:143], v114 offset:864
	v_fma_f64 v[14:15], v[14:15], v[24:25], -v[16:17]
	v_mul_f64 v[12:13], v[12:13], v[30:31]
	v_add_f64 v[14:15], v[18:19], v[14:15]
	v_fma_f64 v[10:11], v[10:11], v[44:45], -v[12:13]
	v_mul_f64 v[8:9], v[8:9], v[40:41]
	s_waitcnt lgkmcnt(1)
	v_mul_f64 v[146:147], v[136:137], v[70:71]
	v_add_f64 v[10:11], v[14:15], v[10:11]
	v_fma_f64 v[6:7], v[6:7], v[42:43], -v[8:9]
	v_mul_f64 v[4:5], v[4:5], v[36:37]
	v_fmac_f64_e32 v[146:147], v[138:139], v[72:73]
	v_add_f64 v[6:7], v[10:11], v[6:7]
	v_fma_f64 v[2:3], v[2:3], v[38:39], -v[4:5]
	v_mul_f64 v[4:5], v[104:105], v[50:51]
	v_add_f64 v[148:149], v[144:145], v[146:147]
	ds_read_b128 v[144:147], v114 offset:880
	s_waitcnt vmcnt(42) lgkmcnt(1)
	v_mul_f64 v[150:151], v[140:141], v[82:83]
	v_add_f64 v[2:3], v[6:7], v[2:3]
	v_fma_f64 v[4:5], v[102:103], v[52:53], -v[4:5]
	s_waitcnt vmcnt(40)
	v_fmac_f64_e32 v[150:151], v[142:143], v[84:85]
	v_add_f64 v[2:3], v[2:3], v[4:5]
	v_mul_f64 v[4:5], v[108:109], v[46:47]
	v_add_f64 v[152:153], v[148:149], v[150:151]
	ds_read_b128 v[148:151], v114 offset:896
	v_fma_f64 v[4:5], v[106:107], v[48:49], -v[4:5]
	v_add_f64 v[2:3], v[2:3], v[4:5]
	v_mul_f64 v[4:5], v[112:113], v[58:59]
	v_fma_f64 v[4:5], v[110:111], v[60:61], -v[4:5]
	s_waitcnt lgkmcnt(1)
	v_mul_f64 v[154:155], v[144:145], v[78:79]
	v_add_f64 v[2:3], v[2:3], v[4:5]
	v_mul_f64 v[4:5], v[122:123], v[54:55]
	v_fmac_f64_e32 v[154:155], v[146:147], v[80:81]
	v_fma_f64 v[4:5], v[120:121], v[56:57], -v[4:5]
	v_add_f64 v[156:157], v[152:153], v[154:155]
	ds_read_b128 v[152:155], v114 offset:912
	s_waitcnt vmcnt(34) lgkmcnt(1)
	v_mul_f64 v[158:159], v[148:149], v[90:91]
	v_add_f64 v[2:3], v[2:3], v[4:5]
	v_mul_f64 v[4:5], v[126:127], v[66:67]
	s_waitcnt vmcnt(32)
	v_fmac_f64_e32 v[158:159], v[150:151], v[92:93]
	v_fma_f64 v[4:5], v[124:125], v[68:69], -v[4:5]
	v_add_f64 v[160:161], v[156:157], v[158:159]
	ds_read_b128 v[156:159], v114 offset:928
	v_add_f64 v[2:3], v[2:3], v[4:5]
	v_mul_f64 v[4:5], v[130:131], v[62:63]
	v_fma_f64 v[4:5], v[128:129], v[64:65], -v[4:5]
	v_add_f64 v[2:3], v[2:3], v[4:5]
	v_mul_f64 v[4:5], v[134:135], v[74:75]
	s_waitcnt lgkmcnt(1)
	v_mul_f64 v[162:163], v[152:153], v[86:87]
	v_fma_f64 v[4:5], v[132:133], v[76:77], -v[4:5]
	v_fmac_f64_e32 v[162:163], v[154:155], v[88:89]
	v_add_f64 v[2:3], v[2:3], v[4:5]
	v_mul_f64 v[4:5], v[138:139], v[70:71]
	v_add_f64 v[164:165], v[160:161], v[162:163]
	ds_read_b128 v[160:163], v114 offset:944
	s_waitcnt vmcnt(26) lgkmcnt(1)
	v_mul_f64 v[166:167], v[156:157], v[98:99]
	v_fma_f64 v[4:5], v[136:137], v[72:73], -v[4:5]
	s_waitcnt vmcnt(24)
	v_fmac_f64_e32 v[166:167], v[158:159], v[100:101]
	v_add_f64 v[2:3], v[2:3], v[4:5]
	v_mul_f64 v[4:5], v[142:143], v[82:83]
	v_add_f64 v[168:169], v[164:165], v[166:167]
	ds_read_b128 v[164:167], v114 offset:960
	v_fma_f64 v[4:5], v[140:141], v[84:85], -v[4:5]
	v_add_f64 v[2:3], v[2:3], v[4:5]
	v_mul_f64 v[4:5], v[146:147], v[78:79]
	v_fma_f64 v[4:5], v[144:145], v[80:81], -v[4:5]
	s_waitcnt lgkmcnt(1)
	v_mul_f64 v[170:171], v[160:161], v[94:95]
	v_add_f64 v[2:3], v[2:3], v[4:5]
	v_mul_f64 v[4:5], v[150:151], v[90:91]
	v_fmac_f64_e32 v[170:171], v[162:163], v[96:97]
	v_fma_f64 v[4:5], v[148:149], v[92:93], -v[4:5]
	v_add_f64 v[172:173], v[168:169], v[170:171]
	ds_read_b128 v[168:171], v114 offset:976
	s_waitcnt vmcnt(18) lgkmcnt(1)
	v_mul_f64 v[174:175], v[164:165], v[178:179]
	v_add_f64 v[2:3], v[2:3], v[4:5]
	v_mul_f64 v[4:5], v[154:155], v[86:87]
	s_waitcnt vmcnt(16)
	v_fmac_f64_e32 v[174:175], v[166:167], v[196:197]
	v_fma_f64 v[4:5], v[152:153], v[88:89], -v[4:5]
	v_add_f64 v[184:185], v[172:173], v[174:175]
	ds_read_b128 v[172:175], v114 offset:992
	v_add_f64 v[2:3], v[2:3], v[4:5]
	v_mul_f64 v[4:5], v[158:159], v[98:99]
	v_fma_f64 v[4:5], v[156:157], v[100:101], -v[4:5]
	v_add_f64 v[2:3], v[2:3], v[4:5]
	v_mul_f64 v[4:5], v[162:163], v[94:95]
	s_waitcnt lgkmcnt(1)
	v_mul_f64 v[186:187], v[168:169], v[116:117]
	v_fma_f64 v[4:5], v[160:161], v[96:97], -v[4:5]
	v_fmac_f64_e32 v[186:187], v[170:171], v[176:177]
	v_add_f64 v[2:3], v[2:3], v[4:5]
	v_mul_f64 v[4:5], v[166:167], v[178:179]
	v_add_f64 v[188:189], v[184:185], v[186:187]
	ds_read_b128 v[184:187], v114 offset:1008
	s_waitcnt vmcnt(10) lgkmcnt(1)
	v_mul_f64 v[190:191], v[172:173], v[202:203]
	v_fma_f64 v[4:5], v[164:165], v[196:197], -v[4:5]
	s_waitcnt vmcnt(8)
	v_fmac_f64_e32 v[190:191], v[174:175], v[204:205]
	v_add_f64 v[2:3], v[2:3], v[4:5]
	v_mul_f64 v[4:5], v[170:171], v[116:117]
	v_add_f64 v[214:215], v[188:189], v[190:191]
	ds_read_b128 v[188:191], v114 offset:1024
	ds_read_b128 v[192:195], v114 offset:1040
	v_fma_f64 v[4:5], v[168:169], v[176:177], -v[4:5]
	v_add_f64 v[2:3], v[2:3], v[4:5]
	v_mul_f64 v[4:5], v[174:175], v[202:203]
	v_fma_f64 v[4:5], v[172:173], v[204:205], -v[4:5]
	v_add_f64 v[2:3], v[2:3], v[4:5]
	s_waitcnt lgkmcnt(2)
	v_mul_f64 v[4:5], v[186:187], v[198:199]
	v_mul_f64 v[216:217], v[184:185], v[198:199]
	v_fma_f64 v[4:5], v[184:185], v[200:201], -v[4:5]
	v_fmac_f64_e32 v[216:217], v[186:187], v[200:201]
	v_add_f64 v[2:3], v[2:3], v[4:5]
	s_waitcnt vmcnt(2) lgkmcnt(1)
	v_mul_f64 v[4:5], v[190:191], v[210:211]
	v_add_f64 v[214:215], v[214:215], v[216:217]
	v_mul_f64 v[216:217], v[188:189], v[210:211]
	s_waitcnt vmcnt(0)
	v_fma_f64 v[4:5], v[188:189], v[212:213], -v[4:5]
	v_fmac_f64_e32 v[216:217], v[190:191], v[212:213]
	v_add_f64 v[2:3], v[2:3], v[4:5]
	s_waitcnt lgkmcnt(0)
	v_mul_f64 v[4:5], v[194:195], v[206:207]
	v_add_f64 v[214:215], v[214:215], v[216:217]
	v_mul_f64 v[216:217], v[192:193], v[206:207]
	v_fma_f64 v[4:5], v[192:193], v[208:209], -v[4:5]
	v_fmac_f64_e32 v[216:217], v[194:195], v[208:209]
	v_add_f64 v[2:3], v[2:3], v[4:5]
	v_add_f64 v[214:215], v[214:215], v[216:217]
	v_add_f64 v[2:3], v[34:35], -v[2:3]
	v_add_f64 v[4:5], v[32:33], -v[214:215]
	buffer_store_dword v3, off, s[0:3], 0 offset:132
	buffer_store_dword v2, off, s[0:3], 0 offset:128
	buffer_store_dword v5, off, s[0:3], 0 offset:140
	buffer_store_dword v4, off, s[0:3], 0 offset:136
	s_and_saveexec_b64 s[4:5], vcc
	s_cbranch_execz .LBB96_199
; %bb.198:
	v_accvgpr_read_b32 v5, a86
	buffer_load_dword v2, v5, s[0:3], 0 offen
	buffer_load_dword v3, v5, s[0:3], 0 offen offset:4
	buffer_load_dword v4, v5, s[0:3], 0 offen offset:8
	s_nop 0
	buffer_load_dword v5, v5, s[0:3], 0 offen offset:12
	s_nop 0
	buffer_store_dword v114, off, s[0:3], 0 offset:112
	buffer_store_dword v114, off, s[0:3], 0 offset:116
	;; [unrolled: 1-line block ×4, first 2 shown]
	s_waitcnt vmcnt(4)
	ds_write_b128 v1, v[2:5]
.LBB96_199:
	s_or_b64 exec, exec, s[4:5]
	s_waitcnt lgkmcnt(0)
	; wave barrier
	s_waitcnt lgkmcnt(0)
	buffer_load_dword v26, off, s[0:3], 0 offset:128
	buffer_load_dword v27, off, s[0:3], 0 offset:132
	buffer_load_dword v28, off, s[0:3], 0 offset:136
	buffer_load_dword v29, off, s[0:3], 0 offset:140
	buffer_load_dword v30, off, s[0:3], 0 offset:152
	buffer_load_dword v31, off, s[0:3], 0 offset:156
	buffer_load_dword v32, off, s[0:3], 0 offset:168
	buffer_load_dword v33, off, s[0:3], 0 offset:172
	buffer_load_dword v39, off, s[0:3], 0 offset:204
	buffer_load_dword v38, off, s[0:3], 0 offset:200
	buffer_load_dword v41, off, s[0:3], 0 offset:196
	buffer_load_dword v43, off, s[0:3], 0 offset:188
	buffer_load_dword v42, off, s[0:3], 0 offset:184
	buffer_load_dword v48, off, s[0:3], 0 offset:144
	buffer_load_dword v49, off, s[0:3], 0 offset:148
	buffer_load_dword v46, off, s[0:3], 0 offset:160
	buffer_load_dword v47, off, s[0:3], 0 offset:164
	buffer_load_dword v45, off, s[0:3], 0 offset:180
	buffer_load_dword v44, off, s[0:3], 0 offset:176
	buffer_load_dword v40, off, s[0:3], 0 offset:192
	buffer_load_dword v36, off, s[0:3], 0 offset:112
	buffer_load_dword v37, off, s[0:3], 0 offset:116
	buffer_load_dword v34, off, s[0:3], 0 offset:120
	buffer_load_dword v35, off, s[0:3], 0 offset:124
	ds_read_b128 v[22:25], v114 offset:640
	ds_read_b128 v[18:21], v114 offset:656
	;; [unrolled: 1-line block ×6, first 2 shown]
	buffer_load_dword v51, off, s[0:3], 0 offset:236
	buffer_load_dword v50, off, s[0:3], 0 offset:232
	;; [unrolled: 1-line block ×40, first 2 shown]
	v_cmp_lt_u32_e32 vcc, 5, v0
	s_waitcnt vmcnt(34) lgkmcnt(0)
	v_mul_f64 v[124:125], v[14:15], v[54:55]
	s_waitcnt vmcnt(32)
	v_fmac_f64_e32 v[124:125], v[16:17], v[56:57]
	v_mul_f64 v[90:91], v[22:23], v[28:29]
	v_fmac_f64_e32 v[90:91], v[24:25], v[26:27]
	v_mul_f64 v[92:93], v[18:19], v[30:31]
	v_add_f64 v[90:91], v[90:91], 0
	v_mul_f64 v[94:95], v[10:11], v[32:33]
	v_mul_f64 v[24:25], v[24:25], v[28:29]
	;; [unrolled: 1-line block ×3, first 2 shown]
	v_fma_f64 v[22:23], v[22:23], v[26:27], -v[24:25]
	v_add_f64 v[22:23], v[22:23], 0
	v_mul_f64 v[96:97], v[6:7], v[42:43]
	v_fmac_f64_e32 v[92:93], v[20:21], v[48:49]
	v_add_f64 v[90:91], v[90:91], v[92:93]
	v_fmac_f64_e32 v[94:95], v[12:13], v[46:47]
	v_add_f64 v[90:91], v[90:91], v[94:95]
	;; [unrolled: 2-line block ×3, first 2 shown]
	buffer_load_dword v91, off, s[0:3], 0 offset:396
	buffer_load_dword v90, off, s[0:3], 0 offset:392
	;; [unrolled: 1-line block ×40, first 2 shown]
	v_fmac_f64_e32 v[116:117], v[4:5], v[40:41]
	v_add_f64 v[116:117], v[120:121], v[116:117]
	ds_read_b128 v[120:123], v114 offset:736
	buffer_load_dword v217, off, s[0:3], 0 offset:540
	buffer_load_dword v216, off, s[0:3], 0 offset:536
	;; [unrolled: 1-line block ×4, first 2 shown]
	v_add_f64 v[116:117], v[116:117], v[124:125]
	ds_read_b128 v[124:127], v114 offset:752
	v_mul_f64 v[20:21], v[20:21], v[30:31]
	s_waitcnt lgkmcnt(1)
	v_mul_f64 v[128:129], v[120:121], v[50:51]
	v_fmac_f64_e32 v[128:129], v[122:123], v[52:53]
	v_add_f64 v[116:117], v[116:117], v[128:129]
	ds_read_b128 v[128:131], v114 offset:768
	s_waitcnt vmcnt(62) lgkmcnt(1)
	v_mul_f64 v[132:133], v[124:125], v[62:63]
	v_fmac_f64_e32 v[132:133], v[126:127], v[64:65]
	v_add_f64 v[116:117], v[116:117], v[132:133]
	ds_read_b128 v[132:135], v114 offset:784
	s_waitcnt lgkmcnt(1)
	v_mul_f64 v[136:137], v[128:129], v[58:59]
	v_fmac_f64_e32 v[136:137], v[130:131], v[60:61]
	v_add_f64 v[116:117], v[116:117], v[136:137]
	ds_read_b128 v[136:139], v114 offset:800
	s_waitcnt lgkmcnt(1)
	v_mul_f64 v[140:141], v[132:133], v[70:71]
	s_waitcnt vmcnt(60)
	v_fmac_f64_e32 v[140:141], v[134:135], v[72:73]
	v_add_f64 v[116:117], v[116:117], v[140:141]
	ds_read_b128 v[140:143], v114 offset:816
	s_waitcnt lgkmcnt(1)
	v_mul_f64 v[144:145], v[136:137], v[66:67]
	v_fmac_f64_e32 v[144:145], v[138:139], v[68:69]
	v_add_f64 v[116:117], v[116:117], v[144:145]
	ds_read_b128 v[144:147], v114 offset:832
	s_waitcnt vmcnt(54) lgkmcnt(1)
	v_mul_f64 v[148:149], v[140:141], v[78:79]
	s_waitcnt vmcnt(52)
	v_fmac_f64_e32 v[148:149], v[142:143], v[80:81]
	v_add_f64 v[116:117], v[116:117], v[148:149]
	ds_read_b128 v[148:151], v114 offset:848
	s_waitcnt lgkmcnt(1)
	v_mul_f64 v[152:153], v[144:145], v[74:75]
	v_fmac_f64_e32 v[152:153], v[146:147], v[76:77]
	v_fma_f64 v[18:19], v[18:19], v[48:49], -v[20:21]
	v_mul_f64 v[12:13], v[12:13], v[32:33]
	v_add_f64 v[116:117], v[116:117], v[152:153]
	ds_read_b128 v[152:155], v114 offset:864
	v_add_f64 v[18:19], v[22:23], v[18:19]
	v_fma_f64 v[10:11], v[10:11], v[46:47], -v[12:13]
	v_mul_f64 v[8:9], v[8:9], v[42:43]
	v_add_f64 v[10:11], v[18:19], v[10:11]
	v_fma_f64 v[6:7], v[6:7], v[44:45], -v[8:9]
	v_mul_f64 v[4:5], v[4:5], v[38:39]
	;; [unrolled: 3-line block ×3, first 2 shown]
	s_waitcnt vmcnt(46) lgkmcnt(1)
	v_mul_f64 v[156:157], v[148:149], v[86:87]
	v_add_f64 v[2:3], v[6:7], v[2:3]
	v_fma_f64 v[4:5], v[14:15], v[56:57], -v[4:5]
	s_waitcnt vmcnt(44)
	v_fmac_f64_e32 v[156:157], v[150:151], v[88:89]
	v_add_f64 v[2:3], v[2:3], v[4:5]
	v_mul_f64 v[4:5], v[122:123], v[50:51]
	v_add_f64 v[116:117], v[116:117], v[156:157]
	ds_read_b128 v[156:159], v114 offset:880
	s_waitcnt lgkmcnt(1)
	v_mul_f64 v[160:161], v[152:153], v[82:83]
	v_fma_f64 v[4:5], v[120:121], v[52:53], -v[4:5]
	v_fmac_f64_e32 v[160:161], v[154:155], v[84:85]
	v_add_f64 v[2:3], v[2:3], v[4:5]
	v_mul_f64 v[4:5], v[126:127], v[62:63]
	v_add_f64 v[116:117], v[116:117], v[160:161]
	ds_read_b128 v[160:163], v114 offset:896
	v_fma_f64 v[4:5], v[124:125], v[64:65], -v[4:5]
	v_add_f64 v[2:3], v[2:3], v[4:5]
	v_mul_f64 v[4:5], v[130:131], v[58:59]
	v_fma_f64 v[4:5], v[128:129], v[60:61], -v[4:5]
	s_waitcnt vmcnt(38) lgkmcnt(1)
	v_mul_f64 v[164:165], v[156:157], v[94:95]
	v_add_f64 v[2:3], v[2:3], v[4:5]
	v_mul_f64 v[4:5], v[134:135], v[70:71]
	s_waitcnt vmcnt(36)
	v_fmac_f64_e32 v[164:165], v[158:159], v[96:97]
	v_fma_f64 v[4:5], v[132:133], v[72:73], -v[4:5]
	v_add_f64 v[116:117], v[116:117], v[164:165]
	ds_read_b128 v[164:167], v114 offset:912
	s_waitcnt lgkmcnt(1)
	v_mul_f64 v[168:169], v[160:161], v[90:91]
	v_add_f64 v[2:3], v[2:3], v[4:5]
	v_mul_f64 v[4:5], v[138:139], v[66:67]
	v_fmac_f64_e32 v[168:169], v[162:163], v[92:93]
	v_fma_f64 v[4:5], v[136:137], v[68:69], -v[4:5]
	v_add_f64 v[116:117], v[116:117], v[168:169]
	ds_read_b128 v[168:171], v114 offset:928
	v_add_f64 v[2:3], v[2:3], v[4:5]
	v_mul_f64 v[4:5], v[142:143], v[78:79]
	v_fma_f64 v[4:5], v[140:141], v[80:81], -v[4:5]
	v_add_f64 v[2:3], v[2:3], v[4:5]
	v_mul_f64 v[4:5], v[146:147], v[74:75]
	s_waitcnt vmcnt(30) lgkmcnt(1)
	v_mul_f64 v[172:173], v[164:165], v[102:103]
	v_fma_f64 v[4:5], v[144:145], v[76:77], -v[4:5]
	s_waitcnt vmcnt(28)
	v_fmac_f64_e32 v[172:173], v[166:167], v[104:105]
	v_add_f64 v[2:3], v[2:3], v[4:5]
	v_mul_f64 v[4:5], v[150:151], v[86:87]
	v_add_f64 v[116:117], v[116:117], v[172:173]
	ds_read_b128 v[172:175], v114 offset:944
	s_waitcnt lgkmcnt(1)
	v_mul_f64 v[184:185], v[168:169], v[98:99]
	v_fma_f64 v[4:5], v[148:149], v[88:89], -v[4:5]
	v_fmac_f64_e32 v[184:185], v[170:171], v[100:101]
	v_add_f64 v[2:3], v[2:3], v[4:5]
	v_mul_f64 v[4:5], v[154:155], v[82:83]
	v_add_f64 v[116:117], v[116:117], v[184:185]
	ds_read_b128 v[184:187], v114 offset:960
	v_fma_f64 v[4:5], v[152:153], v[84:85], -v[4:5]
	v_add_f64 v[2:3], v[2:3], v[4:5]
	v_mul_f64 v[4:5], v[158:159], v[94:95]
	v_fma_f64 v[4:5], v[156:157], v[96:97], -v[4:5]
	s_waitcnt vmcnt(22) lgkmcnt(1)
	v_mul_f64 v[188:189], v[172:173], v[110:111]
	v_add_f64 v[2:3], v[2:3], v[4:5]
	v_mul_f64 v[4:5], v[162:163], v[90:91]
	s_waitcnt vmcnt(20)
	v_fmac_f64_e32 v[188:189], v[174:175], v[112:113]
	v_fma_f64 v[4:5], v[160:161], v[92:93], -v[4:5]
	v_add_f64 v[116:117], v[116:117], v[188:189]
	ds_read_b128 v[188:191], v114 offset:976
	s_waitcnt lgkmcnt(1)
	v_mul_f64 v[192:193], v[184:185], v[106:107]
	v_add_f64 v[2:3], v[2:3], v[4:5]
	v_mul_f64 v[4:5], v[166:167], v[102:103]
	v_fmac_f64_e32 v[192:193], v[186:187], v[108:109]
	v_fma_f64 v[4:5], v[164:165], v[104:105], -v[4:5]
	v_add_f64 v[116:117], v[116:117], v[192:193]
	ds_read_b128 v[192:195], v114 offset:992
	v_add_f64 v[2:3], v[2:3], v[4:5]
	v_mul_f64 v[4:5], v[170:171], v[98:99]
	v_fma_f64 v[4:5], v[168:169], v[100:101], -v[4:5]
	v_add_f64 v[2:3], v[2:3], v[4:5]
	v_mul_f64 v[4:5], v[174:175], v[110:111]
	s_waitcnt vmcnt(14) lgkmcnt(1)
	v_mul_f64 v[196:197], v[188:189], v[204:205]
	v_fma_f64 v[4:5], v[172:173], v[112:113], -v[4:5]
	s_waitcnt vmcnt(12)
	v_fmac_f64_e32 v[196:197], v[190:191], v[206:207]
	v_add_f64 v[2:3], v[2:3], v[4:5]
	v_mul_f64 v[4:5], v[186:187], v[106:107]
	v_add_f64 v[116:117], v[116:117], v[196:197]
	ds_read_b128 v[196:199], v114 offset:1008
	s_waitcnt lgkmcnt(1)
	v_mul_f64 v[200:201], v[192:193], v[176:177]
	v_fma_f64 v[4:5], v[184:185], v[108:109], -v[4:5]
	v_fmac_f64_e32 v[200:201], v[194:195], v[178:179]
	v_add_f64 v[2:3], v[2:3], v[4:5]
	v_mul_f64 v[4:5], v[190:191], v[204:205]
	v_add_f64 v[220:221], v[116:117], v[200:201]
	ds_read_b128 v[200:203], v114 offset:1024
	v_fma_f64 v[4:5], v[188:189], v[206:207], -v[4:5]
	v_add_f64 v[2:3], v[2:3], v[4:5]
	v_mul_f64 v[4:5], v[194:195], v[176:177]
	ds_read_b128 v[114:117], v114 offset:1040
	v_fma_f64 v[4:5], v[192:193], v[178:179], -v[4:5]
	v_add_f64 v[2:3], v[2:3], v[4:5]
	s_waitcnt vmcnt(6) lgkmcnt(2)
	v_mul_f64 v[4:5], v[198:199], v[212:213]
	v_mul_f64 v[222:223], v[196:197], v[212:213]
	s_waitcnt vmcnt(4)
	v_fma_f64 v[4:5], v[196:197], v[214:215], -v[4:5]
	v_fmac_f64_e32 v[222:223], v[198:199], v[214:215]
	v_add_f64 v[2:3], v[2:3], v[4:5]
	s_waitcnt lgkmcnt(1)
	v_mul_f64 v[4:5], v[202:203], v[208:209]
	v_add_f64 v[220:221], v[220:221], v[222:223]
	v_mul_f64 v[222:223], v[200:201], v[208:209]
	v_fma_f64 v[4:5], v[200:201], v[210:211], -v[4:5]
	v_fmac_f64_e32 v[222:223], v[202:203], v[210:211]
	v_add_f64 v[2:3], v[2:3], v[4:5]
	s_waitcnt vmcnt(2) lgkmcnt(0)
	v_mul_f64 v[4:5], v[116:117], v[216:217]
	v_add_f64 v[220:221], v[220:221], v[222:223]
	v_mul_f64 v[222:223], v[114:115], v[216:217]
	s_waitcnt vmcnt(0)
	v_fma_f64 v[4:5], v[114:115], v[218:219], -v[4:5]
	v_fmac_f64_e32 v[222:223], v[116:117], v[218:219]
	v_add_f64 v[2:3], v[2:3], v[4:5]
	v_add_f64 v[220:221], v[220:221], v[222:223]
	v_add_f64 v[2:3], v[36:37], -v[2:3]
	v_add_f64 v[4:5], v[34:35], -v[220:221]
	buffer_store_dword v3, off, s[0:3], 0 offset:116
	buffer_store_dword v2, off, s[0:3], 0 offset:112
	;; [unrolled: 1-line block ×4, first 2 shown]
	s_and_saveexec_b64 s[4:5], vcc
	s_cbranch_execz .LBB96_201
; %bb.200:
	v_accvgpr_read_b32 v5, a87
	buffer_load_dword v2, v5, s[0:3], 0 offen
	buffer_load_dword v3, v5, s[0:3], 0 offen offset:4
	buffer_load_dword v4, v5, s[0:3], 0 offen offset:8
	s_nop 0
	buffer_load_dword v5, v5, s[0:3], 0 offen offset:12
	v_mov_b32_e32 v6, 0
	buffer_store_dword v6, off, s[0:3], 0 offset:96
	buffer_store_dword v6, off, s[0:3], 0 offset:100
	;; [unrolled: 1-line block ×4, first 2 shown]
	s_waitcnt vmcnt(4)
	ds_write_b128 v1, v[2:5]
.LBB96_201:
	s_or_b64 exec, exec, s[4:5]
	s_waitcnt lgkmcnt(0)
	; wave barrier
	s_waitcnt lgkmcnt(0)
	buffer_load_dword v30, off, s[0:3], 0 offset:112
	buffer_load_dword v31, off, s[0:3], 0 offset:116
	;; [unrolled: 1-line block ×56, first 2 shown]
	v_mov_b32_e32 v136, 0
	ds_read_b128 v[26:29], v136 offset:624
	ds_read_b128 v[22:25], v136 offset:640
	;; [unrolled: 1-line block ×7, first 2 shown]
	v_cmp_lt_u32_e32 vcc, 4, v0
	s_waitcnt vmcnt(52) lgkmcnt(6)
	v_mul_f64 v[86:87], v[26:27], v[34:35]
	v_fmac_f64_e32 v[86:87], v[28:29], v[30:31]
	v_add_f64 v[86:87], v[86:87], 0
	v_mul_f64 v[28:29], v[28:29], v[34:35]
	s_waitcnt vmcnt(48) lgkmcnt(5)
	v_mul_f64 v[88:89], v[22:23], v[36:37]
	v_fmac_f64_e32 v[88:89], v[24:25], v[32:33]
	s_waitcnt vmcnt(46) lgkmcnt(4)
	v_mul_f64 v[90:91], v[18:19], v[38:39]
	v_add_f64 v[86:87], v[86:87], v[88:89]
	s_waitcnt vmcnt(44) lgkmcnt(2)
	v_mul_f64 v[94:95], v[10:11], v[40:41]
	v_fma_f64 v[26:27], v[26:27], v[30:31], -v[28:29]
	s_waitcnt vmcnt(42)
	v_fmac_f64_e32 v[94:95], v[12:13], v[42:43]
	v_mul_f64 v[24:25], v[24:25], v[36:37]
	s_waitcnt vmcnt(40)
	v_mul_f64 v[92:93], v[14:15], v[48:49]
	v_add_f64 v[26:27], v[26:27], 0
	v_fma_f64 v[22:23], v[22:23], v[32:33], -v[24:25]
	v_add_f64 v[22:23], v[26:27], v[22:23]
	s_waitcnt vmcnt(36) lgkmcnt(1)
	v_mul_f64 v[110:111], v[6:7], v[54:55]
	v_mul_f64 v[12:13], v[12:13], v[40:41]
	s_waitcnt vmcnt(34)
	v_fmac_f64_e32 v[90:91], v[20:21], v[60:61]
	v_add_f64 v[86:87], v[86:87], v[90:91]
	s_waitcnt vmcnt(32)
	v_fmac_f64_e32 v[92:93], v[16:17], v[58:59]
	v_add_f64 v[86:87], v[86:87], v[92:93]
	v_add_f64 v[116:117], v[86:87], v[94:95]
	buffer_load_dword v87, off, s[0:3], 0 offset:348
	buffer_load_dword v86, off, s[0:3], 0 offset:344
	buffer_load_dword v89, off, s[0:3], 0 offset:340
	buffer_load_dword v88, off, s[0:3], 0 offset:336
	buffer_load_dword v91, off, s[0:3], 0 offset:332
	buffer_load_dword v90, off, s[0:3], 0 offset:328
	buffer_load_dword v93, off, s[0:3], 0 offset:324
	buffer_load_dword v92, off, s[0:3], 0 offset:320
	buffer_load_dword v95, off, s[0:3], 0 offset:380
	buffer_load_dword v94, off, s[0:3], 0 offset:376
	buffer_load_dword v97, off, s[0:3], 0 offset:372
	buffer_load_dword v96, off, s[0:3], 0 offset:368
	buffer_load_dword v99, off, s[0:3], 0 offset:364
	buffer_load_dword v98, off, s[0:3], 0 offset:360
	buffer_load_dword v101, off, s[0:3], 0 offset:356
	buffer_load_dword v100, off, s[0:3], 0 offset:352
	buffer_load_dword v103, off, s[0:3], 0 offset:412
	buffer_load_dword v102, off, s[0:3], 0 offset:408
	buffer_load_dword v105, off, s[0:3], 0 offset:404
	buffer_load_dword v104, off, s[0:3], 0 offset:400
	buffer_load_dword v107, off, s[0:3], 0 offset:396
	buffer_load_dword v106, off, s[0:3], 0 offset:392
	buffer_load_dword v109, off, s[0:3], 0 offset:388
	buffer_load_dword v108, off, s[0:3], 0 offset:384
	buffer_load_dword v113, off, s[0:3], 0 offset:444
	buffer_load_dword v112, off, s[0:3], 0 offset:440
	buffer_load_dword v115, off, s[0:3], 0 offset:436
	buffer_load_dword v114, off, s[0:3], 0 offset:432
	buffer_load_dword v121, off, s[0:3], 0 offset:428
	buffer_load_dword v120, off, s[0:3], 0 offset:424
	buffer_load_dword v123, off, s[0:3], 0 offset:420
	buffer_load_dword v122, off, s[0:3], 0 offset:416
	buffer_load_dword v125, off, s[0:3], 0 offset:476
	buffer_load_dword v124, off, s[0:3], 0 offset:472
	buffer_load_dword v135, off, s[0:3], 0 offset:468
	buffer_load_dword v134, off, s[0:3], 0 offset:464
	buffer_load_dword v175, off, s[0:3], 0 offset:460
	buffer_load_dword v174, off, s[0:3], 0 offset:456
	buffer_load_dword v177, off, s[0:3], 0 offset:452
	buffer_load_dword v176, off, s[0:3], 0 offset:448
	buffer_load_dword v179, off, s[0:3], 0 offset:508
	buffer_load_dword v178, off, s[0:3], 0 offset:504
	buffer_load_dword v221, off, s[0:3], 0 offset:500
	buffer_load_dword v220, off, s[0:3], 0 offset:496
	buffer_load_dword v223, off, s[0:3], 0 offset:492
	buffer_load_dword v222, off, s[0:3], 0 offset:488
	buffer_load_dword v225, off, s[0:3], 0 offset:484
	buffer_load_dword v224, off, s[0:3], 0 offset:480
	buffer_load_dword v227, off, s[0:3], 0 offset:540
	buffer_load_dword v226, off, s[0:3], 0 offset:536
	buffer_load_dword v229, off, s[0:3], 0 offset:532
	buffer_load_dword v228, off, s[0:3], 0 offset:528
	buffer_load_dword v231, off, s[0:3], 0 offset:524
	buffer_load_dword v230, off, s[0:3], 0 offset:520
	buffer_load_dword v233, off, s[0:3], 0 offset:516
	buffer_load_dword v232, off, s[0:3], 0 offset:512
	ds_read_b128 v[126:129], v136 offset:736
	ds_read_b128 v[130:133], v136 offset:752
	v_mul_f64 v[20:21], v[20:21], v[38:39]
	v_fma_f64 v[18:19], v[18:19], v[60:61], -v[20:21]
	v_mul_f64 v[16:17], v[16:17], v[48:49]
	s_waitcnt vmcnt(62)
	v_fmac_f64_e32 v[110:111], v[8:9], v[56:57]
	v_add_f64 v[18:19], v[22:23], v[18:19]
	v_fma_f64 v[14:15], v[14:15], v[58:59], -v[16:17]
	v_add_f64 v[110:111], v[116:117], v[110:111]
	s_waitcnt lgkmcnt(2)
	v_mul_f64 v[116:117], v[2:3], v[50:51]
	v_add_f64 v[14:15], v[18:19], v[14:15]
	v_fma_f64 v[10:11], v[10:11], v[42:43], -v[12:13]
	v_mul_f64 v[8:9], v[8:9], v[54:55]
	v_fmac_f64_e32 v[116:117], v[4:5], v[52:53]
	ds_read_b128 v[138:141], v136 offset:768
	ds_read_b128 v[142:145], v136 offset:784
	v_add_f64 v[10:11], v[14:15], v[10:11]
	v_fma_f64 v[6:7], v[6:7], v[56:57], -v[8:9]
	v_mul_f64 v[4:5], v[4:5], v[50:51]
	v_add_f64 v[6:7], v[10:11], v[6:7]
	v_fma_f64 v[2:3], v[2:3], v[52:53], -v[4:5]
	s_waitcnt lgkmcnt(3)
	v_mul_f64 v[4:5], v[128:129], v[66:67]
	v_add_f64 v[110:111], v[110:111], v[116:117]
	v_mul_f64 v[116:117], v[126:127], v[66:67]
	v_add_f64 v[2:3], v[6:7], v[2:3]
	v_fma_f64 v[4:5], v[126:127], v[68:69], -v[4:5]
	v_fmac_f64_e32 v[116:117], v[128:129], v[68:69]
	v_add_f64 v[2:3], v[2:3], v[4:5]
	s_waitcnt lgkmcnt(2)
	v_mul_f64 v[4:5], v[132:133], v[62:63]
	v_add_f64 v[110:111], v[110:111], v[116:117]
	v_mul_f64 v[116:117], v[130:131], v[62:63]
	ds_read_b128 v[146:149], v136 offset:800
	ds_read_b128 v[150:153], v136 offset:816
	v_fma_f64 v[4:5], v[130:131], v[64:65], -v[4:5]
	v_fmac_f64_e32 v[116:117], v[132:133], v[64:65]
	v_add_f64 v[2:3], v[2:3], v[4:5]
	s_waitcnt lgkmcnt(3)
	v_mul_f64 v[4:5], v[140:141], v[74:75]
	v_add_f64 v[110:111], v[110:111], v[116:117]
	v_mul_f64 v[116:117], v[138:139], v[74:75]
	v_fma_f64 v[4:5], v[138:139], v[76:77], -v[4:5]
	v_fmac_f64_e32 v[116:117], v[140:141], v[76:77]
	v_add_f64 v[2:3], v[2:3], v[4:5]
	s_waitcnt lgkmcnt(2)
	v_mul_f64 v[4:5], v[144:145], v[70:71]
	v_add_f64 v[110:111], v[110:111], v[116:117]
	v_mul_f64 v[116:117], v[142:143], v[70:71]
	ds_read_b128 v[154:157], v136 offset:832
	ds_read_b128 v[158:161], v136 offset:848
	v_fma_f64 v[4:5], v[142:143], v[72:73], -v[4:5]
	v_fmac_f64_e32 v[116:117], v[144:145], v[72:73]
	v_add_f64 v[2:3], v[2:3], v[4:5]
	s_waitcnt vmcnt(58) lgkmcnt(3)
	v_mul_f64 v[4:5], v[148:149], v[82:83]
	v_add_f64 v[110:111], v[110:111], v[116:117]
	v_mul_f64 v[116:117], v[146:147], v[82:83]
	s_waitcnt vmcnt(56)
	v_fma_f64 v[4:5], v[146:147], v[84:85], -v[4:5]
	v_fmac_f64_e32 v[116:117], v[148:149], v[84:85]
	v_add_f64 v[2:3], v[2:3], v[4:5]
	s_waitcnt lgkmcnt(2)
	v_mul_f64 v[4:5], v[152:153], v[78:79]
	v_add_f64 v[110:111], v[110:111], v[116:117]
	v_mul_f64 v[116:117], v[150:151], v[78:79]
	ds_read_b128 v[162:165], v136 offset:864
	ds_read_b128 v[166:169], v136 offset:880
	v_fma_f64 v[4:5], v[150:151], v[80:81], -v[4:5]
	v_fmac_f64_e32 v[116:117], v[152:153], v[80:81]
	v_add_f64 v[2:3], v[2:3], v[4:5]
	s_waitcnt vmcnt(50) lgkmcnt(3)
	v_mul_f64 v[4:5], v[156:157], v[90:91]
	v_add_f64 v[110:111], v[110:111], v[116:117]
	v_mul_f64 v[116:117], v[154:155], v[90:91]
	s_waitcnt vmcnt(48)
	;; [unrolled: 17-line block ×7, first 2 shown]
	v_fma_f64 v[4:5], v[204:205], v[224:225], -v[4:5]
	v_fmac_f64_e32 v[116:117], v[206:207], v[224:225]
	v_add_f64 v[2:3], v[2:3], v[4:5]
	s_waitcnt lgkmcnt(2)
	v_mul_f64 v[4:5], v[210:211], v[178:179]
	v_add_f64 v[110:111], v[110:111], v[116:117]
	v_mul_f64 v[116:117], v[208:209], v[178:179]
	v_fma_f64 v[4:5], v[208:209], v[220:221], -v[4:5]
	v_fmac_f64_e32 v[116:117], v[210:211], v[220:221]
	v_add_f64 v[2:3], v[2:3], v[4:5]
	s_waitcnt vmcnt(2) lgkmcnt(1)
	v_mul_f64 v[4:5], v[214:215], v[230:231]
	v_add_f64 v[110:111], v[110:111], v[116:117]
	v_mul_f64 v[116:117], v[212:213], v[230:231]
	s_waitcnt vmcnt(0)
	v_fma_f64 v[4:5], v[212:213], v[232:233], -v[4:5]
	v_fmac_f64_e32 v[116:117], v[214:215], v[232:233]
	v_add_f64 v[2:3], v[2:3], v[4:5]
	s_waitcnt lgkmcnt(0)
	v_mul_f64 v[4:5], v[218:219], v[226:227]
	v_add_f64 v[110:111], v[110:111], v[116:117]
	v_mul_f64 v[116:117], v[216:217], v[226:227]
	v_fma_f64 v[4:5], v[216:217], v[228:229], -v[4:5]
	v_fmac_f64_e32 v[116:117], v[218:219], v[228:229]
	v_add_f64 v[2:3], v[2:3], v[4:5]
	v_add_f64 v[110:111], v[110:111], v[116:117]
	v_add_f64 v[2:3], v[46:47], -v[2:3]
	v_add_f64 v[4:5], v[44:45], -v[110:111]
	buffer_store_dword v3, off, s[0:3], 0 offset:100
	buffer_store_dword v2, off, s[0:3], 0 offset:96
	;; [unrolled: 1-line block ×4, first 2 shown]
	s_and_saveexec_b64 s[4:5], vcc
	s_cbranch_execz .LBB96_203
; %bb.202:
	v_accvgpr_read_b32 v5, a85
	buffer_load_dword v2, v5, s[0:3], 0 offen
	buffer_load_dword v3, v5, s[0:3], 0 offen offset:4
	buffer_load_dword v4, v5, s[0:3], 0 offen offset:8
	s_nop 0
	buffer_load_dword v5, v5, s[0:3], 0 offen offset:12
	s_nop 0
	buffer_store_dword v136, off, s[0:3], 0 offset:80
	buffer_store_dword v136, off, s[0:3], 0 offset:84
	;; [unrolled: 1-line block ×4, first 2 shown]
	s_waitcnt vmcnt(4)
	ds_write_b128 v1, v[2:5]
.LBB96_203:
	s_or_b64 exec, exec, s[4:5]
	s_waitcnt lgkmcnt(0)
	; wave barrier
	s_waitcnt lgkmcnt(0)
	buffer_load_dword v34, off, s[0:3], 0 offset:96
	buffer_load_dword v35, off, s[0:3], 0 offset:100
	;; [unrolled: 1-line block ×32, first 2 shown]
	ds_read_b128 v[30:33], v136 offset:608
	ds_read_b128 v[26:29], v136 offset:624
	;; [unrolled: 1-line block ×8, first 2 shown]
	buffer_load_dword v67, off, s[0:3], 0 offset:236
	buffer_load_dword v66, off, s[0:3], 0 offset:232
	;; [unrolled: 1-line block ×24, first 2 shown]
	v_cmp_lt_u32_e32 vcc, 3, v0
	s_waitcnt vmcnt(52) lgkmcnt(7)
	v_mul_f64 v[90:91], v[30:31], v[38:39]
	v_fmac_f64_e32 v[90:91], v[32:33], v[34:35]
	v_add_f64 v[90:91], v[90:91], 0
	v_mul_f64 v[32:33], v[32:33], v[38:39]
	s_waitcnt vmcnt(48) lgkmcnt(6)
	v_mul_f64 v[92:93], v[26:27], v[40:41]
	v_fmac_f64_e32 v[92:93], v[28:29], v[36:37]
	s_waitcnt vmcnt(46) lgkmcnt(5)
	v_mul_f64 v[94:95], v[22:23], v[42:43]
	v_add_f64 v[90:91], v[90:91], v[92:93]
	s_waitcnt vmcnt(44) lgkmcnt(4)
	v_mul_f64 v[96:97], v[18:19], v[48:49]
	v_fma_f64 v[30:31], v[30:31], v[34:35], -v[32:33]
	s_waitcnt vmcnt(42) lgkmcnt(1)
	v_mul_f64 v[124:125], v[2:3], v[50:51]
	v_mul_f64 v[28:29], v[28:29], v[40:41]
	s_waitcnt vmcnt(18) lgkmcnt(0)
	v_mul_f64 v[140:141], v[14:15], v[70:71]
	v_mul_f64 v[100:101], v[6:7], v[54:55]
	s_waitcnt vmcnt(16)
	v_fmac_f64_e32 v[140:141], v[16:17], v[72:73]
	v_mul_f64 v[98:99], v[10:11], v[56:57]
	v_add_f64 v[30:31], v[30:31], 0
	v_fmac_f64_e32 v[98:99], v[12:13], v[58:59]
	v_fma_f64 v[26:27], v[26:27], v[36:37], -v[28:29]
	v_fmac_f64_e32 v[94:95], v[24:25], v[64:65]
	v_add_f64 v[90:91], v[90:91], v[94:95]
	v_fmac_f64_e32 v[96:97], v[20:21], v[62:63]
	v_add_f64 v[90:91], v[90:91], v[96:97]
	;; [unrolled: 2-line block ×3, first 2 shown]
	v_add_f64 v[126:127], v[90:91], v[100:101]
	buffer_load_dword v91, off, s[0:3], 0 offset:332
	buffer_load_dword v90, off, s[0:3], 0 offset:328
	buffer_load_dword v93, off, s[0:3], 0 offset:324
	buffer_load_dword v92, off, s[0:3], 0 offset:320
	buffer_load_dword v95, off, s[0:3], 0 offset:316
	buffer_load_dword v94, off, s[0:3], 0 offset:312
	buffer_load_dword v97, off, s[0:3], 0 offset:308
	buffer_load_dword v96, off, s[0:3], 0 offset:304
	buffer_load_dword v99, off, s[0:3], 0 offset:364
	buffer_load_dword v98, off, s[0:3], 0 offset:360
	buffer_load_dword v101, off, s[0:3], 0 offset:356
	buffer_load_dword v100, off, s[0:3], 0 offset:352
	buffer_load_dword v103, off, s[0:3], 0 offset:348
	buffer_load_dword v102, off, s[0:3], 0 offset:344
	buffer_load_dword v105, off, s[0:3], 0 offset:340
	buffer_load_dword v104, off, s[0:3], 0 offset:336
	buffer_load_dword v107, off, s[0:3], 0 offset:396
	buffer_load_dword v106, off, s[0:3], 0 offset:392
	buffer_load_dword v109, off, s[0:3], 0 offset:388
	buffer_load_dword v108, off, s[0:3], 0 offset:384
	buffer_load_dword v111, off, s[0:3], 0 offset:380
	buffer_load_dword v110, off, s[0:3], 0 offset:376
	buffer_load_dword v113, off, s[0:3], 0 offset:372
	buffer_load_dword v112, off, s[0:3], 0 offset:368
	buffer_load_dword v115, off, s[0:3], 0 offset:428
	buffer_load_dword v114, off, s[0:3], 0 offset:424
	buffer_load_dword v117, off, s[0:3], 0 offset:420
	buffer_load_dword v116, off, s[0:3], 0 offset:416
	buffer_load_dword v121, off, s[0:3], 0 offset:412
	buffer_load_dword v120, off, s[0:3], 0 offset:408
	buffer_load_dword v123, off, s[0:3], 0 offset:404
	buffer_load_dword v122, off, s[0:3], 0 offset:400
	buffer_load_dword v129, off, s[0:3], 0 offset:460
	buffer_load_dword v128, off, s[0:3], 0 offset:456
	buffer_load_dword v131, off, s[0:3], 0 offset:452
	buffer_load_dword v130, off, s[0:3], 0 offset:448
	buffer_load_dword v133, off, s[0:3], 0 offset:444
	buffer_load_dword v132, off, s[0:3], 0 offset:440
	buffer_load_dword v135, off, s[0:3], 0 offset:436
	buffer_load_dword v134, off, s[0:3], 0 offset:432
	buffer_load_dword v175, off, s[0:3], 0 offset:492
	buffer_load_dword v174, off, s[0:3], 0 offset:488
	buffer_load_dword v177, off, s[0:3], 0 offset:484
	buffer_load_dword v176, off, s[0:3], 0 offset:480
	buffer_load_dword v179, off, s[0:3], 0 offset:476
	buffer_load_dword v178, off, s[0:3], 0 offset:472
	buffer_load_dword v225, off, s[0:3], 0 offset:468
	buffer_load_dword v224, off, s[0:3], 0 offset:464
	buffer_load_dword v227, off, s[0:3], 0 offset:524
	buffer_load_dword v226, off, s[0:3], 0 offset:520
	buffer_load_dword v229, off, s[0:3], 0 offset:516
	buffer_load_dword v228, off, s[0:3], 0 offset:512
	buffer_load_dword v231, off, s[0:3], 0 offset:508
	buffer_load_dword v230, off, s[0:3], 0 offset:504
	buffer_load_dword v233, off, s[0:3], 0 offset:500
	buffer_load_dword v232, off, s[0:3], 0 offset:496
	v_fmac_f64_e32 v[124:125], v[4:5], v[52:53]
	v_add_f64 v[138:139], v[126:127], v[124:125]
	ds_read_b128 v[124:127], v136 offset:736
	buffer_load_dword v235, off, s[0:3], 0 offset:540
	buffer_load_dword v234, off, s[0:3], 0 offset:536
	;; [unrolled: 1-line block ×4, first 2 shown]
	v_add_f64 v[142:143], v[138:139], v[140:141]
	ds_read_b128 v[138:141], v136 offset:752
	v_mul_f64 v[24:25], v[24:25], v[42:43]
	s_waitcnt lgkmcnt(1)
	v_mul_f64 v[144:145], v[124:125], v[66:67]
	v_fmac_f64_e32 v[144:145], v[126:127], v[68:69]
	v_add_f64 v[146:147], v[142:143], v[144:145]
	ds_read_b128 v[142:145], v136 offset:768
	s_waitcnt vmcnt(62) lgkmcnt(1)
	v_mul_f64 v[148:149], v[138:139], v[78:79]
	v_fmac_f64_e32 v[148:149], v[140:141], v[80:81]
	v_add_f64 v[150:151], v[146:147], v[148:149]
	ds_read_b128 v[146:149], v136 offset:784
	s_waitcnt lgkmcnt(1)
	v_mul_f64 v[152:153], v[142:143], v[74:75]
	v_fmac_f64_e32 v[152:153], v[144:145], v[76:77]
	v_add_f64 v[154:155], v[150:151], v[152:153]
	ds_read_b128 v[150:153], v136 offset:800
	s_waitcnt lgkmcnt(1)
	v_mul_f64 v[156:157], v[146:147], v[86:87]
	s_waitcnt vmcnt(60)
	v_fmac_f64_e32 v[156:157], v[148:149], v[88:89]
	v_add_f64 v[158:159], v[154:155], v[156:157]
	ds_read_b128 v[154:157], v136 offset:816
	s_waitcnt lgkmcnt(1)
	v_mul_f64 v[160:161], v[150:151], v[82:83]
	v_fmac_f64_e32 v[160:161], v[152:153], v[84:85]
	v_add_f64 v[162:163], v[158:159], v[160:161]
	ds_read_b128 v[158:161], v136 offset:832
	v_add_f64 v[26:27], v[30:31], v[26:27]
	v_fma_f64 v[22:23], v[22:23], v[64:65], -v[24:25]
	s_waitcnt vmcnt(54) lgkmcnt(1)
	v_mul_f64 v[164:165], v[154:155], v[94:95]
	v_mul_f64 v[20:21], v[20:21], v[48:49]
	s_waitcnt vmcnt(52)
	v_fmac_f64_e32 v[164:165], v[156:157], v[96:97]
	v_add_f64 v[166:167], v[162:163], v[164:165]
	ds_read_b128 v[162:165], v136 offset:848
	s_waitcnt lgkmcnt(1)
	v_mul_f64 v[168:169], v[158:159], v[90:91]
	v_fmac_f64_e32 v[168:169], v[160:161], v[92:93]
	v_add_f64 v[22:23], v[26:27], v[22:23]
	v_fma_f64 v[18:19], v[18:19], v[62:63], -v[20:21]
	v_mul_f64 v[12:13], v[12:13], v[56:57]
	v_add_f64 v[170:171], v[166:167], v[168:169]
	ds_read_b128 v[166:169], v136 offset:864
	v_add_f64 v[18:19], v[22:23], v[18:19]
	v_fma_f64 v[10:11], v[10:11], v[58:59], -v[12:13]
	v_mul_f64 v[8:9], v[8:9], v[54:55]
	v_add_f64 v[10:11], v[18:19], v[10:11]
	v_fma_f64 v[6:7], v[6:7], v[60:61], -v[8:9]
	v_mul_f64 v[4:5], v[4:5], v[50:51]
	;; [unrolled: 3-line block ×3, first 2 shown]
	s_waitcnt vmcnt(46) lgkmcnt(1)
	v_mul_f64 v[172:173], v[162:163], v[102:103]
	v_add_f64 v[2:3], v[6:7], v[2:3]
	v_fma_f64 v[4:5], v[14:15], v[72:73], -v[4:5]
	s_waitcnt vmcnt(44)
	v_fmac_f64_e32 v[172:173], v[164:165], v[104:105]
	v_add_f64 v[2:3], v[2:3], v[4:5]
	v_mul_f64 v[4:5], v[126:127], v[66:67]
	v_add_f64 v[184:185], v[170:171], v[172:173]
	ds_read_b128 v[170:173], v136 offset:880
	s_waitcnt lgkmcnt(1)
	v_mul_f64 v[186:187], v[166:167], v[98:99]
	v_fma_f64 v[4:5], v[124:125], v[68:69], -v[4:5]
	v_fmac_f64_e32 v[186:187], v[168:169], v[100:101]
	v_add_f64 v[2:3], v[2:3], v[4:5]
	v_mul_f64 v[4:5], v[140:141], v[78:79]
	v_add_f64 v[188:189], v[184:185], v[186:187]
	ds_read_b128 v[184:187], v136 offset:896
	v_fma_f64 v[4:5], v[138:139], v[80:81], -v[4:5]
	v_add_f64 v[2:3], v[2:3], v[4:5]
	v_mul_f64 v[4:5], v[144:145], v[74:75]
	v_fma_f64 v[4:5], v[142:143], v[76:77], -v[4:5]
	s_waitcnt vmcnt(38) lgkmcnt(1)
	v_mul_f64 v[190:191], v[170:171], v[110:111]
	v_add_f64 v[2:3], v[2:3], v[4:5]
	v_mul_f64 v[4:5], v[148:149], v[86:87]
	s_waitcnt vmcnt(36)
	v_fmac_f64_e32 v[190:191], v[172:173], v[112:113]
	v_fma_f64 v[4:5], v[146:147], v[88:89], -v[4:5]
	v_add_f64 v[192:193], v[188:189], v[190:191]
	ds_read_b128 v[188:191], v136 offset:912
	s_waitcnt lgkmcnt(1)
	v_mul_f64 v[194:195], v[184:185], v[106:107]
	v_add_f64 v[2:3], v[2:3], v[4:5]
	v_mul_f64 v[4:5], v[152:153], v[82:83]
	v_fmac_f64_e32 v[194:195], v[186:187], v[108:109]
	v_fma_f64 v[4:5], v[150:151], v[84:85], -v[4:5]
	v_add_f64 v[196:197], v[192:193], v[194:195]
	ds_read_b128 v[192:195], v136 offset:928
	v_add_f64 v[2:3], v[2:3], v[4:5]
	v_mul_f64 v[4:5], v[156:157], v[94:95]
	v_fma_f64 v[4:5], v[154:155], v[96:97], -v[4:5]
	v_add_f64 v[2:3], v[2:3], v[4:5]
	v_mul_f64 v[4:5], v[160:161], v[90:91]
	s_waitcnt vmcnt(30) lgkmcnt(1)
	v_mul_f64 v[198:199], v[188:189], v[120:121]
	v_fma_f64 v[4:5], v[158:159], v[92:93], -v[4:5]
	s_waitcnt vmcnt(28)
	v_fmac_f64_e32 v[198:199], v[190:191], v[122:123]
	v_add_f64 v[2:3], v[2:3], v[4:5]
	v_mul_f64 v[4:5], v[164:165], v[102:103]
	v_add_f64 v[200:201], v[196:197], v[198:199]
	ds_read_b128 v[196:199], v136 offset:944
	s_waitcnt lgkmcnt(1)
	v_mul_f64 v[202:203], v[192:193], v[114:115]
	v_fma_f64 v[4:5], v[162:163], v[104:105], -v[4:5]
	v_fmac_f64_e32 v[202:203], v[194:195], v[116:117]
	v_add_f64 v[2:3], v[2:3], v[4:5]
	v_mul_f64 v[4:5], v[168:169], v[98:99]
	v_add_f64 v[204:205], v[200:201], v[202:203]
	ds_read_b128 v[200:203], v136 offset:960
	v_fma_f64 v[4:5], v[166:167], v[100:101], -v[4:5]
	v_add_f64 v[2:3], v[2:3], v[4:5]
	v_mul_f64 v[4:5], v[172:173], v[110:111]
	v_fma_f64 v[4:5], v[170:171], v[112:113], -v[4:5]
	s_waitcnt vmcnt(22) lgkmcnt(1)
	v_mul_f64 v[206:207], v[196:197], v[132:133]
	v_add_f64 v[2:3], v[2:3], v[4:5]
	v_mul_f64 v[4:5], v[186:187], v[106:107]
	s_waitcnt vmcnt(20)
	v_fmac_f64_e32 v[206:207], v[198:199], v[134:135]
	v_fma_f64 v[4:5], v[184:185], v[108:109], -v[4:5]
	v_add_f64 v[208:209], v[204:205], v[206:207]
	ds_read_b128 v[204:207], v136 offset:976
	s_waitcnt lgkmcnt(1)
	v_mul_f64 v[210:211], v[200:201], v[128:129]
	v_add_f64 v[2:3], v[2:3], v[4:5]
	v_mul_f64 v[4:5], v[190:191], v[120:121]
	v_fmac_f64_e32 v[210:211], v[202:203], v[130:131]
	v_fma_f64 v[4:5], v[188:189], v[122:123], -v[4:5]
	v_add_f64 v[212:213], v[208:209], v[210:211]
	ds_read_b128 v[208:211], v136 offset:992
	v_add_f64 v[2:3], v[2:3], v[4:5]
	v_mul_f64 v[4:5], v[194:195], v[114:115]
	v_fma_f64 v[4:5], v[192:193], v[116:117], -v[4:5]
	v_add_f64 v[2:3], v[2:3], v[4:5]
	v_mul_f64 v[4:5], v[198:199], v[132:133]
	s_waitcnt vmcnt(14) lgkmcnt(1)
	v_mul_f64 v[214:215], v[204:205], v[178:179]
	v_fma_f64 v[4:5], v[196:197], v[134:135], -v[4:5]
	s_waitcnt vmcnt(12)
	v_fmac_f64_e32 v[214:215], v[206:207], v[224:225]
	v_add_f64 v[2:3], v[2:3], v[4:5]
	v_mul_f64 v[4:5], v[202:203], v[128:129]
	v_add_f64 v[216:217], v[212:213], v[214:215]
	ds_read_b128 v[212:215], v136 offset:1008
	s_waitcnt lgkmcnt(1)
	v_mul_f64 v[218:219], v[208:209], v[174:175]
	v_fma_f64 v[4:5], v[200:201], v[130:131], -v[4:5]
	v_fmac_f64_e32 v[218:219], v[210:211], v[176:177]
	v_add_f64 v[2:3], v[2:3], v[4:5]
	v_mul_f64 v[4:5], v[206:207], v[178:179]
	v_add_f64 v[238:239], v[216:217], v[218:219]
	ds_read_b128 v[216:219], v136 offset:1024
	v_fma_f64 v[4:5], v[204:205], v[224:225], -v[4:5]
	v_add_f64 v[2:3], v[2:3], v[4:5]
	v_mul_f64 v[4:5], v[210:211], v[174:175]
	ds_read_b128 v[220:223], v136 offset:1040
	v_fma_f64 v[4:5], v[208:209], v[176:177], -v[4:5]
	v_add_f64 v[2:3], v[2:3], v[4:5]
	s_waitcnt vmcnt(6) lgkmcnt(2)
	v_mul_f64 v[4:5], v[214:215], v[230:231]
	v_mul_f64 v[240:241], v[212:213], v[230:231]
	s_waitcnt vmcnt(4)
	v_fma_f64 v[4:5], v[212:213], v[232:233], -v[4:5]
	v_fmac_f64_e32 v[240:241], v[214:215], v[232:233]
	v_add_f64 v[2:3], v[2:3], v[4:5]
	s_waitcnt lgkmcnt(1)
	v_mul_f64 v[4:5], v[218:219], v[226:227]
	v_add_f64 v[136:137], v[238:239], v[240:241]
	v_mul_f64 v[238:239], v[216:217], v[226:227]
	v_fma_f64 v[4:5], v[216:217], v[228:229], -v[4:5]
	v_fmac_f64_e32 v[238:239], v[218:219], v[228:229]
	v_add_f64 v[2:3], v[2:3], v[4:5]
	s_waitcnt vmcnt(2) lgkmcnt(0)
	v_mul_f64 v[4:5], v[222:223], v[234:235]
	v_add_f64 v[136:137], v[136:137], v[238:239]
	v_mul_f64 v[238:239], v[220:221], v[234:235]
	s_waitcnt vmcnt(0)
	v_fma_f64 v[4:5], v[220:221], v[236:237], -v[4:5]
	v_fmac_f64_e32 v[238:239], v[222:223], v[236:237]
	v_add_f64 v[2:3], v[2:3], v[4:5]
	v_add_f64 v[136:137], v[136:137], v[238:239]
	v_add_f64 v[2:3], v[46:47], -v[2:3]
	v_add_f64 v[4:5], v[44:45], -v[136:137]
	buffer_store_dword v3, off, s[0:3], 0 offset:84
	buffer_store_dword v2, off, s[0:3], 0 offset:80
	;; [unrolled: 1-line block ×4, first 2 shown]
	s_and_saveexec_b64 s[4:5], vcc
	s_cbranch_execz .LBB96_205
; %bb.204:
	v_accvgpr_read_b32 v5, a90
	buffer_load_dword v2, v5, s[0:3], 0 offen
	buffer_load_dword v3, v5, s[0:3], 0 offen offset:4
	buffer_load_dword v4, v5, s[0:3], 0 offen offset:8
	s_nop 0
	buffer_load_dword v5, v5, s[0:3], 0 offen offset:12
	v_mov_b32_e32 v6, 0
	buffer_store_dword v6, off, s[0:3], 0 offset:64
	buffer_store_dword v6, off, s[0:3], 0 offset:68
	;; [unrolled: 1-line block ×4, first 2 shown]
	s_waitcnt vmcnt(4)
	ds_write_b128 v1, v[2:5]
.LBB96_205:
	s_or_b64 exec, exec, s[4:5]
	s_waitcnt lgkmcnt(0)
	; wave barrier
	s_waitcnt lgkmcnt(0)
	buffer_load_dword v38, off, s[0:3], 0 offset:80
	buffer_load_dword v39, off, s[0:3], 0 offset:84
	;; [unrolled: 1-line block ×48, first 2 shown]
	v_mov_b32_e32 v152, 0
	ds_read_b128 v[34:37], v152 offset:592
	ds_read_b128 v[30:33], v152 offset:608
	ds_read_b128 v[26:29], v152 offset:624
	ds_read_b128 v[22:25], v152 offset:640
	ds_read_b128 v[18:21], v152 offset:656
	ds_read_b128 v[14:17], v152 offset:672
	ds_read_b128 v[10:13], v152 offset:688
	ds_read_b128 v[6:9], v152 offset:704
	ds_read_b128 v[2:5], v152 offset:720
	v_cmp_lt_u32_e32 vcc, 2, v0
	s_waitcnt vmcnt(44) lgkmcnt(8)
	v_mul_f64 v[86:87], v[34:35], v[42:43]
	v_fmac_f64_e32 v[86:87], v[36:37], v[38:39]
	v_add_f64 v[86:87], v[86:87], 0
	v_mul_f64 v[36:37], v[36:37], v[42:43]
	s_waitcnt vmcnt(40) lgkmcnt(7)
	v_mul_f64 v[88:89], v[30:31], v[44:45]
	v_fmac_f64_e32 v[88:89], v[32:33], v[40:41]
	s_waitcnt vmcnt(38) lgkmcnt(6)
	v_mul_f64 v[90:91], v[26:27], v[46:47]
	v_add_f64 v[86:87], v[86:87], v[88:89]
	s_waitcnt vmcnt(36) lgkmcnt(4)
	v_mul_f64 v[94:95], v[18:19], v[48:49]
	v_fma_f64 v[34:35], v[34:35], v[38:39], -v[36:37]
	s_waitcnt vmcnt(34)
	v_fmac_f64_e32 v[94:95], v[20:21], v[50:51]
	v_mul_f64 v[32:33], v[32:33], v[44:45]
	s_waitcnt vmcnt(32)
	v_mul_f64 v[92:93], v[22:23], v[52:53]
	v_add_f64 v[34:35], v[34:35], 0
	s_waitcnt vmcnt(30) lgkmcnt(2)
	v_mul_f64 v[98:99], v[10:11], v[54:55]
	v_fma_f64 v[30:31], v[30:31], v[40:41], -v[32:33]
	s_waitcnt vmcnt(28)
	v_fmac_f64_e32 v[98:99], v[12:13], v[56:57]
	v_add_f64 v[30:31], v[34:35], v[30:31]
	s_waitcnt vmcnt(26)
	v_mul_f64 v[96:97], v[14:15], v[58:59]
	v_mul_f64 v[20:21], v[20:21], v[48:49]
	v_fma_f64 v[18:19], v[18:19], v[50:51], -v[20:21]
	v_mul_f64 v[12:13], v[12:13], v[54:55]
	s_waitcnt vmcnt(22) lgkmcnt(1)
	v_mul_f64 v[110:111], v[6:7], v[68:69]
	v_fma_f64 v[10:11], v[10:11], v[56:57], -v[12:13]
	s_waitcnt vmcnt(20)
	v_fmac_f64_e32 v[90:91], v[28:29], v[76:77]
	v_add_f64 v[86:87], v[86:87], v[90:91]
	s_waitcnt vmcnt(18)
	v_fmac_f64_e32 v[92:93], v[24:25], v[74:75]
	v_add_f64 v[86:87], v[86:87], v[92:93]
	;; [unrolled: 3-line block ×3, first 2 shown]
	v_add_f64 v[86:87], v[86:87], v[96:97]
	v_add_f64 v[112:113], v[86:87], v[98:99]
	buffer_load_dword v87, off, s[0:3], 0 offset:284
	buffer_load_dword v86, off, s[0:3], 0 offset:280
	;; [unrolled: 1-line block ×72, first 2 shown]
	s_waitcnt vmcnt(62)
	v_fmac_f64_e32 v[110:111], v[8:9], v[70:71]
	v_add_f64 v[144:145], v[112:113], v[110:111]
	ds_read_b128 v[110:113], v152 offset:736
	s_waitcnt lgkmcnt(1)
	v_mul_f64 v[146:147], v[2:3], v[64:65]
	v_fmac_f64_e32 v[146:147], v[4:5], v[66:67]
	v_add_f64 v[148:149], v[144:145], v[146:147]
	ds_read_b128 v[144:147], v152 offset:752
	s_waitcnt lgkmcnt(1)
	v_mul_f64 v[150:151], v[110:111], v[82:83]
	;; [unrolled: 5-line block ×5, first 2 shown]
	v_fmac_f64_e32 v[164:165], v[156:157], v[88:89]
	v_add_f64 v[166:167], v[162:163], v[164:165]
	ds_read_b128 v[162:165], v152 offset:816
	s_waitcnt vmcnt(58) lgkmcnt(1)
	v_mul_f64 v[168:169], v[158:159], v[98:99]
	s_waitcnt vmcnt(56)
	v_fmac_f64_e32 v[168:169], v[160:161], v[100:101]
	v_add_f64 v[170:171], v[166:167], v[168:169]
	ds_read_b128 v[166:169], v152 offset:832
	s_waitcnt lgkmcnt(1)
	v_mul_f64 v[172:173], v[162:163], v[94:95]
	v_fmac_f64_e32 v[172:173], v[164:165], v[96:97]
	v_mul_f64 v[28:29], v[28:29], v[46:47]
	v_add_f64 v[184:185], v[170:171], v[172:173]
	ds_read_b128 v[170:173], v152 offset:848
	s_waitcnt vmcnt(50) lgkmcnt(1)
	v_mul_f64 v[186:187], v[166:167], v[106:107]
	v_fma_f64 v[26:27], v[26:27], v[76:77], -v[28:29]
	v_mul_f64 v[24:25], v[24:25], v[52:53]
	s_waitcnt vmcnt(48)
	v_fmac_f64_e32 v[186:187], v[168:169], v[108:109]
	v_add_f64 v[26:27], v[30:31], v[26:27]
	v_fma_f64 v[22:23], v[22:23], v[74:75], -v[24:25]
	v_add_f64 v[188:189], v[184:185], v[186:187]
	ds_read_b128 v[184:187], v152 offset:864
	v_add_f64 v[22:23], v[26:27], v[22:23]
	v_mul_f64 v[16:17], v[16:17], v[58:59]
	v_add_f64 v[18:19], v[22:23], v[18:19]
	v_fma_f64 v[14:15], v[14:15], v[72:73], -v[16:17]
	v_add_f64 v[14:15], v[18:19], v[14:15]
	v_mul_f64 v[8:9], v[8:9], v[68:69]
	s_waitcnt lgkmcnt(1)
	v_mul_f64 v[190:191], v[170:171], v[102:103]
	v_add_f64 v[10:11], v[14:15], v[10:11]
	v_fma_f64 v[6:7], v[6:7], v[70:71], -v[8:9]
	v_mul_f64 v[4:5], v[4:5], v[64:65]
	v_fmac_f64_e32 v[190:191], v[172:173], v[104:105]
	v_add_f64 v[6:7], v[10:11], v[6:7]
	v_fma_f64 v[2:3], v[2:3], v[66:67], -v[4:5]
	v_mul_f64 v[4:5], v[112:113], v[82:83]
	v_add_f64 v[192:193], v[188:189], v[190:191]
	ds_read_b128 v[188:191], v152 offset:880
	s_waitcnt vmcnt(42) lgkmcnt(1)
	v_mul_f64 v[194:195], v[184:185], v[120:121]
	v_add_f64 v[2:3], v[6:7], v[2:3]
	v_fma_f64 v[4:5], v[110:111], v[84:85], -v[4:5]
	s_waitcnt vmcnt(40)
	v_fmac_f64_e32 v[194:195], v[186:187], v[122:123]
	v_add_f64 v[2:3], v[2:3], v[4:5]
	v_mul_f64 v[4:5], v[146:147], v[78:79]
	v_add_f64 v[196:197], v[192:193], v[194:195]
	ds_read_b128 v[192:195], v152 offset:896
	v_fma_f64 v[4:5], v[144:145], v[80:81], -v[4:5]
	v_add_f64 v[2:3], v[2:3], v[4:5]
	v_mul_f64 v[4:5], v[150:151], v[90:91]
	v_fma_f64 v[4:5], v[148:149], v[92:93], -v[4:5]
	s_waitcnt lgkmcnt(1)
	v_mul_f64 v[198:199], v[188:189], v[114:115]
	v_add_f64 v[2:3], v[2:3], v[4:5]
	v_mul_f64 v[4:5], v[156:157], v[86:87]
	v_fmac_f64_e32 v[198:199], v[190:191], v[116:117]
	v_fma_f64 v[4:5], v[154:155], v[88:89], -v[4:5]
	v_add_f64 v[200:201], v[196:197], v[198:199]
	ds_read_b128 v[196:199], v152 offset:912
	s_waitcnt vmcnt(34) lgkmcnt(1)
	v_mul_f64 v[202:203], v[192:193], v[128:129]
	v_add_f64 v[2:3], v[2:3], v[4:5]
	v_mul_f64 v[4:5], v[160:161], v[98:99]
	s_waitcnt vmcnt(32)
	v_fmac_f64_e32 v[202:203], v[194:195], v[130:131]
	v_fma_f64 v[4:5], v[158:159], v[100:101], -v[4:5]
	v_add_f64 v[204:205], v[200:201], v[202:203]
	ds_read_b128 v[200:203], v152 offset:928
	v_add_f64 v[2:3], v[2:3], v[4:5]
	v_mul_f64 v[4:5], v[164:165], v[94:95]
	v_fma_f64 v[4:5], v[162:163], v[96:97], -v[4:5]
	v_add_f64 v[2:3], v[2:3], v[4:5]
	v_mul_f64 v[4:5], v[168:169], v[106:107]
	s_waitcnt lgkmcnt(1)
	v_mul_f64 v[206:207], v[196:197], v[124:125]
	v_fma_f64 v[4:5], v[166:167], v[108:109], -v[4:5]
	v_fmac_f64_e32 v[206:207], v[198:199], v[126:127]
	v_add_f64 v[2:3], v[2:3], v[4:5]
	v_mul_f64 v[4:5], v[172:173], v[102:103]
	v_add_f64 v[208:209], v[204:205], v[206:207]
	ds_read_b128 v[204:207], v152 offset:944
	s_waitcnt vmcnt(26) lgkmcnt(1)
	v_mul_f64 v[210:211], v[200:201], v[136:137]
	v_fma_f64 v[4:5], v[170:171], v[104:105], -v[4:5]
	s_waitcnt vmcnt(24)
	v_fmac_f64_e32 v[210:211], v[202:203], v[138:139]
	v_add_f64 v[2:3], v[2:3], v[4:5]
	v_mul_f64 v[4:5], v[186:187], v[120:121]
	v_add_f64 v[212:213], v[208:209], v[210:211]
	ds_read_b128 v[208:211], v152 offset:960
	v_fma_f64 v[4:5], v[184:185], v[122:123], -v[4:5]
	v_add_f64 v[2:3], v[2:3], v[4:5]
	v_mul_f64 v[4:5], v[190:191], v[114:115]
	v_fma_f64 v[4:5], v[188:189], v[116:117], -v[4:5]
	s_waitcnt lgkmcnt(1)
	v_mul_f64 v[214:215], v[204:205], v[132:133]
	v_add_f64 v[2:3], v[2:3], v[4:5]
	v_mul_f64 v[4:5], v[194:195], v[128:129]
	v_fmac_f64_e32 v[214:215], v[206:207], v[134:135]
	v_fma_f64 v[4:5], v[192:193], v[130:131], -v[4:5]
	v_add_f64 v[216:217], v[212:213], v[214:215]
	ds_read_b128 v[212:215], v152 offset:976
	s_waitcnt vmcnt(18) lgkmcnt(1)
	v_mul_f64 v[218:219], v[208:209], v[174:175]
	v_add_f64 v[2:3], v[2:3], v[4:5]
	v_mul_f64 v[4:5], v[198:199], v[124:125]
	s_waitcnt vmcnt(16)
	v_fmac_f64_e32 v[218:219], v[210:211], v[176:177]
	v_fma_f64 v[4:5], v[196:197], v[126:127], -v[4:5]
	v_add_f64 v[220:221], v[216:217], v[218:219]
	ds_read_b128 v[216:219], v152 offset:992
	v_add_f64 v[2:3], v[2:3], v[4:5]
	v_mul_f64 v[4:5], v[202:203], v[136:137]
	v_fma_f64 v[4:5], v[200:201], v[138:139], -v[4:5]
	v_add_f64 v[2:3], v[2:3], v[4:5]
	v_mul_f64 v[4:5], v[206:207], v[132:133]
	s_waitcnt lgkmcnt(1)
	v_mul_f64 v[222:223], v[212:213], v[140:141]
	v_fma_f64 v[4:5], v[204:205], v[134:135], -v[4:5]
	v_fmac_f64_e32 v[222:223], v[214:215], v[142:143]
	v_add_f64 v[2:3], v[2:3], v[4:5]
	v_mul_f64 v[4:5], v[210:211], v[174:175]
	v_add_f64 v[224:225], v[220:221], v[222:223]
	ds_read_b128 v[220:223], v152 offset:1008
	s_waitcnt vmcnt(10) lgkmcnt(1)
	v_mul_f64 v[226:227], v[216:217], v[234:235]
	v_fma_f64 v[4:5], v[208:209], v[176:177], -v[4:5]
	s_waitcnt vmcnt(8)
	v_fmac_f64_e32 v[226:227], v[218:219], v[236:237]
	v_add_f64 v[2:3], v[2:3], v[4:5]
	v_mul_f64 v[4:5], v[214:215], v[140:141]
	v_add_f64 v[246:247], v[224:225], v[226:227]
	ds_read_b128 v[224:227], v152 offset:1024
	ds_read_b128 v[228:231], v152 offset:1040
	v_fma_f64 v[4:5], v[212:213], v[142:143], -v[4:5]
	v_add_f64 v[2:3], v[2:3], v[4:5]
	v_mul_f64 v[4:5], v[218:219], v[234:235]
	v_fma_f64 v[4:5], v[216:217], v[236:237], -v[4:5]
	v_add_f64 v[2:3], v[2:3], v[4:5]
	s_waitcnt lgkmcnt(2)
	v_mul_f64 v[4:5], v[222:223], v[178:179]
	v_mul_f64 v[248:249], v[220:221], v[178:179]
	v_fma_f64 v[4:5], v[220:221], v[232:233], -v[4:5]
	v_fmac_f64_e32 v[248:249], v[222:223], v[232:233]
	v_add_f64 v[2:3], v[2:3], v[4:5]
	s_waitcnt vmcnt(2) lgkmcnt(1)
	v_mul_f64 v[4:5], v[226:227], v[242:243]
	v_add_f64 v[246:247], v[246:247], v[248:249]
	v_mul_f64 v[248:249], v[224:225], v[242:243]
	s_waitcnt vmcnt(0)
	v_fma_f64 v[4:5], v[224:225], v[244:245], -v[4:5]
	v_fmac_f64_e32 v[248:249], v[226:227], v[244:245]
	v_add_f64 v[2:3], v[2:3], v[4:5]
	s_waitcnt lgkmcnt(0)
	v_mul_f64 v[4:5], v[230:231], v[238:239]
	v_add_f64 v[246:247], v[246:247], v[248:249]
	v_mul_f64 v[248:249], v[228:229], v[238:239]
	v_fma_f64 v[4:5], v[228:229], v[240:241], -v[4:5]
	v_fmac_f64_e32 v[248:249], v[230:231], v[240:241]
	v_add_f64 v[2:3], v[2:3], v[4:5]
	v_add_f64 v[246:247], v[246:247], v[248:249]
	v_add_f64 v[2:3], v[62:63], -v[2:3]
	v_add_f64 v[4:5], v[60:61], -v[246:247]
	buffer_store_dword v3, off, s[0:3], 0 offset:68
	buffer_store_dword v2, off, s[0:3], 0 offset:64
	;; [unrolled: 1-line block ×4, first 2 shown]
	s_and_saveexec_b64 s[4:5], vcc
	s_cbranch_execz .LBB96_207
; %bb.206:
	v_accvgpr_read_b32 v5, a91
	buffer_load_dword v2, v5, s[0:3], 0 offen
	buffer_load_dword v3, v5, s[0:3], 0 offen offset:4
	buffer_load_dword v4, v5, s[0:3], 0 offen offset:8
	s_nop 0
	buffer_load_dword v5, v5, s[0:3], 0 offen offset:12
	s_nop 0
	buffer_store_dword v152, off, s[0:3], 0 offset:48
	buffer_store_dword v152, off, s[0:3], 0 offset:52
	buffer_store_dword v152, off, s[0:3], 0 offset:56
	buffer_store_dword v152, off, s[0:3], 0 offset:60
	s_waitcnt vmcnt(4)
	ds_write_b128 v1, v[2:5]
.LBB96_207:
	s_or_b64 exec, exec, s[4:5]
	s_waitcnt lgkmcnt(0)
	; wave barrier
	s_waitcnt lgkmcnt(0)
	buffer_load_dword v48, off, s[0:3], 0 offset:64
	buffer_load_dword v49, off, s[0:3], 0 offset:68
	;; [unrolled: 1-line block ×40, first 2 shown]
	ds_read_b128 v[38:41], v152 offset:576
	ds_read_b128 v[34:37], v152 offset:592
	;; [unrolled: 1-line block ×10, first 2 shown]
	buffer_load_dword v83, off, s[0:3], 0 offset:236
	buffer_load_dword v82, off, s[0:3], 0 offset:232
	;; [unrolled: 1-line block ×8, first 2 shown]
	v_cmp_lt_u32_e32 vcc, 1, v0
	s_waitcnt vmcnt(44) lgkmcnt(9)
	v_mul_f64 v[90:91], v[38:39], v[50:51]
	v_fmac_f64_e32 v[90:91], v[40:41], v[48:49]
	v_add_f64 v[90:91], v[90:91], 0
	v_mul_f64 v[40:41], v[40:41], v[50:51]
	s_waitcnt vmcnt(40) lgkmcnt(8)
	v_mul_f64 v[92:93], v[34:35], v[44:45]
	v_fmac_f64_e32 v[92:93], v[36:37], v[42:43]
	s_waitcnt vmcnt(38) lgkmcnt(7)
	v_mul_f64 v[94:95], v[30:31], v[46:47]
	v_add_f64 v[90:91], v[90:91], v[92:93]
	s_waitcnt vmcnt(36) lgkmcnt(5)
	v_mul_f64 v[98:99], v[22:23], v[52:53]
	v_mul_f64 v[36:37], v[36:37], v[44:45]
	s_waitcnt vmcnt(34)
	v_fmac_f64_e32 v[98:99], v[24:25], v[54:55]
	v_fma_f64 v[34:35], v[34:35], v[42:43], -v[36:37]
	s_waitcnt vmcnt(32)
	v_mul_f64 v[96:97], v[26:27], v[56:57]
	v_mul_f64 v[24:25], v[24:25], v[52:53]
	s_waitcnt vmcnt(30) lgkmcnt(4)
	v_mul_f64 v[100:101], v[18:19], v[62:63]
	v_fma_f64 v[22:23], v[22:23], v[54:55], -v[24:25]
	s_waitcnt vmcnt(28) lgkmcnt(1)
	v_mul_f64 v[124:125], v[2:3], v[64:65]
	s_waitcnt vmcnt(25)
	v_mul_f64 v[104:105], v[6:7], v[68:69]
	s_waitcnt vmcnt(23)
	;; [unrolled: 2-line block ×3, first 2 shown]
	v_fmac_f64_e32 v[102:103], v[12:13], v[72:73]
	v_mul_f64 v[12:13], v[12:13], v[70:71]
	s_waitcnt vmcnt(19)
	v_fmac_f64_e32 v[94:95], v[32:33], v[80:81]
	v_add_f64 v[90:91], v[90:91], v[94:95]
	s_waitcnt vmcnt(17)
	v_fmac_f64_e32 v[96:97], v[28:29], v[78:79]
	v_add_f64 v[90:91], v[90:91], v[96:97]
	;; [unrolled: 3-line block ×3, first 2 shown]
	v_add_f64 v[90:91], v[90:91], v[100:101]
	s_waitcnt vmcnt(13)
	v_fmac_f64_e32 v[104:105], v[8:9], v[74:75]
	v_add_f64 v[90:91], v[90:91], v[102:103]
	v_add_f64 v[126:127], v[90:91], v[104:105]
	buffer_load_dword v91, off, s[0:3], 0 offset:268
	buffer_load_dword v90, off, s[0:3], 0 offset:264
	;; [unrolled: 1-line block ×72, first 2 shown]
	s_waitcnt vmcnt(62)
	v_fmac_f64_e32 v[124:125], v[4:5], v[66:67]
	v_add_f64 v[154:155], v[126:127], v[124:125]
	ds_read_b128 v[124:127], v152 offset:736
	buffer_load_dword v243, off, s[0:3], 0 offset:540
	buffer_load_dword v242, off, s[0:3], 0 offset:536
	;; [unrolled: 1-line block ×4, first 2 shown]
	s_waitcnt lgkmcnt(1)
	v_mul_f64 v[156:157], v[14:15], v[86:87]
	v_fmac_f64_e32 v[156:157], v[16:17], v[88:89]
	v_add_f64 v[158:159], v[154:155], v[156:157]
	ds_read_b128 v[154:157], v152 offset:752
	s_waitcnt lgkmcnt(1)
	v_mul_f64 v[160:161], v[124:125], v[82:83]
	v_fmac_f64_e32 v[160:161], v[126:127], v[84:85]
	v_add_f64 v[162:163], v[158:159], v[160:161]
	ds_read_b128 v[158:161], v152 offset:768
	v_mul_f64 v[32:33], v[32:33], v[46:47]
	s_waitcnt lgkmcnt(1)
	v_mul_f64 v[164:165], v[154:155], v[94:95]
	v_fma_f64 v[30:31], v[30:31], v[80:81], -v[32:33]
	v_fmac_f64_e32 v[164:165], v[156:157], v[96:97]
	v_add_f64 v[166:167], v[162:163], v[164:165]
	ds_read_b128 v[162:165], v152 offset:784
	s_waitcnt lgkmcnt(1)
	v_mul_f64 v[168:169], v[158:159], v[90:91]
	v_fmac_f64_e32 v[168:169], v[160:161], v[92:93]
	v_add_f64 v[170:171], v[166:167], v[168:169]
	ds_read_b128 v[166:169], v152 offset:800
	s_waitcnt vmcnt(62) lgkmcnt(1)
	v_mul_f64 v[172:173], v[162:163], v[102:103]
	s_waitcnt vmcnt(60)
	v_fmac_f64_e32 v[172:173], v[164:165], v[104:105]
	v_add_f64 v[184:185], v[170:171], v[172:173]
	ds_read_b128 v[170:173], v152 offset:816
	s_waitcnt lgkmcnt(1)
	v_mul_f64 v[186:187], v[166:167], v[98:99]
	v_fmac_f64_e32 v[186:187], v[168:169], v[100:101]
	v_add_f64 v[188:189], v[184:185], v[186:187]
	ds_read_b128 v[184:187], v152 offset:832
	s_waitcnt vmcnt(54) lgkmcnt(1)
	v_mul_f64 v[190:191], v[170:171], v[110:111]
	s_waitcnt vmcnt(52)
	;; [unrolled: 11-line block ×7, first 2 shown]
	v_fmac_f64_e32 v[230:231], v[222:223], v[232:233]
	v_add_f64 v[246:247], v[228:229], v[230:231]
	ds_read_b128 v[228:231], v152 offset:1008
	s_waitcnt lgkmcnt(1)
	v_mul_f64 v[248:249], v[224:225], v[174:175]
	v_fmac_f64_e32 v[248:249], v[226:227], v[176:177]
	v_add_f64 v[246:247], v[246:247], v[248:249]
	v_fma_f64 v[248:249], v[38:39], v[48:49], -v[40:41]
	ds_read_b128 v[38:41], v152 offset:1024
	ds_read_b128 v[48:51], v152 offset:1040
	s_waitcnt vmcnt(6) lgkmcnt(2)
	v_mul_f64 v[250:251], v[228:229], v[238:239]
	s_waitcnt vmcnt(4)
	v_fmac_f64_e32 v[250:251], v[230:231], v[240:241]
	v_add_f64 v[152:153], v[246:247], v[250:251]
	s_waitcnt lgkmcnt(1)
	v_mul_f64 v[246:247], v[38:39], v[234:235]
	v_fmac_f64_e32 v[246:247], v[40:41], v[236:237]
	v_add_f64 v[152:153], v[152:153], v[246:247]
	s_waitcnt vmcnt(2) lgkmcnt(0)
	v_mul_f64 v[246:247], v[48:49], v[242:243]
	s_waitcnt vmcnt(0)
	v_fmac_f64_e32 v[246:247], v[50:51], v[244:245]
	v_add_f64 v[152:153], v[152:153], v[246:247]
	v_add_f64 v[246:247], v[248:249], 0
	;; [unrolled: 1-line block ×3, first 2 shown]
	v_mul_f64 v[28:29], v[28:29], v[56:57]
	v_add_f64 v[30:31], v[34:35], v[30:31]
	v_fma_f64 v[26:27], v[26:27], v[78:79], -v[28:29]
	v_add_f64 v[26:27], v[30:31], v[26:27]
	v_mul_f64 v[20:21], v[20:21], v[62:63]
	v_add_f64 v[22:23], v[26:27], v[22:23]
	v_fma_f64 v[18:19], v[18:19], v[76:77], -v[20:21]
	v_add_f64 v[18:19], v[22:23], v[18:19]
	v_fma_f64 v[10:11], v[10:11], v[72:73], -v[12:13]
	v_mul_f64 v[8:9], v[8:9], v[68:69]
	v_add_f64 v[10:11], v[18:19], v[10:11]
	v_fma_f64 v[6:7], v[6:7], v[74:75], -v[8:9]
	v_mul_f64 v[4:5], v[4:5], v[64:65]
	;; [unrolled: 3-line block ×3, first 2 shown]
	v_add_f64 v[2:3], v[6:7], v[2:3]
	v_fma_f64 v[4:5], v[14:15], v[88:89], -v[4:5]
	v_add_f64 v[2:3], v[2:3], v[4:5]
	v_mul_f64 v[4:5], v[126:127], v[82:83]
	v_fma_f64 v[4:5], v[124:125], v[84:85], -v[4:5]
	v_add_f64 v[2:3], v[2:3], v[4:5]
	v_mul_f64 v[4:5], v[156:157], v[94:95]
	v_fma_f64 v[4:5], v[154:155], v[96:97], -v[4:5]
	v_add_f64 v[2:3], v[2:3], v[4:5]
	v_mul_f64 v[4:5], v[160:161], v[90:91]
	v_fma_f64 v[4:5], v[158:159], v[92:93], -v[4:5]
	v_add_f64 v[2:3], v[2:3], v[4:5]
	v_mul_f64 v[4:5], v[164:165], v[102:103]
	v_fma_f64 v[4:5], v[162:163], v[104:105], -v[4:5]
	v_add_f64 v[2:3], v[2:3], v[4:5]
	v_mul_f64 v[4:5], v[168:169], v[98:99]
	v_fma_f64 v[4:5], v[166:167], v[100:101], -v[4:5]
	v_add_f64 v[2:3], v[2:3], v[4:5]
	v_mul_f64 v[4:5], v[172:173], v[110:111]
	v_fma_f64 v[4:5], v[170:171], v[112:113], -v[4:5]
	v_add_f64 v[2:3], v[2:3], v[4:5]
	v_mul_f64 v[4:5], v[186:187], v[106:107]
	v_fma_f64 v[4:5], v[184:185], v[108:109], -v[4:5]
	v_add_f64 v[2:3], v[2:3], v[4:5]
	v_mul_f64 v[4:5], v[190:191], v[120:121]
	v_fma_f64 v[4:5], v[188:189], v[122:123], -v[4:5]
	v_add_f64 v[2:3], v[2:3], v[4:5]
	v_mul_f64 v[4:5], v[194:195], v[114:115]
	v_fma_f64 v[4:5], v[192:193], v[116:117], -v[4:5]
	v_add_f64 v[2:3], v[2:3], v[4:5]
	v_mul_f64 v[4:5], v[198:199], v[132:133]
	v_fma_f64 v[4:5], v[196:197], v[134:135], -v[4:5]
	v_add_f64 v[2:3], v[2:3], v[4:5]
	v_mul_f64 v[4:5], v[202:203], v[128:129]
	v_fma_f64 v[4:5], v[200:201], v[130:131], -v[4:5]
	v_add_f64 v[2:3], v[2:3], v[4:5]
	v_mul_f64 v[4:5], v[206:207], v[140:141]
	v_fma_f64 v[4:5], v[204:205], v[142:143], -v[4:5]
	v_add_f64 v[2:3], v[2:3], v[4:5]
	v_mul_f64 v[4:5], v[210:211], v[136:137]
	v_fma_f64 v[4:5], v[208:209], v[138:139], -v[4:5]
	v_add_f64 v[2:3], v[2:3], v[4:5]
	v_mul_f64 v[4:5], v[214:215], v[148:149]
	v_fma_f64 v[4:5], v[212:213], v[150:151], -v[4:5]
	v_add_f64 v[2:3], v[2:3], v[4:5]
	v_mul_f64 v[4:5], v[218:219], v[144:145]
	v_fma_f64 v[4:5], v[216:217], v[146:147], -v[4:5]
	v_add_f64 v[2:3], v[2:3], v[4:5]
	v_mul_f64 v[4:5], v[222:223], v[178:179]
	v_fma_f64 v[4:5], v[220:221], v[232:233], -v[4:5]
	v_add_f64 v[2:3], v[2:3], v[4:5]
	v_mul_f64 v[4:5], v[226:227], v[174:175]
	v_fma_f64 v[4:5], v[224:225], v[176:177], -v[4:5]
	v_add_f64 v[2:3], v[2:3], v[4:5]
	v_mul_f64 v[4:5], v[230:231], v[238:239]
	v_fma_f64 v[4:5], v[228:229], v[240:241], -v[4:5]
	v_add_f64 v[2:3], v[2:3], v[4:5]
	v_mul_f64 v[4:5], v[40:41], v[234:235]
	v_fma_f64 v[4:5], v[38:39], v[236:237], -v[4:5]
	v_add_f64 v[2:3], v[2:3], v[4:5]
	v_mul_f64 v[4:5], v[50:51], v[242:243]
	v_fma_f64 v[4:5], v[48:49], v[244:245], -v[4:5]
	v_add_f64 v[2:3], v[2:3], v[4:5]
	v_add_f64 v[2:3], v[60:61], -v[2:3]
	v_add_f64 v[4:5], v[58:59], -v[152:153]
	buffer_store_dword v3, off, s[0:3], 0 offset:52
	buffer_store_dword v2, off, s[0:3], 0 offset:48
	;; [unrolled: 1-line block ×4, first 2 shown]
	s_and_saveexec_b64 s[4:5], vcc
	s_cbranch_execz .LBB96_209
; %bb.208:
	v_accvgpr_read_b32 v5, a89
	buffer_load_dword v2, v5, s[0:3], 0 offen
	buffer_load_dword v3, v5, s[0:3], 0 offen offset:4
	buffer_load_dword v4, v5, s[0:3], 0 offen offset:8
	s_nop 0
	buffer_load_dword v5, v5, s[0:3], 0 offen offset:12
	v_mov_b32_e32 v6, 0
	buffer_store_dword v6, off, s[0:3], 0 offset:32
	buffer_store_dword v6, off, s[0:3], 0 offset:36
	;; [unrolled: 1-line block ×4, first 2 shown]
	s_waitcnt vmcnt(4)
	ds_write_b128 v1, v[2:5]
.LBB96_209:
	s_or_b64 exec, exec, s[4:5]
	s_waitcnt lgkmcnt(0)
	; wave barrier
	s_waitcnt lgkmcnt(0)
	buffer_load_dword v106, off, s[0:3], 0 offset:48
	buffer_load_dword v107, off, s[0:3], 0 offset:52
	buffer_load_dword v108, off, s[0:3], 0 offset:56
	buffer_load_dword v109, off, s[0:3], 0 offset:60
	buffer_load_dword v114, off, s[0:3], 0 offset:64
	buffer_load_dword v115, off, s[0:3], 0 offset:68
	buffer_load_dword v116, off, s[0:3], 0 offset:72
	buffer_load_dword v117, off, s[0:3], 0 offset:76
	buffer_load_dword v184, off, s[0:3], 0 offset:88
	buffer_load_dword v185, off, s[0:3], 0 offset:92
	buffer_load_dword v187, off, s[0:3], 0 offset:124
	buffer_load_dword v186, off, s[0:3], 0 offset:120
	buffer_load_dword v189, off, s[0:3], 0 offset:116
	buffer_load_dword v188, off, s[0:3], 0 offset:112
	buffer_load_dword v191, off, s[0:3], 0 offset:108
	buffer_load_dword v190, off, s[0:3], 0 offset:104
	buffer_load_dword v193, off, s[0:3], 0 offset:156
	buffer_load_dword v192, off, s[0:3], 0 offset:152
	buffer_load_dword v195, off, s[0:3], 0 offset:148
	buffer_load_dword v194, off, s[0:3], 0 offset:144
	buffer_load_dword v197, off, s[0:3], 0 offset:140
	buffer_load_dword v196, off, s[0:3], 0 offset:136
	buffer_load_dword v199, off, s[0:3], 0 offset:188
	buffer_load_dword v198, off, s[0:3], 0 offset:184
	buffer_load_dword v201, off, s[0:3], 0 offset:180
	buffer_load_dword v200, off, s[0:3], 0 offset:176
	buffer_load_dword v207, off, s[0:3], 0 offset:172
	buffer_load_dword v206, off, s[0:3], 0 offset:168
	buffer_load_dword v203, off, s[0:3], 0 offset:204
	buffer_load_dword v202, off, s[0:3], 0 offset:200
	buffer_load_dword v218, off, s[0:3], 0 offset:80
	buffer_load_dword v219, off, s[0:3], 0 offset:84
	buffer_load_dword v217, off, s[0:3], 0 offset:100
	buffer_load_dword v216, off, s[0:3], 0 offset:96
	buffer_load_dword v215, off, s[0:3], 0 offset:132
	buffer_load_dword v214, off, s[0:3], 0 offset:128
	buffer_load_dword v213, off, s[0:3], 0 offset:164
	buffer_load_dword v212, off, s[0:3], 0 offset:160
	buffer_load_dword v211, off, s[0:3], 0 offset:196
	buffer_load_dword v210, off, s[0:3], 0 offset:192
	buffer_load_dword v208, off, s[0:3], 0 offset:216
	buffer_load_dword v220, off, s[0:3], 0 offset:208
	buffer_load_dword v221, off, s[0:3], 0 offset:212
	buffer_load_dword v204, off, s[0:3], 0 offset:32
	buffer_load_dword v205, off, s[0:3], 0 offset:36
	buffer_load_dword v209, off, s[0:3], 0 offset:220
	buffer_load_dword v223, off, s[0:3], 0 offset:252
	buffer_load_dword v222, off, s[0:3], 0 offset:248
	buffer_load_dword v225, off, s[0:3], 0 offset:244
	v_mov_b32_e32 v174, 0
	ds_read_b128 v[110:113], v174 offset:560
	ds_read_b128 v[170:173], v174 offset:576
	;; [unrolled: 1-line block ×10, first 2 shown]
	buffer_load_dword v224, off, s[0:3], 0 offset:240
	buffer_load_dword v239, off, s[0:3], 0 offset:236
	;; [unrolled: 1-line block ×69, first 2 shown]
	v_cmp_ne_u32_e32 vcc, 0, v0
	s_waitcnt vmcnt(62) lgkmcnt(9)
	v_mul_f64 v[34:35], v[110:111], v[108:109]
	v_fmac_f64_e32 v[34:35], v[112:113], v[106:107]
	v_add_f64 v[34:35], v[34:35], 0
	v_mul_f64 v[108:109], v[112:113], v[108:109]
	s_waitcnt lgkmcnt(8)
	v_mul_f64 v[36:37], v[170:171], v[116:117]
	v_fmac_f64_e32 v[36:37], v[172:173], v[114:115]
	s_waitcnt lgkmcnt(7)
	v_mul_f64 v[38:39], v[30:31], v[184:185]
	v_add_f64 v[34:35], v[34:35], v[36:37]
	s_waitcnt lgkmcnt(5)
	v_mul_f64 v[42:43], v[22:23], v[186:187]
	v_mul_f64 v[116:117], v[172:173], v[116:117]
	v_fmac_f64_e32 v[42:43], v[24:25], v[188:189]
	v_fma_f64 v[170:171], v[170:171], v[114:115], -v[116:117]
	v_mul_f64 v[40:41], v[26:27], v[190:191]
	v_mul_f64 v[24:25], v[24:25], v[186:187]
	s_waitcnt lgkmcnt(3)
	v_mul_f64 v[46:47], v[14:15], v[192:193]
	v_fma_f64 v[22:23], v[22:23], v[188:189], -v[24:25]
	v_fmac_f64_e32 v[46:47], v[16:17], v[194:195]
	v_mul_f64 v[16:17], v[16:17], v[192:193]
	v_mul_f64 v[44:45], v[18:19], v[196:197]
	v_fma_f64 v[14:15], v[14:15], v[194:195], -v[16:17]
	s_waitcnt lgkmcnt(1)
	v_mul_f64 v[50:51], v[6:7], v[198:199]
	v_fmac_f64_e32 v[50:51], v[8:9], v[200:201]
	v_mul_f64 v[8:9], v[8:9], v[198:199]
	v_mul_f64 v[48:49], v[10:11], v[206:207]
	v_fma_f64 v[6:7], v[6:7], v[200:201], -v[8:9]
	s_waitcnt lgkmcnt(0)
	v_mul_f64 v[52:53], v[2:3], v[202:203]
	v_fmac_f64_e32 v[38:39], v[32:33], v[218:219]
	v_add_f64 v[34:35], v[34:35], v[38:39]
	v_fmac_f64_e32 v[40:41], v[28:29], v[216:217]
	v_add_f64 v[34:35], v[34:35], v[40:41]
	;; [unrolled: 2-line block ×3, first 2 shown]
	v_add_f64 v[34:35], v[34:35], v[44:45]
	v_fmac_f64_e32 v[48:49], v[12:13], v[212:213]
	v_add_f64 v[34:35], v[34:35], v[46:47]
	v_add_f64 v[34:35], v[34:35], v[48:49]
	v_fmac_f64_e32 v[52:53], v[4:5], v[210:211]
	v_add_f64 v[34:35], v[34:35], v[50:51]
	v_add_f64 v[42:43], v[34:35], v[52:53]
	ds_read_b128 v[38:41], v174 offset:720
	ds_read_b128 v[34:37], v174 offset:736
	buffer_load_dword v151, off, s[0:3], 0 offset:540
	buffer_load_dword v150, off, s[0:3], 0 offset:536
	;; [unrolled: 1-line block ×8, first 2 shown]
	ds_read_b128 v[114:117], v174 offset:1040
	v_mul_f64 v[32:33], v[32:33], v[184:185]
	s_waitcnt lgkmcnt(2)
	v_mul_f64 v[44:45], v[38:39], v[208:209]
	v_fmac_f64_e32 v[44:45], v[40:41], v[220:221]
	v_add_f64 v[46:47], v[42:43], v[44:45]
	ds_read_b128 v[42:45], v174 offset:752
	s_waitcnt lgkmcnt(2)
	v_mul_f64 v[48:49], v[34:35], v[238:239]
	v_fmac_f64_e32 v[48:49], v[36:37], v[242:243]
	v_add_f64 v[50:51], v[46:47], v[48:49]
	ds_read_b128 v[46:49], v174 offset:768
	;; [unrolled: 5-line block ×3, first 2 shown]
	s_waitcnt vmcnt(62) lgkmcnt(1)
	v_mul_f64 v[56:57], v[46:47], v[246:247]
	v_fmac_f64_e32 v[56:57], v[48:49], v[250:251]
	v_add_f64 v[58:59], v[54:55], v[56:57]
	ds_read_b128 v[54:57], v174 offset:800
	s_waitcnt lgkmcnt(1)
	v_mul_f64 v[60:61], v[50:51], v[226:227]
	v_fmac_f64_e32 v[60:61], v[52:53], v[228:229]
	v_add_f64 v[62:63], v[58:59], v[60:61]
	ds_read_b128 v[58:61], v174 offset:816
	s_waitcnt vmcnt(58) lgkmcnt(1)
	v_mul_f64 v[64:65], v[54:55], v[254:255]
	s_waitcnt vmcnt(56)
	v_fmac_f64_e32 v[64:65], v[56:57], v[122:123]
	v_add_f64 v[66:67], v[62:63], v[64:65]
	ds_read_b128 v[62:65], v174 offset:832
	s_waitcnt lgkmcnt(1)
	v_mul_f64 v[68:69], v[58:59], v[230:231]
	v_fmac_f64_e32 v[68:69], v[60:61], v[232:233]
	v_add_f64 v[70:71], v[66:67], v[68:69]
	ds_read_b128 v[66:69], v174 offset:848
	s_waitcnt vmcnt(50) lgkmcnt(1)
	v_mul_f64 v[72:73], v[62:63], v[126:127]
	s_waitcnt vmcnt(48)
	;; [unrolled: 11-line block ×5, first 2 shown]
	v_fmac_f64_e32 v[96:97], v[88:89], v[148:149]
	v_add_f64 v[98:99], v[94:95], v[96:97]
	ds_read_b128 v[94:97], v174 offset:960
	s_waitcnt lgkmcnt(1)
	v_mul_f64 v[100:101], v[90:91], v[120:121]
	v_fmac_f64_e32 v[100:101], v[92:93], v[124:125]
	v_add_f64 v[166:167], v[98:99], v[100:101]
	ds_read_b128 v[98:101], v174 offset:976
	ds_read_b128 v[102:105], v174 offset:992
	s_waitcnt vmcnt(18) lgkmcnt(2)
	v_mul_f64 v[168:169], v[94:95], v[152:153]
	s_waitcnt vmcnt(16)
	v_fmac_f64_e32 v[168:169], v[96:97], v[156:157]
	v_add_f64 v[166:167], v[166:167], v[168:169]
	s_waitcnt lgkmcnt(1)
	v_mul_f64 v[168:169], v[98:99], v[128:129]
	v_fmac_f64_e32 v[168:169], v[100:101], v[132:133]
	v_add_f64 v[166:167], v[166:167], v[168:169]
	v_fma_f64 v[168:169], v[110:111], v[106:107], -v[108:109]
	ds_read_b128 v[110:113], v174 offset:1008
	ds_read_b128 v[106:109], v174 offset:1024
	s_waitcnt vmcnt(10) lgkmcnt(2)
	v_mul_f64 v[176:177], v[102:103], v[158:159]
	s_waitcnt vmcnt(8)
	v_fmac_f64_e32 v[176:177], v[104:105], v[160:161]
	v_add_f64 v[166:167], v[166:167], v[176:177]
	s_waitcnt lgkmcnt(1)
	v_mul_f64 v[172:173], v[110:111], v[136:137]
	v_fmac_f64_e32 v[172:173], v[112:113], v[140:141]
	v_add_f64 v[166:167], v[166:167], v[172:173]
	s_waitcnt vmcnt(2) lgkmcnt(0)
	v_mul_f64 v[172:173], v[106:107], v[162:163]
	s_waitcnt vmcnt(0)
	v_fmac_f64_e32 v[172:173], v[108:109], v[164:165]
	v_add_f64 v[166:167], v[166:167], v[172:173]
	v_mul_f64 v[172:173], v[114:115], v[150:151]
	v_fmac_f64_e32 v[172:173], v[116:117], v[154:155]
	v_add_f64 v[166:167], v[166:167], v[172:173]
	buffer_load_dword v172, off, s[0:3], 0 offset:40
	buffer_load_dword v173, off, s[0:3], 0 offset:44
	v_add_f64 v[168:169], v[168:169], 0
	v_add_f64 v[168:169], v[168:169], v[170:171]
	v_fma_f64 v[30:31], v[30:31], v[218:219], -v[32:33]
	v_mul_f64 v[28:29], v[28:29], v[190:191]
	v_add_f64 v[30:31], v[168:169], v[30:31]
	v_fma_f64 v[26:27], v[26:27], v[216:217], -v[28:29]
	v_add_f64 v[26:27], v[30:31], v[26:27]
	v_mul_f64 v[20:21], v[20:21], v[196:197]
	v_add_f64 v[22:23], v[26:27], v[22:23]
	v_fma_f64 v[18:19], v[18:19], v[214:215], -v[20:21]
	v_add_f64 v[18:19], v[22:23], v[18:19]
	;; [unrolled: 4-line block ×3, first 2 shown]
	v_mul_f64 v[4:5], v[4:5], v[202:203]
	v_add_f64 v[6:7], v[10:11], v[6:7]
	v_fma_f64 v[2:3], v[2:3], v[210:211], -v[4:5]
	v_mul_f64 v[4:5], v[40:41], v[208:209]
	v_add_f64 v[2:3], v[6:7], v[2:3]
	v_fma_f64 v[4:5], v[38:39], v[220:221], -v[4:5]
	v_add_f64 v[2:3], v[2:3], v[4:5]
	v_mul_f64 v[4:5], v[36:37], v[238:239]
	v_fma_f64 v[4:5], v[34:35], v[242:243], -v[4:5]
	v_add_f64 v[2:3], v[2:3], v[4:5]
	v_mul_f64 v[4:5], v[44:45], v[222:223]
	;; [unrolled: 3-line block ×20, first 2 shown]
	v_fma_f64 v[4:5], v[114:115], v[154:155], -v[4:5]
	v_add_f64 v[2:3], v[2:3], v[4:5]
	v_add_f64 v[2:3], v[204:205], -v[2:3]
	s_waitcnt vmcnt(0)
	v_add_f64 v[4:5], v[172:173], -v[166:167]
	buffer_store_dword v3, off, s[0:3], 0 offset:36
	buffer_store_dword v2, off, s[0:3], 0 offset:32
	;; [unrolled: 1-line block ×4, first 2 shown]
	s_and_saveexec_b64 s[4:5], vcc
	s_cbranch_execz .LBB96_211
; %bb.210:
	buffer_load_dword v2, off, s[0:3], 0 offset:16
	buffer_load_dword v3, off, s[0:3], 0 offset:20
	;; [unrolled: 1-line block ×4, first 2 shown]
	s_nop 0
	buffer_store_dword v174, off, s[0:3], 0 offset:16
	buffer_store_dword v174, off, s[0:3], 0 offset:20
	;; [unrolled: 1-line block ×4, first 2 shown]
	s_waitcnt vmcnt(4)
	ds_write_b128 v1, v[2:5]
.LBB96_211:
	s_or_b64 exec, exec, s[4:5]
	s_waitcnt lgkmcnt(0)
	; wave barrier
	s_waitcnt lgkmcnt(0)
	buffer_load_dword v100, off, s[0:3], 0 offset:32
	buffer_load_dword v101, off, s[0:3], 0 offset:36
	;; [unrolled: 1-line block ×44, first 2 shown]
	ds_read_b128 v[176:179], v174 offset:544
	ds_read_b128 v[108:111], v174 offset:560
	ds_read_b128 v[104:107], v174 offset:576
	ds_read_b128 v[24:27], v174 offset:592
	ds_read_b128 v[20:23], v174 offset:608
	ds_read_b128 v[16:19], v174 offset:624
	ds_read_b128 v[12:15], v174 offset:640
	ds_read_b128 v[8:11], v174 offset:656
	ds_read_b128 v[4:7], v174 offset:672
	ds_read_b128 v[0:3], v174 offset:688
	buffer_load_dword v121, off, s[0:3], 0 offset:236
	buffer_load_dword v120, off, s[0:3], 0 offset:232
	;; [unrolled: 1-line block ×8, first 2 shown]
	s_and_b64 vcc, exec, s[16:17]
	s_waitcnt vmcnt(48) lgkmcnt(9)
	v_mul_f64 v[28:29], v[176:177], v[102:103]
	v_fmac_f64_e32 v[28:29], v[178:179], v[100:101]
	v_add_f64 v[28:29], v[28:29], 0
	v_mul_f64 v[102:103], v[178:179], v[102:103]
	s_waitcnt vmcnt(44) lgkmcnt(8)
	v_mul_f64 v[30:31], v[108:109], v[114:115]
	v_fmac_f64_e32 v[30:31], v[110:111], v[112:113]
	s_waitcnt vmcnt(42) lgkmcnt(7)
	v_mul_f64 v[32:33], v[104:105], v[214:215]
	v_add_f64 v[28:29], v[28:29], v[30:31]
	s_waitcnt vmcnt(40) lgkmcnt(5)
	v_mul_f64 v[36:37], v[20:21], v[184:185]
	v_mul_f64 v[110:111], v[110:111], v[114:115]
	s_waitcnt vmcnt(38)
	v_fmac_f64_e32 v[36:37], v[22:23], v[188:189]
	v_fma_f64 v[172:173], v[108:109], v[112:113], -v[110:111]
	s_waitcnt vmcnt(36)
	v_mul_f64 v[34:35], v[24:25], v[190:191]
	v_mul_f64 v[22:23], v[22:23], v[184:185]
	s_waitcnt vmcnt(34) lgkmcnt(3)
	v_mul_f64 v[40:41], v[12:13], v[116:117]
	v_fma_f64 v[20:21], v[20:21], v[188:189], -v[22:23]
	s_waitcnt vmcnt(32)
	v_fmac_f64_e32 v[40:41], v[14:15], v[186:187]
	v_mul_f64 v[14:15], v[14:15], v[116:117]
	s_waitcnt vmcnt(30)
	v_mul_f64 v[38:39], v[16:17], v[198:199]
	v_fma_f64 v[12:13], v[12:13], v[186:187], -v[14:15]
	s_waitcnt vmcnt(26) lgkmcnt(2)
	v_mul_f64 v[42:43], v[8:9], v[196:197]
	s_waitcnt vmcnt(25) lgkmcnt(1)
	v_mul_f64 v[44:45], v[4:5], v[192:193]
	s_waitcnt vmcnt(23)
	v_fmac_f64_e32 v[32:33], v[106:107], v[166:167]
	v_add_f64 v[28:29], v[28:29], v[32:33]
	s_waitcnt vmcnt(21)
	v_fmac_f64_e32 v[34:35], v[26:27], v[210:211]
	v_add_f64 v[28:29], v[28:29], v[34:35]
	;; [unrolled: 3-line block ×3, first 2 shown]
	v_add_f64 v[28:29], v[28:29], v[38:39]
	s_waitcnt vmcnt(17)
	v_fmac_f64_e32 v[42:43], v[10:11], v[200:201]
	v_add_f64 v[28:29], v[28:29], v[40:41]
	s_waitcnt vmcnt(16)
	v_fmac_f64_e32 v[44:45], v[6:7], v[194:195]
	v_add_f64 v[28:29], v[28:29], v[42:43]
	v_add_f64 v[32:33], v[28:29], v[44:45]
	ds_read_b128 v[28:31], v174 offset:704
	buffer_load_dword v129, off, s[0:3], 0 offset:268
	buffer_load_dword v128, off, s[0:3], 0 offset:264
	;; [unrolled: 1-line block ×6, first 2 shown]
	s_waitcnt vmcnt(20) lgkmcnt(1)
	v_mul_f64 v[34:35], v[0:1], v[204:205]
	s_waitcnt vmcnt(18)
	v_fmac_f64_e32 v[34:35], v[2:3], v[208:209]
	v_add_f64 v[36:37], v[32:33], v[34:35]
	ds_read_b128 v[32:35], v174 offset:720
	buffer_load_dword v149, off, s[0:3], 0 offset:244
	buffer_load_dword v148, off, s[0:3], 0 offset:240
	buffer_load_dword v133, off, s[0:3], 0 offset:300
	buffer_load_dword v132, off, s[0:3], 0 offset:296
	buffer_load_dword v135, off, s[0:3], 0 offset:292
	buffer_load_dword v134, off, s[0:3], 0 offset:288
	buffer_load_dword v153, off, s[0:3], 0 offset:284
	buffer_load_dword v152, off, s[0:3], 0 offset:280
	buffer_load_dword v157, off, s[0:3], 0 offset:276
	buffer_load_dword v156, off, s[0:3], 0 offset:272
	buffer_load_dword v137, off, s[0:3], 0 offset:332
	buffer_load_dword v136, off, s[0:3], 0 offset:328
	buffer_load_dword v141, off, s[0:3], 0 offset:324
	buffer_load_dword v140, off, s[0:3], 0 offset:320
	buffer_load_dword v161, off, s[0:3], 0 offset:316
	buffer_load_dword v160, off, s[0:3], 0 offset:312
	buffer_load_dword v165, off, s[0:3], 0 offset:308
	buffer_load_dword v164, off, s[0:3], 0 offset:304
	buffer_load_dword v143, off, s[0:3], 0 offset:364
	buffer_load_dword v142, off, s[0:3], 0 offset:360
	buffer_load_dword v145, off, s[0:3], 0 offset:356
	buffer_load_dword v144, off, s[0:3], 0 offset:352
	buffer_load_dword v219, off, s[0:3], 0 offset:348
	buffer_load_dword v218, off, s[0:3], 0 offset:344
	buffer_load_dword v223, off, s[0:3], 0 offset:340
	buffer_load_dword v222, off, s[0:3], 0 offset:336
	buffer_load_dword v147, off, s[0:3], 0 offset:396
	buffer_load_dword v146, off, s[0:3], 0 offset:392
	buffer_load_dword v151, off, s[0:3], 0 offset:388
	buffer_load_dword v150, off, s[0:3], 0 offset:384
	buffer_load_dword v227, off, s[0:3], 0 offset:380
	buffer_load_dword v226, off, s[0:3], 0 offset:376
	buffer_load_dword v229, off, s[0:3], 0 offset:372
	buffer_load_dword v228, off, s[0:3], 0 offset:368
	buffer_load_dword v155, off, s[0:3], 0 offset:428
	buffer_load_dword v154, off, s[0:3], 0 offset:424
	buffer_load_dword v159, off, s[0:3], 0 offset:420
	buffer_load_dword v158, off, s[0:3], 0 offset:416
	buffer_load_dword v231, off, s[0:3], 0 offset:412
	buffer_load_dword v230, off, s[0:3], 0 offset:408
	buffer_load_dword v233, off, s[0:3], 0 offset:404
	buffer_load_dword v232, off, s[0:3], 0 offset:400
	buffer_load_dword v163, off, s[0:3], 0 offset:460
	buffer_load_dword v162, off, s[0:3], 0 offset:456
	buffer_load_dword v217, off, s[0:3], 0 offset:452
	buffer_load_dword v216, off, s[0:3], 0 offset:448
	buffer_load_dword v235, off, s[0:3], 0 offset:444
	buffer_load_dword v234, off, s[0:3], 0 offset:440
	buffer_load_dword v237, off, s[0:3], 0 offset:436
	buffer_load_dword v236, off, s[0:3], 0 offset:432
	buffer_load_dword v221, off, s[0:3], 0 offset:492
	buffer_load_dword v220, off, s[0:3], 0 offset:488
	buffer_load_dword v225, off, s[0:3], 0 offset:484
	buffer_load_dword v224, off, s[0:3], 0 offset:480
	buffer_load_dword v239, off, s[0:3], 0 offset:476
	buffer_load_dword v238, off, s[0:3], 0 offset:472
	buffer_load_dword v241, off, s[0:3], 0 offset:468
	buffer_load_dword v240, off, s[0:3], 0 offset:464
	s_waitcnt vmcnt(62) lgkmcnt(1)
	v_mul_f64 v[38:39], v[28:29], v[206:207]
	v_fmac_f64_e32 v[38:39], v[30:31], v[212:213]
	v_add_f64 v[40:41], v[36:37], v[38:39]
	ds_read_b128 v[36:39], v174 offset:736
	s_waitcnt lgkmcnt(1)
	v_mul_f64 v[42:43], v[32:33], v[124:125]
	v_fmac_f64_e32 v[42:43], v[34:35], v[126:127]
	v_add_f64 v[44:45], v[40:41], v[42:43]
	ds_read_b128 v[40:43], v174 offset:752
	buffer_load_dword v243, off, s[0:3], 0 offset:524
	buffer_load_dword v242, off, s[0:3], 0 offset:520
	;; [unrolled: 1-line block ×8, first 2 shown]
	s_waitcnt lgkmcnt(1)
	v_mul_f64 v[46:47], v[36:37], v[120:121]
	v_fmac_f64_e32 v[46:47], v[38:39], v[122:123]
	v_add_f64 v[48:49], v[44:45], v[46:47]
	ds_read_b128 v[44:47], v174 offset:768
	buffer_load_dword v249, off, s[0:3], 0 offset:540
	buffer_load_dword v248, off, s[0:3], 0 offset:536
	;; [unrolled: 1-line block ×4, first 2 shown]
	ds_read_b128 v[96:99], v174 offset:976
	v_mul_f64 v[106:107], v[106:107], v[214:215]
	v_mul_f64 v[26:27], v[26:27], v[190:191]
	v_fma_f64 v[24:25], v[24:25], v[210:211], -v[26:27]
	v_mul_f64 v[18:19], v[18:19], v[198:199]
	v_fma_f64 v[16:17], v[16:17], v[202:203], -v[18:19]
	v_mul_f64 v[10:11], v[10:11], v[196:197]
	v_fma_f64 v[8:9], v[8:9], v[200:201], -v[10:11]
	v_mul_f64 v[6:7], v[6:7], v[192:193]
	v_fma_f64 v[4:5], v[4:5], v[194:195], -v[6:7]
	v_mul_f64 v[2:3], v[2:3], v[204:205]
	v_fma_f64 v[0:1], v[0:1], v[208:209], -v[2:3]
	v_mul_f64 v[2:3], v[30:31], v[206:207]
	v_fma_f64 v[2:3], v[28:29], v[212:213], -v[2:3]
	s_waitcnt lgkmcnt(1)
	v_mul_f64 v[54:55], v[44:45], v[128:129]
	s_waitcnt vmcnt(62)
	v_fmac_f64_e32 v[54:55], v[46:47], v[130:131]
	v_mul_f64 v[50:51], v[40:41], v[138:139]
	v_fmac_f64_e32 v[50:51], v[42:43], v[148:149]
	v_add_f64 v[52:53], v[48:49], v[50:51]
	ds_read_b128 v[48:51], v174 offset:784
	v_add_f64 v[56:57], v[52:53], v[54:55]
	ds_read_b128 v[52:55], v174 offset:800
	s_waitcnt lgkmcnt(1)
	v_mul_f64 v[58:59], v[48:49], v[152:153]
	s_waitcnt vmcnt(60)
	v_fmac_f64_e32 v[58:59], v[50:51], v[156:157]
	v_add_f64 v[60:61], v[56:57], v[58:59]
	ds_read_b128 v[56:59], v174 offset:816
	s_waitcnt lgkmcnt(1)
	v_mul_f64 v[62:63], v[52:53], v[132:133]
	v_fmac_f64_e32 v[62:63], v[54:55], v[134:135]
	v_add_f64 v[64:65], v[60:61], v[62:63]
	ds_read_b128 v[60:63], v174 offset:832
	s_waitcnt vmcnt(54) lgkmcnt(1)
	v_mul_f64 v[66:67], v[56:57], v[160:161]
	s_waitcnt vmcnt(52)
	v_fmac_f64_e32 v[66:67], v[58:59], v[164:165]
	v_add_f64 v[68:69], v[64:65], v[66:67]
	ds_read_b128 v[64:67], v174 offset:848
	s_waitcnt lgkmcnt(1)
	v_mul_f64 v[70:71], v[60:61], v[136:137]
	v_fmac_f64_e32 v[70:71], v[62:63], v[140:141]
	v_add_f64 v[72:73], v[68:69], v[70:71]
	ds_read_b128 v[68:71], v174 offset:864
	s_waitcnt vmcnt(46) lgkmcnt(1)
	;; [unrolled: 11-line block ×5, first 2 shown]
	v_mul_f64 v[170:171], v[88:89], v[234:235]
	s_waitcnt vmcnt(20)
	v_fmac_f64_e32 v[170:171], v[90:91], v[236:237]
	v_add_f64 v[168:169], v[168:169], v[170:171]
	s_waitcnt lgkmcnt(0)
	v_mul_f64 v[170:171], v[92:93], v[162:163]
	v_fmac_f64_e32 v[170:171], v[94:95], v[216:217]
	v_add_f64 v[168:169], v[168:169], v[170:171]
	s_waitcnt vmcnt(14)
	v_mul_f64 v[170:171], v[96:97], v[238:239]
	s_waitcnt vmcnt(12)
	v_fmac_f64_e32 v[170:171], v[98:99], v[240:241]
	v_add_f64 v[170:171], v[168:169], v[170:171]
	v_fma_f64 v[168:169], v[176:177], v[100:101], -v[102:103]
	ds_read_b128 v[100:103], v174 offset:992
	buffer_load_dword v254, off, s[0:3], 0 offset:16
	buffer_load_dword v255, off, s[0:3], 0 offset:20
	ds_read_b128 v[108:111], v174 offset:1008
	v_fma_f64 v[176:177], v[104:105], v[166:167], -v[106:107]
	ds_read_b128 v[104:107], v174 offset:1040
	s_waitcnt lgkmcnt(2)
	v_mul_f64 v[112:113], v[100:101], v[220:221]
	v_fmac_f64_e32 v[112:113], v[102:103], v[224:225]
	v_add_f64 v[170:171], v[170:171], v[112:113]
	ds_read_b128 v[112:115], v174 offset:1024
	s_waitcnt vmcnt(8) lgkmcnt(2)
	v_mul_f64 v[166:167], v[108:109], v[246:247]
	s_waitcnt vmcnt(6)
	v_fmac_f64_e32 v[166:167], v[110:111], v[250:251]
	v_add_f64 v[166:167], v[170:171], v[166:167]
	v_add_f64 v[168:169], v[168:169], 0
	s_waitcnt lgkmcnt(0)
	v_mul_f64 v[170:171], v[112:113], v[242:243]
	v_fmac_f64_e32 v[170:171], v[114:115], v[244:245]
	v_add_f64 v[166:167], v[166:167], v[170:171]
	s_waitcnt vmcnt(4)
	v_mul_f64 v[170:171], v[104:105], v[248:249]
	s_waitcnt vmcnt(2)
	v_fmac_f64_e32 v[170:171], v[106:107], v[252:253]
	v_add_f64 v[166:167], v[166:167], v[170:171]
	buffer_load_dword v170, off, s[0:3], 0 offset:24
	buffer_load_dword v171, off, s[0:3], 0 offset:28
	v_add_f64 v[168:169], v[168:169], v[172:173]
	v_add_f64 v[168:169], v[168:169], v[176:177]
	;; [unrolled: 1-line block ×10, first 2 shown]
	v_mul_f64 v[2:3], v[34:35], v[124:125]
	v_fma_f64 v[2:3], v[32:33], v[126:127], -v[2:3]
	v_add_f64 v[0:1], v[0:1], v[2:3]
	v_mul_f64 v[2:3], v[38:39], v[120:121]
	v_fma_f64 v[2:3], v[36:37], v[122:123], -v[2:3]
	v_add_f64 v[0:1], v[0:1], v[2:3]
	v_mul_f64 v[2:3], v[42:43], v[138:139]
	v_fma_f64 v[2:3], v[40:41], v[148:149], -v[2:3]
	v_add_f64 v[0:1], v[0:1], v[2:3]
	v_mul_f64 v[2:3], v[46:47], v[128:129]
	v_fma_f64 v[2:3], v[44:45], v[130:131], -v[2:3]
	v_add_f64 v[0:1], v[0:1], v[2:3]
	v_mul_f64 v[2:3], v[50:51], v[152:153]
	v_fma_f64 v[2:3], v[48:49], v[156:157], -v[2:3]
	v_add_f64 v[0:1], v[0:1], v[2:3]
	v_mul_f64 v[2:3], v[54:55], v[132:133]
	v_fma_f64 v[2:3], v[52:53], v[134:135], -v[2:3]
	v_add_f64 v[0:1], v[0:1], v[2:3]
	v_mul_f64 v[2:3], v[58:59], v[160:161]
	v_fma_f64 v[2:3], v[56:57], v[164:165], -v[2:3]
	v_add_f64 v[0:1], v[0:1], v[2:3]
	v_mul_f64 v[2:3], v[62:63], v[136:137]
	v_fma_f64 v[2:3], v[60:61], v[140:141], -v[2:3]
	v_add_f64 v[0:1], v[0:1], v[2:3]
	v_mul_f64 v[2:3], v[66:67], v[218:219]
	v_fma_f64 v[2:3], v[64:65], v[222:223], -v[2:3]
	v_add_f64 v[0:1], v[0:1], v[2:3]
	v_mul_f64 v[2:3], v[70:71], v[142:143]
	v_fma_f64 v[2:3], v[68:69], v[144:145], -v[2:3]
	v_add_f64 v[0:1], v[0:1], v[2:3]
	v_mul_f64 v[2:3], v[74:75], v[226:227]
	v_fma_f64 v[2:3], v[72:73], v[228:229], -v[2:3]
	v_add_f64 v[0:1], v[0:1], v[2:3]
	v_mul_f64 v[2:3], v[78:79], v[146:147]
	v_fma_f64 v[2:3], v[76:77], v[150:151], -v[2:3]
	v_add_f64 v[0:1], v[0:1], v[2:3]
	v_mul_f64 v[2:3], v[82:83], v[230:231]
	v_fma_f64 v[2:3], v[80:81], v[232:233], -v[2:3]
	v_add_f64 v[0:1], v[0:1], v[2:3]
	v_mul_f64 v[2:3], v[86:87], v[154:155]
	v_fma_f64 v[2:3], v[84:85], v[158:159], -v[2:3]
	v_add_f64 v[0:1], v[0:1], v[2:3]
	v_mul_f64 v[2:3], v[90:91], v[234:235]
	v_fma_f64 v[2:3], v[88:89], v[236:237], -v[2:3]
	v_add_f64 v[0:1], v[0:1], v[2:3]
	v_mul_f64 v[2:3], v[94:95], v[162:163]
	v_fma_f64 v[2:3], v[92:93], v[216:217], -v[2:3]
	v_add_f64 v[0:1], v[0:1], v[2:3]
	v_mul_f64 v[2:3], v[98:99], v[238:239]
	v_fma_f64 v[2:3], v[96:97], v[240:241], -v[2:3]
	v_add_f64 v[0:1], v[0:1], v[2:3]
	v_mul_f64 v[2:3], v[102:103], v[220:221]
	v_fma_f64 v[2:3], v[100:101], v[224:225], -v[2:3]
	v_add_f64 v[0:1], v[0:1], v[2:3]
	v_mul_f64 v[2:3], v[110:111], v[246:247]
	v_fma_f64 v[2:3], v[108:109], v[250:251], -v[2:3]
	v_add_f64 v[0:1], v[0:1], v[2:3]
	v_mul_f64 v[2:3], v[114:115], v[242:243]
	v_fma_f64 v[2:3], v[112:113], v[244:245], -v[2:3]
	v_add_f64 v[0:1], v[0:1], v[2:3]
	v_mul_f64 v[2:3], v[106:107], v[248:249]
	v_fma_f64 v[2:3], v[104:105], v[252:253], -v[2:3]
	v_add_f64 v[0:1], v[0:1], v[2:3]
	s_waitcnt vmcnt(2)
	v_add_f64 v[0:1], v[254:255], -v[0:1]
	s_waitcnt vmcnt(0)
	v_add_f64 v[2:3], v[170:171], -v[166:167]
	buffer_store_dword v1, off, s[0:3], 0 offset:20
	buffer_store_dword v0, off, s[0:3], 0 offset:16
	;; [unrolled: 1-line block ×4, first 2 shown]
	s_cbranch_vccz .LBB96_277
; %bb.212:
	v_pk_mov_b32 v[0:1], s[10:11], s[10:11] op_sel:[0,1]
	flat_load_dword v0, v[0:1] offset:124
	s_waitcnt vmcnt(0) lgkmcnt(0)
	v_add_u32_e32 v0, -1, v0
	v_cmp_ne_u32_e32 vcc, 31, v0
	s_and_saveexec_b64 s[4:5], vcc
	s_cbranch_execz .LBB96_214
; %bb.213:
	v_mov_b32_e32 v1, 16
	v_accvgpr_read_b32 v9, a61
	v_lshl_add_u32 v0, v0, 4, v1
	buffer_load_dword v1, v9, s[0:3], 0 offen offset:4
	buffer_load_dword v2, v9, s[0:3], 0 offen offset:8
	buffer_load_dword v3, v9, s[0:3], 0 offen offset:12
	buffer_load_dword v4, v0, s[0:3], 0 offen
	buffer_load_dword v5, v0, s[0:3], 0 offen offset:4
	buffer_load_dword v6, v0, s[0:3], 0 offen offset:8
	buffer_load_dword v7, v0, s[0:3], 0 offen offset:12
	buffer_load_dword v8, v9, s[0:3], 0 offen
	s_waitcnt vmcnt(4)
	buffer_store_dword v4, v9, s[0:3], 0 offen
	s_waitcnt vmcnt(4)
	buffer_store_dword v5, v9, s[0:3], 0 offen offset:4
	s_waitcnt vmcnt(4)
	buffer_store_dword v6, v9, s[0:3], 0 offen offset:8
	s_waitcnt vmcnt(4)
	buffer_store_dword v7, v9, s[0:3], 0 offen offset:12
	buffer_store_dword v3, v0, s[0:3], 0 offen offset:12
	buffer_store_dword v2, v0, s[0:3], 0 offen offset:8
	buffer_store_dword v1, v0, s[0:3], 0 offen offset:4
	s_waitcnt vmcnt(7)
	buffer_store_dword v8, v0, s[0:3], 0 offen
.LBB96_214:
	s_or_b64 exec, exec, s[4:5]
	v_pk_mov_b32 v[0:1], s[10:11], s[10:11] op_sel:[0,1]
	flat_load_dword v0, v[0:1] offset:120
	s_waitcnt vmcnt(0) lgkmcnt(0)
	v_add_u32_e32 v0, -1, v0
	v_cmp_ne_u32_e32 vcc, 30, v0
	s_and_saveexec_b64 s[4:5], vcc
	s_cbranch_execz .LBB96_216
; %bb.215:
	v_mov_b32_e32 v1, 16
	v_accvgpr_read_b32 v9, a62
	v_lshl_add_u32 v0, v0, 4, v1
	buffer_load_dword v1, v9, s[0:3], 0 offen offset:4
	buffer_load_dword v2, v9, s[0:3], 0 offen offset:8
	buffer_load_dword v3, v9, s[0:3], 0 offen offset:12
	buffer_load_dword v4, v0, s[0:3], 0 offen
	buffer_load_dword v5, v0, s[0:3], 0 offen offset:4
	buffer_load_dword v6, v0, s[0:3], 0 offen offset:8
	buffer_load_dword v7, v0, s[0:3], 0 offen offset:12
	buffer_load_dword v8, v9, s[0:3], 0 offen
	s_waitcnt vmcnt(4)
	buffer_store_dword v4, v9, s[0:3], 0 offen
	s_waitcnt vmcnt(4)
	buffer_store_dword v5, v9, s[0:3], 0 offen offset:4
	s_waitcnt vmcnt(4)
	buffer_store_dword v6, v9, s[0:3], 0 offen offset:8
	s_waitcnt vmcnt(4)
	buffer_store_dword v7, v9, s[0:3], 0 offen offset:12
	buffer_store_dword v3, v0, s[0:3], 0 offen offset:12
	buffer_store_dword v2, v0, s[0:3], 0 offen offset:8
	buffer_store_dword v1, v0, s[0:3], 0 offen offset:4
	s_waitcnt vmcnt(7)
	buffer_store_dword v8, v0, s[0:3], 0 offen
.LBB96_216:
	s_or_b64 exec, exec, s[4:5]
	;; [unrolled: 34-line block ×31, first 2 shown]
	v_pk_mov_b32 v[0:1], s[10:11], s[10:11] op_sel:[0,1]
	flat_load_dword v0, v[0:1]
	s_waitcnt vmcnt(0) lgkmcnt(0)
	v_add_u32_e32 v0, -1, v0
	v_cmp_ne_u32_e32 vcc, 0, v0
	s_and_saveexec_b64 s[4:5], vcc
	s_cbranch_execz .LBB96_276
; %bb.275:
	v_mov_b32_e32 v1, 16
	v_lshl_add_u32 v0, v0, 4, v1
	buffer_load_dword v1, v0, s[0:3], 0 offen
	buffer_load_dword v2, v0, s[0:3], 0 offen offset:4
	buffer_load_dword v3, v0, s[0:3], 0 offen offset:8
	buffer_load_dword v4, v0, s[0:3], 0 offen offset:12
	buffer_load_dword v5, off, s[0:3], 0 offset:28
	buffer_load_dword v6, off, s[0:3], 0 offset:24
	;; [unrolled: 1-line block ×4, first 2 shown]
	s_waitcnt vmcnt(7)
	buffer_store_dword v1, off, s[0:3], 0 offset:16
	s_waitcnt vmcnt(7)
	buffer_store_dword v2, off, s[0:3], 0 offset:20
	s_waitcnt vmcnt(7)
	buffer_store_dword v3, off, s[0:3], 0 offset:24
	s_waitcnt vmcnt(7)
	buffer_store_dword v4, off, s[0:3], 0 offset:28
	s_waitcnt vmcnt(7)
	buffer_store_dword v5, v0, s[0:3], 0 offen offset:12
	s_waitcnt vmcnt(7)
	buffer_store_dword v6, v0, s[0:3], 0 offen offset:8
	;; [unrolled: 2-line block ×3, first 2 shown]
	s_waitcnt vmcnt(7)
	buffer_store_dword v8, v0, s[0:3], 0 offen
.LBB96_276:
	s_or_b64 exec, exec, s[4:5]
.LBB96_277:
	buffer_load_dword v0, off, s[0:3], 0 offset:16
	buffer_load_dword v1, off, s[0:3], 0 offset:20
	;; [unrolled: 1-line block ×4, first 2 shown]
	v_accvgpr_read_b32 v16, a89
	buffer_load_dword v4, v16, s[0:3], 0 offen
	buffer_load_dword v5, v16, s[0:3], 0 offen offset:4
	buffer_load_dword v6, v16, s[0:3], 0 offen offset:8
	;; [unrolled: 1-line block ×3, first 2 shown]
	v_accvgpr_read_b32 v21, a91
	buffer_load_dword v9, v21, s[0:3], 0 offen offset:4
	buffer_load_dword v10, v21, s[0:3], 0 offen offset:8
	;; [unrolled: 1-line block ×3, first 2 shown]
	v_accvgpr_read_b32 v20, a90
	buffer_load_dword v12, v20, s[0:3], 0 offen
	buffer_load_dword v13, v20, s[0:3], 0 offen offset:4
	buffer_load_dword v14, v20, s[0:3], 0 offen offset:8
	buffer_load_dword v8, v21, s[0:3], 0 offen
	buffer_load_dword v15, v20, s[0:3], 0 offen offset:12
	v_accvgpr_read_b32 v34, a85
	buffer_load_dword v17, v34, s[0:3], 0 offen offset:4
	buffer_load_dword v18, v34, s[0:3], 0 offen offset:8
	;; [unrolled: 1-line block ×3, first 2 shown]
	v_accvgpr_read_b32 v36, a87
                                        ; kill: killed $vgpr21
                                        ; kill: killed $vgpr16
                                        ; kill: killed $vgpr20
	buffer_load_dword v20, v36, s[0:3], 0 offen
	buffer_load_dword v21, v36, s[0:3], 0 offen offset:4
	buffer_load_dword v22, v36, s[0:3], 0 offen offset:8
	buffer_load_dword v16, v34, s[0:3], 0 offen
	buffer_load_dword v23, v36, s[0:3], 0 offen offset:12
	v_accvgpr_read_b32 v35, a86
	buffer_load_dword v25, v35, s[0:3], 0 offen offset:4
	buffer_load_dword v26, v35, s[0:3], 0 offen offset:8
	;; [unrolled: 1-line block ×3, first 2 shown]
	v_accvgpr_read_b32 v37, a88
	buffer_load_dword v28, v37, s[0:3], 0 offen
	buffer_load_dword v29, v37, s[0:3], 0 offen offset:4
	buffer_load_dword v30, v37, s[0:3], 0 offen offset:8
	buffer_load_dword v24, v35, s[0:3], 0 offen
	buffer_load_dword v31, v37, s[0:3], 0 offen offset:12
	v_accvgpr_read_b32 v32, a84
	buffer_load_dword v33, v32, s[0:3], 0 offen offset:4
                                        ; kill: killed $vgpr36
                                        ; kill: killed $vgpr37
                                        ; kill: killed $vgpr34
                                        ; kill: killed $vgpr35
	buffer_load_dword v34, v32, s[0:3], 0 offen offset:8
	buffer_load_dword v35, v32, s[0:3], 0 offen offset:12
	v_accvgpr_read_b32 v39, a83
	buffer_load_dword v36, v39, s[0:3], 0 offen
	buffer_load_dword v37, v39, s[0:3], 0 offen offset:4
	buffer_load_dword v38, v39, s[0:3], 0 offen offset:8
	s_nop 0
	buffer_load_dword v32, v32, s[0:3], 0 offen
	s_nop 0
	buffer_load_dword v39, v39, s[0:3], 0 offen offset:12
	v_accvgpr_read_b32 v40, a82
	buffer_load_dword v41, v40, s[0:3], 0 offen offset:4
	buffer_load_dword v42, v40, s[0:3], 0 offen offset:8
	buffer_load_dword v43, v40, s[0:3], 0 offen offset:12
	v_accvgpr_read_b32 v47, a81
	buffer_load_dword v44, v47, s[0:3], 0 offen
	buffer_load_dword v45, v47, s[0:3], 0 offen offset:4
	buffer_load_dword v46, v47, s[0:3], 0 offen offset:8
	s_nop 0
	buffer_load_dword v40, v40, s[0:3], 0 offen
	s_nop 0
	buffer_load_dword v47, v47, s[0:3], 0 offen offset:12
	v_accvgpr_read_b32 v48, a80
	buffer_load_dword v49, v48, s[0:3], 0 offen offset:4
	buffer_load_dword v50, v48, s[0:3], 0 offen offset:8
	buffer_load_dword v51, v48, s[0:3], 0 offen offset:12
	v_accvgpr_read_b32 v55, a79
	buffer_load_dword v52, v55, s[0:3], 0 offen
	buffer_load_dword v53, v55, s[0:3], 0 offen offset:4
	buffer_load_dword v54, v55, s[0:3], 0 offen offset:8
	s_nop 0
	buffer_load_dword v48, v48, s[0:3], 0 offen
	s_nop 0
	buffer_load_dword v55, v55, s[0:3], 0 offen offset:12
	v_accvgpr_read_b32 v56, a78
	buffer_load_dword v57, v56, s[0:3], 0 offen offset:4
	buffer_load_dword v58, v56, s[0:3], 0 offen offset:8
	buffer_load_dword v59, v56, s[0:3], 0 offen offset:12
	v_accvgpr_read_b32 v63, a77
	buffer_load_dword v60, v63, s[0:3], 0 offen
	buffer_load_dword v61, v63, s[0:3], 0 offen offset:4
	buffer_load_dword v62, v63, s[0:3], 0 offen offset:8
	s_nop 0
	buffer_load_dword v56, v56, s[0:3], 0 offen
	s_nop 0
	buffer_load_dword v63, v63, s[0:3], 0 offen offset:12
	v_accvgpr_read_b32 v64, a76
	buffer_load_dword v65, v64, s[0:3], 0 offen offset:4
	buffer_load_dword v66, v64, s[0:3], 0 offen offset:8
	buffer_load_dword v67, v64, s[0:3], 0 offen offset:12
	v_accvgpr_read_b32 v71, a75
	buffer_load_dword v68, v71, s[0:3], 0 offen
	buffer_load_dword v69, v71, s[0:3], 0 offen offset:4
	buffer_load_dword v70, v71, s[0:3], 0 offen offset:8
	s_nop 0
	buffer_load_dword v64, v64, s[0:3], 0 offen
	s_nop 0
	buffer_load_dword v71, v71, s[0:3], 0 offen offset:12
	v_accvgpr_read_b32 v72, a74
	buffer_load_dword v73, v72, s[0:3], 0 offen offset:4
	buffer_load_dword v74, v72, s[0:3], 0 offen offset:8
	buffer_load_dword v75, v72, s[0:3], 0 offen offset:12
	v_accvgpr_read_b32 v79, a73
	buffer_load_dword v76, v79, s[0:3], 0 offen
	buffer_load_dword v77, v79, s[0:3], 0 offen offset:4
	buffer_load_dword v78, v79, s[0:3], 0 offen offset:8
	s_nop 0
	buffer_load_dword v72, v72, s[0:3], 0 offen
	s_nop 0
	buffer_load_dword v79, v79, s[0:3], 0 offen offset:12
	v_accvgpr_read_b32 v80, a72
	buffer_load_dword v81, v80, s[0:3], 0 offen offset:4
	buffer_load_dword v82, v80, s[0:3], 0 offen offset:8
	buffer_load_dword v83, v80, s[0:3], 0 offen offset:12
	v_accvgpr_read_b32 v87, a71
	buffer_load_dword v84, v87, s[0:3], 0 offen
	buffer_load_dword v85, v87, s[0:3], 0 offen offset:4
	buffer_load_dword v86, v87, s[0:3], 0 offen offset:8
	s_nop 0
	buffer_load_dword v80, v80, s[0:3], 0 offen
	s_nop 0
	buffer_load_dword v87, v87, s[0:3], 0 offen offset:12
	v_accvgpr_read_b32 v88, a70
	buffer_load_dword v89, v88, s[0:3], 0 offen offset:4
	buffer_load_dword v90, v88, s[0:3], 0 offen offset:8
	buffer_load_dword v91, v88, s[0:3], 0 offen offset:12
	v_accvgpr_read_b32 v95, a69
	buffer_load_dword v92, v95, s[0:3], 0 offen
	buffer_load_dword v93, v95, s[0:3], 0 offen offset:4
	buffer_load_dword v94, v95, s[0:3], 0 offen offset:8
	s_nop 0
	buffer_load_dword v88, v88, s[0:3], 0 offen
	s_nop 0
	buffer_load_dword v95, v95, s[0:3], 0 offen offset:12
	v_accvgpr_read_b32 v96, a68
	buffer_load_dword v97, v96, s[0:3], 0 offen offset:4
	buffer_load_dword v98, v96, s[0:3], 0 offen offset:8
	buffer_load_dword v99, v96, s[0:3], 0 offen offset:12
	v_accvgpr_read_b32 v103, a67
	buffer_load_dword v100, v103, s[0:3], 0 offen
	buffer_load_dword v101, v103, s[0:3], 0 offen offset:4
	buffer_load_dword v102, v103, s[0:3], 0 offen offset:8
	s_nop 0
	buffer_load_dword v96, v96, s[0:3], 0 offen
	s_nop 0
	buffer_load_dword v103, v103, s[0:3], 0 offen offset:12
	v_accvgpr_read_b32 v104, a66
	buffer_load_dword v105, v104, s[0:3], 0 offen offset:4
	buffer_load_dword v106, v104, s[0:3], 0 offen offset:8
	buffer_load_dword v107, v104, s[0:3], 0 offen offset:12
	v_accvgpr_read_b32 v111, a65
	buffer_load_dword v108, v111, s[0:3], 0 offen
	buffer_load_dword v109, v111, s[0:3], 0 offen offset:4
	buffer_load_dword v110, v111, s[0:3], 0 offen offset:8
	s_nop 0
	buffer_load_dword v104, v104, s[0:3], 0 offen
	s_nop 0
	buffer_load_dword v111, v111, s[0:3], 0 offen offset:12
	v_accvgpr_read_b32 v112, a64
	buffer_load_dword v113, v112, s[0:3], 0 offen offset:4
	buffer_load_dword v114, v112, s[0:3], 0 offen offset:8
	buffer_load_dword v115, v112, s[0:3], 0 offen offset:12
	v_accvgpr_read_b32 v116, a63
	buffer_load_dword v120, v116, s[0:3], 0 offen
	buffer_load_dword v121, v116, s[0:3], 0 offen offset:4
	buffer_load_dword v122, v116, s[0:3], 0 offen offset:8
	s_nop 0
	buffer_load_dword v112, v112, s[0:3], 0 offen
	s_nop 0
	buffer_load_dword v123, v116, s[0:3], 0 offen offset:12
	v_accvgpr_read_b32 v117, a62
	v_accvgpr_read_b32 v116, a61
	buffer_load_dword v125, v117, s[0:3], 0 offen offset:4
	buffer_load_dword v126, v117, s[0:3], 0 offen offset:8
	;; [unrolled: 1-line block ×3, first 2 shown]
	buffer_load_dword v128, v116, s[0:3], 0 offen
	buffer_load_dword v129, v116, s[0:3], 0 offen offset:4
	buffer_load_dword v130, v116, s[0:3], 0 offen offset:8
	buffer_load_dword v124, v117, s[0:3], 0 offen
	buffer_load_dword v131, v116, s[0:3], 0 offen offset:12
	v_accvgpr_read_b32 v116, a60
	buffer_load_dword v132, v116, s[0:3], 0 offen
	buffer_load_dword v133, v116, s[0:3], 0 offen offset:4
	buffer_load_dword v134, v116, s[0:3], 0 offen offset:8
	;; [unrolled: 1-line block ×3, first 2 shown]
	s_waitcnt vmcnt(62)
	global_store_dwordx4 v[118:119], v[0:3], off
	s_nop 0
	v_accvgpr_read_b32 v0, a0
	v_accvgpr_read_b32 v1, a1
	global_store_dwordx4 v[0:1], v[4:7], off
	v_accvgpr_read_b32 v0, a2
	v_accvgpr_read_b32 v1, a3
	global_store_dwordx4 v[0:1], v[8:11], off
	;; [unrolled: 3-line block ×15, first 2 shown]
	v_accvgpr_read_b32 v0, a30
	v_accvgpr_read_b32 v1, a31
	s_waitcnt vmcnt(62)
	global_store_dwordx4 v[0:1], v[64:67], off
	v_accvgpr_read_b32 v0, a32
	v_accvgpr_read_b32 v1, a33
	global_store_dwordx4 v[0:1], v[68:71], off
	v_accvgpr_read_b32 v0, a34
	v_accvgpr_read_b32 v1, a35
	;; [unrolled: 3-line block ×4, first 2 shown]
	s_waitcnt vmcnt(62)
	global_store_dwordx4 v[0:1], v[80:83], off
	v_accvgpr_read_b32 v0, a40
	v_accvgpr_read_b32 v1, a41
	global_store_dwordx4 v[0:1], v[84:87], off
	v_accvgpr_read_b32 v0, a42
	v_accvgpr_read_b32 v1, a43
	s_waitcnt vmcnt(59)
	global_store_dwordx4 v[0:1], v[88:91], off
	v_accvgpr_read_b32 v0, a44
	v_accvgpr_read_b32 v1, a45
	s_waitcnt vmcnt(59)
	;; [unrolled: 4-line block ×9, first 2 shown]
	global_store_dwordx4 v[0:1], v[124:127], off
	s_waitcnt vmcnt(35)
	global_store_dwordx4 v[180:181], v[128:131], off
	s_waitcnt vmcnt(32)
	global_store_dwordx4 v[182:183], v[132:135], off
	s_endpgm
	.section	.rodata,"a",@progbits
	.p2align	6, 0x0
	.amdhsa_kernel _ZN9rocsolver6v33100L18getri_kernel_smallILi33E19rocblas_complex_numIdEPKPS3_EEvT1_iilPiilS8_bb
		.amdhsa_group_segment_fixed_size 1064
		.amdhsa_private_segment_fixed_size 560
		.amdhsa_kernarg_size 60
		.amdhsa_user_sgpr_count 8
		.amdhsa_user_sgpr_private_segment_buffer 1
		.amdhsa_user_sgpr_dispatch_ptr 0
		.amdhsa_user_sgpr_queue_ptr 0
		.amdhsa_user_sgpr_kernarg_segment_ptr 1
		.amdhsa_user_sgpr_dispatch_id 0
		.amdhsa_user_sgpr_flat_scratch_init 1
		.amdhsa_user_sgpr_kernarg_preload_length 0
		.amdhsa_user_sgpr_kernarg_preload_offset 0
		.amdhsa_user_sgpr_private_segment_size 0
		.amdhsa_uses_dynamic_stack 0
		.amdhsa_system_sgpr_private_segment_wavefront_offset 1
		.amdhsa_system_sgpr_workgroup_id_x 1
		.amdhsa_system_sgpr_workgroup_id_y 0
		.amdhsa_system_sgpr_workgroup_id_z 0
		.amdhsa_system_sgpr_workgroup_info 0
		.amdhsa_system_vgpr_workitem_id 0
		.amdhsa_next_free_vgpr 348
		.amdhsa_next_free_sgpr 22
		.amdhsa_accum_offset 256
		.amdhsa_reserve_vcc 1
		.amdhsa_reserve_flat_scratch 1
		.amdhsa_float_round_mode_32 0
		.amdhsa_float_round_mode_16_64 0
		.amdhsa_float_denorm_mode_32 3
		.amdhsa_float_denorm_mode_16_64 3
		.amdhsa_dx10_clamp 1
		.amdhsa_ieee_mode 1
		.amdhsa_fp16_overflow 0
		.amdhsa_tg_split 0
		.amdhsa_exception_fp_ieee_invalid_op 0
		.amdhsa_exception_fp_denorm_src 0
		.amdhsa_exception_fp_ieee_div_zero 0
		.amdhsa_exception_fp_ieee_overflow 0
		.amdhsa_exception_fp_ieee_underflow 0
		.amdhsa_exception_fp_ieee_inexact 0
		.amdhsa_exception_int_div_zero 0
	.end_amdhsa_kernel
	.section	.text._ZN9rocsolver6v33100L18getri_kernel_smallILi33E19rocblas_complex_numIdEPKPS3_EEvT1_iilPiilS8_bb,"axG",@progbits,_ZN9rocsolver6v33100L18getri_kernel_smallILi33E19rocblas_complex_numIdEPKPS3_EEvT1_iilPiilS8_bb,comdat
.Lfunc_end96:
	.size	_ZN9rocsolver6v33100L18getri_kernel_smallILi33E19rocblas_complex_numIdEPKPS3_EEvT1_iilPiilS8_bb, .Lfunc_end96-_ZN9rocsolver6v33100L18getri_kernel_smallILi33E19rocblas_complex_numIdEPKPS3_EEvT1_iilPiilS8_bb
                                        ; -- End function
	.section	.AMDGPU.csdata,"",@progbits
; Kernel info:
; codeLenInByte = 77392
; NumSgprs: 28
; NumVgprs: 256
; NumAgprs: 92
; TotalNumVgprs: 348
; ScratchSize: 560
; MemoryBound: 0
; FloatMode: 240
; IeeeMode: 1
; LDSByteSize: 1064 bytes/workgroup (compile time only)
; SGPRBlocks: 3
; VGPRBlocks: 43
; NumSGPRsForWavesPerEU: 28
; NumVGPRsForWavesPerEU: 348
; AccumOffset: 256
; Occupancy: 1
; WaveLimiterHint : 1
; COMPUTE_PGM_RSRC2:SCRATCH_EN: 1
; COMPUTE_PGM_RSRC2:USER_SGPR: 8
; COMPUTE_PGM_RSRC2:TRAP_HANDLER: 0
; COMPUTE_PGM_RSRC2:TGID_X_EN: 1
; COMPUTE_PGM_RSRC2:TGID_Y_EN: 0
; COMPUTE_PGM_RSRC2:TGID_Z_EN: 0
; COMPUTE_PGM_RSRC2:TIDIG_COMP_CNT: 0
; COMPUTE_PGM_RSRC3_GFX90A:ACCUM_OFFSET: 63
; COMPUTE_PGM_RSRC3_GFX90A:TG_SPLIT: 0
	.section	.text._ZN9rocsolver6v33100L18getri_kernel_smallILi34E19rocblas_complex_numIdEPKPS3_EEvT1_iilPiilS8_bb,"axG",@progbits,_ZN9rocsolver6v33100L18getri_kernel_smallILi34E19rocblas_complex_numIdEPKPS3_EEvT1_iilPiilS8_bb,comdat
	.globl	_ZN9rocsolver6v33100L18getri_kernel_smallILi34E19rocblas_complex_numIdEPKPS3_EEvT1_iilPiilS8_bb ; -- Begin function _ZN9rocsolver6v33100L18getri_kernel_smallILi34E19rocblas_complex_numIdEPKPS3_EEvT1_iilPiilS8_bb
	.p2align	8
	.type	_ZN9rocsolver6v33100L18getri_kernel_smallILi34E19rocblas_complex_numIdEPKPS3_EEvT1_iilPiilS8_bb,@function
_ZN9rocsolver6v33100L18getri_kernel_smallILi34E19rocblas_complex_numIdEPKPS3_EEvT1_iilPiilS8_bb: ; @_ZN9rocsolver6v33100L18getri_kernel_smallILi34E19rocblas_complex_numIdEPKPS3_EEvT1_iilPiilS8_bb
; %bb.0:
	s_add_u32 flat_scratch_lo, s6, s9
	s_addc_u32 flat_scratch_hi, s7, 0
	s_add_u32 s0, s0, s9
	s_addc_u32 s1, s1, 0
	v_cmp_gt_u32_e32 vcc, 34, v0
	s_and_saveexec_b64 s[6:7], vcc
	s_cbranch_execz .LBB97_150
; %bb.1:
	s_load_dword s18, s[4:5], 0x38
	s_load_dwordx2 s[6:7], s[4:5], 0x0
	s_load_dwordx4 s[12:15], s[4:5], 0x28
	s_waitcnt lgkmcnt(0)
	s_bitcmp1_b32 s18, 8
	s_cselect_b64 s[16:17], -1, 0
	s_ashr_i32 s9, s8, 31
	s_lshl_b64 s[10:11], s[8:9], 3
	s_add_u32 s6, s6, s10
	s_addc_u32 s7, s7, s11
	s_load_dwordx2 s[6:7], s[6:7], 0x0
	s_bfe_u32 s10, s18, 0x10008
	s_cmp_eq_u32 s10, 0
                                        ; implicit-def: $sgpr10_sgpr11
	s_cbranch_scc1 .LBB97_3
; %bb.2:
	s_load_dword s10, s[4:5], 0x20
	s_load_dwordx2 s[20:21], s[4:5], 0x18
	s_mul_i32 s11, s8, s13
	s_mul_hi_u32 s13, s8, s12
	s_add_i32 s13, s13, s11
	s_mul_i32 s19, s9, s12
	s_add_i32 s13, s13, s19
	s_mul_i32 s12, s8, s12
	s_waitcnt lgkmcnt(0)
	s_ashr_i32 s11, s10, 31
	s_lshl_b64 s[12:13], s[12:13], 2
	s_add_u32 s12, s20, s12
	s_addc_u32 s13, s21, s13
	s_lshl_b64 s[10:11], s[10:11], 2
	s_add_u32 s10, s12, s10
	s_addc_u32 s11, s13, s11
.LBB97_3:
	s_load_dwordx2 s[4:5], s[4:5], 0x8
	v_lshlrev_b32_e32 v1, 4, v0
	s_waitcnt lgkmcnt(0)
	s_ashr_i32 s13, s4, 31
	s_mov_b32 s12, s4
	s_lshl_b64 s[12:13], s[12:13], 4
	s_add_u32 s6, s6, s12
	s_addc_u32 s7, s7, s13
	s_add_i32 s4, s5, s5
	v_add_u32_e32 v2, s4, v0
	v_ashrrev_i32_e32 v3, 31, v2
	v_add_u32_e32 v4, s5, v2
	v_lshlrev_b64 v[2:3], 4, v[2:3]
	v_mov_b32_e32 v5, s7
	v_add_co_u32_e32 v18, vcc, s6, v2
	v_addc_co_u32_e32 v19, vcc, v5, v3, vcc
	global_load_dwordx4 v[10:13], v1, s[6:7]
	v_mov_b32_e32 v2, s7
	v_add_co_u32_e32 v120, vcc, s6, v1
	s_mov_b32 s12, s5
	s_ashr_i32 s13, s5, 31
	v_addc_co_u32_e32 v121, vcc, 0, v2, vcc
	s_lshl_b64 s[12:13], s[12:13], 4
	v_mov_b32_e32 v2, s13
	v_add_co_u32_e32 v14, vcc, s12, v120
	v_addc_co_u32_e32 v15, vcc, v121, v2, vcc
	v_accvgpr_write_b32 a2, v14
	v_accvgpr_write_b32 a3, v15
	global_load_dwordx4 v[14:17], v[14:15], off
	v_accvgpr_write_b32 a0, v18
	v_accvgpr_write_b32 a1, v19
	global_load_dwordx4 v[18:21], v[18:19], off
	v_ashrrev_i32_e32 v5, 31, v4
	v_lshlrev_b64 v[2:3], 4, v[4:5]
	v_add_u32_e32 v6, s5, v4
	v_mov_b32_e32 v4, s7
	v_add_co_u32_e32 v22, vcc, s6, v2
	v_addc_co_u32_e32 v23, vcc, v4, v3, vcc
	v_accvgpr_write_b32 a4, v22
	v_ashrrev_i32_e32 v7, 31, v6
	v_accvgpr_write_b32 a5, v23
	global_load_dwordx4 v[22:25], v[22:23], off
	v_lshlrev_b64 v[2:3], 4, v[6:7]
	v_add_co_u32_e32 v2, vcc, s6, v2
	v_add_u32_e32 v8, s5, v6
	v_addc_co_u32_e32 v3, vcc, v4, v3, vcc
	v_accvgpr_write_b32 a7, v3
	global_load_dwordx4 v[26:29], v[2:3], off
	v_ashrrev_i32_e32 v9, 31, v8
	v_accvgpr_write_b32 a6, v2
	v_lshlrev_b64 v[2:3], 4, v[8:9]
	v_add_u32_e32 v30, s5, v8
	v_add_co_u32_e32 v6, vcc, s6, v2
	v_addc_co_u32_e32 v7, vcc, v4, v3, vcc
	v_ashrrev_i32_e32 v31, 31, v30
	v_add_u32_e32 v38, s5, v30
	v_lshlrev_b64 v[2:3], 4, v[30:31]
	global_load_dwordx4 v[30:33], v[6:7], off
	v_add_co_u32_e32 v2, vcc, s6, v2
	v_addc_co_u32_e32 v3, vcc, v4, v3, vcc
	global_load_dwordx4 v[34:37], v[2:3], off
	v_accvgpr_write_b32 a11, v3
	v_ashrrev_i32_e32 v39, 31, v38
	v_accvgpr_write_b32 a9, v7
	v_accvgpr_write_b32 a10, v2
	v_lshlrev_b64 v[2:3], 4, v[38:39]
	v_add_u32_e32 v40, s5, v38
	v_accvgpr_write_b32 a8, v6
	v_add_co_u32_e32 v6, vcc, s6, v2
	v_addc_co_u32_e32 v7, vcc, v4, v3, vcc
	v_ashrrev_i32_e32 v41, 31, v40
	v_add_u32_e32 v46, s5, v40
	v_lshlrev_b64 v[2:3], 4, v[40:41]
	global_load_dwordx4 v[38:41], v[6:7], off
	v_add_co_u32_e32 v2, vcc, s6, v2
	v_addc_co_u32_e32 v3, vcc, v4, v3, vcc
	global_load_dwordx4 v[42:45], v[2:3], off
	v_accvgpr_write_b32 a15, v3
	v_ashrrev_i32_e32 v47, 31, v46
	v_accvgpr_write_b32 a13, v7
	v_accvgpr_write_b32 a14, v2
	v_lshlrev_b64 v[2:3], 4, v[46:47]
	v_add_u32_e32 v48, s5, v46
	v_accvgpr_write_b32 a12, v6
	v_add_co_u32_e32 v6, vcc, s6, v2
	v_addc_co_u32_e32 v7, vcc, v4, v3, vcc
	v_ashrrev_i32_e32 v49, 31, v48
	v_add_u32_e32 v54, s5, v48
	v_lshlrev_b64 v[2:3], 4, v[48:49]
	global_load_dwordx4 v[46:49], v[6:7], off
	v_add_co_u32_e32 v2, vcc, s6, v2
	v_addc_co_u32_e32 v3, vcc, v4, v3, vcc
	global_load_dwordx4 v[50:53], v[2:3], off
	v_accvgpr_write_b32 a19, v3
	v_ashrrev_i32_e32 v55, 31, v54
	v_accvgpr_write_b32 a17, v7
	v_accvgpr_write_b32 a18, v2
	v_lshlrev_b64 v[2:3], 4, v[54:55]
	v_accvgpr_write_b32 a16, v6
	v_add_co_u32_e32 v6, vcc, s6, v2
	v_add_u32_e32 v58, s5, v54
	v_addc_co_u32_e32 v7, vcc, v4, v3, vcc
	v_ashrrev_i32_e32 v59, 31, v58
	global_load_dwordx4 v[54:57], v[6:7], off
	v_lshlrev_b64 v[2:3], 4, v[58:59]
	v_add_co_u32_e32 v2, vcc, s6, v2
	v_accvgpr_write_b32 a21, v7
	v_addc_co_u32_e32 v3, vcc, v4, v3, vcc
	v_accvgpr_write_b32 a20, v6
	global_load_dwordx4 v[6:9], v[2:3], off
	v_add_u32_e32 v58, s5, v58
	v_add_u32_e32 v60, s5, v58
	;; [unrolled: 1-line block ×19, first 2 shown]
	v_accvgpr_write_b32 a23, v3
	v_add_u32_e32 v96, s5, v94
	v_accvgpr_write_b32 a22, v2
	v_add_u32_e32 v2, s5, v96
	v_ashrrev_i32_e32 v3, 31, v2
	v_lshlrev_b64 v[2:3], 4, v[2:3]
	v_add_co_u32_e32 v2, vcc, s6, v2
	v_addc_co_u32_e32 v3, vcc, v4, v3, vcc
	v_accvgpr_write_b32 a25, v3
	v_ashrrev_i32_e32 v59, 31, v58
	v_accvgpr_write_b32 a24, v2
	global_load_dwordx4 v[2:5], v[2:3], off
	s_waitcnt vmcnt(13)
	buffer_store_dword v13, off, s[0:3], 0 offset:28
	buffer_store_dword v12, off, s[0:3], 0 offset:24
	buffer_store_dword v11, off, s[0:3], 0 offset:20
	buffer_store_dword v10, off, s[0:3], 0 offset:16
	s_waitcnt vmcnt(16)
	buffer_store_dword v17, off, s[0:3], 0 offset:44
	buffer_store_dword v16, off, s[0:3], 0 offset:40
	buffer_store_dword v15, off, s[0:3], 0 offset:36
	buffer_store_dword v14, off, s[0:3], 0 offset:32
	;; [unrolled: 5-line block ×12, first 2 shown]
	s_waitcnt vmcnt(49)
	buffer_store_dword v9, off, s[0:3], 0 offset:220
	v_lshlrev_b64 v[10:11], 4, v[58:59]
	v_mov_b32_e32 v9, s7
	v_add_co_u32_e32 v12, vcc, s6, v10
	v_ashrrev_i32_e32 v61, 31, v60
	v_addc_co_u32_e32 v13, vcc, v9, v11, vcc
	v_lshlrev_b64 v[10:11], 4, v[60:61]
	v_add_co_u32_e32 v14, vcc, s6, v10
	v_accvgpr_write_b32 a27, v13
	v_addc_co_u32_e32 v15, vcc, v9, v11, vcc
	v_accvgpr_write_b32 a26, v12
	global_load_dwordx4 v[10:13], v[12:13], off
	v_accvgpr_write_b32 a29, v15
	v_ashrrev_i32_e32 v63, 31, v62
	v_accvgpr_write_b32 a28, v14
	global_load_dwordx4 v[14:17], v[14:15], off
	v_lshlrev_b64 v[18:19], 4, v[62:63]
	v_add_co_u32_e32 v20, vcc, s6, v18
	v_ashrrev_i32_e32 v65, 31, v64
	v_addc_co_u32_e32 v21, vcc, v9, v19, vcc
	v_lshlrev_b64 v[18:19], 4, v[64:65]
	v_add_co_u32_e32 v22, vcc, s6, v18
	v_accvgpr_write_b32 a31, v21
	v_addc_co_u32_e32 v23, vcc, v9, v19, vcc
	v_accvgpr_write_b32 a30, v20
	global_load_dwordx4 v[18:21], v[20:21], off
	v_accvgpr_write_b32 a33, v23
	v_ashrrev_i32_e32 v67, 31, v66
	v_accvgpr_write_b32 a32, v22
	global_load_dwordx4 v[22:25], v[22:23], off
	v_lshlrev_b64 v[26:27], 4, v[66:67]
	;; [unrolled: 14-line block ×8, first 2 shown]
	v_add_co_u32_e32 v76, vcc, s6, v74
	v_ashrrev_i32_e32 v93, 31, v92
	v_addc_co_u32_e32 v77, vcc, v9, v75, vcc
	v_lshlrev_b64 v[74:75], 4, v[92:93]
	v_add_co_u32_e32 v78, vcc, s6, v74
	v_accvgpr_write_b32 a58, v76
	v_addc_co_u32_e32 v79, vcc, v9, v75, vcc
	v_accvgpr_write_b32 a59, v77
	global_load_dwordx4 v[74:77], v[76:77], off
	v_accvgpr_write_b32 a60, v78
	v_accvgpr_write_b32 a61, v79
	global_load_dwordx4 v[78:81], v[78:79], off
	v_ashrrev_i32_e32 v95, 31, v94
	v_lshlrev_b64 v[82:83], 4, v[94:95]
	v_add_co_u32_e32 v182, vcc, s6, v82
	v_addc_co_u32_e32 v183, vcc, v9, v83, vcc
	v_ashrrev_i32_e32 v97, 31, v96
	global_load_dwordx4 v[82:85], v[182:183], off
	v_lshlrev_b64 v[86:87], 4, v[96:97]
	v_add_co_u32_e32 v184, vcc, s6, v86
	v_addc_co_u32_e32 v185, vcc, v9, v87, vcc
	global_load_dwordx4 v[86:89], v[184:185], off
	s_nop 0
	buffer_store_dword v8, off, s[0:3], 0 offset:216
	buffer_store_dword v7, off, s[0:3], 0 offset:212
	buffer_store_dword v6, off, s[0:3], 0 offset:208
	s_waitcnt vmcnt(22)
	buffer_store_dword v13, off, s[0:3], 0 offset:236
	buffer_store_dword v12, off, s[0:3], 0 offset:232
	buffer_store_dword v11, off, s[0:3], 0 offset:228
	buffer_store_dword v10, off, s[0:3], 0 offset:224
	s_waitcnt vmcnt(25)
	buffer_store_dword v17, off, s[0:3], 0 offset:252
	;; [unrolled: 5-line block ×15, first 2 shown]
	buffer_store_dword v68, off, s[0:3], 0 offset:456
	buffer_store_dword v67, off, s[0:3], 0 offset:452
	;; [unrolled: 1-line block ×11, first 2 shown]
	s_waitcnt vmcnt(62)
	buffer_store_dword v81, off, s[0:3], 0 offset:508
	buffer_store_dword v80, off, s[0:3], 0 offset:504
	;; [unrolled: 1-line block ×16, first 2 shown]
	v_mov_b32_e32 v2, 16
	v_add_u32_e32 v3, 16, v2
	v_accvgpr_write_b32 a92, v3
	v_add_u32_e32 v3, 32, v2
	v_accvgpr_write_b32 a91, v3
	v_add_u32_e32 v3, 48, v2
	v_accvgpr_write_b32 a93, v3
	v_add_u32_e32 v3, 64, v2
	v_accvgpr_write_b32 a88, v3
	v_add_u32_e32 v3, 0x50, v2
	v_accvgpr_write_b32 a90, v3
	v_add_u32_e32 v3, 0x60, v2
	v_accvgpr_write_b32 a89, v3
	v_add_u32_e32 v3, 0x70, v2
	v_accvgpr_write_b32 a87, v3
	v_add_u32_e32 v3, 0x80, v2
	v_accvgpr_write_b32 a86, v3
	v_add_u32_e32 v3, 0x90, v2
	v_accvgpr_write_b32 a85, v3
	v_add_u32_e32 v3, 0xa0, v2
	v_accvgpr_write_b32 a84, v3
	v_add_u32_e32 v3, 0xb0, v2
	v_accvgpr_write_b32 a83, v3
	v_add_u32_e32 v3, 0xc0, v2
	v_accvgpr_write_b32 a82, v3
	v_add_u32_e32 v3, 0xd0, v2
	v_accvgpr_write_b32 a81, v3
	v_add_u32_e32 v3, 0xe0, v2
	v_accvgpr_write_b32 a80, v3
	v_add_u32_e32 v3, 0xf0, v2
	v_accvgpr_write_b32 a79, v3
	v_add_u32_e32 v3, 0x100, v2
	v_accvgpr_write_b32 a78, v3
	v_add_u32_e32 v3, 0x110, v2
	v_accvgpr_write_b32 a77, v3
	v_add_u32_e32 v3, 0x120, v2
	v_accvgpr_write_b32 a76, v3
	v_add_u32_e32 v3, 0x130, v2
	v_accvgpr_write_b32 a75, v3
	v_add_u32_e32 v3, 0x140, v2
	v_accvgpr_write_b32 a74, v3
	v_add_u32_e32 v3, 0x150, v2
	v_accvgpr_write_b32 a73, v3
	v_add_u32_e32 v3, 0x160, v2
	v_accvgpr_write_b32 a72, v3
	v_add_u32_e32 v3, 0x170, v2
	v_accvgpr_write_b32 a71, v3
	v_add_u32_e32 v3, 0x180, v2
	v_accvgpr_write_b32 a70, v3
	v_add_u32_e32 v3, 0x190, v2
	v_accvgpr_write_b32 a69, v3
	v_add_u32_e32 v3, 0x1a0, v2
	v_accvgpr_write_b32 a68, v3
	v_add_u32_e32 v3, 0x1b0, v2
	v_accvgpr_write_b32 a67, v3
	v_add_u32_e32 v3, 0x1c0, v2
	v_accvgpr_write_b32 a66, v3
	v_add_u32_e32 v3, 0x1d0, v2
	v_accvgpr_write_b32 a65, v3
	v_add_u32_e32 v3, 0x1e0, v2
	v_accvgpr_write_b32 a64, v3
	v_add_u32_e32 v3, 0x1f0, v2
	v_accvgpr_write_b32 a63, v3
	v_add_u32_e32 v3, 0x200, v2
	v_accvgpr_write_b32 a62, v3
	v_add_u32_e32 v181, 0x210, v2
	s_bitcmp0_b32 s18, 0
	s_mov_b64 s[6:7], -1
	s_cbranch_scc1 .LBB97_148
; %bb.4:
	v_cmp_eq_u32_e64 s[4:5], 0, v0
	s_and_saveexec_b64 s[6:7], s[4:5]
	s_cbranch_execz .LBB97_6
; %bb.5:
	v_mov_b32_e32 v2, 0
	ds_write_b32 v2, v2 offset:1088
.LBB97_6:
	s_or_b64 exec, exec, s[6:7]
	v_mov_b32_e32 v2, 16
	v_lshl_add_u32 v12, v0, 4, v2
	s_waitcnt lgkmcnt(0)
	; wave barrier
	s_waitcnt lgkmcnt(0)
	buffer_load_dword v2, v12, s[0:3], 0 offen
	buffer_load_dword v3, v12, s[0:3], 0 offen offset:4
	buffer_load_dword v4, v12, s[0:3], 0 offen offset:8
	;; [unrolled: 1-line block ×3, first 2 shown]
	s_waitcnt vmcnt(2)
	v_cmp_eq_f64_e32 vcc, 0, v[2:3]
	s_waitcnt vmcnt(0)
	v_cmp_eq_f64_e64 s[6:7], 0, v[4:5]
	s_and_b64 s[6:7], vcc, s[6:7]
	s_and_saveexec_b64 s[12:13], s[6:7]
	s_cbranch_execz .LBB97_10
; %bb.7:
	v_mov_b32_e32 v2, 0
	ds_read_b32 v4, v2 offset:1088
	v_add_u32_e32 v3, 1, v0
	s_waitcnt lgkmcnt(0)
	v_readfirstlane_b32 s6, v4
	s_cmp_eq_u32 s6, 0
	s_cselect_b64 s[18:19], -1, 0
	v_cmp_gt_i32_e32 vcc, s6, v3
	s_or_b64 s[18:19], s[18:19], vcc
	s_and_b64 exec, exec, s[18:19]
	s_cbranch_execz .LBB97_10
; %bb.8:
	s_mov_b64 s[18:19], 0
	v_mov_b32_e32 v4, s6
.LBB97_9:                               ; =>This Inner Loop Header: Depth=1
	ds_cmpst_rtn_b32 v4, v2, v4, v3 offset:1088
	s_waitcnt lgkmcnt(0)
	v_cmp_ne_u32_e32 vcc, 0, v4
	v_cmp_le_i32_e64 s[6:7], v4, v3
	s_and_b64 s[6:7], vcc, s[6:7]
	s_and_b64 s[6:7], exec, s[6:7]
	s_or_b64 s[18:19], s[6:7], s[18:19]
	s_andn2_b64 exec, exec, s[18:19]
	s_cbranch_execnz .LBB97_9
.LBB97_10:
	s_or_b64 exec, exec, s[12:13]
	v_mov_b32_e32 v3, 0
	s_waitcnt lgkmcnt(0)
	; wave barrier
	ds_read_b32 v2, v3 offset:1088
	s_and_saveexec_b64 s[6:7], s[4:5]
	s_cbranch_execz .LBB97_12
; %bb.11:
	s_lshl_b64 s[12:13], s[8:9], 2
	s_add_u32 s12, s14, s12
	s_addc_u32 s13, s15, s13
	s_waitcnt lgkmcnt(0)
	global_store_dword v3, v2, s[12:13]
.LBB97_12:
	s_or_b64 exec, exec, s[6:7]
	s_waitcnt lgkmcnt(0)
	v_cmp_ne_u32_e32 vcc, 0, v2
	s_mov_b64 s[6:7], 0
	s_cbranch_vccnz .LBB97_148
; %bb.13:
	buffer_load_dword v7, v12, s[0:3], 0 offen offset:4
	buffer_load_dword v6, v12, s[0:3], 0 offen
	buffer_load_dword v9, v12, s[0:3], 0 offen offset:12
	buffer_load_dword v8, v12, s[0:3], 0 offen offset:8
                                        ; implicit-def: $vgpr10_vgpr11
	s_waitcnt vmcnt(3)
	v_xor_b32_e32 v3, 0x80000000, v7
	s_waitcnt vmcnt(2)
	v_cmp_gt_f64_e32 vcc, 0, v[6:7]
	s_waitcnt vmcnt(1)
	v_xor_b32_e32 v4, 0x80000000, v9
	v_cndmask_b32_e32 v3, v7, v3, vcc
	s_waitcnt vmcnt(0)
	v_cmp_gt_f64_e32 vcc, 0, v[8:9]
	v_mov_b32_e32 v2, v6
	v_cndmask_b32_e32 v5, v9, v4, vcc
	v_mov_b32_e32 v4, v8
	v_cmp_ngt_f64_e32 vcc, v[2:3], v[4:5]
                                        ; implicit-def: $vgpr4_vgpr5
	s_and_saveexec_b64 s[6:7], vcc
	s_xor_b64 s[6:7], exec, s[6:7]
	s_cbranch_execz .LBB97_15
; %bb.14:
	v_div_scale_f64 v[2:3], s[12:13], v[8:9], v[8:9], v[6:7]
	v_rcp_f64_e32 v[4:5], v[2:3]
	v_div_scale_f64 v[10:11], vcc, v[6:7], v[8:9], v[6:7]
	v_fma_f64 v[14:15], -v[2:3], v[4:5], 1.0
	v_fmac_f64_e32 v[4:5], v[4:5], v[14:15]
	v_fma_f64 v[14:15], -v[2:3], v[4:5], 1.0
	v_fmac_f64_e32 v[4:5], v[4:5], v[14:15]
	v_mul_f64 v[14:15], v[10:11], v[4:5]
	v_fma_f64 v[2:3], -v[2:3], v[14:15], v[10:11]
	v_div_fmas_f64 v[2:3], v[2:3], v[4:5], v[14:15]
	v_div_fixup_f64 v[2:3], v[2:3], v[8:9], v[6:7]
	v_fmac_f64_e32 v[8:9], v[6:7], v[2:3]
	v_div_scale_f64 v[4:5], s[12:13], v[8:9], v[8:9], 1.0
	v_rcp_f64_e32 v[6:7], v[4:5]
	v_fma_f64 v[10:11], -v[4:5], v[6:7], 1.0
	v_fmac_f64_e32 v[6:7], v[6:7], v[10:11]
	v_fma_f64 v[10:11], -v[4:5], v[6:7], 1.0
	v_fmac_f64_e32 v[6:7], v[6:7], v[10:11]
	v_div_scale_f64 v[10:11], vcc, 1.0, v[8:9], 1.0
	v_mul_f64 v[14:15], v[10:11], v[6:7]
	v_fma_f64 v[4:5], -v[4:5], v[14:15], v[10:11]
	s_nop 1
	v_div_fmas_f64 v[4:5], v[4:5], v[6:7], v[14:15]
	v_div_fixup_f64 v[4:5], v[4:5], v[8:9], 1.0
	v_mul_f64 v[10:11], v[2:3], v[4:5]
	v_xor_b32_e32 v5, 0x80000000, v5
	v_xor_b32_e32 v3, 0x80000000, v11
	v_mov_b32_e32 v2, v10
                                        ; implicit-def: $vgpr6_vgpr7
                                        ; implicit-def: $vgpr8_vgpr9
.LBB97_15:
	s_andn2_saveexec_b64 s[6:7], s[6:7]
	s_cbranch_execz .LBB97_17
; %bb.16:
	v_div_scale_f64 v[2:3], s[12:13], v[6:7], v[6:7], v[8:9]
	v_rcp_f64_e32 v[4:5], v[2:3]
	v_div_scale_f64 v[10:11], vcc, v[8:9], v[6:7], v[8:9]
	v_fma_f64 v[14:15], -v[2:3], v[4:5], 1.0
	v_fmac_f64_e32 v[4:5], v[4:5], v[14:15]
	v_fma_f64 v[14:15], -v[2:3], v[4:5], 1.0
	v_fmac_f64_e32 v[4:5], v[4:5], v[14:15]
	v_mul_f64 v[14:15], v[10:11], v[4:5]
	v_fma_f64 v[2:3], -v[2:3], v[14:15], v[10:11]
	v_div_fmas_f64 v[2:3], v[2:3], v[4:5], v[14:15]
	v_div_fixup_f64 v[4:5], v[2:3], v[6:7], v[8:9]
	v_fmac_f64_e32 v[6:7], v[8:9], v[4:5]
	v_div_scale_f64 v[2:3], s[12:13], v[6:7], v[6:7], 1.0
	v_rcp_f64_e32 v[8:9], v[2:3]
	v_fma_f64 v[10:11], -v[2:3], v[8:9], 1.0
	v_fmac_f64_e32 v[8:9], v[8:9], v[10:11]
	v_fma_f64 v[10:11], -v[2:3], v[8:9], 1.0
	v_fmac_f64_e32 v[8:9], v[8:9], v[10:11]
	v_div_scale_f64 v[10:11], vcc, 1.0, v[6:7], 1.0
	v_mul_f64 v[14:15], v[10:11], v[8:9]
	v_fma_f64 v[2:3], -v[2:3], v[14:15], v[10:11]
	s_nop 1
	v_div_fmas_f64 v[2:3], v[2:3], v[8:9], v[14:15]
	v_div_fixup_f64 v[10:11], v[2:3], v[6:7], 1.0
	v_xor_b32_e32 v3, 0x80000000, v11
	v_mov_b32_e32 v2, v10
	v_mul_f64 v[4:5], v[4:5], -v[10:11]
.LBB97_17:
	s_or_b64 exec, exec, s[6:7]
	buffer_store_dword v11, v12, s[0:3], 0 offen offset:4
	buffer_store_dword v10, v12, s[0:3], 0 offen
	buffer_store_dword v5, v12, s[0:3], 0 offen offset:12
	buffer_store_dword v4, v12, s[0:3], 0 offen offset:8
	v_accvgpr_read_b32 v6, a92
	buffer_load_dword v11, v6, s[0:3], 0 offen offset:12
	buffer_load_dword v10, v6, s[0:3], 0 offen offset:8
	;; [unrolled: 1-line block ×3, first 2 shown]
	buffer_load_dword v8, v6, s[0:3], 0 offen
	v_xor_b32_e32 v5, 0x80000000, v5
	v_add_u32_e32 v6, 0x220, v1
	ds_write_b128 v1, v[2:5]
	s_waitcnt vmcnt(0)
	ds_write_b128 v1, v[8:11] offset:544
	s_waitcnt lgkmcnt(0)
	; wave barrier
	s_waitcnt lgkmcnt(0)
	s_and_saveexec_b64 s[6:7], s[4:5]
	s_cbranch_execz .LBB97_19
; %bb.18:
	buffer_load_dword v14, v12, s[0:3], 0 offen offset:8
	buffer_load_dword v15, v12, s[0:3], 0 offen offset:12
	buffer_load_dword v16, v12, s[0:3], 0 offen
	buffer_load_dword v17, v12, s[0:3], 0 offen offset:4
	ds_read_b128 v[2:5], v6
	v_mov_b32_e32 v7, 0
	ds_read_b128 v[8:11], v7 offset:16
	s_waitcnt vmcnt(2) lgkmcnt(1)
	v_mul_f64 v[18:19], v[4:5], v[14:15]
	v_mul_f64 v[14:15], v[2:3], v[14:15]
	s_waitcnt vmcnt(0)
	v_fmac_f64_e32 v[14:15], v[4:5], v[16:17]
	v_fma_f64 v[2:3], v[2:3], v[16:17], -v[18:19]
	v_add_f64 v[4:5], v[14:15], 0
	v_add_f64 v[2:3], v[2:3], 0
	s_waitcnt lgkmcnt(0)
	v_mul_f64 v[14:15], v[4:5], v[10:11]
	v_mul_f64 v[10:11], v[2:3], v[10:11]
	v_fma_f64 v[2:3], v[2:3], v[8:9], -v[14:15]
	v_fmac_f64_e32 v[10:11], v[4:5], v[8:9]
	buffer_store_dword v2, off, s[0:3], 0 offset:32
	buffer_store_dword v3, off, s[0:3], 0 offset:36
	;; [unrolled: 1-line block ×4, first 2 shown]
.LBB97_19:
	s_or_b64 exec, exec, s[6:7]
	v_accvgpr_read_b32 v5, a91
	s_waitcnt lgkmcnt(0)
	; wave barrier
	buffer_load_dword v2, v5, s[0:3], 0 offen
	buffer_load_dword v3, v5, s[0:3], 0 offen offset:4
	buffer_load_dword v4, v5, s[0:3], 0 offen offset:8
	s_nop 0
	buffer_load_dword v5, v5, s[0:3], 0 offen offset:12
	v_cmp_gt_u32_e32 vcc, 2, v0
	s_waitcnt vmcnt(0)
	ds_write_b128 v6, v[2:5]
	s_waitcnt lgkmcnt(0)
	; wave barrier
	s_waitcnt lgkmcnt(0)
	s_and_saveexec_b64 s[6:7], vcc
	s_cbranch_execz .LBB97_23
; %bb.20:
	buffer_load_dword v8, v12, s[0:3], 0 offen offset:8
	buffer_load_dword v9, v12, s[0:3], 0 offen offset:12
	buffer_load_dword v10, v12, s[0:3], 0 offen
	buffer_load_dword v11, v12, s[0:3], 0 offen offset:4
	ds_read_b128 v[2:5], v6
	s_waitcnt vmcnt(2) lgkmcnt(0)
	v_mul_f64 v[12:13], v[4:5], v[8:9]
	v_mul_f64 v[8:9], v[2:3], v[8:9]
	s_waitcnt vmcnt(0)
	v_fma_f64 v[2:3], v[2:3], v[10:11], -v[12:13]
	v_fmac_f64_e32 v[8:9], v[4:5], v[10:11]
	v_add_f64 v[4:5], v[2:3], 0
	v_add_f64 v[2:3], v[8:9], 0
	s_and_saveexec_b64 s[12:13], s[4:5]
	s_cbranch_execz .LBB97_22
; %bb.21:
	buffer_load_dword v12, off, s[0:3], 0 offset:40
	buffer_load_dword v13, off, s[0:3], 0 offset:44
	;; [unrolled: 1-line block ×4, first 2 shown]
	v_mov_b32_e32 v7, 0
	ds_read_b128 v[8:11], v7 offset:560
	s_waitcnt vmcnt(2) lgkmcnt(0)
	v_mul_f64 v[16:17], v[8:9], v[12:13]
	v_mul_f64 v[12:13], v[10:11], v[12:13]
	s_waitcnt vmcnt(0)
	v_fmac_f64_e32 v[16:17], v[10:11], v[14:15]
	v_fma_f64 v[8:9], v[8:9], v[14:15], -v[12:13]
	v_add_f64 v[2:3], v[2:3], v[16:17]
	v_add_f64 v[4:5], v[4:5], v[8:9]
.LBB97_22:
	s_or_b64 exec, exec, s[12:13]
	v_mov_b32_e32 v7, 0
	ds_read_b128 v[8:11], v7 offset:32
	s_waitcnt lgkmcnt(0)
	v_mul_f64 v[12:13], v[2:3], v[10:11]
	v_mul_f64 v[10:11], v[4:5], v[10:11]
	v_fma_f64 v[4:5], v[4:5], v[8:9], -v[12:13]
	v_fmac_f64_e32 v[10:11], v[2:3], v[8:9]
	buffer_store_dword v5, off, s[0:3], 0 offset:52
	buffer_store_dword v4, off, s[0:3], 0 offset:48
	;; [unrolled: 1-line block ×4, first 2 shown]
.LBB97_23:
	s_or_b64 exec, exec, s[6:7]
	v_accvgpr_read_b32 v5, a93
	s_waitcnt lgkmcnt(0)
	; wave barrier
	buffer_load_dword v2, v5, s[0:3], 0 offen
	buffer_load_dword v3, v5, s[0:3], 0 offen offset:4
	buffer_load_dword v4, v5, s[0:3], 0 offen offset:8
	s_nop 0
	buffer_load_dword v5, v5, s[0:3], 0 offen offset:12
	v_cmp_gt_u32_e32 vcc, 3, v0
	v_add_u32_e32 v7, -1, v0
	s_waitcnt vmcnt(0)
	ds_write_b128 v6, v[2:5]
	s_waitcnt lgkmcnt(0)
	; wave barrier
	s_waitcnt lgkmcnt(0)
	s_and_saveexec_b64 s[4:5], vcc
	s_cbranch_execz .LBB97_27
; %bb.24:
	v_pk_mov_b32 v[2:3], 0, 0
	v_add_u32_e32 v8, -1, v0
	v_add_u32_e32 v9, 0x220, v1
	v_add_u32_e32 v10, 16, v1
	s_mov_b64 s[6:7], 0
	v_pk_mov_b32 v[4:5], v[2:3], v[2:3] op_sel:[0,1]
.LBB97_25:                              ; =>This Inner Loop Header: Depth=1
	buffer_load_dword v16, v10, s[0:3], 0 offen offset:8
	buffer_load_dword v17, v10, s[0:3], 0 offen offset:12
	buffer_load_dword v18, v10, s[0:3], 0 offen
	buffer_load_dword v19, v10, s[0:3], 0 offen offset:4
	ds_read_b128 v[12:15], v9
	v_add_u32_e32 v8, 1, v8
	v_cmp_lt_u32_e32 vcc, 1, v8
	v_add_u32_e32 v9, 16, v9
	v_add_u32_e32 v10, 16, v10
	s_or_b64 s[6:7], vcc, s[6:7]
	s_waitcnt vmcnt(2) lgkmcnt(0)
	v_mul_f64 v[20:21], v[14:15], v[16:17]
	v_mul_f64 v[16:17], v[12:13], v[16:17]
	s_waitcnt vmcnt(0)
	v_fma_f64 v[12:13], v[12:13], v[18:19], -v[20:21]
	v_fmac_f64_e32 v[16:17], v[14:15], v[18:19]
	v_add_f64 v[4:5], v[4:5], v[12:13]
	v_add_f64 v[2:3], v[2:3], v[16:17]
	s_andn2_b64 exec, exec, s[6:7]
	s_cbranch_execnz .LBB97_25
; %bb.26:
	s_or_b64 exec, exec, s[6:7]
	v_mov_b32_e32 v8, 0
	ds_read_b128 v[8:11], v8 offset:48
	s_waitcnt lgkmcnt(0)
	v_mul_f64 v[12:13], v[2:3], v[10:11]
	v_mul_f64 v[10:11], v[4:5], v[10:11]
	v_fma_f64 v[4:5], v[4:5], v[8:9], -v[12:13]
	v_fmac_f64_e32 v[10:11], v[2:3], v[8:9]
	buffer_store_dword v5, off, s[0:3], 0 offset:68
	buffer_store_dword v4, off, s[0:3], 0 offset:64
	buffer_store_dword v11, off, s[0:3], 0 offset:76
	buffer_store_dword v10, off, s[0:3], 0 offset:72
.LBB97_27:
	s_or_b64 exec, exec, s[4:5]
	v_accvgpr_read_b32 v5, a88
	s_waitcnt lgkmcnt(0)
	; wave barrier
	buffer_load_dword v2, v5, s[0:3], 0 offen
	buffer_load_dword v3, v5, s[0:3], 0 offen offset:4
	buffer_load_dword v4, v5, s[0:3], 0 offen offset:8
	s_nop 0
	buffer_load_dword v5, v5, s[0:3], 0 offen offset:12
	v_cmp_gt_u32_e32 vcc, 4, v0
	s_waitcnt vmcnt(0)
	ds_write_b128 v6, v[2:5]
	s_waitcnt lgkmcnt(0)
	; wave barrier
	s_waitcnt lgkmcnt(0)
	s_and_saveexec_b64 s[4:5], vcc
	s_cbranch_execz .LBB97_31
; %bb.28:
	v_pk_mov_b32 v[2:3], 0, 0
	v_add_u32_e32 v8, -1, v0
	v_add_u32_e32 v9, 0x220, v1
	v_add_u32_e32 v10, 16, v1
	s_mov_b64 s[6:7], 0
	v_pk_mov_b32 v[4:5], v[2:3], v[2:3] op_sel:[0,1]
.LBB97_29:                              ; =>This Inner Loop Header: Depth=1
	buffer_load_dword v16, v10, s[0:3], 0 offen offset:8
	buffer_load_dword v17, v10, s[0:3], 0 offen offset:12
	buffer_load_dword v18, v10, s[0:3], 0 offen
	buffer_load_dword v19, v10, s[0:3], 0 offen offset:4
	ds_read_b128 v[12:15], v9
	v_add_u32_e32 v8, 1, v8
	v_cmp_lt_u32_e32 vcc, 2, v8
	v_add_u32_e32 v9, 16, v9
	v_add_u32_e32 v10, 16, v10
	s_or_b64 s[6:7], vcc, s[6:7]
	s_waitcnt vmcnt(2) lgkmcnt(0)
	v_mul_f64 v[20:21], v[14:15], v[16:17]
	v_mul_f64 v[16:17], v[12:13], v[16:17]
	s_waitcnt vmcnt(0)
	v_fma_f64 v[12:13], v[12:13], v[18:19], -v[20:21]
	v_fmac_f64_e32 v[16:17], v[14:15], v[18:19]
	v_add_f64 v[4:5], v[4:5], v[12:13]
	v_add_f64 v[2:3], v[2:3], v[16:17]
	s_andn2_b64 exec, exec, s[6:7]
	s_cbranch_execnz .LBB97_29
; %bb.30:
	s_or_b64 exec, exec, s[6:7]
	v_mov_b32_e32 v8, 0
	ds_read_b128 v[8:11], v8 offset:64
	s_waitcnt lgkmcnt(0)
	v_mul_f64 v[12:13], v[2:3], v[10:11]
	v_mul_f64 v[10:11], v[4:5], v[10:11]
	v_fma_f64 v[4:5], v[4:5], v[8:9], -v[12:13]
	v_fmac_f64_e32 v[10:11], v[2:3], v[8:9]
	buffer_store_dword v5, off, s[0:3], 0 offset:84
	buffer_store_dword v4, off, s[0:3], 0 offset:80
	buffer_store_dword v11, off, s[0:3], 0 offset:92
	buffer_store_dword v10, off, s[0:3], 0 offset:88
.LBB97_31:
	s_or_b64 exec, exec, s[4:5]
	v_accvgpr_read_b32 v5, a90
	s_waitcnt lgkmcnt(0)
	; wave barrier
	buffer_load_dword v2, v5, s[0:3], 0 offen
	buffer_load_dword v3, v5, s[0:3], 0 offen offset:4
	buffer_load_dword v4, v5, s[0:3], 0 offen offset:8
	s_nop 0
	buffer_load_dword v5, v5, s[0:3], 0 offen offset:12
	v_cmp_gt_u32_e32 vcc, 5, v0
	;; [unrolled: 59-line block ×19, first 2 shown]
	s_waitcnt vmcnt(0)
	ds_write_b128 v6, v[2:5]
	s_waitcnt lgkmcnt(0)
	; wave barrier
	s_waitcnt lgkmcnt(0)
	s_and_saveexec_b64 s[4:5], vcc
	s_cbranch_execz .LBB97_103
; %bb.100:
	v_pk_mov_b32 v[2:3], 0, 0
	v_add_u32_e32 v8, -1, v0
	v_add_u32_e32 v9, 0x220, v1
	v_add_u32_e32 v10, 16, v1
	s_mov_b64 s[6:7], 0
	v_pk_mov_b32 v[4:5], v[2:3], v[2:3] op_sel:[0,1]
.LBB97_101:                             ; =>This Inner Loop Header: Depth=1
	buffer_load_dword v16, v10, s[0:3], 0 offen offset:8
	buffer_load_dword v17, v10, s[0:3], 0 offen offset:12
	buffer_load_dword v18, v10, s[0:3], 0 offen
	buffer_load_dword v19, v10, s[0:3], 0 offen offset:4
	ds_read_b128 v[12:15], v9
	v_add_u32_e32 v8, 1, v8
	v_cmp_lt_u32_e32 vcc, 20, v8
	v_add_u32_e32 v9, 16, v9
	v_add_u32_e32 v10, 16, v10
	s_or_b64 s[6:7], vcc, s[6:7]
	s_waitcnt vmcnt(2) lgkmcnt(0)
	v_mul_f64 v[20:21], v[14:15], v[16:17]
	v_mul_f64 v[16:17], v[12:13], v[16:17]
	s_waitcnt vmcnt(0)
	v_fma_f64 v[12:13], v[12:13], v[18:19], -v[20:21]
	v_fmac_f64_e32 v[16:17], v[14:15], v[18:19]
	v_add_f64 v[4:5], v[4:5], v[12:13]
	v_add_f64 v[2:3], v[2:3], v[16:17]
	s_andn2_b64 exec, exec, s[6:7]
	s_cbranch_execnz .LBB97_101
; %bb.102:
	s_or_b64 exec, exec, s[6:7]
	v_mov_b32_e32 v8, 0
	ds_read_b128 v[8:11], v8 offset:352
	s_waitcnt lgkmcnt(0)
	v_mul_f64 v[12:13], v[2:3], v[10:11]
	v_mul_f64 v[10:11], v[4:5], v[10:11]
	v_fma_f64 v[4:5], v[4:5], v[8:9], -v[12:13]
	v_fmac_f64_e32 v[10:11], v[2:3], v[8:9]
	buffer_store_dword v5, off, s[0:3], 0 offset:372
	buffer_store_dword v4, off, s[0:3], 0 offset:368
	buffer_store_dword v11, off, s[0:3], 0 offset:380
	buffer_store_dword v10, off, s[0:3], 0 offset:376
.LBB97_103:
	s_or_b64 exec, exec, s[4:5]
	v_accvgpr_read_b32 v5, a71
	s_waitcnt lgkmcnt(0)
	; wave barrier
	buffer_load_dword v2, v5, s[0:3], 0 offen
	buffer_load_dword v3, v5, s[0:3], 0 offen offset:4
	buffer_load_dword v4, v5, s[0:3], 0 offen offset:8
	s_nop 0
	buffer_load_dword v5, v5, s[0:3], 0 offen offset:12
	v_cmp_gt_u32_e32 vcc, 23, v0
	s_waitcnt vmcnt(0)
	ds_write_b128 v6, v[2:5]
	s_waitcnt lgkmcnt(0)
	; wave barrier
	s_waitcnt lgkmcnt(0)
	s_and_saveexec_b64 s[4:5], vcc
	s_cbranch_execz .LBB97_107
; %bb.104:
	v_pk_mov_b32 v[2:3], 0, 0
	v_add_u32_e32 v8, -1, v0
	v_add_u32_e32 v9, 0x220, v1
	v_add_u32_e32 v10, 16, v1
	s_mov_b64 s[6:7], 0
	v_pk_mov_b32 v[4:5], v[2:3], v[2:3] op_sel:[0,1]
.LBB97_105:                             ; =>This Inner Loop Header: Depth=1
	buffer_load_dword v16, v10, s[0:3], 0 offen offset:8
	buffer_load_dword v17, v10, s[0:3], 0 offen offset:12
	buffer_load_dword v18, v10, s[0:3], 0 offen
	buffer_load_dword v19, v10, s[0:3], 0 offen offset:4
	ds_read_b128 v[12:15], v9
	v_add_u32_e32 v8, 1, v8
	v_cmp_lt_u32_e32 vcc, 21, v8
	v_add_u32_e32 v9, 16, v9
	v_add_u32_e32 v10, 16, v10
	s_or_b64 s[6:7], vcc, s[6:7]
	s_waitcnt vmcnt(2) lgkmcnt(0)
	v_mul_f64 v[20:21], v[14:15], v[16:17]
	v_mul_f64 v[16:17], v[12:13], v[16:17]
	s_waitcnt vmcnt(0)
	v_fma_f64 v[12:13], v[12:13], v[18:19], -v[20:21]
	v_fmac_f64_e32 v[16:17], v[14:15], v[18:19]
	v_add_f64 v[4:5], v[4:5], v[12:13]
	v_add_f64 v[2:3], v[2:3], v[16:17]
	s_andn2_b64 exec, exec, s[6:7]
	s_cbranch_execnz .LBB97_105
; %bb.106:
	s_or_b64 exec, exec, s[6:7]
	v_mov_b32_e32 v8, 0
	ds_read_b128 v[8:11], v8 offset:368
	s_waitcnt lgkmcnt(0)
	v_mul_f64 v[12:13], v[2:3], v[10:11]
	v_mul_f64 v[10:11], v[4:5], v[10:11]
	v_fma_f64 v[4:5], v[4:5], v[8:9], -v[12:13]
	v_fmac_f64_e32 v[10:11], v[2:3], v[8:9]
	buffer_store_dword v5, off, s[0:3], 0 offset:388
	buffer_store_dword v4, off, s[0:3], 0 offset:384
	buffer_store_dword v11, off, s[0:3], 0 offset:396
	buffer_store_dword v10, off, s[0:3], 0 offset:392
.LBB97_107:
	s_or_b64 exec, exec, s[4:5]
	v_accvgpr_read_b32 v5, a70
	s_waitcnt lgkmcnt(0)
	; wave barrier
	buffer_load_dword v2, v5, s[0:3], 0 offen
	buffer_load_dword v3, v5, s[0:3], 0 offen offset:4
	buffer_load_dword v4, v5, s[0:3], 0 offen offset:8
	s_nop 0
	buffer_load_dword v5, v5, s[0:3], 0 offen offset:12
	v_cmp_gt_u32_e32 vcc, 24, v0
	;; [unrolled: 59-line block ×10, first 2 shown]
	s_waitcnt vmcnt(0)
	ds_write_b128 v6, v[2:5]
	s_waitcnt lgkmcnt(0)
	; wave barrier
	s_waitcnt lgkmcnt(0)
	s_and_saveexec_b64 s[4:5], vcc
	s_cbranch_execz .LBB97_143
; %bb.140:
	v_pk_mov_b32 v[2:3], 0, 0
	v_add_u32_e32 v8, -1, v0
	v_add_u32_e32 v9, 0x220, v1
	v_add_u32_e32 v10, 16, v1
	s_mov_b64 s[6:7], 0
	v_pk_mov_b32 v[4:5], v[2:3], v[2:3] op_sel:[0,1]
.LBB97_141:                             ; =>This Inner Loop Header: Depth=1
	buffer_load_dword v16, v10, s[0:3], 0 offen offset:8
	buffer_load_dword v17, v10, s[0:3], 0 offen offset:12
	buffer_load_dword v18, v10, s[0:3], 0 offen
	buffer_load_dword v19, v10, s[0:3], 0 offen offset:4
	ds_read_b128 v[12:15], v9
	v_add_u32_e32 v8, 1, v8
	v_cmp_lt_u32_e32 vcc, 30, v8
	v_add_u32_e32 v9, 16, v9
	v_add_u32_e32 v10, 16, v10
	s_or_b64 s[6:7], vcc, s[6:7]
	s_waitcnt vmcnt(2) lgkmcnt(0)
	v_mul_f64 v[20:21], v[14:15], v[16:17]
	v_mul_f64 v[16:17], v[12:13], v[16:17]
	s_waitcnt vmcnt(0)
	v_fma_f64 v[12:13], v[12:13], v[18:19], -v[20:21]
	v_fmac_f64_e32 v[16:17], v[14:15], v[18:19]
	v_add_f64 v[4:5], v[4:5], v[12:13]
	v_add_f64 v[2:3], v[2:3], v[16:17]
	s_andn2_b64 exec, exec, s[6:7]
	s_cbranch_execnz .LBB97_141
; %bb.142:
	s_or_b64 exec, exec, s[6:7]
	v_mov_b32_e32 v8, 0
	ds_read_b128 v[8:11], v8 offset:512
	s_waitcnt lgkmcnt(0)
	v_mul_f64 v[12:13], v[2:3], v[10:11]
	v_mul_f64 v[10:11], v[4:5], v[10:11]
	v_fma_f64 v[4:5], v[4:5], v[8:9], -v[12:13]
	v_fmac_f64_e32 v[10:11], v[2:3], v[8:9]
	buffer_store_dword v5, off, s[0:3], 0 offset:532
	buffer_store_dword v4, off, s[0:3], 0 offset:528
	;; [unrolled: 1-line block ×4, first 2 shown]
.LBB97_143:
	s_or_b64 exec, exec, s[4:5]
	s_waitcnt lgkmcnt(0)
	; wave barrier
	buffer_load_dword v2, v181, s[0:3], 0 offen
	buffer_load_dword v3, v181, s[0:3], 0 offen offset:4
	buffer_load_dword v4, v181, s[0:3], 0 offen offset:8
	;; [unrolled: 1-line block ×3, first 2 shown]
	v_cmp_ne_u32_e32 vcc, 33, v0
	s_waitcnt vmcnt(0)
	ds_write_b128 v6, v[2:5]
	s_waitcnt lgkmcnt(0)
	; wave barrier
	s_waitcnt lgkmcnt(0)
	s_and_saveexec_b64 s[4:5], vcc
	s_cbranch_execz .LBB97_147
; %bb.144:
	v_pk_mov_b32 v[2:3], 0, 0
	v_add_u32_e32 v6, 0x220, v1
	v_add_u32_e32 v1, 16, v1
	s_mov_b64 s[6:7], 0
	v_pk_mov_b32 v[4:5], v[2:3], v[2:3] op_sel:[0,1]
.LBB97_145:                             ; =>This Inner Loop Header: Depth=1
	buffer_load_dword v12, v1, s[0:3], 0 offen offset:8
	buffer_load_dword v13, v1, s[0:3], 0 offen offset:12
	buffer_load_dword v14, v1, s[0:3], 0 offen
	buffer_load_dword v15, v1, s[0:3], 0 offen offset:4
	ds_read_b128 v[8:11], v6
	v_add_u32_e32 v7, 1, v7
	v_cmp_lt_u32_e32 vcc, 31, v7
	v_add_u32_e32 v6, 16, v6
	v_add_u32_e32 v1, 16, v1
	s_or_b64 s[6:7], vcc, s[6:7]
	s_waitcnt vmcnt(2) lgkmcnt(0)
	v_mul_f64 v[16:17], v[10:11], v[12:13]
	v_mul_f64 v[12:13], v[8:9], v[12:13]
	s_waitcnt vmcnt(0)
	v_fma_f64 v[8:9], v[8:9], v[14:15], -v[16:17]
	v_fmac_f64_e32 v[12:13], v[10:11], v[14:15]
	v_add_f64 v[4:5], v[4:5], v[8:9]
	v_add_f64 v[2:3], v[2:3], v[12:13]
	s_andn2_b64 exec, exec, s[6:7]
	s_cbranch_execnz .LBB97_145
; %bb.146:
	s_or_b64 exec, exec, s[6:7]
	v_mov_b32_e32 v1, 0
	ds_read_b128 v[6:9], v1 offset:528
	s_waitcnt lgkmcnt(0)
	v_mul_f64 v[10:11], v[2:3], v[8:9]
	v_mul_f64 v[8:9], v[4:5], v[8:9]
	v_fma_f64 v[4:5], v[4:5], v[6:7], -v[10:11]
	v_fmac_f64_e32 v[8:9], v[2:3], v[6:7]
	buffer_store_dword v5, off, s[0:3], 0 offset:548
	buffer_store_dword v4, off, s[0:3], 0 offset:544
	;; [unrolled: 1-line block ×4, first 2 shown]
.LBB97_147:
	s_or_b64 exec, exec, s[4:5]
	s_mov_b64 s[6:7], -1
	s_waitcnt lgkmcnt(0)
	; wave barrier
.LBB97_148:
	s_and_b64 vcc, exec, s[6:7]
	s_cbranch_vccz .LBB97_150
; %bb.149:
	s_lshl_b64 s[4:5], s[8:9], 2
	s_add_u32 s4, s14, s4
	s_addc_u32 s5, s15, s5
	v_mov_b32_e32 v1, 0
	global_load_dword v1, v1, s[4:5]
	s_waitcnt vmcnt(0)
	v_cmp_ne_u32_e32 vcc, 0, v1
	s_cbranch_vccz .LBB97_151
.LBB97_150:
	s_endpgm
.LBB97_151:
	v_mov_b32_e32 v1, 0x220
	v_lshl_add_u32 v1, v0, 4, v1
	v_cmp_eq_u32_e32 vcc, 33, v0
	s_and_saveexec_b64 s[4:5], vcc
	s_cbranch_execz .LBB97_153
; %bb.152:
	v_accvgpr_read_b32 v5, a62
	buffer_load_dword v2, v5, s[0:3], 0 offen
	buffer_load_dword v3, v5, s[0:3], 0 offen offset:4
	buffer_load_dword v4, v5, s[0:3], 0 offen offset:8
	s_nop 0
	buffer_load_dword v5, v5, s[0:3], 0 offen offset:12
	v_mov_b32_e32 v6, 0
	buffer_store_dword v6, off, s[0:3], 0 offset:528
	buffer_store_dword v6, off, s[0:3], 0 offset:532
	;; [unrolled: 1-line block ×4, first 2 shown]
	s_waitcnt vmcnt(4)
	ds_write_b128 v1, v[2:5]
.LBB97_153:
	s_or_b64 exec, exec, s[4:5]
	s_waitcnt lgkmcnt(0)
	; wave barrier
	s_waitcnt lgkmcnt(0)
	buffer_load_dword v8, off, s[0:3], 0 offset:552
	buffer_load_dword v9, off, s[0:3], 0 offset:556
	;; [unrolled: 1-line block ×8, first 2 shown]
	v_mov_b32_e32 v2, 0
	ds_read_b128 v[4:7], v2 offset:1072
	v_cmp_lt_u32_e32 vcc, 31, v0
	s_waitcnt vmcnt(6) lgkmcnt(0)
	v_mul_f64 v[16:17], v[4:5], v[8:9]
	v_mul_f64 v[8:9], v[6:7], v[8:9]
	s_waitcnt vmcnt(4)
	v_fma_f64 v[4:5], v[4:5], v[10:11], -v[8:9]
	v_fmac_f64_e32 v[16:17], v[6:7], v[10:11]
	v_add_f64 v[4:5], v[4:5], 0
	v_add_f64 v[6:7], v[16:17], 0
	s_waitcnt vmcnt(2)
	v_add_f64 v[4:5], v[12:13], -v[4:5]
	s_waitcnt vmcnt(0)
	v_add_f64 v[6:7], v[14:15], -v[6:7]
	buffer_store_dword v4, off, s[0:3], 0 offset:528
	buffer_store_dword v5, off, s[0:3], 0 offset:532
	;; [unrolled: 1-line block ×4, first 2 shown]
	s_and_saveexec_b64 s[4:5], vcc
	s_cbranch_execz .LBB97_155
; %bb.154:
	v_accvgpr_read_b32 v3, a63
	buffer_load_dword v4, v3, s[0:3], 0 offen
	buffer_load_dword v5, v3, s[0:3], 0 offen offset:4
	buffer_load_dword v6, v3, s[0:3], 0 offen offset:8
	;; [unrolled: 1-line block ×3, first 2 shown]
	s_nop 0
	buffer_store_dword v2, off, s[0:3], 0 offset:512
	buffer_store_dword v2, off, s[0:3], 0 offset:516
	;; [unrolled: 1-line block ×4, first 2 shown]
	s_waitcnt vmcnt(4)
	ds_write_b128 v1, v[4:7]
.LBB97_155:
	s_or_b64 exec, exec, s[4:5]
	s_waitcnt lgkmcnt(0)
	; wave barrier
	s_waitcnt lgkmcnt(0)
	buffer_load_dword v12, off, s[0:3], 0 offset:536
	buffer_load_dword v13, off, s[0:3], 0 offset:540
	;; [unrolled: 1-line block ×12, first 2 shown]
	ds_read_b128 v[4:7], v2 offset:1056
	ds_read_b128 v[8:11], v2 offset:1072
	v_cmp_lt_u32_e32 vcc, 30, v0
	s_waitcnt vmcnt(10) lgkmcnt(1)
	v_mul_f64 v[2:3], v[4:5], v[12:13]
	v_mul_f64 v[12:13], v[6:7], v[12:13]
	s_waitcnt vmcnt(8) lgkmcnt(0)
	v_mul_f64 v[24:25], v[8:9], v[14:15]
	v_mul_f64 v[14:15], v[10:11], v[14:15]
	s_waitcnt vmcnt(6)
	v_fma_f64 v[4:5], v[4:5], v[16:17], -v[12:13]
	v_fmac_f64_e32 v[2:3], v[6:7], v[16:17]
	s_waitcnt vmcnt(4)
	v_fma_f64 v[6:7], v[8:9], v[18:19], -v[14:15]
	v_add_f64 v[4:5], v[4:5], 0
	v_fmac_f64_e32 v[24:25], v[10:11], v[18:19]
	v_add_f64 v[2:3], v[2:3], 0
	v_add_f64 v[4:5], v[4:5], v[6:7]
	v_add_f64 v[2:3], v[2:3], v[24:25]
	s_waitcnt vmcnt(2)
	v_add_f64 v[4:5], v[20:21], -v[4:5]
	s_waitcnt vmcnt(0)
	v_add_f64 v[2:3], v[22:23], -v[2:3]
	buffer_store_dword v4, off, s[0:3], 0 offset:512
	buffer_store_dword v5, off, s[0:3], 0 offset:516
	;; [unrolled: 1-line block ×4, first 2 shown]
	s_and_saveexec_b64 s[4:5], vcc
	s_cbranch_execz .LBB97_157
; %bb.156:
	v_accvgpr_read_b32 v5, a64
	buffer_load_dword v2, v5, s[0:3], 0 offen
	buffer_load_dword v3, v5, s[0:3], 0 offen offset:4
	buffer_load_dword v4, v5, s[0:3], 0 offen offset:8
	s_nop 0
	buffer_load_dword v5, v5, s[0:3], 0 offen offset:12
	v_mov_b32_e32 v6, 0
	buffer_store_dword v6, off, s[0:3], 0 offset:496
	buffer_store_dword v6, off, s[0:3], 0 offset:500
	;; [unrolled: 1-line block ×4, first 2 shown]
	s_waitcnt vmcnt(4)
	ds_write_b128 v1, v[2:5]
.LBB97_157:
	s_or_b64 exec, exec, s[4:5]
	s_waitcnt lgkmcnt(0)
	; wave barrier
	s_waitcnt lgkmcnt(0)
	buffer_load_dword v16, off, s[0:3], 0 offset:520
	buffer_load_dword v17, off, s[0:3], 0 offset:524
	;; [unrolled: 1-line block ×16, first 2 shown]
	v_mov_b32_e32 v2, 0
	ds_read_b128 v[4:7], v2 offset:1040
	ds_read_b128 v[8:11], v2 offset:1056
	;; [unrolled: 1-line block ×3, first 2 shown]
	v_cmp_lt_u32_e32 vcc, 29, v0
	s_waitcnt vmcnt(14) lgkmcnt(2)
	v_mul_f64 v[32:33], v[4:5], v[16:17]
	v_mul_f64 v[16:17], v[6:7], v[16:17]
	s_waitcnt vmcnt(12) lgkmcnt(1)
	v_mul_f64 v[34:35], v[8:9], v[18:19]
	v_mul_f64 v[18:19], v[10:11], v[18:19]
	;; [unrolled: 3-line block ×3, first 2 shown]
	s_waitcnt vmcnt(8)
	v_fma_f64 v[4:5], v[4:5], v[22:23], -v[16:17]
	v_fmac_f64_e32 v[32:33], v[6:7], v[22:23]
	s_waitcnt vmcnt(6)
	v_fma_f64 v[6:7], v[8:9], v[24:25], -v[18:19]
	v_add_f64 v[4:5], v[4:5], 0
	v_fmac_f64_e32 v[34:35], v[10:11], v[24:25]
	s_waitcnt vmcnt(4)
	v_fma_f64 v[8:9], v[12:13], v[26:27], -v[20:21]
	v_add_f64 v[10:11], v[32:33], 0
	v_add_f64 v[4:5], v[4:5], v[6:7]
	v_fmac_f64_e32 v[36:37], v[14:15], v[26:27]
	v_add_f64 v[10:11], v[10:11], v[34:35]
	v_add_f64 v[4:5], v[4:5], v[8:9]
	;; [unrolled: 1-line block ×3, first 2 shown]
	s_waitcnt vmcnt(2)
	v_add_f64 v[4:5], v[28:29], -v[4:5]
	s_waitcnt vmcnt(0)
	v_add_f64 v[6:7], v[30:31], -v[6:7]
	buffer_store_dword v4, off, s[0:3], 0 offset:496
	buffer_store_dword v5, off, s[0:3], 0 offset:500
	;; [unrolled: 1-line block ×4, first 2 shown]
	s_and_saveexec_b64 s[4:5], vcc
	s_cbranch_execz .LBB97_159
; %bb.158:
	v_accvgpr_read_b32 v3, a65
	buffer_load_dword v4, v3, s[0:3], 0 offen
	buffer_load_dword v5, v3, s[0:3], 0 offen offset:4
	buffer_load_dword v6, v3, s[0:3], 0 offen offset:8
	buffer_load_dword v7, v3, s[0:3], 0 offen offset:12
	s_nop 0
	buffer_store_dword v2, off, s[0:3], 0 offset:480
	buffer_store_dword v2, off, s[0:3], 0 offset:484
	;; [unrolled: 1-line block ×4, first 2 shown]
	s_waitcnt vmcnt(4)
	ds_write_b128 v1, v[4:7]
.LBB97_159:
	s_or_b64 exec, exec, s[4:5]
	s_waitcnt lgkmcnt(0)
	; wave barrier
	s_waitcnt lgkmcnt(0)
	buffer_load_dword v20, off, s[0:3], 0 offset:504
	buffer_load_dword v21, off, s[0:3], 0 offset:508
	;; [unrolled: 1-line block ×20, first 2 shown]
	ds_read_b128 v[4:7], v2 offset:1024
	ds_read_b128 v[8:11], v2 offset:1040
	;; [unrolled: 1-line block ×4, first 2 shown]
	v_cmp_lt_u32_e32 vcc, 28, v0
	s_waitcnt vmcnt(18) lgkmcnt(3)
	v_mul_f64 v[2:3], v[4:5], v[20:21]
	v_mul_f64 v[20:21], v[6:7], v[20:21]
	s_waitcnt vmcnt(16) lgkmcnt(2)
	v_mul_f64 v[40:41], v[8:9], v[22:23]
	v_mul_f64 v[22:23], v[10:11], v[22:23]
	s_waitcnt vmcnt(14) lgkmcnt(1)
	v_mul_f64 v[42:43], v[12:13], v[24:25]
	v_mul_f64 v[24:25], v[14:15], v[24:25]
	s_waitcnt vmcnt(12) lgkmcnt(0)
	v_mul_f64 v[44:45], v[16:17], v[26:27]
	v_mul_f64 v[26:27], v[18:19], v[26:27]
	s_waitcnt vmcnt(10)
	v_fma_f64 v[4:5], v[4:5], v[28:29], -v[20:21]
	v_fmac_f64_e32 v[2:3], v[6:7], v[28:29]
	s_waitcnt vmcnt(8)
	v_fma_f64 v[6:7], v[8:9], v[30:31], -v[22:23]
	v_add_f64 v[4:5], v[4:5], 0
	v_fmac_f64_e32 v[40:41], v[10:11], v[30:31]
	s_waitcnt vmcnt(6)
	v_fma_f64 v[8:9], v[12:13], v[32:33], -v[24:25]
	v_add_f64 v[2:3], v[2:3], 0
	v_add_f64 v[4:5], v[4:5], v[6:7]
	v_fmac_f64_e32 v[42:43], v[14:15], v[32:33]
	s_waitcnt vmcnt(4)
	v_fma_f64 v[10:11], v[16:17], v[34:35], -v[26:27]
	v_add_f64 v[2:3], v[2:3], v[40:41]
	v_add_f64 v[4:5], v[4:5], v[8:9]
	v_fmac_f64_e32 v[44:45], v[18:19], v[34:35]
	v_add_f64 v[2:3], v[2:3], v[42:43]
	v_add_f64 v[4:5], v[4:5], v[10:11]
	;; [unrolled: 1-line block ×3, first 2 shown]
	s_waitcnt vmcnt(2)
	v_add_f64 v[4:5], v[36:37], -v[4:5]
	s_waitcnt vmcnt(0)
	v_add_f64 v[2:3], v[38:39], -v[2:3]
	buffer_store_dword v4, off, s[0:3], 0 offset:480
	buffer_store_dword v5, off, s[0:3], 0 offset:484
	;; [unrolled: 1-line block ×4, first 2 shown]
	s_and_saveexec_b64 s[4:5], vcc
	s_cbranch_execz .LBB97_161
; %bb.160:
	v_accvgpr_read_b32 v5, a66
	buffer_load_dword v2, v5, s[0:3], 0 offen
	buffer_load_dword v3, v5, s[0:3], 0 offen offset:4
	buffer_load_dword v4, v5, s[0:3], 0 offen offset:8
	s_nop 0
	buffer_load_dword v5, v5, s[0:3], 0 offen offset:12
	v_mov_b32_e32 v6, 0
	buffer_store_dword v6, off, s[0:3], 0 offset:464
	buffer_store_dword v6, off, s[0:3], 0 offset:468
	;; [unrolled: 1-line block ×4, first 2 shown]
	s_waitcnt vmcnt(4)
	ds_write_b128 v1, v[2:5]
.LBB97_161:
	s_or_b64 exec, exec, s[4:5]
	s_waitcnt lgkmcnt(0)
	; wave barrier
	s_waitcnt lgkmcnt(0)
	buffer_load_dword v24, off, s[0:3], 0 offset:488
	buffer_load_dword v25, off, s[0:3], 0 offset:492
	;; [unrolled: 1-line block ×24, first 2 shown]
	v_mov_b32_e32 v2, 0
	ds_read_b128 v[4:7], v2 offset:1008
	ds_read_b128 v[8:11], v2 offset:1024
	;; [unrolled: 1-line block ×5, first 2 shown]
	v_cmp_lt_u32_e32 vcc, 27, v0
	s_waitcnt vmcnt(22) lgkmcnt(4)
	v_mul_f64 v[48:49], v[4:5], v[24:25]
	v_mul_f64 v[24:25], v[6:7], v[24:25]
	s_waitcnt vmcnt(20) lgkmcnt(3)
	v_mul_f64 v[50:51], v[8:9], v[26:27]
	v_mul_f64 v[26:27], v[10:11], v[26:27]
	s_waitcnt vmcnt(18) lgkmcnt(2)
	v_mul_f64 v[52:53], v[12:13], v[28:29]
	v_mul_f64 v[28:29], v[14:15], v[28:29]
	s_waitcnt vmcnt(14) lgkmcnt(1)
	v_mul_f64 v[54:55], v[16:17], v[34:35]
	v_mul_f64 v[34:35], v[18:19], v[34:35]
	s_waitcnt vmcnt(13) lgkmcnt(0)
	v_mul_f64 v[56:57], v[20:21], v[30:31]
	s_waitcnt vmcnt(11)
	v_fma_f64 v[4:5], v[4:5], v[36:37], -v[24:25]
	v_fmac_f64_e32 v[48:49], v[6:7], v[36:37]
	s_waitcnt vmcnt(9)
	v_fma_f64 v[6:7], v[8:9], v[38:39], -v[26:27]
	v_add_f64 v[4:5], v[4:5], 0
	v_fmac_f64_e32 v[50:51], v[10:11], v[38:39]
	s_waitcnt vmcnt(7)
	v_fmac_f64_e32 v[52:53], v[14:15], v[40:41]
	v_fma_f64 v[8:9], v[12:13], v[40:41], -v[28:29]
	v_add_f64 v[14:15], v[48:49], 0
	v_add_f64 v[4:5], v[4:5], v[6:7]
	v_mul_f64 v[30:31], v[22:23], v[30:31]
	s_waitcnt vmcnt(5)
	v_fma_f64 v[10:11], v[16:17], v[42:43], -v[34:35]
	v_add_f64 v[14:15], v[14:15], v[50:51]
	v_add_f64 v[4:5], v[4:5], v[8:9]
	v_fmac_f64_e32 v[54:55], v[18:19], v[42:43]
	s_waitcnt vmcnt(4)
	v_fma_f64 v[12:13], v[20:21], v[32:33], -v[30:31]
	v_add_f64 v[6:7], v[14:15], v[52:53]
	v_add_f64 v[4:5], v[4:5], v[10:11]
	v_fmac_f64_e32 v[56:57], v[22:23], v[32:33]
	v_add_f64 v[6:7], v[6:7], v[54:55]
	v_add_f64 v[4:5], v[4:5], v[12:13]
	;; [unrolled: 1-line block ×3, first 2 shown]
	s_waitcnt vmcnt(2)
	v_add_f64 v[4:5], v[44:45], -v[4:5]
	s_waitcnt vmcnt(0)
	v_add_f64 v[6:7], v[46:47], -v[6:7]
	buffer_store_dword v5, off, s[0:3], 0 offset:468
	buffer_store_dword v4, off, s[0:3], 0 offset:464
	buffer_store_dword v7, off, s[0:3], 0 offset:476
	buffer_store_dword v6, off, s[0:3], 0 offset:472
	s_and_saveexec_b64 s[4:5], vcc
	s_cbranch_execz .LBB97_163
; %bb.162:
	v_accvgpr_read_b32 v3, a67
	buffer_load_dword v4, v3, s[0:3], 0 offen
	buffer_load_dword v5, v3, s[0:3], 0 offen offset:4
	buffer_load_dword v6, v3, s[0:3], 0 offen offset:8
	;; [unrolled: 1-line block ×3, first 2 shown]
	s_nop 0
	buffer_store_dword v2, off, s[0:3], 0 offset:448
	buffer_store_dword v2, off, s[0:3], 0 offset:452
	;; [unrolled: 1-line block ×4, first 2 shown]
	s_waitcnt vmcnt(4)
	ds_write_b128 v1, v[4:7]
.LBB97_163:
	s_or_b64 exec, exec, s[4:5]
	s_waitcnt lgkmcnt(0)
	; wave barrier
	s_waitcnt lgkmcnt(0)
	ds_read_b128 v[4:7], v2 offset:992
	ds_read_b128 v[8:11], v2 offset:1008
	;; [unrolled: 1-line block ×4, first 2 shown]
	buffer_load_dword v28, off, s[0:3], 0 offset:448
	buffer_load_dword v29, off, s[0:3], 0 offset:452
	;; [unrolled: 1-line block ×20, first 2 shown]
	v_cmp_lt_u32_e32 vcc, 26, v0
	s_waitcnt vmcnt(12) lgkmcnt(3)
	v_mul_f64 v[20:21], v[4:5], v[34:35]
	v_fmac_f64_e32 v[20:21], v[6:7], v[32:33]
	v_add_f64 v[20:21], v[20:21], 0
	v_mul_f64 v[6:7], v[6:7], v[34:35]
	s_waitcnt vmcnt(8) lgkmcnt(2)
	v_mul_f64 v[22:23], v[8:9], v[38:39]
	v_fmac_f64_e32 v[22:23], v[10:11], v[36:37]
	v_add_f64 v[20:21], v[20:21], v[22:23]
	v_fma_f64 v[4:5], v[4:5], v[32:33], -v[6:7]
	s_waitcnt vmcnt(4) lgkmcnt(1)
	v_mul_f64 v[22:23], v[12:13], v[42:43]
	v_fmac_f64_e32 v[22:23], v[14:15], v[40:41]
	v_add_f64 v[20:21], v[20:21], v[22:23]
	s_waitcnt vmcnt(0) lgkmcnt(0)
	v_mul_f64 v[22:23], v[16:17], v[46:47]
	v_fmac_f64_e32 v[22:23], v[18:19], v[44:45]
	v_add_f64 v[24:25], v[20:21], v[22:23]
	ds_read_b128 v[20:23], v2 offset:1056
	buffer_load_dword v49, off, s[0:3], 0 offset:532
	buffer_load_dword v48, off, s[0:3], 0 offset:528
	;; [unrolled: 1-line block ×4, first 2 shown]
	v_mul_f64 v[6:7], v[10:11], v[38:39]
	v_add_f64 v[4:5], v[4:5], 0
	v_fma_f64 v[6:7], v[8:9], v[36:37], -v[6:7]
	v_add_f64 v[4:5], v[4:5], v[6:7]
	v_mul_f64 v[6:7], v[14:15], v[42:43]
	v_fma_f64 v[6:7], v[12:13], v[40:41], -v[6:7]
	v_add_f64 v[4:5], v[4:5], v[6:7]
	v_mul_f64 v[6:7], v[18:19], v[46:47]
	v_fma_f64 v[6:7], v[16:17], v[44:45], -v[6:7]
	v_add_f64 v[4:5], v[4:5], v[6:7]
	s_waitcnt vmcnt(0) lgkmcnt(0)
	v_mul_f64 v[26:27], v[20:21], v[50:51]
	v_fmac_f64_e32 v[26:27], v[22:23], v[48:49]
	v_add_f64 v[52:53], v[24:25], v[26:27]
	ds_read_b128 v[24:27], v2 offset:1072
	buffer_load_dword v3, off, s[0:3], 0 offset:548
	buffer_load_dword v2, off, s[0:3], 0 offset:544
	;; [unrolled: 1-line block ×4, first 2 shown]
	v_mul_f64 v[6:7], v[22:23], v[50:51]
	v_fma_f64 v[6:7], v[20:21], v[48:49], -v[6:7]
	v_add_f64 v[4:5], v[4:5], v[6:7]
	s_waitcnt vmcnt(0) lgkmcnt(0)
	v_mul_f64 v[56:57], v[24:25], v[54:55]
	v_mul_f64 v[6:7], v[26:27], v[54:55]
	v_fmac_f64_e32 v[56:57], v[26:27], v[2:3]
	v_fma_f64 v[2:3], v[24:25], v[2:3], -v[6:7]
	v_add_f64 v[2:3], v[4:5], v[2:3]
	v_add_f64 v[52:53], v[52:53], v[56:57]
	v_add_f64 v[2:3], v[28:29], -v[2:3]
	v_add_f64 v[4:5], v[30:31], -v[52:53]
	buffer_store_dword v3, off, s[0:3], 0 offset:452
	buffer_store_dword v2, off, s[0:3], 0 offset:448
	;; [unrolled: 1-line block ×4, first 2 shown]
	s_and_saveexec_b64 s[4:5], vcc
	s_cbranch_execz .LBB97_165
; %bb.164:
	v_accvgpr_read_b32 v5, a68
	buffer_load_dword v2, v5, s[0:3], 0 offen
	buffer_load_dword v3, v5, s[0:3], 0 offen offset:4
	buffer_load_dword v4, v5, s[0:3], 0 offen offset:8
	s_nop 0
	buffer_load_dword v5, v5, s[0:3], 0 offen offset:12
	v_mov_b32_e32 v6, 0
	buffer_store_dword v6, off, s[0:3], 0 offset:432
	buffer_store_dword v6, off, s[0:3], 0 offset:436
	;; [unrolled: 1-line block ×4, first 2 shown]
	s_waitcnt vmcnt(4)
	ds_write_b128 v1, v[2:5]
.LBB97_165:
	s_or_b64 exec, exec, s[4:5]
	s_waitcnt lgkmcnt(0)
	; wave barrier
	s_waitcnt lgkmcnt(0)
	buffer_load_dword v32, off, s[0:3], 0 offset:456
	buffer_load_dword v33, off, s[0:3], 0 offset:460
	;; [unrolled: 1-line block ×32, first 2 shown]
	v_mov_b32_e32 v2, 0
	ds_read_b128 v[4:7], v2 offset:976
	ds_read_b128 v[8:11], v2 offset:992
	;; [unrolled: 1-line block ×7, first 2 shown]
	v_cmp_lt_u32_e32 vcc, 25, v0
	s_waitcnt vmcnt(30) lgkmcnt(6)
	v_mul_f64 v[64:65], v[4:5], v[32:33]
	v_mul_f64 v[32:33], v[6:7], v[32:33]
	s_waitcnt vmcnt(28) lgkmcnt(5)
	v_mul_f64 v[66:67], v[8:9], v[34:35]
	v_mul_f64 v[34:35], v[10:11], v[34:35]
	;; [unrolled: 3-line block ×4, first 2 shown]
	s_waitcnt vmcnt(21)
	v_mul_f64 v[70:71], v[16:17], v[42:43]
	v_mul_f64 v[42:43], v[18:19], v[42:43]
	s_waitcnt vmcnt(17) lgkmcnt(1)
	v_mul_f64 v[74:75], v[24:25], v[48:49]
	v_mul_f64 v[48:49], v[26:27], v[48:49]
	s_waitcnt vmcnt(16) lgkmcnt(0)
	v_mul_f64 v[76:77], v[28:29], v[44:45]
	v_mul_f64 v[44:45], v[30:31], v[44:45]
	s_waitcnt vmcnt(13)
	v_fma_f64 v[4:5], v[4:5], v[50:51], -v[32:33]
	v_fmac_f64_e32 v[64:65], v[6:7], v[50:51]
	s_waitcnt vmcnt(11)
	v_fma_f64 v[6:7], v[8:9], v[52:53], -v[34:35]
	v_add_f64 v[4:5], v[4:5], 0
	v_fmac_f64_e32 v[66:67], v[10:11], v[52:53]
	s_waitcnt vmcnt(9)
	v_fma_f64 v[8:9], v[12:13], v[54:55], -v[36:37]
	s_waitcnt vmcnt(7)
	v_fmac_f64_e32 v[70:71], v[18:19], v[56:57]
	v_add_f64 v[18:19], v[64:65], 0
	v_add_f64 v[4:5], v[4:5], v[6:7]
	v_fmac_f64_e32 v[68:69], v[14:15], v[54:55]
	v_fma_f64 v[10:11], v[16:17], v[56:57], -v[42:43]
	v_add_f64 v[18:19], v[18:19], v[66:67]
	v_add_f64 v[4:5], v[4:5], v[8:9]
	v_fma_f64 v[12:13], v[20:21], v[40:41], -v[38:39]
	v_add_f64 v[6:7], v[18:19], v[68:69]
	v_add_f64 v[4:5], v[4:5], v[10:11]
	v_fmac_f64_e32 v[72:73], v[22:23], v[40:41]
	s_waitcnt vmcnt(5)
	v_fma_f64 v[14:15], v[24:25], v[58:59], -v[48:49]
	v_add_f64 v[6:7], v[6:7], v[70:71]
	v_add_f64 v[4:5], v[4:5], v[12:13]
	v_fmac_f64_e32 v[74:75], v[26:27], v[58:59]
	s_waitcnt vmcnt(4)
	v_fma_f64 v[16:17], v[28:29], v[46:47], -v[44:45]
	v_add_f64 v[6:7], v[6:7], v[72:73]
	v_add_f64 v[4:5], v[4:5], v[14:15]
	v_fmac_f64_e32 v[76:77], v[30:31], v[46:47]
	v_add_f64 v[6:7], v[6:7], v[74:75]
	v_add_f64 v[4:5], v[4:5], v[16:17]
	;; [unrolled: 1-line block ×3, first 2 shown]
	s_waitcnt vmcnt(2)
	v_add_f64 v[4:5], v[60:61], -v[4:5]
	s_waitcnt vmcnt(0)
	v_add_f64 v[6:7], v[62:63], -v[6:7]
	buffer_store_dword v5, off, s[0:3], 0 offset:436
	buffer_store_dword v4, off, s[0:3], 0 offset:432
	;; [unrolled: 1-line block ×4, first 2 shown]
	s_and_saveexec_b64 s[4:5], vcc
	s_cbranch_execz .LBB97_167
; %bb.166:
	v_accvgpr_read_b32 v3, a69
	buffer_load_dword v4, v3, s[0:3], 0 offen
	buffer_load_dword v5, v3, s[0:3], 0 offen offset:4
	buffer_load_dword v6, v3, s[0:3], 0 offen offset:8
	;; [unrolled: 1-line block ×3, first 2 shown]
	s_nop 0
	buffer_store_dword v2, off, s[0:3], 0 offset:416
	buffer_store_dword v2, off, s[0:3], 0 offset:420
	;; [unrolled: 1-line block ×4, first 2 shown]
	s_waitcnt vmcnt(4)
	ds_write_b128 v1, v[4:7]
.LBB97_167:
	s_or_b64 exec, exec, s[4:5]
	s_waitcnt lgkmcnt(0)
	; wave barrier
	s_waitcnt lgkmcnt(0)
	buffer_load_dword v36, off, s[0:3], 0 offset:440
	buffer_load_dword v37, off, s[0:3], 0 offset:444
	;; [unrolled: 1-line block ×36, first 2 shown]
	ds_read_b128 v[4:7], v2 offset:960
	ds_read_b128 v[8:11], v2 offset:976
	;; [unrolled: 1-line block ×8, first 2 shown]
	v_cmp_lt_u32_e32 vcc, 24, v0
	s_waitcnt vmcnt(34) lgkmcnt(7)
	v_mul_f64 v[2:3], v[4:5], v[36:37]
	v_mul_f64 v[36:37], v[6:7], v[36:37]
	s_waitcnt vmcnt(32) lgkmcnt(6)
	v_mul_f64 v[72:73], v[8:9], v[38:39]
	v_mul_f64 v[38:39], v[10:11], v[38:39]
	;; [unrolled: 3-line block ×4, first 2 shown]
	s_waitcnt vmcnt(25)
	v_mul_f64 v[76:77], v[16:17], v[46:47]
	v_mul_f64 v[46:47], v[18:19], v[46:47]
	s_waitcnt vmcnt(23) lgkmcnt(1)
	v_mul_f64 v[82:83], v[28:29], v[48:49]
	v_mul_f64 v[48:49], v[30:31], v[48:49]
	s_waitcnt vmcnt(20)
	v_mul_f64 v[80:81], v[24:25], v[52:53]
	v_mul_f64 v[52:53], v[26:27], v[52:53]
	s_waitcnt vmcnt(18) lgkmcnt(0)
	v_mul_f64 v[84:85], v[32:33], v[54:55]
	s_waitcnt vmcnt(17)
	v_fmac_f64_e32 v[78:79], v[22:23], v[44:45]
	s_waitcnt vmcnt(16)
	v_fmac_f64_e32 v[82:83], v[30:31], v[50:51]
	s_waitcnt vmcnt(14)
	v_fma_f64 v[4:5], v[4:5], v[56:57], -v[36:37]
	v_fmac_f64_e32 v[2:3], v[6:7], v[56:57]
	s_waitcnt vmcnt(12)
	v_fma_f64 v[6:7], v[8:9], v[58:59], -v[38:39]
	v_add_f64 v[4:5], v[4:5], 0
	v_fmac_f64_e32 v[72:73], v[10:11], v[58:59]
	s_waitcnt vmcnt(10)
	v_fma_f64 v[8:9], v[12:13], v[60:61], -v[40:41]
	v_add_f64 v[2:3], v[2:3], 0
	v_add_f64 v[4:5], v[4:5], v[6:7]
	v_fmac_f64_e32 v[74:75], v[14:15], v[60:61]
	s_waitcnt vmcnt(8)
	v_fma_f64 v[10:11], v[16:17], v[62:63], -v[46:47]
	v_add_f64 v[2:3], v[2:3], v[72:73]
	v_add_f64 v[4:5], v[4:5], v[8:9]
	v_fmac_f64_e32 v[76:77], v[18:19], v[62:63]
	v_fma_f64 v[12:13], v[20:21], v[44:45], -v[42:43]
	v_add_f64 v[2:3], v[2:3], v[74:75]
	v_add_f64 v[4:5], v[4:5], v[10:11]
	s_waitcnt vmcnt(6)
	v_fma_f64 v[14:15], v[24:25], v[64:65], -v[52:53]
	v_add_f64 v[2:3], v[2:3], v[76:77]
	v_add_f64 v[4:5], v[4:5], v[12:13]
	v_fmac_f64_e32 v[80:81], v[26:27], v[64:65]
	v_fma_f64 v[16:17], v[28:29], v[50:51], -v[48:49]
	v_add_f64 v[2:3], v[2:3], v[78:79]
	v_add_f64 v[4:5], v[4:5], v[14:15]
	v_mul_f64 v[6:7], v[34:35], v[54:55]
	v_add_f64 v[2:3], v[2:3], v[80:81]
	v_add_f64 v[4:5], v[4:5], v[16:17]
	s_waitcnt vmcnt(4)
	v_fma_f64 v[6:7], v[32:33], v[66:67], -v[6:7]
	v_fmac_f64_e32 v[84:85], v[34:35], v[66:67]
	v_add_f64 v[2:3], v[2:3], v[82:83]
	v_add_f64 v[4:5], v[4:5], v[6:7]
	;; [unrolled: 1-line block ×3, first 2 shown]
	s_waitcnt vmcnt(2)
	v_add_f64 v[4:5], v[68:69], -v[4:5]
	s_waitcnt vmcnt(0)
	v_add_f64 v[2:3], v[70:71], -v[2:3]
	buffer_store_dword v5, off, s[0:3], 0 offset:420
	buffer_store_dword v4, off, s[0:3], 0 offset:416
	;; [unrolled: 1-line block ×4, first 2 shown]
	s_and_saveexec_b64 s[4:5], vcc
	s_cbranch_execz .LBB97_169
; %bb.168:
	v_accvgpr_read_b32 v5, a70
	buffer_load_dword v2, v5, s[0:3], 0 offen
	buffer_load_dword v3, v5, s[0:3], 0 offen offset:4
	buffer_load_dword v4, v5, s[0:3], 0 offen offset:8
	s_nop 0
	buffer_load_dword v5, v5, s[0:3], 0 offen offset:12
	v_mov_b32_e32 v6, 0
	buffer_store_dword v6, off, s[0:3], 0 offset:400
	buffer_store_dword v6, off, s[0:3], 0 offset:404
	;; [unrolled: 1-line block ×4, first 2 shown]
	s_waitcnt vmcnt(4)
	ds_write_b128 v1, v[2:5]
.LBB97_169:
	s_or_b64 exec, exec, s[4:5]
	s_waitcnt lgkmcnt(0)
	; wave barrier
	s_waitcnt lgkmcnt(0)
	buffer_load_dword v40, off, s[0:3], 0 offset:424
	buffer_load_dword v41, off, s[0:3], 0 offset:428
	;; [unrolled: 1-line block ×40, first 2 shown]
	v_mov_b32_e32 v6, 0
	ds_read_b128 v[2:5], v6 offset:944
	ds_read_b128 v[8:11], v6 offset:960
	ds_read_b128 v[12:15], v6 offset:976
	ds_read_b128 v[16:19], v6 offset:992
	ds_read_b128 v[20:23], v6 offset:1008
	ds_read_b128 v[24:27], v6 offset:1024
	ds_read_b128 v[28:31], v6 offset:1040
	ds_read_b128 v[32:35], v6 offset:1056
	ds_read_b128 v[36:39], v6 offset:1072
	v_cmp_lt_u32_e32 vcc, 23, v0
	s_waitcnt vmcnt(38) lgkmcnt(8)
	v_mul_f64 v[80:81], v[2:3], v[40:41]
	v_mul_f64 v[40:41], v[4:5], v[40:41]
	s_waitcnt vmcnt(36) lgkmcnt(7)
	v_mul_f64 v[82:83], v[8:9], v[42:43]
	v_mul_f64 v[42:43], v[10:11], v[42:43]
	;; [unrolled: 3-line block ×3, first 2 shown]
	s_waitcnt vmcnt(32) lgkmcnt(4)
	v_mul_f64 v[88:89], v[20:21], v[46:47]
	s_waitcnt vmcnt(30)
	v_fmac_f64_e32 v[88:89], v[22:23], v[48:49]
	s_waitcnt vmcnt(28)
	v_mul_f64 v[86:87], v[16:17], v[50:51]
	v_mul_f64 v[50:51], v[18:19], v[50:51]
	s_waitcnt vmcnt(26) lgkmcnt(2)
	v_mul_f64 v[92:93], v[28:29], v[52:53]
	s_waitcnt vmcnt(24)
	v_fmac_f64_e32 v[92:93], v[30:31], v[54:55]
	s_waitcnt vmcnt(22)
	v_mul_f64 v[90:91], v[24:25], v[56:57]
	s_waitcnt vmcnt(18) lgkmcnt(1)
	v_mul_f64 v[94:95], v[32:33], v[62:63]
	s_waitcnt vmcnt(17) lgkmcnt(0)
	v_mul_f64 v[96:97], v[36:37], v[58:59]
	s_waitcnt vmcnt(15)
	v_fma_f64 v[2:3], v[2:3], v[64:65], -v[40:41]
	v_fmac_f64_e32 v[80:81], v[4:5], v[64:65]
	s_waitcnt vmcnt(13)
	v_fma_f64 v[4:5], v[8:9], v[66:67], -v[42:43]
	v_add_f64 v[2:3], v[2:3], 0
	s_waitcnt vmcnt(11)
	v_fma_f64 v[8:9], v[12:13], v[68:69], -v[44:45]
	v_add_f64 v[2:3], v[2:3], v[4:5]
	v_fmac_f64_e32 v[82:83], v[10:11], v[66:67]
	s_waitcnt vmcnt(9)
	v_fma_f64 v[10:11], v[16:17], v[70:71], -v[50:51]
	v_add_f64 v[2:3], v[2:3], v[8:9]
	v_mul_f64 v[8:9], v[22:23], v[46:47]
	v_add_f64 v[2:3], v[2:3], v[10:11]
	v_fma_f64 v[8:9], v[20:21], v[48:49], -v[8:9]
	v_add_f64 v[2:3], v[2:3], v[8:9]
	v_mul_f64 v[8:9], v[26:27], v[56:57]
	v_add_f64 v[12:13], v[80:81], 0
	s_waitcnt vmcnt(7)
	v_fma_f64 v[8:9], v[24:25], v[72:73], -v[8:9]
	v_fmac_f64_e32 v[84:85], v[14:15], v[68:69]
	v_add_f64 v[12:13], v[12:13], v[82:83]
	v_add_f64 v[2:3], v[2:3], v[8:9]
	v_mul_f64 v[8:9], v[30:31], v[52:53]
	v_fmac_f64_e32 v[86:87], v[18:19], v[70:71]
	v_add_f64 v[4:5], v[12:13], v[84:85]
	v_fma_f64 v[8:9], v[28:29], v[54:55], -v[8:9]
	v_add_f64 v[4:5], v[4:5], v[86:87]
	v_add_f64 v[2:3], v[2:3], v[8:9]
	v_mul_f64 v[8:9], v[34:35], v[62:63]
	v_fmac_f64_e32 v[90:91], v[26:27], v[72:73]
	v_add_f64 v[4:5], v[4:5], v[88:89]
	s_waitcnt vmcnt(5)
	v_fma_f64 v[8:9], v[32:33], v[74:75], -v[8:9]
	v_add_f64 v[4:5], v[4:5], v[90:91]
	v_add_f64 v[2:3], v[2:3], v[8:9]
	v_mul_f64 v[8:9], v[38:39], v[58:59]
	v_fmac_f64_e32 v[94:95], v[34:35], v[74:75]
	v_add_f64 v[4:5], v[4:5], v[92:93]
	s_waitcnt vmcnt(4)
	v_fma_f64 v[8:9], v[36:37], v[60:61], -v[8:9]
	v_fmac_f64_e32 v[96:97], v[38:39], v[60:61]
	v_add_f64 v[4:5], v[4:5], v[94:95]
	v_add_f64 v[2:3], v[2:3], v[8:9]
	;; [unrolled: 1-line block ×3, first 2 shown]
	s_waitcnt vmcnt(2)
	v_add_f64 v[2:3], v[76:77], -v[2:3]
	s_waitcnt vmcnt(0)
	v_add_f64 v[4:5], v[78:79], -v[4:5]
	buffer_store_dword v3, off, s[0:3], 0 offset:404
	buffer_store_dword v2, off, s[0:3], 0 offset:400
	;; [unrolled: 1-line block ×4, first 2 shown]
	s_and_saveexec_b64 s[4:5], vcc
	s_cbranch_execz .LBB97_171
; %bb.170:
	v_accvgpr_read_b32 v5, a71
	buffer_load_dword v2, v5, s[0:3], 0 offen
	buffer_load_dword v3, v5, s[0:3], 0 offen offset:4
	buffer_load_dword v4, v5, s[0:3], 0 offen offset:8
	s_nop 0
	buffer_load_dword v5, v5, s[0:3], 0 offen offset:12
	s_nop 0
	buffer_store_dword v6, off, s[0:3], 0 offset:384
	buffer_store_dword v6, off, s[0:3], 0 offset:388
	;; [unrolled: 1-line block ×4, first 2 shown]
	s_waitcnt vmcnt(4)
	ds_write_b128 v1, v[2:5]
.LBB97_171:
	s_or_b64 exec, exec, s[4:5]
	s_waitcnt lgkmcnt(0)
	; wave barrier
	s_waitcnt lgkmcnt(0)
	buffer_load_dword v4, off, s[0:3], 0 offset:400
	buffer_load_dword v5, off, s[0:3], 0 offset:404
	;; [unrolled: 1-line block ×44, first 2 shown]
	ds_read_b128 v[8:11], v6 offset:928
	ds_read_b128 v[12:15], v6 offset:944
	;; [unrolled: 1-line block ×10, first 2 shown]
	v_cmp_lt_u32_e32 vcc, 22, v0
	s_waitcnt vmcnt(40) lgkmcnt(9)
	v_mul_f64 v[6:7], v[8:9], v[48:49]
	v_mul_f64 v[48:49], v[10:11], v[48:49]
	s_waitcnt vmcnt(38) lgkmcnt(8)
	v_mul_f64 v[88:89], v[12:13], v[50:51]
	v_mul_f64 v[50:51], v[14:15], v[50:51]
	v_fmac_f64_e32 v[6:7], v[10:11], v[4:5]
	v_fma_f64 v[4:5], v[8:9], v[4:5], -v[48:49]
	s_waitcnt vmcnt(36) lgkmcnt(7)
	v_mul_f64 v[90:91], v[16:17], v[2:3]
	v_add_f64 v[4:5], v[4:5], 0
	v_mul_f64 v[2:3], v[18:19], v[2:3]
	v_add_f64 v[6:7], v[6:7], 0
	s_waitcnt vmcnt(30) lgkmcnt(6)
	v_mul_f64 v[92:93], v[20:21], v[56:57]
	s_waitcnt lgkmcnt(5)
	v_mul_f64 v[94:95], v[24:25], v[52:53]
	v_fmac_f64_e32 v[94:95], v[26:27], v[54:55]
	s_waitcnt vmcnt(28) lgkmcnt(3)
	v_mul_f64 v[98:99], v[32:33], v[58:59]
	s_waitcnt vmcnt(26)
	v_fmac_f64_e32 v[98:99], v[34:35], v[60:61]
	s_waitcnt vmcnt(24)
	v_mul_f64 v[96:97], v[28:29], v[62:63]
	s_waitcnt vmcnt(22) lgkmcnt(1)
	v_mul_f64 v[102:103], v[40:41], v[64:65]
	s_waitcnt vmcnt(20)
	v_fmac_f64_e32 v[102:103], v[42:43], v[66:67]
	s_waitcnt vmcnt(18)
	v_mul_f64 v[100:101], v[36:37], v[68:69]
	s_waitcnt vmcnt(16) lgkmcnt(0)
	v_mul_f64 v[104:105], v[44:45], v[70:71]
	s_waitcnt vmcnt(14)
	v_fma_f64 v[8:9], v[12:13], v[72:73], -v[50:51]
	v_add_f64 v[4:5], v[4:5], v[8:9]
	s_waitcnt vmcnt(12)
	v_fma_f64 v[2:3], v[16:17], v[74:75], -v[2:3]
	v_add_f64 v[2:3], v[4:5], v[2:3]
	v_mul_f64 v[4:5], v[22:23], v[56:57]
	s_waitcnt vmcnt(10)
	v_fma_f64 v[4:5], v[20:21], v[76:77], -v[4:5]
	v_add_f64 v[2:3], v[2:3], v[4:5]
	v_mul_f64 v[4:5], v[26:27], v[52:53]
	v_fma_f64 v[4:5], v[24:25], v[54:55], -v[4:5]
	v_add_f64 v[2:3], v[2:3], v[4:5]
	v_mul_f64 v[4:5], v[30:31], v[62:63]
	s_waitcnt vmcnt(8)
	v_fma_f64 v[4:5], v[28:29], v[78:79], -v[4:5]
	v_fmac_f64_e32 v[88:89], v[14:15], v[72:73]
	v_add_f64 v[2:3], v[2:3], v[4:5]
	v_mul_f64 v[4:5], v[34:35], v[58:59]
	v_fmac_f64_e32 v[90:91], v[18:19], v[74:75]
	v_add_f64 v[6:7], v[6:7], v[88:89]
	v_fma_f64 v[4:5], v[32:33], v[60:61], -v[4:5]
	v_fmac_f64_e32 v[92:93], v[22:23], v[76:77]
	v_add_f64 v[6:7], v[6:7], v[90:91]
	v_add_f64 v[2:3], v[2:3], v[4:5]
	v_mul_f64 v[4:5], v[38:39], v[68:69]
	v_add_f64 v[6:7], v[6:7], v[92:93]
	s_waitcnt vmcnt(6)
	v_fma_f64 v[4:5], v[36:37], v[80:81], -v[4:5]
	v_fmac_f64_e32 v[96:97], v[30:31], v[78:79]
	v_add_f64 v[6:7], v[6:7], v[94:95]
	v_add_f64 v[2:3], v[2:3], v[4:5]
	v_mul_f64 v[4:5], v[42:43], v[64:65]
	v_add_f64 v[6:7], v[6:7], v[96:97]
	v_fma_f64 v[4:5], v[40:41], v[66:67], -v[4:5]
	v_fmac_f64_e32 v[100:101], v[38:39], v[80:81]
	v_add_f64 v[6:7], v[6:7], v[98:99]
	v_add_f64 v[2:3], v[2:3], v[4:5]
	v_mul_f64 v[4:5], v[46:47], v[70:71]
	v_add_f64 v[6:7], v[6:7], v[100:101]
	s_waitcnt vmcnt(4)
	v_fma_f64 v[4:5], v[44:45], v[82:83], -v[4:5]
	v_fmac_f64_e32 v[104:105], v[46:47], v[82:83]
	v_add_f64 v[6:7], v[6:7], v[102:103]
	v_add_f64 v[2:3], v[2:3], v[4:5]
	v_add_f64 v[6:7], v[6:7], v[104:105]
	s_waitcnt vmcnt(2)
	v_add_f64 v[2:3], v[84:85], -v[2:3]
	s_waitcnt vmcnt(0)
	v_add_f64 v[4:5], v[86:87], -v[6:7]
	buffer_store_dword v3, off, s[0:3], 0 offset:388
	buffer_store_dword v2, off, s[0:3], 0 offset:384
	;; [unrolled: 1-line block ×4, first 2 shown]
	s_and_saveexec_b64 s[4:5], vcc
	s_cbranch_execz .LBB97_173
; %bb.172:
	v_accvgpr_read_b32 v5, a72
	buffer_load_dword v2, v5, s[0:3], 0 offen
	buffer_load_dword v3, v5, s[0:3], 0 offen offset:4
	buffer_load_dword v4, v5, s[0:3], 0 offen offset:8
	s_nop 0
	buffer_load_dword v5, v5, s[0:3], 0 offen offset:12
	v_mov_b32_e32 v6, 0
	buffer_store_dword v6, off, s[0:3], 0 offset:368
	buffer_store_dword v6, off, s[0:3], 0 offset:372
	buffer_store_dword v6, off, s[0:3], 0 offset:376
	buffer_store_dword v6, off, s[0:3], 0 offset:380
	s_waitcnt vmcnt(4)
	ds_write_b128 v1, v[2:5]
.LBB97_173:
	s_or_b64 exec, exec, s[4:5]
	s_waitcnt lgkmcnt(0)
	; wave barrier
	s_waitcnt lgkmcnt(0)
	buffer_load_dword v2, off, s[0:3], 0 offset:384
	buffer_load_dword v3, off, s[0:3], 0 offset:388
	;; [unrolled: 1-line block ×48, first 2 shown]
	v_mov_b32_e32 v12, 0
	ds_read_b128 v[14:17], v12 offset:912
	ds_read_b128 v[18:21], v12 offset:928
	;; [unrolled: 1-line block ×11, first 2 shown]
	v_cmp_lt_u32_e32 vcc, 21, v0
	s_waitcnt vmcnt(44) lgkmcnt(10)
	v_mul_f64 v[96:97], v[14:15], v[6:7]
	v_mul_f64 v[6:7], v[16:17], v[6:7]
	v_fmac_f64_e32 v[96:97], v[16:17], v[2:3]
	v_fma_f64 v[2:3], v[14:15], v[2:3], -v[6:7]
	s_waitcnt vmcnt(40) lgkmcnt(9)
	v_mul_f64 v[98:99], v[18:19], v[8:9]
	v_mul_f64 v[6:7], v[20:21], v[8:9]
	v_fmac_f64_e32 v[98:99], v[20:21], v[4:5]
	v_add_f64 v[2:3], v[2:3], 0
	v_fma_f64 v[4:5], v[18:19], v[4:5], -v[6:7]
	v_add_f64 v[2:3], v[2:3], v[4:5]
	s_waitcnt vmcnt(38) lgkmcnt(8)
	v_mul_f64 v[4:5], v[24:25], v[10:11]
	v_mul_f64 v[100:101], v[22:23], v[10:11]
	v_add_f64 v[96:97], v[96:97], 0
	s_waitcnt vmcnt(32) lgkmcnt(7)
	v_mul_f64 v[102:103], v[26:27], v[62:63]
	v_add_f64 v[96:97], v[96:97], v[98:99]
	s_waitcnt lgkmcnt(6)
	v_mul_f64 v[104:105], v[30:31], v[58:59]
	v_fmac_f64_e32 v[104:105], v[32:33], v[60:61]
	s_waitcnt vmcnt(30) lgkmcnt(4)
	v_mul_f64 v[108:109], v[38:39], v[64:65]
	s_waitcnt vmcnt(26)
	v_mul_f64 v[106:107], v[34:35], v[68:69]
	v_fmac_f64_e32 v[108:109], v[40:41], v[66:67]
	s_waitcnt vmcnt(24) lgkmcnt(2)
	v_mul_f64 v[112:113], v[46:47], v[70:71]
	s_waitcnt vmcnt(22)
	v_fmac_f64_e32 v[112:113], v[48:49], v[72:73]
	s_waitcnt vmcnt(20)
	v_mul_f64 v[110:111], v[42:43], v[74:75]
	s_waitcnt vmcnt(16) lgkmcnt(1)
	v_mul_f64 v[114:115], v[50:51], v[80:81]
	s_waitcnt vmcnt(14)
	v_fma_f64 v[4:5], v[22:23], v[82:83], -v[4:5]
	v_add_f64 v[2:3], v[2:3], v[4:5]
	v_mul_f64 v[4:5], v[28:29], v[62:63]
	s_waitcnt vmcnt(12)
	v_fma_f64 v[4:5], v[26:27], v[84:85], -v[4:5]
	v_add_f64 v[2:3], v[2:3], v[4:5]
	v_mul_f64 v[4:5], v[32:33], v[58:59]
	v_fma_f64 v[4:5], v[30:31], v[60:61], -v[4:5]
	v_add_f64 v[2:3], v[2:3], v[4:5]
	v_mul_f64 v[4:5], v[36:37], v[68:69]
	s_waitcnt vmcnt(10)
	v_fma_f64 v[4:5], v[34:35], v[86:87], -v[4:5]
	v_add_f64 v[2:3], v[2:3], v[4:5]
	v_mul_f64 v[4:5], v[40:41], v[64:65]
	v_fma_f64 v[4:5], v[38:39], v[66:67], -v[4:5]
	v_fmac_f64_e32 v[100:101], v[24:25], v[82:83]
	v_add_f64 v[2:3], v[2:3], v[4:5]
	v_mul_f64 v[4:5], v[44:45], v[74:75]
	v_fmac_f64_e32 v[102:103], v[28:29], v[84:85]
	v_add_f64 v[96:97], v[96:97], v[100:101]
	s_waitcnt vmcnt(8)
	v_fma_f64 v[4:5], v[42:43], v[88:89], -v[4:5]
	v_add_f64 v[96:97], v[96:97], v[102:103]
	v_add_f64 v[2:3], v[2:3], v[4:5]
	v_mul_f64 v[4:5], v[48:49], v[70:71]
	v_fmac_f64_e32 v[106:107], v[36:37], v[86:87]
	v_add_f64 v[96:97], v[96:97], v[104:105]
	v_fma_f64 v[4:5], v[46:47], v[72:73], -v[4:5]
	v_add_f64 v[96:97], v[96:97], v[106:107]
	v_add_f64 v[2:3], v[2:3], v[4:5]
	v_mul_f64 v[4:5], v[52:53], v[80:81]
	v_fmac_f64_e32 v[110:111], v[44:45], v[88:89]
	v_add_f64 v[96:97], v[96:97], v[108:109]
	s_waitcnt vmcnt(6)
	v_fma_f64 v[4:5], v[50:51], v[90:91], -v[4:5]
	v_add_f64 v[96:97], v[96:97], v[110:111]
	v_add_f64 v[2:3], v[2:3], v[4:5]
	s_waitcnt vmcnt(5) lgkmcnt(0)
	v_mul_f64 v[4:5], v[56:57], v[76:77]
	v_fmac_f64_e32 v[114:115], v[52:53], v[90:91]
	v_add_f64 v[96:97], v[96:97], v[112:113]
	v_mul_f64 v[98:99], v[54:55], v[76:77]
	s_waitcnt vmcnt(4)
	v_fma_f64 v[4:5], v[54:55], v[78:79], -v[4:5]
	v_add_f64 v[96:97], v[96:97], v[114:115]
	v_fmac_f64_e32 v[98:99], v[56:57], v[78:79]
	v_add_f64 v[2:3], v[2:3], v[4:5]
	v_add_f64 v[96:97], v[96:97], v[98:99]
	s_waitcnt vmcnt(2)
	v_add_f64 v[2:3], v[92:93], -v[2:3]
	s_waitcnt vmcnt(0)
	v_add_f64 v[4:5], v[94:95], -v[96:97]
	buffer_store_dword v3, off, s[0:3], 0 offset:372
	buffer_store_dword v2, off, s[0:3], 0 offset:368
	;; [unrolled: 1-line block ×4, first 2 shown]
	s_and_saveexec_b64 s[4:5], vcc
	s_cbranch_execz .LBB97_175
; %bb.174:
	v_accvgpr_read_b32 v5, a73
	buffer_load_dword v2, v5, s[0:3], 0 offen
	buffer_load_dword v3, v5, s[0:3], 0 offen offset:4
	buffer_load_dword v4, v5, s[0:3], 0 offen offset:8
	s_nop 0
	buffer_load_dword v5, v5, s[0:3], 0 offen offset:12
	s_nop 0
	buffer_store_dword v12, off, s[0:3], 0 offset:352
	buffer_store_dword v12, off, s[0:3], 0 offset:356
	buffer_store_dword v12, off, s[0:3], 0 offset:360
	buffer_store_dword v12, off, s[0:3], 0 offset:364
	s_waitcnt vmcnt(4)
	ds_write_b128 v1, v[2:5]
.LBB97_175:
	s_or_b64 exec, exec, s[4:5]
	s_waitcnt lgkmcnt(0)
	; wave barrier
	s_waitcnt lgkmcnt(0)
	buffer_load_dword v2, off, s[0:3], 0 offset:368
	buffer_load_dword v3, off, s[0:3], 0 offset:372
	;; [unrolled: 1-line block ×52, first 2 shown]
	ds_read_b128 v[14:17], v12 offset:896
	ds_read_b128 v[18:21], v12 offset:912
	;; [unrolled: 1-line block ×10, first 2 shown]
	v_cmp_lt_u32_e32 vcc, 20, v0
	s_waitcnt vmcnt(48) lgkmcnt(9)
	v_mul_f64 v[54:55], v[14:15], v[6:7]
	v_mul_f64 v[6:7], v[16:17], v[6:7]
	v_fmac_f64_e32 v[54:55], v[16:17], v[2:3]
	v_fma_f64 v[2:3], v[14:15], v[2:3], -v[6:7]
	s_waitcnt vmcnt(44) lgkmcnt(8)
	v_mul_f64 v[56:57], v[18:19], v[8:9]
	v_mul_f64 v[6:7], v[20:21], v[8:9]
	v_fmac_f64_e32 v[56:57], v[20:21], v[4:5]
	v_add_f64 v[2:3], v[2:3], 0
	v_fma_f64 v[4:5], v[18:19], v[4:5], -v[6:7]
	v_add_f64 v[2:3], v[2:3], v[4:5]
	s_waitcnt vmcnt(42) lgkmcnt(7)
	v_mul_f64 v[4:5], v[24:25], v[10:11]
	v_mul_f64 v[58:59], v[22:23], v[10:11]
	v_add_f64 v[54:55], v[54:55], 0
	s_waitcnt vmcnt(36) lgkmcnt(6)
	v_mul_f64 v[60:61], v[26:27], v[66:67]
	v_add_f64 v[54:55], v[54:55], v[56:57]
	s_waitcnt lgkmcnt(5)
	v_mul_f64 v[104:105], v[30:31], v[62:63]
	v_fmac_f64_e32 v[104:105], v[32:33], v[64:65]
	s_waitcnt vmcnt(34) lgkmcnt(3)
	v_mul_f64 v[108:109], v[38:39], v[68:69]
	s_waitcnt vmcnt(30)
	v_mul_f64 v[106:107], v[34:35], v[72:73]
	v_fmac_f64_e32 v[108:109], v[40:41], v[70:71]
	s_waitcnt vmcnt(26) lgkmcnt(2)
	v_mul_f64 v[110:111], v[42:43], v[78:79]
	s_waitcnt vmcnt(25) lgkmcnt(1)
	v_mul_f64 v[112:113], v[46:47], v[74:75]
	s_waitcnt vmcnt(23)
	v_fma_f64 v[4:5], v[22:23], v[80:81], -v[4:5]
	v_add_f64 v[2:3], v[2:3], v[4:5]
	v_mul_f64 v[4:5], v[28:29], v[66:67]
	s_waitcnt vmcnt(21)
	v_fma_f64 v[4:5], v[26:27], v[82:83], -v[4:5]
	v_fmac_f64_e32 v[58:59], v[24:25], v[80:81]
	v_add_f64 v[2:3], v[2:3], v[4:5]
	v_mul_f64 v[4:5], v[32:33], v[62:63]
	v_fmac_f64_e32 v[60:61], v[28:29], v[82:83]
	v_add_f64 v[54:55], v[54:55], v[58:59]
	v_fma_f64 v[4:5], v[30:31], v[64:65], -v[4:5]
	v_add_f64 v[54:55], v[54:55], v[60:61]
	v_add_f64 v[2:3], v[2:3], v[4:5]
	v_mul_f64 v[4:5], v[36:37], v[72:73]
	s_waitcnt vmcnt(19)
	v_fmac_f64_e32 v[106:107], v[36:37], v[84:85]
	v_add_f64 v[54:55], v[54:55], v[104:105]
	v_fma_f64 v[4:5], v[34:35], v[84:85], -v[4:5]
	v_add_f64 v[54:55], v[54:55], v[106:107]
	v_add_f64 v[2:3], v[2:3], v[4:5]
	v_mul_f64 v[4:5], v[40:41], v[68:69]
	s_waitcnt vmcnt(17)
	v_fmac_f64_e32 v[110:111], v[44:45], v[86:87]
	v_add_f64 v[54:55], v[54:55], v[108:109]
	v_fma_f64 v[4:5], v[38:39], v[70:71], -v[4:5]
	s_waitcnt vmcnt(16)
	v_fmac_f64_e32 v[112:113], v[48:49], v[76:77]
	v_add_f64 v[54:55], v[54:55], v[110:111]
	v_add_f64 v[2:3], v[2:3], v[4:5]
	v_mul_f64 v[4:5], v[44:45], v[78:79]
	v_add_f64 v[104:105], v[54:55], v[112:113]
	ds_read_b128 v[54:57], v12 offset:1056
	ds_read_b128 v[58:61], v12 offset:1072
	v_fma_f64 v[4:5], v[42:43], v[86:87], -v[4:5]
	v_add_f64 v[2:3], v[2:3], v[4:5]
	v_mul_f64 v[4:5], v[48:49], v[74:75]
	v_fma_f64 v[4:5], v[46:47], v[76:77], -v[4:5]
	v_add_f64 v[2:3], v[2:3], v[4:5]
	s_waitcnt vmcnt(12) lgkmcnt(2)
	v_mul_f64 v[4:5], v[52:53], v[92:93]
	v_mul_f64 v[106:107], v[50:51], v[92:93]
	s_waitcnt vmcnt(10)
	v_fma_f64 v[4:5], v[50:51], v[94:95], -v[4:5]
	v_fmac_f64_e32 v[106:107], v[52:53], v[94:95]
	v_add_f64 v[2:3], v[2:3], v[4:5]
	s_waitcnt vmcnt(8) lgkmcnt(1)
	v_mul_f64 v[4:5], v[56:57], v[88:89]
	v_add_f64 v[12:13], v[104:105], v[106:107]
	v_mul_f64 v[104:105], v[54:55], v[88:89]
	v_fma_f64 v[4:5], v[54:55], v[90:91], -v[4:5]
	v_fmac_f64_e32 v[104:105], v[56:57], v[90:91]
	v_add_f64 v[2:3], v[2:3], v[4:5]
	s_waitcnt vmcnt(6) lgkmcnt(0)
	v_mul_f64 v[4:5], v[60:61], v[96:97]
	v_add_f64 v[12:13], v[12:13], v[104:105]
	v_mul_f64 v[104:105], v[58:59], v[96:97]
	s_waitcnt vmcnt(4)
	v_fma_f64 v[4:5], v[58:59], v[98:99], -v[4:5]
	v_fmac_f64_e32 v[104:105], v[60:61], v[98:99]
	v_add_f64 v[2:3], v[2:3], v[4:5]
	v_add_f64 v[12:13], v[12:13], v[104:105]
	s_waitcnt vmcnt(2)
	v_add_f64 v[2:3], v[100:101], -v[2:3]
	s_waitcnt vmcnt(0)
	v_add_f64 v[4:5], v[102:103], -v[12:13]
	buffer_store_dword v3, off, s[0:3], 0 offset:356
	buffer_store_dword v2, off, s[0:3], 0 offset:352
	;; [unrolled: 1-line block ×4, first 2 shown]
	s_and_saveexec_b64 s[4:5], vcc
	s_cbranch_execz .LBB97_177
; %bb.176:
	v_accvgpr_read_b32 v5, a74
	buffer_load_dword v2, v5, s[0:3], 0 offen
	buffer_load_dword v3, v5, s[0:3], 0 offen offset:4
	buffer_load_dword v4, v5, s[0:3], 0 offen offset:8
	s_nop 0
	buffer_load_dword v5, v5, s[0:3], 0 offen offset:12
	v_mov_b32_e32 v6, 0
	buffer_store_dword v6, off, s[0:3], 0 offset:336
	buffer_store_dword v6, off, s[0:3], 0 offset:340
	;; [unrolled: 1-line block ×4, first 2 shown]
	s_waitcnt vmcnt(4)
	ds_write_b128 v1, v[2:5]
.LBB97_177:
	s_or_b64 exec, exec, s[4:5]
	s_waitcnt lgkmcnt(0)
	; wave barrier
	s_waitcnt lgkmcnt(0)
	buffer_load_dword v2, off, s[0:3], 0 offset:352
	buffer_load_dword v3, off, s[0:3], 0 offset:356
	;; [unrolled: 1-line block ×56, first 2 shown]
	v_mov_b32_e32 v24, 0
	ds_read_b128 v[18:21], v24 offset:880
	ds_read_b128 v[26:29], v24 offset:896
	;; [unrolled: 1-line block ×9, first 2 shown]
	v_cmp_lt_u32_e32 vcc, 19, v0
	s_waitcnt vmcnt(52) lgkmcnt(8)
	v_mul_f64 v[54:55], v[18:19], v[6:7]
	v_fmac_f64_e32 v[54:55], v[20:21], v[2:3]
	v_mul_f64 v[6:7], v[20:21], v[6:7]
	v_add_f64 v[54:55], v[54:55], 0
	s_waitcnt vmcnt(48) lgkmcnt(7)
	v_mul_f64 v[56:57], v[26:27], v[8:9]
	v_fmac_f64_e32 v[56:57], v[28:29], v[4:5]
	s_waitcnt vmcnt(46) lgkmcnt(6)
	v_mul_f64 v[58:59], v[30:31], v[10:11]
	v_fma_f64 v[2:3], v[18:19], v[2:3], -v[6:7]
	v_mul_f64 v[6:7], v[28:29], v[8:9]
	v_add_f64 v[54:55], v[54:55], v[56:57]
	v_add_f64 v[2:3], v[2:3], 0
	v_fma_f64 v[4:5], v[26:27], v[4:5], -v[6:7]
	s_waitcnt vmcnt(40) lgkmcnt(5)
	v_mul_f64 v[60:61], v[34:35], v[16:17]
	s_waitcnt lgkmcnt(4)
	v_mul_f64 v[62:63], v[38:39], v[12:13]
	v_add_f64 v[2:3], v[2:3], v[4:5]
	v_mul_f64 v[4:5], v[32:33], v[10:11]
	s_waitcnt vmcnt(36) lgkmcnt(3)
	v_mul_f64 v[64:65], v[42:43], v[76:77]
	v_fmac_f64_e32 v[62:63], v[40:41], v[14:15]
	s_waitcnt vmcnt(35) lgkmcnt(2)
	v_mul_f64 v[66:67], v[46:47], v[22:23]
	s_waitcnt vmcnt(33)
	v_fmac_f64_e32 v[58:59], v[32:33], v[78:79]
	v_add_f64 v[54:55], v[54:55], v[58:59]
	s_waitcnt vmcnt(31)
	v_fmac_f64_e32 v[60:61], v[36:37], v[80:81]
	v_add_f64 v[54:55], v[54:55], v[60:61]
	v_fma_f64 v[4:5], v[30:31], v[78:79], -v[4:5]
	s_waitcnt vmcnt(29)
	v_fmac_f64_e32 v[64:65], v[44:45], v[82:83]
	v_add_f64 v[54:55], v[54:55], v[62:63]
	v_add_f64 v[2:3], v[2:3], v[4:5]
	v_mul_f64 v[4:5], v[36:37], v[16:17]
	s_waitcnt vmcnt(28)
	v_fmac_f64_e32 v[66:67], v[48:49], v[74:75]
	v_add_f64 v[54:55], v[54:55], v[64:65]
	v_fma_f64 v[4:5], v[34:35], v[80:81], -v[4:5]
	v_add_f64 v[58:59], v[54:55], v[66:67]
	ds_read_b128 v[54:57], v24 offset:1008
	s_waitcnt vmcnt(24) lgkmcnt(2)
	v_mul_f64 v[60:61], v[50:51], v[88:89]
	v_add_f64 v[2:3], v[2:3], v[4:5]
	v_mul_f64 v[4:5], v[40:41], v[12:13]
	s_waitcnt vmcnt(22)
	v_fmac_f64_e32 v[60:61], v[52:53], v[90:91]
	v_fma_f64 v[4:5], v[38:39], v[14:15], -v[4:5]
	v_add_f64 v[62:63], v[58:59], v[60:61]
	ds_read_b128 v[58:61], v24 offset:1024
	v_add_f64 v[2:3], v[2:3], v[4:5]
	v_mul_f64 v[4:5], v[44:45], v[76:77]
	v_fma_f64 v[4:5], v[42:43], v[82:83], -v[4:5]
	v_add_f64 v[2:3], v[2:3], v[4:5]
	v_mul_f64 v[4:5], v[48:49], v[22:23]
	s_waitcnt vmcnt(20) lgkmcnt(1)
	v_mul_f64 v[64:65], v[54:55], v[84:85]
	v_fma_f64 v[4:5], v[46:47], v[74:75], -v[4:5]
	v_fmac_f64_e32 v[64:65], v[56:57], v[86:87]
	v_add_f64 v[2:3], v[2:3], v[4:5]
	v_mul_f64 v[4:5], v[52:53], v[88:89]
	v_add_f64 v[66:67], v[62:63], v[64:65]
	ds_read_b128 v[62:65], v24 offset:1040
	s_waitcnt vmcnt(16) lgkmcnt(1)
	v_mul_f64 v[68:69], v[58:59], v[96:97]
	v_fma_f64 v[4:5], v[50:51], v[90:91], -v[4:5]
	s_waitcnt vmcnt(14)
	v_fmac_f64_e32 v[68:69], v[60:61], v[98:99]
	v_add_f64 v[2:3], v[2:3], v[4:5]
	v_mul_f64 v[4:5], v[56:57], v[84:85]
	v_add_f64 v[112:113], v[66:67], v[68:69]
	ds_read_b128 v[66:69], v24 offset:1056
	v_fma_f64 v[4:5], v[54:55], v[86:87], -v[4:5]
	v_add_f64 v[2:3], v[2:3], v[4:5]
	v_mul_f64 v[4:5], v[60:61], v[96:97]
	v_fma_f64 v[4:5], v[58:59], v[98:99], -v[4:5]
	v_add_f64 v[2:3], v[2:3], v[4:5]
	s_waitcnt vmcnt(12) lgkmcnt(1)
	v_mul_f64 v[4:5], v[64:65], v[92:93]
	v_mul_f64 v[114:115], v[62:63], v[92:93]
	v_fma_f64 v[4:5], v[62:63], v[94:95], -v[4:5]
	v_fmac_f64_e32 v[114:115], v[64:65], v[94:95]
	v_add_f64 v[2:3], v[2:3], v[4:5]
	s_waitcnt vmcnt(8) lgkmcnt(0)
	v_mul_f64 v[4:5], v[68:69], v[104:105]
	v_add_f64 v[112:113], v[112:113], v[114:115]
	v_mul_f64 v[114:115], v[66:67], v[104:105]
	s_waitcnt vmcnt(6)
	v_fma_f64 v[4:5], v[66:67], v[106:107], -v[4:5]
	v_fmac_f64_e32 v[114:115], v[68:69], v[106:107]
	v_add_f64 v[2:3], v[2:3], v[4:5]
	s_waitcnt vmcnt(5)
	v_mul_f64 v[4:5], v[72:73], v[100:101]
	v_add_f64 v[112:113], v[112:113], v[114:115]
	v_mul_f64 v[114:115], v[70:71], v[100:101]
	s_waitcnt vmcnt(4)
	v_fma_f64 v[4:5], v[70:71], v[102:103], -v[4:5]
	v_fmac_f64_e32 v[114:115], v[72:73], v[102:103]
	v_add_f64 v[2:3], v[2:3], v[4:5]
	v_add_f64 v[112:113], v[112:113], v[114:115]
	s_waitcnt vmcnt(2)
	v_add_f64 v[2:3], v[108:109], -v[2:3]
	s_waitcnt vmcnt(0)
	v_add_f64 v[4:5], v[110:111], -v[112:113]
	buffer_store_dword v3, off, s[0:3], 0 offset:340
	buffer_store_dword v2, off, s[0:3], 0 offset:336
	;; [unrolled: 1-line block ×4, first 2 shown]
	s_and_saveexec_b64 s[4:5], vcc
	s_cbranch_execz .LBB97_179
; %bb.178:
	v_accvgpr_read_b32 v5, a75
	buffer_load_dword v2, v5, s[0:3], 0 offen
	buffer_load_dword v3, v5, s[0:3], 0 offen offset:4
	buffer_load_dword v4, v5, s[0:3], 0 offen offset:8
	s_nop 0
	buffer_load_dword v5, v5, s[0:3], 0 offen offset:12
	s_nop 0
	buffer_store_dword v24, off, s[0:3], 0 offset:320
	buffer_store_dword v24, off, s[0:3], 0 offset:324
	buffer_store_dword v24, off, s[0:3], 0 offset:328
	buffer_store_dword v24, off, s[0:3], 0 offset:332
	s_waitcnt vmcnt(4)
	ds_write_b128 v1, v[2:5]
.LBB97_179:
	s_or_b64 exec, exec, s[4:5]
	s_waitcnt lgkmcnt(0)
	; wave barrier
	s_waitcnt lgkmcnt(0)
	buffer_load_dword v2, off, s[0:3], 0 offset:336
	buffer_load_dword v3, off, s[0:3], 0 offset:340
	;; [unrolled: 1-line block ×60, first 2 shown]
	ds_read_b128 v[26:29], v24 offset:864
	ds_read_b128 v[30:33], v24 offset:880
	;; [unrolled: 1-line block ×8, first 2 shown]
	v_cmp_lt_u32_e32 vcc, 18, v0
	ds_read_b128 v[78:81], v24 offset:1072
	s_waitcnt vmcnt(56) lgkmcnt(8)
	v_mul_f64 v[58:59], v[26:27], v[6:7]
	v_fmac_f64_e32 v[58:59], v[28:29], v[2:3]
	v_add_f64 v[58:59], v[58:59], 0
	v_mul_f64 v[6:7], v[28:29], v[6:7]
	s_waitcnt vmcnt(52) lgkmcnt(7)
	v_mul_f64 v[60:61], v[30:31], v[8:9]
	v_fmac_f64_e32 v[60:61], v[32:33], v[4:5]
	s_waitcnt vmcnt(50) lgkmcnt(6)
	v_mul_f64 v[62:63], v[34:35], v[10:11]
	v_add_f64 v[58:59], v[58:59], v[60:61]
	s_waitcnt vmcnt(48) lgkmcnt(4)
	v_mul_f64 v[66:67], v[42:43], v[12:13]
	v_fma_f64 v[2:3], v[26:27], v[2:3], -v[6:7]
	s_waitcnt vmcnt(46)
	v_fmac_f64_e32 v[66:67], v[44:45], v[14:15]
	v_mul_f64 v[6:7], v[32:33], v[8:9]
	s_waitcnt vmcnt(44)
	v_mul_f64 v[64:65], v[38:39], v[16:17]
	v_add_f64 v[2:3], v[2:3], 0
	v_fma_f64 v[4:5], v[30:31], v[4:5], -v[6:7]
	v_add_f64 v[2:3], v[2:3], v[4:5]
	s_waitcnt vmcnt(40) lgkmcnt(3)
	v_mul_f64 v[68:69], v[46:47], v[22:23]
	v_mul_f64 v[4:5], v[36:37], v[10:11]
	s_waitcnt vmcnt(38)
	v_fmac_f64_e32 v[62:63], v[36:37], v[82:83]
	v_add_f64 v[58:59], v[58:59], v[62:63]
	s_waitcnt vmcnt(36)
	v_fmac_f64_e32 v[64:65], v[40:41], v[84:85]
	v_add_f64 v[58:59], v[58:59], v[64:65]
	;; [unrolled: 3-line block ×3, first 2 shown]
	s_waitcnt vmcnt(32) lgkmcnt(2)
	v_mul_f64 v[60:61], v[50:51], v[18:19]
	v_add_f64 v[58:59], v[58:59], v[68:69]
	v_fmac_f64_e32 v[60:61], v[52:53], v[20:21]
	v_add_f64 v[62:63], v[58:59], v[60:61]
	ds_read_b128 v[58:61], v24 offset:992
	v_fma_f64 v[4:5], v[34:35], v[82:83], -v[4:5]
	v_add_f64 v[2:3], v[2:3], v[4:5]
	v_mul_f64 v[4:5], v[40:41], v[16:17]
	v_fma_f64 v[4:5], v[38:39], v[84:85], -v[4:5]
	s_waitcnt vmcnt(28) lgkmcnt(2)
	v_mul_f64 v[64:65], v[54:55], v[92:93]
	v_add_f64 v[2:3], v[2:3], v[4:5]
	v_mul_f64 v[4:5], v[44:45], v[12:13]
	s_waitcnt vmcnt(26)
	v_fmac_f64_e32 v[64:65], v[56:57], v[94:95]
	v_fma_f64 v[4:5], v[42:43], v[14:15], -v[4:5]
	v_add_f64 v[66:67], v[62:63], v[64:65]
	ds_read_b128 v[62:65], v24 offset:1008
	s_waitcnt vmcnt(24) lgkmcnt(1)
	v_mul_f64 v[68:69], v[58:59], v[88:89]
	v_add_f64 v[2:3], v[2:3], v[4:5]
	v_mul_f64 v[4:5], v[48:49], v[22:23]
	v_fmac_f64_e32 v[68:69], v[60:61], v[90:91]
	v_fma_f64 v[4:5], v[46:47], v[86:87], -v[4:5]
	v_add_f64 v[70:71], v[66:67], v[68:69]
	ds_read_b128 v[66:69], v24 offset:1024
	v_add_f64 v[2:3], v[2:3], v[4:5]
	v_mul_f64 v[4:5], v[52:53], v[18:19]
	v_fma_f64 v[4:5], v[50:51], v[20:21], -v[4:5]
	v_add_f64 v[2:3], v[2:3], v[4:5]
	v_mul_f64 v[4:5], v[56:57], v[92:93]
	s_waitcnt vmcnt(20) lgkmcnt(1)
	v_mul_f64 v[72:73], v[62:63], v[100:101]
	v_fma_f64 v[4:5], v[54:55], v[94:95], -v[4:5]
	s_waitcnt vmcnt(18)
	v_fmac_f64_e32 v[72:73], v[64:65], v[102:103]
	v_add_f64 v[2:3], v[2:3], v[4:5]
	v_mul_f64 v[4:5], v[60:61], v[88:89]
	v_add_f64 v[74:75], v[70:71], v[72:73]
	ds_read_b128 v[70:73], v24 offset:1040
	s_waitcnt vmcnt(16) lgkmcnt(1)
	v_mul_f64 v[76:77], v[66:67], v[96:97]
	v_fma_f64 v[4:5], v[58:59], v[90:91], -v[4:5]
	v_fmac_f64_e32 v[76:77], v[68:69], v[98:99]
	v_add_f64 v[2:3], v[2:3], v[4:5]
	v_mul_f64 v[4:5], v[64:65], v[100:101]
	v_add_f64 v[122:123], v[74:75], v[76:77]
	ds_read_b128 v[74:77], v24 offset:1056
	v_fma_f64 v[4:5], v[62:63], v[102:103], -v[4:5]
	v_add_f64 v[2:3], v[2:3], v[4:5]
	v_mul_f64 v[4:5], v[68:69], v[96:97]
	v_fma_f64 v[4:5], v[66:67], v[98:99], -v[4:5]
	v_add_f64 v[2:3], v[2:3], v[4:5]
	s_waitcnt vmcnt(12) lgkmcnt(1)
	v_mul_f64 v[4:5], v[72:73], v[108:109]
	v_mul_f64 v[124:125], v[70:71], v[108:109]
	s_waitcnt vmcnt(10)
	v_fma_f64 v[4:5], v[70:71], v[110:111], -v[4:5]
	v_fmac_f64_e32 v[124:125], v[72:73], v[110:111]
	v_add_f64 v[2:3], v[2:3], v[4:5]
	s_waitcnt vmcnt(8) lgkmcnt(0)
	v_mul_f64 v[4:5], v[76:77], v[104:105]
	v_add_f64 v[24:25], v[122:123], v[124:125]
	v_mul_f64 v[122:123], v[74:75], v[104:105]
	v_fma_f64 v[4:5], v[74:75], v[106:107], -v[4:5]
	v_fmac_f64_e32 v[122:123], v[76:77], v[106:107]
	v_add_f64 v[2:3], v[2:3], v[4:5]
	s_waitcnt vmcnt(6)
	v_mul_f64 v[4:5], v[80:81], v[112:113]
	v_add_f64 v[24:25], v[24:25], v[122:123]
	v_mul_f64 v[122:123], v[78:79], v[112:113]
	s_waitcnt vmcnt(4)
	v_fma_f64 v[4:5], v[78:79], v[114:115], -v[4:5]
	v_fmac_f64_e32 v[122:123], v[80:81], v[114:115]
	v_add_f64 v[2:3], v[2:3], v[4:5]
	v_add_f64 v[24:25], v[24:25], v[122:123]
	s_waitcnt vmcnt(2)
	v_add_f64 v[2:3], v[116:117], -v[2:3]
	s_waitcnt vmcnt(0)
	v_add_f64 v[4:5], v[118:119], -v[24:25]
	buffer_store_dword v3, off, s[0:3], 0 offset:324
	buffer_store_dword v2, off, s[0:3], 0 offset:320
	;; [unrolled: 1-line block ×4, first 2 shown]
	s_and_saveexec_b64 s[4:5], vcc
	s_cbranch_execz .LBB97_181
; %bb.180:
	v_accvgpr_read_b32 v5, a76
	buffer_load_dword v2, v5, s[0:3], 0 offen
	buffer_load_dword v3, v5, s[0:3], 0 offen offset:4
	buffer_load_dword v4, v5, s[0:3], 0 offen offset:8
	s_nop 0
	buffer_load_dword v5, v5, s[0:3], 0 offen offset:12
	v_mov_b32_e32 v6, 0
	buffer_store_dword v6, off, s[0:3], 0 offset:304
	buffer_store_dword v6, off, s[0:3], 0 offset:308
	;; [unrolled: 1-line block ×4, first 2 shown]
	s_waitcnt vmcnt(4)
	ds_write_b128 v1, v[2:5]
.LBB97_181:
	s_or_b64 exec, exec, s[4:5]
	s_waitcnt lgkmcnt(0)
	; wave barrier
	s_waitcnt lgkmcnt(0)
	buffer_load_dword v2, off, s[0:3], 0 offset:320
	buffer_load_dword v3, off, s[0:3], 0 offset:324
	;; [unrolled: 1-line block ×64, first 2 shown]
	v_mov_b32_e32 v38, 0
	ds_read_b128 v[30:33], v38 offset:848
	ds_read_b128 v[34:37], v38 offset:864
	ds_read_b128 v[40:43], v38 offset:880
	ds_read_b128 v[44:47], v38 offset:896
	ds_read_b128 v[48:51], v38 offset:912
	ds_read_b128 v[52:55], v38 offset:928
	ds_read_b128 v[88:91], v38 offset:1072
	v_cmp_lt_u32_e32 vcc, 17, v0
	s_waitcnt vmcnt(60) lgkmcnt(6)
	v_mul_f64 v[56:57], v[30:31], v[6:7]
	v_fmac_f64_e32 v[56:57], v[32:33], v[2:3]
	v_add_f64 v[56:57], v[56:57], 0
	v_mul_f64 v[6:7], v[32:33], v[6:7]
	s_waitcnt vmcnt(56) lgkmcnt(5)
	v_mul_f64 v[58:59], v[34:35], v[8:9]
	v_fmac_f64_e32 v[58:59], v[36:37], v[4:5]
	s_waitcnt vmcnt(54) lgkmcnt(4)
	v_mul_f64 v[60:61], v[40:41], v[10:11]
	v_add_f64 v[56:57], v[56:57], v[58:59]
	v_fma_f64 v[2:3], v[30:31], v[2:3], -v[6:7]
	v_mul_f64 v[6:7], v[36:37], v[8:9]
	s_waitcnt vmcnt(50) lgkmcnt(3)
	v_mul_f64 v[62:63], v[44:45], v[16:17]
	s_waitcnt vmcnt(49) lgkmcnt(2)
	v_mul_f64 v[64:65], v[48:49], v[12:13]
	v_add_f64 v[2:3], v[2:3], 0
	s_waitcnt vmcnt(47)
	v_fmac_f64_e32 v[60:61], v[42:43], v[20:21]
	v_add_f64 v[56:57], v[56:57], v[60:61]
	s_waitcnt vmcnt(45)
	v_fmac_f64_e32 v[62:63], v[46:47], v[18:19]
	;; [unrolled: 3-line block ×3, first 2 shown]
	v_add_f64 v[60:61], v[56:57], v[64:65]
	ds_read_b128 v[56:59], v38 offset:944
	s_waitcnt vmcnt(40) lgkmcnt(2)
	v_mul_f64 v[62:63], v[52:53], v[26:27]
	v_fma_f64 v[4:5], v[34:35], v[4:5], -v[6:7]
	s_waitcnt vmcnt(38)
	v_fmac_f64_e32 v[62:63], v[54:55], v[28:29]
	v_add_f64 v[64:65], v[60:61], v[62:63]
	ds_read_b128 v[60:63], v38 offset:960
	s_waitcnt vmcnt(36) lgkmcnt(1)
	v_mul_f64 v[66:67], v[56:57], v[22:23]
	v_fmac_f64_e32 v[66:67], v[58:59], v[24:25]
	v_add_f64 v[2:3], v[2:3], v[4:5]
	v_mul_f64 v[4:5], v[42:43], v[10:11]
	v_add_f64 v[68:69], v[64:65], v[66:67]
	ds_read_b128 v[64:67], v38 offset:976
	s_waitcnt vmcnt(32) lgkmcnt(1)
	v_mul_f64 v[70:71], v[60:61], v[96:97]
	v_fma_f64 v[4:5], v[40:41], v[20:21], -v[4:5]
	s_waitcnt vmcnt(30)
	v_fmac_f64_e32 v[70:71], v[62:63], v[98:99]
	v_add_f64 v[2:3], v[2:3], v[4:5]
	v_mul_f64 v[4:5], v[46:47], v[16:17]
	v_add_f64 v[72:73], v[68:69], v[70:71]
	ds_read_b128 v[68:71], v38 offset:992
	v_fma_f64 v[4:5], v[44:45], v[18:19], -v[4:5]
	v_add_f64 v[2:3], v[2:3], v[4:5]
	v_mul_f64 v[4:5], v[50:51], v[12:13]
	v_fma_f64 v[4:5], v[48:49], v[14:15], -v[4:5]
	s_waitcnt vmcnt(28) lgkmcnt(1)
	v_mul_f64 v[74:75], v[64:65], v[92:93]
	v_add_f64 v[2:3], v[2:3], v[4:5]
	v_mul_f64 v[4:5], v[54:55], v[26:27]
	v_fmac_f64_e32 v[74:75], v[66:67], v[94:95]
	v_fma_f64 v[4:5], v[52:53], v[28:29], -v[4:5]
	v_add_f64 v[76:77], v[72:73], v[74:75]
	ds_read_b128 v[72:75], v38 offset:1008
	s_waitcnt vmcnt(24) lgkmcnt(1)
	v_mul_f64 v[78:79], v[68:69], v[104:105]
	v_add_f64 v[2:3], v[2:3], v[4:5]
	v_mul_f64 v[4:5], v[58:59], v[22:23]
	s_waitcnt vmcnt(22)
	v_fmac_f64_e32 v[78:79], v[70:71], v[106:107]
	v_fma_f64 v[4:5], v[56:57], v[24:25], -v[4:5]
	v_add_f64 v[80:81], v[76:77], v[78:79]
	ds_read_b128 v[76:79], v38 offset:1024
	v_add_f64 v[2:3], v[2:3], v[4:5]
	v_mul_f64 v[4:5], v[62:63], v[96:97]
	v_fma_f64 v[4:5], v[60:61], v[98:99], -v[4:5]
	v_add_f64 v[2:3], v[2:3], v[4:5]
	v_mul_f64 v[4:5], v[66:67], v[92:93]
	s_waitcnt vmcnt(20) lgkmcnt(1)
	v_mul_f64 v[82:83], v[72:73], v[100:101]
	v_fma_f64 v[4:5], v[64:65], v[94:95], -v[4:5]
	v_fmac_f64_e32 v[82:83], v[74:75], v[102:103]
	v_add_f64 v[2:3], v[2:3], v[4:5]
	v_mul_f64 v[4:5], v[70:71], v[104:105]
	v_add_f64 v[84:85], v[80:81], v[82:83]
	ds_read_b128 v[80:83], v38 offset:1040
	s_waitcnt vmcnt(16) lgkmcnt(1)
	v_mul_f64 v[86:87], v[76:77], v[112:113]
	v_fma_f64 v[4:5], v[68:69], v[106:107], -v[4:5]
	s_waitcnt vmcnt(14)
	v_fmac_f64_e32 v[86:87], v[78:79], v[114:115]
	v_add_f64 v[2:3], v[2:3], v[4:5]
	v_mul_f64 v[4:5], v[74:75], v[100:101]
	v_add_f64 v[130:131], v[84:85], v[86:87]
	ds_read_b128 v[84:87], v38 offset:1056
	v_fma_f64 v[4:5], v[72:73], v[102:103], -v[4:5]
	v_add_f64 v[2:3], v[2:3], v[4:5]
	v_mul_f64 v[4:5], v[78:79], v[112:113]
	v_fma_f64 v[4:5], v[76:77], v[114:115], -v[4:5]
	v_add_f64 v[2:3], v[2:3], v[4:5]
	s_waitcnt vmcnt(12) lgkmcnt(1)
	v_mul_f64 v[4:5], v[82:83], v[108:109]
	v_mul_f64 v[132:133], v[80:81], v[108:109]
	v_fma_f64 v[4:5], v[80:81], v[110:111], -v[4:5]
	v_fmac_f64_e32 v[132:133], v[82:83], v[110:111]
	v_add_f64 v[2:3], v[2:3], v[4:5]
	s_waitcnt vmcnt(8) lgkmcnt(0)
	v_mul_f64 v[4:5], v[86:87], v[122:123]
	v_add_f64 v[130:131], v[130:131], v[132:133]
	v_mul_f64 v[132:133], v[84:85], v[122:123]
	s_waitcnt vmcnt(6)
	v_fma_f64 v[4:5], v[84:85], v[124:125], -v[4:5]
	v_fmac_f64_e32 v[132:133], v[86:87], v[124:125]
	v_add_f64 v[2:3], v[2:3], v[4:5]
	s_waitcnt vmcnt(5)
	v_mul_f64 v[4:5], v[90:91], v[116:117]
	v_add_f64 v[130:131], v[130:131], v[132:133]
	v_mul_f64 v[132:133], v[88:89], v[116:117]
	s_waitcnt vmcnt(4)
	v_fma_f64 v[4:5], v[88:89], v[118:119], -v[4:5]
	v_fmac_f64_e32 v[132:133], v[90:91], v[118:119]
	v_add_f64 v[2:3], v[2:3], v[4:5]
	v_add_f64 v[130:131], v[130:131], v[132:133]
	s_waitcnt vmcnt(2)
	v_add_f64 v[2:3], v[126:127], -v[2:3]
	s_waitcnt vmcnt(0)
	v_add_f64 v[4:5], v[128:129], -v[130:131]
	buffer_store_dword v3, off, s[0:3], 0 offset:308
	buffer_store_dword v2, off, s[0:3], 0 offset:304
	;; [unrolled: 1-line block ×4, first 2 shown]
	s_and_saveexec_b64 s[4:5], vcc
	s_cbranch_execz .LBB97_183
; %bb.182:
	v_accvgpr_read_b32 v5, a77
	buffer_load_dword v2, v5, s[0:3], 0 offen
	buffer_load_dword v3, v5, s[0:3], 0 offen offset:4
	buffer_load_dword v4, v5, s[0:3], 0 offen offset:8
	s_nop 0
	buffer_load_dword v5, v5, s[0:3], 0 offen offset:12
	s_nop 0
	buffer_store_dword v38, off, s[0:3], 0 offset:288
	buffer_store_dword v38, off, s[0:3], 0 offset:292
	;; [unrolled: 1-line block ×4, first 2 shown]
	s_waitcnt vmcnt(4)
	ds_write_b128 v1, v[2:5]
.LBB97_183:
	s_or_b64 exec, exec, s[4:5]
	s_waitcnt lgkmcnt(0)
	; wave barrier
	s_waitcnt lgkmcnt(0)
	buffer_load_dword v2, off, s[0:3], 0 offset:304
	buffer_load_dword v3, off, s[0:3], 0 offset:308
	;; [unrolled: 1-line block ×64, first 2 shown]
	ds_read_b128 v[40:43], v38 offset:832
	ds_read_b128 v[44:47], v38 offset:848
	;; [unrolled: 1-line block ×4, first 2 shown]
	buffer_load_dword v134, off, s[0:3], 0 offset:288
	buffer_load_dword v135, off, s[0:3], 0 offset:292
	;; [unrolled: 1-line block ×4, first 2 shown]
	v_cmp_lt_u32_e32 vcc, 16, v0
	ds_read_b128 v[100:103], v38 offset:1072
	s_waitcnt vmcnt(62) lgkmcnt(4)
	v_mul_f64 v[56:57], v[40:41], v[4:5]
	v_fmac_f64_e32 v[56:57], v[42:43], v[2:3]
	s_waitcnt lgkmcnt(3)
	v_mul_f64 v[58:59], v[44:45], v[6:7]
	v_add_f64 v[56:57], v[56:57], 0
	s_waitcnt vmcnt(60) lgkmcnt(2)
	v_mul_f64 v[60:61], v[48:49], v[8:9]
	v_mul_f64 v[4:5], v[42:43], v[4:5]
	v_fma_f64 v[2:3], v[40:41], v[2:3], -v[4:5]
	v_mul_f64 v[4:5], v[46:47], v[6:7]
	s_waitcnt vmcnt(56) lgkmcnt(1)
	v_mul_f64 v[62:63], v[52:53], v[14:15]
	v_add_f64 v[2:3], v[2:3], 0
	s_waitcnt vmcnt(54)
	v_fmac_f64_e32 v[58:59], v[46:47], v[20:21]
	v_add_f64 v[64:65], v[56:57], v[58:59]
	ds_read_b128 v[56:59], v38 offset:896
	s_waitcnt vmcnt(52)
	v_fmac_f64_e32 v[60:61], v[50:51], v[18:19]
	v_add_f64 v[60:61], v[64:65], v[60:61]
	s_waitcnt vmcnt(50)
	v_fmac_f64_e32 v[62:63], v[54:55], v[16:17]
	v_add_f64 v[64:65], v[60:61], v[62:63]
	ds_read_b128 v[60:63], v38 offset:912
	s_waitcnt vmcnt(48) lgkmcnt(1)
	v_mul_f64 v[66:67], v[56:57], v[10:11]
	v_fmac_f64_e32 v[66:67], v[58:59], v[12:13]
	v_add_f64 v[68:69], v[64:65], v[66:67]
	ds_read_b128 v[64:67], v38 offset:928
	s_waitcnt vmcnt(44) lgkmcnt(1)
	v_mul_f64 v[70:71], v[60:61], v[26:27]
	s_waitcnt vmcnt(42)
	v_fmac_f64_e32 v[70:71], v[62:63], v[28:29]
	v_add_f64 v[72:73], v[68:69], v[70:71]
	ds_read_b128 v[68:71], v38 offset:944
	s_waitcnt vmcnt(40) lgkmcnt(1)
	v_mul_f64 v[74:75], v[64:65], v[22:23]
	v_fmac_f64_e32 v[74:75], v[66:67], v[24:25]
	v_add_f64 v[76:77], v[72:73], v[74:75]
	ds_read_b128 v[72:75], v38 offset:960
	v_fma_f64 v[4:5], v[44:45], v[20:21], -v[4:5]
	v_add_f64 v[2:3], v[2:3], v[4:5]
	v_mul_f64 v[4:5], v[50:51], v[8:9]
	s_waitcnt vmcnt(36) lgkmcnt(1)
	v_mul_f64 v[78:79], v[68:69], v[34:35]
	v_fma_f64 v[4:5], v[48:49], v[18:19], -v[4:5]
	s_waitcnt vmcnt(34)
	v_fmac_f64_e32 v[78:79], v[70:71], v[36:37]
	v_add_f64 v[2:3], v[2:3], v[4:5]
	v_mul_f64 v[4:5], v[54:55], v[14:15]
	v_add_f64 v[80:81], v[76:77], v[78:79]
	ds_read_b128 v[76:79], v38 offset:976
	s_waitcnt vmcnt(32) lgkmcnt(1)
	v_mul_f64 v[82:83], v[72:73], v[30:31]
	v_fma_f64 v[4:5], v[52:53], v[16:17], -v[4:5]
	v_fmac_f64_e32 v[82:83], v[74:75], v[32:33]
	v_add_f64 v[2:3], v[2:3], v[4:5]
	v_mul_f64 v[4:5], v[58:59], v[10:11]
	v_add_f64 v[84:85], v[80:81], v[82:83]
	ds_read_b128 v[80:83], v38 offset:992
	v_fma_f64 v[4:5], v[56:57], v[12:13], -v[4:5]
	v_add_f64 v[2:3], v[2:3], v[4:5]
	v_mul_f64 v[4:5], v[62:63], v[26:27]
	v_fma_f64 v[4:5], v[60:61], v[28:29], -v[4:5]
	s_waitcnt vmcnt(28) lgkmcnt(1)
	v_mul_f64 v[86:87], v[76:77], v[108:109]
	v_add_f64 v[2:3], v[2:3], v[4:5]
	v_mul_f64 v[4:5], v[66:67], v[22:23]
	s_waitcnt vmcnt(26)
	v_fmac_f64_e32 v[86:87], v[78:79], v[110:111]
	v_fma_f64 v[4:5], v[64:65], v[24:25], -v[4:5]
	v_add_f64 v[88:89], v[84:85], v[86:87]
	ds_read_b128 v[84:87], v38 offset:1008
	s_waitcnt vmcnt(24) lgkmcnt(1)
	v_mul_f64 v[90:91], v[80:81], v[104:105]
	v_add_f64 v[2:3], v[2:3], v[4:5]
	v_mul_f64 v[4:5], v[70:71], v[34:35]
	v_fmac_f64_e32 v[90:91], v[82:83], v[106:107]
	v_fma_f64 v[4:5], v[68:69], v[36:37], -v[4:5]
	v_add_f64 v[92:93], v[88:89], v[90:91]
	ds_read_b128 v[88:91], v38 offset:1024
	v_add_f64 v[2:3], v[2:3], v[4:5]
	v_mul_f64 v[4:5], v[74:75], v[30:31]
	v_fma_f64 v[4:5], v[72:73], v[32:33], -v[4:5]
	v_add_f64 v[2:3], v[2:3], v[4:5]
	v_mul_f64 v[4:5], v[78:79], v[108:109]
	s_waitcnt vmcnt(20) lgkmcnt(1)
	v_mul_f64 v[94:95], v[84:85], v[116:117]
	v_fma_f64 v[4:5], v[76:77], v[110:111], -v[4:5]
	s_waitcnt vmcnt(18)
	v_fmac_f64_e32 v[94:95], v[86:87], v[118:119]
	v_add_f64 v[2:3], v[2:3], v[4:5]
	v_mul_f64 v[4:5], v[82:83], v[104:105]
	v_add_f64 v[96:97], v[92:93], v[94:95]
	ds_read_b128 v[92:95], v38 offset:1040
	s_waitcnt vmcnt(16) lgkmcnt(1)
	v_mul_f64 v[98:99], v[88:89], v[112:113]
	v_fma_f64 v[4:5], v[80:81], v[106:107], -v[4:5]
	v_fmac_f64_e32 v[98:99], v[90:91], v[114:115]
	v_add_f64 v[2:3], v[2:3], v[4:5]
	v_mul_f64 v[4:5], v[86:87], v[116:117]
	v_add_f64 v[138:139], v[96:97], v[98:99]
	ds_read_b128 v[96:99], v38 offset:1056
	v_fma_f64 v[4:5], v[84:85], v[118:119], -v[4:5]
	v_add_f64 v[2:3], v[2:3], v[4:5]
	v_mul_f64 v[4:5], v[90:91], v[112:113]
	v_fma_f64 v[4:5], v[88:89], v[114:115], -v[4:5]
	v_add_f64 v[2:3], v[2:3], v[4:5]
	s_waitcnt vmcnt(12) lgkmcnt(1)
	v_mul_f64 v[4:5], v[94:95], v[126:127]
	v_mul_f64 v[140:141], v[92:93], v[126:127]
	s_waitcnt vmcnt(10)
	v_fma_f64 v[4:5], v[92:93], v[128:129], -v[4:5]
	v_fmac_f64_e32 v[140:141], v[94:95], v[128:129]
	v_add_f64 v[2:3], v[2:3], v[4:5]
	s_waitcnt vmcnt(8) lgkmcnt(0)
	v_mul_f64 v[4:5], v[98:99], v[122:123]
	v_add_f64 v[38:39], v[138:139], v[140:141]
	v_mul_f64 v[138:139], v[96:97], v[122:123]
	v_fma_f64 v[4:5], v[96:97], v[124:125], -v[4:5]
	v_fmac_f64_e32 v[138:139], v[98:99], v[124:125]
	v_add_f64 v[2:3], v[2:3], v[4:5]
	s_waitcnt vmcnt(6)
	v_mul_f64 v[4:5], v[102:103], v[130:131]
	v_add_f64 v[38:39], v[38:39], v[138:139]
	v_mul_f64 v[138:139], v[100:101], v[130:131]
	s_waitcnt vmcnt(4)
	v_fma_f64 v[4:5], v[100:101], v[132:133], -v[4:5]
	v_fmac_f64_e32 v[138:139], v[102:103], v[132:133]
	v_add_f64 v[2:3], v[2:3], v[4:5]
	v_add_f64 v[38:39], v[38:39], v[138:139]
	s_waitcnt vmcnt(2)
	v_add_f64 v[2:3], v[134:135], -v[2:3]
	s_waitcnt vmcnt(0)
	v_add_f64 v[4:5], v[136:137], -v[38:39]
	buffer_store_dword v3, off, s[0:3], 0 offset:292
	buffer_store_dword v2, off, s[0:3], 0 offset:288
	;; [unrolled: 1-line block ×4, first 2 shown]
	s_and_saveexec_b64 s[4:5], vcc
	s_cbranch_execz .LBB97_185
; %bb.184:
	v_accvgpr_read_b32 v5, a78
	buffer_load_dword v2, v5, s[0:3], 0 offen
	buffer_load_dword v3, v5, s[0:3], 0 offen offset:4
	buffer_load_dword v4, v5, s[0:3], 0 offen offset:8
	s_nop 0
	buffer_load_dword v5, v5, s[0:3], 0 offen offset:12
	v_mov_b32_e32 v6, 0
	buffer_store_dword v6, off, s[0:3], 0 offset:272
	buffer_store_dword v6, off, s[0:3], 0 offset:276
	;; [unrolled: 1-line block ×4, first 2 shown]
	s_waitcnt vmcnt(4)
	ds_write_b128 v1, v[2:5]
.LBB97_185:
	s_or_b64 exec, exec, s[4:5]
	s_waitcnt lgkmcnt(0)
	; wave barrier
	s_waitcnt lgkmcnt(0)
	buffer_load_dword v2, off, s[0:3], 0 offset:288
	buffer_load_dword v3, off, s[0:3], 0 offset:292
	;; [unrolled: 1-line block ×68, first 2 shown]
	v_mov_b32_e32 v52, 0
	ds_read_b128 v[42:45], v52 offset:816
	ds_read_b128 v[46:49], v52 offset:832
	buffer_load_dword v142, off, s[0:3], 0 offset:272
	buffer_load_dword v143, off, s[0:3], 0 offset:276
	;; [unrolled: 1-line block ×4, first 2 shown]
	ds_read_b128 v[54:57], v52 offset:848
	ds_read_b128 v[58:61], v52 offset:864
	;; [unrolled: 1-line block ×3, first 2 shown]
	v_cmp_lt_u32_e32 vcc, 15, v0
	s_waitcnt vmcnt(62) lgkmcnt(4)
	v_mul_f64 v[62:63], v[42:43], v[8:9]
	v_fmac_f64_e32 v[62:63], v[44:45], v[2:3]
	v_add_f64 v[62:63], v[62:63], 0
	v_mul_f64 v[8:9], v[44:45], v[8:9]
	s_waitcnt lgkmcnt(3)
	v_mul_f64 v[64:65], v[46:47], v[10:11]
	v_fmac_f64_e32 v[64:65], v[48:49], v[4:5]
	v_add_f64 v[62:63], v[62:63], v[64:65]
	v_fma_f64 v[2:3], v[42:43], v[2:3], -v[8:9]
	s_waitcnt vmcnt(60) lgkmcnt(2)
	v_mul_f64 v[64:65], v[54:55], v[12:13]
	v_fmac_f64_e32 v[64:65], v[56:57], v[6:7]
	v_add_f64 v[66:67], v[62:63], v[64:65]
	ds_read_b128 v[62:65], v52 offset:880
	s_waitcnt vmcnt(56) lgkmcnt(2)
	v_mul_f64 v[68:69], v[58:59], v[18:19]
	v_mul_f64 v[8:9], v[48:49], v[10:11]
	s_waitcnt vmcnt(54)
	v_fmac_f64_e32 v[68:69], v[60:61], v[20:21]
	v_add_f64 v[70:71], v[66:67], v[68:69]
	ds_read_b128 v[66:69], v52 offset:896
	s_waitcnt vmcnt(52) lgkmcnt(1)
	v_mul_f64 v[72:73], v[62:63], v[14:15]
	v_fmac_f64_e32 v[72:73], v[64:65], v[16:17]
	v_add_f64 v[74:75], v[70:71], v[72:73]
	ds_read_b128 v[70:73], v52 offset:912
	s_waitcnt vmcnt(48) lgkmcnt(1)
	v_mul_f64 v[76:77], v[66:67], v[26:27]
	s_waitcnt vmcnt(46)
	v_fmac_f64_e32 v[76:77], v[68:69], v[28:29]
	v_add_f64 v[78:79], v[74:75], v[76:77]
	ds_read_b128 v[74:77], v52 offset:928
	s_waitcnt vmcnt(44) lgkmcnt(1)
	v_mul_f64 v[80:81], v[70:71], v[22:23]
	v_fmac_f64_e32 v[80:81], v[72:73], v[24:25]
	v_add_f64 v[82:83], v[78:79], v[80:81]
	ds_read_b128 v[78:81], v52 offset:944
	s_waitcnt vmcnt(40) lgkmcnt(1)
	v_mul_f64 v[84:85], v[74:75], v[34:35]
	s_waitcnt vmcnt(38)
	v_fmac_f64_e32 v[84:85], v[76:77], v[36:37]
	v_add_f64 v[2:3], v[2:3], 0
	v_fma_f64 v[4:5], v[46:47], v[4:5], -v[8:9]
	v_add_f64 v[86:87], v[82:83], v[84:85]
	ds_read_b128 v[82:85], v52 offset:960
	v_add_f64 v[2:3], v[2:3], v[4:5]
	v_mul_f64 v[4:5], v[56:57], v[12:13]
	v_fma_f64 v[4:5], v[54:55], v[6:7], -v[4:5]
	v_add_f64 v[2:3], v[2:3], v[4:5]
	v_mul_f64 v[4:5], v[60:61], v[18:19]
	s_waitcnt vmcnt(36) lgkmcnt(1)
	v_mul_f64 v[88:89], v[78:79], v[30:31]
	v_fma_f64 v[4:5], v[58:59], v[20:21], -v[4:5]
	v_fmac_f64_e32 v[88:89], v[80:81], v[32:33]
	v_add_f64 v[2:3], v[2:3], v[4:5]
	v_mul_f64 v[4:5], v[64:65], v[14:15]
	v_add_f64 v[90:91], v[86:87], v[88:89]
	ds_read_b128 v[86:89], v52 offset:976
	s_waitcnt vmcnt(32) lgkmcnt(1)
	v_mul_f64 v[92:93], v[82:83], v[50:51]
	v_fma_f64 v[4:5], v[62:63], v[16:17], -v[4:5]
	s_waitcnt vmcnt(30)
	v_fmac_f64_e32 v[92:93], v[84:85], v[114:115]
	v_add_f64 v[2:3], v[2:3], v[4:5]
	v_mul_f64 v[4:5], v[68:69], v[26:27]
	v_add_f64 v[94:95], v[90:91], v[92:93]
	ds_read_b128 v[90:93], v52 offset:992
	v_fma_f64 v[4:5], v[66:67], v[28:29], -v[4:5]
	v_add_f64 v[2:3], v[2:3], v[4:5]
	v_mul_f64 v[4:5], v[72:73], v[22:23]
	v_fma_f64 v[4:5], v[70:71], v[24:25], -v[4:5]
	s_waitcnt vmcnt(28) lgkmcnt(1)
	v_mul_f64 v[96:97], v[86:87], v[38:39]
	v_add_f64 v[2:3], v[2:3], v[4:5]
	v_mul_f64 v[4:5], v[76:77], v[34:35]
	v_fmac_f64_e32 v[96:97], v[88:89], v[40:41]
	v_fma_f64 v[4:5], v[74:75], v[36:37], -v[4:5]
	v_add_f64 v[98:99], v[94:95], v[96:97]
	ds_read_b128 v[94:97], v52 offset:1008
	s_waitcnt vmcnt(24) lgkmcnt(1)
	v_mul_f64 v[100:101], v[90:91], v[122:123]
	v_add_f64 v[2:3], v[2:3], v[4:5]
	v_mul_f64 v[4:5], v[80:81], v[30:31]
	s_waitcnt vmcnt(22)
	v_fmac_f64_e32 v[100:101], v[92:93], v[124:125]
	v_fma_f64 v[4:5], v[78:79], v[32:33], -v[4:5]
	v_add_f64 v[102:103], v[98:99], v[100:101]
	ds_read_b128 v[98:101], v52 offset:1024
	v_add_f64 v[2:3], v[2:3], v[4:5]
	v_mul_f64 v[4:5], v[84:85], v[50:51]
	v_fma_f64 v[4:5], v[82:83], v[114:115], -v[4:5]
	v_add_f64 v[2:3], v[2:3], v[4:5]
	v_mul_f64 v[4:5], v[88:89], v[38:39]
	s_waitcnt vmcnt(20) lgkmcnt(1)
	v_mul_f64 v[104:105], v[94:95], v[116:117]
	v_fma_f64 v[4:5], v[86:87], v[40:41], -v[4:5]
	v_fmac_f64_e32 v[104:105], v[96:97], v[118:119]
	v_add_f64 v[2:3], v[2:3], v[4:5]
	v_mul_f64 v[4:5], v[92:93], v[122:123]
	v_add_f64 v[106:107], v[102:103], v[104:105]
	ds_read_b128 v[102:105], v52 offset:1040
	s_waitcnt vmcnt(16) lgkmcnt(1)
	v_mul_f64 v[108:109], v[98:99], v[130:131]
	v_fma_f64 v[4:5], v[90:91], v[124:125], -v[4:5]
	s_waitcnt vmcnt(14)
	v_fmac_f64_e32 v[108:109], v[100:101], v[132:133]
	v_add_f64 v[2:3], v[2:3], v[4:5]
	v_mul_f64 v[4:5], v[96:97], v[116:117]
	v_add_f64 v[146:147], v[106:107], v[108:109]
	ds_read_b128 v[106:109], v52 offset:1056
	v_fma_f64 v[4:5], v[94:95], v[118:119], -v[4:5]
	v_add_f64 v[2:3], v[2:3], v[4:5]
	v_mul_f64 v[4:5], v[100:101], v[130:131]
	v_fma_f64 v[4:5], v[98:99], v[132:133], -v[4:5]
	v_add_f64 v[2:3], v[2:3], v[4:5]
	s_waitcnt vmcnt(12) lgkmcnt(1)
	v_mul_f64 v[4:5], v[104:105], v[126:127]
	v_mul_f64 v[148:149], v[102:103], v[126:127]
	v_fma_f64 v[4:5], v[102:103], v[128:129], -v[4:5]
	v_fmac_f64_e32 v[148:149], v[104:105], v[128:129]
	v_add_f64 v[2:3], v[2:3], v[4:5]
	s_waitcnt vmcnt(8) lgkmcnt(0)
	v_mul_f64 v[4:5], v[108:109], v[138:139]
	v_add_f64 v[146:147], v[146:147], v[148:149]
	v_mul_f64 v[148:149], v[106:107], v[138:139]
	s_waitcnt vmcnt(6)
	v_fma_f64 v[4:5], v[106:107], v[140:141], -v[4:5]
	v_fmac_f64_e32 v[148:149], v[108:109], v[140:141]
	v_add_f64 v[2:3], v[2:3], v[4:5]
	s_waitcnt vmcnt(5)
	v_mul_f64 v[4:5], v[112:113], v[134:135]
	v_add_f64 v[146:147], v[146:147], v[148:149]
	v_mul_f64 v[148:149], v[110:111], v[134:135]
	s_waitcnt vmcnt(4)
	v_fma_f64 v[4:5], v[110:111], v[136:137], -v[4:5]
	v_fmac_f64_e32 v[148:149], v[112:113], v[136:137]
	v_add_f64 v[2:3], v[2:3], v[4:5]
	v_add_f64 v[146:147], v[146:147], v[148:149]
	s_waitcnt vmcnt(2)
	v_add_f64 v[2:3], v[142:143], -v[2:3]
	s_waitcnt vmcnt(0)
	v_add_f64 v[4:5], v[144:145], -v[146:147]
	buffer_store_dword v3, off, s[0:3], 0 offset:276
	buffer_store_dword v2, off, s[0:3], 0 offset:272
	;; [unrolled: 1-line block ×4, first 2 shown]
	s_and_saveexec_b64 s[4:5], vcc
	s_cbranch_execz .LBB97_187
; %bb.186:
	v_accvgpr_read_b32 v5, a79
	buffer_load_dword v2, v5, s[0:3], 0 offen
	buffer_load_dword v3, v5, s[0:3], 0 offen offset:4
	buffer_load_dword v4, v5, s[0:3], 0 offen offset:8
	s_nop 0
	buffer_load_dword v5, v5, s[0:3], 0 offen offset:12
	s_nop 0
	buffer_store_dword v52, off, s[0:3], 0 offset:256
	buffer_store_dword v52, off, s[0:3], 0 offset:260
	;; [unrolled: 1-line block ×4, first 2 shown]
	s_waitcnt vmcnt(4)
	ds_write_b128 v1, v[2:5]
.LBB97_187:
	s_or_b64 exec, exec, s[4:5]
	s_waitcnt lgkmcnt(0)
	; wave barrier
	s_waitcnt lgkmcnt(0)
	buffer_load_dword v2, off, s[0:3], 0 offset:272
	buffer_load_dword v3, off, s[0:3], 0 offset:276
	;; [unrolled: 1-line block ×72, first 2 shown]
	ds_read_b128 v[54:57], v52 offset:800
	buffer_load_dword v150, off, s[0:3], 0 offset:256
	buffer_load_dword v151, off, s[0:3], 0 offset:260
	;; [unrolled: 1-line block ×4, first 2 shown]
	ds_read_b128 v[58:61], v52 offset:816
	ds_read_b128 v[62:65], v52 offset:832
	;; [unrolled: 1-line block ×3, first 2 shown]
	v_cmp_lt_u32_e32 vcc, 14, v0
	ds_read_b128 v[126:129], v52 offset:1072
	s_waitcnt vmcnt(62) lgkmcnt(4)
	v_mul_f64 v[70:71], v[54:55], v[8:9]
	v_fmac_f64_e32 v[70:71], v[56:57], v[2:3]
	v_add_f64 v[70:71], v[70:71], 0
	v_mul_f64 v[8:9], v[56:57], v[8:9]
	s_waitcnt lgkmcnt(3)
	v_mul_f64 v[72:73], v[58:59], v[10:11]
	v_fmac_f64_e32 v[72:73], v[60:61], v[4:5]
	v_add_f64 v[70:71], v[70:71], v[72:73]
	v_fma_f64 v[2:3], v[54:55], v[2:3], -v[8:9]
	s_waitcnt lgkmcnt(2)
	v_mul_f64 v[72:73], v[62:63], v[12:13]
	v_fmac_f64_e32 v[72:73], v[64:65], v[6:7]
	v_add_f64 v[74:75], v[70:71], v[72:73]
	ds_read_b128 v[70:73], v52 offset:864
	s_waitcnt vmcnt(60) lgkmcnt(2)
	v_mul_f64 v[76:77], v[66:67], v[18:19]
	v_mul_f64 v[8:9], v[60:61], v[10:11]
	s_waitcnt vmcnt(58)
	v_fmac_f64_e32 v[76:77], v[68:69], v[20:21]
	v_add_f64 v[78:79], v[74:75], v[76:77]
	ds_read_b128 v[74:77], v52 offset:880
	s_waitcnt vmcnt(57) lgkmcnt(1)
	v_mul_f64 v[80:81], v[70:71], v[14:15]
	s_waitcnt vmcnt(56)
	v_fmac_f64_e32 v[80:81], v[72:73], v[16:17]
	v_add_f64 v[82:83], v[78:79], v[80:81]
	ds_read_b128 v[78:81], v52 offset:896
	s_waitcnt vmcnt(52) lgkmcnt(1)
	;; [unrolled: 6-line block ×4, first 2 shown]
	v_mul_f64 v[92:93], v[82:83], v[34:35]
	s_waitcnt vmcnt(42)
	v_fmac_f64_e32 v[92:93], v[84:85], v[36:37]
	v_add_f64 v[2:3], v[2:3], 0
	v_fma_f64 v[4:5], v[58:59], v[4:5], -v[8:9]
	v_add_f64 v[94:95], v[90:91], v[92:93]
	ds_read_b128 v[90:93], v52 offset:944
	s_waitcnt vmcnt(41) lgkmcnt(1)
	v_mul_f64 v[96:97], v[86:87], v[30:31]
	v_add_f64 v[2:3], v[2:3], v[4:5]
	v_mul_f64 v[4:5], v[64:65], v[12:13]
	s_waitcnt vmcnt(40)
	v_fmac_f64_e32 v[96:97], v[88:89], v[32:33]
	v_fma_f64 v[4:5], v[62:63], v[6:7], -v[4:5]
	v_add_f64 v[98:99], v[94:95], v[96:97]
	ds_read_b128 v[94:97], v52 offset:960
	v_add_f64 v[2:3], v[2:3], v[4:5]
	v_mul_f64 v[4:5], v[68:69], v[18:19]
	v_fma_f64 v[4:5], v[66:67], v[20:21], -v[4:5]
	v_add_f64 v[2:3], v[2:3], v[4:5]
	v_mul_f64 v[4:5], v[72:73], v[14:15]
	s_waitcnt vmcnt(36) lgkmcnt(1)
	v_mul_f64 v[100:101], v[90:91], v[42:43]
	v_fma_f64 v[4:5], v[70:71], v[16:17], -v[4:5]
	s_waitcnt vmcnt(34)
	v_fmac_f64_e32 v[100:101], v[92:93], v[44:45]
	v_add_f64 v[2:3], v[2:3], v[4:5]
	v_mul_f64 v[4:5], v[76:77], v[26:27]
	v_add_f64 v[102:103], v[98:99], v[100:101]
	ds_read_b128 v[98:101], v52 offset:976
	s_waitcnt vmcnt(33) lgkmcnt(1)
	v_mul_f64 v[104:105], v[94:95], v[38:39]
	v_fma_f64 v[4:5], v[74:75], v[28:29], -v[4:5]
	s_waitcnt vmcnt(32)
	v_fmac_f64_e32 v[104:105], v[96:97], v[40:41]
	v_add_f64 v[2:3], v[2:3], v[4:5]
	v_mul_f64 v[4:5], v[80:81], v[22:23]
	v_add_f64 v[106:107], v[102:103], v[104:105]
	ds_read_b128 v[102:105], v52 offset:992
	v_fma_f64 v[4:5], v[78:79], v[24:25], -v[4:5]
	v_add_f64 v[2:3], v[2:3], v[4:5]
	v_mul_f64 v[4:5], v[84:85], v[34:35]
	v_fma_f64 v[4:5], v[82:83], v[36:37], -v[4:5]
	s_waitcnt vmcnt(28) lgkmcnt(1)
	v_mul_f64 v[108:109], v[98:99], v[50:51]
	v_add_f64 v[2:3], v[2:3], v[4:5]
	v_mul_f64 v[4:5], v[88:89], v[30:31]
	s_waitcnt vmcnt(26)
	v_fmac_f64_e32 v[108:109], v[100:101], v[118:119]
	v_fma_f64 v[4:5], v[86:87], v[32:33], -v[4:5]
	v_add_f64 v[110:111], v[106:107], v[108:109]
	ds_read_b128 v[106:109], v52 offset:1008
	s_waitcnt vmcnt(25) lgkmcnt(1)
	v_mul_f64 v[112:113], v[102:103], v[46:47]
	v_add_f64 v[2:3], v[2:3], v[4:5]
	v_mul_f64 v[4:5], v[92:93], v[42:43]
	s_waitcnt vmcnt(24)
	v_fmac_f64_e32 v[112:113], v[104:105], v[48:49]
	v_fma_f64 v[4:5], v[90:91], v[44:45], -v[4:5]
	v_add_f64 v[114:115], v[110:111], v[112:113]
	ds_read_b128 v[110:113], v52 offset:1024
	v_add_f64 v[2:3], v[2:3], v[4:5]
	v_mul_f64 v[4:5], v[96:97], v[38:39]
	v_fma_f64 v[4:5], v[94:95], v[40:41], -v[4:5]
	v_add_f64 v[2:3], v[2:3], v[4:5]
	v_mul_f64 v[4:5], v[100:101], v[50:51]
	s_waitcnt vmcnt(20) lgkmcnt(1)
	v_mul_f64 v[116:117], v[106:107], v[134:135]
	v_fma_f64 v[4:5], v[98:99], v[118:119], -v[4:5]
	s_waitcnt vmcnt(18)
	v_fmac_f64_e32 v[116:117], v[108:109], v[136:137]
	v_add_f64 v[2:3], v[2:3], v[4:5]
	v_mul_f64 v[4:5], v[104:105], v[46:47]
	v_add_f64 v[122:123], v[114:115], v[116:117]
	ds_read_b128 v[114:117], v52 offset:1040
	s_waitcnt vmcnt(17) lgkmcnt(1)
	v_mul_f64 v[124:125], v[110:111], v[130:131]
	v_fma_f64 v[4:5], v[102:103], v[48:49], -v[4:5]
	s_waitcnt vmcnt(16)
	v_fmac_f64_e32 v[124:125], v[112:113], v[132:133]
	v_add_f64 v[2:3], v[2:3], v[4:5]
	v_mul_f64 v[4:5], v[108:109], v[134:135]
	v_add_f64 v[154:155], v[122:123], v[124:125]
	ds_read_b128 v[122:125], v52 offset:1056
	v_fma_f64 v[4:5], v[106:107], v[136:137], -v[4:5]
	v_add_f64 v[2:3], v[2:3], v[4:5]
	v_mul_f64 v[4:5], v[112:113], v[130:131]
	v_fma_f64 v[4:5], v[110:111], v[132:133], -v[4:5]
	v_add_f64 v[2:3], v[2:3], v[4:5]
	s_waitcnt vmcnt(12) lgkmcnt(1)
	v_mul_f64 v[4:5], v[116:117], v[142:143]
	v_mul_f64 v[156:157], v[114:115], v[142:143]
	s_waitcnt vmcnt(10)
	v_fma_f64 v[4:5], v[114:115], v[144:145], -v[4:5]
	v_fmac_f64_e32 v[156:157], v[116:117], v[144:145]
	v_add_f64 v[2:3], v[2:3], v[4:5]
	s_waitcnt vmcnt(9) lgkmcnt(0)
	v_mul_f64 v[4:5], v[124:125], v[138:139]
	v_add_f64 v[52:53], v[154:155], v[156:157]
	v_mul_f64 v[154:155], v[122:123], v[138:139]
	s_waitcnt vmcnt(8)
	v_fma_f64 v[4:5], v[122:123], v[140:141], -v[4:5]
	v_fmac_f64_e32 v[154:155], v[124:125], v[140:141]
	v_add_f64 v[2:3], v[2:3], v[4:5]
	s_waitcnt vmcnt(6)
	v_mul_f64 v[4:5], v[128:129], v[146:147]
	v_add_f64 v[52:53], v[52:53], v[154:155]
	v_mul_f64 v[154:155], v[126:127], v[146:147]
	s_waitcnt vmcnt(4)
	v_fma_f64 v[4:5], v[126:127], v[148:149], -v[4:5]
	v_fmac_f64_e32 v[154:155], v[128:129], v[148:149]
	v_add_f64 v[2:3], v[2:3], v[4:5]
	v_add_f64 v[52:53], v[52:53], v[154:155]
	s_waitcnt vmcnt(2)
	v_add_f64 v[2:3], v[150:151], -v[2:3]
	s_waitcnt vmcnt(0)
	v_add_f64 v[4:5], v[152:153], -v[52:53]
	buffer_store_dword v3, off, s[0:3], 0 offset:260
	buffer_store_dword v2, off, s[0:3], 0 offset:256
	;; [unrolled: 1-line block ×4, first 2 shown]
	s_and_saveexec_b64 s[4:5], vcc
	s_cbranch_execz .LBB97_189
; %bb.188:
	v_accvgpr_read_b32 v5, a80
	buffer_load_dword v2, v5, s[0:3], 0 offen
	buffer_load_dword v3, v5, s[0:3], 0 offen offset:4
	buffer_load_dword v4, v5, s[0:3], 0 offen offset:8
	s_nop 0
	buffer_load_dword v5, v5, s[0:3], 0 offen offset:12
	v_mov_b32_e32 v6, 0
	buffer_store_dword v6, off, s[0:3], 0 offset:240
	buffer_store_dword v6, off, s[0:3], 0 offset:244
	;; [unrolled: 1-line block ×4, first 2 shown]
	s_waitcnt vmcnt(4)
	ds_write_b128 v1, v[2:5]
.LBB97_189:
	s_or_b64 exec, exec, s[4:5]
	s_waitcnt lgkmcnt(0)
	; wave barrier
	s_waitcnt lgkmcnt(0)
	buffer_load_dword v2, off, s[0:3], 0 offset:256
	buffer_load_dword v3, off, s[0:3], 0 offset:260
	;; [unrolled: 1-line block ×76, first 2 shown]
	v_mov_b32_e32 v54, 0
	ds_read_b128 v[56:59], v54 offset:784
	buffer_load_dword v158, off, s[0:3], 0 offset:240
	buffer_load_dword v159, off, s[0:3], 0 offset:244
	;; [unrolled: 1-line block ×4, first 2 shown]
	ds_read_b128 v[60:63], v54 offset:800
	ds_read_b128 v[64:67], v54 offset:816
	;; [unrolled: 1-line block ×4, first 2 shown]
	v_cmp_lt_u32_e32 vcc, 13, v0
	s_waitcnt vmcnt(62) lgkmcnt(4)
	v_mul_f64 v[72:73], v[56:57], v[8:9]
	v_fmac_f64_e32 v[72:73], v[58:59], v[2:3]
	v_add_f64 v[72:73], v[72:73], 0
	v_mul_f64 v[8:9], v[58:59], v[8:9]
	s_waitcnt lgkmcnt(3)
	v_mul_f64 v[74:75], v[60:61], v[10:11]
	v_fmac_f64_e32 v[74:75], v[62:63], v[4:5]
	v_add_f64 v[72:73], v[72:73], v[74:75]
	v_fma_f64 v[2:3], v[56:57], v[2:3], -v[8:9]
	s_waitcnt lgkmcnt(2)
	v_mul_f64 v[74:75], v[64:65], v[12:13]
	v_fmac_f64_e32 v[74:75], v[66:67], v[6:7]
	v_add_f64 v[76:77], v[72:73], v[74:75]
	ds_read_b128 v[72:75], v54 offset:848
	s_waitcnt lgkmcnt(2)
	v_mul_f64 v[78:79], v[68:69], v[18:19]
	v_mul_f64 v[8:9], v[62:63], v[10:11]
	v_fmac_f64_e32 v[78:79], v[70:71], v[20:21]
	v_add_f64 v[80:81], v[76:77], v[78:79]
	ds_read_b128 v[76:79], v54 offset:864
	s_waitcnt vmcnt(61) lgkmcnt(1)
	v_mul_f64 v[82:83], v[72:73], v[14:15]
	s_waitcnt vmcnt(60)
	v_fmac_f64_e32 v[82:83], v[74:75], v[16:17]
	v_add_f64 v[84:85], v[80:81], v[82:83]
	ds_read_b128 v[80:83], v54 offset:880
	s_waitcnt vmcnt(56) lgkmcnt(1)
	v_mul_f64 v[86:87], v[76:77], v[26:27]
	s_waitcnt vmcnt(54)
	;; [unrolled: 6-line block ×4, first 2 shown]
	v_fmac_f64_e32 v[94:95], v[86:87], v[36:37]
	v_add_f64 v[96:97], v[92:93], v[94:95]
	ds_read_b128 v[92:95], v54 offset:928
	v_add_f64 v[2:3], v[2:3], 0
	v_fma_f64 v[4:5], v[60:61], v[4:5], -v[8:9]
	s_waitcnt vmcnt(45) lgkmcnt(1)
	v_mul_f64 v[98:99], v[88:89], v[30:31]
	v_add_f64 v[2:3], v[2:3], v[4:5]
	v_mul_f64 v[4:5], v[66:67], v[12:13]
	s_waitcnt vmcnt(44)
	v_fmac_f64_e32 v[98:99], v[90:91], v[32:33]
	v_fma_f64 v[4:5], v[64:65], v[6:7], -v[4:5]
	v_add_f64 v[100:101], v[96:97], v[98:99]
	ds_read_b128 v[96:99], v54 offset:944
	s_waitcnt vmcnt(40) lgkmcnt(1)
	v_mul_f64 v[102:103], v[92:93], v[42:43]
	v_add_f64 v[2:3], v[2:3], v[4:5]
	v_mul_f64 v[4:5], v[70:71], v[18:19]
	s_waitcnt vmcnt(38)
	v_fmac_f64_e32 v[102:103], v[94:95], v[44:45]
	v_fma_f64 v[4:5], v[68:69], v[20:21], -v[4:5]
	v_add_f64 v[104:105], v[100:101], v[102:103]
	ds_read_b128 v[100:103], v54 offset:960
	v_add_f64 v[2:3], v[2:3], v[4:5]
	v_mul_f64 v[4:5], v[74:75], v[14:15]
	v_fma_f64 v[4:5], v[72:73], v[16:17], -v[4:5]
	v_add_f64 v[2:3], v[2:3], v[4:5]
	v_mul_f64 v[4:5], v[78:79], v[26:27]
	s_waitcnt vmcnt(37) lgkmcnt(1)
	v_mul_f64 v[106:107], v[96:97], v[38:39]
	v_fma_f64 v[4:5], v[76:77], v[28:29], -v[4:5]
	s_waitcnt vmcnt(36)
	v_fmac_f64_e32 v[106:107], v[98:99], v[40:41]
	v_add_f64 v[2:3], v[2:3], v[4:5]
	v_mul_f64 v[4:5], v[82:83], v[22:23]
	v_add_f64 v[108:109], v[104:105], v[106:107]
	ds_read_b128 v[104:107], v54 offset:976
	s_waitcnt vmcnt(32) lgkmcnt(1)
	v_mul_f64 v[110:111], v[100:101], v[50:51]
	v_fma_f64 v[4:5], v[80:81], v[24:25], -v[4:5]
	s_waitcnt vmcnt(30)
	v_fmac_f64_e32 v[110:111], v[102:103], v[52:53]
	v_add_f64 v[2:3], v[2:3], v[4:5]
	v_mul_f64 v[4:5], v[86:87], v[34:35]
	v_add_f64 v[112:113], v[108:109], v[110:111]
	ds_read_b128 v[108:111], v54 offset:992
	v_fma_f64 v[4:5], v[84:85], v[36:37], -v[4:5]
	v_add_f64 v[2:3], v[2:3], v[4:5]
	v_mul_f64 v[4:5], v[90:91], v[30:31]
	v_fma_f64 v[4:5], v[88:89], v[32:33], -v[4:5]
	s_waitcnt vmcnt(29) lgkmcnt(1)
	v_mul_f64 v[114:115], v[104:105], v[46:47]
	v_add_f64 v[2:3], v[2:3], v[4:5]
	v_mul_f64 v[4:5], v[94:95], v[42:43]
	s_waitcnt vmcnt(28)
	v_fmac_f64_e32 v[114:115], v[106:107], v[48:49]
	v_fma_f64 v[4:5], v[92:93], v[44:45], -v[4:5]
	v_add_f64 v[116:117], v[112:113], v[114:115]
	ds_read_b128 v[112:115], v54 offset:1008
	s_waitcnt vmcnt(24) lgkmcnt(1)
	v_mul_f64 v[118:119], v[108:109], v[138:139]
	v_add_f64 v[2:3], v[2:3], v[4:5]
	v_mul_f64 v[4:5], v[98:99], v[38:39]
	s_waitcnt vmcnt(22)
	v_fmac_f64_e32 v[118:119], v[110:111], v[140:141]
	v_fma_f64 v[4:5], v[96:97], v[40:41], -v[4:5]
	v_add_f64 v[122:123], v[116:117], v[118:119]
	ds_read_b128 v[116:119], v54 offset:1024
	v_add_f64 v[2:3], v[2:3], v[4:5]
	v_mul_f64 v[4:5], v[102:103], v[50:51]
	v_fma_f64 v[4:5], v[100:101], v[52:53], -v[4:5]
	v_add_f64 v[2:3], v[2:3], v[4:5]
	v_mul_f64 v[4:5], v[106:107], v[46:47]
	s_waitcnt vmcnt(21) lgkmcnt(1)
	v_mul_f64 v[124:125], v[112:113], v[134:135]
	v_fma_f64 v[4:5], v[104:105], v[48:49], -v[4:5]
	s_waitcnt vmcnt(20)
	v_fmac_f64_e32 v[124:125], v[114:115], v[136:137]
	v_add_f64 v[2:3], v[2:3], v[4:5]
	v_mul_f64 v[4:5], v[110:111], v[138:139]
	v_add_f64 v[126:127], v[122:123], v[124:125]
	ds_read_b128 v[122:125], v54 offset:1040
	s_waitcnt vmcnt(16) lgkmcnt(1)
	v_mul_f64 v[128:129], v[116:117], v[146:147]
	v_fma_f64 v[4:5], v[108:109], v[140:141], -v[4:5]
	s_waitcnt vmcnt(14)
	v_fmac_f64_e32 v[128:129], v[118:119], v[148:149]
	v_add_f64 v[2:3], v[2:3], v[4:5]
	v_mul_f64 v[4:5], v[114:115], v[134:135]
	v_add_f64 v[162:163], v[126:127], v[128:129]
	ds_read_b128 v[126:129], v54 offset:1056
	v_fma_f64 v[4:5], v[112:113], v[136:137], -v[4:5]
	v_add_f64 v[2:3], v[2:3], v[4:5]
	v_mul_f64 v[4:5], v[118:119], v[146:147]
	v_fma_f64 v[4:5], v[116:117], v[148:149], -v[4:5]
	v_add_f64 v[2:3], v[2:3], v[4:5]
	s_waitcnt vmcnt(13) lgkmcnt(1)
	v_mul_f64 v[4:5], v[124:125], v[142:143]
	v_mul_f64 v[164:165], v[122:123], v[142:143]
	s_waitcnt vmcnt(12)
	v_fma_f64 v[4:5], v[122:123], v[144:145], -v[4:5]
	v_fmac_f64_e32 v[164:165], v[124:125], v[144:145]
	v_add_f64 v[2:3], v[2:3], v[4:5]
	s_waitcnt vmcnt(8) lgkmcnt(0)
	v_mul_f64 v[4:5], v[128:129], v[154:155]
	v_add_f64 v[162:163], v[162:163], v[164:165]
	v_mul_f64 v[164:165], v[126:127], v[154:155]
	s_waitcnt vmcnt(6)
	v_fma_f64 v[4:5], v[126:127], v[156:157], -v[4:5]
	v_fmac_f64_e32 v[164:165], v[128:129], v[156:157]
	v_add_f64 v[2:3], v[2:3], v[4:5]
	s_waitcnt vmcnt(5)
	v_mul_f64 v[4:5], v[132:133], v[150:151]
	v_add_f64 v[162:163], v[162:163], v[164:165]
	v_mul_f64 v[164:165], v[130:131], v[150:151]
	s_waitcnt vmcnt(4)
	v_fma_f64 v[4:5], v[130:131], v[152:153], -v[4:5]
	v_fmac_f64_e32 v[164:165], v[132:133], v[152:153]
	v_add_f64 v[2:3], v[2:3], v[4:5]
	v_add_f64 v[162:163], v[162:163], v[164:165]
	s_waitcnt vmcnt(2)
	v_add_f64 v[2:3], v[158:159], -v[2:3]
	s_waitcnt vmcnt(0)
	v_add_f64 v[4:5], v[160:161], -v[162:163]
	buffer_store_dword v3, off, s[0:3], 0 offset:244
	buffer_store_dword v2, off, s[0:3], 0 offset:240
	;; [unrolled: 1-line block ×4, first 2 shown]
	s_and_saveexec_b64 s[4:5], vcc
	s_cbranch_execz .LBB97_191
; %bb.190:
	v_accvgpr_read_b32 v5, a81
	buffer_load_dword v2, v5, s[0:3], 0 offen
	buffer_load_dword v3, v5, s[0:3], 0 offen offset:4
	buffer_load_dword v4, v5, s[0:3], 0 offen offset:8
	s_nop 0
	buffer_load_dword v5, v5, s[0:3], 0 offen offset:12
	s_nop 0
	buffer_store_dword v54, off, s[0:3], 0 offset:224
	buffer_store_dword v54, off, s[0:3], 0 offset:228
	;; [unrolled: 1-line block ×4, first 2 shown]
	s_waitcnt vmcnt(4)
	ds_write_b128 v1, v[2:5]
.LBB97_191:
	s_or_b64 exec, exec, s[4:5]
	s_waitcnt lgkmcnt(0)
	; wave barrier
	s_waitcnt lgkmcnt(0)
	buffer_load_dword v2, off, s[0:3], 0 offset:240
	buffer_load_dword v3, off, s[0:3], 0 offset:244
	;; [unrolled: 1-line block ×76, first 2 shown]
	ds_read_b128 v[56:59], v54 offset:768
	buffer_load_dword v163, off, s[0:3], 0 offset:556
	buffer_load_dword v162, off, s[0:3], 0 offset:552
	;; [unrolled: 1-line block ×8, first 2 shown]
	ds_read_b128 v[60:63], v54 offset:784
	ds_read_b128 v[64:67], v54 offset:800
	;; [unrolled: 1-line block ×3, first 2 shown]
	v_cmp_lt_u32_e32 vcc, 12, v0
	ds_read_b128 v[134:137], v54 offset:1072
	s_waitcnt vmcnt(62) lgkmcnt(4)
	v_mul_f64 v[72:73], v[56:57], v[8:9]
	v_fmac_f64_e32 v[72:73], v[58:59], v[2:3]
	v_add_f64 v[72:73], v[72:73], 0
	v_mul_f64 v[8:9], v[58:59], v[8:9]
	s_waitcnt lgkmcnt(3)
	v_mul_f64 v[74:75], v[60:61], v[10:11]
	v_fmac_f64_e32 v[74:75], v[62:63], v[4:5]
	v_add_f64 v[72:73], v[72:73], v[74:75]
	v_fma_f64 v[2:3], v[56:57], v[2:3], -v[8:9]
	s_waitcnt lgkmcnt(2)
	v_mul_f64 v[74:75], v[64:65], v[12:13]
	v_fmac_f64_e32 v[74:75], v[66:67], v[6:7]
	v_add_f64 v[76:77], v[72:73], v[74:75]
	ds_read_b128 v[72:75], v54 offset:832
	v_mul_f64 v[8:9], v[62:63], v[10:11]
	v_add_f64 v[2:3], v[2:3], 0
	s_waitcnt lgkmcnt(2)
	v_mul_f64 v[78:79], v[68:69], v[18:19]
	v_fma_f64 v[4:5], v[60:61], v[4:5], -v[8:9]
	v_fmac_f64_e32 v[78:79], v[70:71], v[20:21]
	v_add_f64 v[80:81], v[76:77], v[78:79]
	ds_read_b128 v[76:79], v54 offset:848
	s_waitcnt lgkmcnt(1)
	v_mul_f64 v[82:83], v[72:73], v[14:15]
	v_fmac_f64_e32 v[82:83], v[74:75], v[16:17]
	v_add_f64 v[84:85], v[80:81], v[82:83]
	ds_read_b128 v[80:83], v54 offset:864
	s_waitcnt vmcnt(58) lgkmcnt(1)
	v_mul_f64 v[86:87], v[76:77], v[26:27]
	s_waitcnt vmcnt(56)
	v_fmac_f64_e32 v[86:87], v[78:79], v[28:29]
	v_add_f64 v[88:89], v[84:85], v[86:87]
	ds_read_b128 v[84:87], v54 offset:880
	s_waitcnt lgkmcnt(1)
	v_mul_f64 v[90:91], v[80:81], v[22:23]
	v_fmac_f64_e32 v[90:91], v[82:83], v[24:25]
	v_add_f64 v[92:93], v[88:89], v[90:91]
	ds_read_b128 v[88:91], v54 offset:896
	s_waitcnt vmcnt(50) lgkmcnt(1)
	v_mul_f64 v[94:95], v[84:85], v[34:35]
	s_waitcnt vmcnt(48)
	v_fmac_f64_e32 v[94:95], v[86:87], v[36:37]
	v_add_f64 v[96:97], v[92:93], v[94:95]
	ds_read_b128 v[92:95], v54 offset:912
	s_waitcnt lgkmcnt(1)
	v_mul_f64 v[98:99], v[88:89], v[30:31]
	v_fmac_f64_e32 v[98:99], v[90:91], v[32:33]
	v_add_f64 v[100:101], v[96:97], v[98:99]
	ds_read_b128 v[96:99], v54 offset:928
	v_add_f64 v[2:3], v[2:3], v[4:5]
	v_mul_f64 v[4:5], v[66:67], v[12:13]
	v_fma_f64 v[4:5], v[64:65], v[6:7], -v[4:5]
	s_waitcnt vmcnt(42) lgkmcnt(1)
	v_mul_f64 v[102:103], v[92:93], v[42:43]
	v_add_f64 v[2:3], v[2:3], v[4:5]
	v_mul_f64 v[4:5], v[70:71], v[18:19]
	s_waitcnt vmcnt(40)
	v_fmac_f64_e32 v[102:103], v[94:95], v[44:45]
	v_fma_f64 v[4:5], v[68:69], v[20:21], -v[4:5]
	v_add_f64 v[104:105], v[100:101], v[102:103]
	ds_read_b128 v[100:103], v54 offset:944
	s_waitcnt lgkmcnt(1)
	v_mul_f64 v[106:107], v[96:97], v[38:39]
	v_add_f64 v[2:3], v[2:3], v[4:5]
	v_mul_f64 v[4:5], v[74:75], v[14:15]
	v_fmac_f64_e32 v[106:107], v[98:99], v[40:41]
	v_fma_f64 v[4:5], v[72:73], v[16:17], -v[4:5]
	v_add_f64 v[108:109], v[104:105], v[106:107]
	ds_read_b128 v[104:107], v54 offset:960
	v_add_f64 v[2:3], v[2:3], v[4:5]
	v_mul_f64 v[4:5], v[78:79], v[26:27]
	v_fma_f64 v[4:5], v[76:77], v[28:29], -v[4:5]
	v_add_f64 v[2:3], v[2:3], v[4:5]
	v_mul_f64 v[4:5], v[82:83], v[22:23]
	s_waitcnt vmcnt(34) lgkmcnt(1)
	v_mul_f64 v[110:111], v[100:101], v[50:51]
	v_fma_f64 v[4:5], v[80:81], v[24:25], -v[4:5]
	s_waitcnt vmcnt(32)
	v_fmac_f64_e32 v[110:111], v[102:103], v[52:53]
	v_add_f64 v[2:3], v[2:3], v[4:5]
	v_mul_f64 v[4:5], v[86:87], v[34:35]
	v_add_f64 v[112:113], v[108:109], v[110:111]
	ds_read_b128 v[108:111], v54 offset:976
	s_waitcnt lgkmcnt(1)
	v_mul_f64 v[114:115], v[104:105], v[46:47]
	v_fma_f64 v[4:5], v[84:85], v[36:37], -v[4:5]
	v_fmac_f64_e32 v[114:115], v[106:107], v[48:49]
	v_add_f64 v[2:3], v[2:3], v[4:5]
	v_mul_f64 v[4:5], v[90:91], v[30:31]
	v_add_f64 v[116:117], v[112:113], v[114:115]
	ds_read_b128 v[112:115], v54 offset:992
	v_fma_f64 v[4:5], v[88:89], v[32:33], -v[4:5]
	v_add_f64 v[2:3], v[2:3], v[4:5]
	v_mul_f64 v[4:5], v[94:95], v[42:43]
	v_fma_f64 v[4:5], v[92:93], v[44:45], -v[4:5]
	s_waitcnt vmcnt(26) lgkmcnt(1)
	v_mul_f64 v[118:119], v[108:109], v[142:143]
	v_add_f64 v[2:3], v[2:3], v[4:5]
	v_mul_f64 v[4:5], v[98:99], v[38:39]
	s_waitcnt vmcnt(24)
	v_fmac_f64_e32 v[118:119], v[110:111], v[144:145]
	v_fma_f64 v[4:5], v[96:97], v[40:41], -v[4:5]
	v_add_f64 v[122:123], v[116:117], v[118:119]
	ds_read_b128 v[116:119], v54 offset:1008
	s_waitcnt lgkmcnt(1)
	v_mul_f64 v[124:125], v[112:113], v[138:139]
	v_add_f64 v[2:3], v[2:3], v[4:5]
	v_mul_f64 v[4:5], v[102:103], v[50:51]
	v_fmac_f64_e32 v[124:125], v[114:115], v[140:141]
	v_fma_f64 v[4:5], v[100:101], v[52:53], -v[4:5]
	v_add_f64 v[126:127], v[122:123], v[124:125]
	ds_read_b128 v[122:125], v54 offset:1024
	v_add_f64 v[2:3], v[2:3], v[4:5]
	v_mul_f64 v[4:5], v[106:107], v[46:47]
	v_fma_f64 v[4:5], v[104:105], v[48:49], -v[4:5]
	v_add_f64 v[2:3], v[2:3], v[4:5]
	v_mul_f64 v[4:5], v[110:111], v[142:143]
	s_waitcnt vmcnt(18) lgkmcnt(1)
	v_mul_f64 v[128:129], v[116:117], v[150:151]
	v_fma_f64 v[4:5], v[108:109], v[144:145], -v[4:5]
	s_waitcnt vmcnt(16)
	v_fmac_f64_e32 v[128:129], v[118:119], v[152:153]
	v_add_f64 v[2:3], v[2:3], v[4:5]
	v_mul_f64 v[4:5], v[114:115], v[138:139]
	v_add_f64 v[130:131], v[126:127], v[128:129]
	ds_read_b128 v[126:129], v54 offset:1040
	s_waitcnt lgkmcnt(1)
	v_mul_f64 v[132:133], v[122:123], v[146:147]
	v_fma_f64 v[4:5], v[112:113], v[140:141], -v[4:5]
	v_fmac_f64_e32 v[132:133], v[124:125], v[148:149]
	v_add_f64 v[2:3], v[2:3], v[4:5]
	v_mul_f64 v[4:5], v[118:119], v[150:151]
	v_add_f64 v[170:171], v[130:131], v[132:133]
	ds_read_b128 v[130:133], v54 offset:1056
	v_fma_f64 v[4:5], v[116:117], v[152:153], -v[4:5]
	v_add_f64 v[2:3], v[2:3], v[4:5]
	v_mul_f64 v[4:5], v[124:125], v[146:147]
	v_fma_f64 v[4:5], v[122:123], v[148:149], -v[4:5]
	v_add_f64 v[2:3], v[2:3], v[4:5]
	s_waitcnt vmcnt(10) lgkmcnt(1)
	v_mul_f64 v[4:5], v[128:129], v[158:159]
	v_mul_f64 v[172:173], v[126:127], v[158:159]
	s_waitcnt vmcnt(8)
	v_fma_f64 v[4:5], v[126:127], v[160:161], -v[4:5]
	v_fmac_f64_e32 v[172:173], v[128:129], v[160:161]
	v_add_f64 v[2:3], v[2:3], v[4:5]
	s_waitcnt lgkmcnt(0)
	v_mul_f64 v[4:5], v[132:133], v[154:155]
	v_add_f64 v[54:55], v[170:171], v[172:173]
	v_mul_f64 v[170:171], v[130:131], v[154:155]
	v_fma_f64 v[4:5], v[130:131], v[156:157], -v[4:5]
	v_fmac_f64_e32 v[170:171], v[132:133], v[156:157]
	v_add_f64 v[2:3], v[2:3], v[4:5]
	s_waitcnt vmcnt(6)
	v_mul_f64 v[4:5], v[136:137], v[162:163]
	v_add_f64 v[54:55], v[54:55], v[170:171]
	v_mul_f64 v[170:171], v[134:135], v[162:163]
	s_waitcnt vmcnt(4)
	v_fma_f64 v[4:5], v[134:135], v[164:165], -v[4:5]
	v_fmac_f64_e32 v[170:171], v[136:137], v[164:165]
	v_add_f64 v[2:3], v[2:3], v[4:5]
	v_add_f64 v[54:55], v[54:55], v[170:171]
	s_waitcnt vmcnt(2)
	v_add_f64 v[2:3], v[166:167], -v[2:3]
	s_waitcnt vmcnt(0)
	v_add_f64 v[4:5], v[168:169], -v[54:55]
	buffer_store_dword v3, off, s[0:3], 0 offset:228
	buffer_store_dword v2, off, s[0:3], 0 offset:224
	;; [unrolled: 1-line block ×4, first 2 shown]
	s_and_saveexec_b64 s[4:5], vcc
	s_cbranch_execz .LBB97_193
; %bb.192:
	v_accvgpr_read_b32 v5, a82
	buffer_load_dword v2, v5, s[0:3], 0 offen
	buffer_load_dword v3, v5, s[0:3], 0 offen offset:4
	buffer_load_dword v4, v5, s[0:3], 0 offen offset:8
	s_nop 0
	buffer_load_dword v5, v5, s[0:3], 0 offen offset:12
	v_mov_b32_e32 v6, 0
	buffer_store_dword v6, off, s[0:3], 0 offset:208
	buffer_store_dword v6, off, s[0:3], 0 offset:212
	buffer_store_dword v6, off, s[0:3], 0 offset:216
	buffer_store_dword v6, off, s[0:3], 0 offset:220
	s_waitcnt vmcnt(4)
	ds_write_b128 v1, v[2:5]
.LBB97_193:
	s_or_b64 exec, exec, s[4:5]
	s_waitcnt lgkmcnt(0)
	; wave barrier
	s_waitcnt lgkmcnt(0)
	buffer_load_dword v4, off, s[0:3], 0 offset:208
	buffer_load_dword v5, off, s[0:3], 0 offset:212
	;; [unrolled: 1-line block ×84, first 2 shown]
	v_mov_b32_e32 v86, 0
	ds_read_b128 v[66:69], v86 offset:752
	buffer_load_dword v175, off, s[0:3], 0 offset:556
	buffer_load_dword v174, off, s[0:3], 0 offset:552
	;; [unrolled: 1-line block ×4, first 2 shown]
	ds_read_b128 v[70:73], v86 offset:768
	ds_read_b128 v[74:77], v86 offset:784
	;; [unrolled: 1-line block ×4, first 2 shown]
	v_cmp_lt_u32_e32 vcc, 11, v0
	s_waitcnt vmcnt(62) lgkmcnt(4)
	v_mul_f64 v[82:83], v[66:67], v[12:13]
	v_fmac_f64_e32 v[82:83], v[68:69], v[6:7]
	s_waitcnt lgkmcnt(3)
	v_mul_f64 v[84:85], v[70:71], v[14:15]
	v_add_f64 v[82:83], v[82:83], 0
	v_fmac_f64_e32 v[84:85], v[72:73], v[8:9]
	v_add_f64 v[82:83], v[82:83], v[84:85]
	s_waitcnt lgkmcnt(2)
	v_mul_f64 v[84:85], v[74:75], v[16:17]
	v_fmac_f64_e32 v[84:85], v[76:77], v[10:11]
	v_add_f64 v[88:89], v[82:83], v[84:85]
	ds_read_b128 v[82:85], v86 offset:816
	v_mul_f64 v[12:13], v[68:69], v[12:13]
	s_waitcnt lgkmcnt(2)
	v_mul_f64 v[90:91], v[78:79], v[22:23]
	v_fma_f64 v[6:7], v[66:67], v[6:7], -v[12:13]
	v_fmac_f64_e32 v[90:91], v[80:81], v[24:25]
	v_add_f64 v[92:93], v[88:89], v[90:91]
	ds_read_b128 v[88:91], v86 offset:832
	s_waitcnt lgkmcnt(1)
	v_mul_f64 v[94:95], v[82:83], v[18:19]
	v_fmac_f64_e32 v[94:95], v[84:85], v[20:21]
	v_add_f64 v[96:97], v[92:93], v[94:95]
	ds_read_b128 v[92:95], v86 offset:848
	s_waitcnt vmcnt(58) lgkmcnt(1)
	v_mul_f64 v[98:99], v[88:89], v[30:31]
	s_waitcnt vmcnt(56)
	v_fmac_f64_e32 v[98:99], v[90:91], v[32:33]
	v_add_f64 v[100:101], v[96:97], v[98:99]
	ds_read_b128 v[96:99], v86 offset:864
	s_waitcnt lgkmcnt(1)
	v_mul_f64 v[102:103], v[92:93], v[26:27]
	v_fmac_f64_e32 v[102:103], v[94:95], v[28:29]
	v_add_f64 v[104:105], v[100:101], v[102:103]
	ds_read_b128 v[100:103], v86 offset:880
	s_waitcnt vmcnt(50) lgkmcnt(1)
	v_mul_f64 v[106:107], v[96:97], v[38:39]
	s_waitcnt vmcnt(48)
	v_fmac_f64_e32 v[106:107], v[98:99], v[40:41]
	v_add_f64 v[108:109], v[104:105], v[106:107]
	ds_read_b128 v[104:107], v86 offset:896
	s_waitcnt lgkmcnt(1)
	v_mul_f64 v[110:111], v[100:101], v[34:35]
	v_fmac_f64_e32 v[110:111], v[102:103], v[36:37]
	v_mul_f64 v[12:13], v[72:73], v[14:15]
	v_add_f64 v[112:113], v[108:109], v[110:111]
	ds_read_b128 v[108:111], v86 offset:912
	s_waitcnt vmcnt(42) lgkmcnt(1)
	v_mul_f64 v[114:115], v[104:105], v[46:47]
	v_add_f64 v[6:7], v[6:7], 0
	v_fma_f64 v[8:9], v[70:71], v[8:9], -v[12:13]
	s_waitcnt vmcnt(40)
	v_fmac_f64_e32 v[114:115], v[106:107], v[48:49]
	v_add_f64 v[6:7], v[6:7], v[8:9]
	v_mul_f64 v[8:9], v[76:77], v[16:17]
	v_add_f64 v[116:117], v[112:113], v[114:115]
	ds_read_b128 v[112:115], v86 offset:928
	v_fma_f64 v[8:9], v[74:75], v[10:11], -v[8:9]
	v_add_f64 v[6:7], v[6:7], v[8:9]
	v_mul_f64 v[8:9], v[80:81], v[22:23]
	v_fma_f64 v[8:9], v[78:79], v[24:25], -v[8:9]
	s_waitcnt lgkmcnt(1)
	v_mul_f64 v[118:119], v[108:109], v[42:43]
	v_add_f64 v[6:7], v[6:7], v[8:9]
	v_mul_f64 v[8:9], v[84:85], v[18:19]
	v_fmac_f64_e32 v[118:119], v[110:111], v[44:45]
	v_fma_f64 v[8:9], v[82:83], v[20:21], -v[8:9]
	v_add_f64 v[122:123], v[116:117], v[118:119]
	ds_read_b128 v[116:119], v86 offset:944
	s_waitcnt vmcnt(34) lgkmcnt(1)
	v_mul_f64 v[124:125], v[112:113], v[54:55]
	v_add_f64 v[6:7], v[6:7], v[8:9]
	v_mul_f64 v[8:9], v[90:91], v[30:31]
	s_waitcnt vmcnt(32)
	v_fmac_f64_e32 v[124:125], v[114:115], v[56:57]
	v_fma_f64 v[8:9], v[88:89], v[32:33], -v[8:9]
	v_add_f64 v[126:127], v[122:123], v[124:125]
	ds_read_b128 v[122:125], v86 offset:960
	v_add_f64 v[6:7], v[6:7], v[8:9]
	v_mul_f64 v[8:9], v[94:95], v[26:27]
	v_fma_f64 v[8:9], v[92:93], v[28:29], -v[8:9]
	v_add_f64 v[6:7], v[6:7], v[8:9]
	v_mul_f64 v[8:9], v[98:99], v[38:39]
	s_waitcnt lgkmcnt(1)
	v_mul_f64 v[128:129], v[116:117], v[50:51]
	v_fma_f64 v[8:9], v[96:97], v[40:41], -v[8:9]
	v_fmac_f64_e32 v[128:129], v[118:119], v[52:53]
	v_add_f64 v[6:7], v[6:7], v[8:9]
	v_mul_f64 v[8:9], v[102:103], v[34:35]
	v_add_f64 v[130:131], v[126:127], v[128:129]
	ds_read_b128 v[126:129], v86 offset:976
	s_waitcnt vmcnt(26) lgkmcnt(1)
	v_mul_f64 v[132:133], v[122:123], v[62:63]
	v_fma_f64 v[8:9], v[100:101], v[36:37], -v[8:9]
	s_waitcnt vmcnt(24)
	v_fmac_f64_e32 v[132:133], v[124:125], v[64:65]
	v_add_f64 v[6:7], v[6:7], v[8:9]
	v_mul_f64 v[8:9], v[106:107], v[46:47]
	v_add_f64 v[134:135], v[130:131], v[132:133]
	ds_read_b128 v[130:133], v86 offset:992
	v_fma_f64 v[8:9], v[104:105], v[48:49], -v[8:9]
	v_add_f64 v[6:7], v[6:7], v[8:9]
	v_mul_f64 v[8:9], v[110:111], v[42:43]
	v_fma_f64 v[8:9], v[108:109], v[44:45], -v[8:9]
	s_waitcnt lgkmcnt(1)
	v_mul_f64 v[136:137], v[126:127], v[58:59]
	v_add_f64 v[6:7], v[6:7], v[8:9]
	v_mul_f64 v[8:9], v[114:115], v[54:55]
	v_fmac_f64_e32 v[136:137], v[128:129], v[60:61]
	v_fma_f64 v[8:9], v[112:113], v[56:57], -v[8:9]
	v_add_f64 v[138:139], v[134:135], v[136:137]
	ds_read_b128 v[134:137], v86 offset:1008
	s_waitcnt vmcnt(18) lgkmcnt(1)
	v_mul_f64 v[140:141], v[130:131], v[158:159]
	v_add_f64 v[6:7], v[6:7], v[8:9]
	v_mul_f64 v[8:9], v[118:119], v[50:51]
	s_waitcnt vmcnt(16)
	v_fmac_f64_e32 v[140:141], v[132:133], v[160:161]
	v_fma_f64 v[8:9], v[116:117], v[52:53], -v[8:9]
	v_add_f64 v[142:143], v[138:139], v[140:141]
	ds_read_b128 v[138:141], v86 offset:1024
	v_add_f64 v[6:7], v[6:7], v[8:9]
	v_mul_f64 v[8:9], v[124:125], v[62:63]
	v_fma_f64 v[8:9], v[122:123], v[64:65], -v[8:9]
	v_add_f64 v[6:7], v[6:7], v[8:9]
	v_mul_f64 v[8:9], v[128:129], v[58:59]
	s_waitcnt lgkmcnt(1)
	v_mul_f64 v[144:145], v[134:135], v[154:155]
	v_fma_f64 v[8:9], v[126:127], v[60:61], -v[8:9]
	v_fmac_f64_e32 v[144:145], v[136:137], v[156:157]
	v_add_f64 v[6:7], v[6:7], v[8:9]
	v_mul_f64 v[8:9], v[132:133], v[158:159]
	v_add_f64 v[146:147], v[142:143], v[144:145]
	ds_read_b128 v[142:145], v86 offset:1040
	s_waitcnt vmcnt(10) lgkmcnt(1)
	v_mul_f64 v[148:149], v[138:139], v[166:167]
	v_fma_f64 v[8:9], v[130:131], v[160:161], -v[8:9]
	s_waitcnt vmcnt(8)
	v_fmac_f64_e32 v[148:149], v[140:141], v[168:169]
	v_add_f64 v[6:7], v[6:7], v[8:9]
	v_mul_f64 v[8:9], v[136:137], v[154:155]
	v_add_f64 v[186:187], v[146:147], v[148:149]
	ds_read_b128 v[146:149], v86 offset:1056
	v_fma_f64 v[8:9], v[134:135], v[156:157], -v[8:9]
	v_add_f64 v[6:7], v[6:7], v[8:9]
	v_mul_f64 v[8:9], v[140:141], v[166:167]
	v_fma_f64 v[8:9], v[138:139], v[168:169], -v[8:9]
	v_add_f64 v[6:7], v[6:7], v[8:9]
	s_waitcnt lgkmcnt(1)
	v_mul_f64 v[8:9], v[144:145], v[162:163]
	v_mul_f64 v[188:189], v[142:143], v[162:163]
	v_fma_f64 v[8:9], v[142:143], v[164:165], -v[8:9]
	v_fmac_f64_e32 v[188:189], v[144:145], v[164:165]
	v_add_f64 v[6:7], v[6:7], v[8:9]
	s_waitcnt vmcnt(6) lgkmcnt(0)
	v_mul_f64 v[8:9], v[148:149], v[170:171]
	v_add_f64 v[186:187], v[186:187], v[188:189]
	v_mul_f64 v[188:189], v[146:147], v[170:171]
	s_waitcnt vmcnt(4)
	v_fma_f64 v[8:9], v[146:147], v[172:173], -v[8:9]
	v_fmac_f64_e32 v[188:189], v[148:149], v[172:173]
	v_add_f64 v[6:7], v[6:7], v[8:9]
	s_waitcnt vmcnt(2)
	v_mul_f64 v[8:9], v[152:153], v[174:175]
	v_add_f64 v[186:187], v[186:187], v[188:189]
	v_mul_f64 v[188:189], v[150:151], v[174:175]
	s_waitcnt vmcnt(0)
	v_fma_f64 v[8:9], v[150:151], v[176:177], -v[8:9]
	v_fmac_f64_e32 v[188:189], v[152:153], v[176:177]
	v_add_f64 v[6:7], v[6:7], v[8:9]
	v_add_f64 v[186:187], v[186:187], v[188:189]
	v_add_f64 v[4:5], v[4:5], -v[6:7]
	v_add_f64 v[2:3], v[2:3], -v[186:187]
	buffer_store_dword v5, off, s[0:3], 0 offset:212
	buffer_store_dword v4, off, s[0:3], 0 offset:208
	;; [unrolled: 1-line block ×4, first 2 shown]
	s_and_saveexec_b64 s[4:5], vcc
	s_cbranch_execz .LBB97_195
; %bb.194:
	v_accvgpr_read_b32 v5, a83
	buffer_load_dword v2, v5, s[0:3], 0 offen
	buffer_load_dword v3, v5, s[0:3], 0 offen offset:4
	buffer_load_dword v4, v5, s[0:3], 0 offen offset:8
	s_nop 0
	buffer_load_dword v5, v5, s[0:3], 0 offen offset:12
	s_nop 0
	buffer_store_dword v86, off, s[0:3], 0 offset:192
	buffer_store_dword v86, off, s[0:3], 0 offset:196
	;; [unrolled: 1-line block ×4, first 2 shown]
	s_waitcnt vmcnt(4)
	ds_write_b128 v1, v[2:5]
.LBB97_195:
	s_or_b64 exec, exec, s[4:5]
	s_waitcnt lgkmcnt(0)
	; wave barrier
	s_waitcnt lgkmcnt(0)
	ds_read_b128 v[14:17], v86 offset:736
	ds_read_b128 v[10:13], v86 offset:752
	;; [unrolled: 1-line block ×4, first 2 shown]
	buffer_load_dword v20, off, s[0:3], 0 offset:192
	buffer_load_dword v21, off, s[0:3], 0 offset:196
	;; [unrolled: 1-line block ×92, first 2 shown]
	s_waitcnt vmcnt(62) lgkmcnt(3)
	v_mul_f64 v[88:89], v[14:15], v[28:29]
	v_fmac_f64_e32 v[88:89], v[16:17], v[22:23]
	s_waitcnt lgkmcnt(2)
	v_mul_f64 v[90:91], v[10:11], v[30:31]
	v_add_f64 v[88:89], v[88:89], 0
	v_fmac_f64_e32 v[90:91], v[12:13], v[24:25]
	v_add_f64 v[88:89], v[88:89], v[90:91]
	s_waitcnt lgkmcnt(1)
	v_mul_f64 v[90:91], v[6:7], v[32:33]
	v_fmac_f64_e32 v[90:91], v[8:9], v[26:27]
	v_add_f64 v[92:93], v[88:89], v[90:91]
	ds_read_b128 v[88:91], v86 offset:800
	v_mul_f64 v[16:17], v[16:17], v[28:29]
	v_fma_f64 v[14:15], v[14:15], v[22:23], -v[16:17]
	s_waitcnt lgkmcnt(1)
	v_mul_f64 v[94:95], v[2:3], v[38:39]
	v_mul_f64 v[12:13], v[12:13], v[30:31]
	v_fmac_f64_e32 v[94:95], v[4:5], v[40:41]
	v_add_f64 v[96:97], v[92:93], v[94:95]
	ds_read_b128 v[92:95], v86 offset:816
	s_waitcnt lgkmcnt(1)
	v_mul_f64 v[98:99], v[88:89], v[34:35]
	v_fmac_f64_e32 v[98:99], v[90:91], v[36:37]
	v_add_f64 v[100:101], v[96:97], v[98:99]
	ds_read_b128 v[96:99], v86 offset:832
	s_waitcnt lgkmcnt(1)
	v_mul_f64 v[102:103], v[92:93], v[46:47]
	s_waitcnt vmcnt(60)
	v_fmac_f64_e32 v[102:103], v[94:95], v[48:49]
	v_add_f64 v[104:105], v[100:101], v[102:103]
	ds_read_b128 v[100:103], v86 offset:848
	s_waitcnt lgkmcnt(1)
	v_mul_f64 v[106:107], v[96:97], v[42:43]
	v_fmac_f64_e32 v[106:107], v[98:99], v[44:45]
	v_add_f64 v[108:109], v[104:105], v[106:107]
	ds_read_b128 v[104:107], v86 offset:864
	s_waitcnt vmcnt(54) lgkmcnt(1)
	v_mul_f64 v[110:111], v[100:101], v[54:55]
	s_waitcnt vmcnt(52)
	v_fmac_f64_e32 v[110:111], v[102:103], v[56:57]
	v_add_f64 v[112:113], v[108:109], v[110:111]
	ds_read_b128 v[108:111], v86 offset:880
	s_waitcnt lgkmcnt(1)
	v_mul_f64 v[114:115], v[104:105], v[50:51]
	v_fmac_f64_e32 v[114:115], v[106:107], v[52:53]
	v_add_f64 v[116:117], v[112:113], v[114:115]
	ds_read_b128 v[112:115], v86 offset:896
	s_waitcnt vmcnt(46) lgkmcnt(1)
	v_mul_f64 v[118:119], v[108:109], v[62:63]
	s_waitcnt vmcnt(44)
	v_fmac_f64_e32 v[118:119], v[110:111], v[64:65]
	v_add_f64 v[122:123], v[116:117], v[118:119]
	ds_read_b128 v[116:119], v86 offset:912
	s_waitcnt lgkmcnt(1)
	v_mul_f64 v[124:125], v[112:113], v[58:59]
	v_fmac_f64_e32 v[124:125], v[114:115], v[60:61]
	v_add_f64 v[14:15], v[14:15], 0
	v_fma_f64 v[10:11], v[10:11], v[24:25], -v[12:13]
	v_mul_f64 v[8:9], v[8:9], v[32:33]
	v_add_f64 v[126:127], v[122:123], v[124:125]
	ds_read_b128 v[122:125], v86 offset:928
	v_add_f64 v[10:11], v[14:15], v[10:11]
	v_fma_f64 v[6:7], v[6:7], v[26:27], -v[8:9]
	v_mul_f64 v[4:5], v[4:5], v[38:39]
	v_add_f64 v[6:7], v[10:11], v[6:7]
	v_fma_f64 v[2:3], v[2:3], v[40:41], -v[4:5]
	v_mul_f64 v[4:5], v[90:91], v[34:35]
	v_add_f64 v[2:3], v[6:7], v[2:3]
	v_fma_f64 v[4:5], v[88:89], v[36:37], -v[4:5]
	s_waitcnt vmcnt(38) lgkmcnt(1)
	v_mul_f64 v[128:129], v[116:117], v[70:71]
	v_add_f64 v[2:3], v[2:3], v[4:5]
	v_mul_f64 v[4:5], v[94:95], v[46:47]
	s_waitcnt vmcnt(36)
	v_fmac_f64_e32 v[128:129], v[118:119], v[72:73]
	v_fma_f64 v[4:5], v[92:93], v[48:49], -v[4:5]
	v_add_f64 v[130:131], v[126:127], v[128:129]
	ds_read_b128 v[126:129], v86 offset:944
	s_waitcnt lgkmcnt(1)
	v_mul_f64 v[132:133], v[122:123], v[66:67]
	v_add_f64 v[2:3], v[2:3], v[4:5]
	v_mul_f64 v[4:5], v[98:99], v[42:43]
	v_fmac_f64_e32 v[132:133], v[124:125], v[68:69]
	v_fma_f64 v[4:5], v[96:97], v[44:45], -v[4:5]
	v_add_f64 v[134:135], v[130:131], v[132:133]
	ds_read_b128 v[130:133], v86 offset:960
	v_add_f64 v[2:3], v[2:3], v[4:5]
	v_mul_f64 v[4:5], v[102:103], v[54:55]
	v_fma_f64 v[4:5], v[100:101], v[56:57], -v[4:5]
	v_add_f64 v[2:3], v[2:3], v[4:5]
	v_mul_f64 v[4:5], v[106:107], v[50:51]
	s_waitcnt vmcnt(30) lgkmcnt(1)
	v_mul_f64 v[136:137], v[126:127], v[78:79]
	v_fma_f64 v[4:5], v[104:105], v[52:53], -v[4:5]
	s_waitcnt vmcnt(28)
	v_fmac_f64_e32 v[136:137], v[128:129], v[80:81]
	v_add_f64 v[2:3], v[2:3], v[4:5]
	v_mul_f64 v[4:5], v[110:111], v[62:63]
	v_add_f64 v[138:139], v[134:135], v[136:137]
	ds_read_b128 v[134:137], v86 offset:976
	s_waitcnt lgkmcnt(1)
	v_mul_f64 v[140:141], v[130:131], v[74:75]
	v_fma_f64 v[4:5], v[108:109], v[64:65], -v[4:5]
	v_fmac_f64_e32 v[140:141], v[132:133], v[76:77]
	v_add_f64 v[2:3], v[2:3], v[4:5]
	v_mul_f64 v[4:5], v[114:115], v[58:59]
	v_add_f64 v[142:143], v[138:139], v[140:141]
	ds_read_b128 v[138:141], v86 offset:992
	v_fma_f64 v[4:5], v[112:113], v[60:61], -v[4:5]
	v_add_f64 v[2:3], v[2:3], v[4:5]
	v_mul_f64 v[4:5], v[118:119], v[70:71]
	v_fma_f64 v[4:5], v[116:117], v[72:73], -v[4:5]
	s_waitcnt vmcnt(22) lgkmcnt(1)
	v_mul_f64 v[144:145], v[134:135], v[162:163]
	v_add_f64 v[2:3], v[2:3], v[4:5]
	v_mul_f64 v[4:5], v[124:125], v[66:67]
	s_waitcnt vmcnt(20)
	v_fmac_f64_e32 v[144:145], v[136:137], v[164:165]
	v_fma_f64 v[4:5], v[122:123], v[68:69], -v[4:5]
	v_add_f64 v[146:147], v[142:143], v[144:145]
	ds_read_b128 v[142:145], v86 offset:1008
	s_waitcnt lgkmcnt(1)
	v_mul_f64 v[148:149], v[138:139], v[82:83]
	v_add_f64 v[2:3], v[2:3], v[4:5]
	v_mul_f64 v[4:5], v[128:129], v[78:79]
	v_fmac_f64_e32 v[148:149], v[140:141], v[84:85]
	v_fma_f64 v[4:5], v[126:127], v[80:81], -v[4:5]
	v_add_f64 v[150:151], v[146:147], v[148:149]
	ds_read_b128 v[146:149], v86 offset:1024
	v_add_f64 v[2:3], v[2:3], v[4:5]
	v_mul_f64 v[4:5], v[132:133], v[74:75]
	v_fma_f64 v[4:5], v[130:131], v[76:77], -v[4:5]
	v_add_f64 v[2:3], v[2:3], v[4:5]
	v_mul_f64 v[4:5], v[136:137], v[162:163]
	s_waitcnt vmcnt(14) lgkmcnt(1)
	v_mul_f64 v[152:153], v[142:143], v[170:171]
	v_fma_f64 v[4:5], v[134:135], v[164:165], -v[4:5]
	s_waitcnt vmcnt(12)
	v_fmac_f64_e32 v[152:153], v[144:145], v[172:173]
	v_add_f64 v[2:3], v[2:3], v[4:5]
	v_mul_f64 v[4:5], v[140:141], v[82:83]
	v_add_f64 v[154:155], v[150:151], v[152:153]
	ds_read_b128 v[150:153], v86 offset:1040
	s_waitcnt lgkmcnt(1)
	v_mul_f64 v[156:157], v[146:147], v[166:167]
	v_fma_f64 v[4:5], v[138:139], v[84:85], -v[4:5]
	v_fmac_f64_e32 v[156:157], v[148:149], v[168:169]
	v_add_f64 v[2:3], v[2:3], v[4:5]
	v_mul_f64 v[4:5], v[144:145], v[170:171]
	v_add_f64 v[194:195], v[154:155], v[156:157]
	ds_read_b128 v[154:157], v86 offset:1056
	ds_read_b128 v[158:161], v86 offset:1072
	v_fma_f64 v[4:5], v[142:143], v[172:173], -v[4:5]
	v_add_f64 v[2:3], v[2:3], v[4:5]
	v_mul_f64 v[4:5], v[148:149], v[166:167]
	v_fma_f64 v[4:5], v[146:147], v[168:169], -v[4:5]
	v_add_f64 v[2:3], v[2:3], v[4:5]
	s_waitcnt vmcnt(6) lgkmcnt(2)
	v_mul_f64 v[4:5], v[152:153], v[186:187]
	v_mul_f64 v[196:197], v[150:151], v[186:187]
	s_waitcnt vmcnt(4)
	v_fma_f64 v[4:5], v[150:151], v[188:189], -v[4:5]
	v_fmac_f64_e32 v[196:197], v[152:153], v[188:189]
	v_add_f64 v[2:3], v[2:3], v[4:5]
	s_waitcnt lgkmcnt(1)
	v_mul_f64 v[4:5], v[156:157], v[174:175]
	v_add_f64 v[86:87], v[194:195], v[196:197]
	v_mul_f64 v[194:195], v[154:155], v[174:175]
	v_fma_f64 v[4:5], v[154:155], v[176:177], -v[4:5]
	v_fmac_f64_e32 v[194:195], v[156:157], v[176:177]
	v_add_f64 v[2:3], v[2:3], v[4:5]
	s_waitcnt vmcnt(2) lgkmcnt(0)
	v_mul_f64 v[4:5], v[160:161], v[190:191]
	v_add_f64 v[86:87], v[86:87], v[194:195]
	v_mul_f64 v[194:195], v[158:159], v[190:191]
	s_waitcnt vmcnt(0)
	v_fma_f64 v[4:5], v[158:159], v[192:193], -v[4:5]
	v_fmac_f64_e32 v[194:195], v[160:161], v[192:193]
	v_add_f64 v[2:3], v[2:3], v[4:5]
	v_add_f64 v[86:87], v[86:87], v[194:195]
	v_add_f64 v[2:3], v[20:21], -v[2:3]
	v_cmp_lt_u32_e32 vcc, 10, v0
	v_add_f64 v[4:5], v[18:19], -v[86:87]
	buffer_store_dword v3, off, s[0:3], 0 offset:196
	buffer_store_dword v2, off, s[0:3], 0 offset:192
	;; [unrolled: 1-line block ×4, first 2 shown]
	s_and_saveexec_b64 s[4:5], vcc
	s_cbranch_execz .LBB97_197
; %bb.196:
	v_accvgpr_read_b32 v5, a84
	buffer_load_dword v2, v5, s[0:3], 0 offen
	buffer_load_dword v3, v5, s[0:3], 0 offen offset:4
	buffer_load_dword v4, v5, s[0:3], 0 offen offset:8
	s_nop 0
	buffer_load_dword v5, v5, s[0:3], 0 offen offset:12
	v_mov_b32_e32 v6, 0
	buffer_store_dword v6, off, s[0:3], 0 offset:176
	buffer_store_dword v6, off, s[0:3], 0 offset:180
	;; [unrolled: 1-line block ×4, first 2 shown]
	s_waitcnt vmcnt(4)
	ds_write_b128 v1, v[2:5]
.LBB97_197:
	s_or_b64 exec, exec, s[4:5]
	s_waitcnt lgkmcnt(0)
	; wave barrier
	s_waitcnt lgkmcnt(0)
	buffer_load_dword v9, off, s[0:3], 0 offset:204
	buffer_load_dword v6, off, s[0:3], 0 offset:216
	;; [unrolled: 1-line block ×64, first 2 shown]
	v_mov_b32_e32 v98, 0
	ds_read_b128 v[74:77], v98 offset:720
	ds_read_b128 v[78:81], v98 offset:736
	buffer_load_dword v67, off, s[0:3], 0 offset:460
	buffer_load_dword v66, off, s[0:3], 0 offset:456
	;; [unrolled: 1-line block ×8, first 2 shown]
	ds_read_b128 v[82:85], v98 offset:752
	ds_read_b128 v[86:89], v98 offset:768
	buffer_load_dword v171, off, s[0:3], 0 offset:492
	buffer_load_dword v170, off, s[0:3], 0 offset:488
	;; [unrolled: 1-line block ×24, first 2 shown]
	ds_read_b128 v[166:169], v98 offset:1072
	v_cmp_lt_u32_e32 vcc, 9, v0
	s_waitcnt vmcnt(62) lgkmcnt(1)
	v_mul_f64 v[96:97], v[86:87], v[22:23]
	v_fmac_f64_e32 v[96:97], v[88:89], v[24:25]
	v_mul_f64 v[92:93], v[78:79], v[6:7]
	v_mul_f64 v[90:91], v[74:75], v[8:9]
	v_mul_f64 v[8:9], v[76:77], v[8:9]
	v_fmac_f64_e32 v[90:91], v[76:77], v[10:11]
	v_add_f64 v[90:91], v[90:91], 0
	v_fma_f64 v[8:9], v[74:75], v[10:11], -v[8:9]
	v_mul_f64 v[6:7], v[80:81], v[6:7]
	v_add_f64 v[8:9], v[8:9], 0
	v_fmac_f64_e32 v[92:93], v[80:81], v[14:15]
	v_add_f64 v[90:91], v[90:91], v[92:93]
	v_mul_f64 v[92:93], v[82:83], v[16:17]
	v_fmac_f64_e32 v[92:93], v[84:85], v[12:13]
	v_add_f64 v[94:95], v[90:91], v[92:93]
	ds_read_b128 v[90:93], v98 offset:784
	v_add_f64 v[100:101], v[94:95], v[96:97]
	ds_read_b128 v[94:97], v98 offset:800
	v_fma_f64 v[6:7], v[78:79], v[14:15], -v[6:7]
	v_add_f64 v[6:7], v[8:9], v[6:7]
	s_waitcnt lgkmcnt(1)
	v_mul_f64 v[102:103], v[90:91], v[18:19]
	v_fmac_f64_e32 v[102:103], v[92:93], v[20:21]
	v_add_f64 v[104:105], v[100:101], v[102:103]
	ds_read_b128 v[100:103], v98 offset:816
	s_waitcnt lgkmcnt(1)
	v_mul_f64 v[106:107], v[94:95], v[30:31]
	v_fmac_f64_e32 v[106:107], v[96:97], v[32:33]
	v_add_f64 v[108:109], v[104:105], v[106:107]
	ds_read_b128 v[104:107], v98 offset:832
	;; [unrolled: 5-line block ×3, first 2 shown]
	s_waitcnt vmcnt(58) lgkmcnt(1)
	v_mul_f64 v[114:115], v[104:105], v[38:39]
	s_waitcnt vmcnt(56)
	v_fmac_f64_e32 v[114:115], v[106:107], v[40:41]
	v_add_f64 v[116:117], v[112:113], v[114:115]
	ds_read_b128 v[112:115], v98 offset:864
	s_waitcnt lgkmcnt(1)
	v_mul_f64 v[118:119], v[108:109], v[34:35]
	v_fmac_f64_e32 v[118:119], v[110:111], v[36:37]
	v_add_f64 v[122:123], v[116:117], v[118:119]
	ds_read_b128 v[116:119], v98 offset:880
	s_waitcnt vmcnt(50) lgkmcnt(1)
	v_mul_f64 v[124:125], v[112:113], v[46:47]
	s_waitcnt vmcnt(48)
	v_fmac_f64_e32 v[124:125], v[114:115], v[48:49]
	v_add_f64 v[126:127], v[122:123], v[124:125]
	ds_read_b128 v[122:125], v98 offset:896
	v_mul_f64 v[8:9], v[84:85], v[16:17]
	s_waitcnt lgkmcnt(1)
	v_mul_f64 v[128:129], v[116:117], v[42:43]
	v_fma_f64 v[8:9], v[82:83], v[12:13], -v[8:9]
	v_fmac_f64_e32 v[128:129], v[118:119], v[44:45]
	v_add_f64 v[6:7], v[6:7], v[8:9]
	v_mul_f64 v[8:9], v[88:89], v[22:23]
	v_add_f64 v[130:131], v[126:127], v[128:129]
	ds_read_b128 v[126:129], v98 offset:912
	s_waitcnt vmcnt(42) lgkmcnt(1)
	v_mul_f64 v[132:133], v[122:123], v[54:55]
	v_fma_f64 v[8:9], v[86:87], v[24:25], -v[8:9]
	s_waitcnt vmcnt(40)
	v_fmac_f64_e32 v[132:133], v[124:125], v[56:57]
	v_add_f64 v[6:7], v[6:7], v[8:9]
	v_mul_f64 v[8:9], v[92:93], v[18:19]
	v_add_f64 v[134:135], v[130:131], v[132:133]
	ds_read_b128 v[130:133], v98 offset:928
	v_fma_f64 v[8:9], v[90:91], v[20:21], -v[8:9]
	v_add_f64 v[6:7], v[6:7], v[8:9]
	v_mul_f64 v[8:9], v[96:97], v[30:31]
	v_fma_f64 v[8:9], v[94:95], v[32:33], -v[8:9]
	s_waitcnt lgkmcnt(1)
	v_mul_f64 v[136:137], v[126:127], v[50:51]
	v_add_f64 v[6:7], v[6:7], v[8:9]
	v_mul_f64 v[8:9], v[102:103], v[26:27]
	v_fmac_f64_e32 v[136:137], v[128:129], v[52:53]
	v_fma_f64 v[8:9], v[100:101], v[28:29], -v[8:9]
	v_add_f64 v[138:139], v[134:135], v[136:137]
	ds_read_b128 v[134:137], v98 offset:944
	s_waitcnt vmcnt(34) lgkmcnt(1)
	v_mul_f64 v[140:141], v[130:131], v[62:63]
	v_add_f64 v[6:7], v[6:7], v[8:9]
	v_mul_f64 v[8:9], v[106:107], v[38:39]
	s_waitcnt vmcnt(32)
	v_fmac_f64_e32 v[140:141], v[132:133], v[64:65]
	v_fma_f64 v[8:9], v[104:105], v[40:41], -v[8:9]
	v_add_f64 v[142:143], v[138:139], v[140:141]
	ds_read_b128 v[138:141], v98 offset:960
	v_add_f64 v[6:7], v[6:7], v[8:9]
	v_mul_f64 v[8:9], v[110:111], v[34:35]
	v_fma_f64 v[8:9], v[108:109], v[36:37], -v[8:9]
	v_add_f64 v[6:7], v[6:7], v[8:9]
	v_mul_f64 v[8:9], v[114:115], v[46:47]
	s_waitcnt lgkmcnt(1)
	v_mul_f64 v[144:145], v[134:135], v[58:59]
	v_fma_f64 v[8:9], v[112:113], v[48:49], -v[8:9]
	v_fmac_f64_e32 v[144:145], v[136:137], v[60:61]
	v_add_f64 v[6:7], v[6:7], v[8:9]
	v_mul_f64 v[8:9], v[118:119], v[42:43]
	v_add_f64 v[146:147], v[142:143], v[144:145]
	ds_read_b128 v[142:145], v98 offset:976
	s_waitcnt vmcnt(26) lgkmcnt(1)
	v_mul_f64 v[148:149], v[138:139], v[70:71]
	v_fma_f64 v[8:9], v[116:117], v[44:45], -v[8:9]
	s_waitcnt vmcnt(24)
	v_fmac_f64_e32 v[148:149], v[140:141], v[72:73]
	v_add_f64 v[6:7], v[6:7], v[8:9]
	v_mul_f64 v[8:9], v[124:125], v[54:55]
	v_add_f64 v[150:151], v[146:147], v[148:149]
	ds_read_b128 v[146:149], v98 offset:992
	v_fma_f64 v[8:9], v[122:123], v[56:57], -v[8:9]
	v_add_f64 v[6:7], v[6:7], v[8:9]
	v_mul_f64 v[8:9], v[128:129], v[50:51]
	v_fma_f64 v[8:9], v[126:127], v[52:53], -v[8:9]
	s_waitcnt lgkmcnt(1)
	v_mul_f64 v[152:153], v[142:143], v[66:67]
	v_add_f64 v[6:7], v[6:7], v[8:9]
	v_mul_f64 v[8:9], v[132:133], v[62:63]
	v_fmac_f64_e32 v[152:153], v[144:145], v[68:69]
	v_fma_f64 v[8:9], v[130:131], v[64:65], -v[8:9]
	v_add_f64 v[154:155], v[150:151], v[152:153]
	ds_read_b128 v[150:153], v98 offset:1008
	s_waitcnt vmcnt(18) lgkmcnt(1)
	v_mul_f64 v[156:157], v[146:147], v[174:175]
	v_add_f64 v[6:7], v[6:7], v[8:9]
	v_mul_f64 v[8:9], v[136:137], v[58:59]
	s_waitcnt vmcnt(16)
	v_fmac_f64_e32 v[156:157], v[148:149], v[176:177]
	v_fma_f64 v[8:9], v[134:135], v[60:61], -v[8:9]
	v_add_f64 v[158:159], v[154:155], v[156:157]
	ds_read_b128 v[154:157], v98 offset:1024
	v_add_f64 v[6:7], v[6:7], v[8:9]
	v_mul_f64 v[8:9], v[140:141], v[70:71]
	v_fma_f64 v[8:9], v[138:139], v[72:73], -v[8:9]
	v_add_f64 v[6:7], v[6:7], v[8:9]
	v_mul_f64 v[8:9], v[144:145], v[66:67]
	s_waitcnt lgkmcnt(1)
	v_mul_f64 v[160:161], v[150:151], v[170:171]
	v_fma_f64 v[8:9], v[142:143], v[68:69], -v[8:9]
	v_fmac_f64_e32 v[160:161], v[152:153], v[172:173]
	v_add_f64 v[6:7], v[6:7], v[8:9]
	v_mul_f64 v[8:9], v[148:149], v[174:175]
	v_add_f64 v[162:163], v[158:159], v[160:161]
	ds_read_b128 v[158:161], v98 offset:1040
	s_waitcnt vmcnt(10) lgkmcnt(1)
	v_mul_f64 v[164:165], v[154:155], v[190:191]
	v_fma_f64 v[8:9], v[146:147], v[176:177], -v[8:9]
	s_waitcnt vmcnt(8)
	v_fmac_f64_e32 v[164:165], v[156:157], v[192:193]
	v_add_f64 v[6:7], v[6:7], v[8:9]
	v_mul_f64 v[8:9], v[152:153], v[170:171]
	v_add_f64 v[202:203], v[162:163], v[164:165]
	ds_read_b128 v[162:165], v98 offset:1056
	v_fma_f64 v[8:9], v[150:151], v[172:173], -v[8:9]
	v_add_f64 v[6:7], v[6:7], v[8:9]
	v_mul_f64 v[8:9], v[156:157], v[190:191]
	v_fma_f64 v[8:9], v[154:155], v[192:193], -v[8:9]
	v_add_f64 v[6:7], v[6:7], v[8:9]
	s_waitcnt lgkmcnt(1)
	v_mul_f64 v[8:9], v[160:161], v[186:187]
	v_mul_f64 v[204:205], v[158:159], v[186:187]
	v_fma_f64 v[8:9], v[158:159], v[188:189], -v[8:9]
	v_fmac_f64_e32 v[204:205], v[160:161], v[188:189]
	v_add_f64 v[6:7], v[6:7], v[8:9]
	s_waitcnt vmcnt(2) lgkmcnt(0)
	v_mul_f64 v[8:9], v[164:165], v[198:199]
	v_add_f64 v[202:203], v[202:203], v[204:205]
	v_mul_f64 v[204:205], v[162:163], v[198:199]
	s_waitcnt vmcnt(0)
	v_fma_f64 v[8:9], v[162:163], v[200:201], -v[8:9]
	v_fmac_f64_e32 v[204:205], v[164:165], v[200:201]
	v_add_f64 v[6:7], v[6:7], v[8:9]
	v_mul_f64 v[8:9], v[168:169], v[194:195]
	v_add_f64 v[202:203], v[202:203], v[204:205]
	v_mul_f64 v[204:205], v[166:167], v[194:195]
	v_fma_f64 v[8:9], v[166:167], v[196:197], -v[8:9]
	v_fmac_f64_e32 v[204:205], v[168:169], v[196:197]
	v_add_f64 v[6:7], v[6:7], v[8:9]
	v_add_f64 v[202:203], v[202:203], v[204:205]
	v_add_f64 v[4:5], v[4:5], -v[6:7]
	v_add_f64 v[2:3], v[2:3], -v[202:203]
	buffer_store_dword v5, off, s[0:3], 0 offset:180
	buffer_store_dword v4, off, s[0:3], 0 offset:176
	;; [unrolled: 1-line block ×4, first 2 shown]
	s_and_saveexec_b64 s[4:5], vcc
	s_cbranch_execz .LBB97_199
; %bb.198:
	v_accvgpr_read_b32 v5, a85
	buffer_load_dword v2, v5, s[0:3], 0 offen
	buffer_load_dword v3, v5, s[0:3], 0 offen offset:4
	buffer_load_dword v4, v5, s[0:3], 0 offen offset:8
	s_nop 0
	buffer_load_dword v5, v5, s[0:3], 0 offen offset:12
	s_nop 0
	buffer_store_dword v98, off, s[0:3], 0 offset:160
	buffer_store_dword v98, off, s[0:3], 0 offset:164
	;; [unrolled: 1-line block ×4, first 2 shown]
	s_waitcnt vmcnt(4)
	ds_write_b128 v1, v[2:5]
.LBB97_199:
	s_or_b64 exec, exec, s[4:5]
	s_waitcnt lgkmcnt(0)
	; wave barrier
	s_waitcnt lgkmcnt(0)
	buffer_load_dword v22, off, s[0:3], 0 offset:176
	buffer_load_dword v23, off, s[0:3], 0 offset:180
	;; [unrolled: 1-line block ×16, first 2 shown]
	ds_read_b128 v[2:5], v98 offset:704
	ds_read_b128 v[6:9], v98 offset:720
	;; [unrolled: 1-line block ×4, first 2 shown]
	buffer_load_dword v35, off, s[0:3], 0 offset:252
	buffer_load_dword v34, off, s[0:3], 0 offset:248
	;; [unrolled: 1-line block ×48, first 2 shown]
	v_cmp_lt_u32_e32 vcc, 8, v0
	s_waitcnt vmcnt(42) lgkmcnt(0)
	v_mul_f64 v[106:107], v[14:15], v[38:39]
	s_waitcnt vmcnt(40)
	v_fmac_f64_e32 v[106:107], v[16:17], v[40:41]
	v_mul_f64 v[82:83], v[2:3], v[24:25]
	v_fmac_f64_e32 v[82:83], v[4:5], v[22:23]
	v_add_f64 v[82:83], v[82:83], 0
	v_mul_f64 v[4:5], v[4:5], v[24:25]
	v_mul_f64 v[84:85], v[6:7], v[32:33]
	v_fma_f64 v[2:3], v[2:3], v[22:23], -v[4:5]
	v_mul_f64 v[100:101], v[10:11], v[26:27]
	v_fmac_f64_e32 v[100:101], v[12:13], v[30:31]
	v_fmac_f64_e32 v[84:85], v[8:9], v[28:29]
	v_add_f64 v[102:103], v[82:83], v[84:85]
	buffer_load_dword v83, off, s[0:3], 0 offset:444
	buffer_load_dword v82, off, s[0:3], 0 offset:440
	;; [unrolled: 1-line block ×32, first 2 shown]
	v_add_f64 v[104:105], v[102:103], v[100:101]
	ds_read_b128 v[100:103], v98 offset:768
	buffer_load_dword v207, off, s[0:3], 0 offset:556
	buffer_load_dword v206, off, s[0:3], 0 offset:552
	;; [unrolled: 1-line block ×4, first 2 shown]
	v_add_f64 v[108:109], v[104:105], v[106:107]
	ds_read_b128 v[104:107], v98 offset:784
	v_mul_f64 v[4:5], v[8:9], v[32:33]
	s_waitcnt lgkmcnt(1)
	v_mul_f64 v[110:111], v[100:101], v[34:35]
	v_fmac_f64_e32 v[110:111], v[102:103], v[36:37]
	v_add_f64 v[112:113], v[108:109], v[110:111]
	ds_read_b128 v[108:111], v98 offset:800
	s_waitcnt vmcnt(62) lgkmcnt(1)
	v_mul_f64 v[114:115], v[104:105], v[46:47]
	v_fmac_f64_e32 v[114:115], v[106:107], v[48:49]
	v_add_f64 v[116:117], v[112:113], v[114:115]
	ds_read_b128 v[112:115], v98 offset:816
	s_waitcnt lgkmcnt(1)
	v_mul_f64 v[118:119], v[108:109], v[42:43]
	v_fmac_f64_e32 v[118:119], v[110:111], v[44:45]
	v_add_f64 v[122:123], v[116:117], v[118:119]
	ds_read_b128 v[116:119], v98 offset:832
	s_waitcnt lgkmcnt(1)
	v_mul_f64 v[124:125], v[112:113], v[54:55]
	s_waitcnt vmcnt(60)
	v_fmac_f64_e32 v[124:125], v[114:115], v[56:57]
	v_add_f64 v[126:127], v[122:123], v[124:125]
	ds_read_b128 v[122:125], v98 offset:848
	s_waitcnt lgkmcnt(1)
	v_mul_f64 v[128:129], v[116:117], v[50:51]
	v_fmac_f64_e32 v[128:129], v[118:119], v[52:53]
	v_add_f64 v[130:131], v[126:127], v[128:129]
	ds_read_b128 v[126:129], v98 offset:864
	s_waitcnt vmcnt(54) lgkmcnt(1)
	v_mul_f64 v[132:133], v[122:123], v[62:63]
	s_waitcnt vmcnt(52)
	v_fmac_f64_e32 v[132:133], v[124:125], v[64:65]
	v_add_f64 v[134:135], v[130:131], v[132:133]
	ds_read_b128 v[130:133], v98 offset:880
	s_waitcnt lgkmcnt(1)
	v_mul_f64 v[136:137], v[126:127], v[58:59]
	v_fmac_f64_e32 v[136:137], v[128:129], v[60:61]
	v_add_f64 v[2:3], v[2:3], 0
	v_fma_f64 v[4:5], v[6:7], v[28:29], -v[4:5]
	v_add_f64 v[138:139], v[134:135], v[136:137]
	ds_read_b128 v[134:137], v98 offset:896
	v_add_f64 v[2:3], v[2:3], v[4:5]
	v_mul_f64 v[4:5], v[12:13], v[26:27]
	v_fma_f64 v[4:5], v[10:11], v[30:31], -v[4:5]
	v_add_f64 v[2:3], v[2:3], v[4:5]
	v_mul_f64 v[4:5], v[16:17], v[38:39]
	s_waitcnt vmcnt(46) lgkmcnt(1)
	v_mul_f64 v[140:141], v[130:131], v[70:71]
	v_fma_f64 v[4:5], v[14:15], v[40:41], -v[4:5]
	s_waitcnt vmcnt(44)
	v_fmac_f64_e32 v[140:141], v[132:133], v[72:73]
	v_add_f64 v[2:3], v[2:3], v[4:5]
	v_mul_f64 v[4:5], v[102:103], v[34:35]
	v_add_f64 v[142:143], v[138:139], v[140:141]
	ds_read_b128 v[138:141], v98 offset:912
	s_waitcnt lgkmcnt(1)
	v_mul_f64 v[144:145], v[134:135], v[66:67]
	v_fma_f64 v[4:5], v[100:101], v[36:37], -v[4:5]
	v_fmac_f64_e32 v[144:145], v[136:137], v[68:69]
	v_add_f64 v[2:3], v[2:3], v[4:5]
	v_mul_f64 v[4:5], v[106:107], v[46:47]
	v_add_f64 v[146:147], v[142:143], v[144:145]
	ds_read_b128 v[142:145], v98 offset:928
	v_fma_f64 v[4:5], v[104:105], v[48:49], -v[4:5]
	v_add_f64 v[2:3], v[2:3], v[4:5]
	v_mul_f64 v[4:5], v[110:111], v[42:43]
	v_fma_f64 v[4:5], v[108:109], v[44:45], -v[4:5]
	s_waitcnt vmcnt(38) lgkmcnt(1)
	v_mul_f64 v[148:149], v[138:139], v[78:79]
	v_add_f64 v[2:3], v[2:3], v[4:5]
	v_mul_f64 v[4:5], v[114:115], v[54:55]
	s_waitcnt vmcnt(36)
	v_fmac_f64_e32 v[148:149], v[140:141], v[80:81]
	v_fma_f64 v[4:5], v[112:113], v[56:57], -v[4:5]
	v_add_f64 v[150:151], v[146:147], v[148:149]
	ds_read_b128 v[146:149], v98 offset:944
	s_waitcnt lgkmcnt(1)
	v_mul_f64 v[152:153], v[142:143], v[74:75]
	v_add_f64 v[2:3], v[2:3], v[4:5]
	v_mul_f64 v[4:5], v[118:119], v[50:51]
	v_fmac_f64_e32 v[152:153], v[144:145], v[76:77]
	v_fma_f64 v[4:5], v[116:117], v[52:53], -v[4:5]
	v_add_f64 v[154:155], v[150:151], v[152:153]
	ds_read_b128 v[150:153], v98 offset:960
	v_add_f64 v[2:3], v[2:3], v[4:5]
	v_mul_f64 v[4:5], v[124:125], v[62:63]
	v_fma_f64 v[4:5], v[122:123], v[64:65], -v[4:5]
	v_add_f64 v[2:3], v[2:3], v[4:5]
	v_mul_f64 v[4:5], v[128:129], v[58:59]
	s_waitcnt vmcnt(30) lgkmcnt(1)
	v_mul_f64 v[156:157], v[146:147], v[86:87]
	v_fma_f64 v[4:5], v[126:127], v[60:61], -v[4:5]
	s_waitcnt vmcnt(28)
	v_fmac_f64_e32 v[156:157], v[148:149], v[88:89]
	v_add_f64 v[2:3], v[2:3], v[4:5]
	v_mul_f64 v[4:5], v[132:133], v[70:71]
	v_add_f64 v[158:159], v[154:155], v[156:157]
	ds_read_b128 v[154:157], v98 offset:976
	s_waitcnt lgkmcnt(1)
	v_mul_f64 v[160:161], v[150:151], v[82:83]
	v_fma_f64 v[4:5], v[130:131], v[72:73], -v[4:5]
	v_fmac_f64_e32 v[160:161], v[152:153], v[84:85]
	v_add_f64 v[2:3], v[2:3], v[4:5]
	v_mul_f64 v[4:5], v[136:137], v[66:67]
	v_add_f64 v[162:163], v[158:159], v[160:161]
	ds_read_b128 v[158:161], v98 offset:992
	v_fma_f64 v[4:5], v[134:135], v[68:69], -v[4:5]
	v_add_f64 v[2:3], v[2:3], v[4:5]
	v_mul_f64 v[4:5], v[140:141], v[78:79]
	v_fma_f64 v[4:5], v[138:139], v[80:81], -v[4:5]
	s_waitcnt vmcnt(22) lgkmcnt(1)
	v_mul_f64 v[164:165], v[154:155], v[94:95]
	v_add_f64 v[2:3], v[2:3], v[4:5]
	v_mul_f64 v[4:5], v[144:145], v[74:75]
	s_waitcnt vmcnt(20)
	v_fmac_f64_e32 v[164:165], v[156:157], v[96:97]
	v_fma_f64 v[4:5], v[142:143], v[76:77], -v[4:5]
	v_add_f64 v[166:167], v[162:163], v[164:165]
	ds_read_b128 v[162:165], v98 offset:1008
	s_waitcnt lgkmcnt(1)
	v_mul_f64 v[168:169], v[158:159], v[90:91]
	v_add_f64 v[2:3], v[2:3], v[4:5]
	v_mul_f64 v[4:5], v[148:149], v[86:87]
	v_fmac_f64_e32 v[168:169], v[160:161], v[92:93]
	v_fma_f64 v[4:5], v[146:147], v[88:89], -v[4:5]
	v_add_f64 v[170:171], v[166:167], v[168:169]
	ds_read_b128 v[166:169], v98 offset:1024
	v_add_f64 v[2:3], v[2:3], v[4:5]
	v_mul_f64 v[4:5], v[152:153], v[82:83]
	v_fma_f64 v[4:5], v[150:151], v[84:85], -v[4:5]
	v_add_f64 v[2:3], v[2:3], v[4:5]
	v_mul_f64 v[4:5], v[156:157], v[94:95]
	s_waitcnt vmcnt(14) lgkmcnt(1)
	v_mul_f64 v[172:173], v[162:163], v[194:195]
	v_fma_f64 v[4:5], v[154:155], v[96:97], -v[4:5]
	s_waitcnt vmcnt(12)
	v_fmac_f64_e32 v[172:173], v[164:165], v[196:197]
	v_add_f64 v[2:3], v[2:3], v[4:5]
	v_mul_f64 v[4:5], v[160:161], v[90:91]
	v_add_f64 v[174:175], v[170:171], v[172:173]
	ds_read_b128 v[170:173], v98 offset:1040
	s_waitcnt lgkmcnt(1)
	v_mul_f64 v[176:177], v[166:167], v[190:191]
	v_fma_f64 v[4:5], v[158:159], v[92:93], -v[4:5]
	v_fmac_f64_e32 v[176:177], v[168:169], v[192:193]
	v_add_f64 v[2:3], v[2:3], v[4:5]
	v_mul_f64 v[4:5], v[164:165], v[194:195]
	v_add_f64 v[210:211], v[174:175], v[176:177]
	ds_read_b128 v[174:177], v98 offset:1056
	v_fma_f64 v[4:5], v[162:163], v[196:197], -v[4:5]
	v_add_f64 v[2:3], v[2:3], v[4:5]
	v_mul_f64 v[4:5], v[168:169], v[190:191]
	ds_read_b128 v[186:189], v98 offset:1072
	v_fma_f64 v[4:5], v[166:167], v[192:193], -v[4:5]
	v_add_f64 v[2:3], v[2:3], v[4:5]
	s_waitcnt vmcnt(6) lgkmcnt(2)
	v_mul_f64 v[4:5], v[172:173], v[202:203]
	v_mul_f64 v[212:213], v[170:171], v[202:203]
	s_waitcnt vmcnt(4)
	v_fma_f64 v[4:5], v[170:171], v[204:205], -v[4:5]
	v_fmac_f64_e32 v[212:213], v[172:173], v[204:205]
	v_add_f64 v[2:3], v[2:3], v[4:5]
	s_waitcnt lgkmcnt(1)
	v_mul_f64 v[4:5], v[176:177], v[198:199]
	v_add_f64 v[98:99], v[210:211], v[212:213]
	v_mul_f64 v[210:211], v[174:175], v[198:199]
	v_fma_f64 v[4:5], v[174:175], v[200:201], -v[4:5]
	v_fmac_f64_e32 v[210:211], v[176:177], v[200:201]
	v_add_f64 v[2:3], v[2:3], v[4:5]
	s_waitcnt vmcnt(2) lgkmcnt(0)
	v_mul_f64 v[4:5], v[188:189], v[206:207]
	v_add_f64 v[98:99], v[98:99], v[210:211]
	v_mul_f64 v[210:211], v[186:187], v[206:207]
	s_waitcnt vmcnt(0)
	v_fma_f64 v[4:5], v[186:187], v[208:209], -v[4:5]
	v_fmac_f64_e32 v[210:211], v[188:189], v[208:209]
	v_add_f64 v[2:3], v[2:3], v[4:5]
	v_add_f64 v[98:99], v[98:99], v[210:211]
	v_add_f64 v[2:3], v[20:21], -v[2:3]
	v_add_f64 v[4:5], v[18:19], -v[98:99]
	buffer_store_dword v3, off, s[0:3], 0 offset:164
	buffer_store_dword v2, off, s[0:3], 0 offset:160
	;; [unrolled: 1-line block ×4, first 2 shown]
	s_and_saveexec_b64 s[4:5], vcc
	s_cbranch_execz .LBB97_201
; %bb.200:
	v_accvgpr_read_b32 v5, a86
	buffer_load_dword v2, v5, s[0:3], 0 offen
	buffer_load_dword v3, v5, s[0:3], 0 offen offset:4
	buffer_load_dword v4, v5, s[0:3], 0 offen offset:8
	s_nop 0
	buffer_load_dword v5, v5, s[0:3], 0 offen offset:12
	v_mov_b32_e32 v6, 0
	buffer_store_dword v6, off, s[0:3], 0 offset:144
	buffer_store_dword v6, off, s[0:3], 0 offset:148
	;; [unrolled: 1-line block ×4, first 2 shown]
	s_waitcnt vmcnt(4)
	ds_write_b128 v1, v[2:5]
.LBB97_201:
	s_or_b64 exec, exec, s[4:5]
	s_waitcnt lgkmcnt(0)
	; wave barrier
	s_waitcnt lgkmcnt(0)
	buffer_load_dword v22, off, s[0:3], 0 offset:160
	buffer_load_dword v23, off, s[0:3], 0 offset:164
	;; [unrolled: 1-line block ×64, first 2 shown]
	v_mov_b32_e32 v114, 0
	ds_read_b128 v[18:21], v114 offset:688
	ds_read_b128 v[14:17], v114 offset:704
	;; [unrolled: 1-line block ×5, first 2 shown]
	v_cmp_lt_u32_e32 vcc, 7, v0
	s_waitcnt vmcnt(60) lgkmcnt(4)
	v_mul_f64 v[86:87], v[18:19], v[26:27]
	v_fmac_f64_e32 v[86:87], v[20:21], v[22:23]
	v_add_f64 v[86:87], v[86:87], 0
	v_mul_f64 v[20:21], v[20:21], v[26:27]
	s_waitcnt vmcnt(56) lgkmcnt(3)
	v_mul_f64 v[88:89], v[14:15], v[28:29]
	v_fmac_f64_e32 v[88:89], v[16:17], v[24:25]
	s_waitcnt vmcnt(54) lgkmcnt(2)
	v_mul_f64 v[90:91], v[10:11], v[30:31]
	v_add_f64 v[86:87], v[86:87], v[88:89]
	v_fma_f64 v[18:19], v[18:19], v[22:23], -v[20:21]
	v_mul_f64 v[16:17], v[16:17], v[28:29]
	s_waitcnt vmcnt(50) lgkmcnt(1)
	v_mul_f64 v[102:103], v[6:7], v[40:41]
	v_add_f64 v[18:19], v[18:19], 0
	s_waitcnt vmcnt(48)
	v_fmac_f64_e32 v[90:91], v[12:13], v[44:45]
	v_add_f64 v[104:105], v[86:87], v[90:91]
	buffer_load_dword v87, off, s[0:3], 0 offset:428
	buffer_load_dword v86, off, s[0:3], 0 offset:424
	;; [unrolled: 1-line block ×40, first 2 shown]
	s_waitcnt vmcnt(62)
	v_fmac_f64_e32 v[102:103], v[8:9], v[42:43]
	v_add_f64 v[106:107], v[104:105], v[102:103]
	ds_read_b128 v[102:105], v114 offset:768
	s_waitcnt lgkmcnt(1)
	v_mul_f64 v[108:109], v[2:3], v[36:37]
	v_fmac_f64_e32 v[108:109], v[4:5], v[38:39]
	v_add_f64 v[110:111], v[106:107], v[108:109]
	ds_read_b128 v[106:109], v114 offset:784
	s_waitcnt lgkmcnt(1)
	v_mul_f64 v[112:113], v[102:103], v[50:51]
	;; [unrolled: 5-line block ×5, first 2 shown]
	v_fmac_f64_e32 v[128:129], v[118:119], v[56:57]
	v_add_f64 v[130:131], v[126:127], v[128:129]
	ds_read_b128 v[126:129], v114 offset:848
	s_waitcnt vmcnt(58) lgkmcnt(1)
	v_mul_f64 v[132:133], v[122:123], v[66:67]
	s_waitcnt vmcnt(56)
	v_fmac_f64_e32 v[132:133], v[124:125], v[68:69]
	v_add_f64 v[134:135], v[130:131], v[132:133]
	ds_read_b128 v[130:133], v114 offset:864
	s_waitcnt lgkmcnt(1)
	v_mul_f64 v[136:137], v[126:127], v[62:63]
	v_fmac_f64_e32 v[136:137], v[128:129], v[64:65]
	v_add_f64 v[138:139], v[134:135], v[136:137]
	ds_read_b128 v[134:137], v114 offset:880
	s_waitcnt vmcnt(50) lgkmcnt(1)
	v_mul_f64 v[140:141], v[130:131], v[74:75]
	s_waitcnt vmcnt(48)
	v_fmac_f64_e32 v[140:141], v[132:133], v[76:77]
	v_add_f64 v[142:143], v[138:139], v[140:141]
	ds_read_b128 v[138:141], v114 offset:896
	v_fma_f64 v[14:15], v[14:15], v[24:25], -v[16:17]
	v_mul_f64 v[12:13], v[12:13], v[30:31]
	v_add_f64 v[14:15], v[18:19], v[14:15]
	v_fma_f64 v[10:11], v[10:11], v[44:45], -v[12:13]
	v_mul_f64 v[8:9], v[8:9], v[40:41]
	s_waitcnt lgkmcnt(1)
	v_mul_f64 v[144:145], v[134:135], v[70:71]
	v_add_f64 v[10:11], v[14:15], v[10:11]
	v_fma_f64 v[6:7], v[6:7], v[42:43], -v[8:9]
	v_mul_f64 v[4:5], v[4:5], v[36:37]
	v_fmac_f64_e32 v[144:145], v[136:137], v[72:73]
	v_add_f64 v[6:7], v[10:11], v[6:7]
	v_fma_f64 v[2:3], v[2:3], v[38:39], -v[4:5]
	v_mul_f64 v[4:5], v[104:105], v[50:51]
	v_add_f64 v[146:147], v[142:143], v[144:145]
	ds_read_b128 v[142:145], v114 offset:912
	s_waitcnt vmcnt(42) lgkmcnt(1)
	v_mul_f64 v[148:149], v[138:139], v[82:83]
	v_add_f64 v[2:3], v[6:7], v[2:3]
	v_fma_f64 v[4:5], v[102:103], v[52:53], -v[4:5]
	s_waitcnt vmcnt(40)
	v_fmac_f64_e32 v[148:149], v[140:141], v[84:85]
	v_add_f64 v[2:3], v[2:3], v[4:5]
	v_mul_f64 v[4:5], v[108:109], v[46:47]
	v_add_f64 v[150:151], v[146:147], v[148:149]
	ds_read_b128 v[146:149], v114 offset:928
	v_fma_f64 v[4:5], v[106:107], v[48:49], -v[4:5]
	v_add_f64 v[2:3], v[2:3], v[4:5]
	v_mul_f64 v[4:5], v[112:113], v[58:59]
	v_fma_f64 v[4:5], v[110:111], v[60:61], -v[4:5]
	s_waitcnt lgkmcnt(1)
	v_mul_f64 v[152:153], v[142:143], v[78:79]
	v_add_f64 v[2:3], v[2:3], v[4:5]
	v_mul_f64 v[4:5], v[118:119], v[54:55]
	v_fmac_f64_e32 v[152:153], v[144:145], v[80:81]
	v_fma_f64 v[4:5], v[116:117], v[56:57], -v[4:5]
	v_add_f64 v[154:155], v[150:151], v[152:153]
	ds_read_b128 v[150:153], v114 offset:944
	s_waitcnt vmcnt(34) lgkmcnt(1)
	v_mul_f64 v[156:157], v[146:147], v[90:91]
	v_add_f64 v[2:3], v[2:3], v[4:5]
	v_mul_f64 v[4:5], v[124:125], v[66:67]
	s_waitcnt vmcnt(32)
	v_fmac_f64_e32 v[156:157], v[148:149], v[92:93]
	v_fma_f64 v[4:5], v[122:123], v[68:69], -v[4:5]
	v_add_f64 v[158:159], v[154:155], v[156:157]
	ds_read_b128 v[154:157], v114 offset:960
	v_add_f64 v[2:3], v[2:3], v[4:5]
	v_mul_f64 v[4:5], v[128:129], v[62:63]
	v_fma_f64 v[4:5], v[126:127], v[64:65], -v[4:5]
	v_add_f64 v[2:3], v[2:3], v[4:5]
	v_mul_f64 v[4:5], v[132:133], v[74:75]
	s_waitcnt lgkmcnt(1)
	v_mul_f64 v[160:161], v[150:151], v[86:87]
	v_fma_f64 v[4:5], v[130:131], v[76:77], -v[4:5]
	v_fmac_f64_e32 v[160:161], v[152:153], v[88:89]
	v_add_f64 v[2:3], v[2:3], v[4:5]
	v_mul_f64 v[4:5], v[136:137], v[70:71]
	v_add_f64 v[162:163], v[158:159], v[160:161]
	ds_read_b128 v[158:161], v114 offset:976
	s_waitcnt vmcnt(26) lgkmcnt(1)
	v_mul_f64 v[164:165], v[154:155], v[98:99]
	v_fma_f64 v[4:5], v[134:135], v[72:73], -v[4:5]
	s_waitcnt vmcnt(24)
	v_fmac_f64_e32 v[164:165], v[156:157], v[100:101]
	v_add_f64 v[2:3], v[2:3], v[4:5]
	v_mul_f64 v[4:5], v[140:141], v[82:83]
	v_add_f64 v[166:167], v[162:163], v[164:165]
	ds_read_b128 v[162:165], v114 offset:992
	v_fma_f64 v[4:5], v[138:139], v[84:85], -v[4:5]
	v_add_f64 v[2:3], v[2:3], v[4:5]
	v_mul_f64 v[4:5], v[144:145], v[78:79]
	v_fma_f64 v[4:5], v[142:143], v[80:81], -v[4:5]
	s_waitcnt lgkmcnt(1)
	v_mul_f64 v[168:169], v[158:159], v[94:95]
	v_add_f64 v[2:3], v[2:3], v[4:5]
	v_mul_f64 v[4:5], v[148:149], v[90:91]
	v_fmac_f64_e32 v[168:169], v[160:161], v[96:97]
	v_fma_f64 v[4:5], v[146:147], v[92:93], -v[4:5]
	v_add_f64 v[170:171], v[166:167], v[168:169]
	ds_read_b128 v[166:169], v114 offset:1008
	s_waitcnt vmcnt(18) lgkmcnt(1)
	v_mul_f64 v[172:173], v[162:163], v[198:199]
	v_add_f64 v[2:3], v[2:3], v[4:5]
	v_mul_f64 v[4:5], v[152:153], v[86:87]
	s_waitcnt vmcnt(16)
	v_fmac_f64_e32 v[172:173], v[164:165], v[200:201]
	v_fma_f64 v[4:5], v[150:151], v[88:89], -v[4:5]
	v_add_f64 v[174:175], v[170:171], v[172:173]
	ds_read_b128 v[170:173], v114 offset:1024
	v_add_f64 v[2:3], v[2:3], v[4:5]
	v_mul_f64 v[4:5], v[156:157], v[98:99]
	v_fma_f64 v[4:5], v[154:155], v[100:101], -v[4:5]
	v_add_f64 v[2:3], v[2:3], v[4:5]
	v_mul_f64 v[4:5], v[160:161], v[94:95]
	s_waitcnt lgkmcnt(1)
	v_mul_f64 v[176:177], v[166:167], v[194:195]
	v_fma_f64 v[4:5], v[158:159], v[96:97], -v[4:5]
	v_fmac_f64_e32 v[176:177], v[168:169], v[196:197]
	v_add_f64 v[2:3], v[2:3], v[4:5]
	v_mul_f64 v[4:5], v[164:165], v[198:199]
	v_add_f64 v[186:187], v[174:175], v[176:177]
	ds_read_b128 v[174:177], v114 offset:1040
	s_waitcnt vmcnt(10) lgkmcnt(1)
	v_mul_f64 v[188:189], v[170:171], v[206:207]
	v_fma_f64 v[4:5], v[162:163], v[200:201], -v[4:5]
	s_waitcnt vmcnt(8)
	v_fmac_f64_e32 v[188:189], v[172:173], v[208:209]
	v_add_f64 v[2:3], v[2:3], v[4:5]
	v_mul_f64 v[4:5], v[168:169], v[194:195]
	v_add_f64 v[218:219], v[186:187], v[188:189]
	ds_read_b128 v[186:189], v114 offset:1056
	ds_read_b128 v[190:193], v114 offset:1072
	v_fma_f64 v[4:5], v[166:167], v[196:197], -v[4:5]
	v_add_f64 v[2:3], v[2:3], v[4:5]
	v_mul_f64 v[4:5], v[172:173], v[206:207]
	v_fma_f64 v[4:5], v[170:171], v[208:209], -v[4:5]
	v_add_f64 v[2:3], v[2:3], v[4:5]
	s_waitcnt lgkmcnt(2)
	v_mul_f64 v[4:5], v[176:177], v[202:203]
	v_mul_f64 v[220:221], v[174:175], v[202:203]
	v_fma_f64 v[4:5], v[174:175], v[204:205], -v[4:5]
	v_fmac_f64_e32 v[220:221], v[176:177], v[204:205]
	v_add_f64 v[2:3], v[2:3], v[4:5]
	s_waitcnt vmcnt(2) lgkmcnt(1)
	v_mul_f64 v[4:5], v[188:189], v[214:215]
	v_add_f64 v[218:219], v[218:219], v[220:221]
	v_mul_f64 v[220:221], v[186:187], v[214:215]
	s_waitcnt vmcnt(0)
	v_fma_f64 v[4:5], v[186:187], v[216:217], -v[4:5]
	v_fmac_f64_e32 v[220:221], v[188:189], v[216:217]
	v_add_f64 v[2:3], v[2:3], v[4:5]
	s_waitcnt lgkmcnt(0)
	v_mul_f64 v[4:5], v[192:193], v[210:211]
	v_add_f64 v[218:219], v[218:219], v[220:221]
	v_mul_f64 v[220:221], v[190:191], v[210:211]
	v_fma_f64 v[4:5], v[190:191], v[212:213], -v[4:5]
	v_fmac_f64_e32 v[220:221], v[192:193], v[212:213]
	v_add_f64 v[2:3], v[2:3], v[4:5]
	v_add_f64 v[218:219], v[218:219], v[220:221]
	v_add_f64 v[2:3], v[34:35], -v[2:3]
	v_add_f64 v[4:5], v[32:33], -v[218:219]
	buffer_store_dword v3, off, s[0:3], 0 offset:148
	buffer_store_dword v2, off, s[0:3], 0 offset:144
	buffer_store_dword v5, off, s[0:3], 0 offset:156
	buffer_store_dword v4, off, s[0:3], 0 offset:152
	s_and_saveexec_b64 s[4:5], vcc
	s_cbranch_execz .LBB97_203
; %bb.202:
	v_accvgpr_read_b32 v5, a87
	buffer_load_dword v2, v5, s[0:3], 0 offen
	buffer_load_dword v3, v5, s[0:3], 0 offen offset:4
	buffer_load_dword v4, v5, s[0:3], 0 offen offset:8
	s_nop 0
	buffer_load_dword v5, v5, s[0:3], 0 offen offset:12
	s_nop 0
	buffer_store_dword v114, off, s[0:3], 0 offset:128
	buffer_store_dword v114, off, s[0:3], 0 offset:132
	;; [unrolled: 1-line block ×4, first 2 shown]
	s_waitcnt vmcnt(4)
	ds_write_b128 v1, v[2:5]
.LBB97_203:
	s_or_b64 exec, exec, s[4:5]
	s_waitcnt lgkmcnt(0)
	; wave barrier
	s_waitcnt lgkmcnt(0)
	buffer_load_dword v26, off, s[0:3], 0 offset:144
	buffer_load_dword v27, off, s[0:3], 0 offset:148
	;; [unrolled: 1-line block ×24, first 2 shown]
	ds_read_b128 v[22:25], v114 offset:672
	ds_read_b128 v[18:21], v114 offset:688
	;; [unrolled: 1-line block ×6, first 2 shown]
	buffer_load_dword v51, off, s[0:3], 0 offset:252
	buffer_load_dword v50, off, s[0:3], 0 offset:248
	buffer_load_dword v53, off, s[0:3], 0 offset:244
	buffer_load_dword v52, off, s[0:3], 0 offset:240
	buffer_load_dword v55, off, s[0:3], 0 offset:236
	buffer_load_dword v54, off, s[0:3], 0 offset:232
	buffer_load_dword v57, off, s[0:3], 0 offset:228
	buffer_load_dword v56, off, s[0:3], 0 offset:224
	buffer_load_dword v59, off, s[0:3], 0 offset:284
	buffer_load_dword v58, off, s[0:3], 0 offset:280
	buffer_load_dword v61, off, s[0:3], 0 offset:276
	buffer_load_dword v60, off, s[0:3], 0 offset:272
	buffer_load_dword v63, off, s[0:3], 0 offset:268
	buffer_load_dword v62, off, s[0:3], 0 offset:264
	buffer_load_dword v65, off, s[0:3], 0 offset:260
	buffer_load_dword v64, off, s[0:3], 0 offset:256
	buffer_load_dword v67, off, s[0:3], 0 offset:316
	buffer_load_dword v66, off, s[0:3], 0 offset:312
	buffer_load_dword v69, off, s[0:3], 0 offset:308
	buffer_load_dword v68, off, s[0:3], 0 offset:304
	buffer_load_dword v71, off, s[0:3], 0 offset:300
	buffer_load_dword v70, off, s[0:3], 0 offset:296
	buffer_load_dword v73, off, s[0:3], 0 offset:292
	buffer_load_dword v72, off, s[0:3], 0 offset:288
	buffer_load_dword v75, off, s[0:3], 0 offset:348
	buffer_load_dword v74, off, s[0:3], 0 offset:344
	buffer_load_dword v77, off, s[0:3], 0 offset:340
	buffer_load_dword v76, off, s[0:3], 0 offset:336
	buffer_load_dword v79, off, s[0:3], 0 offset:332
	buffer_load_dword v78, off, s[0:3], 0 offset:328
	buffer_load_dword v81, off, s[0:3], 0 offset:324
	buffer_load_dword v80, off, s[0:3], 0 offset:320
	buffer_load_dword v83, off, s[0:3], 0 offset:380
	buffer_load_dword v82, off, s[0:3], 0 offset:376
	buffer_load_dword v85, off, s[0:3], 0 offset:372
	buffer_load_dword v84, off, s[0:3], 0 offset:368
	buffer_load_dword v87, off, s[0:3], 0 offset:364
	buffer_load_dword v86, off, s[0:3], 0 offset:360
	buffer_load_dword v89, off, s[0:3], 0 offset:356
	buffer_load_dword v88, off, s[0:3], 0 offset:352
	v_cmp_lt_u32_e32 vcc, 6, v0
	s_waitcnt vmcnt(34) lgkmcnt(0)
	v_mul_f64 v[124:125], v[14:15], v[54:55]
	s_waitcnt vmcnt(32)
	v_fmac_f64_e32 v[124:125], v[16:17], v[56:57]
	v_mul_f64 v[90:91], v[22:23], v[28:29]
	v_fmac_f64_e32 v[90:91], v[24:25], v[26:27]
	v_mul_f64 v[92:93], v[18:19], v[30:31]
	v_add_f64 v[90:91], v[90:91], 0
	v_mul_f64 v[94:95], v[10:11], v[32:33]
	v_mul_f64 v[24:25], v[24:25], v[28:29]
	;; [unrolled: 1-line block ×3, first 2 shown]
	v_fma_f64 v[22:23], v[22:23], v[26:27], -v[24:25]
	v_add_f64 v[22:23], v[22:23], 0
	v_mul_f64 v[96:97], v[6:7], v[42:43]
	v_fmac_f64_e32 v[92:93], v[20:21], v[48:49]
	v_add_f64 v[90:91], v[90:91], v[92:93]
	v_fmac_f64_e32 v[94:95], v[12:13], v[46:47]
	v_add_f64 v[90:91], v[90:91], v[94:95]
	;; [unrolled: 2-line block ×3, first 2 shown]
	buffer_load_dword v91, off, s[0:3], 0 offset:412
	buffer_load_dword v90, off, s[0:3], 0 offset:408
	;; [unrolled: 1-line block ×40, first 2 shown]
	v_fmac_f64_e32 v[116:117], v[4:5], v[40:41]
	v_add_f64 v[122:123], v[118:119], v[116:117]
	ds_read_b128 v[116:119], v114 offset:768
	buffer_load_dword v223, off, s[0:3], 0 offset:556
	buffer_load_dword v222, off, s[0:3], 0 offset:552
	;; [unrolled: 1-line block ×4, first 2 shown]
	v_add_f64 v[126:127], v[122:123], v[124:125]
	ds_read_b128 v[122:125], v114 offset:784
	v_mul_f64 v[20:21], v[20:21], v[30:31]
	s_waitcnt lgkmcnt(1)
	v_mul_f64 v[128:129], v[116:117], v[50:51]
	v_fmac_f64_e32 v[128:129], v[118:119], v[52:53]
	v_add_f64 v[130:131], v[126:127], v[128:129]
	ds_read_b128 v[126:129], v114 offset:800
	s_waitcnt vmcnt(62) lgkmcnt(1)
	v_mul_f64 v[132:133], v[122:123], v[62:63]
	v_fmac_f64_e32 v[132:133], v[124:125], v[64:65]
	v_add_f64 v[134:135], v[130:131], v[132:133]
	ds_read_b128 v[130:133], v114 offset:816
	s_waitcnt lgkmcnt(1)
	v_mul_f64 v[136:137], v[126:127], v[58:59]
	v_fmac_f64_e32 v[136:137], v[128:129], v[60:61]
	v_add_f64 v[138:139], v[134:135], v[136:137]
	ds_read_b128 v[134:137], v114 offset:832
	s_waitcnt lgkmcnt(1)
	v_mul_f64 v[140:141], v[130:131], v[70:71]
	s_waitcnt vmcnt(60)
	v_fmac_f64_e32 v[140:141], v[132:133], v[72:73]
	v_add_f64 v[142:143], v[138:139], v[140:141]
	ds_read_b128 v[138:141], v114 offset:848
	s_waitcnt lgkmcnt(1)
	v_mul_f64 v[144:145], v[134:135], v[66:67]
	v_fmac_f64_e32 v[144:145], v[136:137], v[68:69]
	v_add_f64 v[146:147], v[142:143], v[144:145]
	ds_read_b128 v[142:145], v114 offset:864
	s_waitcnt vmcnt(54) lgkmcnt(1)
	v_mul_f64 v[148:149], v[138:139], v[78:79]
	s_waitcnt vmcnt(52)
	v_fmac_f64_e32 v[148:149], v[140:141], v[80:81]
	v_add_f64 v[150:151], v[146:147], v[148:149]
	ds_read_b128 v[146:149], v114 offset:880
	s_waitcnt lgkmcnt(1)
	v_mul_f64 v[152:153], v[142:143], v[74:75]
	v_fmac_f64_e32 v[152:153], v[144:145], v[76:77]
	v_fma_f64 v[18:19], v[18:19], v[48:49], -v[20:21]
	v_mul_f64 v[12:13], v[12:13], v[32:33]
	v_add_f64 v[154:155], v[150:151], v[152:153]
	ds_read_b128 v[150:153], v114 offset:896
	v_add_f64 v[18:19], v[22:23], v[18:19]
	v_fma_f64 v[10:11], v[10:11], v[46:47], -v[12:13]
	v_mul_f64 v[8:9], v[8:9], v[42:43]
	v_add_f64 v[10:11], v[18:19], v[10:11]
	v_fma_f64 v[6:7], v[6:7], v[44:45], -v[8:9]
	v_mul_f64 v[4:5], v[4:5], v[38:39]
	;; [unrolled: 3-line block ×3, first 2 shown]
	s_waitcnt vmcnt(46) lgkmcnt(1)
	v_mul_f64 v[156:157], v[146:147], v[86:87]
	v_add_f64 v[2:3], v[6:7], v[2:3]
	v_fma_f64 v[4:5], v[14:15], v[56:57], -v[4:5]
	s_waitcnt vmcnt(44)
	v_fmac_f64_e32 v[156:157], v[148:149], v[88:89]
	v_add_f64 v[2:3], v[2:3], v[4:5]
	v_mul_f64 v[4:5], v[118:119], v[50:51]
	v_add_f64 v[158:159], v[154:155], v[156:157]
	ds_read_b128 v[154:157], v114 offset:912
	s_waitcnt lgkmcnt(1)
	v_mul_f64 v[160:161], v[150:151], v[82:83]
	v_fma_f64 v[4:5], v[116:117], v[52:53], -v[4:5]
	v_fmac_f64_e32 v[160:161], v[152:153], v[84:85]
	v_add_f64 v[2:3], v[2:3], v[4:5]
	v_mul_f64 v[4:5], v[124:125], v[62:63]
	v_add_f64 v[162:163], v[158:159], v[160:161]
	ds_read_b128 v[158:161], v114 offset:928
	v_fma_f64 v[4:5], v[122:123], v[64:65], -v[4:5]
	v_add_f64 v[2:3], v[2:3], v[4:5]
	v_mul_f64 v[4:5], v[128:129], v[58:59]
	v_fma_f64 v[4:5], v[126:127], v[60:61], -v[4:5]
	s_waitcnt vmcnt(38) lgkmcnt(1)
	v_mul_f64 v[164:165], v[154:155], v[94:95]
	v_add_f64 v[2:3], v[2:3], v[4:5]
	v_mul_f64 v[4:5], v[132:133], v[70:71]
	s_waitcnt vmcnt(36)
	v_fmac_f64_e32 v[164:165], v[156:157], v[96:97]
	v_fma_f64 v[4:5], v[130:131], v[72:73], -v[4:5]
	v_add_f64 v[166:167], v[162:163], v[164:165]
	ds_read_b128 v[162:165], v114 offset:944
	s_waitcnt lgkmcnt(1)
	v_mul_f64 v[168:169], v[158:159], v[90:91]
	v_add_f64 v[2:3], v[2:3], v[4:5]
	v_mul_f64 v[4:5], v[136:137], v[66:67]
	v_fmac_f64_e32 v[168:169], v[160:161], v[92:93]
	v_fma_f64 v[4:5], v[134:135], v[68:69], -v[4:5]
	v_add_f64 v[170:171], v[166:167], v[168:169]
	ds_read_b128 v[166:169], v114 offset:960
	v_add_f64 v[2:3], v[2:3], v[4:5]
	v_mul_f64 v[4:5], v[140:141], v[78:79]
	v_fma_f64 v[4:5], v[138:139], v[80:81], -v[4:5]
	v_add_f64 v[2:3], v[2:3], v[4:5]
	v_mul_f64 v[4:5], v[144:145], v[74:75]
	s_waitcnt vmcnt(30) lgkmcnt(1)
	v_mul_f64 v[172:173], v[162:163], v[102:103]
	v_fma_f64 v[4:5], v[142:143], v[76:77], -v[4:5]
	s_waitcnt vmcnt(28)
	v_fmac_f64_e32 v[172:173], v[164:165], v[104:105]
	v_add_f64 v[2:3], v[2:3], v[4:5]
	v_mul_f64 v[4:5], v[148:149], v[86:87]
	v_add_f64 v[174:175], v[170:171], v[172:173]
	ds_read_b128 v[170:173], v114 offset:976
	s_waitcnt lgkmcnt(1)
	v_mul_f64 v[176:177], v[166:167], v[98:99]
	v_fma_f64 v[4:5], v[146:147], v[88:89], -v[4:5]
	v_fmac_f64_e32 v[176:177], v[168:169], v[100:101]
	v_add_f64 v[2:3], v[2:3], v[4:5]
	v_mul_f64 v[4:5], v[152:153], v[82:83]
	v_add_f64 v[186:187], v[174:175], v[176:177]
	ds_read_b128 v[174:177], v114 offset:992
	v_fma_f64 v[4:5], v[150:151], v[84:85], -v[4:5]
	v_add_f64 v[2:3], v[2:3], v[4:5]
	v_mul_f64 v[4:5], v[156:157], v[94:95]
	v_fma_f64 v[4:5], v[154:155], v[96:97], -v[4:5]
	s_waitcnt vmcnt(22) lgkmcnt(1)
	v_mul_f64 v[188:189], v[170:171], v[110:111]
	v_add_f64 v[2:3], v[2:3], v[4:5]
	v_mul_f64 v[4:5], v[160:161], v[90:91]
	s_waitcnt vmcnt(20)
	v_fmac_f64_e32 v[188:189], v[172:173], v[112:113]
	v_fma_f64 v[4:5], v[158:159], v[92:93], -v[4:5]
	v_add_f64 v[190:191], v[186:187], v[188:189]
	ds_read_b128 v[186:189], v114 offset:1008
	s_waitcnt lgkmcnt(1)
	v_mul_f64 v[192:193], v[174:175], v[106:107]
	v_add_f64 v[2:3], v[2:3], v[4:5]
	v_mul_f64 v[4:5], v[164:165], v[102:103]
	v_fmac_f64_e32 v[192:193], v[176:177], v[108:109]
	v_fma_f64 v[4:5], v[162:163], v[104:105], -v[4:5]
	v_add_f64 v[194:195], v[190:191], v[192:193]
	ds_read_b128 v[190:193], v114 offset:1024
	v_add_f64 v[2:3], v[2:3], v[4:5]
	v_mul_f64 v[4:5], v[168:169], v[98:99]
	v_fma_f64 v[4:5], v[166:167], v[100:101], -v[4:5]
	v_add_f64 v[2:3], v[2:3], v[4:5]
	v_mul_f64 v[4:5], v[172:173], v[110:111]
	s_waitcnt vmcnt(14) lgkmcnt(1)
	v_mul_f64 v[196:197], v[186:187], v[210:211]
	v_fma_f64 v[4:5], v[170:171], v[112:113], -v[4:5]
	s_waitcnt vmcnt(12)
	v_fmac_f64_e32 v[196:197], v[188:189], v[212:213]
	v_add_f64 v[2:3], v[2:3], v[4:5]
	v_mul_f64 v[4:5], v[176:177], v[106:107]
	v_add_f64 v[198:199], v[194:195], v[196:197]
	ds_read_b128 v[194:197], v114 offset:1040
	s_waitcnt lgkmcnt(1)
	v_mul_f64 v[200:201], v[190:191], v[206:207]
	v_fma_f64 v[4:5], v[174:175], v[108:109], -v[4:5]
	v_fmac_f64_e32 v[200:201], v[192:193], v[208:209]
	v_add_f64 v[2:3], v[2:3], v[4:5]
	v_mul_f64 v[4:5], v[188:189], v[210:211]
	v_add_f64 v[226:227], v[198:199], v[200:201]
	ds_read_b128 v[198:201], v114 offset:1056
	v_fma_f64 v[4:5], v[186:187], v[212:213], -v[4:5]
	v_add_f64 v[2:3], v[2:3], v[4:5]
	v_mul_f64 v[4:5], v[192:193], v[206:207]
	ds_read_b128 v[202:205], v114 offset:1072
	v_fma_f64 v[4:5], v[190:191], v[208:209], -v[4:5]
	v_add_f64 v[2:3], v[2:3], v[4:5]
	s_waitcnt vmcnt(6) lgkmcnt(2)
	v_mul_f64 v[4:5], v[196:197], v[218:219]
	v_mul_f64 v[228:229], v[194:195], v[218:219]
	s_waitcnt vmcnt(4)
	v_fma_f64 v[4:5], v[194:195], v[220:221], -v[4:5]
	v_fmac_f64_e32 v[228:229], v[196:197], v[220:221]
	v_add_f64 v[2:3], v[2:3], v[4:5]
	s_waitcnt lgkmcnt(1)
	v_mul_f64 v[4:5], v[200:201], v[214:215]
	v_add_f64 v[114:115], v[226:227], v[228:229]
	v_mul_f64 v[226:227], v[198:199], v[214:215]
	v_fma_f64 v[4:5], v[198:199], v[216:217], -v[4:5]
	v_fmac_f64_e32 v[226:227], v[200:201], v[216:217]
	v_add_f64 v[2:3], v[2:3], v[4:5]
	s_waitcnt vmcnt(2) lgkmcnt(0)
	v_mul_f64 v[4:5], v[204:205], v[222:223]
	v_add_f64 v[114:115], v[114:115], v[226:227]
	v_mul_f64 v[226:227], v[202:203], v[222:223]
	s_waitcnt vmcnt(0)
	v_fma_f64 v[4:5], v[202:203], v[224:225], -v[4:5]
	v_fmac_f64_e32 v[226:227], v[204:205], v[224:225]
	v_add_f64 v[2:3], v[2:3], v[4:5]
	v_add_f64 v[114:115], v[114:115], v[226:227]
	v_add_f64 v[2:3], v[36:37], -v[2:3]
	v_add_f64 v[4:5], v[34:35], -v[114:115]
	buffer_store_dword v3, off, s[0:3], 0 offset:132
	buffer_store_dword v2, off, s[0:3], 0 offset:128
	;; [unrolled: 1-line block ×4, first 2 shown]
	s_and_saveexec_b64 s[4:5], vcc
	s_cbranch_execz .LBB97_205
; %bb.204:
	v_accvgpr_read_b32 v5, a89
	buffer_load_dword v2, v5, s[0:3], 0 offen
	buffer_load_dword v3, v5, s[0:3], 0 offen offset:4
	buffer_load_dword v4, v5, s[0:3], 0 offen offset:8
	s_nop 0
	buffer_load_dword v5, v5, s[0:3], 0 offen offset:12
	v_mov_b32_e32 v6, 0
	buffer_store_dword v6, off, s[0:3], 0 offset:112
	buffer_store_dword v6, off, s[0:3], 0 offset:116
	;; [unrolled: 1-line block ×4, first 2 shown]
	s_waitcnt vmcnt(4)
	ds_write_b128 v1, v[2:5]
.LBB97_205:
	s_or_b64 exec, exec, s[4:5]
	s_waitcnt lgkmcnt(0)
	; wave barrier
	s_waitcnt lgkmcnt(0)
	buffer_load_dword v30, off, s[0:3], 0 offset:128
	buffer_load_dword v31, off, s[0:3], 0 offset:132
	;; [unrolled: 1-line block ×56, first 2 shown]
	v_mov_b32_e32 v136, 0
	ds_read_b128 v[26:29], v136 offset:656
	ds_read_b128 v[22:25], v136 offset:672
	;; [unrolled: 1-line block ×7, first 2 shown]
	v_cmp_lt_u32_e32 vcc, 5, v0
	s_waitcnt vmcnt(52) lgkmcnt(6)
	v_mul_f64 v[86:87], v[26:27], v[34:35]
	v_fmac_f64_e32 v[86:87], v[28:29], v[30:31]
	v_add_f64 v[86:87], v[86:87], 0
	v_mul_f64 v[28:29], v[28:29], v[34:35]
	s_waitcnt vmcnt(48) lgkmcnt(5)
	v_mul_f64 v[88:89], v[22:23], v[36:37]
	v_fmac_f64_e32 v[88:89], v[24:25], v[32:33]
	s_waitcnt vmcnt(46) lgkmcnt(4)
	v_mul_f64 v[90:91], v[18:19], v[38:39]
	v_add_f64 v[86:87], v[86:87], v[88:89]
	s_waitcnt vmcnt(44) lgkmcnt(2)
	v_mul_f64 v[94:95], v[10:11], v[40:41]
	v_fma_f64 v[26:27], v[26:27], v[30:31], -v[28:29]
	s_waitcnt vmcnt(42)
	v_fmac_f64_e32 v[94:95], v[12:13], v[42:43]
	v_mul_f64 v[24:25], v[24:25], v[36:37]
	s_waitcnt vmcnt(40)
	v_mul_f64 v[92:93], v[14:15], v[48:49]
	v_add_f64 v[26:27], v[26:27], 0
	v_fma_f64 v[22:23], v[22:23], v[32:33], -v[24:25]
	v_add_f64 v[22:23], v[26:27], v[22:23]
	s_waitcnt vmcnt(36) lgkmcnt(1)
	v_mul_f64 v[110:111], v[6:7], v[54:55]
	v_mul_f64 v[12:13], v[12:13], v[40:41]
	s_waitcnt vmcnt(34)
	v_fmac_f64_e32 v[90:91], v[20:21], v[60:61]
	v_add_f64 v[86:87], v[86:87], v[90:91]
	s_waitcnt vmcnt(32)
	v_fmac_f64_e32 v[92:93], v[16:17], v[58:59]
	v_add_f64 v[86:87], v[86:87], v[92:93]
	v_add_f64 v[116:117], v[86:87], v[94:95]
	buffer_load_dword v87, off, s[0:3], 0 offset:364
	buffer_load_dword v86, off, s[0:3], 0 offset:360
	;; [unrolled: 1-line block ×56, first 2 shown]
	ds_read_b128 v[126:129], v136 offset:768
	ds_read_b128 v[130:133], v136 offset:784
	v_mul_f64 v[20:21], v[20:21], v[38:39]
	v_fma_f64 v[18:19], v[18:19], v[60:61], -v[20:21]
	v_mul_f64 v[16:17], v[16:17], v[48:49]
	s_waitcnt vmcnt(62)
	v_fmac_f64_e32 v[110:111], v[8:9], v[56:57]
	v_add_f64 v[18:19], v[22:23], v[18:19]
	v_fma_f64 v[14:15], v[14:15], v[58:59], -v[16:17]
	v_add_f64 v[110:111], v[116:117], v[110:111]
	s_waitcnt lgkmcnt(2)
	v_mul_f64 v[116:117], v[2:3], v[50:51]
	v_add_f64 v[14:15], v[18:19], v[14:15]
	v_fma_f64 v[10:11], v[10:11], v[42:43], -v[12:13]
	v_mul_f64 v[8:9], v[8:9], v[54:55]
	v_fmac_f64_e32 v[116:117], v[4:5], v[52:53]
	ds_read_b128 v[138:141], v136 offset:800
	ds_read_b128 v[142:145], v136 offset:816
	v_add_f64 v[10:11], v[14:15], v[10:11]
	v_fma_f64 v[6:7], v[6:7], v[56:57], -v[8:9]
	v_mul_f64 v[4:5], v[4:5], v[50:51]
	v_add_f64 v[6:7], v[10:11], v[6:7]
	v_fma_f64 v[2:3], v[2:3], v[52:53], -v[4:5]
	s_waitcnt lgkmcnt(3)
	v_mul_f64 v[4:5], v[128:129], v[66:67]
	v_add_f64 v[110:111], v[110:111], v[116:117]
	v_mul_f64 v[116:117], v[126:127], v[66:67]
	v_add_f64 v[2:3], v[6:7], v[2:3]
	v_fma_f64 v[4:5], v[126:127], v[68:69], -v[4:5]
	v_fmac_f64_e32 v[116:117], v[128:129], v[68:69]
	v_add_f64 v[2:3], v[2:3], v[4:5]
	s_waitcnt lgkmcnt(2)
	v_mul_f64 v[4:5], v[132:133], v[62:63]
	v_add_f64 v[110:111], v[110:111], v[116:117]
	v_mul_f64 v[116:117], v[130:131], v[62:63]
	ds_read_b128 v[146:149], v136 offset:832
	ds_read_b128 v[150:153], v136 offset:848
	v_fma_f64 v[4:5], v[130:131], v[64:65], -v[4:5]
	v_fmac_f64_e32 v[116:117], v[132:133], v[64:65]
	v_add_f64 v[2:3], v[2:3], v[4:5]
	s_waitcnt lgkmcnt(3)
	v_mul_f64 v[4:5], v[140:141], v[74:75]
	v_add_f64 v[110:111], v[110:111], v[116:117]
	v_mul_f64 v[116:117], v[138:139], v[74:75]
	v_fma_f64 v[4:5], v[138:139], v[76:77], -v[4:5]
	v_fmac_f64_e32 v[116:117], v[140:141], v[76:77]
	v_add_f64 v[2:3], v[2:3], v[4:5]
	s_waitcnt lgkmcnt(2)
	v_mul_f64 v[4:5], v[144:145], v[70:71]
	v_add_f64 v[110:111], v[110:111], v[116:117]
	v_mul_f64 v[116:117], v[142:143], v[70:71]
	ds_read_b128 v[154:157], v136 offset:864
	ds_read_b128 v[158:161], v136 offset:880
	v_fma_f64 v[4:5], v[142:143], v[72:73], -v[4:5]
	v_fmac_f64_e32 v[116:117], v[144:145], v[72:73]
	v_add_f64 v[2:3], v[2:3], v[4:5]
	s_waitcnt vmcnt(58) lgkmcnt(3)
	v_mul_f64 v[4:5], v[148:149], v[82:83]
	v_add_f64 v[110:111], v[110:111], v[116:117]
	v_mul_f64 v[116:117], v[146:147], v[82:83]
	s_waitcnt vmcnt(56)
	v_fma_f64 v[4:5], v[146:147], v[84:85], -v[4:5]
	v_fmac_f64_e32 v[116:117], v[148:149], v[84:85]
	v_add_f64 v[2:3], v[2:3], v[4:5]
	s_waitcnt lgkmcnt(2)
	v_mul_f64 v[4:5], v[152:153], v[78:79]
	v_add_f64 v[110:111], v[110:111], v[116:117]
	v_mul_f64 v[116:117], v[150:151], v[78:79]
	ds_read_b128 v[162:165], v136 offset:896
	ds_read_b128 v[166:169], v136 offset:912
	v_fma_f64 v[4:5], v[150:151], v[80:81], -v[4:5]
	v_fmac_f64_e32 v[116:117], v[152:153], v[80:81]
	v_add_f64 v[2:3], v[2:3], v[4:5]
	s_waitcnt vmcnt(50) lgkmcnt(3)
	v_mul_f64 v[4:5], v[156:157], v[90:91]
	v_add_f64 v[110:111], v[110:111], v[116:117]
	v_mul_f64 v[116:117], v[154:155], v[90:91]
	s_waitcnt vmcnt(48)
	;; [unrolled: 17-line block ×7, first 2 shown]
	v_fma_f64 v[4:5], v[202:203], v[228:229], -v[4:5]
	v_fmac_f64_e32 v[116:117], v[204:205], v[228:229]
	v_add_f64 v[2:3], v[2:3], v[4:5]
	s_waitcnt lgkmcnt(2)
	v_mul_f64 v[4:5], v[208:209], v[222:223]
	v_add_f64 v[110:111], v[110:111], v[116:117]
	v_mul_f64 v[116:117], v[206:207], v[222:223]
	v_fma_f64 v[4:5], v[206:207], v[224:225], -v[4:5]
	v_fmac_f64_e32 v[116:117], v[208:209], v[224:225]
	v_add_f64 v[2:3], v[2:3], v[4:5]
	s_waitcnt vmcnt(2) lgkmcnt(1)
	v_mul_f64 v[4:5], v[212:213], v[234:235]
	v_add_f64 v[110:111], v[110:111], v[116:117]
	v_mul_f64 v[116:117], v[210:211], v[234:235]
	s_waitcnt vmcnt(0)
	v_fma_f64 v[4:5], v[210:211], v[236:237], -v[4:5]
	v_fmac_f64_e32 v[116:117], v[212:213], v[236:237]
	v_add_f64 v[2:3], v[2:3], v[4:5]
	s_waitcnt lgkmcnt(0)
	v_mul_f64 v[4:5], v[216:217], v[230:231]
	v_add_f64 v[110:111], v[110:111], v[116:117]
	v_mul_f64 v[116:117], v[214:215], v[230:231]
	v_fma_f64 v[4:5], v[214:215], v[232:233], -v[4:5]
	v_fmac_f64_e32 v[116:117], v[216:217], v[232:233]
	v_add_f64 v[2:3], v[2:3], v[4:5]
	v_add_f64 v[110:111], v[110:111], v[116:117]
	v_add_f64 v[2:3], v[46:47], -v[2:3]
	v_add_f64 v[4:5], v[44:45], -v[110:111]
	buffer_store_dword v3, off, s[0:3], 0 offset:116
	buffer_store_dword v2, off, s[0:3], 0 offset:112
	;; [unrolled: 1-line block ×4, first 2 shown]
	s_and_saveexec_b64 s[4:5], vcc
	s_cbranch_execz .LBB97_207
; %bb.206:
	v_accvgpr_read_b32 v5, a90
	buffer_load_dword v2, v5, s[0:3], 0 offen
	buffer_load_dword v3, v5, s[0:3], 0 offen offset:4
	buffer_load_dword v4, v5, s[0:3], 0 offen offset:8
	s_nop 0
	buffer_load_dword v5, v5, s[0:3], 0 offen offset:12
	s_nop 0
	buffer_store_dword v136, off, s[0:3], 0 offset:96
	buffer_store_dword v136, off, s[0:3], 0 offset:100
	;; [unrolled: 1-line block ×4, first 2 shown]
	s_waitcnt vmcnt(4)
	ds_write_b128 v1, v[2:5]
.LBB97_207:
	s_or_b64 exec, exec, s[4:5]
	s_waitcnt lgkmcnt(0)
	; wave barrier
	s_waitcnt lgkmcnt(0)
	buffer_load_dword v34, off, s[0:3], 0 offset:112
	buffer_load_dword v35, off, s[0:3], 0 offset:116
	;; [unrolled: 1-line block ×32, first 2 shown]
	ds_read_b128 v[30:33], v136 offset:640
	ds_read_b128 v[26:29], v136 offset:656
	ds_read_b128 v[22:25], v136 offset:672
	ds_read_b128 v[18:21], v136 offset:688
	ds_read_b128 v[10:13], v136 offset:704
	ds_read_b128 v[6:9], v136 offset:720
	ds_read_b128 v[2:5], v136 offset:736
	ds_read_b128 v[14:17], v136 offset:752
	buffer_load_dword v67, off, s[0:3], 0 offset:252
	buffer_load_dword v66, off, s[0:3], 0 offset:248
	;; [unrolled: 1-line block ×24, first 2 shown]
	v_cmp_lt_u32_e32 vcc, 4, v0
	s_waitcnt vmcnt(52) lgkmcnt(7)
	v_mul_f64 v[90:91], v[30:31], v[38:39]
	v_fmac_f64_e32 v[90:91], v[32:33], v[34:35]
	v_add_f64 v[90:91], v[90:91], 0
	v_mul_f64 v[32:33], v[32:33], v[38:39]
	s_waitcnt vmcnt(48) lgkmcnt(6)
	v_mul_f64 v[92:93], v[26:27], v[40:41]
	v_fmac_f64_e32 v[92:93], v[28:29], v[36:37]
	s_waitcnt vmcnt(46) lgkmcnt(5)
	v_mul_f64 v[94:95], v[22:23], v[42:43]
	v_add_f64 v[90:91], v[90:91], v[92:93]
	s_waitcnt vmcnt(44) lgkmcnt(4)
	v_mul_f64 v[96:97], v[18:19], v[48:49]
	v_fma_f64 v[30:31], v[30:31], v[34:35], -v[32:33]
	s_waitcnt vmcnt(42) lgkmcnt(1)
	v_mul_f64 v[124:125], v[2:3], v[50:51]
	v_mul_f64 v[28:29], v[28:29], v[40:41]
	s_waitcnt vmcnt(18) lgkmcnt(0)
	v_mul_f64 v[140:141], v[14:15], v[70:71]
	v_mul_f64 v[100:101], v[6:7], v[54:55]
	s_waitcnt vmcnt(16)
	v_fmac_f64_e32 v[140:141], v[16:17], v[72:73]
	v_mul_f64 v[98:99], v[10:11], v[56:57]
	v_add_f64 v[30:31], v[30:31], 0
	v_fmac_f64_e32 v[98:99], v[12:13], v[58:59]
	v_fma_f64 v[26:27], v[26:27], v[36:37], -v[28:29]
	v_fmac_f64_e32 v[94:95], v[24:25], v[64:65]
	v_add_f64 v[90:91], v[90:91], v[94:95]
	v_fmac_f64_e32 v[96:97], v[20:21], v[62:63]
	v_add_f64 v[90:91], v[90:91], v[96:97]
	;; [unrolled: 2-line block ×3, first 2 shown]
	v_add_f64 v[126:127], v[90:91], v[100:101]
	buffer_load_dword v91, off, s[0:3], 0 offset:348
	buffer_load_dword v90, off, s[0:3], 0 offset:344
	;; [unrolled: 1-line block ×56, first 2 shown]
	v_fmac_f64_e32 v[124:125], v[4:5], v[52:53]
	v_add_f64 v[138:139], v[126:127], v[124:125]
	ds_read_b128 v[124:127], v136 offset:768
	buffer_load_dword v239, off, s[0:3], 0 offset:556
	buffer_load_dword v238, off, s[0:3], 0 offset:552
	;; [unrolled: 1-line block ×4, first 2 shown]
	v_add_f64 v[142:143], v[138:139], v[140:141]
	ds_read_b128 v[138:141], v136 offset:784
	v_mul_f64 v[24:25], v[24:25], v[42:43]
	s_waitcnt lgkmcnt(1)
	v_mul_f64 v[144:145], v[124:125], v[66:67]
	v_fmac_f64_e32 v[144:145], v[126:127], v[68:69]
	v_add_f64 v[146:147], v[142:143], v[144:145]
	ds_read_b128 v[142:145], v136 offset:800
	s_waitcnt vmcnt(62) lgkmcnt(1)
	v_mul_f64 v[148:149], v[138:139], v[78:79]
	v_fmac_f64_e32 v[148:149], v[140:141], v[80:81]
	v_add_f64 v[150:151], v[146:147], v[148:149]
	ds_read_b128 v[146:149], v136 offset:816
	s_waitcnt lgkmcnt(1)
	v_mul_f64 v[152:153], v[142:143], v[74:75]
	v_fmac_f64_e32 v[152:153], v[144:145], v[76:77]
	v_add_f64 v[154:155], v[150:151], v[152:153]
	ds_read_b128 v[150:153], v136 offset:832
	s_waitcnt lgkmcnt(1)
	v_mul_f64 v[156:157], v[146:147], v[86:87]
	s_waitcnt vmcnt(60)
	v_fmac_f64_e32 v[156:157], v[148:149], v[88:89]
	v_add_f64 v[158:159], v[154:155], v[156:157]
	ds_read_b128 v[154:157], v136 offset:848
	s_waitcnt lgkmcnt(1)
	v_mul_f64 v[160:161], v[150:151], v[82:83]
	v_fmac_f64_e32 v[160:161], v[152:153], v[84:85]
	v_add_f64 v[162:163], v[158:159], v[160:161]
	ds_read_b128 v[158:161], v136 offset:864
	v_add_f64 v[26:27], v[30:31], v[26:27]
	v_fma_f64 v[22:23], v[22:23], v[64:65], -v[24:25]
	s_waitcnt vmcnt(54) lgkmcnt(1)
	v_mul_f64 v[164:165], v[154:155], v[94:95]
	v_mul_f64 v[20:21], v[20:21], v[48:49]
	s_waitcnt vmcnt(52)
	v_fmac_f64_e32 v[164:165], v[156:157], v[96:97]
	v_add_f64 v[166:167], v[162:163], v[164:165]
	ds_read_b128 v[162:165], v136 offset:880
	s_waitcnt lgkmcnt(1)
	v_mul_f64 v[168:169], v[158:159], v[90:91]
	v_fmac_f64_e32 v[168:169], v[160:161], v[92:93]
	v_add_f64 v[22:23], v[26:27], v[22:23]
	v_fma_f64 v[18:19], v[18:19], v[62:63], -v[20:21]
	v_mul_f64 v[12:13], v[12:13], v[56:57]
	v_add_f64 v[170:171], v[166:167], v[168:169]
	ds_read_b128 v[166:169], v136 offset:896
	v_add_f64 v[18:19], v[22:23], v[18:19]
	v_fma_f64 v[10:11], v[10:11], v[58:59], -v[12:13]
	v_mul_f64 v[8:9], v[8:9], v[54:55]
	v_add_f64 v[10:11], v[18:19], v[10:11]
	v_fma_f64 v[6:7], v[6:7], v[60:61], -v[8:9]
	v_mul_f64 v[4:5], v[4:5], v[50:51]
	v_add_f64 v[6:7], v[10:11], v[6:7]
	v_fma_f64 v[2:3], v[2:3], v[52:53], -v[4:5]
	v_mul_f64 v[4:5], v[16:17], v[70:71]
	s_waitcnt vmcnt(46) lgkmcnt(1)
	v_mul_f64 v[172:173], v[162:163], v[102:103]
	v_add_f64 v[2:3], v[6:7], v[2:3]
	v_fma_f64 v[4:5], v[14:15], v[72:73], -v[4:5]
	s_waitcnt vmcnt(44)
	v_fmac_f64_e32 v[172:173], v[164:165], v[104:105]
	v_add_f64 v[2:3], v[2:3], v[4:5]
	v_mul_f64 v[4:5], v[126:127], v[66:67]
	v_add_f64 v[174:175], v[170:171], v[172:173]
	ds_read_b128 v[170:173], v136 offset:912
	s_waitcnt lgkmcnt(1)
	v_mul_f64 v[176:177], v[166:167], v[98:99]
	v_fma_f64 v[4:5], v[124:125], v[68:69], -v[4:5]
	v_fmac_f64_e32 v[176:177], v[168:169], v[100:101]
	v_add_f64 v[2:3], v[2:3], v[4:5]
	v_mul_f64 v[4:5], v[140:141], v[78:79]
	v_add_f64 v[186:187], v[174:175], v[176:177]
	ds_read_b128 v[174:177], v136 offset:928
	v_fma_f64 v[4:5], v[138:139], v[80:81], -v[4:5]
	v_add_f64 v[2:3], v[2:3], v[4:5]
	v_mul_f64 v[4:5], v[144:145], v[74:75]
	v_fma_f64 v[4:5], v[142:143], v[76:77], -v[4:5]
	s_waitcnt vmcnt(38) lgkmcnt(1)
	v_mul_f64 v[188:189], v[170:171], v[110:111]
	v_add_f64 v[2:3], v[2:3], v[4:5]
	v_mul_f64 v[4:5], v[148:149], v[86:87]
	s_waitcnt vmcnt(36)
	v_fmac_f64_e32 v[188:189], v[172:173], v[112:113]
	v_fma_f64 v[4:5], v[146:147], v[88:89], -v[4:5]
	v_add_f64 v[190:191], v[186:187], v[188:189]
	ds_read_b128 v[186:189], v136 offset:944
	s_waitcnt lgkmcnt(1)
	v_mul_f64 v[192:193], v[174:175], v[106:107]
	v_add_f64 v[2:3], v[2:3], v[4:5]
	v_mul_f64 v[4:5], v[152:153], v[82:83]
	v_fmac_f64_e32 v[192:193], v[176:177], v[108:109]
	v_fma_f64 v[4:5], v[150:151], v[84:85], -v[4:5]
	v_add_f64 v[194:195], v[190:191], v[192:193]
	ds_read_b128 v[190:193], v136 offset:960
	v_add_f64 v[2:3], v[2:3], v[4:5]
	v_mul_f64 v[4:5], v[156:157], v[94:95]
	v_fma_f64 v[4:5], v[154:155], v[96:97], -v[4:5]
	v_add_f64 v[2:3], v[2:3], v[4:5]
	v_mul_f64 v[4:5], v[160:161], v[90:91]
	s_waitcnt vmcnt(30) lgkmcnt(1)
	v_mul_f64 v[196:197], v[186:187], v[118:119]
	v_fma_f64 v[4:5], v[158:159], v[92:93], -v[4:5]
	s_waitcnt vmcnt(28)
	v_fmac_f64_e32 v[196:197], v[188:189], v[122:123]
	v_add_f64 v[2:3], v[2:3], v[4:5]
	v_mul_f64 v[4:5], v[164:165], v[102:103]
	v_add_f64 v[198:199], v[194:195], v[196:197]
	ds_read_b128 v[194:197], v136 offset:976
	s_waitcnt lgkmcnt(1)
	v_mul_f64 v[200:201], v[190:191], v[114:115]
	v_fma_f64 v[4:5], v[162:163], v[104:105], -v[4:5]
	v_fmac_f64_e32 v[200:201], v[192:193], v[116:117]
	v_add_f64 v[2:3], v[2:3], v[4:5]
	v_mul_f64 v[4:5], v[168:169], v[98:99]
	v_add_f64 v[202:203], v[198:199], v[200:201]
	ds_read_b128 v[198:201], v136 offset:992
	v_fma_f64 v[4:5], v[166:167], v[100:101], -v[4:5]
	v_add_f64 v[2:3], v[2:3], v[4:5]
	v_mul_f64 v[4:5], v[172:173], v[110:111]
	v_fma_f64 v[4:5], v[170:171], v[112:113], -v[4:5]
	s_waitcnt vmcnt(22) lgkmcnt(1)
	v_mul_f64 v[204:205], v[194:195], v[132:133]
	v_add_f64 v[2:3], v[2:3], v[4:5]
	v_mul_f64 v[4:5], v[176:177], v[106:107]
	s_waitcnt vmcnt(20)
	v_fmac_f64_e32 v[204:205], v[196:197], v[134:135]
	v_fma_f64 v[4:5], v[174:175], v[108:109], -v[4:5]
	v_add_f64 v[206:207], v[202:203], v[204:205]
	ds_read_b128 v[202:205], v136 offset:1008
	s_waitcnt lgkmcnt(1)
	v_mul_f64 v[208:209], v[198:199], v[128:129]
	v_add_f64 v[2:3], v[2:3], v[4:5]
	v_mul_f64 v[4:5], v[188:189], v[118:119]
	v_fmac_f64_e32 v[208:209], v[200:201], v[130:131]
	v_fma_f64 v[4:5], v[186:187], v[122:123], -v[4:5]
	v_add_f64 v[210:211], v[206:207], v[208:209]
	ds_read_b128 v[206:209], v136 offset:1024
	v_add_f64 v[2:3], v[2:3], v[4:5]
	v_mul_f64 v[4:5], v[192:193], v[114:115]
	v_fma_f64 v[4:5], v[190:191], v[116:117], -v[4:5]
	v_add_f64 v[2:3], v[2:3], v[4:5]
	v_mul_f64 v[4:5], v[196:197], v[132:133]
	s_waitcnt vmcnt(14) lgkmcnt(1)
	v_mul_f64 v[212:213], v[202:203], v[226:227]
	v_fma_f64 v[4:5], v[194:195], v[134:135], -v[4:5]
	s_waitcnt vmcnt(12)
	v_fmac_f64_e32 v[212:213], v[204:205], v[228:229]
	v_add_f64 v[2:3], v[2:3], v[4:5]
	v_mul_f64 v[4:5], v[200:201], v[128:129]
	v_add_f64 v[214:215], v[210:211], v[212:213]
	ds_read_b128 v[210:213], v136 offset:1040
	s_waitcnt lgkmcnt(1)
	v_mul_f64 v[216:217], v[206:207], v[222:223]
	v_fma_f64 v[4:5], v[198:199], v[130:131], -v[4:5]
	v_fmac_f64_e32 v[216:217], v[208:209], v[224:225]
	v_add_f64 v[2:3], v[2:3], v[4:5]
	v_mul_f64 v[4:5], v[204:205], v[226:227]
	v_add_f64 v[242:243], v[214:215], v[216:217]
	ds_read_b128 v[214:217], v136 offset:1056
	v_fma_f64 v[4:5], v[202:203], v[228:229], -v[4:5]
	v_add_f64 v[2:3], v[2:3], v[4:5]
	v_mul_f64 v[4:5], v[208:209], v[222:223]
	ds_read_b128 v[218:221], v136 offset:1072
	v_fma_f64 v[4:5], v[206:207], v[224:225], -v[4:5]
	v_add_f64 v[2:3], v[2:3], v[4:5]
	s_waitcnt vmcnt(6) lgkmcnt(2)
	v_mul_f64 v[4:5], v[212:213], v[234:235]
	v_mul_f64 v[244:245], v[210:211], v[234:235]
	s_waitcnt vmcnt(4)
	v_fma_f64 v[4:5], v[210:211], v[236:237], -v[4:5]
	v_fmac_f64_e32 v[244:245], v[212:213], v[236:237]
	v_add_f64 v[2:3], v[2:3], v[4:5]
	s_waitcnt lgkmcnt(1)
	v_mul_f64 v[4:5], v[216:217], v[230:231]
	v_add_f64 v[136:137], v[242:243], v[244:245]
	v_mul_f64 v[242:243], v[214:215], v[230:231]
	v_fma_f64 v[4:5], v[214:215], v[232:233], -v[4:5]
	v_fmac_f64_e32 v[242:243], v[216:217], v[232:233]
	v_add_f64 v[2:3], v[2:3], v[4:5]
	s_waitcnt vmcnt(2) lgkmcnt(0)
	v_mul_f64 v[4:5], v[220:221], v[238:239]
	v_add_f64 v[136:137], v[136:137], v[242:243]
	v_mul_f64 v[242:243], v[218:219], v[238:239]
	s_waitcnt vmcnt(0)
	v_fma_f64 v[4:5], v[218:219], v[240:241], -v[4:5]
	v_fmac_f64_e32 v[242:243], v[220:221], v[240:241]
	v_add_f64 v[2:3], v[2:3], v[4:5]
	v_add_f64 v[136:137], v[136:137], v[242:243]
	v_add_f64 v[2:3], v[46:47], -v[2:3]
	v_add_f64 v[4:5], v[44:45], -v[136:137]
	buffer_store_dword v3, off, s[0:3], 0 offset:100
	buffer_store_dword v2, off, s[0:3], 0 offset:96
	;; [unrolled: 1-line block ×4, first 2 shown]
	s_and_saveexec_b64 s[4:5], vcc
	s_cbranch_execz .LBB97_209
; %bb.208:
	v_accvgpr_read_b32 v5, a88
	buffer_load_dword v2, v5, s[0:3], 0 offen
	buffer_load_dword v3, v5, s[0:3], 0 offen offset:4
	buffer_load_dword v4, v5, s[0:3], 0 offen offset:8
	s_nop 0
	buffer_load_dword v5, v5, s[0:3], 0 offen offset:12
	v_mov_b32_e32 v6, 0
	buffer_store_dword v6, off, s[0:3], 0 offset:80
	buffer_store_dword v6, off, s[0:3], 0 offset:84
	;; [unrolled: 1-line block ×4, first 2 shown]
	s_waitcnt vmcnt(4)
	ds_write_b128 v1, v[2:5]
.LBB97_209:
	s_or_b64 exec, exec, s[4:5]
	s_waitcnt lgkmcnt(0)
	; wave barrier
	s_waitcnt lgkmcnt(0)
	buffer_load_dword v38, off, s[0:3], 0 offset:96
	buffer_load_dword v39, off, s[0:3], 0 offset:100
	;; [unrolled: 1-line block ×48, first 2 shown]
	v_mov_b32_e32 v152, 0
	ds_read_b128 v[34:37], v152 offset:624
	ds_read_b128 v[30:33], v152 offset:640
	;; [unrolled: 1-line block ×9, first 2 shown]
	v_cmp_lt_u32_e32 vcc, 3, v0
	s_waitcnt vmcnt(44) lgkmcnt(8)
	v_mul_f64 v[86:87], v[34:35], v[42:43]
	v_fmac_f64_e32 v[86:87], v[36:37], v[38:39]
	v_add_f64 v[86:87], v[86:87], 0
	v_mul_f64 v[36:37], v[36:37], v[42:43]
	s_waitcnt vmcnt(40) lgkmcnt(7)
	v_mul_f64 v[88:89], v[30:31], v[44:45]
	v_fmac_f64_e32 v[88:89], v[32:33], v[40:41]
	s_waitcnt vmcnt(38) lgkmcnt(6)
	v_mul_f64 v[90:91], v[26:27], v[46:47]
	v_add_f64 v[86:87], v[86:87], v[88:89]
	s_waitcnt vmcnt(36) lgkmcnt(4)
	v_mul_f64 v[94:95], v[18:19], v[48:49]
	v_fma_f64 v[34:35], v[34:35], v[38:39], -v[36:37]
	s_waitcnt vmcnt(34)
	v_fmac_f64_e32 v[94:95], v[20:21], v[50:51]
	v_mul_f64 v[32:33], v[32:33], v[44:45]
	s_waitcnt vmcnt(32)
	v_mul_f64 v[92:93], v[22:23], v[52:53]
	v_add_f64 v[34:35], v[34:35], 0
	s_waitcnt vmcnt(30) lgkmcnt(2)
	v_mul_f64 v[98:99], v[10:11], v[54:55]
	v_fma_f64 v[30:31], v[30:31], v[40:41], -v[32:33]
	s_waitcnt vmcnt(28)
	v_fmac_f64_e32 v[98:99], v[12:13], v[56:57]
	v_add_f64 v[30:31], v[34:35], v[30:31]
	s_waitcnt vmcnt(26)
	v_mul_f64 v[96:97], v[14:15], v[58:59]
	v_mul_f64 v[20:21], v[20:21], v[48:49]
	v_fma_f64 v[18:19], v[18:19], v[50:51], -v[20:21]
	v_mul_f64 v[12:13], v[12:13], v[54:55]
	s_waitcnt vmcnt(22) lgkmcnt(1)
	v_mul_f64 v[110:111], v[6:7], v[68:69]
	v_fma_f64 v[10:11], v[10:11], v[56:57], -v[12:13]
	s_waitcnt vmcnt(20)
	v_fmac_f64_e32 v[90:91], v[28:29], v[76:77]
	v_add_f64 v[86:87], v[86:87], v[90:91]
	s_waitcnt vmcnt(18)
	v_fmac_f64_e32 v[92:93], v[24:25], v[74:75]
	v_add_f64 v[86:87], v[86:87], v[92:93]
	;; [unrolled: 3-line block ×3, first 2 shown]
	v_add_f64 v[86:87], v[86:87], v[96:97]
	v_add_f64 v[112:113], v[86:87], v[98:99]
	buffer_load_dword v87, off, s[0:3], 0 offset:300
	buffer_load_dword v86, off, s[0:3], 0 offset:296
	;; [unrolled: 1-line block ×72, first 2 shown]
	s_waitcnt vmcnt(62)
	v_fmac_f64_e32 v[110:111], v[8:9], v[70:71]
	v_add_f64 v[144:145], v[112:113], v[110:111]
	ds_read_b128 v[110:113], v152 offset:768
	s_waitcnt lgkmcnt(1)
	v_mul_f64 v[146:147], v[2:3], v[64:65]
	v_fmac_f64_e32 v[146:147], v[4:5], v[66:67]
	v_add_f64 v[148:149], v[144:145], v[146:147]
	ds_read_b128 v[144:147], v152 offset:784
	s_waitcnt lgkmcnt(1)
	v_mul_f64 v[150:151], v[110:111], v[82:83]
	;; [unrolled: 5-line block ×5, first 2 shown]
	v_fmac_f64_e32 v[164:165], v[156:157], v[88:89]
	v_add_f64 v[166:167], v[162:163], v[164:165]
	ds_read_b128 v[162:165], v152 offset:848
	s_waitcnt vmcnt(58) lgkmcnt(1)
	v_mul_f64 v[168:169], v[158:159], v[98:99]
	s_waitcnt vmcnt(56)
	v_fmac_f64_e32 v[168:169], v[160:161], v[100:101]
	v_add_f64 v[170:171], v[166:167], v[168:169]
	ds_read_b128 v[166:169], v152 offset:864
	s_waitcnt lgkmcnt(1)
	v_mul_f64 v[172:173], v[162:163], v[94:95]
	v_fmac_f64_e32 v[172:173], v[164:165], v[96:97]
	v_mul_f64 v[28:29], v[28:29], v[46:47]
	v_add_f64 v[174:175], v[170:171], v[172:173]
	ds_read_b128 v[170:173], v152 offset:880
	s_waitcnt vmcnt(50) lgkmcnt(1)
	v_mul_f64 v[176:177], v[166:167], v[106:107]
	v_fma_f64 v[26:27], v[26:27], v[76:77], -v[28:29]
	v_mul_f64 v[24:25], v[24:25], v[52:53]
	s_waitcnt vmcnt(48)
	v_fmac_f64_e32 v[176:177], v[168:169], v[108:109]
	v_add_f64 v[26:27], v[30:31], v[26:27]
	v_fma_f64 v[22:23], v[22:23], v[74:75], -v[24:25]
	v_add_f64 v[186:187], v[174:175], v[176:177]
	ds_read_b128 v[174:177], v152 offset:896
	v_add_f64 v[22:23], v[26:27], v[22:23]
	v_mul_f64 v[16:17], v[16:17], v[58:59]
	v_add_f64 v[18:19], v[22:23], v[18:19]
	v_fma_f64 v[14:15], v[14:15], v[72:73], -v[16:17]
	v_add_f64 v[14:15], v[18:19], v[14:15]
	v_mul_f64 v[8:9], v[8:9], v[68:69]
	s_waitcnt lgkmcnt(1)
	v_mul_f64 v[188:189], v[170:171], v[102:103]
	v_add_f64 v[10:11], v[14:15], v[10:11]
	v_fma_f64 v[6:7], v[6:7], v[70:71], -v[8:9]
	v_mul_f64 v[4:5], v[4:5], v[64:65]
	v_fmac_f64_e32 v[188:189], v[172:173], v[104:105]
	v_add_f64 v[6:7], v[10:11], v[6:7]
	v_fma_f64 v[2:3], v[2:3], v[66:67], -v[4:5]
	v_mul_f64 v[4:5], v[112:113], v[82:83]
	v_add_f64 v[190:191], v[186:187], v[188:189]
	ds_read_b128 v[186:189], v152 offset:912
	s_waitcnt vmcnt(42) lgkmcnt(1)
	v_mul_f64 v[192:193], v[174:175], v[118:119]
	v_add_f64 v[2:3], v[6:7], v[2:3]
	v_fma_f64 v[4:5], v[110:111], v[84:85], -v[4:5]
	s_waitcnt vmcnt(40)
	v_fmac_f64_e32 v[192:193], v[176:177], v[122:123]
	v_add_f64 v[2:3], v[2:3], v[4:5]
	v_mul_f64 v[4:5], v[146:147], v[78:79]
	v_add_f64 v[194:195], v[190:191], v[192:193]
	ds_read_b128 v[190:193], v152 offset:928
	v_fma_f64 v[4:5], v[144:145], v[80:81], -v[4:5]
	v_add_f64 v[2:3], v[2:3], v[4:5]
	v_mul_f64 v[4:5], v[150:151], v[90:91]
	v_fma_f64 v[4:5], v[148:149], v[92:93], -v[4:5]
	s_waitcnt lgkmcnt(1)
	v_mul_f64 v[196:197], v[186:187], v[114:115]
	v_add_f64 v[2:3], v[2:3], v[4:5]
	v_mul_f64 v[4:5], v[156:157], v[86:87]
	v_fmac_f64_e32 v[196:197], v[188:189], v[116:117]
	v_fma_f64 v[4:5], v[154:155], v[88:89], -v[4:5]
	v_add_f64 v[198:199], v[194:195], v[196:197]
	ds_read_b128 v[194:197], v152 offset:944
	s_waitcnt vmcnt(34) lgkmcnt(1)
	v_mul_f64 v[200:201], v[190:191], v[128:129]
	v_add_f64 v[2:3], v[2:3], v[4:5]
	v_mul_f64 v[4:5], v[160:161], v[98:99]
	s_waitcnt vmcnt(32)
	v_fmac_f64_e32 v[200:201], v[192:193], v[130:131]
	v_fma_f64 v[4:5], v[158:159], v[100:101], -v[4:5]
	v_add_f64 v[202:203], v[198:199], v[200:201]
	ds_read_b128 v[198:201], v152 offset:960
	v_add_f64 v[2:3], v[2:3], v[4:5]
	v_mul_f64 v[4:5], v[164:165], v[94:95]
	v_fma_f64 v[4:5], v[162:163], v[96:97], -v[4:5]
	v_add_f64 v[2:3], v[2:3], v[4:5]
	v_mul_f64 v[4:5], v[168:169], v[106:107]
	s_waitcnt lgkmcnt(1)
	v_mul_f64 v[204:205], v[194:195], v[124:125]
	v_fma_f64 v[4:5], v[166:167], v[108:109], -v[4:5]
	v_fmac_f64_e32 v[204:205], v[196:197], v[126:127]
	v_add_f64 v[2:3], v[2:3], v[4:5]
	v_mul_f64 v[4:5], v[172:173], v[102:103]
	v_add_f64 v[206:207], v[202:203], v[204:205]
	ds_read_b128 v[202:205], v152 offset:976
	s_waitcnt vmcnt(26) lgkmcnt(1)
	v_mul_f64 v[208:209], v[198:199], v[136:137]
	v_fma_f64 v[4:5], v[170:171], v[104:105], -v[4:5]
	s_waitcnt vmcnt(24)
	v_fmac_f64_e32 v[208:209], v[200:201], v[138:139]
	v_add_f64 v[2:3], v[2:3], v[4:5]
	v_mul_f64 v[4:5], v[176:177], v[118:119]
	v_add_f64 v[210:211], v[206:207], v[208:209]
	ds_read_b128 v[206:209], v152 offset:992
	v_fma_f64 v[4:5], v[174:175], v[122:123], -v[4:5]
	v_add_f64 v[2:3], v[2:3], v[4:5]
	v_mul_f64 v[4:5], v[188:189], v[114:115]
	v_fma_f64 v[4:5], v[186:187], v[116:117], -v[4:5]
	s_waitcnt lgkmcnt(1)
	v_mul_f64 v[212:213], v[202:203], v[132:133]
	v_add_f64 v[2:3], v[2:3], v[4:5]
	v_mul_f64 v[4:5], v[192:193], v[128:129]
	v_fmac_f64_e32 v[212:213], v[204:205], v[134:135]
	v_fma_f64 v[4:5], v[190:191], v[130:131], -v[4:5]
	v_add_f64 v[214:215], v[210:211], v[212:213]
	ds_read_b128 v[210:213], v152 offset:1008
	s_waitcnt vmcnt(18) lgkmcnt(1)
	v_mul_f64 v[216:217], v[206:207], v[230:231]
	v_add_f64 v[2:3], v[2:3], v[4:5]
	v_mul_f64 v[4:5], v[196:197], v[124:125]
	s_waitcnt vmcnt(16)
	v_fmac_f64_e32 v[216:217], v[208:209], v[232:233]
	v_fma_f64 v[4:5], v[194:195], v[126:127], -v[4:5]
	v_add_f64 v[218:219], v[214:215], v[216:217]
	ds_read_b128 v[214:217], v152 offset:1024
	v_add_f64 v[2:3], v[2:3], v[4:5]
	v_mul_f64 v[4:5], v[200:201], v[136:137]
	v_fma_f64 v[4:5], v[198:199], v[138:139], -v[4:5]
	v_add_f64 v[2:3], v[2:3], v[4:5]
	v_mul_f64 v[4:5], v[204:205], v[132:133]
	s_waitcnt lgkmcnt(1)
	v_mul_f64 v[220:221], v[210:211], v[140:141]
	v_fma_f64 v[4:5], v[202:203], v[134:135], -v[4:5]
	v_fmac_f64_e32 v[220:221], v[212:213], v[142:143]
	v_add_f64 v[2:3], v[2:3], v[4:5]
	v_mul_f64 v[4:5], v[208:209], v[230:231]
	v_add_f64 v[222:223], v[218:219], v[220:221]
	ds_read_b128 v[218:221], v152 offset:1040
	s_waitcnt vmcnt(10) lgkmcnt(1)
	v_mul_f64 v[224:225], v[214:215], v[238:239]
	v_fma_f64 v[4:5], v[206:207], v[232:233], -v[4:5]
	s_waitcnt vmcnt(8)
	v_fmac_f64_e32 v[224:225], v[216:217], v[240:241]
	v_add_f64 v[2:3], v[2:3], v[4:5]
	v_mul_f64 v[4:5], v[212:213], v[140:141]
	v_add_f64 v[250:251], v[222:223], v[224:225]
	ds_read_b128 v[222:225], v152 offset:1056
	ds_read_b128 v[226:229], v152 offset:1072
	v_fma_f64 v[4:5], v[210:211], v[142:143], -v[4:5]
	v_add_f64 v[2:3], v[2:3], v[4:5]
	v_mul_f64 v[4:5], v[216:217], v[238:239]
	v_fma_f64 v[4:5], v[214:215], v[240:241], -v[4:5]
	v_add_f64 v[2:3], v[2:3], v[4:5]
	s_waitcnt lgkmcnt(2)
	v_mul_f64 v[4:5], v[220:221], v[234:235]
	v_mul_f64 v[252:253], v[218:219], v[234:235]
	v_fma_f64 v[4:5], v[218:219], v[236:237], -v[4:5]
	v_fmac_f64_e32 v[252:253], v[220:221], v[236:237]
	v_add_f64 v[2:3], v[2:3], v[4:5]
	s_waitcnt vmcnt(2) lgkmcnt(1)
	v_mul_f64 v[4:5], v[224:225], v[246:247]
	v_add_f64 v[250:251], v[250:251], v[252:253]
	v_mul_f64 v[252:253], v[222:223], v[246:247]
	s_waitcnt vmcnt(0)
	v_fma_f64 v[4:5], v[222:223], v[248:249], -v[4:5]
	v_fmac_f64_e32 v[252:253], v[224:225], v[248:249]
	v_add_f64 v[2:3], v[2:3], v[4:5]
	s_waitcnt lgkmcnt(0)
	v_mul_f64 v[4:5], v[228:229], v[242:243]
	v_add_f64 v[250:251], v[250:251], v[252:253]
	v_mul_f64 v[252:253], v[226:227], v[242:243]
	v_fma_f64 v[4:5], v[226:227], v[244:245], -v[4:5]
	v_fmac_f64_e32 v[252:253], v[228:229], v[244:245]
	v_add_f64 v[2:3], v[2:3], v[4:5]
	v_add_f64 v[250:251], v[250:251], v[252:253]
	v_add_f64 v[2:3], v[62:63], -v[2:3]
	v_add_f64 v[4:5], v[60:61], -v[250:251]
	buffer_store_dword v3, off, s[0:3], 0 offset:84
	buffer_store_dword v2, off, s[0:3], 0 offset:80
	;; [unrolled: 1-line block ×4, first 2 shown]
	s_and_saveexec_b64 s[4:5], vcc
	s_cbranch_execz .LBB97_211
; %bb.210:
	v_accvgpr_read_b32 v5, a93
	buffer_load_dword v2, v5, s[0:3], 0 offen
	buffer_load_dword v3, v5, s[0:3], 0 offen offset:4
	buffer_load_dword v4, v5, s[0:3], 0 offen offset:8
	s_nop 0
	buffer_load_dword v5, v5, s[0:3], 0 offen offset:12
	s_nop 0
	buffer_store_dword v152, off, s[0:3], 0 offset:64
	buffer_store_dword v152, off, s[0:3], 0 offset:68
	;; [unrolled: 1-line block ×4, first 2 shown]
	s_waitcnt vmcnt(4)
	ds_write_b128 v1, v[2:5]
.LBB97_211:
	s_or_b64 exec, exec, s[4:5]
	s_waitcnt lgkmcnt(0)
	; wave barrier
	s_waitcnt lgkmcnt(0)
	buffer_load_dword v48, off, s[0:3], 0 offset:80
	buffer_load_dword v49, off, s[0:3], 0 offset:84
	;; [unrolled: 1-line block ×40, first 2 shown]
	ds_read_b128 v[38:41], v152 offset:608
	ds_read_b128 v[34:37], v152 offset:624
	;; [unrolled: 1-line block ×10, first 2 shown]
	buffer_load_dword v83, off, s[0:3], 0 offset:252
	buffer_load_dword v82, off, s[0:3], 0 offset:248
	;; [unrolled: 1-line block ×8, first 2 shown]
	v_cmp_lt_u32_e32 vcc, 2, v0
	s_waitcnt vmcnt(44) lgkmcnt(9)
	v_mul_f64 v[90:91], v[38:39], v[50:51]
	v_fmac_f64_e32 v[90:91], v[40:41], v[48:49]
	v_add_f64 v[90:91], v[90:91], 0
	v_mul_f64 v[40:41], v[40:41], v[50:51]
	s_waitcnt vmcnt(40) lgkmcnt(8)
	v_mul_f64 v[92:93], v[34:35], v[44:45]
	v_fmac_f64_e32 v[92:93], v[36:37], v[42:43]
	s_waitcnt vmcnt(38) lgkmcnt(7)
	v_mul_f64 v[94:95], v[30:31], v[46:47]
	v_add_f64 v[90:91], v[90:91], v[92:93]
	s_waitcnt vmcnt(36) lgkmcnt(5)
	v_mul_f64 v[98:99], v[22:23], v[52:53]
	v_mul_f64 v[36:37], v[36:37], v[44:45]
	s_waitcnt vmcnt(34)
	v_fmac_f64_e32 v[98:99], v[24:25], v[54:55]
	v_fma_f64 v[34:35], v[34:35], v[42:43], -v[36:37]
	s_waitcnt vmcnt(32)
	v_mul_f64 v[96:97], v[26:27], v[56:57]
	v_mul_f64 v[24:25], v[24:25], v[52:53]
	s_waitcnt vmcnt(30) lgkmcnt(4)
	v_mul_f64 v[100:101], v[18:19], v[62:63]
	v_fma_f64 v[22:23], v[22:23], v[54:55], -v[24:25]
	s_waitcnt vmcnt(28) lgkmcnt(1)
	v_mul_f64 v[124:125], v[2:3], v[64:65]
	s_waitcnt vmcnt(25)
	v_mul_f64 v[104:105], v[6:7], v[68:69]
	s_waitcnt vmcnt(23)
	;; [unrolled: 2-line block ×3, first 2 shown]
	v_fmac_f64_e32 v[102:103], v[12:13], v[72:73]
	v_mul_f64 v[12:13], v[12:13], v[70:71]
	s_waitcnt vmcnt(19)
	v_fmac_f64_e32 v[94:95], v[32:33], v[80:81]
	v_add_f64 v[90:91], v[90:91], v[94:95]
	s_waitcnt vmcnt(17)
	v_fmac_f64_e32 v[96:97], v[28:29], v[78:79]
	v_add_f64 v[90:91], v[90:91], v[96:97]
	;; [unrolled: 3-line block ×3, first 2 shown]
	v_add_f64 v[90:91], v[90:91], v[100:101]
	s_waitcnt vmcnt(13)
	v_fmac_f64_e32 v[104:105], v[8:9], v[74:75]
	v_add_f64 v[90:91], v[90:91], v[102:103]
	v_add_f64 v[126:127], v[90:91], v[104:105]
	buffer_load_dword v91, off, s[0:3], 0 offset:284
	buffer_load_dword v90, off, s[0:3], 0 offset:280
	;; [unrolled: 1-line block ×72, first 2 shown]
	s_waitcnt vmcnt(62)
	v_fmac_f64_e32 v[124:125], v[4:5], v[66:67]
	v_add_f64 v[154:155], v[126:127], v[124:125]
	ds_read_b128 v[124:127], v152 offset:768
	buffer_load_dword v247, off, s[0:3], 0 offset:556
	buffer_load_dword v246, off, s[0:3], 0 offset:552
	;; [unrolled: 1-line block ×4, first 2 shown]
	s_waitcnt lgkmcnt(1)
	v_mul_f64 v[156:157], v[14:15], v[86:87]
	v_fmac_f64_e32 v[156:157], v[16:17], v[88:89]
	v_add_f64 v[158:159], v[154:155], v[156:157]
	ds_read_b128 v[154:157], v152 offset:784
	s_waitcnt lgkmcnt(1)
	v_mul_f64 v[160:161], v[124:125], v[82:83]
	v_fmac_f64_e32 v[160:161], v[126:127], v[84:85]
	v_add_f64 v[162:163], v[158:159], v[160:161]
	ds_read_b128 v[158:161], v152 offset:800
	v_mul_f64 v[32:33], v[32:33], v[46:47]
	s_waitcnt lgkmcnt(1)
	v_mul_f64 v[164:165], v[154:155], v[94:95]
	v_fma_f64 v[30:31], v[30:31], v[80:81], -v[32:33]
	v_fmac_f64_e32 v[164:165], v[156:157], v[96:97]
	v_add_f64 v[166:167], v[162:163], v[164:165]
	ds_read_b128 v[162:165], v152 offset:816
	s_waitcnt lgkmcnt(1)
	v_mul_f64 v[168:169], v[158:159], v[90:91]
	v_fmac_f64_e32 v[168:169], v[160:161], v[92:93]
	v_add_f64 v[170:171], v[166:167], v[168:169]
	ds_read_b128 v[166:169], v152 offset:832
	s_waitcnt vmcnt(62) lgkmcnt(1)
	v_mul_f64 v[172:173], v[162:163], v[102:103]
	s_waitcnt vmcnt(60)
	v_fmac_f64_e32 v[172:173], v[164:165], v[104:105]
	v_add_f64 v[174:175], v[170:171], v[172:173]
	ds_read_b128 v[170:173], v152 offset:848
	s_waitcnt lgkmcnt(1)
	v_mul_f64 v[176:177], v[166:167], v[98:99]
	v_fmac_f64_e32 v[176:177], v[168:169], v[100:101]
	v_add_f64 v[186:187], v[174:175], v[176:177]
	ds_read_b128 v[174:177], v152 offset:864
	s_waitcnt vmcnt(54) lgkmcnt(1)
	v_mul_f64 v[188:189], v[170:171], v[110:111]
	s_waitcnt vmcnt(52)
	;; [unrolled: 11-line block ×7, first 2 shown]
	v_fmac_f64_e32 v[228:229], v[220:221], v[236:237]
	v_add_f64 v[250:251], v[226:227], v[228:229]
	ds_read_b128 v[226:229], v152 offset:1040
	s_waitcnt lgkmcnt(1)
	v_mul_f64 v[252:253], v[222:223], v[230:231]
	v_fmac_f64_e32 v[252:253], v[224:225], v[232:233]
	v_add_f64 v[250:251], v[250:251], v[252:253]
	v_fma_f64 v[252:253], v[38:39], v[48:49], -v[40:41]
	ds_read_b128 v[38:41], v152 offset:1056
	ds_read_b128 v[48:51], v152 offset:1072
	s_waitcnt vmcnt(6) lgkmcnt(2)
	v_mul_f64 v[254:255], v[226:227], v[242:243]
	s_waitcnt vmcnt(4)
	v_fmac_f64_e32 v[254:255], v[228:229], v[244:245]
	v_add_f64 v[152:153], v[250:251], v[254:255]
	s_waitcnt lgkmcnt(1)
	v_mul_f64 v[250:251], v[38:39], v[238:239]
	v_fmac_f64_e32 v[250:251], v[40:41], v[240:241]
	v_add_f64 v[152:153], v[152:153], v[250:251]
	s_waitcnt vmcnt(2) lgkmcnt(0)
	v_mul_f64 v[250:251], v[48:49], v[246:247]
	s_waitcnt vmcnt(0)
	v_fmac_f64_e32 v[250:251], v[50:51], v[248:249]
	v_add_f64 v[152:153], v[152:153], v[250:251]
	v_add_f64 v[250:251], v[252:253], 0
	;; [unrolled: 1-line block ×3, first 2 shown]
	v_mul_f64 v[28:29], v[28:29], v[56:57]
	v_add_f64 v[30:31], v[34:35], v[30:31]
	v_fma_f64 v[26:27], v[26:27], v[78:79], -v[28:29]
	v_add_f64 v[26:27], v[30:31], v[26:27]
	v_mul_f64 v[20:21], v[20:21], v[62:63]
	v_add_f64 v[22:23], v[26:27], v[22:23]
	v_fma_f64 v[18:19], v[18:19], v[76:77], -v[20:21]
	v_add_f64 v[18:19], v[22:23], v[18:19]
	v_fma_f64 v[10:11], v[10:11], v[72:73], -v[12:13]
	v_mul_f64 v[8:9], v[8:9], v[68:69]
	v_add_f64 v[10:11], v[18:19], v[10:11]
	v_fma_f64 v[6:7], v[6:7], v[74:75], -v[8:9]
	v_mul_f64 v[4:5], v[4:5], v[64:65]
	;; [unrolled: 3-line block ×3, first 2 shown]
	v_add_f64 v[2:3], v[6:7], v[2:3]
	v_fma_f64 v[4:5], v[14:15], v[88:89], -v[4:5]
	v_add_f64 v[2:3], v[2:3], v[4:5]
	v_mul_f64 v[4:5], v[126:127], v[82:83]
	v_fma_f64 v[4:5], v[124:125], v[84:85], -v[4:5]
	v_add_f64 v[2:3], v[2:3], v[4:5]
	v_mul_f64 v[4:5], v[156:157], v[94:95]
	;; [unrolled: 3-line block ×20, first 2 shown]
	v_fma_f64 v[4:5], v[48:49], v[248:249], -v[4:5]
	v_add_f64 v[2:3], v[2:3], v[4:5]
	v_add_f64 v[2:3], v[60:61], -v[2:3]
	v_add_f64 v[4:5], v[58:59], -v[152:153]
	buffer_store_dword v3, off, s[0:3], 0 offset:68
	buffer_store_dword v2, off, s[0:3], 0 offset:64
	;; [unrolled: 1-line block ×4, first 2 shown]
	s_and_saveexec_b64 s[4:5], vcc
	s_cbranch_execz .LBB97_213
; %bb.212:
	v_accvgpr_read_b32 v5, a91
	buffer_load_dword v2, v5, s[0:3], 0 offen
	buffer_load_dword v3, v5, s[0:3], 0 offen offset:4
	buffer_load_dword v4, v5, s[0:3], 0 offen offset:8
	s_nop 0
	buffer_load_dword v5, v5, s[0:3], 0 offen offset:12
	v_mov_b32_e32 v6, 0
	buffer_store_dword v6, off, s[0:3], 0 offset:48
	buffer_store_dword v6, off, s[0:3], 0 offset:52
	;; [unrolled: 1-line block ×4, first 2 shown]
	s_waitcnt vmcnt(4)
	ds_write_b128 v1, v[2:5]
.LBB97_213:
	s_or_b64 exec, exec, s[4:5]
	s_waitcnt lgkmcnt(0)
	; wave barrier
	s_waitcnt lgkmcnt(0)
	buffer_load_dword v106, off, s[0:3], 0 offset:64
	buffer_load_dword v107, off, s[0:3], 0 offset:68
	;; [unrolled: 1-line block ×49, first 2 shown]
	v_mov_b32_e32 v176, 0
	ds_read_b128 v[110:113], v176 offset:592
	ds_read_b128 v[172:175], v176 offset:608
	;; [unrolled: 1-line block ×10, first 2 shown]
	buffer_load_dword v226, off, s[0:3], 0 offset:256
	buffer_load_dword v133, off, s[0:3], 0 offset:252
	;; [unrolled: 1-line block ×69, first 2 shown]
	v_cmp_lt_u32_e32 vcc, 1, v0
	s_waitcnt vmcnt(62) lgkmcnt(9)
	v_mul_f64 v[34:35], v[110:111], v[108:109]
	v_fmac_f64_e32 v[34:35], v[112:113], v[106:107]
	v_add_f64 v[34:35], v[34:35], 0
	v_mul_f64 v[108:109], v[112:113], v[108:109]
	s_waitcnt lgkmcnt(8)
	v_mul_f64 v[36:37], v[172:173], v[116:117]
	v_fmac_f64_e32 v[36:37], v[174:175], v[114:115]
	s_waitcnt lgkmcnt(7)
	v_mul_f64 v[38:39], v[30:31], v[186:187]
	v_add_f64 v[34:35], v[34:35], v[36:37]
	s_waitcnt lgkmcnt(5)
	v_mul_f64 v[42:43], v[22:23], v[188:189]
	v_mul_f64 v[116:117], v[174:175], v[116:117]
	v_fmac_f64_e32 v[42:43], v[24:25], v[190:191]
	v_fma_f64 v[172:173], v[172:173], v[114:115], -v[116:117]
	v_mul_f64 v[40:41], v[26:27], v[192:193]
	v_mul_f64 v[24:25], v[24:25], v[188:189]
	s_waitcnt lgkmcnt(3)
	v_mul_f64 v[46:47], v[14:15], v[194:195]
	v_fma_f64 v[22:23], v[22:23], v[190:191], -v[24:25]
	v_fmac_f64_e32 v[46:47], v[16:17], v[196:197]
	v_mul_f64 v[16:17], v[16:17], v[194:195]
	v_mul_f64 v[44:45], v[18:19], v[198:199]
	v_fma_f64 v[14:15], v[14:15], v[196:197], -v[16:17]
	s_waitcnt lgkmcnt(1)
	v_mul_f64 v[50:51], v[6:7], v[200:201]
	v_fmac_f64_e32 v[50:51], v[8:9], v[202:203]
	v_mul_f64 v[8:9], v[8:9], v[200:201]
	v_mul_f64 v[48:49], v[10:11], v[208:209]
	v_fma_f64 v[6:7], v[6:7], v[202:203], -v[8:9]
	s_waitcnt lgkmcnt(0)
	v_mul_f64 v[52:53], v[2:3], v[204:205]
	v_fmac_f64_e32 v[38:39], v[32:33], v[220:221]
	v_add_f64 v[34:35], v[34:35], v[38:39]
	v_fmac_f64_e32 v[40:41], v[28:29], v[218:219]
	v_add_f64 v[34:35], v[34:35], v[40:41]
	;; [unrolled: 2-line block ×3, first 2 shown]
	v_add_f64 v[34:35], v[34:35], v[44:45]
	v_fmac_f64_e32 v[48:49], v[12:13], v[214:215]
	v_add_f64 v[34:35], v[34:35], v[46:47]
	v_add_f64 v[34:35], v[34:35], v[48:49]
	v_fmac_f64_e32 v[52:53], v[4:5], v[212:213]
	v_add_f64 v[34:35], v[34:35], v[50:51]
	v_add_f64 v[42:43], v[34:35], v[52:53]
	ds_read_b128 v[38:41], v176 offset:752
	ds_read_b128 v[34:37], v176 offset:768
	buffer_load_dword v243, off, s[0:3], 0 offset:556
	buffer_load_dword v242, off, s[0:3], 0 offset:552
	;; [unrolled: 1-line block ×8, first 2 shown]
	ds_read_b128 v[114:117], v176 offset:1072
	v_mul_f64 v[32:33], v[32:33], v[186:187]
	s_waitcnt lgkmcnt(2)
	v_mul_f64 v[44:45], v[38:39], v[210:211]
	v_fmac_f64_e32 v[44:45], v[40:41], v[222:223]
	v_add_f64 v[46:47], v[42:43], v[44:45]
	ds_read_b128 v[42:45], v176 offset:784
	s_waitcnt lgkmcnt(2)
	v_mul_f64 v[48:49], v[34:35], v[132:133]
	v_fmac_f64_e32 v[48:49], v[36:37], v[136:137]
	v_add_f64 v[50:51], v[46:47], v[48:49]
	ds_read_b128 v[46:49], v176 offset:800
	;; [unrolled: 5-line block ×3, first 2 shown]
	s_waitcnt vmcnt(62) lgkmcnt(1)
	v_mul_f64 v[56:57], v[46:47], v[140:141]
	v_fmac_f64_e32 v[56:57], v[48:49], v[144:145]
	v_add_f64 v[58:59], v[54:55], v[56:57]
	ds_read_b128 v[54:57], v176 offset:832
	s_waitcnt lgkmcnt(1)
	v_mul_f64 v[60:61], v[50:51], v[118:119]
	v_fmac_f64_e32 v[60:61], v[52:53], v[122:123]
	v_add_f64 v[62:63], v[58:59], v[60:61]
	ds_read_b128 v[58:61], v176 offset:848
	s_waitcnt vmcnt(58) lgkmcnt(1)
	v_mul_f64 v[64:65], v[54:55], v[148:149]
	s_waitcnt vmcnt(56)
	v_fmac_f64_e32 v[64:65], v[56:57], v[152:153]
	v_add_f64 v[66:67], v[62:63], v[64:65]
	ds_read_b128 v[62:65], v176 offset:864
	s_waitcnt lgkmcnt(1)
	v_mul_f64 v[68:69], v[58:59], v[124:125]
	v_fmac_f64_e32 v[68:69], v[60:61], v[126:127]
	v_add_f64 v[70:71], v[66:67], v[68:69]
	ds_read_b128 v[66:69], v176 offset:880
	s_waitcnt vmcnt(50) lgkmcnt(1)
	v_mul_f64 v[72:73], v[62:63], v[156:157]
	s_waitcnt vmcnt(48)
	;; [unrolled: 11-line block ×5, first 2 shown]
	v_fmac_f64_e32 v[96:97], v[88:89], v[240:241]
	v_add_f64 v[98:99], v[94:95], v[96:97]
	ds_read_b128 v[94:97], v176 offset:992
	s_waitcnt lgkmcnt(1)
	v_mul_f64 v[100:101], v[90:91], v[150:151]
	v_fmac_f64_e32 v[100:101], v[92:93], v[154:155]
	v_add_f64 v[168:169], v[98:99], v[100:101]
	ds_read_b128 v[98:101], v176 offset:1008
	ds_read_b128 v[102:105], v176 offset:1024
	s_waitcnt vmcnt(18) lgkmcnt(2)
	v_mul_f64 v[170:171], v[94:95], v[244:245]
	s_waitcnt vmcnt(16)
	v_fmac_f64_e32 v[170:171], v[96:97], v[248:249]
	v_add_f64 v[168:169], v[168:169], v[170:171]
	s_waitcnt lgkmcnt(1)
	v_mul_f64 v[170:171], v[98:99], v[158:159]
	v_fmac_f64_e32 v[170:171], v[100:101], v[162:163]
	v_add_f64 v[168:169], v[168:169], v[170:171]
	v_fma_f64 v[170:171], v[110:111], v[106:107], -v[108:109]
	ds_read_b128 v[110:113], v176 offset:1040
	ds_read_b128 v[106:109], v176 offset:1056
	s_waitcnt vmcnt(10) lgkmcnt(2)
	v_mul_f64 v[178:179], v[102:103], v[250:251]
	s_waitcnt vmcnt(8)
	v_fmac_f64_e32 v[178:179], v[104:105], v[252:253]
	v_add_f64 v[168:169], v[168:169], v[178:179]
	s_waitcnt lgkmcnt(1)
	v_mul_f64 v[174:175], v[110:111], v[228:229]
	v_fmac_f64_e32 v[174:175], v[112:113], v[232:233]
	v_add_f64 v[168:169], v[168:169], v[174:175]
	s_waitcnt vmcnt(2) lgkmcnt(0)
	v_mul_f64 v[174:175], v[106:107], v[254:255]
	s_waitcnt vmcnt(0)
	v_fmac_f64_e32 v[174:175], v[108:109], v[166:167]
	v_add_f64 v[168:169], v[168:169], v[174:175]
	v_mul_f64 v[174:175], v[114:115], v[242:243]
	v_fmac_f64_e32 v[174:175], v[116:117], v[246:247]
	v_add_f64 v[168:169], v[168:169], v[174:175]
	buffer_load_dword v174, off, s[0:3], 0 offset:56
	buffer_load_dword v175, off, s[0:3], 0 offset:60
	v_add_f64 v[170:171], v[170:171], 0
	v_add_f64 v[170:171], v[170:171], v[172:173]
	v_fma_f64 v[30:31], v[30:31], v[220:221], -v[32:33]
	v_mul_f64 v[28:29], v[28:29], v[192:193]
	v_add_f64 v[30:31], v[170:171], v[30:31]
	v_fma_f64 v[26:27], v[26:27], v[218:219], -v[28:29]
	v_add_f64 v[26:27], v[30:31], v[26:27]
	v_mul_f64 v[20:21], v[20:21], v[198:199]
	v_add_f64 v[22:23], v[26:27], v[22:23]
	v_fma_f64 v[18:19], v[18:19], v[216:217], -v[20:21]
	v_add_f64 v[18:19], v[22:23], v[18:19]
	;; [unrolled: 4-line block ×3, first 2 shown]
	v_mul_f64 v[4:5], v[4:5], v[204:205]
	v_add_f64 v[6:7], v[10:11], v[6:7]
	v_fma_f64 v[2:3], v[2:3], v[212:213], -v[4:5]
	v_mul_f64 v[4:5], v[40:41], v[210:211]
	v_add_f64 v[2:3], v[6:7], v[2:3]
	v_fma_f64 v[4:5], v[38:39], v[222:223], -v[4:5]
	v_add_f64 v[2:3], v[2:3], v[4:5]
	v_mul_f64 v[4:5], v[36:37], v[132:133]
	v_fma_f64 v[4:5], v[34:35], v[136:137], -v[4:5]
	v_add_f64 v[2:3], v[2:3], v[4:5]
	v_mul_f64 v[4:5], v[44:45], v[224:225]
	;; [unrolled: 3-line block ×20, first 2 shown]
	v_fma_f64 v[4:5], v[114:115], v[246:247], -v[4:5]
	v_add_f64 v[2:3], v[2:3], v[4:5]
	v_add_f64 v[2:3], v[206:207], -v[2:3]
	s_waitcnt vmcnt(0)
	v_add_f64 v[4:5], v[174:175], -v[168:169]
	buffer_store_dword v3, off, s[0:3], 0 offset:52
	buffer_store_dword v2, off, s[0:3], 0 offset:48
	;; [unrolled: 1-line block ×4, first 2 shown]
	s_and_saveexec_b64 s[4:5], vcc
	s_cbranch_execz .LBB97_215
; %bb.214:
	v_accvgpr_read_b32 v5, a92
	buffer_load_dword v2, v5, s[0:3], 0 offen
	buffer_load_dword v3, v5, s[0:3], 0 offen offset:4
	buffer_load_dword v4, v5, s[0:3], 0 offen offset:8
	s_nop 0
	buffer_load_dword v5, v5, s[0:3], 0 offen offset:12
	s_nop 0
	buffer_store_dword v176, off, s[0:3], 0 offset:32
	buffer_store_dword v176, off, s[0:3], 0 offset:36
	;; [unrolled: 1-line block ×4, first 2 shown]
	s_waitcnt vmcnt(4)
	ds_write_b128 v1, v[2:5]
.LBB97_215:
	s_or_b64 exec, exec, s[4:5]
	s_waitcnt lgkmcnt(0)
	; wave barrier
	s_waitcnt lgkmcnt(0)
	buffer_load_dword v112, off, s[0:3], 0 offset:48
	buffer_load_dword v113, off, s[0:3], 0 offset:52
	;; [unrolled: 1-line block ×36, first 2 shown]
	ds_read_b128 v[102:105], v176 offset:576
	ds_read_b128 v[106:109], v176 offset:592
	;; [unrolled: 1-line block ×9, first 2 shown]
	buffer_load_dword v211, off, s[0:3], 0 offset:220
	buffer_load_dword v210, off, s[0:3], 0 offset:216
	;; [unrolled: 1-line block ×78, first 2 shown]
	v_cmp_ne_u32_e32 vcc, 0, v0
	s_waitcnt vmcnt(62) lgkmcnt(8)
	v_mul_f64 v[26:27], v[102:103], v[168:169]
	v_fmac_f64_e32 v[26:27], v[104:105], v[112:113]
	v_add_f64 v[26:27], v[26:27], 0
	v_mul_f64 v[104:105], v[104:105], v[168:169]
	s_waitcnt lgkmcnt(7)
	v_mul_f64 v[28:29], v[106:107], v[170:171]
	v_fmac_f64_e32 v[28:29], v[108:109], v[110:111]
	s_waitcnt lgkmcnt(6)
	v_mul_f64 v[30:31], v[114:115], v[166:167]
	v_add_f64 v[26:27], v[26:27], v[28:29]
	s_waitcnt lgkmcnt(4)
	v_mul_f64 v[34:35], v[18:19], v[186:187]
	v_fma_f64 v[168:169], v[102:103], v[112:113], -v[104:105]
	v_fmac_f64_e32 v[34:35], v[20:21], v[188:189]
	v_mul_f64 v[108:109], v[108:109], v[170:171]
	v_mul_f64 v[32:33], v[22:23], v[190:191]
	v_fma_f64 v[170:171], v[106:107], v[110:111], -v[108:109]
	s_waitcnt lgkmcnt(2)
	v_mul_f64 v[38:39], v[10:11], v[192:193]
	v_add_f64 v[168:169], v[168:169], 0
	v_fmac_f64_e32 v[38:39], v[12:13], v[194:195]
	v_add_f64 v[168:169], v[168:169], v[170:171]
	v_mul_f64 v[36:37], v[14:15], v[198:199]
	v_mul_f64 v[20:21], v[20:21], v[186:187]
	s_waitcnt lgkmcnt(1)
	v_mul_f64 v[40:41], v[6:7], v[196:197]
	v_fma_f64 v[18:19], v[18:19], v[188:189], -v[20:21]
	v_fmac_f64_e32 v[30:31], v[116:117], v[172:173]
	v_add_f64 v[26:27], v[26:27], v[30:31]
	v_fmac_f64_e32 v[32:33], v[24:25], v[206:207]
	v_add_f64 v[26:27], v[26:27], v[32:33]
	v_fmac_f64_e32 v[36:37], v[16:17], v[204:205]
	v_add_f64 v[26:27], v[26:27], v[34:35]
	v_add_f64 v[26:27], v[26:27], v[36:37]
	v_fmac_f64_e32 v[40:41], v[8:9], v[202:203]
	v_add_f64 v[30:31], v[26:27], v[38:39]
	ds_read_b128 v[26:29], v176 offset:720
	s_waitcnt lgkmcnt(1)
	v_mul_f64 v[32:33], v[2:3], v[200:201]
	v_add_f64 v[30:31], v[30:31], v[40:41]
	v_fmac_f64_e32 v[32:33], v[4:5], v[208:209]
	v_add_f64 v[34:35], v[30:31], v[32:33]
	ds_read_b128 v[30:33], v176 offset:736
	s_waitcnt lgkmcnt(1)
	v_mul_f64 v[36:37], v[26:27], v[214:215]
	buffer_load_dword v153, off, s[0:3], 0 offset:484
	buffer_load_dword v152, off, s[0:3], 0 offset:480
	v_fmac_f64_e32 v[36:37], v[28:29], v[216:217]
	v_add_f64 v[38:39], v[34:35], v[36:37]
	s_waitcnt lgkmcnt(0)
	v_mul_f64 v[40:41], v[30:31], v[210:211]
	ds_read_b128 v[34:37], v176 offset:752
	v_fmac_f64_e32 v[40:41], v[32:33], v[212:213]
	v_add_f64 v[42:43], v[38:39], v[40:41]
	ds_read_b128 v[38:41], v176 offset:768
	v_mul_f64 v[116:117], v[116:117], v[166:167]
	s_waitcnt lgkmcnt(1)
	v_mul_f64 v[44:45], v[34:35], v[226:227]
	v_fmac_f64_e32 v[44:45], v[36:37], v[228:229]
	v_add_f64 v[46:47], v[42:43], v[44:45]
	s_waitcnt lgkmcnt(0)
	v_mul_f64 v[48:49], v[38:39], v[218:219]
	v_fmac_f64_e32 v[48:49], v[40:41], v[220:221]
	ds_read_b128 v[42:45], v176 offset:784
	v_add_f64 v[50:51], v[46:47], v[48:49]
	ds_read_b128 v[46:49], v176 offset:800
	buffer_load_dword v155, off, s[0:3], 0 offset:540
	buffer_load_dword v157, off, s[0:3], 0 offset:524
	;; [unrolled: 1-line block ×12, first 2 shown]
	ds_read_b128 v[106:109], v176 offset:1040
	s_waitcnt vmcnt(62) lgkmcnt(2)
	v_mul_f64 v[52:53], v[42:43], v[242:243]
	v_fmac_f64_e32 v[52:53], v[44:45], v[246:247]
	v_add_f64 v[54:55], v[50:51], v[52:53]
	ds_read_b128 v[50:53], v176 offset:816
	s_waitcnt lgkmcnt(2)
	v_mul_f64 v[56:57], v[46:47], v[222:223]
	v_fmac_f64_e32 v[56:57], v[48:49], v[224:225]
	v_add_f64 v[58:59], v[54:55], v[56:57]
	ds_read_b128 v[54:57], v176 offset:832
	s_waitcnt lgkmcnt(1)
	v_mul_f64 v[60:61], v[50:51], v[250:251]
	s_waitcnt vmcnt(60)
	v_fmac_f64_e32 v[60:61], v[52:53], v[254:255]
	v_add_f64 v[62:63], v[58:59], v[60:61]
	ds_read_b128 v[58:61], v176 offset:848
	s_waitcnt lgkmcnt(1)
	v_mul_f64 v[64:65], v[54:55], v[230:231]
	v_fmac_f64_e32 v[64:65], v[56:57], v[232:233]
	v_add_f64 v[66:67], v[62:63], v[64:65]
	ds_read_b128 v[62:65], v176 offset:864
	s_waitcnt vmcnt(54) lgkmcnt(1)
	v_mul_f64 v[68:69], v[58:59], v[122:123]
	s_waitcnt vmcnt(52)
	v_fmac_f64_e32 v[68:69], v[60:61], v[126:127]
	v_add_f64 v[70:71], v[66:67], v[68:69]
	ds_read_b128 v[66:69], v176 offset:880
	s_waitcnt lgkmcnt(1)
	v_mul_f64 v[72:73], v[62:63], v[234:235]
	v_fmac_f64_e32 v[72:73], v[64:65], v[236:237]
	v_add_f64 v[74:75], v[70:71], v[72:73]
	ds_read_b128 v[70:73], v176 offset:896
	s_waitcnt vmcnt(46) lgkmcnt(1)
	;; [unrolled: 11-line block ×4, first 2 shown]
	v_mul_f64 v[92:93], v[82:83], v[142:143]
	s_waitcnt vmcnt(28)
	v_fmac_f64_e32 v[92:93], v[84:85], v[144:145]
	v_add_f64 v[98:99], v[90:91], v[92:93]
	ds_read_b128 v[90:93], v176 offset:976
	ds_read_b128 v[94:97], v176 offset:992
	s_waitcnt lgkmcnt(2)
	v_mul_f64 v[100:101], v[86:87], v[252:253]
	v_fmac_f64_e32 v[100:101], v[88:89], v[118:119]
	v_add_f64 v[98:99], v[98:99], v[100:101]
	s_waitcnt vmcnt(22) lgkmcnt(1)
	v_mul_f64 v[100:101], v[90:91], v[146:147]
	s_waitcnt vmcnt(20)
	v_fmac_f64_e32 v[100:101], v[92:93], v[148:149]
	v_add_f64 v[98:99], v[98:99], v[100:101]
	s_waitcnt lgkmcnt(0)
	v_mul_f64 v[100:101], v[94:95], v[124:125]
	v_fmac_f64_e32 v[100:101], v[96:97], v[128:129]
	v_add_f64 v[174:175], v[98:99], v[100:101]
	ds_read_b128 v[98:101], v176 offset:1008
	ds_read_b128 v[102:105], v176 offset:1024
	v_fma_f64 v[172:173], v[114:115], v[172:173], -v[116:117]
	ds_read_b128 v[114:117], v176 offset:1072
	v_mul_f64 v[24:25], v[24:25], v[190:191]
	s_waitcnt vmcnt(14) lgkmcnt(2)
	v_mul_f64 v[112:113], v[98:99], v[150:151]
	s_waitcnt lgkmcnt(1)
	v_mul_f64 v[110:111], v[102:103], v[132:133]
	s_waitcnt vmcnt(12)
	v_fmac_f64_e32 v[112:113], v[100:101], v[152:153]
	v_add_f64 v[112:113], v[174:175], v[112:113]
	v_fmac_f64_e32 v[110:111], v[104:105], v[136:137]
	v_add_f64 v[174:175], v[112:113], v[110:111]
	ds_read_b128 v[110:113], v176 offset:1056
	v_add_f64 v[168:169], v[168:169], v[172:173]
	v_fma_f64 v[22:23], v[22:23], v[206:207], -v[24:25]
	v_add_f64 v[22:23], v[168:169], v[22:23]
	s_waitcnt vmcnt(9)
	v_mul_f64 v[166:167], v[106:107], v[156:157]
	v_mul_f64 v[16:17], v[16:17], v[198:199]
	s_waitcnt vmcnt(7)
	v_fmac_f64_e32 v[166:167], v[108:109], v[162:163]
	v_add_f64 v[166:167], v[174:175], v[166:167]
	s_waitcnt vmcnt(6) lgkmcnt(0)
	v_mul_f64 v[174:175], v[110:111], v[154:155]
	s_waitcnt vmcnt(4)
	v_fmac_f64_e32 v[174:175], v[112:113], v[160:161]
	v_add_f64 v[166:167], v[166:167], v[174:175]
	s_waitcnt vmcnt(2)
	v_mul_f64 v[174:175], v[114:115], v[158:159]
	v_add_f64 v[18:19], v[22:23], v[18:19]
	s_waitcnt vmcnt(0)
	v_fmac_f64_e32 v[174:175], v[116:117], v[164:165]
	v_add_f64 v[166:167], v[166:167], v[174:175]
	buffer_load_dword v176, off, s[0:3], 0 offset:32
	buffer_load_dword v177, off, s[0:3], 0 offset:36
	;; [unrolled: 1-line block ×4, first 2 shown]
	v_fma_f64 v[14:15], v[14:15], v[204:205], -v[16:17]
	v_mul_f64 v[12:13], v[12:13], v[192:193]
	v_add_f64 v[14:15], v[18:19], v[14:15]
	v_fma_f64 v[10:11], v[10:11], v[194:195], -v[12:13]
	v_mul_f64 v[8:9], v[8:9], v[196:197]
	v_add_f64 v[10:11], v[14:15], v[10:11]
	;; [unrolled: 3-line block ×4, first 2 shown]
	v_fma_f64 v[4:5], v[26:27], v[216:217], -v[4:5]
	v_add_f64 v[2:3], v[2:3], v[4:5]
	v_mul_f64 v[4:5], v[32:33], v[210:211]
	v_fma_f64 v[4:5], v[30:31], v[212:213], -v[4:5]
	v_add_f64 v[2:3], v[2:3], v[4:5]
	v_mul_f64 v[4:5], v[36:37], v[226:227]
	;; [unrolled: 3-line block ×22, first 2 shown]
	v_fma_f64 v[4:5], v[114:115], v[164:165], -v[4:5]
	v_add_f64 v[2:3], v[2:3], v[4:5]
	s_waitcnt vmcnt(2)
	v_add_f64 v[2:3], v[176:177], -v[2:3]
	s_waitcnt vmcnt(0)
	v_add_f64 v[4:5], v[174:175], -v[166:167]
	buffer_store_dword v3, off, s[0:3], 0 offset:36
	buffer_store_dword v2, off, s[0:3], 0 offset:32
	;; [unrolled: 1-line block ×4, first 2 shown]
	s_and_saveexec_b64 s[4:5], vcc
	s_cbranch_execz .LBB97_217
; %bb.216:
	buffer_load_dword v2, off, s[0:3], 0 offset:16
	buffer_load_dword v3, off, s[0:3], 0 offset:20
	;; [unrolled: 1-line block ×4, first 2 shown]
	v_mov_b32_e32 v0, 0
	buffer_store_dword v0, off, s[0:3], 0 offset:16
	buffer_store_dword v0, off, s[0:3], 0 offset:20
	;; [unrolled: 1-line block ×4, first 2 shown]
	s_waitcnt vmcnt(4)
	ds_write_b128 v1, v[2:5]
.LBB97_217:
	s_or_b64 exec, exec, s[4:5]
	s_waitcnt lgkmcnt(0)
	; wave barrier
	s_waitcnt lgkmcnt(0)
	buffer_load_dword v92, off, s[0:3], 0 offset:32
	buffer_load_dword v93, off, s[0:3], 0 offset:36
	;; [unrolled: 1-line block ×52, first 2 shown]
	v_mov_b32_e32 v180, 0
	ds_read_b128 v[96:99], v180 offset:560
	ds_read_b128 v[108:111], v180 offset:576
	;; [unrolled: 1-line block ×10, first 2 shown]
	s_and_b64 vcc, exec, s[16:17]
	s_waitcnt vmcnt(48) lgkmcnt(9)
	v_mul_f64 v[24:25], v[96:97], v[94:95]
	v_fmac_f64_e32 v[24:25], v[98:99], v[92:93]
	v_add_f64 v[24:25], v[24:25], 0
	v_mul_f64 v[94:95], v[98:99], v[94:95]
	s_waitcnt vmcnt(44) lgkmcnt(8)
	v_mul_f64 v[26:27], v[108:109], v[102:103]
	v_fmac_f64_e32 v[26:27], v[110:111], v[100:101]
	s_waitcnt vmcnt(42) lgkmcnt(7)
	v_mul_f64 v[28:29], v[164:165], v[104:105]
	v_add_f64 v[24:25], v[24:25], v[26:27]
	s_waitcnt vmcnt(40) lgkmcnt(5)
	v_mul_f64 v[32:33], v[20:21], v[186:187]
	v_mul_f64 v[102:103], v[110:111], v[102:103]
	s_waitcnt vmcnt(38)
	v_fmac_f64_e32 v[32:33], v[22:23], v[190:191]
	v_fma_f64 v[172:173], v[108:109], v[100:101], -v[102:103]
	s_waitcnt vmcnt(36)
	v_mul_f64 v[30:31], v[174:175], v[112:113]
	v_mul_f64 v[104:105], v[166:167], v[104:105]
	s_waitcnt vmcnt(34) lgkmcnt(3)
	v_mul_f64 v[36:37], v[12:13], v[116:117]
	v_mul_f64 v[112:113], v[176:177], v[112:113]
	s_waitcnt vmcnt(32)
	v_fmac_f64_e32 v[36:37], v[14:15], v[188:189]
	v_mul_f64 v[22:23], v[22:23], v[186:187]
	s_waitcnt vmcnt(30)
	v_mul_f64 v[34:35], v[16:17], v[196:197]
	v_fma_f64 v[20:21], v[20:21], v[190:191], -v[22:23]
	v_mul_f64 v[14:15], v[14:15], v[116:117]
	s_waitcnt vmcnt(27) lgkmcnt(2)
	v_mul_f64 v[38:39], v[8:9], v[194:195]
	s_waitcnt vmcnt(26) lgkmcnt(1)
	v_mul_f64 v[40:41], v[4:5], v[192:193]
	v_fma_f64 v[12:13], v[12:13], v[188:189], -v[14:15]
	s_waitcnt vmcnt(24)
	v_fmac_f64_e32 v[28:29], v[166:167], v[106:107]
	v_add_f64 v[24:25], v[24:25], v[28:29]
	s_waitcnt vmcnt(22)
	v_fmac_f64_e32 v[30:31], v[176:177], v[114:115]
	v_add_f64 v[24:25], v[24:25], v[30:31]
	;; [unrolled: 3-line block ×3, first 2 shown]
	v_add_f64 v[24:25], v[24:25], v[34:35]
	s_waitcnt vmcnt(18)
	v_fmac_f64_e32 v[38:39], v[10:11], v[198:199]
	v_add_f64 v[24:25], v[24:25], v[36:37]
	v_add_f64 v[24:25], v[24:25], v[38:39]
	s_waitcnt vmcnt(16)
	v_fmac_f64_e32 v[40:41], v[6:7], v[204:205]
	v_add_f64 v[32:33], v[24:25], v[40:41]
	ds_read_b128 v[24:27], v180 offset:720
	ds_read_b128 v[28:31], v180 offset:736
	buffer_load_dword v119, off, s[0:3], 0 offset:268
	buffer_load_dword v118, off, s[0:3], 0 offset:264
	;; [unrolled: 1-line block ×56, first 2 shown]
	s_waitcnt vmcnt(62) lgkmcnt(2)
	v_mul_f64 v[34:35], v[0:1], v[208:209]
	v_fmac_f64_e32 v[34:35], v[2:3], v[210:211]
	v_add_f64 v[32:33], v[32:33], v[34:35]
	s_waitcnt lgkmcnt(1)
	v_mul_f64 v[34:35], v[24:25], v[202:203]
	v_fmac_f64_e32 v[34:35], v[26:27], v[206:207]
	v_add_f64 v[32:33], v[32:33], v[34:35]
	s_waitcnt lgkmcnt(0)
	v_mul_f64 v[34:35], v[28:29], v[212:213]
	s_waitcnt vmcnt(60)
	v_fmac_f64_e32 v[34:35], v[30:31], v[216:217]
	v_add_f64 v[40:41], v[32:33], v[34:35]
	ds_read_b128 v[32:35], v180 offset:752
	buffer_load_dword v153, off, s[0:3], 0 offset:492
	buffer_load_dword v152, off, s[0:3], 0 offset:488
	;; [unrolled: 1-line block ×16, first 2 shown]
	ds_read_b128 v[36:39], v180 offset:768
	buffer_load_dword v253, off, s[0:3], 0 offset:556
	buffer_load_dword v252, off, s[0:3], 0 offset:552
	;; [unrolled: 1-line block ×8, first 2 shown]
	v_fma_f64 v[166:167], v[164:165], v[106:107], -v[104:105]
	s_waitcnt vmcnt(62) lgkmcnt(1)
	v_mul_f64 v[42:43], v[32:33], v[214:215]
	v_fmac_f64_e32 v[42:43], v[34:35], v[218:219]
	v_add_f64 v[44:45], v[40:41], v[42:43]
	ds_read_b128 v[40:43], v180 offset:784
	v_mul_f64 v[18:19], v[18:19], v[196:197]
	v_fma_f64 v[16:17], v[16:17], v[200:201], -v[18:19]
	v_mul_f64 v[10:11], v[10:11], v[194:195]
	v_fma_f64 v[8:9], v[8:9], v[198:199], -v[10:11]
	;; [unrolled: 2-line block ×5, first 2 shown]
	ds_read_b128 v[100:103], v180 offset:1024
	s_waitcnt lgkmcnt(2)
	v_mul_f64 v[46:47], v[36:37], v[136:137]
	ds_read_b128 v[104:107], v180 offset:1056
	v_fmac_f64_e32 v[46:47], v[38:39], v[140:141]
	v_add_f64 v[48:49], v[44:45], v[46:47]
	ds_read_b128 v[44:47], v180 offset:800
	s_waitcnt lgkmcnt(3)
	v_mul_f64 v[50:51], v[40:41], v[118:119]
	v_fmac_f64_e32 v[50:51], v[42:43], v[122:123]
	v_add_f64 v[52:53], v[48:49], v[50:51]
	ds_read_b128 v[48:51], v180 offset:816
	s_waitcnt lgkmcnt(1)
	v_mul_f64 v[54:55], v[44:45], v[144:145]
	;; [unrolled: 5-line block ×3, first 2 shown]
	v_fmac_f64_e32 v[58:59], v[50:51], v[126:127]
	v_add_f64 v[60:61], v[56:57], v[58:59]
	ds_read_b128 v[56:59], v180 offset:848
	s_waitcnt vmcnt(58) lgkmcnt(1)
	v_mul_f64 v[62:63], v[52:53], v[220:221]
	s_waitcnt vmcnt(56)
	v_fmac_f64_e32 v[62:63], v[54:55], v[224:225]
	v_add_f64 v[64:65], v[60:61], v[62:63]
	ds_read_b128 v[60:63], v180 offset:864
	s_waitcnt lgkmcnt(1)
	v_mul_f64 v[66:67], v[56:57], v[128:129]
	v_fmac_f64_e32 v[66:67], v[58:59], v[130:131]
	v_add_f64 v[68:69], v[64:65], v[66:67]
	ds_read_b128 v[64:67], v180 offset:880
	s_waitcnt vmcnt(50) lgkmcnt(1)
	v_mul_f64 v[70:71], v[60:61], v[228:229]
	s_waitcnt vmcnt(48)
	v_fmac_f64_e32 v[70:71], v[62:63], v[230:231]
	v_add_f64 v[72:73], v[68:69], v[70:71]
	ds_read_b128 v[68:71], v180 offset:896
	s_waitcnt lgkmcnt(1)
	v_mul_f64 v[74:75], v[64:65], v[132:133]
	;; [unrolled: 11-line block ×4, first 2 shown]
	v_fmac_f64_e32 v[90:91], v[82:83], v[150:151]
	v_add_f64 v[168:169], v[88:89], v[90:91]
	ds_read_b128 v[88:91], v180 offset:976
	s_waitcnt vmcnt(26) lgkmcnt(1)
	v_mul_f64 v[170:171], v[84:85], v[246:247]
	s_waitcnt vmcnt(24)
	v_fmac_f64_e32 v[170:171], v[86:87], v[248:249]
	v_add_f64 v[168:169], v[168:169], v[170:171]
	v_fma_f64 v[170:171], v[96:97], v[92:93], -v[94:95]
	ds_read_b128 v[92:95], v180 offset:992
	s_waitcnt lgkmcnt(1)
	v_mul_f64 v[96:97], v[88:89], v[222:223]
	v_fmac_f64_e32 v[96:97], v[90:91], v[226:227]
	v_add_f64 v[168:169], v[168:169], v[96:97]
	ds_read_b128 v[96:99], v180 offset:1008
	s_waitcnt vmcnt(18) lgkmcnt(1)
	v_mul_f64 v[108:109], v[92:93], v[250:251]
	s_waitcnt vmcnt(16)
	v_fmac_f64_e32 v[108:109], v[94:95], v[254:255]
	v_add_f64 v[108:109], v[168:169], v[108:109]
	s_waitcnt vmcnt(10)
	v_mul_f64 v[178:179], v[100:101], v[156:157]
	s_waitcnt lgkmcnt(0)
	v_mul_f64 v[110:111], v[96:97], v[152:153]
	v_fmac_f64_e32 v[110:111], v[98:99], v[234:235]
	v_add_f64 v[168:169], v[108:109], v[110:111]
	ds_read_b128 v[108:111], v180 offset:1040
	s_waitcnt vmcnt(8)
	v_fmac_f64_e32 v[178:179], v[102:103], v[158:159]
	v_add_f64 v[164:165], v[168:169], v[178:179]
	v_fma_f64 v[168:169], v[174:175], v[114:115], -v[112:113]
	ds_read_b128 v[112:115], v180 offset:1072
	s_waitcnt lgkmcnt(1)
	v_mul_f64 v[174:175], v[108:109], v[238:239]
	v_fmac_f64_e32 v[174:175], v[110:111], v[242:243]
	v_add_f64 v[164:165], v[164:165], v[174:175]
	s_waitcnt vmcnt(2)
	v_mul_f64 v[174:175], v[104:105], v[160:161]
	s_waitcnt vmcnt(0)
	v_fmac_f64_e32 v[174:175], v[106:107], v[162:163]
	v_add_f64 v[164:165], v[164:165], v[174:175]
	s_waitcnt lgkmcnt(0)
	v_mul_f64 v[174:175], v[112:113], v[252:253]
	v_fmac_f64_e32 v[174:175], v[114:115], v[154:155]
	v_add_f64 v[164:165], v[164:165], v[174:175]
	buffer_load_dword v174, off, s[0:3], 0 offset:16
	buffer_load_dword v175, off, s[0:3], 0 offset:20
	v_add_f64 v[170:171], v[170:171], 0
	v_add_f64 v[172:173], v[170:171], v[172:173]
	buffer_load_dword v170, off, s[0:3], 0 offset:24
	buffer_load_dword v171, off, s[0:3], 0 offset:28
	v_add_f64 v[166:167], v[172:173], v[166:167]
	v_add_f64 v[166:167], v[166:167], v[168:169]
	;; [unrolled: 1-line block ×9, first 2 shown]
	v_mul_f64 v[2:3], v[30:31], v[212:213]
	v_fma_f64 v[2:3], v[28:29], v[216:217], -v[2:3]
	v_add_f64 v[0:1], v[0:1], v[2:3]
	v_mul_f64 v[2:3], v[34:35], v[214:215]
	v_fma_f64 v[2:3], v[32:33], v[218:219], -v[2:3]
	v_add_f64 v[0:1], v[0:1], v[2:3]
	;; [unrolled: 3-line block ×22, first 2 shown]
	s_waitcnt vmcnt(2)
	v_add_f64 v[0:1], v[174:175], -v[0:1]
	s_waitcnt vmcnt(0)
	v_add_f64 v[2:3], v[170:171], -v[164:165]
	buffer_store_dword v1, off, s[0:3], 0 offset:20
	buffer_store_dword v0, off, s[0:3], 0 offset:16
	;; [unrolled: 1-line block ×4, first 2 shown]
	s_cbranch_vccz .LBB97_285
; %bb.218:
	v_pk_mov_b32 v[0:1], s[10:11], s[10:11] op_sel:[0,1]
	flat_load_dword v0, v[0:1] offset:128
	s_waitcnt vmcnt(0) lgkmcnt(0)
	v_add_u32_e32 v0, -1, v0
	v_cmp_ne_u32_e32 vcc, 32, v0
	s_and_saveexec_b64 s[4:5], vcc
	s_cbranch_execz .LBB97_220
; %bb.219:
	v_mov_b32_e32 v1, 16
	v_accvgpr_read_b32 v9, a62
	v_lshl_add_u32 v0, v0, 4, v1
	buffer_load_dword v1, v9, s[0:3], 0 offen offset:4
	buffer_load_dword v2, v9, s[0:3], 0 offen offset:8
	buffer_load_dword v3, v9, s[0:3], 0 offen offset:12
	buffer_load_dword v4, v0, s[0:3], 0 offen
	buffer_load_dword v5, v0, s[0:3], 0 offen offset:4
	buffer_load_dword v6, v0, s[0:3], 0 offen offset:8
	buffer_load_dword v7, v0, s[0:3], 0 offen offset:12
	buffer_load_dword v8, v9, s[0:3], 0 offen
	s_waitcnt vmcnt(4)
	buffer_store_dword v4, v9, s[0:3], 0 offen
	s_waitcnt vmcnt(4)
	buffer_store_dword v5, v9, s[0:3], 0 offen offset:4
	s_waitcnt vmcnt(4)
	buffer_store_dword v6, v9, s[0:3], 0 offen offset:8
	s_waitcnt vmcnt(4)
	buffer_store_dword v7, v9, s[0:3], 0 offen offset:12
	buffer_store_dword v3, v0, s[0:3], 0 offen offset:12
	buffer_store_dword v2, v0, s[0:3], 0 offen offset:8
	buffer_store_dword v1, v0, s[0:3], 0 offen offset:4
	s_waitcnt vmcnt(7)
	buffer_store_dword v8, v0, s[0:3], 0 offen
.LBB97_220:
	s_or_b64 exec, exec, s[4:5]
	v_pk_mov_b32 v[0:1], s[10:11], s[10:11] op_sel:[0,1]
	flat_load_dword v0, v[0:1] offset:124
	s_waitcnt vmcnt(0) lgkmcnt(0)
	v_add_u32_e32 v0, -1, v0
	v_cmp_ne_u32_e32 vcc, 31, v0
	s_and_saveexec_b64 s[4:5], vcc
	s_cbranch_execz .LBB97_222
; %bb.221:
	v_mov_b32_e32 v1, 16
	v_accvgpr_read_b32 v9, a63
	v_lshl_add_u32 v0, v0, 4, v1
	buffer_load_dword v1, v9, s[0:3], 0 offen offset:4
	buffer_load_dword v2, v9, s[0:3], 0 offen offset:8
	buffer_load_dword v3, v9, s[0:3], 0 offen offset:12
	buffer_load_dword v4, v0, s[0:3], 0 offen
	buffer_load_dword v5, v0, s[0:3], 0 offen offset:4
	buffer_load_dword v6, v0, s[0:3], 0 offen offset:8
	buffer_load_dword v7, v0, s[0:3], 0 offen offset:12
	buffer_load_dword v8, v9, s[0:3], 0 offen
	s_waitcnt vmcnt(4)
	buffer_store_dword v4, v9, s[0:3], 0 offen
	s_waitcnt vmcnt(4)
	buffer_store_dword v5, v9, s[0:3], 0 offen offset:4
	s_waitcnt vmcnt(4)
	buffer_store_dword v6, v9, s[0:3], 0 offen offset:8
	s_waitcnt vmcnt(4)
	buffer_store_dword v7, v9, s[0:3], 0 offen offset:12
	buffer_store_dword v3, v0, s[0:3], 0 offen offset:12
	buffer_store_dword v2, v0, s[0:3], 0 offen offset:8
	buffer_store_dword v1, v0, s[0:3], 0 offen offset:4
	s_waitcnt vmcnt(7)
	buffer_store_dword v8, v0, s[0:3], 0 offen
.LBB97_222:
	s_or_b64 exec, exec, s[4:5]
	;; [unrolled: 34-line block ×32, first 2 shown]
	v_pk_mov_b32 v[0:1], s[10:11], s[10:11] op_sel:[0,1]
	flat_load_dword v0, v[0:1]
	s_waitcnt vmcnt(0) lgkmcnt(0)
	v_add_u32_e32 v0, -1, v0
	v_cmp_ne_u32_e32 vcc, 0, v0
	s_and_saveexec_b64 s[4:5], vcc
	s_cbranch_execz .LBB97_284
; %bb.283:
	v_mov_b32_e32 v1, 16
	v_lshl_add_u32 v0, v0, 4, v1
	buffer_load_dword v1, v0, s[0:3], 0 offen
	buffer_load_dword v2, v0, s[0:3], 0 offen offset:4
	buffer_load_dword v3, v0, s[0:3], 0 offen offset:8
	;; [unrolled: 1-line block ×3, first 2 shown]
	buffer_load_dword v5, off, s[0:3], 0 offset:28
	buffer_load_dword v6, off, s[0:3], 0 offset:24
	;; [unrolled: 1-line block ×4, first 2 shown]
	s_waitcnt vmcnt(7)
	buffer_store_dword v1, off, s[0:3], 0 offset:16
	s_waitcnt vmcnt(7)
	buffer_store_dword v2, off, s[0:3], 0 offset:20
	;; [unrolled: 2-line block ×4, first 2 shown]
	s_waitcnt vmcnt(7)
	buffer_store_dword v5, v0, s[0:3], 0 offen offset:12
	s_waitcnt vmcnt(7)
	buffer_store_dword v6, v0, s[0:3], 0 offen offset:8
	;; [unrolled: 2-line block ×3, first 2 shown]
	s_waitcnt vmcnt(7)
	buffer_store_dword v8, v0, s[0:3], 0 offen
.LBB97_284:
	s_or_b64 exec, exec, s[4:5]
.LBB97_285:
	buffer_load_dword v0, off, s[0:3], 0 offset:16
	buffer_load_dword v1, off, s[0:3], 0 offset:20
	;; [unrolled: 1-line block ×4, first 2 shown]
	v_accvgpr_read_b32 v20, a92
	buffer_load_dword v5, v20, s[0:3], 0 offen offset:4
	buffer_load_dword v6, v20, s[0:3], 0 offen offset:8
	;; [unrolled: 1-line block ×3, first 2 shown]
	v_accvgpr_read_b32 v19, a91
	buffer_load_dword v8, v19, s[0:3], 0 offen
	buffer_load_dword v9, v19, s[0:3], 0 offen offset:4
	buffer_load_dword v10, v19, s[0:3], 0 offen offset:8
	buffer_load_dword v4, v20, s[0:3], 0 offen
	buffer_load_dword v11, v19, s[0:3], 0 offen offset:12
	v_accvgpr_read_b32 v21, a93
	buffer_load_dword v13, v21, s[0:3], 0 offen offset:4
	buffer_load_dword v14, v21, s[0:3], 0 offen offset:8
	;; [unrolled: 1-line block ×3, first 2 shown]
	v_accvgpr_read_b32 v31, a88
	buffer_load_dword v16, v31, s[0:3], 0 offen
	buffer_load_dword v17, v31, s[0:3], 0 offen offset:4
	buffer_load_dword v18, v31, s[0:3], 0 offen offset:8
	buffer_load_dword v12, v21, s[0:3], 0 offen
                                        ; kill: killed $vgpr20
                                        ; kill: killed $vgpr21
                                        ; kill: killed $vgpr19
	buffer_load_dword v19, v31, s[0:3], 0 offen offset:12
	v_accvgpr_read_b32 v33, a90
	buffer_load_dword v21, v33, s[0:3], 0 offen offset:4
	buffer_load_dword v22, v33, s[0:3], 0 offen offset:8
	;; [unrolled: 1-line block ×3, first 2 shown]
	v_accvgpr_read_b32 v32, a89
	buffer_load_dword v24, v32, s[0:3], 0 offen
	buffer_load_dword v25, v32, s[0:3], 0 offen offset:4
	buffer_load_dword v26, v32, s[0:3], 0 offen offset:8
	buffer_load_dword v20, v33, s[0:3], 0 offen
	buffer_load_dword v27, v32, s[0:3], 0 offen offset:12
	v_accvgpr_read_b32 v28, a87
	buffer_load_dword v29, v28, s[0:3], 0 offen offset:4
	buffer_load_dword v30, v28, s[0:3], 0 offen offset:8
                                        ; kill: killed $vgpr33
                                        ; kill: killed $vgpr31
                                        ; kill: killed $vgpr32
	buffer_load_dword v31, v28, s[0:3], 0 offen offset:12
	v_accvgpr_read_b32 v35, a86
	buffer_load_dword v32, v35, s[0:3], 0 offen
	buffer_load_dword v33, v35, s[0:3], 0 offen offset:4
	buffer_load_dword v34, v35, s[0:3], 0 offen offset:8
	s_nop 0
	buffer_load_dword v28, v28, s[0:3], 0 offen
	s_nop 0
	buffer_load_dword v35, v35, s[0:3], 0 offen offset:12
	v_accvgpr_read_b32 v36, a85
	buffer_load_dword v37, v36, s[0:3], 0 offen offset:4
	buffer_load_dword v38, v36, s[0:3], 0 offen offset:8
	buffer_load_dword v39, v36, s[0:3], 0 offen offset:12
	v_accvgpr_read_b32 v43, a84
	buffer_load_dword v40, v43, s[0:3], 0 offen
	buffer_load_dword v41, v43, s[0:3], 0 offen offset:4
	buffer_load_dword v42, v43, s[0:3], 0 offen offset:8
	s_nop 0
	buffer_load_dword v36, v36, s[0:3], 0 offen
	s_nop 0
	buffer_load_dword v43, v43, s[0:3], 0 offen offset:12
	v_accvgpr_read_b32 v44, a83
	buffer_load_dword v45, v44, s[0:3], 0 offen offset:4
	buffer_load_dword v46, v44, s[0:3], 0 offen offset:8
	;; [unrolled: 12-line block ×12, first 2 shown]
	buffer_load_dword v129, v126, s[0:3], 0 offen offset:12
	v_accvgpr_read_b32 v133, a62
	buffer_load_dword v130, v133, s[0:3], 0 offen
	buffer_load_dword v131, v133, s[0:3], 0 offen offset:4
	buffer_load_dword v132, v133, s[0:3], 0 offen offset:8
	s_nop 0
	buffer_load_dword v126, v126, s[0:3], 0 offen
	s_nop 0
	buffer_load_dword v133, v133, s[0:3], 0 offen offset:12
	s_nop 0
	buffer_load_dword v134, v181, s[0:3], 0 offen
	buffer_load_dword v135, v181, s[0:3], 0 offen offset:4
	buffer_load_dword v136, v181, s[0:3], 0 offen offset:8
	;; [unrolled: 1-line block ×3, first 2 shown]
	s_waitcnt vmcnt(62)
	global_store_dwordx4 v[120:121], v[0:3], off
	s_nop 0
	v_accvgpr_read_b32 v0, a2
	v_accvgpr_read_b32 v1, a3
	global_store_dwordx4 v[0:1], v[4:7], off
	v_accvgpr_read_b32 v0, a0
	v_accvgpr_read_b32 v1, a1
	global_store_dwordx4 v[0:1], v[8:11], off
	;; [unrolled: 3-line block ×16, first 2 shown]
	v_accvgpr_read_b32 v0, a34
	v_accvgpr_read_b32 v1, a35
	s_waitcnt vmcnt(62)
	global_store_dwordx4 v[0:1], v[68:71], off
	v_accvgpr_read_b32 v0, a36
	v_accvgpr_read_b32 v1, a37
	global_store_dwordx4 v[0:1], v[72:75], off
	v_accvgpr_read_b32 v0, a38
	v_accvgpr_read_b32 v1, a39
	;; [unrolled: 3-line block ×5, first 2 shown]
	s_waitcnt vmcnt(62)
	global_store_dwordx4 v[0:1], v[88:91], off
	v_accvgpr_read_b32 v0, a46
	v_accvgpr_read_b32 v1, a47
	s_waitcnt vmcnt(60)
	global_store_dwordx4 v[0:1], v[92:95], off
	v_accvgpr_read_b32 v0, a48
	v_accvgpr_read_b32 v1, a49
	s_waitcnt vmcnt(60)
	global_store_dwordx4 v[0:1], v[96:99], off
	v_accvgpr_read_b32 v0, a50
	v_accvgpr_read_b32 v1, a51
	s_waitcnt vmcnt(54)
	global_store_dwordx4 v[0:1], v[100:103], off
	v_accvgpr_read_b32 v0, a52
	v_accvgpr_read_b32 v1, a53
	s_waitcnt vmcnt(54)
	global_store_dwordx4 v[0:1], v[104:107], off
	v_accvgpr_read_b32 v0, a54
	v_accvgpr_read_b32 v1, a55
	s_waitcnt vmcnt(48)
	global_store_dwordx4 v[0:1], v[108:111], off
	v_accvgpr_read_b32 v0, a56
	v_accvgpr_read_b32 v1, a57
	s_waitcnt vmcnt(48)
	global_store_dwordx4 v[0:1], v[112:115], off
	v_accvgpr_read_b32 v0, a58
	v_accvgpr_read_b32 v1, a59
	s_waitcnt vmcnt(42)
	global_store_dwordx4 v[0:1], v[116:119], off
	v_accvgpr_read_b32 v0, a60
	v_accvgpr_read_b32 v1, a61
	s_waitcnt vmcnt(42)
	global_store_dwordx4 v[0:1], v[122:125], off
	s_waitcnt vmcnt(36)
	global_store_dwordx4 v[182:183], v[126:129], off
	;; [unrolled: 2-line block ×3, first 2 shown]
	v_accvgpr_read_b32 v0, a24
	v_accvgpr_read_b32 v1, a25
	s_waitcnt vmcnt(33)
	global_store_dwordx4 v[0:1], v[134:137], off
	s_endpgm
	.section	.rodata,"a",@progbits
	.p2align	6, 0x0
	.amdhsa_kernel _ZN9rocsolver6v33100L18getri_kernel_smallILi34E19rocblas_complex_numIdEPKPS3_EEvT1_iilPiilS8_bb
		.amdhsa_group_segment_fixed_size 1096
		.amdhsa_private_segment_fixed_size 576
		.amdhsa_kernarg_size 60
		.amdhsa_user_sgpr_count 8
		.amdhsa_user_sgpr_private_segment_buffer 1
		.amdhsa_user_sgpr_dispatch_ptr 0
		.amdhsa_user_sgpr_queue_ptr 0
		.amdhsa_user_sgpr_kernarg_segment_ptr 1
		.amdhsa_user_sgpr_dispatch_id 0
		.amdhsa_user_sgpr_flat_scratch_init 1
		.amdhsa_user_sgpr_kernarg_preload_length 0
		.amdhsa_user_sgpr_kernarg_preload_offset 0
		.amdhsa_user_sgpr_private_segment_size 0
		.amdhsa_uses_dynamic_stack 0
		.amdhsa_system_sgpr_private_segment_wavefront_offset 1
		.amdhsa_system_sgpr_workgroup_id_x 1
		.amdhsa_system_sgpr_workgroup_id_y 0
		.amdhsa_system_sgpr_workgroup_id_z 0
		.amdhsa_system_sgpr_workgroup_info 0
		.amdhsa_system_vgpr_workitem_id 0
		.amdhsa_next_free_vgpr 350
		.amdhsa_next_free_sgpr 22
		.amdhsa_accum_offset 256
		.amdhsa_reserve_vcc 1
		.amdhsa_reserve_flat_scratch 1
		.amdhsa_float_round_mode_32 0
		.amdhsa_float_round_mode_16_64 0
		.amdhsa_float_denorm_mode_32 3
		.amdhsa_float_denorm_mode_16_64 3
		.amdhsa_dx10_clamp 1
		.amdhsa_ieee_mode 1
		.amdhsa_fp16_overflow 0
		.amdhsa_tg_split 0
		.amdhsa_exception_fp_ieee_invalid_op 0
		.amdhsa_exception_fp_denorm_src 0
		.amdhsa_exception_fp_ieee_div_zero 0
		.amdhsa_exception_fp_ieee_overflow 0
		.amdhsa_exception_fp_ieee_underflow 0
		.amdhsa_exception_fp_ieee_inexact 0
		.amdhsa_exception_int_div_zero 0
	.end_amdhsa_kernel
	.section	.text._ZN9rocsolver6v33100L18getri_kernel_smallILi34E19rocblas_complex_numIdEPKPS3_EEvT1_iilPiilS8_bb,"axG",@progbits,_ZN9rocsolver6v33100L18getri_kernel_smallILi34E19rocblas_complex_numIdEPKPS3_EEvT1_iilPiilS8_bb,comdat
.Lfunc_end97:
	.size	_ZN9rocsolver6v33100L18getri_kernel_smallILi34E19rocblas_complex_numIdEPKPS3_EEvT1_iilPiilS8_bb, .Lfunc_end97-_ZN9rocsolver6v33100L18getri_kernel_smallILi34E19rocblas_complex_numIdEPKPS3_EEvT1_iilPiilS8_bb
                                        ; -- End function
	.section	.AMDGPU.csdata,"",@progbits
; Kernel info:
; codeLenInByte = 81192
; NumSgprs: 28
; NumVgprs: 256
; NumAgprs: 94
; TotalNumVgprs: 350
; ScratchSize: 576
; MemoryBound: 0
; FloatMode: 240
; IeeeMode: 1
; LDSByteSize: 1096 bytes/workgroup (compile time only)
; SGPRBlocks: 3
; VGPRBlocks: 43
; NumSGPRsForWavesPerEU: 28
; NumVGPRsForWavesPerEU: 350
; AccumOffset: 256
; Occupancy: 1
; WaveLimiterHint : 1
; COMPUTE_PGM_RSRC2:SCRATCH_EN: 1
; COMPUTE_PGM_RSRC2:USER_SGPR: 8
; COMPUTE_PGM_RSRC2:TRAP_HANDLER: 0
; COMPUTE_PGM_RSRC2:TGID_X_EN: 1
; COMPUTE_PGM_RSRC2:TGID_Y_EN: 0
; COMPUTE_PGM_RSRC2:TGID_Z_EN: 0
; COMPUTE_PGM_RSRC2:TIDIG_COMP_CNT: 0
; COMPUTE_PGM_RSRC3_GFX90A:ACCUM_OFFSET: 63
; COMPUTE_PGM_RSRC3_GFX90A:TG_SPLIT: 0
	.section	.text._ZN9rocsolver6v33100L18getri_kernel_smallILi35E19rocblas_complex_numIdEPKPS3_EEvT1_iilPiilS8_bb,"axG",@progbits,_ZN9rocsolver6v33100L18getri_kernel_smallILi35E19rocblas_complex_numIdEPKPS3_EEvT1_iilPiilS8_bb,comdat
	.globl	_ZN9rocsolver6v33100L18getri_kernel_smallILi35E19rocblas_complex_numIdEPKPS3_EEvT1_iilPiilS8_bb ; -- Begin function _ZN9rocsolver6v33100L18getri_kernel_smallILi35E19rocblas_complex_numIdEPKPS3_EEvT1_iilPiilS8_bb
	.p2align	8
	.type	_ZN9rocsolver6v33100L18getri_kernel_smallILi35E19rocblas_complex_numIdEPKPS3_EEvT1_iilPiilS8_bb,@function
_ZN9rocsolver6v33100L18getri_kernel_smallILi35E19rocblas_complex_numIdEPKPS3_EEvT1_iilPiilS8_bb: ; @_ZN9rocsolver6v33100L18getri_kernel_smallILi35E19rocblas_complex_numIdEPKPS3_EEvT1_iilPiilS8_bb
; %bb.0:
	s_add_u32 flat_scratch_lo, s6, s9
	s_addc_u32 flat_scratch_hi, s7, 0
	s_add_u32 s0, s0, s9
	s_addc_u32 s1, s1, 0
	v_cmp_gt_u32_e32 vcc, 35, v0
	s_and_saveexec_b64 s[6:7], vcc
	s_cbranch_execz .LBB98_154
; %bb.1:
	s_load_dword s18, s[4:5], 0x38
	s_load_dwordx2 s[6:7], s[4:5], 0x0
	s_load_dwordx4 s[12:15], s[4:5], 0x28
	s_waitcnt lgkmcnt(0)
	s_bitcmp1_b32 s18, 8
	s_cselect_b64 s[16:17], -1, 0
	s_ashr_i32 s9, s8, 31
	s_lshl_b64 s[10:11], s[8:9], 3
	s_add_u32 s6, s6, s10
	s_addc_u32 s7, s7, s11
	s_load_dwordx2 s[6:7], s[6:7], 0x0
	s_bfe_u32 s10, s18, 0x10008
	s_cmp_eq_u32 s10, 0
                                        ; implicit-def: $sgpr10_sgpr11
	s_cbranch_scc1 .LBB98_3
; %bb.2:
	s_load_dword s10, s[4:5], 0x20
	s_load_dwordx2 s[20:21], s[4:5], 0x18
	s_mul_i32 s11, s8, s13
	s_mul_hi_u32 s13, s8, s12
	s_add_i32 s13, s13, s11
	s_mul_i32 s19, s9, s12
	s_add_i32 s13, s13, s19
	s_mul_i32 s12, s8, s12
	s_waitcnt lgkmcnt(0)
	s_ashr_i32 s11, s10, 31
	s_lshl_b64 s[12:13], s[12:13], 2
	s_add_u32 s12, s20, s12
	s_addc_u32 s13, s21, s13
	s_lshl_b64 s[10:11], s[10:11], 2
	s_add_u32 s10, s12, s10
	s_addc_u32 s11, s13, s11
.LBB98_3:
	s_load_dwordx2 s[4:5], s[4:5], 0x8
	v_lshlrev_b32_e32 v1, 4, v0
	s_waitcnt lgkmcnt(0)
	s_ashr_i32 s13, s4, 31
	s_mov_b32 s12, s4
	s_lshl_b64 s[12:13], s[12:13], 4
	s_add_u32 s6, s6, s12
	s_addc_u32 s7, s7, s13
	global_load_dwordx4 v[6:9], v1, s[6:7]
	v_mov_b32_e32 v2, s7
	v_add_co_u32_e32 v118, vcc, s6, v1
	s_ashr_i32 s13, s5, 31
	s_mov_b32 s12, s5
	v_addc_co_u32_e32 v119, vcc, 0, v2, vcc
	s_lshl_b64 s[12:13], s[12:13], 4
	v_mov_b32_e32 v2, s13
	v_add_co_u32_e32 v10, vcc, s12, v118
	s_add_i32 s4, s5, s5
	v_addc_co_u32_e32 v11, vcc, v119, v2, vcc
	v_add_u32_e32 v2, s4, v0
	v_ashrrev_i32_e32 v3, 31, v2
	v_lshlrev_b64 v[4:5], 4, v[2:3]
	v_mov_b32_e32 v3, s7
	v_add_co_u32_e32 v4, vcc, s6, v4
	v_add_u32_e32 v2, s5, v2
	v_addc_co_u32_e32 v5, vcc, v3, v5, vcc
	v_accvgpr_write_b32 a0, v10
	v_accvgpr_write_b32 a2, v4
	v_ashrrev_i32_e32 v3, 31, v2
	v_accvgpr_write_b32 a1, v11
	global_load_dwordx4 v[10:13], v[10:11], off
	v_accvgpr_write_b32 a3, v5
	global_load_dwordx4 v[14:17], v[4:5], off
	v_lshlrev_b64 v[4:5], 4, v[2:3]
	v_mov_b32_e32 v3, s7
	v_add_co_u32_e32 v20, vcc, s6, v4
	v_add_u32_e32 v2, s5, v2
	v_addc_co_u32_e32 v21, vcc, v3, v5, vcc
	v_ashrrev_i32_e32 v3, 31, v2
	v_add_u32_e32 v4, s5, v2
	v_lshlrev_b64 v[2:3], 4, v[2:3]
	v_mov_b32_e32 v18, s7
	v_ashrrev_i32_e32 v5, 31, v4
	v_add_co_u32_e32 v22, vcc, s6, v2
	v_add_u32_e32 v26, s5, v4
	v_addc_co_u32_e32 v23, vcc, v18, v3, vcc
	v_lshlrev_b64 v[2:3], 4, v[4:5]
	v_mov_b32_e32 v28, s7
	v_ashrrev_i32_e32 v27, 31, v26
	v_add_co_u32_e32 v30, vcc, s6, v2
	v_add_u32_e32 v4, s5, v26
	v_addc_co_u32_e32 v31, vcc, v28, v3, vcc
	;; [unrolled: 6-line block ×3, first 2 shown]
	v_lshlrev_b64 v[2:3], 4, v[4:5]
	v_mov_b32_e32 v34, s7
	v_ashrrev_i32_e32 v43, 31, v42
	v_add_co_u32_e32 v36, vcc, s6, v2
	v_addc_co_u32_e32 v37, vcc, v34, v3, vcc
	v_lshlrev_b64 v[2:3], 4, v[42:43]
	v_mov_b32_e32 v4, s7
	v_add_co_u32_e32 v2, vcc, s6, v2
	v_addc_co_u32_e32 v3, vcc, v4, v3, vcc
	v_accvgpr_write_b32 a15, v3
	v_accvgpr_write_b32 a14, v2
	global_load_dwordx4 v[38:41], v[2:3], off
	v_add_u32_e32 v2, s5, v42
	v_ashrrev_i32_e32 v3, 31, v2
	v_lshlrev_b64 v[4:5], 4, v[2:3]
	v_mov_b32_e32 v3, s7
	v_add_co_u32_e32 v42, vcc, s6, v4
	v_add_u32_e32 v2, s5, v2
	v_addc_co_u32_e32 v43, vcc, v3, v5, vcc
	v_ashrrev_i32_e32 v3, 31, v2
	v_lshlrev_b64 v[4:5], 4, v[2:3]
	v_mov_b32_e32 v3, s7
	v_add_co_u32_e32 v4, vcc, s6, v4
	v_addc_co_u32_e32 v5, vcc, v3, v5, vcc
	v_add_u32_e32 v2, s5, v2
	v_accvgpr_write_b32 a4, v20
	v_accvgpr_write_b32 a19, v5
	v_ashrrev_i32_e32 v3, 31, v2
	v_accvgpr_write_b32 a5, v21
	global_load_dwordx4 v[18:21], v[20:21], off
	v_accvgpr_write_b32 a18, v4
	global_load_dwordx4 v[46:49], v[4:5], off
	v_lshlrev_b64 v[4:5], 4, v[2:3]
	v_mov_b32_e32 v3, s7
	v_add_co_u32_e32 v4, vcc, s6, v4
	v_addc_co_u32_e32 v5, vcc, v3, v5, vcc
	v_add_u32_e32 v2, s5, v2
	v_accvgpr_write_b32 a6, v22
	v_accvgpr_write_b32 a21, v5
	v_ashrrev_i32_e32 v3, 31, v2
	v_accvgpr_write_b32 a7, v23
	global_load_dwordx4 v[22:25], v[22:23], off
	v_accvgpr_write_b32 a20, v4
	global_load_dwordx4 v[50:53], v[4:5], off
	v_lshlrev_b64 v[4:5], 4, v[2:3]
	v_mov_b32_e32 v3, s7
	v_add_co_u32_e32 v4, vcc, s6, v4
	v_accvgpr_write_b32 a8, v30
	v_accvgpr_write_b32 a10, v32
	;; [unrolled: 1-line block ×4, first 2 shown]
	v_addc_co_u32_e32 v5, vcc, v3, v5, vcc
	v_add_u32_e32 v2, s5, v2
	v_accvgpr_write_b32 a9, v31
	global_load_dwordx4 v[26:29], v[30:31], off
	v_accvgpr_write_b32 a11, v33
	v_accvgpr_write_b32 a13, v37
	global_load_dwordx4 v[34:37], v[36:37], off
	v_accvgpr_write_b32 a17, v43
	global_load_dwordx4 v[30:33], v[32:33], off
	;; [unrolled: 2-line block ×3, first 2 shown]
	s_waitcnt vmcnt(11)
	buffer_store_dword v9, off, s[0:3], 0 offset:28
	buffer_store_dword v8, off, s[0:3], 0 offset:24
	buffer_store_dword v7, off, s[0:3], 0 offset:20
	v_ashrrev_i32_e32 v3, 31, v2
	v_accvgpr_write_b32 a22, v4
	global_load_dwordx4 v[54:57], v[4:5], off
	v_lshlrev_b64 v[4:5], 4, v[2:3]
	v_mov_b32_e32 v3, s7
	v_add_co_u32_e32 v58, vcc, s6, v4
	v_add_u32_e32 v8, s5, v2
	v_addc_co_u32_e32 v59, vcc, v3, v5, vcc
	v_ashrrev_i32_e32 v9, 31, v8
	v_accvgpr_write_b32 a24, v58
	v_lshlrev_b64 v[2:3], 4, v[8:9]
	v_accvgpr_write_b32 a25, v59
	global_load_dwordx4 v[58:61], v[58:59], off
	v_mov_b32_e32 v4, s7
	v_add_co_u32_e32 v2, vcc, s6, v2
	v_addc_co_u32_e32 v3, vcc, v4, v3, vcc
	v_accvgpr_write_b32 a27, v3
	v_accvgpr_write_b32 a26, v2
	global_load_dwordx4 v[2:5], v[2:3], off
	s_nop 0
	buffer_store_dword v6, off, s[0:3], 0 offset:16
	s_waitcnt vmcnt(17)
	buffer_store_dword v13, off, s[0:3], 0 offset:44
	buffer_store_dword v12, off, s[0:3], 0 offset:40
	buffer_store_dword v11, off, s[0:3], 0 offset:36
	buffer_store_dword v10, off, s[0:3], 0 offset:32
	s_waitcnt vmcnt(20)
	buffer_store_dword v17, off, s[0:3], 0 offset:60
	buffer_store_dword v16, off, s[0:3], 0 offset:56
	buffer_store_dword v15, off, s[0:3], 0 offset:52
	;; [unrolled: 5-line block ×6, first 2 shown]
	buffer_store_dword v30, off, s[0:3], 0 offset:112
	buffer_store_dword v37, off, s[0:3], 0 offset:140
	;; [unrolled: 1-line block ×9, first 2 shown]
	s_waitcnt vmcnt(39)
	buffer_store_dword v42, off, s[0:3], 0 offset:160
	buffer_store_dword v43, off, s[0:3], 0 offset:164
	;; [unrolled: 1-line block ×12, first 2 shown]
	v_add_u32_e32 v6, s5, v8
	v_ashrrev_i32_e32 v7, 31, v6
	v_lshlrev_b64 v[8:9], 4, v[6:7]
	v_add_u32_e32 v14, s5, v6
	v_mov_b32_e32 v7, s7
	v_add_co_u32_e32 v10, vcc, s6, v8
	v_ashrrev_i32_e32 v15, 31, v14
	v_addc_co_u32_e32 v11, vcc, v7, v9, vcc
	v_lshlrev_b64 v[6:7], 4, v[14:15]
	v_mov_b32_e32 v8, s7
	v_add_co_u32_e32 v12, vcc, s6, v6
	v_addc_co_u32_e32 v13, vcc, v8, v7, vcc
	global_load_dwordx4 v[6:9], v[10:11], off
	v_add_u32_e32 v14, s5, v14
	v_accvgpr_write_b32 a29, v11
	v_accvgpr_write_b32 a31, v13
	v_ashrrev_i32_e32 v15, 31, v14
	v_accvgpr_write_b32 a28, v10
	v_accvgpr_write_b32 a30, v12
	global_load_dwordx4 v[10:13], v[12:13], off
	v_lshlrev_b64 v[16:17], 4, v[14:15]
	v_add_u32_e32 v22, s5, v14
	v_mov_b32_e32 v15, s7
	v_add_co_u32_e32 v16, vcc, s6, v16
	v_ashrrev_i32_e32 v23, 31, v22
	v_addc_co_u32_e32 v17, vcc, v15, v17, vcc
	v_lshlrev_b64 v[14:15], 4, v[22:23]
	s_waitcnt vmcnt(49)
	buffer_store_dword v57, off, s[0:3], 0 offset:220
	buffer_store_dword v56, off, s[0:3], 0 offset:216
	;; [unrolled: 1-line block ×4, first 2 shown]
	s_waitcnt vmcnt(52)
	buffer_store_dword v61, off, s[0:3], 0 offset:236
	buffer_store_dword v60, off, s[0:3], 0 offset:232
	;; [unrolled: 1-line block ×4, first 2 shown]
	s_waitcnt vmcnt(55)
	buffer_store_dword v5, off, s[0:3], 0 offset:252
	v_mov_b32_e32 v5, s7
	v_add_co_u32_e32 v18, vcc, s6, v14
	v_accvgpr_write_b32 a33, v17
	v_addc_co_u32_e32 v19, vcc, v5, v15, vcc
	v_accvgpr_write_b32 a32, v16
	global_load_dwordx4 v[14:17], v[16:17], off
	v_add_u32_e32 v22, s5, v22
	v_accvgpr_write_b32 a35, v19
	v_ashrrev_i32_e32 v23, 31, v22
	v_accvgpr_write_b32 a34, v18
	global_load_dwordx4 v[18:21], v[18:19], off
	v_lshlrev_b64 v[24:25], 4, v[22:23]
	v_add_u32_e32 v30, s5, v22
	v_add_co_u32_e32 v24, vcc, s6, v24
	v_ashrrev_i32_e32 v31, 31, v30
	v_addc_co_u32_e32 v25, vcc, v5, v25, vcc
	v_lshlrev_b64 v[22:23], 4, v[30:31]
	v_add_co_u32_e32 v26, vcc, s6, v22
	v_accvgpr_write_b32 a37, v25
	v_addc_co_u32_e32 v27, vcc, v5, v23, vcc
	v_accvgpr_write_b32 a36, v24
	global_load_dwordx4 v[22:25], v[24:25], off
	v_add_u32_e32 v30, s5, v30
	v_accvgpr_write_b32 a39, v27
	v_ashrrev_i32_e32 v31, 31, v30
	v_accvgpr_write_b32 a38, v26
	global_load_dwordx4 v[26:29], v[26:27], off
	v_lshlrev_b64 v[32:33], 4, v[30:31]
	v_add_u32_e32 v38, s5, v30
	v_add_co_u32_e32 v32, vcc, s6, v32
	v_ashrrev_i32_e32 v39, 31, v38
	v_addc_co_u32_e32 v33, vcc, v5, v33, vcc
	v_lshlrev_b64 v[30:31], 4, v[38:39]
	;; [unrolled: 16-line block ×7, first 2 shown]
	v_add_co_u32_e32 v74, vcc, s6, v70
	v_accvgpr_write_b32 a60, v72
	v_addc_co_u32_e32 v75, vcc, v5, v71, vcc
	v_accvgpr_write_b32 a61, v73
	global_load_dwordx4 v[70:73], v[72:73], off
	v_accvgpr_write_b32 a62, v74
	v_add_u32_e32 v78, s5, v78
	v_accvgpr_write_b32 a63, v75
	global_load_dwordx4 v[74:77], v[74:75], off
	v_ashrrev_i32_e32 v79, 31, v78
	v_lshlrev_b64 v[80:81], 4, v[78:79]
	v_add_co_u32_e32 v184, vcc, s6, v80
	v_add_u32_e32 v78, s5, v78
	v_addc_co_u32_e32 v185, vcc, v5, v81, vcc
	v_ashrrev_i32_e32 v79, 31, v78
	v_lshlrev_b64 v[82:83], 4, v[78:79]
	global_load_dwordx4 v[78:81], v[184:185], off
	v_add_co_u32_e32 v186, vcc, s6, v82
	v_addc_co_u32_e32 v187, vcc, v5, v83, vcc
	global_load_dwordx4 v[82:85], v[186:187], off
	s_nop 0
	buffer_store_dword v4, off, s[0:3], 0 offset:248
	buffer_store_dword v3, off, s[0:3], 0 offset:244
	buffer_store_dword v2, off, s[0:3], 0 offset:240
	s_waitcnt vmcnt(31)
	buffer_store_dword v9, off, s[0:3], 0 offset:268
	buffer_store_dword v8, off, s[0:3], 0 offset:264
	buffer_store_dword v7, off, s[0:3], 0 offset:260
	buffer_store_dword v6, off, s[0:3], 0 offset:256
	s_waitcnt vmcnt(34)
	buffer_store_dword v13, off, s[0:3], 0 offset:284
	;; [unrolled: 5-line block ×15, first 2 shown]
	buffer_store_dword v64, off, s[0:3], 0 offset:488
	buffer_store_dword v63, off, s[0:3], 0 offset:484
	;; [unrolled: 1-line block ×11, first 2 shown]
	s_waitcnt vmcnt(62)
	buffer_store_dword v77, off, s[0:3], 0 offset:540
	buffer_store_dword v76, off, s[0:3], 0 offset:536
	;; [unrolled: 1-line block ×12, first 2 shown]
	v_mov_b32_e32 v2, 16
	v_add_u32_e32 v3, 16, v2
	v_accvgpr_write_b32 a96, v3
	v_add_u32_e32 v3, 32, v2
	v_accvgpr_write_b32 a95, v3
	;; [unrolled: 2-line block ×32, first 2 shown]
	v_add_u32_e32 v3, 0x210, v2
	v_add_u32_e32 v2, 0x220, v2
	v_accvgpr_write_b32 a65, v3
	v_accvgpr_write_b32 a64, v2
	s_bitcmp0_b32 s18, 0
	s_mov_b64 s[6:7], -1
	s_cbranch_scc1 .LBB98_152
; %bb.4:
	v_cmp_eq_u32_e64 s[4:5], 0, v0
	s_and_saveexec_b64 s[6:7], s[4:5]
	s_cbranch_execz .LBB98_6
; %bb.5:
	v_mov_b32_e32 v2, 0
	ds_write_b32 v2, v2 offset:1120
.LBB98_6:
	s_or_b64 exec, exec, s[6:7]
	v_mov_b32_e32 v2, 16
	v_lshl_add_u32 v12, v0, 4, v2
	s_waitcnt lgkmcnt(0)
	; wave barrier
	s_waitcnt lgkmcnt(0)
	buffer_load_dword v2, v12, s[0:3], 0 offen
	buffer_load_dword v3, v12, s[0:3], 0 offen offset:4
	buffer_load_dword v4, v12, s[0:3], 0 offen offset:8
	buffer_load_dword v5, v12, s[0:3], 0 offen offset:12
	s_waitcnt vmcnt(2)
	v_cmp_eq_f64_e32 vcc, 0, v[2:3]
	s_waitcnt vmcnt(0)
	v_cmp_eq_f64_e64 s[6:7], 0, v[4:5]
	s_and_b64 s[6:7], vcc, s[6:7]
	s_and_saveexec_b64 s[12:13], s[6:7]
	s_cbranch_execz .LBB98_10
; %bb.7:
	v_mov_b32_e32 v2, 0
	ds_read_b32 v4, v2 offset:1120
	v_add_u32_e32 v3, 1, v0
	s_waitcnt lgkmcnt(0)
	v_readfirstlane_b32 s6, v4
	s_cmp_eq_u32 s6, 0
	s_cselect_b64 s[18:19], -1, 0
	v_cmp_gt_i32_e32 vcc, s6, v3
	s_or_b64 s[18:19], s[18:19], vcc
	s_and_b64 exec, exec, s[18:19]
	s_cbranch_execz .LBB98_10
; %bb.8:
	s_mov_b64 s[18:19], 0
	v_mov_b32_e32 v4, s6
.LBB98_9:                               ; =>This Inner Loop Header: Depth=1
	ds_cmpst_rtn_b32 v4, v2, v4, v3 offset:1120
	s_waitcnt lgkmcnt(0)
	v_cmp_ne_u32_e32 vcc, 0, v4
	v_cmp_le_i32_e64 s[6:7], v4, v3
	s_and_b64 s[6:7], vcc, s[6:7]
	s_and_b64 s[6:7], exec, s[6:7]
	s_or_b64 s[18:19], s[6:7], s[18:19]
	s_andn2_b64 exec, exec, s[18:19]
	s_cbranch_execnz .LBB98_9
.LBB98_10:
	s_or_b64 exec, exec, s[12:13]
	v_mov_b32_e32 v3, 0
	s_waitcnt lgkmcnt(0)
	; wave barrier
	ds_read_b32 v2, v3 offset:1120
	s_and_saveexec_b64 s[6:7], s[4:5]
	s_cbranch_execz .LBB98_12
; %bb.11:
	s_lshl_b64 s[12:13], s[8:9], 2
	s_add_u32 s12, s14, s12
	s_addc_u32 s13, s15, s13
	s_waitcnt lgkmcnt(0)
	global_store_dword v3, v2, s[12:13]
.LBB98_12:
	s_or_b64 exec, exec, s[6:7]
	s_waitcnt lgkmcnt(0)
	v_cmp_ne_u32_e32 vcc, 0, v2
	s_mov_b64 s[6:7], 0
	s_cbranch_vccnz .LBB98_152
; %bb.13:
	buffer_load_dword v7, v12, s[0:3], 0 offen offset:4
	buffer_load_dword v6, v12, s[0:3], 0 offen
	buffer_load_dword v9, v12, s[0:3], 0 offen offset:12
	buffer_load_dword v8, v12, s[0:3], 0 offen offset:8
                                        ; implicit-def: $vgpr10_vgpr11
	s_waitcnt vmcnt(3)
	v_xor_b32_e32 v3, 0x80000000, v7
	s_waitcnt vmcnt(2)
	v_cmp_gt_f64_e32 vcc, 0, v[6:7]
	s_waitcnt vmcnt(1)
	v_xor_b32_e32 v4, 0x80000000, v9
	v_cndmask_b32_e32 v3, v7, v3, vcc
	s_waitcnt vmcnt(0)
	v_cmp_gt_f64_e32 vcc, 0, v[8:9]
	v_mov_b32_e32 v2, v6
	v_cndmask_b32_e32 v5, v9, v4, vcc
	v_mov_b32_e32 v4, v8
	v_cmp_ngt_f64_e32 vcc, v[2:3], v[4:5]
                                        ; implicit-def: $vgpr4_vgpr5
	s_and_saveexec_b64 s[6:7], vcc
	s_xor_b64 s[6:7], exec, s[6:7]
	s_cbranch_execz .LBB98_15
; %bb.14:
	v_div_scale_f64 v[2:3], s[12:13], v[8:9], v[8:9], v[6:7]
	v_rcp_f64_e32 v[4:5], v[2:3]
	v_div_scale_f64 v[10:11], vcc, v[6:7], v[8:9], v[6:7]
	v_fma_f64 v[14:15], -v[2:3], v[4:5], 1.0
	v_fmac_f64_e32 v[4:5], v[4:5], v[14:15]
	v_fma_f64 v[14:15], -v[2:3], v[4:5], 1.0
	v_fmac_f64_e32 v[4:5], v[4:5], v[14:15]
	v_mul_f64 v[14:15], v[10:11], v[4:5]
	v_fma_f64 v[2:3], -v[2:3], v[14:15], v[10:11]
	v_div_fmas_f64 v[2:3], v[2:3], v[4:5], v[14:15]
	v_div_fixup_f64 v[2:3], v[2:3], v[8:9], v[6:7]
	v_fmac_f64_e32 v[8:9], v[6:7], v[2:3]
	v_div_scale_f64 v[4:5], s[12:13], v[8:9], v[8:9], 1.0
	v_rcp_f64_e32 v[6:7], v[4:5]
	v_fma_f64 v[10:11], -v[4:5], v[6:7], 1.0
	v_fmac_f64_e32 v[6:7], v[6:7], v[10:11]
	v_fma_f64 v[10:11], -v[4:5], v[6:7], 1.0
	v_fmac_f64_e32 v[6:7], v[6:7], v[10:11]
	v_div_scale_f64 v[10:11], vcc, 1.0, v[8:9], 1.0
	v_mul_f64 v[14:15], v[10:11], v[6:7]
	v_fma_f64 v[4:5], -v[4:5], v[14:15], v[10:11]
	s_nop 1
	v_div_fmas_f64 v[4:5], v[4:5], v[6:7], v[14:15]
	v_div_fixup_f64 v[4:5], v[4:5], v[8:9], 1.0
	v_mul_f64 v[10:11], v[2:3], v[4:5]
	v_xor_b32_e32 v5, 0x80000000, v5
	v_xor_b32_e32 v3, 0x80000000, v11
	v_mov_b32_e32 v2, v10
                                        ; implicit-def: $vgpr6_vgpr7
                                        ; implicit-def: $vgpr8_vgpr9
.LBB98_15:
	s_andn2_saveexec_b64 s[6:7], s[6:7]
	s_cbranch_execz .LBB98_17
; %bb.16:
	v_div_scale_f64 v[2:3], s[12:13], v[6:7], v[6:7], v[8:9]
	v_rcp_f64_e32 v[4:5], v[2:3]
	v_div_scale_f64 v[10:11], vcc, v[8:9], v[6:7], v[8:9]
	v_fma_f64 v[14:15], -v[2:3], v[4:5], 1.0
	v_fmac_f64_e32 v[4:5], v[4:5], v[14:15]
	v_fma_f64 v[14:15], -v[2:3], v[4:5], 1.0
	v_fmac_f64_e32 v[4:5], v[4:5], v[14:15]
	v_mul_f64 v[14:15], v[10:11], v[4:5]
	v_fma_f64 v[2:3], -v[2:3], v[14:15], v[10:11]
	v_div_fmas_f64 v[2:3], v[2:3], v[4:5], v[14:15]
	v_div_fixup_f64 v[4:5], v[2:3], v[6:7], v[8:9]
	v_fmac_f64_e32 v[6:7], v[8:9], v[4:5]
	v_div_scale_f64 v[2:3], s[12:13], v[6:7], v[6:7], 1.0
	v_rcp_f64_e32 v[8:9], v[2:3]
	v_fma_f64 v[10:11], -v[2:3], v[8:9], 1.0
	v_fmac_f64_e32 v[8:9], v[8:9], v[10:11]
	v_fma_f64 v[10:11], -v[2:3], v[8:9], 1.0
	v_fmac_f64_e32 v[8:9], v[8:9], v[10:11]
	v_div_scale_f64 v[10:11], vcc, 1.0, v[6:7], 1.0
	v_mul_f64 v[14:15], v[10:11], v[8:9]
	v_fma_f64 v[2:3], -v[2:3], v[14:15], v[10:11]
	s_nop 1
	v_div_fmas_f64 v[2:3], v[2:3], v[8:9], v[14:15]
	v_div_fixup_f64 v[10:11], v[2:3], v[6:7], 1.0
	v_xor_b32_e32 v3, 0x80000000, v11
	v_mov_b32_e32 v2, v10
	v_mul_f64 v[4:5], v[4:5], -v[10:11]
.LBB98_17:
	s_or_b64 exec, exec, s[6:7]
	buffer_store_dword v11, v12, s[0:3], 0 offen offset:4
	buffer_store_dword v10, v12, s[0:3], 0 offen
	buffer_store_dword v5, v12, s[0:3], 0 offen offset:12
	buffer_store_dword v4, v12, s[0:3], 0 offen offset:8
	v_accvgpr_read_b32 v6, a96
	buffer_load_dword v11, v6, s[0:3], 0 offen offset:12
	buffer_load_dword v10, v6, s[0:3], 0 offen offset:8
	;; [unrolled: 1-line block ×3, first 2 shown]
	buffer_load_dword v8, v6, s[0:3], 0 offen
	v_xor_b32_e32 v5, 0x80000000, v5
	v_add_u32_e32 v6, 0x230, v1
	ds_write_b128 v1, v[2:5]
	s_waitcnt vmcnt(0)
	ds_write_b128 v1, v[8:11] offset:560
	s_waitcnt lgkmcnt(0)
	; wave barrier
	s_waitcnt lgkmcnt(0)
	s_and_saveexec_b64 s[6:7], s[4:5]
	s_cbranch_execz .LBB98_19
; %bb.18:
	buffer_load_dword v14, v12, s[0:3], 0 offen offset:8
	buffer_load_dword v15, v12, s[0:3], 0 offen offset:12
	buffer_load_dword v16, v12, s[0:3], 0 offen
	buffer_load_dword v17, v12, s[0:3], 0 offen offset:4
	ds_read_b128 v[2:5], v6
	v_mov_b32_e32 v7, 0
	ds_read_b128 v[8:11], v7 offset:16
	s_waitcnt vmcnt(2) lgkmcnt(1)
	v_mul_f64 v[18:19], v[4:5], v[14:15]
	v_mul_f64 v[14:15], v[2:3], v[14:15]
	s_waitcnt vmcnt(0)
	v_fmac_f64_e32 v[14:15], v[4:5], v[16:17]
	v_fma_f64 v[2:3], v[2:3], v[16:17], -v[18:19]
	v_add_f64 v[4:5], v[14:15], 0
	v_add_f64 v[2:3], v[2:3], 0
	s_waitcnt lgkmcnt(0)
	v_mul_f64 v[14:15], v[4:5], v[10:11]
	v_mul_f64 v[10:11], v[2:3], v[10:11]
	v_fma_f64 v[2:3], v[2:3], v[8:9], -v[14:15]
	v_fmac_f64_e32 v[10:11], v[4:5], v[8:9]
	buffer_store_dword v2, off, s[0:3], 0 offset:32
	buffer_store_dword v3, off, s[0:3], 0 offset:36
	;; [unrolled: 1-line block ×4, first 2 shown]
.LBB98_19:
	s_or_b64 exec, exec, s[6:7]
	v_accvgpr_read_b32 v5, a95
	s_waitcnt lgkmcnt(0)
	; wave barrier
	buffer_load_dword v2, v5, s[0:3], 0 offen
	buffer_load_dword v3, v5, s[0:3], 0 offen offset:4
	buffer_load_dword v4, v5, s[0:3], 0 offen offset:8
	s_nop 0
	buffer_load_dword v5, v5, s[0:3], 0 offen offset:12
	v_cmp_gt_u32_e32 vcc, 2, v0
	s_waitcnt vmcnt(0)
	ds_write_b128 v6, v[2:5]
	s_waitcnt lgkmcnt(0)
	; wave barrier
	s_waitcnt lgkmcnt(0)
	s_and_saveexec_b64 s[6:7], vcc
	s_cbranch_execz .LBB98_23
; %bb.20:
	buffer_load_dword v8, v12, s[0:3], 0 offen offset:8
	buffer_load_dword v9, v12, s[0:3], 0 offen offset:12
	buffer_load_dword v10, v12, s[0:3], 0 offen
	buffer_load_dword v11, v12, s[0:3], 0 offen offset:4
	ds_read_b128 v[2:5], v6
	s_waitcnt vmcnt(2) lgkmcnt(0)
	v_mul_f64 v[12:13], v[4:5], v[8:9]
	v_mul_f64 v[8:9], v[2:3], v[8:9]
	s_waitcnt vmcnt(0)
	v_fma_f64 v[2:3], v[2:3], v[10:11], -v[12:13]
	v_fmac_f64_e32 v[8:9], v[4:5], v[10:11]
	v_add_f64 v[4:5], v[2:3], 0
	v_add_f64 v[2:3], v[8:9], 0
	s_and_saveexec_b64 s[12:13], s[4:5]
	s_cbranch_execz .LBB98_22
; %bb.21:
	buffer_load_dword v12, off, s[0:3], 0 offset:40
	buffer_load_dword v13, off, s[0:3], 0 offset:44
	;; [unrolled: 1-line block ×4, first 2 shown]
	v_mov_b32_e32 v7, 0
	ds_read_b128 v[8:11], v7 offset:576
	s_waitcnt vmcnt(2) lgkmcnt(0)
	v_mul_f64 v[16:17], v[8:9], v[12:13]
	v_mul_f64 v[12:13], v[10:11], v[12:13]
	s_waitcnt vmcnt(0)
	v_fmac_f64_e32 v[16:17], v[10:11], v[14:15]
	v_fma_f64 v[8:9], v[8:9], v[14:15], -v[12:13]
	v_add_f64 v[2:3], v[2:3], v[16:17]
	v_add_f64 v[4:5], v[4:5], v[8:9]
.LBB98_22:
	s_or_b64 exec, exec, s[12:13]
	v_mov_b32_e32 v7, 0
	ds_read_b128 v[8:11], v7 offset:32
	s_waitcnt lgkmcnt(0)
	v_mul_f64 v[12:13], v[2:3], v[10:11]
	v_mul_f64 v[10:11], v[4:5], v[10:11]
	v_fma_f64 v[4:5], v[4:5], v[8:9], -v[12:13]
	v_fmac_f64_e32 v[10:11], v[2:3], v[8:9]
	buffer_store_dword v5, off, s[0:3], 0 offset:52
	buffer_store_dword v4, off, s[0:3], 0 offset:48
	;; [unrolled: 1-line block ×4, first 2 shown]
.LBB98_23:
	s_or_b64 exec, exec, s[6:7]
	v_accvgpr_read_b32 v5, a97
	s_waitcnt lgkmcnt(0)
	; wave barrier
	buffer_load_dword v2, v5, s[0:3], 0 offen
	buffer_load_dword v3, v5, s[0:3], 0 offen offset:4
	buffer_load_dword v4, v5, s[0:3], 0 offen offset:8
	s_nop 0
	buffer_load_dword v5, v5, s[0:3], 0 offen offset:12
	v_cmp_gt_u32_e32 vcc, 3, v0
	v_add_u32_e32 v7, -1, v0
	s_waitcnt vmcnt(0)
	ds_write_b128 v6, v[2:5]
	s_waitcnt lgkmcnt(0)
	; wave barrier
	s_waitcnt lgkmcnt(0)
	s_and_saveexec_b64 s[4:5], vcc
	s_cbranch_execz .LBB98_27
; %bb.24:
	v_pk_mov_b32 v[2:3], 0, 0
	v_add_u32_e32 v8, -1, v0
	v_add_u32_e32 v9, 0x230, v1
	v_add_u32_e32 v10, 16, v1
	s_mov_b64 s[6:7], 0
	v_pk_mov_b32 v[4:5], v[2:3], v[2:3] op_sel:[0,1]
.LBB98_25:                              ; =>This Inner Loop Header: Depth=1
	buffer_load_dword v16, v10, s[0:3], 0 offen offset:8
	buffer_load_dword v17, v10, s[0:3], 0 offen offset:12
	buffer_load_dword v18, v10, s[0:3], 0 offen
	buffer_load_dword v19, v10, s[0:3], 0 offen offset:4
	ds_read_b128 v[12:15], v9
	v_add_u32_e32 v8, 1, v8
	v_cmp_lt_u32_e32 vcc, 1, v8
	v_add_u32_e32 v9, 16, v9
	v_add_u32_e32 v10, 16, v10
	s_or_b64 s[6:7], vcc, s[6:7]
	s_waitcnt vmcnt(2) lgkmcnt(0)
	v_mul_f64 v[20:21], v[14:15], v[16:17]
	v_mul_f64 v[16:17], v[12:13], v[16:17]
	s_waitcnt vmcnt(0)
	v_fma_f64 v[12:13], v[12:13], v[18:19], -v[20:21]
	v_fmac_f64_e32 v[16:17], v[14:15], v[18:19]
	v_add_f64 v[4:5], v[4:5], v[12:13]
	v_add_f64 v[2:3], v[2:3], v[16:17]
	s_andn2_b64 exec, exec, s[6:7]
	s_cbranch_execnz .LBB98_25
; %bb.26:
	s_or_b64 exec, exec, s[6:7]
	v_mov_b32_e32 v8, 0
	ds_read_b128 v[8:11], v8 offset:48
	s_waitcnt lgkmcnt(0)
	v_mul_f64 v[12:13], v[2:3], v[10:11]
	v_mul_f64 v[10:11], v[4:5], v[10:11]
	v_fma_f64 v[4:5], v[4:5], v[8:9], -v[12:13]
	v_fmac_f64_e32 v[10:11], v[2:3], v[8:9]
	buffer_store_dword v5, off, s[0:3], 0 offset:68
	buffer_store_dword v4, off, s[0:3], 0 offset:64
	buffer_store_dword v11, off, s[0:3], 0 offset:76
	buffer_store_dword v10, off, s[0:3], 0 offset:72
.LBB98_27:
	s_or_b64 exec, exec, s[4:5]
	v_accvgpr_read_b32 v5, a93
	s_waitcnt lgkmcnt(0)
	; wave barrier
	buffer_load_dword v2, v5, s[0:3], 0 offen
	buffer_load_dword v3, v5, s[0:3], 0 offen offset:4
	buffer_load_dword v4, v5, s[0:3], 0 offen offset:8
	s_nop 0
	buffer_load_dword v5, v5, s[0:3], 0 offen offset:12
	v_cmp_gt_u32_e32 vcc, 4, v0
	s_waitcnt vmcnt(0)
	ds_write_b128 v6, v[2:5]
	s_waitcnt lgkmcnt(0)
	; wave barrier
	s_waitcnt lgkmcnt(0)
	s_and_saveexec_b64 s[4:5], vcc
	s_cbranch_execz .LBB98_31
; %bb.28:
	v_pk_mov_b32 v[2:3], 0, 0
	v_add_u32_e32 v8, -1, v0
	v_add_u32_e32 v9, 0x230, v1
	v_add_u32_e32 v10, 16, v1
	s_mov_b64 s[6:7], 0
	v_pk_mov_b32 v[4:5], v[2:3], v[2:3] op_sel:[0,1]
.LBB98_29:                              ; =>This Inner Loop Header: Depth=1
	buffer_load_dword v16, v10, s[0:3], 0 offen offset:8
	buffer_load_dword v17, v10, s[0:3], 0 offen offset:12
	buffer_load_dword v18, v10, s[0:3], 0 offen
	buffer_load_dword v19, v10, s[0:3], 0 offen offset:4
	ds_read_b128 v[12:15], v9
	v_add_u32_e32 v8, 1, v8
	v_cmp_lt_u32_e32 vcc, 2, v8
	v_add_u32_e32 v9, 16, v9
	v_add_u32_e32 v10, 16, v10
	s_or_b64 s[6:7], vcc, s[6:7]
	s_waitcnt vmcnt(2) lgkmcnt(0)
	v_mul_f64 v[20:21], v[14:15], v[16:17]
	v_mul_f64 v[16:17], v[12:13], v[16:17]
	s_waitcnt vmcnt(0)
	v_fma_f64 v[12:13], v[12:13], v[18:19], -v[20:21]
	v_fmac_f64_e32 v[16:17], v[14:15], v[18:19]
	v_add_f64 v[4:5], v[4:5], v[12:13]
	v_add_f64 v[2:3], v[2:3], v[16:17]
	s_andn2_b64 exec, exec, s[6:7]
	s_cbranch_execnz .LBB98_29
; %bb.30:
	s_or_b64 exec, exec, s[6:7]
	v_mov_b32_e32 v8, 0
	ds_read_b128 v[8:11], v8 offset:64
	s_waitcnt lgkmcnt(0)
	v_mul_f64 v[12:13], v[2:3], v[10:11]
	v_mul_f64 v[10:11], v[4:5], v[10:11]
	v_fma_f64 v[4:5], v[4:5], v[8:9], -v[12:13]
	v_fmac_f64_e32 v[10:11], v[2:3], v[8:9]
	buffer_store_dword v5, off, s[0:3], 0 offset:84
	buffer_store_dword v4, off, s[0:3], 0 offset:80
	buffer_store_dword v11, off, s[0:3], 0 offset:92
	buffer_store_dword v10, off, s[0:3], 0 offset:88
.LBB98_31:
	s_or_b64 exec, exec, s[4:5]
	v_accvgpr_read_b32 v5, a94
	s_waitcnt lgkmcnt(0)
	; wave barrier
	buffer_load_dword v2, v5, s[0:3], 0 offen
	buffer_load_dword v3, v5, s[0:3], 0 offen offset:4
	buffer_load_dword v4, v5, s[0:3], 0 offen offset:8
	s_nop 0
	buffer_load_dword v5, v5, s[0:3], 0 offen offset:12
	v_cmp_gt_u32_e32 vcc, 5, v0
	;; [unrolled: 59-line block ×19, first 2 shown]
	s_waitcnt vmcnt(0)
	ds_write_b128 v6, v[2:5]
	s_waitcnt lgkmcnt(0)
	; wave barrier
	s_waitcnt lgkmcnt(0)
	s_and_saveexec_b64 s[4:5], vcc
	s_cbranch_execz .LBB98_103
; %bb.100:
	v_pk_mov_b32 v[2:3], 0, 0
	v_add_u32_e32 v8, -1, v0
	v_add_u32_e32 v9, 0x230, v1
	v_add_u32_e32 v10, 16, v1
	s_mov_b64 s[6:7], 0
	v_pk_mov_b32 v[4:5], v[2:3], v[2:3] op_sel:[0,1]
.LBB98_101:                             ; =>This Inner Loop Header: Depth=1
	buffer_load_dword v16, v10, s[0:3], 0 offen offset:8
	buffer_load_dword v17, v10, s[0:3], 0 offen offset:12
	buffer_load_dword v18, v10, s[0:3], 0 offen
	buffer_load_dword v19, v10, s[0:3], 0 offen offset:4
	ds_read_b128 v[12:15], v9
	v_add_u32_e32 v8, 1, v8
	v_cmp_lt_u32_e32 vcc, 20, v8
	v_add_u32_e32 v9, 16, v9
	v_add_u32_e32 v10, 16, v10
	s_or_b64 s[6:7], vcc, s[6:7]
	s_waitcnt vmcnt(2) lgkmcnt(0)
	v_mul_f64 v[20:21], v[14:15], v[16:17]
	v_mul_f64 v[16:17], v[12:13], v[16:17]
	s_waitcnt vmcnt(0)
	v_fma_f64 v[12:13], v[12:13], v[18:19], -v[20:21]
	v_fmac_f64_e32 v[16:17], v[14:15], v[18:19]
	v_add_f64 v[4:5], v[4:5], v[12:13]
	v_add_f64 v[2:3], v[2:3], v[16:17]
	s_andn2_b64 exec, exec, s[6:7]
	s_cbranch_execnz .LBB98_101
; %bb.102:
	s_or_b64 exec, exec, s[6:7]
	v_mov_b32_e32 v8, 0
	ds_read_b128 v[8:11], v8 offset:352
	s_waitcnt lgkmcnt(0)
	v_mul_f64 v[12:13], v[2:3], v[10:11]
	v_mul_f64 v[10:11], v[4:5], v[10:11]
	v_fma_f64 v[4:5], v[4:5], v[8:9], -v[12:13]
	v_fmac_f64_e32 v[10:11], v[2:3], v[8:9]
	buffer_store_dword v5, off, s[0:3], 0 offset:372
	buffer_store_dword v4, off, s[0:3], 0 offset:368
	buffer_store_dword v11, off, s[0:3], 0 offset:380
	buffer_store_dword v10, off, s[0:3], 0 offset:376
.LBB98_103:
	s_or_b64 exec, exec, s[4:5]
	v_accvgpr_read_b32 v5, a75
	s_waitcnt lgkmcnt(0)
	; wave barrier
	buffer_load_dword v2, v5, s[0:3], 0 offen
	buffer_load_dword v3, v5, s[0:3], 0 offen offset:4
	buffer_load_dword v4, v5, s[0:3], 0 offen offset:8
	s_nop 0
	buffer_load_dword v5, v5, s[0:3], 0 offen offset:12
	v_cmp_gt_u32_e32 vcc, 23, v0
	s_waitcnt vmcnt(0)
	ds_write_b128 v6, v[2:5]
	s_waitcnt lgkmcnt(0)
	; wave barrier
	s_waitcnt lgkmcnt(0)
	s_and_saveexec_b64 s[4:5], vcc
	s_cbranch_execz .LBB98_107
; %bb.104:
	v_pk_mov_b32 v[2:3], 0, 0
	v_add_u32_e32 v8, -1, v0
	v_add_u32_e32 v9, 0x230, v1
	v_add_u32_e32 v10, 16, v1
	s_mov_b64 s[6:7], 0
	v_pk_mov_b32 v[4:5], v[2:3], v[2:3] op_sel:[0,1]
.LBB98_105:                             ; =>This Inner Loop Header: Depth=1
	buffer_load_dword v16, v10, s[0:3], 0 offen offset:8
	buffer_load_dword v17, v10, s[0:3], 0 offen offset:12
	buffer_load_dword v18, v10, s[0:3], 0 offen
	buffer_load_dword v19, v10, s[0:3], 0 offen offset:4
	ds_read_b128 v[12:15], v9
	v_add_u32_e32 v8, 1, v8
	v_cmp_lt_u32_e32 vcc, 21, v8
	v_add_u32_e32 v9, 16, v9
	v_add_u32_e32 v10, 16, v10
	s_or_b64 s[6:7], vcc, s[6:7]
	s_waitcnt vmcnt(2) lgkmcnt(0)
	v_mul_f64 v[20:21], v[14:15], v[16:17]
	v_mul_f64 v[16:17], v[12:13], v[16:17]
	s_waitcnt vmcnt(0)
	v_fma_f64 v[12:13], v[12:13], v[18:19], -v[20:21]
	v_fmac_f64_e32 v[16:17], v[14:15], v[18:19]
	v_add_f64 v[4:5], v[4:5], v[12:13]
	v_add_f64 v[2:3], v[2:3], v[16:17]
	s_andn2_b64 exec, exec, s[6:7]
	s_cbranch_execnz .LBB98_105
; %bb.106:
	s_or_b64 exec, exec, s[6:7]
	v_mov_b32_e32 v8, 0
	ds_read_b128 v[8:11], v8 offset:368
	s_waitcnt lgkmcnt(0)
	v_mul_f64 v[12:13], v[2:3], v[10:11]
	v_mul_f64 v[10:11], v[4:5], v[10:11]
	v_fma_f64 v[4:5], v[4:5], v[8:9], -v[12:13]
	v_fmac_f64_e32 v[10:11], v[2:3], v[8:9]
	buffer_store_dword v5, off, s[0:3], 0 offset:388
	buffer_store_dword v4, off, s[0:3], 0 offset:384
	buffer_store_dword v11, off, s[0:3], 0 offset:396
	buffer_store_dword v10, off, s[0:3], 0 offset:392
.LBB98_107:
	s_or_b64 exec, exec, s[4:5]
	v_accvgpr_read_b32 v5, a74
	s_waitcnt lgkmcnt(0)
	; wave barrier
	buffer_load_dword v2, v5, s[0:3], 0 offen
	buffer_load_dword v3, v5, s[0:3], 0 offen offset:4
	buffer_load_dword v4, v5, s[0:3], 0 offen offset:8
	s_nop 0
	buffer_load_dword v5, v5, s[0:3], 0 offen offset:12
	v_cmp_gt_u32_e32 vcc, 24, v0
	;; [unrolled: 59-line block ×11, first 2 shown]
	s_waitcnt vmcnt(0)
	ds_write_b128 v6, v[2:5]
	s_waitcnt lgkmcnt(0)
	; wave barrier
	s_waitcnt lgkmcnt(0)
	s_and_saveexec_b64 s[4:5], vcc
	s_cbranch_execz .LBB98_147
; %bb.144:
	v_pk_mov_b32 v[2:3], 0, 0
	v_add_u32_e32 v8, -1, v0
	v_add_u32_e32 v9, 0x230, v1
	v_add_u32_e32 v10, 16, v1
	s_mov_b64 s[6:7], 0
	v_pk_mov_b32 v[4:5], v[2:3], v[2:3] op_sel:[0,1]
.LBB98_145:                             ; =>This Inner Loop Header: Depth=1
	buffer_load_dword v16, v10, s[0:3], 0 offen offset:8
	buffer_load_dword v17, v10, s[0:3], 0 offen offset:12
	buffer_load_dword v18, v10, s[0:3], 0 offen
	buffer_load_dword v19, v10, s[0:3], 0 offen offset:4
	ds_read_b128 v[12:15], v9
	v_add_u32_e32 v8, 1, v8
	v_cmp_lt_u32_e32 vcc, 31, v8
	v_add_u32_e32 v9, 16, v9
	v_add_u32_e32 v10, 16, v10
	s_or_b64 s[6:7], vcc, s[6:7]
	s_waitcnt vmcnt(2) lgkmcnt(0)
	v_mul_f64 v[20:21], v[14:15], v[16:17]
	v_mul_f64 v[16:17], v[12:13], v[16:17]
	s_waitcnt vmcnt(0)
	v_fma_f64 v[12:13], v[12:13], v[18:19], -v[20:21]
	v_fmac_f64_e32 v[16:17], v[14:15], v[18:19]
	v_add_f64 v[4:5], v[4:5], v[12:13]
	v_add_f64 v[2:3], v[2:3], v[16:17]
	s_andn2_b64 exec, exec, s[6:7]
	s_cbranch_execnz .LBB98_145
; %bb.146:
	s_or_b64 exec, exec, s[6:7]
	v_mov_b32_e32 v8, 0
	ds_read_b128 v[8:11], v8 offset:528
	s_waitcnt lgkmcnt(0)
	v_mul_f64 v[12:13], v[2:3], v[10:11]
	v_mul_f64 v[10:11], v[4:5], v[10:11]
	v_fma_f64 v[4:5], v[4:5], v[8:9], -v[12:13]
	v_fmac_f64_e32 v[10:11], v[2:3], v[8:9]
	buffer_store_dword v5, off, s[0:3], 0 offset:548
	buffer_store_dword v4, off, s[0:3], 0 offset:544
	;; [unrolled: 1-line block ×4, first 2 shown]
.LBB98_147:
	s_or_b64 exec, exec, s[4:5]
	v_accvgpr_read_b32 v5, a64
	s_waitcnt lgkmcnt(0)
	; wave barrier
	buffer_load_dword v2, v5, s[0:3], 0 offen
	buffer_load_dword v3, v5, s[0:3], 0 offen offset:4
	buffer_load_dword v4, v5, s[0:3], 0 offen offset:8
	s_nop 0
	buffer_load_dword v5, v5, s[0:3], 0 offen offset:12
	v_cmp_ne_u32_e32 vcc, 34, v0
	s_waitcnt vmcnt(0)
	ds_write_b128 v6, v[2:5]
	s_waitcnt lgkmcnt(0)
	; wave barrier
	s_waitcnt lgkmcnt(0)
	s_and_saveexec_b64 s[4:5], vcc
	s_cbranch_execz .LBB98_151
; %bb.148:
	v_pk_mov_b32 v[2:3], 0, 0
	v_add_u32_e32 v6, 0x230, v1
	v_add_u32_e32 v1, 16, v1
	s_mov_b64 s[6:7], 0
	v_pk_mov_b32 v[4:5], v[2:3], v[2:3] op_sel:[0,1]
.LBB98_149:                             ; =>This Inner Loop Header: Depth=1
	buffer_load_dword v12, v1, s[0:3], 0 offen offset:8
	buffer_load_dword v13, v1, s[0:3], 0 offen offset:12
	buffer_load_dword v14, v1, s[0:3], 0 offen
	buffer_load_dword v15, v1, s[0:3], 0 offen offset:4
	ds_read_b128 v[8:11], v6
	v_add_u32_e32 v7, 1, v7
	v_cmp_lt_u32_e32 vcc, 32, v7
	v_add_u32_e32 v6, 16, v6
	v_add_u32_e32 v1, 16, v1
	s_or_b64 s[6:7], vcc, s[6:7]
	s_waitcnt vmcnt(2) lgkmcnt(0)
	v_mul_f64 v[16:17], v[10:11], v[12:13]
	v_mul_f64 v[12:13], v[8:9], v[12:13]
	s_waitcnt vmcnt(0)
	v_fma_f64 v[8:9], v[8:9], v[14:15], -v[16:17]
	v_fmac_f64_e32 v[12:13], v[10:11], v[14:15]
	v_add_f64 v[4:5], v[4:5], v[8:9]
	v_add_f64 v[2:3], v[2:3], v[12:13]
	s_andn2_b64 exec, exec, s[6:7]
	s_cbranch_execnz .LBB98_149
; %bb.150:
	s_or_b64 exec, exec, s[6:7]
	v_mov_b32_e32 v1, 0
	ds_read_b128 v[6:9], v1 offset:544
	s_waitcnt lgkmcnt(0)
	v_mul_f64 v[10:11], v[2:3], v[8:9]
	v_mul_f64 v[8:9], v[4:5], v[8:9]
	v_fma_f64 v[4:5], v[4:5], v[6:7], -v[10:11]
	v_fmac_f64_e32 v[8:9], v[2:3], v[6:7]
	buffer_store_dword v5, off, s[0:3], 0 offset:564
	buffer_store_dword v4, off, s[0:3], 0 offset:560
	;; [unrolled: 1-line block ×4, first 2 shown]
.LBB98_151:
	s_or_b64 exec, exec, s[4:5]
	s_mov_b64 s[6:7], -1
	s_waitcnt lgkmcnt(0)
	; wave barrier
.LBB98_152:
	s_and_b64 vcc, exec, s[6:7]
	s_cbranch_vccz .LBB98_154
; %bb.153:
	s_lshl_b64 s[4:5], s[8:9], 2
	s_add_u32 s4, s14, s4
	s_addc_u32 s5, s15, s5
	v_mov_b32_e32 v1, 0
	global_load_dword v1, v1, s[4:5]
	s_waitcnt vmcnt(0)
	v_cmp_ne_u32_e32 vcc, 0, v1
	s_cbranch_vccz .LBB98_155
.LBB98_154:
	s_endpgm
.LBB98_155:
	v_mov_b32_e32 v1, 0x230
	v_lshl_add_u32 v1, v0, 4, v1
	v_cmp_eq_u32_e32 vcc, 34, v0
	s_and_saveexec_b64 s[4:5], vcc
	s_cbranch_execz .LBB98_157
; %bb.156:
	v_accvgpr_read_b32 v5, a65
	buffer_load_dword v2, v5, s[0:3], 0 offen
	buffer_load_dword v3, v5, s[0:3], 0 offen offset:4
	buffer_load_dword v4, v5, s[0:3], 0 offen offset:8
	s_nop 0
	buffer_load_dword v5, v5, s[0:3], 0 offen offset:12
	v_mov_b32_e32 v6, 0
	buffer_store_dword v6, off, s[0:3], 0 offset:544
	buffer_store_dword v6, off, s[0:3], 0 offset:548
	;; [unrolled: 1-line block ×4, first 2 shown]
	s_waitcnt vmcnt(4)
	ds_write_b128 v1, v[2:5]
.LBB98_157:
	s_or_b64 exec, exec, s[4:5]
	s_waitcnt lgkmcnt(0)
	; wave barrier
	s_waitcnt lgkmcnt(0)
	buffer_load_dword v8, off, s[0:3], 0 offset:568
	buffer_load_dword v9, off, s[0:3], 0 offset:572
	;; [unrolled: 1-line block ×8, first 2 shown]
	v_mov_b32_e32 v2, 0
	ds_read_b128 v[4:7], v2 offset:1104
	v_cmp_lt_u32_e32 vcc, 32, v0
	s_waitcnt vmcnt(6) lgkmcnt(0)
	v_mul_f64 v[16:17], v[4:5], v[8:9]
	v_mul_f64 v[8:9], v[6:7], v[8:9]
	s_waitcnt vmcnt(4)
	v_fma_f64 v[4:5], v[4:5], v[10:11], -v[8:9]
	v_fmac_f64_e32 v[16:17], v[6:7], v[10:11]
	v_add_f64 v[4:5], v[4:5], 0
	v_add_f64 v[6:7], v[16:17], 0
	s_waitcnt vmcnt(2)
	v_add_f64 v[4:5], v[12:13], -v[4:5]
	s_waitcnt vmcnt(0)
	v_add_f64 v[6:7], v[14:15], -v[6:7]
	buffer_store_dword v4, off, s[0:3], 0 offset:544
	buffer_store_dword v5, off, s[0:3], 0 offset:548
	;; [unrolled: 1-line block ×4, first 2 shown]
	s_and_saveexec_b64 s[4:5], vcc
	s_cbranch_execz .LBB98_159
; %bb.158:
	v_accvgpr_read_b32 v3, a66
	buffer_load_dword v4, v3, s[0:3], 0 offen
	buffer_load_dword v5, v3, s[0:3], 0 offen offset:4
	buffer_load_dword v6, v3, s[0:3], 0 offen offset:8
	;; [unrolled: 1-line block ×3, first 2 shown]
	s_nop 0
	buffer_store_dword v2, off, s[0:3], 0 offset:528
	buffer_store_dword v2, off, s[0:3], 0 offset:532
	;; [unrolled: 1-line block ×4, first 2 shown]
	s_waitcnt vmcnt(4)
	ds_write_b128 v1, v[4:7]
.LBB98_159:
	s_or_b64 exec, exec, s[4:5]
	s_waitcnt lgkmcnt(0)
	; wave barrier
	s_waitcnt lgkmcnt(0)
	buffer_load_dword v12, off, s[0:3], 0 offset:552
	buffer_load_dword v13, off, s[0:3], 0 offset:556
	;; [unrolled: 1-line block ×12, first 2 shown]
	ds_read_b128 v[4:7], v2 offset:1088
	ds_read_b128 v[8:11], v2 offset:1104
	v_cmp_lt_u32_e32 vcc, 31, v0
	s_waitcnt vmcnt(10) lgkmcnt(1)
	v_mul_f64 v[2:3], v[4:5], v[12:13]
	v_mul_f64 v[12:13], v[6:7], v[12:13]
	s_waitcnt vmcnt(8) lgkmcnt(0)
	v_mul_f64 v[24:25], v[8:9], v[14:15]
	v_mul_f64 v[14:15], v[10:11], v[14:15]
	s_waitcnt vmcnt(6)
	v_fma_f64 v[4:5], v[4:5], v[16:17], -v[12:13]
	v_fmac_f64_e32 v[2:3], v[6:7], v[16:17]
	s_waitcnt vmcnt(4)
	v_fma_f64 v[6:7], v[8:9], v[18:19], -v[14:15]
	v_add_f64 v[4:5], v[4:5], 0
	v_fmac_f64_e32 v[24:25], v[10:11], v[18:19]
	v_add_f64 v[2:3], v[2:3], 0
	v_add_f64 v[4:5], v[4:5], v[6:7]
	;; [unrolled: 1-line block ×3, first 2 shown]
	s_waitcnt vmcnt(2)
	v_add_f64 v[4:5], v[20:21], -v[4:5]
	s_waitcnt vmcnt(0)
	v_add_f64 v[2:3], v[22:23], -v[2:3]
	buffer_store_dword v4, off, s[0:3], 0 offset:528
	buffer_store_dword v5, off, s[0:3], 0 offset:532
	;; [unrolled: 1-line block ×4, first 2 shown]
	s_and_saveexec_b64 s[4:5], vcc
	s_cbranch_execz .LBB98_161
; %bb.160:
	v_accvgpr_read_b32 v5, a67
	buffer_load_dword v2, v5, s[0:3], 0 offen
	buffer_load_dword v3, v5, s[0:3], 0 offen offset:4
	buffer_load_dword v4, v5, s[0:3], 0 offen offset:8
	s_nop 0
	buffer_load_dword v5, v5, s[0:3], 0 offen offset:12
	v_mov_b32_e32 v6, 0
	buffer_store_dword v6, off, s[0:3], 0 offset:512
	buffer_store_dword v6, off, s[0:3], 0 offset:516
	;; [unrolled: 1-line block ×4, first 2 shown]
	s_waitcnt vmcnt(4)
	ds_write_b128 v1, v[2:5]
.LBB98_161:
	s_or_b64 exec, exec, s[4:5]
	s_waitcnt lgkmcnt(0)
	; wave barrier
	s_waitcnt lgkmcnt(0)
	buffer_load_dword v16, off, s[0:3], 0 offset:536
	buffer_load_dword v17, off, s[0:3], 0 offset:540
	;; [unrolled: 1-line block ×16, first 2 shown]
	v_mov_b32_e32 v2, 0
	ds_read_b128 v[4:7], v2 offset:1072
	ds_read_b128 v[8:11], v2 offset:1088
	;; [unrolled: 1-line block ×3, first 2 shown]
	v_cmp_lt_u32_e32 vcc, 30, v0
	s_waitcnt vmcnt(14) lgkmcnt(2)
	v_mul_f64 v[32:33], v[4:5], v[16:17]
	v_mul_f64 v[16:17], v[6:7], v[16:17]
	s_waitcnt vmcnt(12) lgkmcnt(1)
	v_mul_f64 v[34:35], v[8:9], v[18:19]
	v_mul_f64 v[18:19], v[10:11], v[18:19]
	;; [unrolled: 3-line block ×3, first 2 shown]
	s_waitcnt vmcnt(8)
	v_fma_f64 v[4:5], v[4:5], v[22:23], -v[16:17]
	v_fmac_f64_e32 v[32:33], v[6:7], v[22:23]
	s_waitcnt vmcnt(6)
	v_fma_f64 v[6:7], v[8:9], v[24:25], -v[18:19]
	v_add_f64 v[4:5], v[4:5], 0
	v_fmac_f64_e32 v[34:35], v[10:11], v[24:25]
	s_waitcnt vmcnt(4)
	v_fma_f64 v[8:9], v[12:13], v[26:27], -v[20:21]
	v_add_f64 v[10:11], v[32:33], 0
	v_add_f64 v[4:5], v[4:5], v[6:7]
	v_fmac_f64_e32 v[36:37], v[14:15], v[26:27]
	v_add_f64 v[10:11], v[10:11], v[34:35]
	v_add_f64 v[4:5], v[4:5], v[8:9]
	;; [unrolled: 1-line block ×3, first 2 shown]
	s_waitcnt vmcnt(2)
	v_add_f64 v[4:5], v[28:29], -v[4:5]
	s_waitcnt vmcnt(0)
	v_add_f64 v[6:7], v[30:31], -v[6:7]
	buffer_store_dword v4, off, s[0:3], 0 offset:512
	buffer_store_dword v5, off, s[0:3], 0 offset:516
	;; [unrolled: 1-line block ×4, first 2 shown]
	s_and_saveexec_b64 s[4:5], vcc
	s_cbranch_execz .LBB98_163
; %bb.162:
	v_accvgpr_read_b32 v3, a68
	buffer_load_dword v4, v3, s[0:3], 0 offen
	buffer_load_dword v5, v3, s[0:3], 0 offen offset:4
	buffer_load_dword v6, v3, s[0:3], 0 offen offset:8
	;; [unrolled: 1-line block ×3, first 2 shown]
	s_nop 0
	buffer_store_dword v2, off, s[0:3], 0 offset:496
	buffer_store_dword v2, off, s[0:3], 0 offset:500
	;; [unrolled: 1-line block ×4, first 2 shown]
	s_waitcnt vmcnt(4)
	ds_write_b128 v1, v[4:7]
.LBB98_163:
	s_or_b64 exec, exec, s[4:5]
	s_waitcnt lgkmcnt(0)
	; wave barrier
	s_waitcnt lgkmcnt(0)
	buffer_load_dword v20, off, s[0:3], 0 offset:520
	buffer_load_dword v21, off, s[0:3], 0 offset:524
	;; [unrolled: 1-line block ×20, first 2 shown]
	ds_read_b128 v[4:7], v2 offset:1056
	ds_read_b128 v[8:11], v2 offset:1072
	;; [unrolled: 1-line block ×4, first 2 shown]
	v_cmp_lt_u32_e32 vcc, 29, v0
	s_waitcnt vmcnt(18) lgkmcnt(3)
	v_mul_f64 v[2:3], v[4:5], v[20:21]
	v_mul_f64 v[20:21], v[6:7], v[20:21]
	s_waitcnt vmcnt(16) lgkmcnt(2)
	v_mul_f64 v[40:41], v[8:9], v[22:23]
	v_mul_f64 v[22:23], v[10:11], v[22:23]
	;; [unrolled: 3-line block ×4, first 2 shown]
	s_waitcnt vmcnt(10)
	v_fma_f64 v[4:5], v[4:5], v[28:29], -v[20:21]
	v_fmac_f64_e32 v[2:3], v[6:7], v[28:29]
	s_waitcnt vmcnt(8)
	v_fma_f64 v[6:7], v[8:9], v[30:31], -v[22:23]
	v_add_f64 v[4:5], v[4:5], 0
	v_fmac_f64_e32 v[40:41], v[10:11], v[30:31]
	s_waitcnt vmcnt(6)
	v_fma_f64 v[8:9], v[12:13], v[32:33], -v[24:25]
	v_add_f64 v[2:3], v[2:3], 0
	v_add_f64 v[4:5], v[4:5], v[6:7]
	v_fmac_f64_e32 v[42:43], v[14:15], v[32:33]
	s_waitcnt vmcnt(4)
	v_fma_f64 v[10:11], v[16:17], v[34:35], -v[26:27]
	v_add_f64 v[2:3], v[2:3], v[40:41]
	v_add_f64 v[4:5], v[4:5], v[8:9]
	v_fmac_f64_e32 v[44:45], v[18:19], v[34:35]
	v_add_f64 v[2:3], v[2:3], v[42:43]
	v_add_f64 v[4:5], v[4:5], v[10:11]
	;; [unrolled: 1-line block ×3, first 2 shown]
	s_waitcnt vmcnt(2)
	v_add_f64 v[4:5], v[36:37], -v[4:5]
	s_waitcnt vmcnt(0)
	v_add_f64 v[2:3], v[38:39], -v[2:3]
	buffer_store_dword v4, off, s[0:3], 0 offset:496
	buffer_store_dword v5, off, s[0:3], 0 offset:500
	buffer_store_dword v2, off, s[0:3], 0 offset:504
	buffer_store_dword v3, off, s[0:3], 0 offset:508
	s_and_saveexec_b64 s[4:5], vcc
	s_cbranch_execz .LBB98_165
; %bb.164:
	v_accvgpr_read_b32 v5, a69
	buffer_load_dword v2, v5, s[0:3], 0 offen
	buffer_load_dword v3, v5, s[0:3], 0 offen offset:4
	buffer_load_dword v4, v5, s[0:3], 0 offen offset:8
	s_nop 0
	buffer_load_dword v5, v5, s[0:3], 0 offen offset:12
	v_mov_b32_e32 v6, 0
	buffer_store_dword v6, off, s[0:3], 0 offset:480
	buffer_store_dword v6, off, s[0:3], 0 offset:484
	;; [unrolled: 1-line block ×4, first 2 shown]
	s_waitcnt vmcnt(4)
	ds_write_b128 v1, v[2:5]
.LBB98_165:
	s_or_b64 exec, exec, s[4:5]
	s_waitcnt lgkmcnt(0)
	; wave barrier
	s_waitcnt lgkmcnt(0)
	buffer_load_dword v24, off, s[0:3], 0 offset:504
	buffer_load_dword v25, off, s[0:3], 0 offset:508
	;; [unrolled: 1-line block ×24, first 2 shown]
	v_mov_b32_e32 v2, 0
	ds_read_b128 v[4:7], v2 offset:1040
	ds_read_b128 v[8:11], v2 offset:1056
	;; [unrolled: 1-line block ×5, first 2 shown]
	v_cmp_lt_u32_e32 vcc, 28, v0
	s_waitcnt vmcnt(22) lgkmcnt(4)
	v_mul_f64 v[48:49], v[4:5], v[24:25]
	v_mul_f64 v[24:25], v[6:7], v[24:25]
	s_waitcnt vmcnt(20) lgkmcnt(3)
	v_mul_f64 v[50:51], v[8:9], v[26:27]
	v_mul_f64 v[26:27], v[10:11], v[26:27]
	;; [unrolled: 3-line block ×4, first 2 shown]
	s_waitcnt vmcnt(13) lgkmcnt(0)
	v_mul_f64 v[56:57], v[20:21], v[30:31]
	s_waitcnt vmcnt(11)
	v_fma_f64 v[4:5], v[4:5], v[36:37], -v[24:25]
	v_fmac_f64_e32 v[48:49], v[6:7], v[36:37]
	s_waitcnt vmcnt(9)
	v_fma_f64 v[6:7], v[8:9], v[38:39], -v[26:27]
	v_add_f64 v[4:5], v[4:5], 0
	v_fmac_f64_e32 v[50:51], v[10:11], v[38:39]
	s_waitcnt vmcnt(7)
	v_fmac_f64_e32 v[52:53], v[14:15], v[40:41]
	v_fma_f64 v[8:9], v[12:13], v[40:41], -v[28:29]
	v_add_f64 v[14:15], v[48:49], 0
	v_add_f64 v[4:5], v[4:5], v[6:7]
	v_mul_f64 v[30:31], v[22:23], v[30:31]
	s_waitcnt vmcnt(5)
	v_fma_f64 v[10:11], v[16:17], v[42:43], -v[34:35]
	v_add_f64 v[14:15], v[14:15], v[50:51]
	v_add_f64 v[4:5], v[4:5], v[8:9]
	v_fmac_f64_e32 v[54:55], v[18:19], v[42:43]
	s_waitcnt vmcnt(4)
	v_fma_f64 v[12:13], v[20:21], v[32:33], -v[30:31]
	v_add_f64 v[6:7], v[14:15], v[52:53]
	v_add_f64 v[4:5], v[4:5], v[10:11]
	v_fmac_f64_e32 v[56:57], v[22:23], v[32:33]
	v_add_f64 v[6:7], v[6:7], v[54:55]
	v_add_f64 v[4:5], v[4:5], v[12:13]
	;; [unrolled: 1-line block ×3, first 2 shown]
	s_waitcnt vmcnt(2)
	v_add_f64 v[4:5], v[44:45], -v[4:5]
	s_waitcnt vmcnt(0)
	v_add_f64 v[6:7], v[46:47], -v[6:7]
	buffer_store_dword v5, off, s[0:3], 0 offset:484
	buffer_store_dword v4, off, s[0:3], 0 offset:480
	;; [unrolled: 1-line block ×4, first 2 shown]
	s_and_saveexec_b64 s[4:5], vcc
	s_cbranch_execz .LBB98_167
; %bb.166:
	v_accvgpr_read_b32 v3, a70
	buffer_load_dword v4, v3, s[0:3], 0 offen
	buffer_load_dword v5, v3, s[0:3], 0 offen offset:4
	buffer_load_dword v6, v3, s[0:3], 0 offen offset:8
	;; [unrolled: 1-line block ×3, first 2 shown]
	s_nop 0
	buffer_store_dword v2, off, s[0:3], 0 offset:464
	buffer_store_dword v2, off, s[0:3], 0 offset:468
	;; [unrolled: 1-line block ×4, first 2 shown]
	s_waitcnt vmcnt(4)
	ds_write_b128 v1, v[4:7]
.LBB98_167:
	s_or_b64 exec, exec, s[4:5]
	s_waitcnt lgkmcnt(0)
	; wave barrier
	s_waitcnt lgkmcnt(0)
	ds_read_b128 v[4:7], v2 offset:1024
	ds_read_b128 v[8:11], v2 offset:1040
	;; [unrolled: 1-line block ×4, first 2 shown]
	buffer_load_dword v28, off, s[0:3], 0 offset:464
	buffer_load_dword v29, off, s[0:3], 0 offset:468
	;; [unrolled: 1-line block ×20, first 2 shown]
	v_cmp_lt_u32_e32 vcc, 27, v0
	s_waitcnt vmcnt(12) lgkmcnt(3)
	v_mul_f64 v[20:21], v[4:5], v[34:35]
	v_fmac_f64_e32 v[20:21], v[6:7], v[32:33]
	v_add_f64 v[20:21], v[20:21], 0
	v_mul_f64 v[6:7], v[6:7], v[34:35]
	s_waitcnt vmcnt(8) lgkmcnt(2)
	v_mul_f64 v[22:23], v[8:9], v[38:39]
	v_fmac_f64_e32 v[22:23], v[10:11], v[36:37]
	v_add_f64 v[20:21], v[20:21], v[22:23]
	v_fma_f64 v[4:5], v[4:5], v[32:33], -v[6:7]
	s_waitcnt vmcnt(4) lgkmcnt(1)
	v_mul_f64 v[22:23], v[12:13], v[42:43]
	v_fmac_f64_e32 v[22:23], v[14:15], v[40:41]
	v_add_f64 v[20:21], v[20:21], v[22:23]
	s_waitcnt vmcnt(0) lgkmcnt(0)
	v_mul_f64 v[22:23], v[16:17], v[46:47]
	v_fmac_f64_e32 v[22:23], v[18:19], v[44:45]
	v_add_f64 v[24:25], v[20:21], v[22:23]
	ds_read_b128 v[20:23], v2 offset:1088
	buffer_load_dword v49, off, s[0:3], 0 offset:548
	buffer_load_dword v48, off, s[0:3], 0 offset:544
	;; [unrolled: 1-line block ×4, first 2 shown]
	v_mul_f64 v[6:7], v[10:11], v[38:39]
	v_add_f64 v[4:5], v[4:5], 0
	v_fma_f64 v[6:7], v[8:9], v[36:37], -v[6:7]
	v_add_f64 v[4:5], v[4:5], v[6:7]
	v_mul_f64 v[6:7], v[14:15], v[42:43]
	v_fma_f64 v[6:7], v[12:13], v[40:41], -v[6:7]
	v_add_f64 v[4:5], v[4:5], v[6:7]
	v_mul_f64 v[6:7], v[18:19], v[46:47]
	v_fma_f64 v[6:7], v[16:17], v[44:45], -v[6:7]
	v_add_f64 v[4:5], v[4:5], v[6:7]
	s_waitcnt vmcnt(0) lgkmcnt(0)
	v_mul_f64 v[26:27], v[20:21], v[50:51]
	v_fmac_f64_e32 v[26:27], v[22:23], v[48:49]
	v_add_f64 v[52:53], v[24:25], v[26:27]
	ds_read_b128 v[24:27], v2 offset:1104
	buffer_load_dword v3, off, s[0:3], 0 offset:564
	buffer_load_dword v2, off, s[0:3], 0 offset:560
	;; [unrolled: 1-line block ×4, first 2 shown]
	v_mul_f64 v[6:7], v[22:23], v[50:51]
	v_fma_f64 v[6:7], v[20:21], v[48:49], -v[6:7]
	v_add_f64 v[4:5], v[4:5], v[6:7]
	s_waitcnt vmcnt(0) lgkmcnt(0)
	v_mul_f64 v[56:57], v[24:25], v[54:55]
	v_mul_f64 v[6:7], v[26:27], v[54:55]
	v_fmac_f64_e32 v[56:57], v[26:27], v[2:3]
	v_fma_f64 v[2:3], v[24:25], v[2:3], -v[6:7]
	v_add_f64 v[2:3], v[4:5], v[2:3]
	v_add_f64 v[52:53], v[52:53], v[56:57]
	v_add_f64 v[2:3], v[28:29], -v[2:3]
	v_add_f64 v[4:5], v[30:31], -v[52:53]
	buffer_store_dword v3, off, s[0:3], 0 offset:468
	buffer_store_dword v2, off, s[0:3], 0 offset:464
	;; [unrolled: 1-line block ×4, first 2 shown]
	s_and_saveexec_b64 s[4:5], vcc
	s_cbranch_execz .LBB98_169
; %bb.168:
	v_accvgpr_read_b32 v5, a71
	buffer_load_dword v2, v5, s[0:3], 0 offen
	buffer_load_dword v3, v5, s[0:3], 0 offen offset:4
	buffer_load_dword v4, v5, s[0:3], 0 offen offset:8
	s_nop 0
	buffer_load_dword v5, v5, s[0:3], 0 offen offset:12
	v_mov_b32_e32 v6, 0
	buffer_store_dword v6, off, s[0:3], 0 offset:448
	buffer_store_dword v6, off, s[0:3], 0 offset:452
	;; [unrolled: 1-line block ×4, first 2 shown]
	s_waitcnt vmcnt(4)
	ds_write_b128 v1, v[2:5]
.LBB98_169:
	s_or_b64 exec, exec, s[4:5]
	s_waitcnt lgkmcnt(0)
	; wave barrier
	s_waitcnt lgkmcnt(0)
	buffer_load_dword v32, off, s[0:3], 0 offset:472
	buffer_load_dword v33, off, s[0:3], 0 offset:476
	;; [unrolled: 1-line block ×32, first 2 shown]
	v_mov_b32_e32 v2, 0
	ds_read_b128 v[4:7], v2 offset:1008
	ds_read_b128 v[8:11], v2 offset:1024
	;; [unrolled: 1-line block ×7, first 2 shown]
	v_cmp_lt_u32_e32 vcc, 26, v0
	s_waitcnt vmcnt(30) lgkmcnt(6)
	v_mul_f64 v[64:65], v[4:5], v[32:33]
	v_mul_f64 v[32:33], v[6:7], v[32:33]
	s_waitcnt vmcnt(28) lgkmcnt(5)
	v_mul_f64 v[66:67], v[8:9], v[34:35]
	v_mul_f64 v[34:35], v[10:11], v[34:35]
	;; [unrolled: 3-line block ×4, first 2 shown]
	s_waitcnt vmcnt(21)
	v_mul_f64 v[70:71], v[16:17], v[42:43]
	v_mul_f64 v[42:43], v[18:19], v[42:43]
	s_waitcnt vmcnt(17) lgkmcnt(1)
	v_mul_f64 v[74:75], v[24:25], v[48:49]
	v_mul_f64 v[48:49], v[26:27], v[48:49]
	s_waitcnt vmcnt(16) lgkmcnt(0)
	v_mul_f64 v[76:77], v[28:29], v[44:45]
	v_mul_f64 v[44:45], v[30:31], v[44:45]
	s_waitcnt vmcnt(13)
	v_fma_f64 v[4:5], v[4:5], v[50:51], -v[32:33]
	v_fmac_f64_e32 v[64:65], v[6:7], v[50:51]
	s_waitcnt vmcnt(11)
	v_fma_f64 v[6:7], v[8:9], v[52:53], -v[34:35]
	v_add_f64 v[4:5], v[4:5], 0
	v_fmac_f64_e32 v[66:67], v[10:11], v[52:53]
	s_waitcnt vmcnt(9)
	v_fma_f64 v[8:9], v[12:13], v[54:55], -v[36:37]
	s_waitcnt vmcnt(7)
	v_fmac_f64_e32 v[70:71], v[18:19], v[56:57]
	v_add_f64 v[18:19], v[64:65], 0
	v_add_f64 v[4:5], v[4:5], v[6:7]
	v_fmac_f64_e32 v[68:69], v[14:15], v[54:55]
	v_fma_f64 v[10:11], v[16:17], v[56:57], -v[42:43]
	v_add_f64 v[18:19], v[18:19], v[66:67]
	v_add_f64 v[4:5], v[4:5], v[8:9]
	v_fma_f64 v[12:13], v[20:21], v[40:41], -v[38:39]
	v_add_f64 v[6:7], v[18:19], v[68:69]
	v_add_f64 v[4:5], v[4:5], v[10:11]
	v_fmac_f64_e32 v[72:73], v[22:23], v[40:41]
	s_waitcnt vmcnt(5)
	v_fma_f64 v[14:15], v[24:25], v[58:59], -v[48:49]
	v_add_f64 v[6:7], v[6:7], v[70:71]
	v_add_f64 v[4:5], v[4:5], v[12:13]
	v_fmac_f64_e32 v[74:75], v[26:27], v[58:59]
	s_waitcnt vmcnt(4)
	v_fma_f64 v[16:17], v[28:29], v[46:47], -v[44:45]
	v_add_f64 v[6:7], v[6:7], v[72:73]
	v_add_f64 v[4:5], v[4:5], v[14:15]
	v_fmac_f64_e32 v[76:77], v[30:31], v[46:47]
	v_add_f64 v[6:7], v[6:7], v[74:75]
	v_add_f64 v[4:5], v[4:5], v[16:17]
	;; [unrolled: 1-line block ×3, first 2 shown]
	s_waitcnt vmcnt(2)
	v_add_f64 v[4:5], v[60:61], -v[4:5]
	s_waitcnt vmcnt(0)
	v_add_f64 v[6:7], v[62:63], -v[6:7]
	buffer_store_dword v5, off, s[0:3], 0 offset:452
	buffer_store_dword v4, off, s[0:3], 0 offset:448
	;; [unrolled: 1-line block ×4, first 2 shown]
	s_and_saveexec_b64 s[4:5], vcc
	s_cbranch_execz .LBB98_171
; %bb.170:
	v_accvgpr_read_b32 v3, a72
	buffer_load_dword v4, v3, s[0:3], 0 offen
	buffer_load_dword v5, v3, s[0:3], 0 offen offset:4
	buffer_load_dword v6, v3, s[0:3], 0 offen offset:8
	;; [unrolled: 1-line block ×3, first 2 shown]
	s_nop 0
	buffer_store_dword v2, off, s[0:3], 0 offset:432
	buffer_store_dword v2, off, s[0:3], 0 offset:436
	;; [unrolled: 1-line block ×4, first 2 shown]
	s_waitcnt vmcnt(4)
	ds_write_b128 v1, v[4:7]
.LBB98_171:
	s_or_b64 exec, exec, s[4:5]
	s_waitcnt lgkmcnt(0)
	; wave barrier
	s_waitcnt lgkmcnt(0)
	buffer_load_dword v36, off, s[0:3], 0 offset:456
	buffer_load_dword v37, off, s[0:3], 0 offset:460
	;; [unrolled: 1-line block ×36, first 2 shown]
	ds_read_b128 v[4:7], v2 offset:992
	ds_read_b128 v[8:11], v2 offset:1008
	;; [unrolled: 1-line block ×8, first 2 shown]
	v_cmp_lt_u32_e32 vcc, 25, v0
	s_waitcnt vmcnt(34) lgkmcnt(7)
	v_mul_f64 v[2:3], v[4:5], v[36:37]
	v_mul_f64 v[36:37], v[6:7], v[36:37]
	s_waitcnt vmcnt(32) lgkmcnt(6)
	v_mul_f64 v[72:73], v[8:9], v[38:39]
	v_mul_f64 v[38:39], v[10:11], v[38:39]
	;; [unrolled: 3-line block ×4, first 2 shown]
	s_waitcnt vmcnt(25)
	v_mul_f64 v[76:77], v[16:17], v[46:47]
	v_mul_f64 v[46:47], v[18:19], v[46:47]
	s_waitcnt vmcnt(23) lgkmcnt(1)
	v_mul_f64 v[82:83], v[28:29], v[48:49]
	v_mul_f64 v[48:49], v[30:31], v[48:49]
	s_waitcnt vmcnt(20)
	v_mul_f64 v[80:81], v[24:25], v[52:53]
	v_mul_f64 v[52:53], v[26:27], v[52:53]
	s_waitcnt vmcnt(18) lgkmcnt(0)
	v_mul_f64 v[84:85], v[32:33], v[54:55]
	s_waitcnt vmcnt(17)
	v_fmac_f64_e32 v[78:79], v[22:23], v[44:45]
	s_waitcnt vmcnt(16)
	v_fmac_f64_e32 v[82:83], v[30:31], v[50:51]
	s_waitcnt vmcnt(14)
	v_fma_f64 v[4:5], v[4:5], v[56:57], -v[36:37]
	v_fmac_f64_e32 v[2:3], v[6:7], v[56:57]
	s_waitcnt vmcnt(12)
	v_fma_f64 v[6:7], v[8:9], v[58:59], -v[38:39]
	v_add_f64 v[4:5], v[4:5], 0
	v_fmac_f64_e32 v[72:73], v[10:11], v[58:59]
	s_waitcnt vmcnt(10)
	v_fma_f64 v[8:9], v[12:13], v[60:61], -v[40:41]
	v_add_f64 v[2:3], v[2:3], 0
	v_add_f64 v[4:5], v[4:5], v[6:7]
	v_fmac_f64_e32 v[74:75], v[14:15], v[60:61]
	s_waitcnt vmcnt(8)
	v_fma_f64 v[10:11], v[16:17], v[62:63], -v[46:47]
	v_add_f64 v[2:3], v[2:3], v[72:73]
	v_add_f64 v[4:5], v[4:5], v[8:9]
	v_fmac_f64_e32 v[76:77], v[18:19], v[62:63]
	v_fma_f64 v[12:13], v[20:21], v[44:45], -v[42:43]
	v_add_f64 v[2:3], v[2:3], v[74:75]
	v_add_f64 v[4:5], v[4:5], v[10:11]
	s_waitcnt vmcnt(6)
	v_fma_f64 v[14:15], v[24:25], v[64:65], -v[52:53]
	v_add_f64 v[2:3], v[2:3], v[76:77]
	v_add_f64 v[4:5], v[4:5], v[12:13]
	v_fmac_f64_e32 v[80:81], v[26:27], v[64:65]
	v_fma_f64 v[16:17], v[28:29], v[50:51], -v[48:49]
	v_add_f64 v[2:3], v[2:3], v[78:79]
	v_add_f64 v[4:5], v[4:5], v[14:15]
	v_mul_f64 v[6:7], v[34:35], v[54:55]
	v_add_f64 v[2:3], v[2:3], v[80:81]
	v_add_f64 v[4:5], v[4:5], v[16:17]
	s_waitcnt vmcnt(4)
	v_fma_f64 v[6:7], v[32:33], v[66:67], -v[6:7]
	v_fmac_f64_e32 v[84:85], v[34:35], v[66:67]
	v_add_f64 v[2:3], v[2:3], v[82:83]
	v_add_f64 v[4:5], v[4:5], v[6:7]
	;; [unrolled: 1-line block ×3, first 2 shown]
	s_waitcnt vmcnt(2)
	v_add_f64 v[4:5], v[68:69], -v[4:5]
	s_waitcnt vmcnt(0)
	v_add_f64 v[2:3], v[70:71], -v[2:3]
	buffer_store_dword v5, off, s[0:3], 0 offset:436
	buffer_store_dword v4, off, s[0:3], 0 offset:432
	;; [unrolled: 1-line block ×4, first 2 shown]
	s_and_saveexec_b64 s[4:5], vcc
	s_cbranch_execz .LBB98_173
; %bb.172:
	v_accvgpr_read_b32 v5, a73
	buffer_load_dword v2, v5, s[0:3], 0 offen
	buffer_load_dword v3, v5, s[0:3], 0 offen offset:4
	buffer_load_dword v4, v5, s[0:3], 0 offen offset:8
	s_nop 0
	buffer_load_dword v5, v5, s[0:3], 0 offen offset:12
	v_mov_b32_e32 v6, 0
	buffer_store_dword v6, off, s[0:3], 0 offset:416
	buffer_store_dword v6, off, s[0:3], 0 offset:420
	;; [unrolled: 1-line block ×4, first 2 shown]
	s_waitcnt vmcnt(4)
	ds_write_b128 v1, v[2:5]
.LBB98_173:
	s_or_b64 exec, exec, s[4:5]
	s_waitcnt lgkmcnt(0)
	; wave barrier
	s_waitcnt lgkmcnt(0)
	buffer_load_dword v40, off, s[0:3], 0 offset:440
	buffer_load_dword v41, off, s[0:3], 0 offset:444
	;; [unrolled: 1-line block ×40, first 2 shown]
	v_mov_b32_e32 v6, 0
	ds_read_b128 v[2:5], v6 offset:976
	ds_read_b128 v[8:11], v6 offset:992
	;; [unrolled: 1-line block ×9, first 2 shown]
	v_cmp_lt_u32_e32 vcc, 24, v0
	s_waitcnt vmcnt(38) lgkmcnt(8)
	v_mul_f64 v[80:81], v[2:3], v[40:41]
	v_mul_f64 v[40:41], v[4:5], v[40:41]
	s_waitcnt vmcnt(36) lgkmcnt(7)
	v_mul_f64 v[82:83], v[8:9], v[42:43]
	v_mul_f64 v[42:43], v[10:11], v[42:43]
	;; [unrolled: 3-line block ×3, first 2 shown]
	s_waitcnt vmcnt(32) lgkmcnt(4)
	v_mul_f64 v[88:89], v[20:21], v[46:47]
	s_waitcnt vmcnt(30)
	v_fmac_f64_e32 v[88:89], v[22:23], v[48:49]
	s_waitcnt vmcnt(28)
	v_mul_f64 v[86:87], v[16:17], v[50:51]
	v_mul_f64 v[50:51], v[18:19], v[50:51]
	s_waitcnt vmcnt(26) lgkmcnt(2)
	v_mul_f64 v[92:93], v[28:29], v[52:53]
	s_waitcnt vmcnt(24)
	v_fmac_f64_e32 v[92:93], v[30:31], v[54:55]
	s_waitcnt vmcnt(22)
	v_mul_f64 v[90:91], v[24:25], v[56:57]
	s_waitcnt vmcnt(18) lgkmcnt(1)
	v_mul_f64 v[94:95], v[32:33], v[62:63]
	s_waitcnt vmcnt(17) lgkmcnt(0)
	v_mul_f64 v[96:97], v[36:37], v[58:59]
	s_waitcnt vmcnt(15)
	v_fma_f64 v[2:3], v[2:3], v[64:65], -v[40:41]
	v_fmac_f64_e32 v[80:81], v[4:5], v[64:65]
	s_waitcnt vmcnt(13)
	v_fma_f64 v[4:5], v[8:9], v[66:67], -v[42:43]
	v_add_f64 v[2:3], v[2:3], 0
	s_waitcnt vmcnt(11)
	v_fma_f64 v[8:9], v[12:13], v[68:69], -v[44:45]
	v_add_f64 v[2:3], v[2:3], v[4:5]
	v_fmac_f64_e32 v[82:83], v[10:11], v[66:67]
	s_waitcnt vmcnt(9)
	v_fma_f64 v[10:11], v[16:17], v[70:71], -v[50:51]
	v_add_f64 v[2:3], v[2:3], v[8:9]
	v_mul_f64 v[8:9], v[22:23], v[46:47]
	v_add_f64 v[2:3], v[2:3], v[10:11]
	v_fma_f64 v[8:9], v[20:21], v[48:49], -v[8:9]
	v_add_f64 v[2:3], v[2:3], v[8:9]
	v_mul_f64 v[8:9], v[26:27], v[56:57]
	v_add_f64 v[12:13], v[80:81], 0
	s_waitcnt vmcnt(7)
	v_fma_f64 v[8:9], v[24:25], v[72:73], -v[8:9]
	v_fmac_f64_e32 v[84:85], v[14:15], v[68:69]
	v_add_f64 v[12:13], v[12:13], v[82:83]
	v_add_f64 v[2:3], v[2:3], v[8:9]
	v_mul_f64 v[8:9], v[30:31], v[52:53]
	v_fmac_f64_e32 v[86:87], v[18:19], v[70:71]
	v_add_f64 v[4:5], v[12:13], v[84:85]
	v_fma_f64 v[8:9], v[28:29], v[54:55], -v[8:9]
	v_add_f64 v[4:5], v[4:5], v[86:87]
	v_add_f64 v[2:3], v[2:3], v[8:9]
	v_mul_f64 v[8:9], v[34:35], v[62:63]
	v_fmac_f64_e32 v[90:91], v[26:27], v[72:73]
	v_add_f64 v[4:5], v[4:5], v[88:89]
	s_waitcnt vmcnt(5)
	v_fma_f64 v[8:9], v[32:33], v[74:75], -v[8:9]
	v_add_f64 v[4:5], v[4:5], v[90:91]
	v_add_f64 v[2:3], v[2:3], v[8:9]
	v_mul_f64 v[8:9], v[38:39], v[58:59]
	v_fmac_f64_e32 v[94:95], v[34:35], v[74:75]
	v_add_f64 v[4:5], v[4:5], v[92:93]
	s_waitcnt vmcnt(4)
	v_fma_f64 v[8:9], v[36:37], v[60:61], -v[8:9]
	v_fmac_f64_e32 v[96:97], v[38:39], v[60:61]
	v_add_f64 v[4:5], v[4:5], v[94:95]
	v_add_f64 v[2:3], v[2:3], v[8:9]
	;; [unrolled: 1-line block ×3, first 2 shown]
	s_waitcnt vmcnt(2)
	v_add_f64 v[2:3], v[76:77], -v[2:3]
	s_waitcnt vmcnt(0)
	v_add_f64 v[4:5], v[78:79], -v[4:5]
	buffer_store_dword v3, off, s[0:3], 0 offset:420
	buffer_store_dword v2, off, s[0:3], 0 offset:416
	;; [unrolled: 1-line block ×4, first 2 shown]
	s_and_saveexec_b64 s[4:5], vcc
	s_cbranch_execz .LBB98_175
; %bb.174:
	v_accvgpr_read_b32 v5, a74
	buffer_load_dword v2, v5, s[0:3], 0 offen
	buffer_load_dword v3, v5, s[0:3], 0 offen offset:4
	buffer_load_dword v4, v5, s[0:3], 0 offen offset:8
	s_nop 0
	buffer_load_dword v5, v5, s[0:3], 0 offen offset:12
	s_nop 0
	buffer_store_dword v6, off, s[0:3], 0 offset:400
	buffer_store_dword v6, off, s[0:3], 0 offset:404
	;; [unrolled: 1-line block ×4, first 2 shown]
	s_waitcnt vmcnt(4)
	ds_write_b128 v1, v[2:5]
.LBB98_175:
	s_or_b64 exec, exec, s[4:5]
	s_waitcnt lgkmcnt(0)
	; wave barrier
	s_waitcnt lgkmcnt(0)
	buffer_load_dword v4, off, s[0:3], 0 offset:416
	buffer_load_dword v5, off, s[0:3], 0 offset:420
	;; [unrolled: 1-line block ×44, first 2 shown]
	ds_read_b128 v[8:11], v6 offset:960
	ds_read_b128 v[12:15], v6 offset:976
	;; [unrolled: 1-line block ×10, first 2 shown]
	v_cmp_lt_u32_e32 vcc, 23, v0
	s_waitcnt vmcnt(40) lgkmcnt(9)
	v_mul_f64 v[6:7], v[8:9], v[48:49]
	v_mul_f64 v[48:49], v[10:11], v[48:49]
	s_waitcnt vmcnt(38) lgkmcnt(8)
	v_mul_f64 v[88:89], v[12:13], v[50:51]
	v_mul_f64 v[50:51], v[14:15], v[50:51]
	v_fmac_f64_e32 v[6:7], v[10:11], v[4:5]
	v_fma_f64 v[4:5], v[8:9], v[4:5], -v[48:49]
	s_waitcnt vmcnt(36) lgkmcnt(7)
	v_mul_f64 v[90:91], v[16:17], v[2:3]
	v_add_f64 v[4:5], v[4:5], 0
	v_mul_f64 v[2:3], v[18:19], v[2:3]
	v_add_f64 v[6:7], v[6:7], 0
	s_waitcnt vmcnt(30) lgkmcnt(6)
	v_mul_f64 v[92:93], v[20:21], v[56:57]
	s_waitcnt lgkmcnt(5)
	v_mul_f64 v[94:95], v[24:25], v[52:53]
	v_fmac_f64_e32 v[94:95], v[26:27], v[54:55]
	s_waitcnt vmcnt(28) lgkmcnt(3)
	v_mul_f64 v[98:99], v[32:33], v[58:59]
	s_waitcnt vmcnt(26)
	v_fmac_f64_e32 v[98:99], v[34:35], v[60:61]
	s_waitcnt vmcnt(24)
	v_mul_f64 v[96:97], v[28:29], v[62:63]
	s_waitcnt vmcnt(22) lgkmcnt(1)
	v_mul_f64 v[102:103], v[40:41], v[64:65]
	s_waitcnt vmcnt(20)
	v_fmac_f64_e32 v[102:103], v[42:43], v[66:67]
	s_waitcnt vmcnt(18)
	v_mul_f64 v[100:101], v[36:37], v[68:69]
	s_waitcnt vmcnt(16) lgkmcnt(0)
	v_mul_f64 v[104:105], v[44:45], v[70:71]
	s_waitcnt vmcnt(14)
	v_fma_f64 v[8:9], v[12:13], v[72:73], -v[50:51]
	v_add_f64 v[4:5], v[4:5], v[8:9]
	s_waitcnt vmcnt(12)
	v_fma_f64 v[2:3], v[16:17], v[74:75], -v[2:3]
	v_add_f64 v[2:3], v[4:5], v[2:3]
	v_mul_f64 v[4:5], v[22:23], v[56:57]
	s_waitcnt vmcnt(10)
	v_fma_f64 v[4:5], v[20:21], v[76:77], -v[4:5]
	v_add_f64 v[2:3], v[2:3], v[4:5]
	v_mul_f64 v[4:5], v[26:27], v[52:53]
	v_fma_f64 v[4:5], v[24:25], v[54:55], -v[4:5]
	v_add_f64 v[2:3], v[2:3], v[4:5]
	v_mul_f64 v[4:5], v[30:31], v[62:63]
	s_waitcnt vmcnt(8)
	v_fma_f64 v[4:5], v[28:29], v[78:79], -v[4:5]
	v_fmac_f64_e32 v[88:89], v[14:15], v[72:73]
	v_add_f64 v[2:3], v[2:3], v[4:5]
	v_mul_f64 v[4:5], v[34:35], v[58:59]
	v_fmac_f64_e32 v[90:91], v[18:19], v[74:75]
	v_add_f64 v[6:7], v[6:7], v[88:89]
	v_fma_f64 v[4:5], v[32:33], v[60:61], -v[4:5]
	v_fmac_f64_e32 v[92:93], v[22:23], v[76:77]
	v_add_f64 v[6:7], v[6:7], v[90:91]
	v_add_f64 v[2:3], v[2:3], v[4:5]
	v_mul_f64 v[4:5], v[38:39], v[68:69]
	v_add_f64 v[6:7], v[6:7], v[92:93]
	s_waitcnt vmcnt(6)
	v_fma_f64 v[4:5], v[36:37], v[80:81], -v[4:5]
	v_fmac_f64_e32 v[96:97], v[30:31], v[78:79]
	v_add_f64 v[6:7], v[6:7], v[94:95]
	v_add_f64 v[2:3], v[2:3], v[4:5]
	v_mul_f64 v[4:5], v[42:43], v[64:65]
	v_add_f64 v[6:7], v[6:7], v[96:97]
	v_fma_f64 v[4:5], v[40:41], v[66:67], -v[4:5]
	v_fmac_f64_e32 v[100:101], v[38:39], v[80:81]
	v_add_f64 v[6:7], v[6:7], v[98:99]
	v_add_f64 v[2:3], v[2:3], v[4:5]
	v_mul_f64 v[4:5], v[46:47], v[70:71]
	v_add_f64 v[6:7], v[6:7], v[100:101]
	s_waitcnt vmcnt(4)
	v_fma_f64 v[4:5], v[44:45], v[82:83], -v[4:5]
	v_fmac_f64_e32 v[104:105], v[46:47], v[82:83]
	v_add_f64 v[6:7], v[6:7], v[102:103]
	v_add_f64 v[2:3], v[2:3], v[4:5]
	;; [unrolled: 1-line block ×3, first 2 shown]
	s_waitcnt vmcnt(2)
	v_add_f64 v[2:3], v[84:85], -v[2:3]
	s_waitcnt vmcnt(0)
	v_add_f64 v[4:5], v[86:87], -v[6:7]
	buffer_store_dword v3, off, s[0:3], 0 offset:404
	buffer_store_dword v2, off, s[0:3], 0 offset:400
	buffer_store_dword v5, off, s[0:3], 0 offset:412
	buffer_store_dword v4, off, s[0:3], 0 offset:408
	s_and_saveexec_b64 s[4:5], vcc
	s_cbranch_execz .LBB98_177
; %bb.176:
	v_accvgpr_read_b32 v5, a75
	buffer_load_dword v2, v5, s[0:3], 0 offen
	buffer_load_dword v3, v5, s[0:3], 0 offen offset:4
	buffer_load_dword v4, v5, s[0:3], 0 offen offset:8
	s_nop 0
	buffer_load_dword v5, v5, s[0:3], 0 offen offset:12
	v_mov_b32_e32 v6, 0
	buffer_store_dword v6, off, s[0:3], 0 offset:384
	buffer_store_dword v6, off, s[0:3], 0 offset:388
	;; [unrolled: 1-line block ×4, first 2 shown]
	s_waitcnt vmcnt(4)
	ds_write_b128 v1, v[2:5]
.LBB98_177:
	s_or_b64 exec, exec, s[4:5]
	s_waitcnt lgkmcnt(0)
	; wave barrier
	s_waitcnt lgkmcnt(0)
	buffer_load_dword v2, off, s[0:3], 0 offset:400
	buffer_load_dword v3, off, s[0:3], 0 offset:404
	;; [unrolled: 1-line block ×48, first 2 shown]
	v_mov_b32_e32 v12, 0
	ds_read_b128 v[14:17], v12 offset:944
	ds_read_b128 v[18:21], v12 offset:960
	;; [unrolled: 1-line block ×11, first 2 shown]
	v_cmp_lt_u32_e32 vcc, 22, v0
	s_waitcnt vmcnt(44) lgkmcnt(10)
	v_mul_f64 v[96:97], v[14:15], v[6:7]
	v_mul_f64 v[6:7], v[16:17], v[6:7]
	v_fmac_f64_e32 v[96:97], v[16:17], v[2:3]
	v_fma_f64 v[2:3], v[14:15], v[2:3], -v[6:7]
	s_waitcnt vmcnt(40) lgkmcnt(9)
	v_mul_f64 v[98:99], v[18:19], v[8:9]
	v_mul_f64 v[6:7], v[20:21], v[8:9]
	v_fmac_f64_e32 v[98:99], v[20:21], v[4:5]
	v_add_f64 v[2:3], v[2:3], 0
	v_fma_f64 v[4:5], v[18:19], v[4:5], -v[6:7]
	v_add_f64 v[2:3], v[2:3], v[4:5]
	s_waitcnt vmcnt(38) lgkmcnt(8)
	v_mul_f64 v[4:5], v[24:25], v[10:11]
	v_mul_f64 v[100:101], v[22:23], v[10:11]
	v_add_f64 v[96:97], v[96:97], 0
	s_waitcnt vmcnt(32) lgkmcnt(7)
	v_mul_f64 v[102:103], v[26:27], v[62:63]
	v_add_f64 v[96:97], v[96:97], v[98:99]
	s_waitcnt lgkmcnt(6)
	v_mul_f64 v[104:105], v[30:31], v[58:59]
	v_fmac_f64_e32 v[104:105], v[32:33], v[60:61]
	s_waitcnt vmcnt(30) lgkmcnt(4)
	v_mul_f64 v[108:109], v[38:39], v[64:65]
	s_waitcnt vmcnt(26)
	v_mul_f64 v[106:107], v[34:35], v[68:69]
	v_fmac_f64_e32 v[108:109], v[40:41], v[66:67]
	s_waitcnt vmcnt(24) lgkmcnt(2)
	v_mul_f64 v[112:113], v[46:47], v[70:71]
	s_waitcnt vmcnt(22)
	v_fmac_f64_e32 v[112:113], v[48:49], v[72:73]
	s_waitcnt vmcnt(20)
	v_mul_f64 v[110:111], v[42:43], v[74:75]
	s_waitcnt vmcnt(16) lgkmcnt(1)
	v_mul_f64 v[114:115], v[50:51], v[80:81]
	s_waitcnt vmcnt(14)
	v_fma_f64 v[4:5], v[22:23], v[82:83], -v[4:5]
	v_add_f64 v[2:3], v[2:3], v[4:5]
	v_mul_f64 v[4:5], v[28:29], v[62:63]
	s_waitcnt vmcnt(12)
	v_fma_f64 v[4:5], v[26:27], v[84:85], -v[4:5]
	v_add_f64 v[2:3], v[2:3], v[4:5]
	v_mul_f64 v[4:5], v[32:33], v[58:59]
	v_fma_f64 v[4:5], v[30:31], v[60:61], -v[4:5]
	v_add_f64 v[2:3], v[2:3], v[4:5]
	v_mul_f64 v[4:5], v[36:37], v[68:69]
	s_waitcnt vmcnt(10)
	v_fma_f64 v[4:5], v[34:35], v[86:87], -v[4:5]
	v_add_f64 v[2:3], v[2:3], v[4:5]
	v_mul_f64 v[4:5], v[40:41], v[64:65]
	v_fma_f64 v[4:5], v[38:39], v[66:67], -v[4:5]
	v_fmac_f64_e32 v[100:101], v[24:25], v[82:83]
	v_add_f64 v[2:3], v[2:3], v[4:5]
	v_mul_f64 v[4:5], v[44:45], v[74:75]
	v_fmac_f64_e32 v[102:103], v[28:29], v[84:85]
	v_add_f64 v[96:97], v[96:97], v[100:101]
	s_waitcnt vmcnt(8)
	v_fma_f64 v[4:5], v[42:43], v[88:89], -v[4:5]
	v_add_f64 v[96:97], v[96:97], v[102:103]
	v_add_f64 v[2:3], v[2:3], v[4:5]
	v_mul_f64 v[4:5], v[48:49], v[70:71]
	v_fmac_f64_e32 v[106:107], v[36:37], v[86:87]
	v_add_f64 v[96:97], v[96:97], v[104:105]
	v_fma_f64 v[4:5], v[46:47], v[72:73], -v[4:5]
	v_add_f64 v[96:97], v[96:97], v[106:107]
	v_add_f64 v[2:3], v[2:3], v[4:5]
	v_mul_f64 v[4:5], v[52:53], v[80:81]
	v_fmac_f64_e32 v[110:111], v[44:45], v[88:89]
	v_add_f64 v[96:97], v[96:97], v[108:109]
	s_waitcnt vmcnt(6)
	v_fma_f64 v[4:5], v[50:51], v[90:91], -v[4:5]
	v_add_f64 v[96:97], v[96:97], v[110:111]
	v_add_f64 v[2:3], v[2:3], v[4:5]
	s_waitcnt vmcnt(5) lgkmcnt(0)
	v_mul_f64 v[4:5], v[56:57], v[76:77]
	v_fmac_f64_e32 v[114:115], v[52:53], v[90:91]
	v_add_f64 v[96:97], v[96:97], v[112:113]
	v_mul_f64 v[98:99], v[54:55], v[76:77]
	s_waitcnt vmcnt(4)
	v_fma_f64 v[4:5], v[54:55], v[78:79], -v[4:5]
	v_add_f64 v[96:97], v[96:97], v[114:115]
	v_fmac_f64_e32 v[98:99], v[56:57], v[78:79]
	v_add_f64 v[2:3], v[2:3], v[4:5]
	v_add_f64 v[96:97], v[96:97], v[98:99]
	s_waitcnt vmcnt(2)
	v_add_f64 v[2:3], v[92:93], -v[2:3]
	s_waitcnt vmcnt(0)
	v_add_f64 v[4:5], v[94:95], -v[96:97]
	buffer_store_dword v3, off, s[0:3], 0 offset:388
	buffer_store_dword v2, off, s[0:3], 0 offset:384
	;; [unrolled: 1-line block ×4, first 2 shown]
	s_and_saveexec_b64 s[4:5], vcc
	s_cbranch_execz .LBB98_179
; %bb.178:
	v_accvgpr_read_b32 v5, a76
	buffer_load_dword v2, v5, s[0:3], 0 offen
	buffer_load_dword v3, v5, s[0:3], 0 offen offset:4
	buffer_load_dword v4, v5, s[0:3], 0 offen offset:8
	s_nop 0
	buffer_load_dword v5, v5, s[0:3], 0 offen offset:12
	s_nop 0
	buffer_store_dword v12, off, s[0:3], 0 offset:368
	buffer_store_dword v12, off, s[0:3], 0 offset:372
	;; [unrolled: 1-line block ×4, first 2 shown]
	s_waitcnt vmcnt(4)
	ds_write_b128 v1, v[2:5]
.LBB98_179:
	s_or_b64 exec, exec, s[4:5]
	s_waitcnt lgkmcnt(0)
	; wave barrier
	s_waitcnt lgkmcnt(0)
	buffer_load_dword v2, off, s[0:3], 0 offset:384
	buffer_load_dword v3, off, s[0:3], 0 offset:388
	;; [unrolled: 1-line block ×52, first 2 shown]
	ds_read_b128 v[14:17], v12 offset:928
	ds_read_b128 v[18:21], v12 offset:944
	;; [unrolled: 1-line block ×10, first 2 shown]
	v_cmp_lt_u32_e32 vcc, 21, v0
	s_waitcnt vmcnt(48) lgkmcnt(9)
	v_mul_f64 v[54:55], v[14:15], v[6:7]
	v_mul_f64 v[6:7], v[16:17], v[6:7]
	v_fmac_f64_e32 v[54:55], v[16:17], v[2:3]
	v_fma_f64 v[2:3], v[14:15], v[2:3], -v[6:7]
	s_waitcnt vmcnt(44) lgkmcnt(8)
	v_mul_f64 v[56:57], v[18:19], v[8:9]
	v_mul_f64 v[6:7], v[20:21], v[8:9]
	v_fmac_f64_e32 v[56:57], v[20:21], v[4:5]
	v_add_f64 v[2:3], v[2:3], 0
	v_fma_f64 v[4:5], v[18:19], v[4:5], -v[6:7]
	v_add_f64 v[2:3], v[2:3], v[4:5]
	s_waitcnt vmcnt(42) lgkmcnt(7)
	v_mul_f64 v[4:5], v[24:25], v[10:11]
	v_mul_f64 v[58:59], v[22:23], v[10:11]
	v_add_f64 v[54:55], v[54:55], 0
	s_waitcnt vmcnt(36) lgkmcnt(6)
	v_mul_f64 v[60:61], v[26:27], v[66:67]
	v_add_f64 v[54:55], v[54:55], v[56:57]
	s_waitcnt lgkmcnt(5)
	v_mul_f64 v[104:105], v[30:31], v[62:63]
	v_fmac_f64_e32 v[104:105], v[32:33], v[64:65]
	s_waitcnt vmcnt(34) lgkmcnt(3)
	v_mul_f64 v[108:109], v[38:39], v[68:69]
	s_waitcnt vmcnt(30)
	v_mul_f64 v[106:107], v[34:35], v[72:73]
	v_fmac_f64_e32 v[108:109], v[40:41], v[70:71]
	s_waitcnt vmcnt(26) lgkmcnt(2)
	v_mul_f64 v[110:111], v[42:43], v[78:79]
	s_waitcnt vmcnt(25) lgkmcnt(1)
	v_mul_f64 v[112:113], v[46:47], v[74:75]
	s_waitcnt vmcnt(23)
	v_fma_f64 v[4:5], v[22:23], v[80:81], -v[4:5]
	v_add_f64 v[2:3], v[2:3], v[4:5]
	v_mul_f64 v[4:5], v[28:29], v[66:67]
	s_waitcnt vmcnt(21)
	v_fma_f64 v[4:5], v[26:27], v[82:83], -v[4:5]
	v_fmac_f64_e32 v[58:59], v[24:25], v[80:81]
	v_add_f64 v[2:3], v[2:3], v[4:5]
	v_mul_f64 v[4:5], v[32:33], v[62:63]
	v_fmac_f64_e32 v[60:61], v[28:29], v[82:83]
	v_add_f64 v[54:55], v[54:55], v[58:59]
	v_fma_f64 v[4:5], v[30:31], v[64:65], -v[4:5]
	v_add_f64 v[54:55], v[54:55], v[60:61]
	v_add_f64 v[2:3], v[2:3], v[4:5]
	v_mul_f64 v[4:5], v[36:37], v[72:73]
	s_waitcnt vmcnt(19)
	v_fmac_f64_e32 v[106:107], v[36:37], v[84:85]
	v_add_f64 v[54:55], v[54:55], v[104:105]
	v_fma_f64 v[4:5], v[34:35], v[84:85], -v[4:5]
	v_add_f64 v[54:55], v[54:55], v[106:107]
	v_add_f64 v[2:3], v[2:3], v[4:5]
	v_mul_f64 v[4:5], v[40:41], v[68:69]
	s_waitcnt vmcnt(17)
	v_fmac_f64_e32 v[110:111], v[44:45], v[86:87]
	v_add_f64 v[54:55], v[54:55], v[108:109]
	v_fma_f64 v[4:5], v[38:39], v[70:71], -v[4:5]
	s_waitcnt vmcnt(16)
	v_fmac_f64_e32 v[112:113], v[48:49], v[76:77]
	v_add_f64 v[54:55], v[54:55], v[110:111]
	v_add_f64 v[2:3], v[2:3], v[4:5]
	v_mul_f64 v[4:5], v[44:45], v[78:79]
	v_add_f64 v[104:105], v[54:55], v[112:113]
	ds_read_b128 v[54:57], v12 offset:1088
	ds_read_b128 v[58:61], v12 offset:1104
	v_fma_f64 v[4:5], v[42:43], v[86:87], -v[4:5]
	v_add_f64 v[2:3], v[2:3], v[4:5]
	v_mul_f64 v[4:5], v[48:49], v[74:75]
	v_fma_f64 v[4:5], v[46:47], v[76:77], -v[4:5]
	v_add_f64 v[2:3], v[2:3], v[4:5]
	s_waitcnt vmcnt(12) lgkmcnt(2)
	v_mul_f64 v[4:5], v[52:53], v[92:93]
	v_mul_f64 v[106:107], v[50:51], v[92:93]
	s_waitcnt vmcnt(10)
	v_fma_f64 v[4:5], v[50:51], v[94:95], -v[4:5]
	v_fmac_f64_e32 v[106:107], v[52:53], v[94:95]
	v_add_f64 v[2:3], v[2:3], v[4:5]
	s_waitcnt vmcnt(8) lgkmcnt(1)
	v_mul_f64 v[4:5], v[56:57], v[88:89]
	v_add_f64 v[12:13], v[104:105], v[106:107]
	v_mul_f64 v[104:105], v[54:55], v[88:89]
	v_fma_f64 v[4:5], v[54:55], v[90:91], -v[4:5]
	v_fmac_f64_e32 v[104:105], v[56:57], v[90:91]
	v_add_f64 v[2:3], v[2:3], v[4:5]
	s_waitcnt vmcnt(6) lgkmcnt(0)
	v_mul_f64 v[4:5], v[60:61], v[96:97]
	v_add_f64 v[12:13], v[12:13], v[104:105]
	v_mul_f64 v[104:105], v[58:59], v[96:97]
	s_waitcnt vmcnt(4)
	v_fma_f64 v[4:5], v[58:59], v[98:99], -v[4:5]
	v_fmac_f64_e32 v[104:105], v[60:61], v[98:99]
	v_add_f64 v[2:3], v[2:3], v[4:5]
	v_add_f64 v[12:13], v[12:13], v[104:105]
	s_waitcnt vmcnt(2)
	v_add_f64 v[2:3], v[100:101], -v[2:3]
	s_waitcnt vmcnt(0)
	v_add_f64 v[4:5], v[102:103], -v[12:13]
	buffer_store_dword v3, off, s[0:3], 0 offset:372
	buffer_store_dword v2, off, s[0:3], 0 offset:368
	buffer_store_dword v5, off, s[0:3], 0 offset:380
	buffer_store_dword v4, off, s[0:3], 0 offset:376
	s_and_saveexec_b64 s[4:5], vcc
	s_cbranch_execz .LBB98_181
; %bb.180:
	v_accvgpr_read_b32 v5, a77
	buffer_load_dword v2, v5, s[0:3], 0 offen
	buffer_load_dword v3, v5, s[0:3], 0 offen offset:4
	buffer_load_dword v4, v5, s[0:3], 0 offen offset:8
	s_nop 0
	buffer_load_dword v5, v5, s[0:3], 0 offen offset:12
	v_mov_b32_e32 v6, 0
	buffer_store_dword v6, off, s[0:3], 0 offset:352
	buffer_store_dword v6, off, s[0:3], 0 offset:356
	;; [unrolled: 1-line block ×4, first 2 shown]
	s_waitcnt vmcnt(4)
	ds_write_b128 v1, v[2:5]
.LBB98_181:
	s_or_b64 exec, exec, s[4:5]
	s_waitcnt lgkmcnt(0)
	; wave barrier
	s_waitcnt lgkmcnt(0)
	buffer_load_dword v2, off, s[0:3], 0 offset:368
	buffer_load_dword v3, off, s[0:3], 0 offset:372
	;; [unrolled: 1-line block ×56, first 2 shown]
	v_mov_b32_e32 v24, 0
	ds_read_b128 v[18:21], v24 offset:912
	ds_read_b128 v[26:29], v24 offset:928
	ds_read_b128 v[30:33], v24 offset:944
	ds_read_b128 v[34:37], v24 offset:960
	ds_read_b128 v[38:41], v24 offset:976
	ds_read_b128 v[42:45], v24 offset:992
	ds_read_b128 v[46:49], v24 offset:1008
	ds_read_b128 v[50:53], v24 offset:1024
	ds_read_b128 v[70:73], v24 offset:1104
	v_cmp_lt_u32_e32 vcc, 20, v0
	s_waitcnt vmcnt(52) lgkmcnt(8)
	v_mul_f64 v[54:55], v[18:19], v[6:7]
	v_fmac_f64_e32 v[54:55], v[20:21], v[2:3]
	v_mul_f64 v[6:7], v[20:21], v[6:7]
	v_add_f64 v[54:55], v[54:55], 0
	s_waitcnt vmcnt(48) lgkmcnt(7)
	v_mul_f64 v[56:57], v[26:27], v[8:9]
	v_fmac_f64_e32 v[56:57], v[28:29], v[4:5]
	s_waitcnt vmcnt(46) lgkmcnt(6)
	v_mul_f64 v[58:59], v[30:31], v[10:11]
	v_fma_f64 v[2:3], v[18:19], v[2:3], -v[6:7]
	v_mul_f64 v[6:7], v[28:29], v[8:9]
	v_add_f64 v[54:55], v[54:55], v[56:57]
	v_add_f64 v[2:3], v[2:3], 0
	v_fma_f64 v[4:5], v[26:27], v[4:5], -v[6:7]
	s_waitcnt vmcnt(40) lgkmcnt(5)
	v_mul_f64 v[60:61], v[34:35], v[16:17]
	s_waitcnt lgkmcnt(4)
	v_mul_f64 v[62:63], v[38:39], v[12:13]
	v_add_f64 v[2:3], v[2:3], v[4:5]
	v_mul_f64 v[4:5], v[32:33], v[10:11]
	s_waitcnt vmcnt(36) lgkmcnt(3)
	v_mul_f64 v[64:65], v[42:43], v[76:77]
	v_fmac_f64_e32 v[62:63], v[40:41], v[14:15]
	s_waitcnt vmcnt(35) lgkmcnt(2)
	v_mul_f64 v[66:67], v[46:47], v[22:23]
	s_waitcnt vmcnt(33)
	v_fmac_f64_e32 v[58:59], v[32:33], v[78:79]
	v_add_f64 v[54:55], v[54:55], v[58:59]
	s_waitcnt vmcnt(31)
	v_fmac_f64_e32 v[60:61], v[36:37], v[80:81]
	v_add_f64 v[54:55], v[54:55], v[60:61]
	v_fma_f64 v[4:5], v[30:31], v[78:79], -v[4:5]
	s_waitcnt vmcnt(29)
	v_fmac_f64_e32 v[64:65], v[44:45], v[82:83]
	v_add_f64 v[54:55], v[54:55], v[62:63]
	v_add_f64 v[2:3], v[2:3], v[4:5]
	v_mul_f64 v[4:5], v[36:37], v[16:17]
	s_waitcnt vmcnt(28)
	v_fmac_f64_e32 v[66:67], v[48:49], v[74:75]
	v_add_f64 v[54:55], v[54:55], v[64:65]
	v_fma_f64 v[4:5], v[34:35], v[80:81], -v[4:5]
	v_add_f64 v[58:59], v[54:55], v[66:67]
	ds_read_b128 v[54:57], v24 offset:1040
	s_waitcnt vmcnt(24) lgkmcnt(2)
	v_mul_f64 v[60:61], v[50:51], v[88:89]
	v_add_f64 v[2:3], v[2:3], v[4:5]
	v_mul_f64 v[4:5], v[40:41], v[12:13]
	s_waitcnt vmcnt(22)
	v_fmac_f64_e32 v[60:61], v[52:53], v[90:91]
	v_fma_f64 v[4:5], v[38:39], v[14:15], -v[4:5]
	v_add_f64 v[62:63], v[58:59], v[60:61]
	ds_read_b128 v[58:61], v24 offset:1056
	v_add_f64 v[2:3], v[2:3], v[4:5]
	v_mul_f64 v[4:5], v[44:45], v[76:77]
	v_fma_f64 v[4:5], v[42:43], v[82:83], -v[4:5]
	v_add_f64 v[2:3], v[2:3], v[4:5]
	v_mul_f64 v[4:5], v[48:49], v[22:23]
	s_waitcnt vmcnt(20) lgkmcnt(1)
	v_mul_f64 v[64:65], v[54:55], v[84:85]
	v_fma_f64 v[4:5], v[46:47], v[74:75], -v[4:5]
	v_fmac_f64_e32 v[64:65], v[56:57], v[86:87]
	v_add_f64 v[2:3], v[2:3], v[4:5]
	v_mul_f64 v[4:5], v[52:53], v[88:89]
	v_add_f64 v[66:67], v[62:63], v[64:65]
	ds_read_b128 v[62:65], v24 offset:1072
	s_waitcnt vmcnt(16) lgkmcnt(1)
	v_mul_f64 v[68:69], v[58:59], v[96:97]
	v_fma_f64 v[4:5], v[50:51], v[90:91], -v[4:5]
	s_waitcnt vmcnt(14)
	v_fmac_f64_e32 v[68:69], v[60:61], v[98:99]
	v_add_f64 v[2:3], v[2:3], v[4:5]
	v_mul_f64 v[4:5], v[56:57], v[84:85]
	v_add_f64 v[112:113], v[66:67], v[68:69]
	ds_read_b128 v[66:69], v24 offset:1088
	v_fma_f64 v[4:5], v[54:55], v[86:87], -v[4:5]
	v_add_f64 v[2:3], v[2:3], v[4:5]
	v_mul_f64 v[4:5], v[60:61], v[96:97]
	v_fma_f64 v[4:5], v[58:59], v[98:99], -v[4:5]
	v_add_f64 v[2:3], v[2:3], v[4:5]
	s_waitcnt vmcnt(12) lgkmcnt(1)
	v_mul_f64 v[4:5], v[64:65], v[92:93]
	v_mul_f64 v[114:115], v[62:63], v[92:93]
	v_fma_f64 v[4:5], v[62:63], v[94:95], -v[4:5]
	v_fmac_f64_e32 v[114:115], v[64:65], v[94:95]
	v_add_f64 v[2:3], v[2:3], v[4:5]
	s_waitcnt vmcnt(8) lgkmcnt(0)
	v_mul_f64 v[4:5], v[68:69], v[104:105]
	v_add_f64 v[112:113], v[112:113], v[114:115]
	v_mul_f64 v[114:115], v[66:67], v[104:105]
	s_waitcnt vmcnt(6)
	v_fma_f64 v[4:5], v[66:67], v[106:107], -v[4:5]
	v_fmac_f64_e32 v[114:115], v[68:69], v[106:107]
	v_add_f64 v[2:3], v[2:3], v[4:5]
	s_waitcnt vmcnt(5)
	v_mul_f64 v[4:5], v[72:73], v[100:101]
	v_add_f64 v[112:113], v[112:113], v[114:115]
	v_mul_f64 v[114:115], v[70:71], v[100:101]
	s_waitcnt vmcnt(4)
	v_fma_f64 v[4:5], v[70:71], v[102:103], -v[4:5]
	v_fmac_f64_e32 v[114:115], v[72:73], v[102:103]
	v_add_f64 v[2:3], v[2:3], v[4:5]
	v_add_f64 v[112:113], v[112:113], v[114:115]
	s_waitcnt vmcnt(2)
	v_add_f64 v[2:3], v[108:109], -v[2:3]
	s_waitcnt vmcnt(0)
	v_add_f64 v[4:5], v[110:111], -v[112:113]
	buffer_store_dword v3, off, s[0:3], 0 offset:356
	buffer_store_dword v2, off, s[0:3], 0 offset:352
	;; [unrolled: 1-line block ×4, first 2 shown]
	s_and_saveexec_b64 s[4:5], vcc
	s_cbranch_execz .LBB98_183
; %bb.182:
	v_accvgpr_read_b32 v5, a78
	buffer_load_dword v2, v5, s[0:3], 0 offen
	buffer_load_dword v3, v5, s[0:3], 0 offen offset:4
	buffer_load_dword v4, v5, s[0:3], 0 offen offset:8
	s_nop 0
	buffer_load_dword v5, v5, s[0:3], 0 offen offset:12
	s_nop 0
	buffer_store_dword v24, off, s[0:3], 0 offset:336
	buffer_store_dword v24, off, s[0:3], 0 offset:340
	;; [unrolled: 1-line block ×4, first 2 shown]
	s_waitcnt vmcnt(4)
	ds_write_b128 v1, v[2:5]
.LBB98_183:
	s_or_b64 exec, exec, s[4:5]
	s_waitcnt lgkmcnt(0)
	; wave barrier
	s_waitcnt lgkmcnt(0)
	buffer_load_dword v2, off, s[0:3], 0 offset:352
	buffer_load_dword v3, off, s[0:3], 0 offset:356
	;; [unrolled: 1-line block ×60, first 2 shown]
	ds_read_b128 v[26:29], v24 offset:896
	ds_read_b128 v[30:33], v24 offset:912
	;; [unrolled: 1-line block ×8, first 2 shown]
	v_cmp_lt_u32_e32 vcc, 19, v0
	ds_read_b128 v[78:81], v24 offset:1104
	s_waitcnt vmcnt(56) lgkmcnt(8)
	v_mul_f64 v[58:59], v[26:27], v[6:7]
	v_fmac_f64_e32 v[58:59], v[28:29], v[2:3]
	v_add_f64 v[58:59], v[58:59], 0
	v_mul_f64 v[6:7], v[28:29], v[6:7]
	s_waitcnt vmcnt(52) lgkmcnt(7)
	v_mul_f64 v[60:61], v[30:31], v[8:9]
	v_fmac_f64_e32 v[60:61], v[32:33], v[4:5]
	s_waitcnt vmcnt(50) lgkmcnt(6)
	v_mul_f64 v[62:63], v[34:35], v[10:11]
	v_add_f64 v[58:59], v[58:59], v[60:61]
	s_waitcnt vmcnt(48) lgkmcnt(4)
	v_mul_f64 v[66:67], v[42:43], v[12:13]
	v_fma_f64 v[2:3], v[26:27], v[2:3], -v[6:7]
	s_waitcnt vmcnt(46)
	v_fmac_f64_e32 v[66:67], v[44:45], v[14:15]
	v_mul_f64 v[6:7], v[32:33], v[8:9]
	s_waitcnt vmcnt(44)
	v_mul_f64 v[64:65], v[38:39], v[16:17]
	v_add_f64 v[2:3], v[2:3], 0
	v_fma_f64 v[4:5], v[30:31], v[4:5], -v[6:7]
	v_add_f64 v[2:3], v[2:3], v[4:5]
	s_waitcnt vmcnt(40) lgkmcnt(3)
	v_mul_f64 v[68:69], v[46:47], v[22:23]
	v_mul_f64 v[4:5], v[36:37], v[10:11]
	s_waitcnt vmcnt(38)
	v_fmac_f64_e32 v[62:63], v[36:37], v[82:83]
	v_add_f64 v[58:59], v[58:59], v[62:63]
	s_waitcnt vmcnt(36)
	v_fmac_f64_e32 v[64:65], v[40:41], v[84:85]
	v_add_f64 v[58:59], v[58:59], v[64:65]
	;; [unrolled: 3-line block ×3, first 2 shown]
	s_waitcnt vmcnt(32) lgkmcnt(2)
	v_mul_f64 v[60:61], v[50:51], v[18:19]
	v_add_f64 v[58:59], v[58:59], v[68:69]
	v_fmac_f64_e32 v[60:61], v[52:53], v[20:21]
	v_add_f64 v[62:63], v[58:59], v[60:61]
	ds_read_b128 v[58:61], v24 offset:1024
	v_fma_f64 v[4:5], v[34:35], v[82:83], -v[4:5]
	v_add_f64 v[2:3], v[2:3], v[4:5]
	v_mul_f64 v[4:5], v[40:41], v[16:17]
	v_fma_f64 v[4:5], v[38:39], v[84:85], -v[4:5]
	s_waitcnt vmcnt(28) lgkmcnt(2)
	v_mul_f64 v[64:65], v[54:55], v[92:93]
	v_add_f64 v[2:3], v[2:3], v[4:5]
	v_mul_f64 v[4:5], v[44:45], v[12:13]
	s_waitcnt vmcnt(26)
	v_fmac_f64_e32 v[64:65], v[56:57], v[94:95]
	v_fma_f64 v[4:5], v[42:43], v[14:15], -v[4:5]
	v_add_f64 v[66:67], v[62:63], v[64:65]
	ds_read_b128 v[62:65], v24 offset:1040
	s_waitcnt vmcnt(24) lgkmcnt(1)
	v_mul_f64 v[68:69], v[58:59], v[88:89]
	v_add_f64 v[2:3], v[2:3], v[4:5]
	v_mul_f64 v[4:5], v[48:49], v[22:23]
	v_fmac_f64_e32 v[68:69], v[60:61], v[90:91]
	v_fma_f64 v[4:5], v[46:47], v[86:87], -v[4:5]
	v_add_f64 v[70:71], v[66:67], v[68:69]
	ds_read_b128 v[66:69], v24 offset:1056
	v_add_f64 v[2:3], v[2:3], v[4:5]
	v_mul_f64 v[4:5], v[52:53], v[18:19]
	v_fma_f64 v[4:5], v[50:51], v[20:21], -v[4:5]
	v_add_f64 v[2:3], v[2:3], v[4:5]
	v_mul_f64 v[4:5], v[56:57], v[92:93]
	s_waitcnt vmcnt(20) lgkmcnt(1)
	v_mul_f64 v[72:73], v[62:63], v[100:101]
	v_fma_f64 v[4:5], v[54:55], v[94:95], -v[4:5]
	s_waitcnt vmcnt(18)
	v_fmac_f64_e32 v[72:73], v[64:65], v[102:103]
	v_add_f64 v[2:3], v[2:3], v[4:5]
	v_mul_f64 v[4:5], v[60:61], v[88:89]
	v_add_f64 v[74:75], v[70:71], v[72:73]
	ds_read_b128 v[70:73], v24 offset:1072
	s_waitcnt vmcnt(16) lgkmcnt(1)
	v_mul_f64 v[76:77], v[66:67], v[96:97]
	v_fma_f64 v[4:5], v[58:59], v[90:91], -v[4:5]
	v_fmac_f64_e32 v[76:77], v[68:69], v[98:99]
	v_add_f64 v[2:3], v[2:3], v[4:5]
	v_mul_f64 v[4:5], v[64:65], v[100:101]
	v_add_f64 v[122:123], v[74:75], v[76:77]
	ds_read_b128 v[74:77], v24 offset:1088
	v_fma_f64 v[4:5], v[62:63], v[102:103], -v[4:5]
	v_add_f64 v[2:3], v[2:3], v[4:5]
	v_mul_f64 v[4:5], v[68:69], v[96:97]
	v_fma_f64 v[4:5], v[66:67], v[98:99], -v[4:5]
	v_add_f64 v[2:3], v[2:3], v[4:5]
	s_waitcnt vmcnt(12) lgkmcnt(1)
	v_mul_f64 v[4:5], v[72:73], v[108:109]
	v_mul_f64 v[124:125], v[70:71], v[108:109]
	s_waitcnt vmcnt(10)
	v_fma_f64 v[4:5], v[70:71], v[110:111], -v[4:5]
	v_fmac_f64_e32 v[124:125], v[72:73], v[110:111]
	v_add_f64 v[2:3], v[2:3], v[4:5]
	s_waitcnt vmcnt(8) lgkmcnt(0)
	v_mul_f64 v[4:5], v[76:77], v[104:105]
	v_add_f64 v[24:25], v[122:123], v[124:125]
	v_mul_f64 v[122:123], v[74:75], v[104:105]
	v_fma_f64 v[4:5], v[74:75], v[106:107], -v[4:5]
	v_fmac_f64_e32 v[122:123], v[76:77], v[106:107]
	v_add_f64 v[2:3], v[2:3], v[4:5]
	s_waitcnt vmcnt(6)
	v_mul_f64 v[4:5], v[80:81], v[112:113]
	v_add_f64 v[24:25], v[24:25], v[122:123]
	v_mul_f64 v[122:123], v[78:79], v[112:113]
	s_waitcnt vmcnt(4)
	v_fma_f64 v[4:5], v[78:79], v[114:115], -v[4:5]
	v_fmac_f64_e32 v[122:123], v[80:81], v[114:115]
	v_add_f64 v[2:3], v[2:3], v[4:5]
	v_add_f64 v[24:25], v[24:25], v[122:123]
	s_waitcnt vmcnt(2)
	v_add_f64 v[2:3], v[116:117], -v[2:3]
	s_waitcnt vmcnt(0)
	v_add_f64 v[4:5], v[120:121], -v[24:25]
	buffer_store_dword v3, off, s[0:3], 0 offset:340
	buffer_store_dword v2, off, s[0:3], 0 offset:336
	;; [unrolled: 1-line block ×4, first 2 shown]
	s_and_saveexec_b64 s[4:5], vcc
	s_cbranch_execz .LBB98_185
; %bb.184:
	v_accvgpr_read_b32 v5, a79
	buffer_load_dword v2, v5, s[0:3], 0 offen
	buffer_load_dword v3, v5, s[0:3], 0 offen offset:4
	buffer_load_dword v4, v5, s[0:3], 0 offen offset:8
	s_nop 0
	buffer_load_dword v5, v5, s[0:3], 0 offen offset:12
	v_mov_b32_e32 v6, 0
	buffer_store_dword v6, off, s[0:3], 0 offset:320
	buffer_store_dword v6, off, s[0:3], 0 offset:324
	buffer_store_dword v6, off, s[0:3], 0 offset:328
	buffer_store_dword v6, off, s[0:3], 0 offset:332
	s_waitcnt vmcnt(4)
	ds_write_b128 v1, v[2:5]
.LBB98_185:
	s_or_b64 exec, exec, s[4:5]
	s_waitcnt lgkmcnt(0)
	; wave barrier
	s_waitcnt lgkmcnt(0)
	buffer_load_dword v2, off, s[0:3], 0 offset:336
	buffer_load_dword v3, off, s[0:3], 0 offset:340
	;; [unrolled: 1-line block ×64, first 2 shown]
	v_mov_b32_e32 v38, 0
	ds_read_b128 v[30:33], v38 offset:880
	ds_read_b128 v[34:37], v38 offset:896
	;; [unrolled: 1-line block ×7, first 2 shown]
	v_cmp_lt_u32_e32 vcc, 18, v0
	s_waitcnt vmcnt(60) lgkmcnt(6)
	v_mul_f64 v[56:57], v[30:31], v[6:7]
	v_fmac_f64_e32 v[56:57], v[32:33], v[2:3]
	v_add_f64 v[56:57], v[56:57], 0
	v_mul_f64 v[6:7], v[32:33], v[6:7]
	s_waitcnt vmcnt(56) lgkmcnt(5)
	v_mul_f64 v[58:59], v[34:35], v[8:9]
	v_fmac_f64_e32 v[58:59], v[36:37], v[4:5]
	s_waitcnt vmcnt(54) lgkmcnt(4)
	v_mul_f64 v[60:61], v[40:41], v[10:11]
	v_add_f64 v[56:57], v[56:57], v[58:59]
	v_fma_f64 v[2:3], v[30:31], v[2:3], -v[6:7]
	v_mul_f64 v[6:7], v[36:37], v[8:9]
	s_waitcnt vmcnt(50) lgkmcnt(3)
	v_mul_f64 v[62:63], v[44:45], v[16:17]
	s_waitcnt vmcnt(49) lgkmcnt(2)
	v_mul_f64 v[64:65], v[48:49], v[12:13]
	v_add_f64 v[2:3], v[2:3], 0
	s_waitcnt vmcnt(47)
	v_fmac_f64_e32 v[60:61], v[42:43], v[20:21]
	v_add_f64 v[56:57], v[56:57], v[60:61]
	s_waitcnt vmcnt(45)
	v_fmac_f64_e32 v[62:63], v[46:47], v[18:19]
	;; [unrolled: 3-line block ×3, first 2 shown]
	v_add_f64 v[60:61], v[56:57], v[64:65]
	ds_read_b128 v[56:59], v38 offset:976
	s_waitcnt vmcnt(40) lgkmcnt(2)
	v_mul_f64 v[62:63], v[52:53], v[26:27]
	v_fma_f64 v[4:5], v[34:35], v[4:5], -v[6:7]
	s_waitcnt vmcnt(38)
	v_fmac_f64_e32 v[62:63], v[54:55], v[28:29]
	v_add_f64 v[64:65], v[60:61], v[62:63]
	ds_read_b128 v[60:63], v38 offset:992
	s_waitcnt vmcnt(36) lgkmcnt(1)
	v_mul_f64 v[66:67], v[56:57], v[22:23]
	v_fmac_f64_e32 v[66:67], v[58:59], v[24:25]
	v_add_f64 v[2:3], v[2:3], v[4:5]
	v_mul_f64 v[4:5], v[42:43], v[10:11]
	v_add_f64 v[68:69], v[64:65], v[66:67]
	ds_read_b128 v[64:67], v38 offset:1008
	s_waitcnt vmcnt(32) lgkmcnt(1)
	v_mul_f64 v[70:71], v[60:61], v[96:97]
	v_fma_f64 v[4:5], v[40:41], v[20:21], -v[4:5]
	s_waitcnt vmcnt(30)
	v_fmac_f64_e32 v[70:71], v[62:63], v[98:99]
	v_add_f64 v[2:3], v[2:3], v[4:5]
	v_mul_f64 v[4:5], v[46:47], v[16:17]
	v_add_f64 v[72:73], v[68:69], v[70:71]
	ds_read_b128 v[68:71], v38 offset:1024
	v_fma_f64 v[4:5], v[44:45], v[18:19], -v[4:5]
	v_add_f64 v[2:3], v[2:3], v[4:5]
	v_mul_f64 v[4:5], v[50:51], v[12:13]
	v_fma_f64 v[4:5], v[48:49], v[14:15], -v[4:5]
	s_waitcnt vmcnt(28) lgkmcnt(1)
	v_mul_f64 v[74:75], v[64:65], v[92:93]
	v_add_f64 v[2:3], v[2:3], v[4:5]
	v_mul_f64 v[4:5], v[54:55], v[26:27]
	v_fmac_f64_e32 v[74:75], v[66:67], v[94:95]
	v_fma_f64 v[4:5], v[52:53], v[28:29], -v[4:5]
	v_add_f64 v[76:77], v[72:73], v[74:75]
	ds_read_b128 v[72:75], v38 offset:1040
	s_waitcnt vmcnt(24) lgkmcnt(1)
	v_mul_f64 v[78:79], v[68:69], v[104:105]
	v_add_f64 v[2:3], v[2:3], v[4:5]
	v_mul_f64 v[4:5], v[58:59], v[22:23]
	s_waitcnt vmcnt(22)
	v_fmac_f64_e32 v[78:79], v[70:71], v[106:107]
	v_fma_f64 v[4:5], v[56:57], v[24:25], -v[4:5]
	v_add_f64 v[80:81], v[76:77], v[78:79]
	ds_read_b128 v[76:79], v38 offset:1056
	v_add_f64 v[2:3], v[2:3], v[4:5]
	v_mul_f64 v[4:5], v[62:63], v[96:97]
	v_fma_f64 v[4:5], v[60:61], v[98:99], -v[4:5]
	v_add_f64 v[2:3], v[2:3], v[4:5]
	v_mul_f64 v[4:5], v[66:67], v[92:93]
	s_waitcnt vmcnt(20) lgkmcnt(1)
	v_mul_f64 v[82:83], v[72:73], v[100:101]
	v_fma_f64 v[4:5], v[64:65], v[94:95], -v[4:5]
	v_fmac_f64_e32 v[82:83], v[74:75], v[102:103]
	v_add_f64 v[2:3], v[2:3], v[4:5]
	v_mul_f64 v[4:5], v[70:71], v[104:105]
	v_add_f64 v[84:85], v[80:81], v[82:83]
	ds_read_b128 v[80:83], v38 offset:1072
	s_waitcnt vmcnt(16) lgkmcnt(1)
	v_mul_f64 v[86:87], v[76:77], v[112:113]
	v_fma_f64 v[4:5], v[68:69], v[106:107], -v[4:5]
	s_waitcnt vmcnt(14)
	v_fmac_f64_e32 v[86:87], v[78:79], v[114:115]
	v_add_f64 v[2:3], v[2:3], v[4:5]
	v_mul_f64 v[4:5], v[74:75], v[100:101]
	v_add_f64 v[130:131], v[84:85], v[86:87]
	ds_read_b128 v[84:87], v38 offset:1088
	v_fma_f64 v[4:5], v[72:73], v[102:103], -v[4:5]
	v_add_f64 v[2:3], v[2:3], v[4:5]
	v_mul_f64 v[4:5], v[78:79], v[112:113]
	v_fma_f64 v[4:5], v[76:77], v[114:115], -v[4:5]
	v_add_f64 v[2:3], v[2:3], v[4:5]
	s_waitcnt vmcnt(12) lgkmcnt(1)
	v_mul_f64 v[4:5], v[82:83], v[108:109]
	v_mul_f64 v[132:133], v[80:81], v[108:109]
	v_fma_f64 v[4:5], v[80:81], v[110:111], -v[4:5]
	v_fmac_f64_e32 v[132:133], v[82:83], v[110:111]
	v_add_f64 v[2:3], v[2:3], v[4:5]
	s_waitcnt vmcnt(8) lgkmcnt(0)
	v_mul_f64 v[4:5], v[86:87], v[122:123]
	v_add_f64 v[130:131], v[130:131], v[132:133]
	v_mul_f64 v[132:133], v[84:85], v[122:123]
	s_waitcnt vmcnt(6)
	v_fma_f64 v[4:5], v[84:85], v[124:125], -v[4:5]
	v_fmac_f64_e32 v[132:133], v[86:87], v[124:125]
	v_add_f64 v[2:3], v[2:3], v[4:5]
	s_waitcnt vmcnt(5)
	v_mul_f64 v[4:5], v[90:91], v[116:117]
	v_add_f64 v[130:131], v[130:131], v[132:133]
	v_mul_f64 v[132:133], v[88:89], v[116:117]
	s_waitcnt vmcnt(4)
	v_fma_f64 v[4:5], v[88:89], v[120:121], -v[4:5]
	v_fmac_f64_e32 v[132:133], v[90:91], v[120:121]
	v_add_f64 v[2:3], v[2:3], v[4:5]
	v_add_f64 v[130:131], v[130:131], v[132:133]
	s_waitcnt vmcnt(2)
	v_add_f64 v[2:3], v[126:127], -v[2:3]
	s_waitcnt vmcnt(0)
	v_add_f64 v[4:5], v[128:129], -v[130:131]
	buffer_store_dword v3, off, s[0:3], 0 offset:324
	buffer_store_dword v2, off, s[0:3], 0 offset:320
	;; [unrolled: 1-line block ×4, first 2 shown]
	s_and_saveexec_b64 s[4:5], vcc
	s_cbranch_execz .LBB98_187
; %bb.186:
	v_accvgpr_read_b32 v5, a80
	buffer_load_dword v2, v5, s[0:3], 0 offen
	buffer_load_dword v3, v5, s[0:3], 0 offen offset:4
	buffer_load_dword v4, v5, s[0:3], 0 offen offset:8
	s_nop 0
	buffer_load_dword v5, v5, s[0:3], 0 offen offset:12
	s_nop 0
	buffer_store_dword v38, off, s[0:3], 0 offset:304
	buffer_store_dword v38, off, s[0:3], 0 offset:308
	buffer_store_dword v38, off, s[0:3], 0 offset:312
	buffer_store_dword v38, off, s[0:3], 0 offset:316
	s_waitcnt vmcnt(4)
	ds_write_b128 v1, v[2:5]
.LBB98_187:
	s_or_b64 exec, exec, s[4:5]
	s_waitcnt lgkmcnt(0)
	; wave barrier
	s_waitcnt lgkmcnt(0)
	buffer_load_dword v2, off, s[0:3], 0 offset:320
	buffer_load_dword v3, off, s[0:3], 0 offset:324
	;; [unrolled: 1-line block ×64, first 2 shown]
	ds_read_b128 v[40:43], v38 offset:864
	ds_read_b128 v[44:47], v38 offset:880
	;; [unrolled: 1-line block ×4, first 2 shown]
	buffer_load_dword v134, off, s[0:3], 0 offset:304
	buffer_load_dword v135, off, s[0:3], 0 offset:308
	;; [unrolled: 1-line block ×4, first 2 shown]
	v_cmp_lt_u32_e32 vcc, 17, v0
	ds_read_b128 v[100:103], v38 offset:1104
	s_waitcnt vmcnt(62) lgkmcnt(4)
	v_mul_f64 v[56:57], v[40:41], v[4:5]
	v_fmac_f64_e32 v[56:57], v[42:43], v[2:3]
	s_waitcnt lgkmcnt(3)
	v_mul_f64 v[58:59], v[44:45], v[6:7]
	v_add_f64 v[56:57], v[56:57], 0
	s_waitcnt vmcnt(60) lgkmcnt(2)
	v_mul_f64 v[60:61], v[48:49], v[8:9]
	v_mul_f64 v[4:5], v[42:43], v[4:5]
	v_fma_f64 v[2:3], v[40:41], v[2:3], -v[4:5]
	v_mul_f64 v[4:5], v[46:47], v[6:7]
	s_waitcnt vmcnt(56) lgkmcnt(1)
	v_mul_f64 v[62:63], v[52:53], v[14:15]
	v_add_f64 v[2:3], v[2:3], 0
	s_waitcnt vmcnt(54)
	v_fmac_f64_e32 v[58:59], v[46:47], v[20:21]
	v_add_f64 v[64:65], v[56:57], v[58:59]
	ds_read_b128 v[56:59], v38 offset:928
	s_waitcnt vmcnt(52)
	v_fmac_f64_e32 v[60:61], v[50:51], v[18:19]
	v_add_f64 v[60:61], v[64:65], v[60:61]
	s_waitcnt vmcnt(50)
	v_fmac_f64_e32 v[62:63], v[54:55], v[16:17]
	v_add_f64 v[64:65], v[60:61], v[62:63]
	ds_read_b128 v[60:63], v38 offset:944
	s_waitcnt vmcnt(48) lgkmcnt(1)
	v_mul_f64 v[66:67], v[56:57], v[10:11]
	v_fmac_f64_e32 v[66:67], v[58:59], v[12:13]
	v_add_f64 v[68:69], v[64:65], v[66:67]
	ds_read_b128 v[64:67], v38 offset:960
	s_waitcnt vmcnt(44) lgkmcnt(1)
	v_mul_f64 v[70:71], v[60:61], v[26:27]
	s_waitcnt vmcnt(42)
	v_fmac_f64_e32 v[70:71], v[62:63], v[28:29]
	v_add_f64 v[72:73], v[68:69], v[70:71]
	ds_read_b128 v[68:71], v38 offset:976
	s_waitcnt vmcnt(40) lgkmcnt(1)
	v_mul_f64 v[74:75], v[64:65], v[22:23]
	v_fmac_f64_e32 v[74:75], v[66:67], v[24:25]
	v_add_f64 v[76:77], v[72:73], v[74:75]
	ds_read_b128 v[72:75], v38 offset:992
	v_fma_f64 v[4:5], v[44:45], v[20:21], -v[4:5]
	v_add_f64 v[2:3], v[2:3], v[4:5]
	v_mul_f64 v[4:5], v[50:51], v[8:9]
	s_waitcnt vmcnt(36) lgkmcnt(1)
	v_mul_f64 v[78:79], v[68:69], v[34:35]
	v_fma_f64 v[4:5], v[48:49], v[18:19], -v[4:5]
	s_waitcnt vmcnt(34)
	v_fmac_f64_e32 v[78:79], v[70:71], v[36:37]
	v_add_f64 v[2:3], v[2:3], v[4:5]
	v_mul_f64 v[4:5], v[54:55], v[14:15]
	v_add_f64 v[80:81], v[76:77], v[78:79]
	ds_read_b128 v[76:79], v38 offset:1008
	s_waitcnt vmcnt(32) lgkmcnt(1)
	v_mul_f64 v[82:83], v[72:73], v[30:31]
	v_fma_f64 v[4:5], v[52:53], v[16:17], -v[4:5]
	v_fmac_f64_e32 v[82:83], v[74:75], v[32:33]
	v_add_f64 v[2:3], v[2:3], v[4:5]
	v_mul_f64 v[4:5], v[58:59], v[10:11]
	v_add_f64 v[84:85], v[80:81], v[82:83]
	ds_read_b128 v[80:83], v38 offset:1024
	v_fma_f64 v[4:5], v[56:57], v[12:13], -v[4:5]
	v_add_f64 v[2:3], v[2:3], v[4:5]
	v_mul_f64 v[4:5], v[62:63], v[26:27]
	v_fma_f64 v[4:5], v[60:61], v[28:29], -v[4:5]
	s_waitcnt vmcnt(28) lgkmcnt(1)
	v_mul_f64 v[86:87], v[76:77], v[108:109]
	v_add_f64 v[2:3], v[2:3], v[4:5]
	v_mul_f64 v[4:5], v[66:67], v[22:23]
	s_waitcnt vmcnt(26)
	v_fmac_f64_e32 v[86:87], v[78:79], v[110:111]
	v_fma_f64 v[4:5], v[64:65], v[24:25], -v[4:5]
	v_add_f64 v[88:89], v[84:85], v[86:87]
	ds_read_b128 v[84:87], v38 offset:1040
	s_waitcnt vmcnt(24) lgkmcnt(1)
	v_mul_f64 v[90:91], v[80:81], v[104:105]
	v_add_f64 v[2:3], v[2:3], v[4:5]
	v_mul_f64 v[4:5], v[70:71], v[34:35]
	v_fmac_f64_e32 v[90:91], v[82:83], v[106:107]
	v_fma_f64 v[4:5], v[68:69], v[36:37], -v[4:5]
	v_add_f64 v[92:93], v[88:89], v[90:91]
	ds_read_b128 v[88:91], v38 offset:1056
	v_add_f64 v[2:3], v[2:3], v[4:5]
	v_mul_f64 v[4:5], v[74:75], v[30:31]
	v_fma_f64 v[4:5], v[72:73], v[32:33], -v[4:5]
	v_add_f64 v[2:3], v[2:3], v[4:5]
	v_mul_f64 v[4:5], v[78:79], v[108:109]
	s_waitcnt vmcnt(20) lgkmcnt(1)
	v_mul_f64 v[94:95], v[84:85], v[116:117]
	v_fma_f64 v[4:5], v[76:77], v[110:111], -v[4:5]
	s_waitcnt vmcnt(18)
	v_fmac_f64_e32 v[94:95], v[86:87], v[120:121]
	v_add_f64 v[2:3], v[2:3], v[4:5]
	v_mul_f64 v[4:5], v[82:83], v[104:105]
	v_add_f64 v[96:97], v[92:93], v[94:95]
	ds_read_b128 v[92:95], v38 offset:1072
	s_waitcnt vmcnt(16) lgkmcnt(1)
	v_mul_f64 v[98:99], v[88:89], v[112:113]
	v_fma_f64 v[4:5], v[80:81], v[106:107], -v[4:5]
	v_fmac_f64_e32 v[98:99], v[90:91], v[114:115]
	v_add_f64 v[2:3], v[2:3], v[4:5]
	v_mul_f64 v[4:5], v[86:87], v[116:117]
	v_add_f64 v[138:139], v[96:97], v[98:99]
	ds_read_b128 v[96:99], v38 offset:1088
	v_fma_f64 v[4:5], v[84:85], v[120:121], -v[4:5]
	v_add_f64 v[2:3], v[2:3], v[4:5]
	v_mul_f64 v[4:5], v[90:91], v[112:113]
	v_fma_f64 v[4:5], v[88:89], v[114:115], -v[4:5]
	v_add_f64 v[2:3], v[2:3], v[4:5]
	s_waitcnt vmcnt(12) lgkmcnt(1)
	v_mul_f64 v[4:5], v[94:95], v[126:127]
	v_mul_f64 v[140:141], v[92:93], v[126:127]
	s_waitcnt vmcnt(10)
	v_fma_f64 v[4:5], v[92:93], v[128:129], -v[4:5]
	v_fmac_f64_e32 v[140:141], v[94:95], v[128:129]
	v_add_f64 v[2:3], v[2:3], v[4:5]
	s_waitcnt vmcnt(8) lgkmcnt(0)
	v_mul_f64 v[4:5], v[98:99], v[122:123]
	v_add_f64 v[38:39], v[138:139], v[140:141]
	v_mul_f64 v[138:139], v[96:97], v[122:123]
	v_fma_f64 v[4:5], v[96:97], v[124:125], -v[4:5]
	v_fmac_f64_e32 v[138:139], v[98:99], v[124:125]
	v_add_f64 v[2:3], v[2:3], v[4:5]
	s_waitcnt vmcnt(6)
	v_mul_f64 v[4:5], v[102:103], v[130:131]
	v_add_f64 v[38:39], v[38:39], v[138:139]
	v_mul_f64 v[138:139], v[100:101], v[130:131]
	s_waitcnt vmcnt(4)
	v_fma_f64 v[4:5], v[100:101], v[132:133], -v[4:5]
	v_fmac_f64_e32 v[138:139], v[102:103], v[132:133]
	v_add_f64 v[2:3], v[2:3], v[4:5]
	v_add_f64 v[38:39], v[38:39], v[138:139]
	s_waitcnt vmcnt(2)
	v_add_f64 v[2:3], v[134:135], -v[2:3]
	s_waitcnt vmcnt(0)
	v_add_f64 v[4:5], v[136:137], -v[38:39]
	buffer_store_dword v3, off, s[0:3], 0 offset:308
	buffer_store_dword v2, off, s[0:3], 0 offset:304
	;; [unrolled: 1-line block ×4, first 2 shown]
	s_and_saveexec_b64 s[4:5], vcc
	s_cbranch_execz .LBB98_189
; %bb.188:
	v_accvgpr_read_b32 v5, a81
	buffer_load_dword v2, v5, s[0:3], 0 offen
	buffer_load_dword v3, v5, s[0:3], 0 offen offset:4
	buffer_load_dword v4, v5, s[0:3], 0 offen offset:8
	s_nop 0
	buffer_load_dword v5, v5, s[0:3], 0 offen offset:12
	v_mov_b32_e32 v6, 0
	buffer_store_dword v6, off, s[0:3], 0 offset:288
	buffer_store_dword v6, off, s[0:3], 0 offset:292
	buffer_store_dword v6, off, s[0:3], 0 offset:296
	buffer_store_dword v6, off, s[0:3], 0 offset:300
	s_waitcnt vmcnt(4)
	ds_write_b128 v1, v[2:5]
.LBB98_189:
	s_or_b64 exec, exec, s[4:5]
	s_waitcnt lgkmcnt(0)
	; wave barrier
	s_waitcnt lgkmcnt(0)
	buffer_load_dword v2, off, s[0:3], 0 offset:304
	buffer_load_dword v3, off, s[0:3], 0 offset:308
	;; [unrolled: 1-line block ×68, first 2 shown]
	v_mov_b32_e32 v52, 0
	ds_read_b128 v[42:45], v52 offset:848
	ds_read_b128 v[46:49], v52 offset:864
	buffer_load_dword v142, off, s[0:3], 0 offset:288
	buffer_load_dword v143, off, s[0:3], 0 offset:292
	;; [unrolled: 1-line block ×4, first 2 shown]
	ds_read_b128 v[54:57], v52 offset:880
	ds_read_b128 v[58:61], v52 offset:896
	;; [unrolled: 1-line block ×3, first 2 shown]
	v_cmp_lt_u32_e32 vcc, 16, v0
	s_waitcnt vmcnt(62) lgkmcnt(4)
	v_mul_f64 v[62:63], v[42:43], v[8:9]
	v_fmac_f64_e32 v[62:63], v[44:45], v[2:3]
	v_add_f64 v[62:63], v[62:63], 0
	v_mul_f64 v[8:9], v[44:45], v[8:9]
	s_waitcnt lgkmcnt(3)
	v_mul_f64 v[64:65], v[46:47], v[10:11]
	v_fmac_f64_e32 v[64:65], v[48:49], v[4:5]
	v_add_f64 v[62:63], v[62:63], v[64:65]
	v_fma_f64 v[2:3], v[42:43], v[2:3], -v[8:9]
	s_waitcnt vmcnt(60) lgkmcnt(2)
	v_mul_f64 v[64:65], v[54:55], v[12:13]
	v_fmac_f64_e32 v[64:65], v[56:57], v[6:7]
	v_add_f64 v[66:67], v[62:63], v[64:65]
	ds_read_b128 v[62:65], v52 offset:912
	s_waitcnt vmcnt(56) lgkmcnt(2)
	v_mul_f64 v[68:69], v[58:59], v[18:19]
	v_mul_f64 v[8:9], v[48:49], v[10:11]
	s_waitcnt vmcnt(54)
	v_fmac_f64_e32 v[68:69], v[60:61], v[20:21]
	v_add_f64 v[70:71], v[66:67], v[68:69]
	ds_read_b128 v[66:69], v52 offset:928
	s_waitcnt vmcnt(52) lgkmcnt(1)
	v_mul_f64 v[72:73], v[62:63], v[14:15]
	v_fmac_f64_e32 v[72:73], v[64:65], v[16:17]
	v_add_f64 v[74:75], v[70:71], v[72:73]
	ds_read_b128 v[70:73], v52 offset:944
	s_waitcnt vmcnt(48) lgkmcnt(1)
	v_mul_f64 v[76:77], v[66:67], v[26:27]
	s_waitcnt vmcnt(46)
	v_fmac_f64_e32 v[76:77], v[68:69], v[28:29]
	v_add_f64 v[78:79], v[74:75], v[76:77]
	ds_read_b128 v[74:77], v52 offset:960
	s_waitcnt vmcnt(44) lgkmcnt(1)
	v_mul_f64 v[80:81], v[70:71], v[22:23]
	v_fmac_f64_e32 v[80:81], v[72:73], v[24:25]
	v_add_f64 v[82:83], v[78:79], v[80:81]
	ds_read_b128 v[78:81], v52 offset:976
	s_waitcnt vmcnt(40) lgkmcnt(1)
	v_mul_f64 v[84:85], v[74:75], v[34:35]
	s_waitcnt vmcnt(38)
	v_fmac_f64_e32 v[84:85], v[76:77], v[36:37]
	v_add_f64 v[2:3], v[2:3], 0
	v_fma_f64 v[4:5], v[46:47], v[4:5], -v[8:9]
	v_add_f64 v[86:87], v[82:83], v[84:85]
	ds_read_b128 v[82:85], v52 offset:992
	v_add_f64 v[2:3], v[2:3], v[4:5]
	v_mul_f64 v[4:5], v[56:57], v[12:13]
	v_fma_f64 v[4:5], v[54:55], v[6:7], -v[4:5]
	v_add_f64 v[2:3], v[2:3], v[4:5]
	v_mul_f64 v[4:5], v[60:61], v[18:19]
	s_waitcnt vmcnt(36) lgkmcnt(1)
	v_mul_f64 v[88:89], v[78:79], v[30:31]
	v_fma_f64 v[4:5], v[58:59], v[20:21], -v[4:5]
	v_fmac_f64_e32 v[88:89], v[80:81], v[32:33]
	v_add_f64 v[2:3], v[2:3], v[4:5]
	v_mul_f64 v[4:5], v[64:65], v[14:15]
	v_add_f64 v[90:91], v[86:87], v[88:89]
	ds_read_b128 v[86:89], v52 offset:1008
	s_waitcnt vmcnt(32) lgkmcnt(1)
	v_mul_f64 v[92:93], v[82:83], v[50:51]
	v_fma_f64 v[4:5], v[62:63], v[16:17], -v[4:5]
	s_waitcnt vmcnt(30)
	v_fmac_f64_e32 v[92:93], v[84:85], v[114:115]
	v_add_f64 v[2:3], v[2:3], v[4:5]
	v_mul_f64 v[4:5], v[68:69], v[26:27]
	v_add_f64 v[94:95], v[90:91], v[92:93]
	ds_read_b128 v[90:93], v52 offset:1024
	v_fma_f64 v[4:5], v[66:67], v[28:29], -v[4:5]
	v_add_f64 v[2:3], v[2:3], v[4:5]
	v_mul_f64 v[4:5], v[72:73], v[22:23]
	v_fma_f64 v[4:5], v[70:71], v[24:25], -v[4:5]
	s_waitcnt vmcnt(28) lgkmcnt(1)
	v_mul_f64 v[96:97], v[86:87], v[38:39]
	v_add_f64 v[2:3], v[2:3], v[4:5]
	v_mul_f64 v[4:5], v[76:77], v[34:35]
	v_fmac_f64_e32 v[96:97], v[88:89], v[40:41]
	v_fma_f64 v[4:5], v[74:75], v[36:37], -v[4:5]
	v_add_f64 v[98:99], v[94:95], v[96:97]
	ds_read_b128 v[94:97], v52 offset:1040
	s_waitcnt vmcnt(24) lgkmcnt(1)
	v_mul_f64 v[100:101], v[90:91], v[122:123]
	v_add_f64 v[2:3], v[2:3], v[4:5]
	v_mul_f64 v[4:5], v[80:81], v[30:31]
	s_waitcnt vmcnt(22)
	v_fmac_f64_e32 v[100:101], v[92:93], v[124:125]
	v_fma_f64 v[4:5], v[78:79], v[32:33], -v[4:5]
	v_add_f64 v[102:103], v[98:99], v[100:101]
	ds_read_b128 v[98:101], v52 offset:1056
	v_add_f64 v[2:3], v[2:3], v[4:5]
	v_mul_f64 v[4:5], v[84:85], v[50:51]
	v_fma_f64 v[4:5], v[82:83], v[114:115], -v[4:5]
	v_add_f64 v[2:3], v[2:3], v[4:5]
	v_mul_f64 v[4:5], v[88:89], v[38:39]
	s_waitcnt vmcnt(20) lgkmcnt(1)
	v_mul_f64 v[104:105], v[94:95], v[116:117]
	v_fma_f64 v[4:5], v[86:87], v[40:41], -v[4:5]
	v_fmac_f64_e32 v[104:105], v[96:97], v[120:121]
	v_add_f64 v[2:3], v[2:3], v[4:5]
	v_mul_f64 v[4:5], v[92:93], v[122:123]
	v_add_f64 v[106:107], v[102:103], v[104:105]
	ds_read_b128 v[102:105], v52 offset:1072
	s_waitcnt vmcnt(16) lgkmcnt(1)
	v_mul_f64 v[108:109], v[98:99], v[130:131]
	v_fma_f64 v[4:5], v[90:91], v[124:125], -v[4:5]
	s_waitcnt vmcnt(14)
	v_fmac_f64_e32 v[108:109], v[100:101], v[132:133]
	v_add_f64 v[2:3], v[2:3], v[4:5]
	v_mul_f64 v[4:5], v[96:97], v[116:117]
	v_add_f64 v[146:147], v[106:107], v[108:109]
	ds_read_b128 v[106:109], v52 offset:1088
	v_fma_f64 v[4:5], v[94:95], v[120:121], -v[4:5]
	v_add_f64 v[2:3], v[2:3], v[4:5]
	v_mul_f64 v[4:5], v[100:101], v[130:131]
	v_fma_f64 v[4:5], v[98:99], v[132:133], -v[4:5]
	v_add_f64 v[2:3], v[2:3], v[4:5]
	s_waitcnt vmcnt(12) lgkmcnt(1)
	v_mul_f64 v[4:5], v[104:105], v[126:127]
	v_mul_f64 v[148:149], v[102:103], v[126:127]
	v_fma_f64 v[4:5], v[102:103], v[128:129], -v[4:5]
	v_fmac_f64_e32 v[148:149], v[104:105], v[128:129]
	v_add_f64 v[2:3], v[2:3], v[4:5]
	s_waitcnt vmcnt(8) lgkmcnt(0)
	v_mul_f64 v[4:5], v[108:109], v[138:139]
	v_add_f64 v[146:147], v[146:147], v[148:149]
	v_mul_f64 v[148:149], v[106:107], v[138:139]
	s_waitcnt vmcnt(6)
	v_fma_f64 v[4:5], v[106:107], v[140:141], -v[4:5]
	v_fmac_f64_e32 v[148:149], v[108:109], v[140:141]
	v_add_f64 v[2:3], v[2:3], v[4:5]
	s_waitcnt vmcnt(5)
	v_mul_f64 v[4:5], v[112:113], v[134:135]
	v_add_f64 v[146:147], v[146:147], v[148:149]
	v_mul_f64 v[148:149], v[110:111], v[134:135]
	s_waitcnt vmcnt(4)
	v_fma_f64 v[4:5], v[110:111], v[136:137], -v[4:5]
	v_fmac_f64_e32 v[148:149], v[112:113], v[136:137]
	v_add_f64 v[2:3], v[2:3], v[4:5]
	v_add_f64 v[146:147], v[146:147], v[148:149]
	s_waitcnt vmcnt(2)
	v_add_f64 v[2:3], v[142:143], -v[2:3]
	s_waitcnt vmcnt(0)
	v_add_f64 v[4:5], v[144:145], -v[146:147]
	buffer_store_dword v3, off, s[0:3], 0 offset:292
	buffer_store_dword v2, off, s[0:3], 0 offset:288
	;; [unrolled: 1-line block ×4, first 2 shown]
	s_and_saveexec_b64 s[4:5], vcc
	s_cbranch_execz .LBB98_191
; %bb.190:
	v_accvgpr_read_b32 v5, a82
	buffer_load_dword v2, v5, s[0:3], 0 offen
	buffer_load_dword v3, v5, s[0:3], 0 offen offset:4
	buffer_load_dword v4, v5, s[0:3], 0 offen offset:8
	s_nop 0
	buffer_load_dword v5, v5, s[0:3], 0 offen offset:12
	s_nop 0
	buffer_store_dword v52, off, s[0:3], 0 offset:272
	buffer_store_dword v52, off, s[0:3], 0 offset:276
	;; [unrolled: 1-line block ×4, first 2 shown]
	s_waitcnt vmcnt(4)
	ds_write_b128 v1, v[2:5]
.LBB98_191:
	s_or_b64 exec, exec, s[4:5]
	s_waitcnt lgkmcnt(0)
	; wave barrier
	s_waitcnt lgkmcnt(0)
	buffer_load_dword v2, off, s[0:3], 0 offset:288
	buffer_load_dword v3, off, s[0:3], 0 offset:292
	;; [unrolled: 1-line block ×72, first 2 shown]
	ds_read_b128 v[54:57], v52 offset:832
	buffer_load_dword v150, off, s[0:3], 0 offset:272
	buffer_load_dword v151, off, s[0:3], 0 offset:276
	;; [unrolled: 1-line block ×4, first 2 shown]
	ds_read_b128 v[58:61], v52 offset:848
	ds_read_b128 v[62:65], v52 offset:864
	;; [unrolled: 1-line block ×3, first 2 shown]
	v_cmp_lt_u32_e32 vcc, 15, v0
	ds_read_b128 v[124:127], v52 offset:1104
	s_waitcnt vmcnt(62) lgkmcnt(4)
	v_mul_f64 v[70:71], v[54:55], v[8:9]
	v_fmac_f64_e32 v[70:71], v[56:57], v[2:3]
	v_add_f64 v[70:71], v[70:71], 0
	v_mul_f64 v[8:9], v[56:57], v[8:9]
	s_waitcnt lgkmcnt(3)
	v_mul_f64 v[72:73], v[58:59], v[10:11]
	v_fmac_f64_e32 v[72:73], v[60:61], v[4:5]
	v_add_f64 v[70:71], v[70:71], v[72:73]
	v_fma_f64 v[2:3], v[54:55], v[2:3], -v[8:9]
	s_waitcnt lgkmcnt(2)
	v_mul_f64 v[72:73], v[62:63], v[12:13]
	v_fmac_f64_e32 v[72:73], v[64:65], v[6:7]
	v_add_f64 v[74:75], v[70:71], v[72:73]
	ds_read_b128 v[70:73], v52 offset:896
	s_waitcnt vmcnt(60) lgkmcnt(2)
	v_mul_f64 v[76:77], v[66:67], v[18:19]
	v_mul_f64 v[8:9], v[60:61], v[10:11]
	s_waitcnt vmcnt(58)
	v_fmac_f64_e32 v[76:77], v[68:69], v[20:21]
	v_add_f64 v[78:79], v[74:75], v[76:77]
	ds_read_b128 v[74:77], v52 offset:912
	s_waitcnt vmcnt(57) lgkmcnt(1)
	v_mul_f64 v[80:81], v[70:71], v[14:15]
	s_waitcnt vmcnt(56)
	v_fmac_f64_e32 v[80:81], v[72:73], v[16:17]
	v_add_f64 v[82:83], v[78:79], v[80:81]
	ds_read_b128 v[78:81], v52 offset:928
	s_waitcnt vmcnt(52) lgkmcnt(1)
	;; [unrolled: 6-line block ×4, first 2 shown]
	v_mul_f64 v[92:93], v[82:83], v[34:35]
	s_waitcnt vmcnt(42)
	v_fmac_f64_e32 v[92:93], v[84:85], v[36:37]
	v_add_f64 v[2:3], v[2:3], 0
	v_fma_f64 v[4:5], v[58:59], v[4:5], -v[8:9]
	v_add_f64 v[94:95], v[90:91], v[92:93]
	ds_read_b128 v[90:93], v52 offset:976
	s_waitcnt vmcnt(41) lgkmcnt(1)
	v_mul_f64 v[96:97], v[86:87], v[30:31]
	v_add_f64 v[2:3], v[2:3], v[4:5]
	v_mul_f64 v[4:5], v[64:65], v[12:13]
	s_waitcnt vmcnt(40)
	v_fmac_f64_e32 v[96:97], v[88:89], v[32:33]
	v_fma_f64 v[4:5], v[62:63], v[6:7], -v[4:5]
	v_add_f64 v[98:99], v[94:95], v[96:97]
	ds_read_b128 v[94:97], v52 offset:992
	v_add_f64 v[2:3], v[2:3], v[4:5]
	v_mul_f64 v[4:5], v[68:69], v[18:19]
	v_fma_f64 v[4:5], v[66:67], v[20:21], -v[4:5]
	v_add_f64 v[2:3], v[2:3], v[4:5]
	v_mul_f64 v[4:5], v[72:73], v[14:15]
	s_waitcnt vmcnt(36) lgkmcnt(1)
	v_mul_f64 v[100:101], v[90:91], v[42:43]
	v_fma_f64 v[4:5], v[70:71], v[16:17], -v[4:5]
	s_waitcnt vmcnt(34)
	v_fmac_f64_e32 v[100:101], v[92:93], v[44:45]
	v_add_f64 v[2:3], v[2:3], v[4:5]
	v_mul_f64 v[4:5], v[76:77], v[26:27]
	v_add_f64 v[102:103], v[98:99], v[100:101]
	ds_read_b128 v[98:101], v52 offset:1008
	s_waitcnt vmcnt(33) lgkmcnt(1)
	v_mul_f64 v[104:105], v[94:95], v[38:39]
	v_fma_f64 v[4:5], v[74:75], v[28:29], -v[4:5]
	s_waitcnt vmcnt(32)
	v_fmac_f64_e32 v[104:105], v[96:97], v[40:41]
	v_add_f64 v[2:3], v[2:3], v[4:5]
	v_mul_f64 v[4:5], v[80:81], v[22:23]
	v_add_f64 v[106:107], v[102:103], v[104:105]
	ds_read_b128 v[102:105], v52 offset:1024
	v_fma_f64 v[4:5], v[78:79], v[24:25], -v[4:5]
	v_add_f64 v[2:3], v[2:3], v[4:5]
	v_mul_f64 v[4:5], v[84:85], v[34:35]
	v_fma_f64 v[4:5], v[82:83], v[36:37], -v[4:5]
	s_waitcnt vmcnt(28) lgkmcnt(1)
	v_mul_f64 v[108:109], v[98:99], v[50:51]
	v_add_f64 v[2:3], v[2:3], v[4:5]
	v_mul_f64 v[4:5], v[88:89], v[30:31]
	s_waitcnt vmcnt(26)
	v_fmac_f64_e32 v[108:109], v[100:101], v[128:129]
	v_fma_f64 v[4:5], v[86:87], v[32:33], -v[4:5]
	v_add_f64 v[110:111], v[106:107], v[108:109]
	ds_read_b128 v[106:109], v52 offset:1040
	s_waitcnt vmcnt(25) lgkmcnt(1)
	v_mul_f64 v[112:113], v[102:103], v[46:47]
	v_add_f64 v[2:3], v[2:3], v[4:5]
	v_mul_f64 v[4:5], v[92:93], v[42:43]
	s_waitcnt vmcnt(24)
	v_fmac_f64_e32 v[112:113], v[104:105], v[48:49]
	v_fma_f64 v[4:5], v[90:91], v[44:45], -v[4:5]
	v_add_f64 v[114:115], v[110:111], v[112:113]
	ds_read_b128 v[110:113], v52 offset:1056
	v_add_f64 v[2:3], v[2:3], v[4:5]
	v_mul_f64 v[4:5], v[96:97], v[38:39]
	v_fma_f64 v[4:5], v[94:95], v[40:41], -v[4:5]
	v_add_f64 v[2:3], v[2:3], v[4:5]
	v_mul_f64 v[4:5], v[100:101], v[50:51]
	s_waitcnt vmcnt(20) lgkmcnt(1)
	v_mul_f64 v[116:117], v[106:107], v[134:135]
	v_fma_f64 v[4:5], v[98:99], v[128:129], -v[4:5]
	s_waitcnt vmcnt(18)
	v_fmac_f64_e32 v[116:117], v[108:109], v[136:137]
	v_add_f64 v[2:3], v[2:3], v[4:5]
	v_mul_f64 v[4:5], v[104:105], v[46:47]
	v_add_f64 v[120:121], v[114:115], v[116:117]
	ds_read_b128 v[114:117], v52 offset:1072
	s_waitcnt vmcnt(17) lgkmcnt(1)
	v_mul_f64 v[122:123], v[110:111], v[130:131]
	v_fma_f64 v[4:5], v[102:103], v[48:49], -v[4:5]
	s_waitcnt vmcnt(16)
	v_fmac_f64_e32 v[122:123], v[112:113], v[132:133]
	v_add_f64 v[2:3], v[2:3], v[4:5]
	v_mul_f64 v[4:5], v[108:109], v[134:135]
	v_add_f64 v[154:155], v[120:121], v[122:123]
	ds_read_b128 v[120:123], v52 offset:1088
	v_fma_f64 v[4:5], v[106:107], v[136:137], -v[4:5]
	v_add_f64 v[2:3], v[2:3], v[4:5]
	v_mul_f64 v[4:5], v[112:113], v[130:131]
	v_fma_f64 v[4:5], v[110:111], v[132:133], -v[4:5]
	v_add_f64 v[2:3], v[2:3], v[4:5]
	s_waitcnt vmcnt(12) lgkmcnt(1)
	v_mul_f64 v[4:5], v[116:117], v[142:143]
	v_mul_f64 v[156:157], v[114:115], v[142:143]
	s_waitcnt vmcnt(10)
	v_fma_f64 v[4:5], v[114:115], v[144:145], -v[4:5]
	v_fmac_f64_e32 v[156:157], v[116:117], v[144:145]
	v_add_f64 v[2:3], v[2:3], v[4:5]
	s_waitcnt vmcnt(9) lgkmcnt(0)
	v_mul_f64 v[4:5], v[122:123], v[138:139]
	v_add_f64 v[52:53], v[154:155], v[156:157]
	v_mul_f64 v[154:155], v[120:121], v[138:139]
	s_waitcnt vmcnt(8)
	v_fma_f64 v[4:5], v[120:121], v[140:141], -v[4:5]
	v_fmac_f64_e32 v[154:155], v[122:123], v[140:141]
	v_add_f64 v[2:3], v[2:3], v[4:5]
	s_waitcnt vmcnt(6)
	v_mul_f64 v[4:5], v[126:127], v[146:147]
	v_add_f64 v[52:53], v[52:53], v[154:155]
	v_mul_f64 v[154:155], v[124:125], v[146:147]
	s_waitcnt vmcnt(4)
	v_fma_f64 v[4:5], v[124:125], v[148:149], -v[4:5]
	v_fmac_f64_e32 v[154:155], v[126:127], v[148:149]
	v_add_f64 v[2:3], v[2:3], v[4:5]
	v_add_f64 v[52:53], v[52:53], v[154:155]
	s_waitcnt vmcnt(2)
	v_add_f64 v[2:3], v[150:151], -v[2:3]
	s_waitcnt vmcnt(0)
	v_add_f64 v[4:5], v[152:153], -v[52:53]
	buffer_store_dword v3, off, s[0:3], 0 offset:276
	buffer_store_dword v2, off, s[0:3], 0 offset:272
	;; [unrolled: 1-line block ×4, first 2 shown]
	s_and_saveexec_b64 s[4:5], vcc
	s_cbranch_execz .LBB98_193
; %bb.192:
	v_accvgpr_read_b32 v5, a83
	buffer_load_dword v2, v5, s[0:3], 0 offen
	buffer_load_dword v3, v5, s[0:3], 0 offen offset:4
	buffer_load_dword v4, v5, s[0:3], 0 offen offset:8
	s_nop 0
	buffer_load_dword v5, v5, s[0:3], 0 offen offset:12
	v_mov_b32_e32 v6, 0
	buffer_store_dword v6, off, s[0:3], 0 offset:256
	buffer_store_dword v6, off, s[0:3], 0 offset:260
	;; [unrolled: 1-line block ×4, first 2 shown]
	s_waitcnt vmcnt(4)
	ds_write_b128 v1, v[2:5]
.LBB98_193:
	s_or_b64 exec, exec, s[4:5]
	s_waitcnt lgkmcnt(0)
	; wave barrier
	s_waitcnt lgkmcnt(0)
	buffer_load_dword v2, off, s[0:3], 0 offset:272
	buffer_load_dword v3, off, s[0:3], 0 offset:276
	;; [unrolled: 1-line block ×76, first 2 shown]
	v_mov_b32_e32 v54, 0
	ds_read_b128 v[56:59], v54 offset:816
	buffer_load_dword v158, off, s[0:3], 0 offset:256
	buffer_load_dword v159, off, s[0:3], 0 offset:260
	;; [unrolled: 1-line block ×4, first 2 shown]
	ds_read_b128 v[60:63], v54 offset:832
	ds_read_b128 v[64:67], v54 offset:848
	ds_read_b128 v[68:71], v54 offset:864
	ds_read_b128 v[132:135], v54 offset:1104
	v_cmp_lt_u32_e32 vcc, 14, v0
	s_waitcnt vmcnt(62) lgkmcnt(4)
	v_mul_f64 v[72:73], v[56:57], v[8:9]
	v_fmac_f64_e32 v[72:73], v[58:59], v[2:3]
	v_add_f64 v[72:73], v[72:73], 0
	v_mul_f64 v[8:9], v[58:59], v[8:9]
	s_waitcnt lgkmcnt(3)
	v_mul_f64 v[74:75], v[60:61], v[10:11]
	v_fmac_f64_e32 v[74:75], v[62:63], v[4:5]
	v_add_f64 v[72:73], v[72:73], v[74:75]
	v_fma_f64 v[2:3], v[56:57], v[2:3], -v[8:9]
	s_waitcnt lgkmcnt(2)
	v_mul_f64 v[74:75], v[64:65], v[12:13]
	v_fmac_f64_e32 v[74:75], v[66:67], v[6:7]
	v_add_f64 v[76:77], v[72:73], v[74:75]
	ds_read_b128 v[72:75], v54 offset:880
	s_waitcnt lgkmcnt(2)
	v_mul_f64 v[78:79], v[68:69], v[18:19]
	v_mul_f64 v[8:9], v[62:63], v[10:11]
	v_fmac_f64_e32 v[78:79], v[70:71], v[20:21]
	v_add_f64 v[80:81], v[76:77], v[78:79]
	ds_read_b128 v[76:79], v54 offset:896
	s_waitcnt vmcnt(61) lgkmcnt(1)
	v_mul_f64 v[82:83], v[72:73], v[14:15]
	s_waitcnt vmcnt(60)
	v_fmac_f64_e32 v[82:83], v[74:75], v[16:17]
	v_add_f64 v[84:85], v[80:81], v[82:83]
	ds_read_b128 v[80:83], v54 offset:912
	s_waitcnt vmcnt(56) lgkmcnt(1)
	v_mul_f64 v[86:87], v[76:77], v[26:27]
	s_waitcnt vmcnt(54)
	;; [unrolled: 6-line block ×4, first 2 shown]
	v_fmac_f64_e32 v[94:95], v[86:87], v[36:37]
	v_add_f64 v[96:97], v[92:93], v[94:95]
	ds_read_b128 v[92:95], v54 offset:960
	v_add_f64 v[2:3], v[2:3], 0
	v_fma_f64 v[4:5], v[60:61], v[4:5], -v[8:9]
	s_waitcnt vmcnt(45) lgkmcnt(1)
	v_mul_f64 v[98:99], v[88:89], v[30:31]
	v_add_f64 v[2:3], v[2:3], v[4:5]
	v_mul_f64 v[4:5], v[66:67], v[12:13]
	s_waitcnt vmcnt(44)
	v_fmac_f64_e32 v[98:99], v[90:91], v[32:33]
	v_fma_f64 v[4:5], v[64:65], v[6:7], -v[4:5]
	v_add_f64 v[100:101], v[96:97], v[98:99]
	ds_read_b128 v[96:99], v54 offset:976
	s_waitcnt vmcnt(40) lgkmcnt(1)
	v_mul_f64 v[102:103], v[92:93], v[42:43]
	v_add_f64 v[2:3], v[2:3], v[4:5]
	v_mul_f64 v[4:5], v[70:71], v[18:19]
	s_waitcnt vmcnt(38)
	v_fmac_f64_e32 v[102:103], v[94:95], v[44:45]
	v_fma_f64 v[4:5], v[68:69], v[20:21], -v[4:5]
	v_add_f64 v[104:105], v[100:101], v[102:103]
	ds_read_b128 v[100:103], v54 offset:992
	v_add_f64 v[2:3], v[2:3], v[4:5]
	v_mul_f64 v[4:5], v[74:75], v[14:15]
	v_fma_f64 v[4:5], v[72:73], v[16:17], -v[4:5]
	v_add_f64 v[2:3], v[2:3], v[4:5]
	v_mul_f64 v[4:5], v[78:79], v[26:27]
	s_waitcnt vmcnt(37) lgkmcnt(1)
	v_mul_f64 v[106:107], v[96:97], v[38:39]
	v_fma_f64 v[4:5], v[76:77], v[28:29], -v[4:5]
	s_waitcnt vmcnt(36)
	v_fmac_f64_e32 v[106:107], v[98:99], v[40:41]
	v_add_f64 v[2:3], v[2:3], v[4:5]
	v_mul_f64 v[4:5], v[82:83], v[22:23]
	v_add_f64 v[108:109], v[104:105], v[106:107]
	ds_read_b128 v[104:107], v54 offset:1008
	s_waitcnt vmcnt(32) lgkmcnt(1)
	v_mul_f64 v[110:111], v[100:101], v[50:51]
	v_fma_f64 v[4:5], v[80:81], v[24:25], -v[4:5]
	s_waitcnt vmcnt(30)
	v_fmac_f64_e32 v[110:111], v[102:103], v[52:53]
	v_add_f64 v[2:3], v[2:3], v[4:5]
	v_mul_f64 v[4:5], v[86:87], v[34:35]
	v_add_f64 v[112:113], v[108:109], v[110:111]
	ds_read_b128 v[108:111], v54 offset:1024
	v_fma_f64 v[4:5], v[84:85], v[36:37], -v[4:5]
	v_add_f64 v[2:3], v[2:3], v[4:5]
	v_mul_f64 v[4:5], v[90:91], v[30:31]
	v_fma_f64 v[4:5], v[88:89], v[32:33], -v[4:5]
	s_waitcnt vmcnt(29) lgkmcnt(1)
	v_mul_f64 v[114:115], v[104:105], v[46:47]
	v_add_f64 v[2:3], v[2:3], v[4:5]
	v_mul_f64 v[4:5], v[94:95], v[42:43]
	s_waitcnt vmcnt(28)
	v_fmac_f64_e32 v[114:115], v[106:107], v[48:49]
	v_fma_f64 v[4:5], v[92:93], v[44:45], -v[4:5]
	v_add_f64 v[120:121], v[112:113], v[114:115]
	ds_read_b128 v[112:115], v54 offset:1040
	s_waitcnt vmcnt(24) lgkmcnt(1)
	v_mul_f64 v[122:123], v[108:109], v[138:139]
	v_add_f64 v[2:3], v[2:3], v[4:5]
	v_mul_f64 v[4:5], v[98:99], v[38:39]
	s_waitcnt vmcnt(22)
	v_fmac_f64_e32 v[122:123], v[110:111], v[140:141]
	v_fma_f64 v[4:5], v[96:97], v[40:41], -v[4:5]
	v_add_f64 v[124:125], v[120:121], v[122:123]
	ds_read_b128 v[120:123], v54 offset:1056
	v_add_f64 v[2:3], v[2:3], v[4:5]
	v_mul_f64 v[4:5], v[102:103], v[50:51]
	v_fma_f64 v[4:5], v[100:101], v[52:53], -v[4:5]
	v_add_f64 v[2:3], v[2:3], v[4:5]
	v_mul_f64 v[4:5], v[106:107], v[46:47]
	s_waitcnt vmcnt(21) lgkmcnt(1)
	v_mul_f64 v[126:127], v[112:113], v[116:117]
	v_fma_f64 v[4:5], v[104:105], v[48:49], -v[4:5]
	s_waitcnt vmcnt(20)
	v_fmac_f64_e32 v[126:127], v[114:115], v[136:137]
	v_add_f64 v[2:3], v[2:3], v[4:5]
	v_mul_f64 v[4:5], v[110:111], v[138:139]
	v_add_f64 v[128:129], v[124:125], v[126:127]
	ds_read_b128 v[124:127], v54 offset:1072
	s_waitcnt vmcnt(16) lgkmcnt(1)
	v_mul_f64 v[130:131], v[120:121], v[146:147]
	v_fma_f64 v[4:5], v[108:109], v[140:141], -v[4:5]
	s_waitcnt vmcnt(14)
	v_fmac_f64_e32 v[130:131], v[122:123], v[148:149]
	v_add_f64 v[2:3], v[2:3], v[4:5]
	v_mul_f64 v[4:5], v[114:115], v[116:117]
	v_add_f64 v[162:163], v[128:129], v[130:131]
	ds_read_b128 v[128:131], v54 offset:1088
	v_fma_f64 v[4:5], v[112:113], v[136:137], -v[4:5]
	v_add_f64 v[2:3], v[2:3], v[4:5]
	v_mul_f64 v[4:5], v[122:123], v[146:147]
	v_fma_f64 v[4:5], v[120:121], v[148:149], -v[4:5]
	v_add_f64 v[2:3], v[2:3], v[4:5]
	s_waitcnt vmcnt(13) lgkmcnt(1)
	v_mul_f64 v[4:5], v[126:127], v[142:143]
	v_mul_f64 v[164:165], v[124:125], v[142:143]
	s_waitcnt vmcnt(12)
	v_fma_f64 v[4:5], v[124:125], v[144:145], -v[4:5]
	v_fmac_f64_e32 v[164:165], v[126:127], v[144:145]
	v_add_f64 v[2:3], v[2:3], v[4:5]
	s_waitcnt vmcnt(8) lgkmcnt(0)
	v_mul_f64 v[4:5], v[130:131], v[154:155]
	v_add_f64 v[162:163], v[162:163], v[164:165]
	v_mul_f64 v[164:165], v[128:129], v[154:155]
	s_waitcnt vmcnt(6)
	v_fma_f64 v[4:5], v[128:129], v[156:157], -v[4:5]
	v_fmac_f64_e32 v[164:165], v[130:131], v[156:157]
	v_add_f64 v[2:3], v[2:3], v[4:5]
	s_waitcnt vmcnt(5)
	v_mul_f64 v[4:5], v[134:135], v[150:151]
	v_add_f64 v[162:163], v[162:163], v[164:165]
	v_mul_f64 v[164:165], v[132:133], v[150:151]
	s_waitcnt vmcnt(4)
	v_fma_f64 v[4:5], v[132:133], v[152:153], -v[4:5]
	v_fmac_f64_e32 v[164:165], v[134:135], v[152:153]
	v_add_f64 v[2:3], v[2:3], v[4:5]
	v_add_f64 v[162:163], v[162:163], v[164:165]
	s_waitcnt vmcnt(2)
	v_add_f64 v[2:3], v[158:159], -v[2:3]
	s_waitcnt vmcnt(0)
	v_add_f64 v[4:5], v[160:161], -v[162:163]
	buffer_store_dword v3, off, s[0:3], 0 offset:260
	buffer_store_dword v2, off, s[0:3], 0 offset:256
	;; [unrolled: 1-line block ×4, first 2 shown]
	s_and_saveexec_b64 s[4:5], vcc
	s_cbranch_execz .LBB98_195
; %bb.194:
	v_accvgpr_read_b32 v5, a84
	buffer_load_dword v2, v5, s[0:3], 0 offen
	buffer_load_dword v3, v5, s[0:3], 0 offen offset:4
	buffer_load_dword v4, v5, s[0:3], 0 offen offset:8
	s_nop 0
	buffer_load_dword v5, v5, s[0:3], 0 offen offset:12
	s_nop 0
	buffer_store_dword v54, off, s[0:3], 0 offset:240
	buffer_store_dword v54, off, s[0:3], 0 offset:244
	;; [unrolled: 1-line block ×4, first 2 shown]
	s_waitcnt vmcnt(4)
	ds_write_b128 v1, v[2:5]
.LBB98_195:
	s_or_b64 exec, exec, s[4:5]
	s_waitcnt lgkmcnt(0)
	; wave barrier
	s_waitcnt lgkmcnt(0)
	buffer_load_dword v2, off, s[0:3], 0 offset:256
	buffer_load_dword v3, off, s[0:3], 0 offset:260
	;; [unrolled: 1-line block ×76, first 2 shown]
	ds_read_b128 v[56:59], v54 offset:800
	buffer_load_dword v163, off, s[0:3], 0 offset:572
	buffer_load_dword v162, off, s[0:3], 0 offset:568
	;; [unrolled: 1-line block ×8, first 2 shown]
	ds_read_b128 v[60:63], v54 offset:816
	ds_read_b128 v[64:67], v54 offset:832
	;; [unrolled: 1-line block ×3, first 2 shown]
	v_cmp_lt_u32_e32 vcc, 13, v0
	ds_read_b128 v[136:139], v54 offset:1104
	s_waitcnt vmcnt(62) lgkmcnt(4)
	v_mul_f64 v[72:73], v[56:57], v[8:9]
	v_fmac_f64_e32 v[72:73], v[58:59], v[2:3]
	v_add_f64 v[72:73], v[72:73], 0
	v_mul_f64 v[8:9], v[58:59], v[8:9]
	s_waitcnt lgkmcnt(3)
	v_mul_f64 v[74:75], v[60:61], v[10:11]
	v_fmac_f64_e32 v[74:75], v[62:63], v[4:5]
	v_add_f64 v[72:73], v[72:73], v[74:75]
	v_fma_f64 v[2:3], v[56:57], v[2:3], -v[8:9]
	s_waitcnt lgkmcnt(2)
	v_mul_f64 v[74:75], v[64:65], v[12:13]
	v_fmac_f64_e32 v[74:75], v[66:67], v[6:7]
	v_add_f64 v[76:77], v[72:73], v[74:75]
	ds_read_b128 v[72:75], v54 offset:864
	v_mul_f64 v[8:9], v[62:63], v[10:11]
	v_add_f64 v[2:3], v[2:3], 0
	s_waitcnt lgkmcnt(2)
	v_mul_f64 v[78:79], v[68:69], v[18:19]
	v_fma_f64 v[4:5], v[60:61], v[4:5], -v[8:9]
	v_fmac_f64_e32 v[78:79], v[70:71], v[20:21]
	v_add_f64 v[80:81], v[76:77], v[78:79]
	ds_read_b128 v[76:79], v54 offset:880
	s_waitcnt lgkmcnt(1)
	v_mul_f64 v[82:83], v[72:73], v[14:15]
	v_fmac_f64_e32 v[82:83], v[74:75], v[16:17]
	v_add_f64 v[84:85], v[80:81], v[82:83]
	ds_read_b128 v[80:83], v54 offset:896
	s_waitcnt vmcnt(58) lgkmcnt(1)
	v_mul_f64 v[86:87], v[76:77], v[26:27]
	s_waitcnt vmcnt(56)
	v_fmac_f64_e32 v[86:87], v[78:79], v[28:29]
	v_add_f64 v[88:89], v[84:85], v[86:87]
	ds_read_b128 v[84:87], v54 offset:912
	s_waitcnt lgkmcnt(1)
	v_mul_f64 v[90:91], v[80:81], v[22:23]
	v_fmac_f64_e32 v[90:91], v[82:83], v[24:25]
	v_add_f64 v[92:93], v[88:89], v[90:91]
	ds_read_b128 v[88:91], v54 offset:928
	s_waitcnt vmcnt(50) lgkmcnt(1)
	v_mul_f64 v[94:95], v[84:85], v[34:35]
	s_waitcnt vmcnt(48)
	v_fmac_f64_e32 v[94:95], v[86:87], v[36:37]
	v_add_f64 v[96:97], v[92:93], v[94:95]
	ds_read_b128 v[92:95], v54 offset:944
	s_waitcnt lgkmcnt(1)
	v_mul_f64 v[98:99], v[88:89], v[30:31]
	v_fmac_f64_e32 v[98:99], v[90:91], v[32:33]
	v_add_f64 v[100:101], v[96:97], v[98:99]
	ds_read_b128 v[96:99], v54 offset:960
	v_add_f64 v[2:3], v[2:3], v[4:5]
	v_mul_f64 v[4:5], v[66:67], v[12:13]
	v_fma_f64 v[4:5], v[64:65], v[6:7], -v[4:5]
	s_waitcnt vmcnt(42) lgkmcnt(1)
	v_mul_f64 v[102:103], v[92:93], v[42:43]
	v_add_f64 v[2:3], v[2:3], v[4:5]
	v_mul_f64 v[4:5], v[70:71], v[18:19]
	s_waitcnt vmcnt(40)
	v_fmac_f64_e32 v[102:103], v[94:95], v[44:45]
	v_fma_f64 v[4:5], v[68:69], v[20:21], -v[4:5]
	v_add_f64 v[104:105], v[100:101], v[102:103]
	ds_read_b128 v[100:103], v54 offset:976
	s_waitcnt lgkmcnt(1)
	v_mul_f64 v[106:107], v[96:97], v[38:39]
	v_add_f64 v[2:3], v[2:3], v[4:5]
	v_mul_f64 v[4:5], v[74:75], v[14:15]
	v_fmac_f64_e32 v[106:107], v[98:99], v[40:41]
	v_fma_f64 v[4:5], v[72:73], v[16:17], -v[4:5]
	v_add_f64 v[108:109], v[104:105], v[106:107]
	ds_read_b128 v[104:107], v54 offset:992
	v_add_f64 v[2:3], v[2:3], v[4:5]
	v_mul_f64 v[4:5], v[78:79], v[26:27]
	v_fma_f64 v[4:5], v[76:77], v[28:29], -v[4:5]
	v_add_f64 v[2:3], v[2:3], v[4:5]
	v_mul_f64 v[4:5], v[82:83], v[22:23]
	s_waitcnt vmcnt(34) lgkmcnt(1)
	v_mul_f64 v[110:111], v[100:101], v[50:51]
	v_fma_f64 v[4:5], v[80:81], v[24:25], -v[4:5]
	s_waitcnt vmcnt(32)
	v_fmac_f64_e32 v[110:111], v[102:103], v[52:53]
	v_add_f64 v[2:3], v[2:3], v[4:5]
	v_mul_f64 v[4:5], v[86:87], v[34:35]
	v_add_f64 v[112:113], v[108:109], v[110:111]
	ds_read_b128 v[108:111], v54 offset:1008
	s_waitcnt lgkmcnt(1)
	v_mul_f64 v[114:115], v[104:105], v[46:47]
	v_fma_f64 v[4:5], v[84:85], v[36:37], -v[4:5]
	v_fmac_f64_e32 v[114:115], v[106:107], v[48:49]
	v_add_f64 v[2:3], v[2:3], v[4:5]
	v_mul_f64 v[4:5], v[90:91], v[30:31]
	v_add_f64 v[120:121], v[112:113], v[114:115]
	ds_read_b128 v[112:115], v54 offset:1024
	v_fma_f64 v[4:5], v[88:89], v[32:33], -v[4:5]
	v_add_f64 v[2:3], v[2:3], v[4:5]
	v_mul_f64 v[4:5], v[94:95], v[42:43]
	v_fma_f64 v[4:5], v[92:93], v[44:45], -v[4:5]
	s_waitcnt vmcnt(26) lgkmcnt(1)
	v_mul_f64 v[122:123], v[108:109], v[142:143]
	v_add_f64 v[2:3], v[2:3], v[4:5]
	v_mul_f64 v[4:5], v[98:99], v[38:39]
	s_waitcnt vmcnt(24)
	v_fmac_f64_e32 v[122:123], v[110:111], v[144:145]
	v_fma_f64 v[4:5], v[96:97], v[40:41], -v[4:5]
	v_add_f64 v[124:125], v[120:121], v[122:123]
	ds_read_b128 v[120:123], v54 offset:1040
	s_waitcnt lgkmcnt(1)
	v_mul_f64 v[126:127], v[112:113], v[116:117]
	v_add_f64 v[2:3], v[2:3], v[4:5]
	v_mul_f64 v[4:5], v[102:103], v[50:51]
	v_fmac_f64_e32 v[126:127], v[114:115], v[140:141]
	v_fma_f64 v[4:5], v[100:101], v[52:53], -v[4:5]
	v_add_f64 v[128:129], v[124:125], v[126:127]
	ds_read_b128 v[124:127], v54 offset:1056
	v_add_f64 v[2:3], v[2:3], v[4:5]
	v_mul_f64 v[4:5], v[106:107], v[46:47]
	v_fma_f64 v[4:5], v[104:105], v[48:49], -v[4:5]
	v_add_f64 v[2:3], v[2:3], v[4:5]
	v_mul_f64 v[4:5], v[110:111], v[142:143]
	s_waitcnt vmcnt(18) lgkmcnt(1)
	v_mul_f64 v[130:131], v[120:121], v[150:151]
	v_fma_f64 v[4:5], v[108:109], v[144:145], -v[4:5]
	s_waitcnt vmcnt(16)
	v_fmac_f64_e32 v[130:131], v[122:123], v[152:153]
	v_add_f64 v[2:3], v[2:3], v[4:5]
	v_mul_f64 v[4:5], v[114:115], v[116:117]
	v_add_f64 v[132:133], v[128:129], v[130:131]
	ds_read_b128 v[128:131], v54 offset:1072
	s_waitcnt lgkmcnt(1)
	v_mul_f64 v[134:135], v[124:125], v[146:147]
	v_fma_f64 v[4:5], v[112:113], v[140:141], -v[4:5]
	v_fmac_f64_e32 v[134:135], v[126:127], v[148:149]
	v_add_f64 v[2:3], v[2:3], v[4:5]
	v_mul_f64 v[4:5], v[122:123], v[150:151]
	v_add_f64 v[170:171], v[132:133], v[134:135]
	ds_read_b128 v[132:135], v54 offset:1088
	v_fma_f64 v[4:5], v[120:121], v[152:153], -v[4:5]
	v_add_f64 v[2:3], v[2:3], v[4:5]
	v_mul_f64 v[4:5], v[126:127], v[146:147]
	v_fma_f64 v[4:5], v[124:125], v[148:149], -v[4:5]
	v_add_f64 v[2:3], v[2:3], v[4:5]
	s_waitcnt vmcnt(10) lgkmcnt(1)
	v_mul_f64 v[4:5], v[130:131], v[158:159]
	v_mul_f64 v[172:173], v[128:129], v[158:159]
	s_waitcnt vmcnt(8)
	v_fma_f64 v[4:5], v[128:129], v[160:161], -v[4:5]
	v_fmac_f64_e32 v[172:173], v[130:131], v[160:161]
	v_add_f64 v[2:3], v[2:3], v[4:5]
	s_waitcnt lgkmcnt(0)
	v_mul_f64 v[4:5], v[134:135], v[154:155]
	v_add_f64 v[54:55], v[170:171], v[172:173]
	v_mul_f64 v[170:171], v[132:133], v[154:155]
	v_fma_f64 v[4:5], v[132:133], v[156:157], -v[4:5]
	v_fmac_f64_e32 v[170:171], v[134:135], v[156:157]
	v_add_f64 v[2:3], v[2:3], v[4:5]
	s_waitcnt vmcnt(6)
	v_mul_f64 v[4:5], v[138:139], v[162:163]
	v_add_f64 v[54:55], v[54:55], v[170:171]
	v_mul_f64 v[170:171], v[136:137], v[162:163]
	s_waitcnt vmcnt(4)
	v_fma_f64 v[4:5], v[136:137], v[164:165], -v[4:5]
	v_fmac_f64_e32 v[170:171], v[138:139], v[164:165]
	v_add_f64 v[2:3], v[2:3], v[4:5]
	v_add_f64 v[54:55], v[54:55], v[170:171]
	s_waitcnt vmcnt(2)
	v_add_f64 v[2:3], v[166:167], -v[2:3]
	s_waitcnt vmcnt(0)
	v_add_f64 v[4:5], v[168:169], -v[54:55]
	buffer_store_dword v3, off, s[0:3], 0 offset:244
	buffer_store_dword v2, off, s[0:3], 0 offset:240
	;; [unrolled: 1-line block ×4, first 2 shown]
	s_and_saveexec_b64 s[4:5], vcc
	s_cbranch_execz .LBB98_197
; %bb.196:
	v_accvgpr_read_b32 v5, a85
	buffer_load_dword v2, v5, s[0:3], 0 offen
	buffer_load_dword v3, v5, s[0:3], 0 offen offset:4
	buffer_load_dword v4, v5, s[0:3], 0 offen offset:8
	s_nop 0
	buffer_load_dword v5, v5, s[0:3], 0 offen offset:12
	v_mov_b32_e32 v6, 0
	buffer_store_dword v6, off, s[0:3], 0 offset:224
	buffer_store_dword v6, off, s[0:3], 0 offset:228
	;; [unrolled: 1-line block ×4, first 2 shown]
	s_waitcnt vmcnt(4)
	ds_write_b128 v1, v[2:5]
.LBB98_197:
	s_or_b64 exec, exec, s[4:5]
	s_waitcnt lgkmcnt(0)
	; wave barrier
	s_waitcnt lgkmcnt(0)
	buffer_load_dword v4, off, s[0:3], 0 offset:224
	buffer_load_dword v5, off, s[0:3], 0 offset:228
	;; [unrolled: 1-line block ×84, first 2 shown]
	v_mov_b32_e32 v86, 0
	ds_read_b128 v[66:69], v86 offset:784
	buffer_load_dword v175, off, s[0:3], 0 offset:572
	buffer_load_dword v174, off, s[0:3], 0 offset:568
	;; [unrolled: 1-line block ×4, first 2 shown]
	ds_read_b128 v[70:73], v86 offset:800
	ds_read_b128 v[74:77], v86 offset:816
	;; [unrolled: 1-line block ×4, first 2 shown]
	v_cmp_lt_u32_e32 vcc, 12, v0
	s_waitcnt vmcnt(62) lgkmcnt(4)
	v_mul_f64 v[82:83], v[66:67], v[12:13]
	v_fmac_f64_e32 v[82:83], v[68:69], v[6:7]
	s_waitcnt lgkmcnt(3)
	v_mul_f64 v[84:85], v[70:71], v[14:15]
	v_add_f64 v[82:83], v[82:83], 0
	v_fmac_f64_e32 v[84:85], v[72:73], v[8:9]
	v_add_f64 v[82:83], v[82:83], v[84:85]
	s_waitcnt lgkmcnt(2)
	v_mul_f64 v[84:85], v[74:75], v[16:17]
	v_fmac_f64_e32 v[84:85], v[76:77], v[10:11]
	v_add_f64 v[88:89], v[82:83], v[84:85]
	ds_read_b128 v[82:85], v86 offset:848
	v_mul_f64 v[12:13], v[68:69], v[12:13]
	s_waitcnt lgkmcnt(2)
	v_mul_f64 v[90:91], v[78:79], v[22:23]
	v_fma_f64 v[6:7], v[66:67], v[6:7], -v[12:13]
	v_fmac_f64_e32 v[90:91], v[80:81], v[24:25]
	v_add_f64 v[92:93], v[88:89], v[90:91]
	ds_read_b128 v[88:91], v86 offset:864
	s_waitcnt lgkmcnt(1)
	v_mul_f64 v[94:95], v[82:83], v[18:19]
	v_fmac_f64_e32 v[94:95], v[84:85], v[20:21]
	v_add_f64 v[96:97], v[92:93], v[94:95]
	ds_read_b128 v[92:95], v86 offset:880
	s_waitcnt vmcnt(58) lgkmcnt(1)
	v_mul_f64 v[98:99], v[88:89], v[30:31]
	s_waitcnt vmcnt(56)
	v_fmac_f64_e32 v[98:99], v[90:91], v[32:33]
	v_add_f64 v[100:101], v[96:97], v[98:99]
	ds_read_b128 v[96:99], v86 offset:896
	s_waitcnt lgkmcnt(1)
	v_mul_f64 v[102:103], v[92:93], v[26:27]
	v_fmac_f64_e32 v[102:103], v[94:95], v[28:29]
	v_add_f64 v[104:105], v[100:101], v[102:103]
	ds_read_b128 v[100:103], v86 offset:912
	s_waitcnt vmcnt(50) lgkmcnt(1)
	v_mul_f64 v[106:107], v[96:97], v[38:39]
	s_waitcnt vmcnt(48)
	v_fmac_f64_e32 v[106:107], v[98:99], v[40:41]
	v_add_f64 v[108:109], v[104:105], v[106:107]
	ds_read_b128 v[104:107], v86 offset:928
	s_waitcnt lgkmcnt(1)
	v_mul_f64 v[110:111], v[100:101], v[34:35]
	v_fmac_f64_e32 v[110:111], v[102:103], v[36:37]
	v_mul_f64 v[12:13], v[72:73], v[14:15]
	v_add_f64 v[112:113], v[108:109], v[110:111]
	ds_read_b128 v[108:111], v86 offset:944
	s_waitcnt vmcnt(42) lgkmcnt(1)
	v_mul_f64 v[114:115], v[104:105], v[46:47]
	v_add_f64 v[6:7], v[6:7], 0
	v_fma_f64 v[8:9], v[70:71], v[8:9], -v[12:13]
	s_waitcnt vmcnt(40)
	v_fmac_f64_e32 v[114:115], v[106:107], v[48:49]
	v_add_f64 v[6:7], v[6:7], v[8:9]
	v_mul_f64 v[8:9], v[76:77], v[16:17]
	v_add_f64 v[120:121], v[112:113], v[114:115]
	ds_read_b128 v[112:115], v86 offset:960
	v_fma_f64 v[8:9], v[74:75], v[10:11], -v[8:9]
	v_add_f64 v[6:7], v[6:7], v[8:9]
	v_mul_f64 v[8:9], v[80:81], v[22:23]
	v_fma_f64 v[8:9], v[78:79], v[24:25], -v[8:9]
	s_waitcnt lgkmcnt(1)
	v_mul_f64 v[122:123], v[108:109], v[42:43]
	v_add_f64 v[6:7], v[6:7], v[8:9]
	v_mul_f64 v[8:9], v[84:85], v[18:19]
	v_fmac_f64_e32 v[122:123], v[110:111], v[44:45]
	v_fma_f64 v[8:9], v[82:83], v[20:21], -v[8:9]
	v_add_f64 v[124:125], v[120:121], v[122:123]
	ds_read_b128 v[120:123], v86 offset:976
	s_waitcnt vmcnt(34) lgkmcnt(1)
	v_mul_f64 v[126:127], v[112:113], v[54:55]
	v_add_f64 v[6:7], v[6:7], v[8:9]
	v_mul_f64 v[8:9], v[90:91], v[30:31]
	s_waitcnt vmcnt(32)
	v_fmac_f64_e32 v[126:127], v[114:115], v[56:57]
	v_fma_f64 v[8:9], v[88:89], v[32:33], -v[8:9]
	v_add_f64 v[128:129], v[124:125], v[126:127]
	ds_read_b128 v[124:127], v86 offset:992
	v_add_f64 v[6:7], v[6:7], v[8:9]
	v_mul_f64 v[8:9], v[94:95], v[26:27]
	v_fma_f64 v[8:9], v[92:93], v[28:29], -v[8:9]
	v_add_f64 v[6:7], v[6:7], v[8:9]
	v_mul_f64 v[8:9], v[98:99], v[38:39]
	s_waitcnt lgkmcnt(1)
	v_mul_f64 v[130:131], v[120:121], v[50:51]
	v_fma_f64 v[8:9], v[96:97], v[40:41], -v[8:9]
	v_fmac_f64_e32 v[130:131], v[122:123], v[52:53]
	v_add_f64 v[6:7], v[6:7], v[8:9]
	v_mul_f64 v[8:9], v[102:103], v[34:35]
	v_add_f64 v[132:133], v[128:129], v[130:131]
	ds_read_b128 v[128:131], v86 offset:1008
	s_waitcnt vmcnt(26) lgkmcnt(1)
	v_mul_f64 v[134:135], v[124:125], v[62:63]
	v_fma_f64 v[8:9], v[100:101], v[36:37], -v[8:9]
	s_waitcnt vmcnt(24)
	v_fmac_f64_e32 v[134:135], v[126:127], v[64:65]
	v_add_f64 v[6:7], v[6:7], v[8:9]
	v_mul_f64 v[8:9], v[106:107], v[46:47]
	v_add_f64 v[136:137], v[132:133], v[134:135]
	ds_read_b128 v[132:135], v86 offset:1024
	v_fma_f64 v[8:9], v[104:105], v[48:49], -v[8:9]
	v_add_f64 v[6:7], v[6:7], v[8:9]
	v_mul_f64 v[8:9], v[110:111], v[42:43]
	v_fma_f64 v[8:9], v[108:109], v[44:45], -v[8:9]
	s_waitcnt lgkmcnt(1)
	v_mul_f64 v[138:139], v[128:129], v[58:59]
	v_add_f64 v[6:7], v[6:7], v[8:9]
	v_mul_f64 v[8:9], v[114:115], v[54:55]
	v_fmac_f64_e32 v[138:139], v[130:131], v[60:61]
	v_fma_f64 v[8:9], v[112:113], v[56:57], -v[8:9]
	v_add_f64 v[140:141], v[136:137], v[138:139]
	ds_read_b128 v[136:139], v86 offset:1040
	s_waitcnt vmcnt(18) lgkmcnt(1)
	v_mul_f64 v[142:143], v[132:133], v[158:159]
	v_add_f64 v[6:7], v[6:7], v[8:9]
	v_mul_f64 v[8:9], v[122:123], v[50:51]
	s_waitcnt vmcnt(16)
	v_fmac_f64_e32 v[142:143], v[134:135], v[160:161]
	v_fma_f64 v[8:9], v[120:121], v[52:53], -v[8:9]
	v_add_f64 v[144:145], v[140:141], v[142:143]
	ds_read_b128 v[140:143], v86 offset:1056
	v_add_f64 v[6:7], v[6:7], v[8:9]
	v_mul_f64 v[8:9], v[126:127], v[62:63]
	v_fma_f64 v[8:9], v[124:125], v[64:65], -v[8:9]
	v_add_f64 v[6:7], v[6:7], v[8:9]
	v_mul_f64 v[8:9], v[130:131], v[58:59]
	s_waitcnt lgkmcnt(1)
	v_mul_f64 v[146:147], v[136:137], v[116:117]
	v_fma_f64 v[8:9], v[128:129], v[60:61], -v[8:9]
	v_fmac_f64_e32 v[146:147], v[138:139], v[156:157]
	v_add_f64 v[6:7], v[6:7], v[8:9]
	v_mul_f64 v[8:9], v[134:135], v[158:159]
	v_add_f64 v[148:149], v[144:145], v[146:147]
	ds_read_b128 v[144:147], v86 offset:1072
	s_waitcnt vmcnt(10) lgkmcnt(1)
	v_mul_f64 v[150:151], v[140:141], v[166:167]
	v_fma_f64 v[8:9], v[132:133], v[160:161], -v[8:9]
	s_waitcnt vmcnt(8)
	v_fmac_f64_e32 v[150:151], v[142:143], v[168:169]
	v_add_f64 v[6:7], v[6:7], v[8:9]
	v_mul_f64 v[8:9], v[138:139], v[116:117]
	v_add_f64 v[178:179], v[148:149], v[150:151]
	ds_read_b128 v[148:151], v86 offset:1088
	v_fma_f64 v[8:9], v[136:137], v[156:157], -v[8:9]
	v_add_f64 v[6:7], v[6:7], v[8:9]
	v_mul_f64 v[8:9], v[142:143], v[166:167]
	v_fma_f64 v[8:9], v[140:141], v[168:169], -v[8:9]
	v_add_f64 v[6:7], v[6:7], v[8:9]
	s_waitcnt lgkmcnt(1)
	v_mul_f64 v[8:9], v[146:147], v[162:163]
	v_mul_f64 v[188:189], v[144:145], v[162:163]
	v_fma_f64 v[8:9], v[144:145], v[164:165], -v[8:9]
	v_fmac_f64_e32 v[188:189], v[146:147], v[164:165]
	v_add_f64 v[6:7], v[6:7], v[8:9]
	s_waitcnt vmcnt(6) lgkmcnt(0)
	v_mul_f64 v[8:9], v[150:151], v[170:171]
	v_add_f64 v[178:179], v[178:179], v[188:189]
	v_mul_f64 v[188:189], v[148:149], v[170:171]
	s_waitcnt vmcnt(4)
	v_fma_f64 v[8:9], v[148:149], v[172:173], -v[8:9]
	v_fmac_f64_e32 v[188:189], v[150:151], v[172:173]
	v_add_f64 v[6:7], v[6:7], v[8:9]
	s_waitcnt vmcnt(2)
	v_mul_f64 v[8:9], v[154:155], v[174:175]
	v_add_f64 v[178:179], v[178:179], v[188:189]
	v_mul_f64 v[188:189], v[152:153], v[174:175]
	s_waitcnt vmcnt(0)
	v_fma_f64 v[8:9], v[152:153], v[176:177], -v[8:9]
	v_fmac_f64_e32 v[188:189], v[154:155], v[176:177]
	v_add_f64 v[6:7], v[6:7], v[8:9]
	v_add_f64 v[178:179], v[178:179], v[188:189]
	v_add_f64 v[4:5], v[4:5], -v[6:7]
	v_add_f64 v[2:3], v[2:3], -v[178:179]
	buffer_store_dword v5, off, s[0:3], 0 offset:228
	buffer_store_dword v4, off, s[0:3], 0 offset:224
	;; [unrolled: 1-line block ×4, first 2 shown]
	s_and_saveexec_b64 s[4:5], vcc
	s_cbranch_execz .LBB98_199
; %bb.198:
	v_accvgpr_read_b32 v5, a86
	buffer_load_dword v2, v5, s[0:3], 0 offen
	buffer_load_dword v3, v5, s[0:3], 0 offen offset:4
	buffer_load_dword v4, v5, s[0:3], 0 offen offset:8
	s_nop 0
	buffer_load_dword v5, v5, s[0:3], 0 offen offset:12
	s_nop 0
	buffer_store_dword v86, off, s[0:3], 0 offset:208
	buffer_store_dword v86, off, s[0:3], 0 offset:212
	;; [unrolled: 1-line block ×4, first 2 shown]
	s_waitcnt vmcnt(4)
	ds_write_b128 v1, v[2:5]
.LBB98_199:
	s_or_b64 exec, exec, s[4:5]
	s_waitcnt lgkmcnt(0)
	; wave barrier
	s_waitcnt lgkmcnt(0)
	ds_read_b128 v[14:17], v86 offset:768
	ds_read_b128 v[10:13], v86 offset:784
	ds_read_b128 v[6:9], v86 offset:800
	ds_read_b128 v[2:5], v86 offset:816
	buffer_load_dword v20, off, s[0:3], 0 offset:208
	buffer_load_dword v21, off, s[0:3], 0 offset:212
	;; [unrolled: 1-line block ×92, first 2 shown]
	s_waitcnt vmcnt(62) lgkmcnt(3)
	v_mul_f64 v[88:89], v[14:15], v[28:29]
	v_fmac_f64_e32 v[88:89], v[16:17], v[22:23]
	s_waitcnt lgkmcnt(2)
	v_mul_f64 v[90:91], v[10:11], v[30:31]
	v_add_f64 v[88:89], v[88:89], 0
	v_fmac_f64_e32 v[90:91], v[12:13], v[24:25]
	v_add_f64 v[88:89], v[88:89], v[90:91]
	s_waitcnt lgkmcnt(1)
	v_mul_f64 v[90:91], v[6:7], v[32:33]
	v_fmac_f64_e32 v[90:91], v[8:9], v[26:27]
	v_add_f64 v[92:93], v[88:89], v[90:91]
	ds_read_b128 v[88:91], v86 offset:832
	v_mul_f64 v[16:17], v[16:17], v[28:29]
	v_fma_f64 v[14:15], v[14:15], v[22:23], -v[16:17]
	s_waitcnt lgkmcnt(1)
	v_mul_f64 v[94:95], v[2:3], v[38:39]
	v_mul_f64 v[12:13], v[12:13], v[30:31]
	v_fmac_f64_e32 v[94:95], v[4:5], v[40:41]
	v_add_f64 v[96:97], v[92:93], v[94:95]
	ds_read_b128 v[92:95], v86 offset:848
	s_waitcnt lgkmcnt(1)
	v_mul_f64 v[98:99], v[88:89], v[34:35]
	v_fmac_f64_e32 v[98:99], v[90:91], v[36:37]
	v_add_f64 v[100:101], v[96:97], v[98:99]
	ds_read_b128 v[96:99], v86 offset:864
	s_waitcnt lgkmcnt(1)
	v_mul_f64 v[102:103], v[92:93], v[46:47]
	s_waitcnt vmcnt(60)
	v_fmac_f64_e32 v[102:103], v[94:95], v[48:49]
	v_add_f64 v[104:105], v[100:101], v[102:103]
	ds_read_b128 v[100:103], v86 offset:880
	s_waitcnt lgkmcnt(1)
	v_mul_f64 v[106:107], v[96:97], v[42:43]
	v_fmac_f64_e32 v[106:107], v[98:99], v[44:45]
	v_add_f64 v[108:109], v[104:105], v[106:107]
	ds_read_b128 v[104:107], v86 offset:896
	s_waitcnt vmcnt(54) lgkmcnt(1)
	v_mul_f64 v[110:111], v[100:101], v[54:55]
	s_waitcnt vmcnt(52)
	v_fmac_f64_e32 v[110:111], v[102:103], v[56:57]
	v_add_f64 v[112:113], v[108:109], v[110:111]
	ds_read_b128 v[108:111], v86 offset:912
	s_waitcnt lgkmcnt(1)
	v_mul_f64 v[114:115], v[104:105], v[50:51]
	v_fmac_f64_e32 v[114:115], v[106:107], v[52:53]
	v_add_f64 v[120:121], v[112:113], v[114:115]
	ds_read_b128 v[112:115], v86 offset:928
	s_waitcnt vmcnt(46) lgkmcnt(1)
	v_mul_f64 v[122:123], v[108:109], v[62:63]
	s_waitcnt vmcnt(44)
	v_fmac_f64_e32 v[122:123], v[110:111], v[64:65]
	v_add_f64 v[124:125], v[120:121], v[122:123]
	ds_read_b128 v[120:123], v86 offset:944
	s_waitcnt lgkmcnt(1)
	v_mul_f64 v[126:127], v[112:113], v[58:59]
	v_fmac_f64_e32 v[126:127], v[114:115], v[60:61]
	v_add_f64 v[14:15], v[14:15], 0
	v_fma_f64 v[10:11], v[10:11], v[24:25], -v[12:13]
	v_mul_f64 v[8:9], v[8:9], v[32:33]
	v_add_f64 v[128:129], v[124:125], v[126:127]
	ds_read_b128 v[124:127], v86 offset:960
	v_add_f64 v[10:11], v[14:15], v[10:11]
	v_fma_f64 v[6:7], v[6:7], v[26:27], -v[8:9]
	v_mul_f64 v[4:5], v[4:5], v[38:39]
	v_add_f64 v[6:7], v[10:11], v[6:7]
	v_fma_f64 v[2:3], v[2:3], v[40:41], -v[4:5]
	v_mul_f64 v[4:5], v[90:91], v[34:35]
	v_add_f64 v[2:3], v[6:7], v[2:3]
	v_fma_f64 v[4:5], v[88:89], v[36:37], -v[4:5]
	s_waitcnt vmcnt(38) lgkmcnt(1)
	v_mul_f64 v[130:131], v[120:121], v[70:71]
	v_add_f64 v[2:3], v[2:3], v[4:5]
	v_mul_f64 v[4:5], v[94:95], v[46:47]
	s_waitcnt vmcnt(36)
	v_fmac_f64_e32 v[130:131], v[122:123], v[72:73]
	v_fma_f64 v[4:5], v[92:93], v[48:49], -v[4:5]
	v_add_f64 v[132:133], v[128:129], v[130:131]
	ds_read_b128 v[128:131], v86 offset:976
	s_waitcnt lgkmcnt(1)
	v_mul_f64 v[134:135], v[124:125], v[66:67]
	v_add_f64 v[2:3], v[2:3], v[4:5]
	v_mul_f64 v[4:5], v[98:99], v[42:43]
	v_fmac_f64_e32 v[134:135], v[126:127], v[68:69]
	v_fma_f64 v[4:5], v[96:97], v[44:45], -v[4:5]
	v_add_f64 v[136:137], v[132:133], v[134:135]
	ds_read_b128 v[132:135], v86 offset:992
	v_add_f64 v[2:3], v[2:3], v[4:5]
	v_mul_f64 v[4:5], v[102:103], v[54:55]
	v_fma_f64 v[4:5], v[100:101], v[56:57], -v[4:5]
	v_add_f64 v[2:3], v[2:3], v[4:5]
	v_mul_f64 v[4:5], v[106:107], v[50:51]
	s_waitcnt vmcnt(30) lgkmcnt(1)
	v_mul_f64 v[138:139], v[128:129], v[78:79]
	v_fma_f64 v[4:5], v[104:105], v[52:53], -v[4:5]
	s_waitcnt vmcnt(28)
	v_fmac_f64_e32 v[138:139], v[130:131], v[80:81]
	v_add_f64 v[2:3], v[2:3], v[4:5]
	v_mul_f64 v[4:5], v[110:111], v[62:63]
	v_add_f64 v[140:141], v[136:137], v[138:139]
	ds_read_b128 v[136:139], v86 offset:1008
	s_waitcnt lgkmcnt(1)
	v_mul_f64 v[142:143], v[132:133], v[74:75]
	v_fma_f64 v[4:5], v[108:109], v[64:65], -v[4:5]
	v_fmac_f64_e32 v[142:143], v[134:135], v[76:77]
	v_add_f64 v[2:3], v[2:3], v[4:5]
	v_mul_f64 v[4:5], v[114:115], v[58:59]
	v_add_f64 v[144:145], v[140:141], v[142:143]
	ds_read_b128 v[140:143], v86 offset:1024
	v_fma_f64 v[4:5], v[112:113], v[60:61], -v[4:5]
	v_add_f64 v[2:3], v[2:3], v[4:5]
	v_mul_f64 v[4:5], v[122:123], v[70:71]
	v_fma_f64 v[4:5], v[120:121], v[72:73], -v[4:5]
	s_waitcnt vmcnt(22) lgkmcnt(1)
	v_mul_f64 v[146:147], v[136:137], v[116:117]
	v_add_f64 v[2:3], v[2:3], v[4:5]
	v_mul_f64 v[4:5], v[126:127], v[66:67]
	s_waitcnt vmcnt(20)
	v_fmac_f64_e32 v[146:147], v[138:139], v[164:165]
	v_fma_f64 v[4:5], v[124:125], v[68:69], -v[4:5]
	v_add_f64 v[148:149], v[144:145], v[146:147]
	ds_read_b128 v[144:147], v86 offset:1040
	s_waitcnt lgkmcnt(1)
	v_mul_f64 v[150:151], v[140:141], v[82:83]
	v_add_f64 v[2:3], v[2:3], v[4:5]
	v_mul_f64 v[4:5], v[130:131], v[78:79]
	v_fmac_f64_e32 v[150:151], v[142:143], v[84:85]
	v_fma_f64 v[4:5], v[128:129], v[80:81], -v[4:5]
	v_add_f64 v[152:153], v[148:149], v[150:151]
	ds_read_b128 v[148:151], v86 offset:1056
	v_add_f64 v[2:3], v[2:3], v[4:5]
	v_mul_f64 v[4:5], v[134:135], v[74:75]
	v_fma_f64 v[4:5], v[132:133], v[76:77], -v[4:5]
	v_add_f64 v[2:3], v[2:3], v[4:5]
	v_mul_f64 v[4:5], v[138:139], v[116:117]
	s_waitcnt vmcnt(14) lgkmcnt(1)
	v_mul_f64 v[154:155], v[144:145], v[170:171]
	v_fma_f64 v[4:5], v[136:137], v[164:165], -v[4:5]
	s_waitcnt vmcnt(12)
	v_fmac_f64_e32 v[154:155], v[146:147], v[172:173]
	v_add_f64 v[2:3], v[2:3], v[4:5]
	v_mul_f64 v[4:5], v[142:143], v[82:83]
	v_add_f64 v[156:157], v[152:153], v[154:155]
	ds_read_b128 v[152:155], v86 offset:1072
	s_waitcnt lgkmcnt(1)
	v_mul_f64 v[158:159], v[148:149], v[166:167]
	v_fma_f64 v[4:5], v[140:141], v[84:85], -v[4:5]
	v_fmac_f64_e32 v[158:159], v[150:151], v[168:169]
	v_add_f64 v[2:3], v[2:3], v[4:5]
	v_mul_f64 v[4:5], v[146:147], v[170:171]
	v_add_f64 v[194:195], v[156:157], v[158:159]
	ds_read_b128 v[156:159], v86 offset:1088
	ds_read_b128 v[160:163], v86 offset:1104
	v_fma_f64 v[4:5], v[144:145], v[172:173], -v[4:5]
	v_add_f64 v[2:3], v[2:3], v[4:5]
	v_mul_f64 v[4:5], v[150:151], v[166:167]
	v_fma_f64 v[4:5], v[148:149], v[168:169], -v[4:5]
	v_add_f64 v[2:3], v[2:3], v[4:5]
	s_waitcnt vmcnt(6) lgkmcnt(2)
	v_mul_f64 v[4:5], v[154:155], v[178:179]
	v_mul_f64 v[196:197], v[152:153], v[178:179]
	s_waitcnt vmcnt(4)
	v_fma_f64 v[4:5], v[152:153], v[188:189], -v[4:5]
	v_fmac_f64_e32 v[196:197], v[154:155], v[188:189]
	v_add_f64 v[2:3], v[2:3], v[4:5]
	s_waitcnt lgkmcnt(1)
	v_mul_f64 v[4:5], v[158:159], v[174:175]
	v_add_f64 v[86:87], v[194:195], v[196:197]
	v_mul_f64 v[194:195], v[156:157], v[174:175]
	v_fma_f64 v[4:5], v[156:157], v[176:177], -v[4:5]
	v_fmac_f64_e32 v[194:195], v[158:159], v[176:177]
	v_add_f64 v[2:3], v[2:3], v[4:5]
	s_waitcnt vmcnt(2) lgkmcnt(0)
	v_mul_f64 v[4:5], v[162:163], v[190:191]
	v_add_f64 v[86:87], v[86:87], v[194:195]
	v_mul_f64 v[194:195], v[160:161], v[190:191]
	s_waitcnt vmcnt(0)
	v_fma_f64 v[4:5], v[160:161], v[192:193], -v[4:5]
	v_fmac_f64_e32 v[194:195], v[162:163], v[192:193]
	v_add_f64 v[2:3], v[2:3], v[4:5]
	v_add_f64 v[86:87], v[86:87], v[194:195]
	v_add_f64 v[2:3], v[20:21], -v[2:3]
	v_cmp_lt_u32_e32 vcc, 11, v0
	v_add_f64 v[4:5], v[18:19], -v[86:87]
	buffer_store_dword v3, off, s[0:3], 0 offset:212
	buffer_store_dword v2, off, s[0:3], 0 offset:208
	;; [unrolled: 1-line block ×4, first 2 shown]
	s_and_saveexec_b64 s[4:5], vcc
	s_cbranch_execz .LBB98_201
; %bb.200:
	v_accvgpr_read_b32 v5, a87
	buffer_load_dword v2, v5, s[0:3], 0 offen
	buffer_load_dword v3, v5, s[0:3], 0 offen offset:4
	buffer_load_dword v4, v5, s[0:3], 0 offen offset:8
	s_nop 0
	buffer_load_dword v5, v5, s[0:3], 0 offen offset:12
	v_mov_b32_e32 v6, 0
	buffer_store_dword v6, off, s[0:3], 0 offset:192
	buffer_store_dword v6, off, s[0:3], 0 offset:196
	;; [unrolled: 1-line block ×4, first 2 shown]
	s_waitcnt vmcnt(4)
	ds_write_b128 v1, v[2:5]
.LBB98_201:
	s_or_b64 exec, exec, s[4:5]
	s_waitcnt lgkmcnt(0)
	; wave barrier
	s_waitcnt lgkmcnt(0)
	buffer_load_dword v9, off, s[0:3], 0 offset:220
	buffer_load_dword v6, off, s[0:3], 0 offset:232
	;; [unrolled: 1-line block ×64, first 2 shown]
	v_mov_b32_e32 v98, 0
	ds_read_b128 v[74:77], v98 offset:752
	ds_read_b128 v[78:81], v98 offset:768
	buffer_load_dword v67, off, s[0:3], 0 offset:476
	buffer_load_dword v66, off, s[0:3], 0 offset:472
	;; [unrolled: 1-line block ×8, first 2 shown]
	ds_read_b128 v[82:85], v98 offset:784
	ds_read_b128 v[86:89], v98 offset:800
	buffer_load_dword v117, off, s[0:3], 0 offset:508
	buffer_load_dword v116, off, s[0:3], 0 offset:504
	;; [unrolled: 1-line block ×24, first 2 shown]
	ds_read_b128 v[168:171], v98 offset:1104
	v_cmp_lt_u32_e32 vcc, 10, v0
	s_waitcnt vmcnt(62) lgkmcnt(1)
	v_mul_f64 v[96:97], v[86:87], v[22:23]
	v_fmac_f64_e32 v[96:97], v[88:89], v[24:25]
	v_mul_f64 v[92:93], v[78:79], v[6:7]
	v_mul_f64 v[90:91], v[74:75], v[8:9]
	;; [unrolled: 1-line block ×3, first 2 shown]
	v_fmac_f64_e32 v[90:91], v[76:77], v[10:11]
	v_add_f64 v[90:91], v[90:91], 0
	v_fma_f64 v[8:9], v[74:75], v[10:11], -v[8:9]
	v_mul_f64 v[6:7], v[80:81], v[6:7]
	v_add_f64 v[8:9], v[8:9], 0
	v_fmac_f64_e32 v[92:93], v[80:81], v[14:15]
	v_add_f64 v[90:91], v[90:91], v[92:93]
	v_mul_f64 v[92:93], v[82:83], v[16:17]
	v_fmac_f64_e32 v[92:93], v[84:85], v[12:13]
	v_add_f64 v[94:95], v[90:91], v[92:93]
	ds_read_b128 v[90:93], v98 offset:816
	v_add_f64 v[100:101], v[94:95], v[96:97]
	ds_read_b128 v[94:97], v98 offset:832
	v_fma_f64 v[6:7], v[78:79], v[14:15], -v[6:7]
	v_add_f64 v[6:7], v[8:9], v[6:7]
	s_waitcnt lgkmcnt(1)
	v_mul_f64 v[102:103], v[90:91], v[18:19]
	v_fmac_f64_e32 v[102:103], v[92:93], v[20:21]
	v_add_f64 v[104:105], v[100:101], v[102:103]
	ds_read_b128 v[100:103], v98 offset:848
	s_waitcnt lgkmcnt(1)
	v_mul_f64 v[106:107], v[94:95], v[30:31]
	v_fmac_f64_e32 v[106:107], v[96:97], v[32:33]
	v_add_f64 v[108:109], v[104:105], v[106:107]
	ds_read_b128 v[104:107], v98 offset:864
	;; [unrolled: 5-line block ×3, first 2 shown]
	s_waitcnt vmcnt(58) lgkmcnt(1)
	v_mul_f64 v[114:115], v[104:105], v[38:39]
	s_waitcnt vmcnt(56)
	v_fmac_f64_e32 v[114:115], v[106:107], v[40:41]
	v_add_f64 v[120:121], v[112:113], v[114:115]
	ds_read_b128 v[112:115], v98 offset:896
	s_waitcnt lgkmcnt(1)
	v_mul_f64 v[122:123], v[108:109], v[34:35]
	v_fmac_f64_e32 v[122:123], v[110:111], v[36:37]
	v_add_f64 v[124:125], v[120:121], v[122:123]
	ds_read_b128 v[120:123], v98 offset:912
	s_waitcnt vmcnt(50) lgkmcnt(1)
	v_mul_f64 v[126:127], v[112:113], v[46:47]
	s_waitcnt vmcnt(48)
	v_fmac_f64_e32 v[126:127], v[114:115], v[48:49]
	v_add_f64 v[128:129], v[124:125], v[126:127]
	ds_read_b128 v[124:127], v98 offset:928
	v_mul_f64 v[8:9], v[84:85], v[16:17]
	s_waitcnt lgkmcnt(1)
	v_mul_f64 v[130:131], v[120:121], v[42:43]
	v_fma_f64 v[8:9], v[82:83], v[12:13], -v[8:9]
	v_fmac_f64_e32 v[130:131], v[122:123], v[44:45]
	v_add_f64 v[6:7], v[6:7], v[8:9]
	v_mul_f64 v[8:9], v[88:89], v[22:23]
	v_add_f64 v[132:133], v[128:129], v[130:131]
	ds_read_b128 v[128:131], v98 offset:944
	s_waitcnt vmcnt(42) lgkmcnt(1)
	v_mul_f64 v[134:135], v[124:125], v[54:55]
	v_fma_f64 v[8:9], v[86:87], v[24:25], -v[8:9]
	s_waitcnt vmcnt(40)
	v_fmac_f64_e32 v[134:135], v[126:127], v[56:57]
	v_add_f64 v[6:7], v[6:7], v[8:9]
	v_mul_f64 v[8:9], v[92:93], v[18:19]
	v_add_f64 v[136:137], v[132:133], v[134:135]
	ds_read_b128 v[132:135], v98 offset:960
	v_fma_f64 v[8:9], v[90:91], v[20:21], -v[8:9]
	v_add_f64 v[6:7], v[6:7], v[8:9]
	v_mul_f64 v[8:9], v[96:97], v[30:31]
	v_fma_f64 v[8:9], v[94:95], v[32:33], -v[8:9]
	s_waitcnt lgkmcnt(1)
	v_mul_f64 v[138:139], v[128:129], v[50:51]
	v_add_f64 v[6:7], v[6:7], v[8:9]
	v_mul_f64 v[8:9], v[102:103], v[26:27]
	v_fmac_f64_e32 v[138:139], v[130:131], v[52:53]
	v_fma_f64 v[8:9], v[100:101], v[28:29], -v[8:9]
	v_add_f64 v[140:141], v[136:137], v[138:139]
	ds_read_b128 v[136:139], v98 offset:976
	s_waitcnt vmcnt(34) lgkmcnt(1)
	v_mul_f64 v[142:143], v[132:133], v[62:63]
	v_add_f64 v[6:7], v[6:7], v[8:9]
	v_mul_f64 v[8:9], v[106:107], v[38:39]
	s_waitcnt vmcnt(32)
	v_fmac_f64_e32 v[142:143], v[134:135], v[64:65]
	v_fma_f64 v[8:9], v[104:105], v[40:41], -v[8:9]
	v_add_f64 v[144:145], v[140:141], v[142:143]
	ds_read_b128 v[140:143], v98 offset:992
	v_add_f64 v[6:7], v[6:7], v[8:9]
	v_mul_f64 v[8:9], v[110:111], v[34:35]
	v_fma_f64 v[8:9], v[108:109], v[36:37], -v[8:9]
	v_add_f64 v[6:7], v[6:7], v[8:9]
	v_mul_f64 v[8:9], v[114:115], v[46:47]
	s_waitcnt lgkmcnt(1)
	v_mul_f64 v[146:147], v[136:137], v[58:59]
	v_fma_f64 v[8:9], v[112:113], v[48:49], -v[8:9]
	v_fmac_f64_e32 v[146:147], v[138:139], v[60:61]
	v_add_f64 v[6:7], v[6:7], v[8:9]
	v_mul_f64 v[8:9], v[122:123], v[42:43]
	v_add_f64 v[148:149], v[144:145], v[146:147]
	ds_read_b128 v[144:147], v98 offset:1008
	s_waitcnt vmcnt(26) lgkmcnt(1)
	v_mul_f64 v[150:151], v[140:141], v[70:71]
	v_fma_f64 v[8:9], v[120:121], v[44:45], -v[8:9]
	s_waitcnt vmcnt(24)
	v_fmac_f64_e32 v[150:151], v[142:143], v[72:73]
	v_add_f64 v[6:7], v[6:7], v[8:9]
	v_mul_f64 v[8:9], v[126:127], v[54:55]
	v_add_f64 v[152:153], v[148:149], v[150:151]
	ds_read_b128 v[148:151], v98 offset:1024
	v_fma_f64 v[8:9], v[124:125], v[56:57], -v[8:9]
	v_add_f64 v[6:7], v[6:7], v[8:9]
	v_mul_f64 v[8:9], v[130:131], v[50:51]
	v_fma_f64 v[8:9], v[128:129], v[52:53], -v[8:9]
	s_waitcnt lgkmcnt(1)
	v_mul_f64 v[154:155], v[144:145], v[66:67]
	v_add_f64 v[6:7], v[6:7], v[8:9]
	v_mul_f64 v[8:9], v[134:135], v[62:63]
	v_fmac_f64_e32 v[154:155], v[146:147], v[68:69]
	v_fma_f64 v[8:9], v[132:133], v[64:65], -v[8:9]
	v_add_f64 v[156:157], v[152:153], v[154:155]
	ds_read_b128 v[152:155], v98 offset:1040
	s_waitcnt vmcnt(18) lgkmcnt(1)
	v_mul_f64 v[158:159], v[148:149], v[174:175]
	v_add_f64 v[6:7], v[6:7], v[8:9]
	v_mul_f64 v[8:9], v[138:139], v[58:59]
	s_waitcnt vmcnt(16)
	v_fmac_f64_e32 v[158:159], v[150:151], v[176:177]
	v_fma_f64 v[8:9], v[136:137], v[60:61], -v[8:9]
	v_add_f64 v[160:161], v[156:157], v[158:159]
	ds_read_b128 v[156:159], v98 offset:1056
	v_add_f64 v[6:7], v[6:7], v[8:9]
	v_mul_f64 v[8:9], v[142:143], v[70:71]
	v_fma_f64 v[8:9], v[140:141], v[72:73], -v[8:9]
	v_add_f64 v[6:7], v[6:7], v[8:9]
	v_mul_f64 v[8:9], v[146:147], v[66:67]
	s_waitcnt lgkmcnt(1)
	v_mul_f64 v[162:163], v[152:153], v[116:117]
	v_fma_f64 v[8:9], v[144:145], v[68:69], -v[8:9]
	v_fmac_f64_e32 v[162:163], v[154:155], v[172:173]
	v_add_f64 v[6:7], v[6:7], v[8:9]
	v_mul_f64 v[8:9], v[150:151], v[174:175]
	v_add_f64 v[164:165], v[160:161], v[162:163]
	ds_read_b128 v[160:163], v98 offset:1072
	s_waitcnt vmcnt(10) lgkmcnt(1)
	v_mul_f64 v[166:167], v[156:157], v[190:191]
	v_fma_f64 v[8:9], v[148:149], v[176:177], -v[8:9]
	s_waitcnt vmcnt(8)
	v_fmac_f64_e32 v[166:167], v[158:159], v[192:193]
	v_add_f64 v[6:7], v[6:7], v[8:9]
	v_mul_f64 v[8:9], v[154:155], v[116:117]
	v_add_f64 v[202:203], v[164:165], v[166:167]
	ds_read_b128 v[164:167], v98 offset:1088
	v_fma_f64 v[8:9], v[152:153], v[172:173], -v[8:9]
	v_add_f64 v[6:7], v[6:7], v[8:9]
	v_mul_f64 v[8:9], v[158:159], v[190:191]
	v_fma_f64 v[8:9], v[156:157], v[192:193], -v[8:9]
	v_add_f64 v[6:7], v[6:7], v[8:9]
	s_waitcnt lgkmcnt(1)
	v_mul_f64 v[8:9], v[162:163], v[178:179]
	v_mul_f64 v[204:205], v[160:161], v[178:179]
	v_fma_f64 v[8:9], v[160:161], v[188:189], -v[8:9]
	v_fmac_f64_e32 v[204:205], v[162:163], v[188:189]
	v_add_f64 v[6:7], v[6:7], v[8:9]
	s_waitcnt vmcnt(2) lgkmcnt(0)
	v_mul_f64 v[8:9], v[166:167], v[198:199]
	v_add_f64 v[202:203], v[202:203], v[204:205]
	v_mul_f64 v[204:205], v[164:165], v[198:199]
	s_waitcnt vmcnt(0)
	v_fma_f64 v[8:9], v[164:165], v[200:201], -v[8:9]
	v_fmac_f64_e32 v[204:205], v[166:167], v[200:201]
	v_add_f64 v[6:7], v[6:7], v[8:9]
	v_mul_f64 v[8:9], v[170:171], v[194:195]
	v_add_f64 v[202:203], v[202:203], v[204:205]
	v_mul_f64 v[204:205], v[168:169], v[194:195]
	v_fma_f64 v[8:9], v[168:169], v[196:197], -v[8:9]
	v_fmac_f64_e32 v[204:205], v[170:171], v[196:197]
	v_add_f64 v[6:7], v[6:7], v[8:9]
	v_add_f64 v[202:203], v[202:203], v[204:205]
	v_add_f64 v[4:5], v[4:5], -v[6:7]
	v_add_f64 v[2:3], v[2:3], -v[202:203]
	buffer_store_dword v5, off, s[0:3], 0 offset:196
	buffer_store_dword v4, off, s[0:3], 0 offset:192
	;; [unrolled: 1-line block ×4, first 2 shown]
	s_and_saveexec_b64 s[4:5], vcc
	s_cbranch_execz .LBB98_203
; %bb.202:
	v_accvgpr_read_b32 v5, a88
	buffer_load_dword v2, v5, s[0:3], 0 offen
	buffer_load_dword v3, v5, s[0:3], 0 offen offset:4
	buffer_load_dword v4, v5, s[0:3], 0 offen offset:8
	s_nop 0
	buffer_load_dword v5, v5, s[0:3], 0 offen offset:12
	s_nop 0
	buffer_store_dword v98, off, s[0:3], 0 offset:176
	buffer_store_dword v98, off, s[0:3], 0 offset:180
	;; [unrolled: 1-line block ×4, first 2 shown]
	s_waitcnt vmcnt(4)
	ds_write_b128 v1, v[2:5]
.LBB98_203:
	s_or_b64 exec, exec, s[4:5]
	s_waitcnt lgkmcnt(0)
	; wave barrier
	s_waitcnt lgkmcnt(0)
	buffer_load_dword v22, off, s[0:3], 0 offset:192
	buffer_load_dword v23, off, s[0:3], 0 offset:196
	;; [unrolled: 1-line block ×16, first 2 shown]
	ds_read_b128 v[2:5], v98 offset:736
	ds_read_b128 v[6:9], v98 offset:752
	;; [unrolled: 1-line block ×4, first 2 shown]
	buffer_load_dword v35, off, s[0:3], 0 offset:268
	buffer_load_dword v34, off, s[0:3], 0 offset:264
	;; [unrolled: 1-line block ×48, first 2 shown]
	v_cmp_lt_u32_e32 vcc, 9, v0
	s_waitcnt vmcnt(42) lgkmcnt(0)
	v_mul_f64 v[106:107], v[14:15], v[38:39]
	s_waitcnt vmcnt(40)
	v_fmac_f64_e32 v[106:107], v[16:17], v[40:41]
	v_mul_f64 v[82:83], v[2:3], v[24:25]
	v_fmac_f64_e32 v[82:83], v[4:5], v[22:23]
	v_add_f64 v[82:83], v[82:83], 0
	v_mul_f64 v[4:5], v[4:5], v[24:25]
	v_mul_f64 v[84:85], v[6:7], v[32:33]
	v_fma_f64 v[2:3], v[2:3], v[22:23], -v[4:5]
	v_mul_f64 v[100:101], v[10:11], v[26:27]
	v_fmac_f64_e32 v[100:101], v[12:13], v[30:31]
	v_fmac_f64_e32 v[84:85], v[8:9], v[28:29]
	v_add_f64 v[102:103], v[82:83], v[84:85]
	buffer_load_dword v83, off, s[0:3], 0 offset:460
	buffer_load_dword v82, off, s[0:3], 0 offset:456
	;; [unrolled: 1-line block ×32, first 2 shown]
	v_add_f64 v[104:105], v[102:103], v[100:101]
	ds_read_b128 v[100:103], v98 offset:800
	buffer_load_dword v207, off, s[0:3], 0 offset:572
	buffer_load_dword v206, off, s[0:3], 0 offset:568
	;; [unrolled: 1-line block ×4, first 2 shown]
	v_add_f64 v[108:109], v[104:105], v[106:107]
	ds_read_b128 v[104:107], v98 offset:816
	v_mul_f64 v[4:5], v[8:9], v[32:33]
	s_waitcnt lgkmcnt(1)
	v_mul_f64 v[110:111], v[100:101], v[34:35]
	v_fmac_f64_e32 v[110:111], v[102:103], v[36:37]
	v_add_f64 v[112:113], v[108:109], v[110:111]
	ds_read_b128 v[108:111], v98 offset:832
	s_waitcnt vmcnt(62) lgkmcnt(1)
	v_mul_f64 v[114:115], v[104:105], v[46:47]
	v_fmac_f64_e32 v[114:115], v[106:107], v[48:49]
	v_add_f64 v[120:121], v[112:113], v[114:115]
	ds_read_b128 v[112:115], v98 offset:848
	s_waitcnt lgkmcnt(1)
	v_mul_f64 v[122:123], v[108:109], v[42:43]
	v_fmac_f64_e32 v[122:123], v[110:111], v[44:45]
	v_add_f64 v[124:125], v[120:121], v[122:123]
	ds_read_b128 v[120:123], v98 offset:864
	s_waitcnt lgkmcnt(1)
	v_mul_f64 v[126:127], v[112:113], v[54:55]
	s_waitcnt vmcnt(60)
	v_fmac_f64_e32 v[126:127], v[114:115], v[56:57]
	v_add_f64 v[128:129], v[124:125], v[126:127]
	ds_read_b128 v[124:127], v98 offset:880
	s_waitcnt lgkmcnt(1)
	v_mul_f64 v[130:131], v[120:121], v[50:51]
	v_fmac_f64_e32 v[130:131], v[122:123], v[52:53]
	v_add_f64 v[132:133], v[128:129], v[130:131]
	ds_read_b128 v[128:131], v98 offset:896
	s_waitcnt vmcnt(54) lgkmcnt(1)
	v_mul_f64 v[134:135], v[124:125], v[62:63]
	s_waitcnt vmcnt(52)
	v_fmac_f64_e32 v[134:135], v[126:127], v[64:65]
	v_add_f64 v[136:137], v[132:133], v[134:135]
	ds_read_b128 v[132:135], v98 offset:912
	s_waitcnt lgkmcnt(1)
	v_mul_f64 v[138:139], v[128:129], v[58:59]
	v_fmac_f64_e32 v[138:139], v[130:131], v[60:61]
	v_add_f64 v[2:3], v[2:3], 0
	v_fma_f64 v[4:5], v[6:7], v[28:29], -v[4:5]
	v_add_f64 v[140:141], v[136:137], v[138:139]
	ds_read_b128 v[136:139], v98 offset:928
	v_add_f64 v[2:3], v[2:3], v[4:5]
	v_mul_f64 v[4:5], v[12:13], v[26:27]
	v_fma_f64 v[4:5], v[10:11], v[30:31], -v[4:5]
	v_add_f64 v[2:3], v[2:3], v[4:5]
	v_mul_f64 v[4:5], v[16:17], v[38:39]
	s_waitcnt vmcnt(46) lgkmcnt(1)
	v_mul_f64 v[142:143], v[132:133], v[70:71]
	v_fma_f64 v[4:5], v[14:15], v[40:41], -v[4:5]
	s_waitcnt vmcnt(44)
	v_fmac_f64_e32 v[142:143], v[134:135], v[72:73]
	v_add_f64 v[2:3], v[2:3], v[4:5]
	v_mul_f64 v[4:5], v[102:103], v[34:35]
	v_add_f64 v[144:145], v[140:141], v[142:143]
	ds_read_b128 v[140:143], v98 offset:944
	s_waitcnt lgkmcnt(1)
	v_mul_f64 v[146:147], v[136:137], v[66:67]
	v_fma_f64 v[4:5], v[100:101], v[36:37], -v[4:5]
	v_fmac_f64_e32 v[146:147], v[138:139], v[68:69]
	v_add_f64 v[2:3], v[2:3], v[4:5]
	v_mul_f64 v[4:5], v[106:107], v[46:47]
	v_add_f64 v[148:149], v[144:145], v[146:147]
	ds_read_b128 v[144:147], v98 offset:960
	v_fma_f64 v[4:5], v[104:105], v[48:49], -v[4:5]
	v_add_f64 v[2:3], v[2:3], v[4:5]
	v_mul_f64 v[4:5], v[110:111], v[42:43]
	v_fma_f64 v[4:5], v[108:109], v[44:45], -v[4:5]
	s_waitcnt vmcnt(38) lgkmcnt(1)
	v_mul_f64 v[150:151], v[140:141], v[78:79]
	v_add_f64 v[2:3], v[2:3], v[4:5]
	v_mul_f64 v[4:5], v[114:115], v[54:55]
	s_waitcnt vmcnt(36)
	v_fmac_f64_e32 v[150:151], v[142:143], v[80:81]
	v_fma_f64 v[4:5], v[112:113], v[56:57], -v[4:5]
	v_add_f64 v[152:153], v[148:149], v[150:151]
	ds_read_b128 v[148:151], v98 offset:976
	s_waitcnt lgkmcnt(1)
	v_mul_f64 v[154:155], v[144:145], v[74:75]
	v_add_f64 v[2:3], v[2:3], v[4:5]
	v_mul_f64 v[4:5], v[122:123], v[50:51]
	v_fmac_f64_e32 v[154:155], v[146:147], v[76:77]
	v_fma_f64 v[4:5], v[120:121], v[52:53], -v[4:5]
	v_add_f64 v[156:157], v[152:153], v[154:155]
	ds_read_b128 v[152:155], v98 offset:992
	v_add_f64 v[2:3], v[2:3], v[4:5]
	v_mul_f64 v[4:5], v[126:127], v[62:63]
	v_fma_f64 v[4:5], v[124:125], v[64:65], -v[4:5]
	v_add_f64 v[2:3], v[2:3], v[4:5]
	v_mul_f64 v[4:5], v[130:131], v[58:59]
	s_waitcnt vmcnt(30) lgkmcnt(1)
	v_mul_f64 v[158:159], v[148:149], v[86:87]
	v_fma_f64 v[4:5], v[128:129], v[60:61], -v[4:5]
	s_waitcnt vmcnt(28)
	v_fmac_f64_e32 v[158:159], v[150:151], v[88:89]
	v_add_f64 v[2:3], v[2:3], v[4:5]
	v_mul_f64 v[4:5], v[134:135], v[70:71]
	v_add_f64 v[160:161], v[156:157], v[158:159]
	ds_read_b128 v[156:159], v98 offset:1008
	s_waitcnt lgkmcnt(1)
	v_mul_f64 v[162:163], v[152:153], v[82:83]
	v_fma_f64 v[4:5], v[132:133], v[72:73], -v[4:5]
	v_fmac_f64_e32 v[162:163], v[154:155], v[84:85]
	v_add_f64 v[2:3], v[2:3], v[4:5]
	v_mul_f64 v[4:5], v[138:139], v[66:67]
	v_add_f64 v[164:165], v[160:161], v[162:163]
	ds_read_b128 v[160:163], v98 offset:1024
	v_fma_f64 v[4:5], v[136:137], v[68:69], -v[4:5]
	v_add_f64 v[2:3], v[2:3], v[4:5]
	v_mul_f64 v[4:5], v[142:143], v[78:79]
	v_fma_f64 v[4:5], v[140:141], v[80:81], -v[4:5]
	s_waitcnt vmcnt(22) lgkmcnt(1)
	v_mul_f64 v[166:167], v[156:157], v[94:95]
	v_add_f64 v[2:3], v[2:3], v[4:5]
	v_mul_f64 v[4:5], v[146:147], v[74:75]
	s_waitcnt vmcnt(20)
	v_fmac_f64_e32 v[166:167], v[158:159], v[96:97]
	v_fma_f64 v[4:5], v[144:145], v[76:77], -v[4:5]
	v_add_f64 v[168:169], v[164:165], v[166:167]
	ds_read_b128 v[164:167], v98 offset:1040
	s_waitcnt lgkmcnt(1)
	v_mul_f64 v[170:171], v[160:161], v[90:91]
	v_add_f64 v[2:3], v[2:3], v[4:5]
	v_mul_f64 v[4:5], v[150:151], v[86:87]
	v_fmac_f64_e32 v[170:171], v[162:163], v[92:93]
	v_fma_f64 v[4:5], v[148:149], v[88:89], -v[4:5]
	v_add_f64 v[172:173], v[168:169], v[170:171]
	ds_read_b128 v[168:171], v98 offset:1056
	v_add_f64 v[2:3], v[2:3], v[4:5]
	v_mul_f64 v[4:5], v[154:155], v[82:83]
	v_fma_f64 v[4:5], v[152:153], v[84:85], -v[4:5]
	v_add_f64 v[2:3], v[2:3], v[4:5]
	v_mul_f64 v[4:5], v[158:159], v[94:95]
	s_waitcnt vmcnt(14) lgkmcnt(1)
	v_mul_f64 v[174:175], v[164:165], v[194:195]
	v_fma_f64 v[4:5], v[156:157], v[96:97], -v[4:5]
	s_waitcnt vmcnt(12)
	v_fmac_f64_e32 v[174:175], v[166:167], v[196:197]
	v_add_f64 v[2:3], v[2:3], v[4:5]
	v_mul_f64 v[4:5], v[162:163], v[90:91]
	v_add_f64 v[176:177], v[172:173], v[174:175]
	ds_read_b128 v[172:175], v98 offset:1072
	s_waitcnt lgkmcnt(1)
	v_mul_f64 v[178:179], v[168:169], v[116:117]
	v_fma_f64 v[4:5], v[160:161], v[92:93], -v[4:5]
	v_fmac_f64_e32 v[178:179], v[170:171], v[192:193]
	v_add_f64 v[2:3], v[2:3], v[4:5]
	v_mul_f64 v[4:5], v[166:167], v[194:195]
	v_add_f64 v[210:211], v[176:177], v[178:179]
	ds_read_b128 v[176:179], v98 offset:1088
	v_fma_f64 v[4:5], v[164:165], v[196:197], -v[4:5]
	v_add_f64 v[2:3], v[2:3], v[4:5]
	v_mul_f64 v[4:5], v[170:171], v[116:117]
	ds_read_b128 v[188:191], v98 offset:1104
	v_fma_f64 v[4:5], v[168:169], v[192:193], -v[4:5]
	v_add_f64 v[2:3], v[2:3], v[4:5]
	s_waitcnt vmcnt(6) lgkmcnt(2)
	v_mul_f64 v[4:5], v[174:175], v[202:203]
	v_mul_f64 v[212:213], v[172:173], v[202:203]
	s_waitcnt vmcnt(4)
	v_fma_f64 v[4:5], v[172:173], v[204:205], -v[4:5]
	v_fmac_f64_e32 v[212:213], v[174:175], v[204:205]
	v_add_f64 v[2:3], v[2:3], v[4:5]
	s_waitcnt lgkmcnt(1)
	v_mul_f64 v[4:5], v[178:179], v[198:199]
	v_add_f64 v[98:99], v[210:211], v[212:213]
	v_mul_f64 v[210:211], v[176:177], v[198:199]
	v_fma_f64 v[4:5], v[176:177], v[200:201], -v[4:5]
	v_fmac_f64_e32 v[210:211], v[178:179], v[200:201]
	v_add_f64 v[2:3], v[2:3], v[4:5]
	s_waitcnt vmcnt(2) lgkmcnt(0)
	v_mul_f64 v[4:5], v[190:191], v[206:207]
	v_add_f64 v[98:99], v[98:99], v[210:211]
	v_mul_f64 v[210:211], v[188:189], v[206:207]
	s_waitcnt vmcnt(0)
	v_fma_f64 v[4:5], v[188:189], v[208:209], -v[4:5]
	v_fmac_f64_e32 v[210:211], v[190:191], v[208:209]
	v_add_f64 v[2:3], v[2:3], v[4:5]
	v_add_f64 v[98:99], v[98:99], v[210:211]
	v_add_f64 v[2:3], v[20:21], -v[2:3]
	v_add_f64 v[4:5], v[18:19], -v[98:99]
	buffer_store_dword v3, off, s[0:3], 0 offset:180
	buffer_store_dword v2, off, s[0:3], 0 offset:176
	;; [unrolled: 1-line block ×4, first 2 shown]
	s_and_saveexec_b64 s[4:5], vcc
	s_cbranch_execz .LBB98_205
; %bb.204:
	v_accvgpr_read_b32 v5, a89
	buffer_load_dword v2, v5, s[0:3], 0 offen
	buffer_load_dword v3, v5, s[0:3], 0 offen offset:4
	buffer_load_dword v4, v5, s[0:3], 0 offen offset:8
	s_nop 0
	buffer_load_dword v5, v5, s[0:3], 0 offen offset:12
	v_mov_b32_e32 v6, 0
	buffer_store_dword v6, off, s[0:3], 0 offset:160
	buffer_store_dword v6, off, s[0:3], 0 offset:164
	;; [unrolled: 1-line block ×4, first 2 shown]
	s_waitcnt vmcnt(4)
	ds_write_b128 v1, v[2:5]
.LBB98_205:
	s_or_b64 exec, exec, s[4:5]
	s_waitcnt lgkmcnt(0)
	; wave barrier
	s_waitcnt lgkmcnt(0)
	buffer_load_dword v22, off, s[0:3], 0 offset:176
	buffer_load_dword v23, off, s[0:3], 0 offset:180
	;; [unrolled: 1-line block ×64, first 2 shown]
	v_mov_b32_e32 v114, 0
	ds_read_b128 v[18:21], v114 offset:720
	ds_read_b128 v[14:17], v114 offset:736
	ds_read_b128 v[10:13], v114 offset:752
	ds_read_b128 v[6:9], v114 offset:768
	ds_read_b128 v[2:5], v114 offset:784
	v_cmp_lt_u32_e32 vcc, 8, v0
	s_waitcnt vmcnt(60) lgkmcnt(4)
	v_mul_f64 v[86:87], v[18:19], v[26:27]
	v_fmac_f64_e32 v[86:87], v[20:21], v[22:23]
	v_add_f64 v[86:87], v[86:87], 0
	v_mul_f64 v[20:21], v[20:21], v[26:27]
	s_waitcnt vmcnt(56) lgkmcnt(3)
	v_mul_f64 v[88:89], v[14:15], v[28:29]
	v_fmac_f64_e32 v[88:89], v[16:17], v[24:25]
	s_waitcnt vmcnt(54) lgkmcnt(2)
	v_mul_f64 v[90:91], v[10:11], v[30:31]
	v_add_f64 v[86:87], v[86:87], v[88:89]
	v_fma_f64 v[18:19], v[18:19], v[22:23], -v[20:21]
	v_mul_f64 v[16:17], v[16:17], v[28:29]
	s_waitcnt vmcnt(50) lgkmcnt(1)
	v_mul_f64 v[102:103], v[6:7], v[40:41]
	v_add_f64 v[18:19], v[18:19], 0
	s_waitcnt vmcnt(48)
	v_fmac_f64_e32 v[90:91], v[12:13], v[44:45]
	v_add_f64 v[104:105], v[86:87], v[90:91]
	buffer_load_dword v87, off, s[0:3], 0 offset:444
	buffer_load_dword v86, off, s[0:3], 0 offset:440
	;; [unrolled: 1-line block ×40, first 2 shown]
	s_waitcnt vmcnt(62)
	v_fmac_f64_e32 v[102:103], v[8:9], v[42:43]
	v_add_f64 v[106:107], v[104:105], v[102:103]
	ds_read_b128 v[102:105], v114 offset:800
	s_waitcnt lgkmcnt(1)
	v_mul_f64 v[108:109], v[2:3], v[36:37]
	v_fmac_f64_e32 v[108:109], v[4:5], v[38:39]
	v_add_f64 v[110:111], v[106:107], v[108:109]
	ds_read_b128 v[106:109], v114 offset:816
	s_waitcnt lgkmcnt(1)
	v_mul_f64 v[112:113], v[102:103], v[50:51]
	;; [unrolled: 5-line block ×5, first 2 shown]
	v_fmac_f64_e32 v[130:131], v[122:123], v[56:57]
	v_add_f64 v[132:133], v[128:129], v[130:131]
	ds_read_b128 v[128:131], v114 offset:880
	s_waitcnt vmcnt(58) lgkmcnt(1)
	v_mul_f64 v[134:135], v[124:125], v[66:67]
	s_waitcnt vmcnt(56)
	v_fmac_f64_e32 v[134:135], v[126:127], v[68:69]
	v_add_f64 v[136:137], v[132:133], v[134:135]
	ds_read_b128 v[132:135], v114 offset:896
	s_waitcnt lgkmcnt(1)
	v_mul_f64 v[138:139], v[128:129], v[62:63]
	v_fmac_f64_e32 v[138:139], v[130:131], v[64:65]
	v_add_f64 v[140:141], v[136:137], v[138:139]
	ds_read_b128 v[136:139], v114 offset:912
	s_waitcnt vmcnt(50) lgkmcnt(1)
	v_mul_f64 v[142:143], v[132:133], v[74:75]
	s_waitcnt vmcnt(48)
	v_fmac_f64_e32 v[142:143], v[134:135], v[76:77]
	v_add_f64 v[144:145], v[140:141], v[142:143]
	ds_read_b128 v[140:143], v114 offset:928
	v_fma_f64 v[14:15], v[14:15], v[24:25], -v[16:17]
	v_mul_f64 v[12:13], v[12:13], v[30:31]
	v_add_f64 v[14:15], v[18:19], v[14:15]
	v_fma_f64 v[10:11], v[10:11], v[44:45], -v[12:13]
	v_mul_f64 v[8:9], v[8:9], v[40:41]
	s_waitcnt lgkmcnt(1)
	v_mul_f64 v[146:147], v[136:137], v[70:71]
	v_add_f64 v[10:11], v[14:15], v[10:11]
	v_fma_f64 v[6:7], v[6:7], v[42:43], -v[8:9]
	v_mul_f64 v[4:5], v[4:5], v[36:37]
	v_fmac_f64_e32 v[146:147], v[138:139], v[72:73]
	v_add_f64 v[6:7], v[10:11], v[6:7]
	v_fma_f64 v[2:3], v[2:3], v[38:39], -v[4:5]
	v_mul_f64 v[4:5], v[104:105], v[50:51]
	v_add_f64 v[148:149], v[144:145], v[146:147]
	ds_read_b128 v[144:147], v114 offset:944
	s_waitcnt vmcnt(42) lgkmcnt(1)
	v_mul_f64 v[150:151], v[140:141], v[82:83]
	v_add_f64 v[2:3], v[6:7], v[2:3]
	v_fma_f64 v[4:5], v[102:103], v[52:53], -v[4:5]
	s_waitcnt vmcnt(40)
	v_fmac_f64_e32 v[150:151], v[142:143], v[84:85]
	v_add_f64 v[2:3], v[2:3], v[4:5]
	v_mul_f64 v[4:5], v[108:109], v[46:47]
	v_add_f64 v[152:153], v[148:149], v[150:151]
	ds_read_b128 v[148:151], v114 offset:960
	v_fma_f64 v[4:5], v[106:107], v[48:49], -v[4:5]
	v_add_f64 v[2:3], v[2:3], v[4:5]
	v_mul_f64 v[4:5], v[112:113], v[58:59]
	v_fma_f64 v[4:5], v[110:111], v[60:61], -v[4:5]
	s_waitcnt lgkmcnt(1)
	v_mul_f64 v[154:155], v[144:145], v[78:79]
	v_add_f64 v[2:3], v[2:3], v[4:5]
	v_mul_f64 v[4:5], v[122:123], v[54:55]
	v_fmac_f64_e32 v[154:155], v[146:147], v[80:81]
	v_fma_f64 v[4:5], v[120:121], v[56:57], -v[4:5]
	v_add_f64 v[156:157], v[152:153], v[154:155]
	ds_read_b128 v[152:155], v114 offset:976
	s_waitcnt vmcnt(34) lgkmcnt(1)
	v_mul_f64 v[158:159], v[148:149], v[90:91]
	v_add_f64 v[2:3], v[2:3], v[4:5]
	v_mul_f64 v[4:5], v[126:127], v[66:67]
	s_waitcnt vmcnt(32)
	v_fmac_f64_e32 v[158:159], v[150:151], v[92:93]
	v_fma_f64 v[4:5], v[124:125], v[68:69], -v[4:5]
	v_add_f64 v[160:161], v[156:157], v[158:159]
	ds_read_b128 v[156:159], v114 offset:992
	v_add_f64 v[2:3], v[2:3], v[4:5]
	v_mul_f64 v[4:5], v[130:131], v[62:63]
	v_fma_f64 v[4:5], v[128:129], v[64:65], -v[4:5]
	v_add_f64 v[2:3], v[2:3], v[4:5]
	v_mul_f64 v[4:5], v[134:135], v[74:75]
	s_waitcnt lgkmcnt(1)
	v_mul_f64 v[162:163], v[152:153], v[86:87]
	v_fma_f64 v[4:5], v[132:133], v[76:77], -v[4:5]
	v_fmac_f64_e32 v[162:163], v[154:155], v[88:89]
	v_add_f64 v[2:3], v[2:3], v[4:5]
	v_mul_f64 v[4:5], v[138:139], v[70:71]
	v_add_f64 v[164:165], v[160:161], v[162:163]
	ds_read_b128 v[160:163], v114 offset:1008
	s_waitcnt vmcnt(26) lgkmcnt(1)
	v_mul_f64 v[166:167], v[156:157], v[98:99]
	v_fma_f64 v[4:5], v[136:137], v[72:73], -v[4:5]
	s_waitcnt vmcnt(24)
	v_fmac_f64_e32 v[166:167], v[158:159], v[100:101]
	v_add_f64 v[2:3], v[2:3], v[4:5]
	v_mul_f64 v[4:5], v[142:143], v[82:83]
	v_add_f64 v[168:169], v[164:165], v[166:167]
	ds_read_b128 v[164:167], v114 offset:1024
	v_fma_f64 v[4:5], v[140:141], v[84:85], -v[4:5]
	v_add_f64 v[2:3], v[2:3], v[4:5]
	v_mul_f64 v[4:5], v[146:147], v[78:79]
	v_fma_f64 v[4:5], v[144:145], v[80:81], -v[4:5]
	s_waitcnt lgkmcnt(1)
	v_mul_f64 v[170:171], v[160:161], v[94:95]
	v_add_f64 v[2:3], v[2:3], v[4:5]
	v_mul_f64 v[4:5], v[150:151], v[90:91]
	v_fmac_f64_e32 v[170:171], v[162:163], v[96:97]
	v_fma_f64 v[4:5], v[148:149], v[92:93], -v[4:5]
	v_add_f64 v[172:173], v[168:169], v[170:171]
	ds_read_b128 v[168:171], v114 offset:1040
	s_waitcnt vmcnt(18) lgkmcnt(1)
	v_mul_f64 v[174:175], v[164:165], v[198:199]
	v_add_f64 v[2:3], v[2:3], v[4:5]
	v_mul_f64 v[4:5], v[154:155], v[86:87]
	s_waitcnt vmcnt(16)
	v_fmac_f64_e32 v[174:175], v[166:167], v[200:201]
	v_fma_f64 v[4:5], v[152:153], v[88:89], -v[4:5]
	v_add_f64 v[176:177], v[172:173], v[174:175]
	ds_read_b128 v[172:175], v114 offset:1056
	v_add_f64 v[2:3], v[2:3], v[4:5]
	v_mul_f64 v[4:5], v[158:159], v[98:99]
	v_fma_f64 v[4:5], v[156:157], v[100:101], -v[4:5]
	v_add_f64 v[2:3], v[2:3], v[4:5]
	v_mul_f64 v[4:5], v[162:163], v[94:95]
	s_waitcnt lgkmcnt(1)
	v_mul_f64 v[178:179], v[168:169], v[116:117]
	v_fma_f64 v[4:5], v[160:161], v[96:97], -v[4:5]
	v_fmac_f64_e32 v[178:179], v[170:171], v[196:197]
	v_add_f64 v[2:3], v[2:3], v[4:5]
	v_mul_f64 v[4:5], v[166:167], v[198:199]
	v_add_f64 v[188:189], v[176:177], v[178:179]
	ds_read_b128 v[176:179], v114 offset:1072
	s_waitcnt vmcnt(10) lgkmcnt(1)
	v_mul_f64 v[190:191], v[172:173], v[206:207]
	v_fma_f64 v[4:5], v[164:165], v[200:201], -v[4:5]
	s_waitcnt vmcnt(8)
	v_fmac_f64_e32 v[190:191], v[174:175], v[208:209]
	v_add_f64 v[2:3], v[2:3], v[4:5]
	v_mul_f64 v[4:5], v[170:171], v[116:117]
	v_add_f64 v[218:219], v[188:189], v[190:191]
	ds_read_b128 v[188:191], v114 offset:1088
	ds_read_b128 v[192:195], v114 offset:1104
	v_fma_f64 v[4:5], v[168:169], v[196:197], -v[4:5]
	v_add_f64 v[2:3], v[2:3], v[4:5]
	v_mul_f64 v[4:5], v[174:175], v[206:207]
	v_fma_f64 v[4:5], v[172:173], v[208:209], -v[4:5]
	v_add_f64 v[2:3], v[2:3], v[4:5]
	s_waitcnt lgkmcnt(2)
	v_mul_f64 v[4:5], v[178:179], v[202:203]
	v_mul_f64 v[220:221], v[176:177], v[202:203]
	v_fma_f64 v[4:5], v[176:177], v[204:205], -v[4:5]
	v_fmac_f64_e32 v[220:221], v[178:179], v[204:205]
	v_add_f64 v[2:3], v[2:3], v[4:5]
	s_waitcnt vmcnt(2) lgkmcnt(1)
	v_mul_f64 v[4:5], v[190:191], v[214:215]
	v_add_f64 v[218:219], v[218:219], v[220:221]
	v_mul_f64 v[220:221], v[188:189], v[214:215]
	s_waitcnt vmcnt(0)
	v_fma_f64 v[4:5], v[188:189], v[216:217], -v[4:5]
	v_fmac_f64_e32 v[220:221], v[190:191], v[216:217]
	v_add_f64 v[2:3], v[2:3], v[4:5]
	s_waitcnt lgkmcnt(0)
	v_mul_f64 v[4:5], v[194:195], v[210:211]
	v_add_f64 v[218:219], v[218:219], v[220:221]
	v_mul_f64 v[220:221], v[192:193], v[210:211]
	v_fma_f64 v[4:5], v[192:193], v[212:213], -v[4:5]
	v_fmac_f64_e32 v[220:221], v[194:195], v[212:213]
	v_add_f64 v[2:3], v[2:3], v[4:5]
	v_add_f64 v[218:219], v[218:219], v[220:221]
	v_add_f64 v[2:3], v[34:35], -v[2:3]
	v_add_f64 v[4:5], v[32:33], -v[218:219]
	buffer_store_dword v3, off, s[0:3], 0 offset:164
	buffer_store_dword v2, off, s[0:3], 0 offset:160
	;; [unrolled: 1-line block ×4, first 2 shown]
	s_and_saveexec_b64 s[4:5], vcc
	s_cbranch_execz .LBB98_207
; %bb.206:
	v_accvgpr_read_b32 v5, a90
	buffer_load_dword v2, v5, s[0:3], 0 offen
	buffer_load_dword v3, v5, s[0:3], 0 offen offset:4
	buffer_load_dword v4, v5, s[0:3], 0 offen offset:8
	s_nop 0
	buffer_load_dword v5, v5, s[0:3], 0 offen offset:12
	s_nop 0
	buffer_store_dword v114, off, s[0:3], 0 offset:144
	buffer_store_dword v114, off, s[0:3], 0 offset:148
	buffer_store_dword v114, off, s[0:3], 0 offset:152
	buffer_store_dword v114, off, s[0:3], 0 offset:156
	s_waitcnt vmcnt(4)
	ds_write_b128 v1, v[2:5]
.LBB98_207:
	s_or_b64 exec, exec, s[4:5]
	s_waitcnt lgkmcnt(0)
	; wave barrier
	s_waitcnt lgkmcnt(0)
	buffer_load_dword v26, off, s[0:3], 0 offset:160
	buffer_load_dword v27, off, s[0:3], 0 offset:164
	;; [unrolled: 1-line block ×24, first 2 shown]
	ds_read_b128 v[22:25], v114 offset:704
	ds_read_b128 v[18:21], v114 offset:720
	ds_read_b128 v[10:13], v114 offset:736
	ds_read_b128 v[6:9], v114 offset:752
	ds_read_b128 v[2:5], v114 offset:768
	ds_read_b128 v[14:17], v114 offset:784
	buffer_load_dword v51, off, s[0:3], 0 offset:268
	buffer_load_dword v50, off, s[0:3], 0 offset:264
	;; [unrolled: 1-line block ×40, first 2 shown]
	v_cmp_lt_u32_e32 vcc, 7, v0
	s_waitcnt vmcnt(34) lgkmcnt(0)
	v_mul_f64 v[124:125], v[14:15], v[54:55]
	s_waitcnt vmcnt(32)
	v_fmac_f64_e32 v[124:125], v[16:17], v[56:57]
	v_mul_f64 v[90:91], v[22:23], v[28:29]
	v_fmac_f64_e32 v[90:91], v[24:25], v[26:27]
	v_mul_f64 v[92:93], v[18:19], v[30:31]
	v_add_f64 v[90:91], v[90:91], 0
	v_mul_f64 v[94:95], v[10:11], v[32:33]
	v_mul_f64 v[24:25], v[24:25], v[28:29]
	;; [unrolled: 1-line block ×3, first 2 shown]
	v_fma_f64 v[22:23], v[22:23], v[26:27], -v[24:25]
	v_add_f64 v[22:23], v[22:23], 0
	v_mul_f64 v[96:97], v[6:7], v[42:43]
	v_fmac_f64_e32 v[92:93], v[20:21], v[48:49]
	v_add_f64 v[90:91], v[90:91], v[92:93]
	v_fmac_f64_e32 v[94:95], v[12:13], v[46:47]
	v_add_f64 v[90:91], v[90:91], v[94:95]
	;; [unrolled: 2-line block ×3, first 2 shown]
	buffer_load_dword v91, off, s[0:3], 0 offset:428
	buffer_load_dword v90, off, s[0:3], 0 offset:424
	;; [unrolled: 1-line block ×40, first 2 shown]
	v_fmac_f64_e32 v[116:117], v[4:5], v[40:41]
	v_add_f64 v[116:117], v[120:121], v[116:117]
	ds_read_b128 v[120:123], v114 offset:800
	buffer_load_dword v221, off, s[0:3], 0 offset:572
	buffer_load_dword v220, off, s[0:3], 0 offset:568
	;; [unrolled: 1-line block ×4, first 2 shown]
	v_add_f64 v[116:117], v[116:117], v[124:125]
	ds_read_b128 v[124:127], v114 offset:816
	v_mul_f64 v[20:21], v[20:21], v[30:31]
	s_waitcnt lgkmcnt(1)
	v_mul_f64 v[128:129], v[120:121], v[50:51]
	v_fmac_f64_e32 v[128:129], v[122:123], v[52:53]
	v_add_f64 v[116:117], v[116:117], v[128:129]
	ds_read_b128 v[128:131], v114 offset:832
	s_waitcnt vmcnt(62) lgkmcnt(1)
	v_mul_f64 v[132:133], v[124:125], v[62:63]
	v_fmac_f64_e32 v[132:133], v[126:127], v[64:65]
	v_add_f64 v[116:117], v[116:117], v[132:133]
	ds_read_b128 v[132:135], v114 offset:848
	s_waitcnt lgkmcnt(1)
	v_mul_f64 v[136:137], v[128:129], v[58:59]
	v_fmac_f64_e32 v[136:137], v[130:131], v[60:61]
	v_add_f64 v[116:117], v[116:117], v[136:137]
	ds_read_b128 v[136:139], v114 offset:864
	s_waitcnt lgkmcnt(1)
	v_mul_f64 v[140:141], v[132:133], v[70:71]
	s_waitcnt vmcnt(60)
	v_fmac_f64_e32 v[140:141], v[134:135], v[72:73]
	v_add_f64 v[116:117], v[116:117], v[140:141]
	ds_read_b128 v[140:143], v114 offset:880
	s_waitcnt lgkmcnt(1)
	v_mul_f64 v[144:145], v[136:137], v[66:67]
	v_fmac_f64_e32 v[144:145], v[138:139], v[68:69]
	v_add_f64 v[116:117], v[116:117], v[144:145]
	ds_read_b128 v[144:147], v114 offset:896
	s_waitcnt vmcnt(54) lgkmcnt(1)
	v_mul_f64 v[148:149], v[140:141], v[78:79]
	s_waitcnt vmcnt(52)
	v_fmac_f64_e32 v[148:149], v[142:143], v[80:81]
	v_add_f64 v[116:117], v[116:117], v[148:149]
	ds_read_b128 v[148:151], v114 offset:912
	s_waitcnt lgkmcnt(1)
	v_mul_f64 v[152:153], v[144:145], v[74:75]
	v_fmac_f64_e32 v[152:153], v[146:147], v[76:77]
	v_fma_f64 v[18:19], v[18:19], v[48:49], -v[20:21]
	v_mul_f64 v[12:13], v[12:13], v[32:33]
	v_add_f64 v[116:117], v[116:117], v[152:153]
	ds_read_b128 v[152:155], v114 offset:928
	v_add_f64 v[18:19], v[22:23], v[18:19]
	v_fma_f64 v[10:11], v[10:11], v[46:47], -v[12:13]
	v_mul_f64 v[8:9], v[8:9], v[42:43]
	v_add_f64 v[10:11], v[18:19], v[10:11]
	v_fma_f64 v[6:7], v[6:7], v[44:45], -v[8:9]
	v_mul_f64 v[4:5], v[4:5], v[38:39]
	;; [unrolled: 3-line block ×3, first 2 shown]
	s_waitcnt vmcnt(46) lgkmcnt(1)
	v_mul_f64 v[156:157], v[148:149], v[86:87]
	v_add_f64 v[2:3], v[6:7], v[2:3]
	v_fma_f64 v[4:5], v[14:15], v[56:57], -v[4:5]
	s_waitcnt vmcnt(44)
	v_fmac_f64_e32 v[156:157], v[150:151], v[88:89]
	v_add_f64 v[2:3], v[2:3], v[4:5]
	v_mul_f64 v[4:5], v[122:123], v[50:51]
	v_add_f64 v[116:117], v[116:117], v[156:157]
	ds_read_b128 v[156:159], v114 offset:944
	s_waitcnt lgkmcnt(1)
	v_mul_f64 v[160:161], v[152:153], v[82:83]
	v_fma_f64 v[4:5], v[120:121], v[52:53], -v[4:5]
	v_fmac_f64_e32 v[160:161], v[154:155], v[84:85]
	v_add_f64 v[2:3], v[2:3], v[4:5]
	v_mul_f64 v[4:5], v[126:127], v[62:63]
	v_add_f64 v[116:117], v[116:117], v[160:161]
	ds_read_b128 v[160:163], v114 offset:960
	v_fma_f64 v[4:5], v[124:125], v[64:65], -v[4:5]
	v_add_f64 v[2:3], v[2:3], v[4:5]
	v_mul_f64 v[4:5], v[130:131], v[58:59]
	v_fma_f64 v[4:5], v[128:129], v[60:61], -v[4:5]
	s_waitcnt vmcnt(38) lgkmcnt(1)
	v_mul_f64 v[164:165], v[156:157], v[94:95]
	v_add_f64 v[2:3], v[2:3], v[4:5]
	v_mul_f64 v[4:5], v[134:135], v[70:71]
	s_waitcnt vmcnt(36)
	v_fmac_f64_e32 v[164:165], v[158:159], v[96:97]
	v_fma_f64 v[4:5], v[132:133], v[72:73], -v[4:5]
	v_add_f64 v[116:117], v[116:117], v[164:165]
	ds_read_b128 v[164:167], v114 offset:976
	s_waitcnt lgkmcnt(1)
	v_mul_f64 v[168:169], v[160:161], v[90:91]
	v_add_f64 v[2:3], v[2:3], v[4:5]
	v_mul_f64 v[4:5], v[138:139], v[66:67]
	v_fmac_f64_e32 v[168:169], v[162:163], v[92:93]
	v_fma_f64 v[4:5], v[136:137], v[68:69], -v[4:5]
	v_add_f64 v[116:117], v[116:117], v[168:169]
	ds_read_b128 v[168:171], v114 offset:992
	v_add_f64 v[2:3], v[2:3], v[4:5]
	v_mul_f64 v[4:5], v[142:143], v[78:79]
	v_fma_f64 v[4:5], v[140:141], v[80:81], -v[4:5]
	v_add_f64 v[2:3], v[2:3], v[4:5]
	v_mul_f64 v[4:5], v[146:147], v[74:75]
	s_waitcnt vmcnt(30) lgkmcnt(1)
	v_mul_f64 v[172:173], v[164:165], v[102:103]
	v_fma_f64 v[4:5], v[144:145], v[76:77], -v[4:5]
	s_waitcnt vmcnt(28)
	v_fmac_f64_e32 v[172:173], v[166:167], v[104:105]
	v_add_f64 v[2:3], v[2:3], v[4:5]
	v_mul_f64 v[4:5], v[150:151], v[86:87]
	v_add_f64 v[116:117], v[116:117], v[172:173]
	ds_read_b128 v[172:175], v114 offset:1008
	s_waitcnt lgkmcnt(1)
	v_mul_f64 v[176:177], v[168:169], v[98:99]
	v_fma_f64 v[4:5], v[148:149], v[88:89], -v[4:5]
	v_fmac_f64_e32 v[176:177], v[170:171], v[100:101]
	v_add_f64 v[2:3], v[2:3], v[4:5]
	v_mul_f64 v[4:5], v[154:155], v[82:83]
	v_add_f64 v[116:117], v[116:117], v[176:177]
	ds_read_b128 v[176:179], v114 offset:1024
	v_fma_f64 v[4:5], v[152:153], v[84:85], -v[4:5]
	v_add_f64 v[2:3], v[2:3], v[4:5]
	v_mul_f64 v[4:5], v[158:159], v[94:95]
	v_fma_f64 v[4:5], v[156:157], v[96:97], -v[4:5]
	s_waitcnt vmcnt(22) lgkmcnt(1)
	v_mul_f64 v[188:189], v[172:173], v[110:111]
	v_add_f64 v[2:3], v[2:3], v[4:5]
	v_mul_f64 v[4:5], v[162:163], v[90:91]
	s_waitcnt vmcnt(20)
	v_fmac_f64_e32 v[188:189], v[174:175], v[112:113]
	v_fma_f64 v[4:5], v[160:161], v[92:93], -v[4:5]
	v_add_f64 v[116:117], v[116:117], v[188:189]
	ds_read_b128 v[188:191], v114 offset:1040
	s_waitcnt lgkmcnt(1)
	v_mul_f64 v[192:193], v[176:177], v[106:107]
	v_add_f64 v[2:3], v[2:3], v[4:5]
	v_mul_f64 v[4:5], v[166:167], v[102:103]
	v_fmac_f64_e32 v[192:193], v[178:179], v[108:109]
	v_fma_f64 v[4:5], v[164:165], v[104:105], -v[4:5]
	v_add_f64 v[116:117], v[116:117], v[192:193]
	ds_read_b128 v[192:195], v114 offset:1056
	v_add_f64 v[2:3], v[2:3], v[4:5]
	v_mul_f64 v[4:5], v[170:171], v[98:99]
	v_fma_f64 v[4:5], v[168:169], v[100:101], -v[4:5]
	v_add_f64 v[2:3], v[2:3], v[4:5]
	v_mul_f64 v[4:5], v[174:175], v[110:111]
	s_waitcnt vmcnt(14) lgkmcnt(1)
	v_mul_f64 v[196:197], v[188:189], v[208:209]
	v_fma_f64 v[4:5], v[172:173], v[112:113], -v[4:5]
	s_waitcnt vmcnt(12)
	v_fmac_f64_e32 v[196:197], v[190:191], v[210:211]
	v_add_f64 v[2:3], v[2:3], v[4:5]
	v_mul_f64 v[4:5], v[178:179], v[106:107]
	v_add_f64 v[116:117], v[116:117], v[196:197]
	ds_read_b128 v[196:199], v114 offset:1072
	s_waitcnt lgkmcnt(1)
	v_mul_f64 v[200:201], v[192:193], v[204:205]
	v_fma_f64 v[4:5], v[176:177], v[108:109], -v[4:5]
	v_fmac_f64_e32 v[200:201], v[194:195], v[206:207]
	v_add_f64 v[2:3], v[2:3], v[4:5]
	v_mul_f64 v[4:5], v[190:191], v[208:209]
	v_add_f64 v[224:225], v[116:117], v[200:201]
	ds_read_b128 v[200:203], v114 offset:1088
	v_fma_f64 v[4:5], v[188:189], v[210:211], -v[4:5]
	v_add_f64 v[2:3], v[2:3], v[4:5]
	v_mul_f64 v[4:5], v[194:195], v[204:205]
	ds_read_b128 v[114:117], v114 offset:1104
	v_fma_f64 v[4:5], v[192:193], v[206:207], -v[4:5]
	v_add_f64 v[2:3], v[2:3], v[4:5]
	s_waitcnt vmcnt(6) lgkmcnt(2)
	v_mul_f64 v[4:5], v[198:199], v[216:217]
	v_mul_f64 v[226:227], v[196:197], v[216:217]
	s_waitcnt vmcnt(4)
	v_fma_f64 v[4:5], v[196:197], v[218:219], -v[4:5]
	v_fmac_f64_e32 v[226:227], v[198:199], v[218:219]
	v_add_f64 v[2:3], v[2:3], v[4:5]
	s_waitcnt lgkmcnt(1)
	v_mul_f64 v[4:5], v[202:203], v[212:213]
	v_add_f64 v[224:225], v[224:225], v[226:227]
	v_mul_f64 v[226:227], v[200:201], v[212:213]
	v_fma_f64 v[4:5], v[200:201], v[214:215], -v[4:5]
	v_fmac_f64_e32 v[226:227], v[202:203], v[214:215]
	v_add_f64 v[2:3], v[2:3], v[4:5]
	s_waitcnt vmcnt(2) lgkmcnt(0)
	v_mul_f64 v[4:5], v[116:117], v[220:221]
	v_add_f64 v[224:225], v[224:225], v[226:227]
	v_mul_f64 v[226:227], v[114:115], v[220:221]
	s_waitcnt vmcnt(0)
	v_fma_f64 v[4:5], v[114:115], v[222:223], -v[4:5]
	v_fmac_f64_e32 v[226:227], v[116:117], v[222:223]
	v_add_f64 v[2:3], v[2:3], v[4:5]
	v_add_f64 v[224:225], v[224:225], v[226:227]
	v_add_f64 v[2:3], v[36:37], -v[2:3]
	v_add_f64 v[4:5], v[34:35], -v[224:225]
	buffer_store_dword v3, off, s[0:3], 0 offset:148
	buffer_store_dword v2, off, s[0:3], 0 offset:144
	;; [unrolled: 1-line block ×4, first 2 shown]
	s_and_saveexec_b64 s[4:5], vcc
	s_cbranch_execz .LBB98_209
; %bb.208:
	v_accvgpr_read_b32 v5, a91
	buffer_load_dword v2, v5, s[0:3], 0 offen
	buffer_load_dword v3, v5, s[0:3], 0 offen offset:4
	buffer_load_dword v4, v5, s[0:3], 0 offen offset:8
	s_nop 0
	buffer_load_dword v5, v5, s[0:3], 0 offen offset:12
	v_mov_b32_e32 v6, 0
	buffer_store_dword v6, off, s[0:3], 0 offset:128
	buffer_store_dword v6, off, s[0:3], 0 offset:132
	;; [unrolled: 1-line block ×4, first 2 shown]
	s_waitcnt vmcnt(4)
	ds_write_b128 v1, v[2:5]
.LBB98_209:
	s_or_b64 exec, exec, s[4:5]
	s_waitcnt lgkmcnt(0)
	; wave barrier
	s_waitcnt lgkmcnt(0)
	buffer_load_dword v30, off, s[0:3], 0 offset:144
	buffer_load_dword v31, off, s[0:3], 0 offset:148
	;; [unrolled: 1-line block ×56, first 2 shown]
	v_mov_b32_e32 v136, 0
	ds_read_b128 v[26:29], v136 offset:688
	ds_read_b128 v[22:25], v136 offset:704
	;; [unrolled: 1-line block ×7, first 2 shown]
	v_cmp_lt_u32_e32 vcc, 6, v0
	s_waitcnt vmcnt(52) lgkmcnt(6)
	v_mul_f64 v[86:87], v[26:27], v[34:35]
	v_fmac_f64_e32 v[86:87], v[28:29], v[30:31]
	v_add_f64 v[86:87], v[86:87], 0
	v_mul_f64 v[28:29], v[28:29], v[34:35]
	s_waitcnt vmcnt(48) lgkmcnt(5)
	v_mul_f64 v[88:89], v[22:23], v[36:37]
	v_fmac_f64_e32 v[88:89], v[24:25], v[32:33]
	s_waitcnt vmcnt(46) lgkmcnt(4)
	v_mul_f64 v[90:91], v[18:19], v[38:39]
	v_add_f64 v[86:87], v[86:87], v[88:89]
	s_waitcnt vmcnt(44) lgkmcnt(2)
	v_mul_f64 v[94:95], v[10:11], v[40:41]
	v_fma_f64 v[26:27], v[26:27], v[30:31], -v[28:29]
	s_waitcnt vmcnt(42)
	v_fmac_f64_e32 v[94:95], v[12:13], v[42:43]
	v_mul_f64 v[24:25], v[24:25], v[36:37]
	s_waitcnt vmcnt(40)
	v_mul_f64 v[92:93], v[14:15], v[48:49]
	v_add_f64 v[26:27], v[26:27], 0
	v_fma_f64 v[22:23], v[22:23], v[32:33], -v[24:25]
	v_add_f64 v[22:23], v[26:27], v[22:23]
	s_waitcnt vmcnt(36) lgkmcnt(1)
	v_mul_f64 v[110:111], v[6:7], v[54:55]
	v_mul_f64 v[12:13], v[12:13], v[40:41]
	s_waitcnt vmcnt(34)
	v_fmac_f64_e32 v[90:91], v[20:21], v[60:61]
	v_add_f64 v[86:87], v[86:87], v[90:91]
	s_waitcnt vmcnt(32)
	v_fmac_f64_e32 v[92:93], v[16:17], v[58:59]
	v_add_f64 v[86:87], v[86:87], v[92:93]
	v_add_f64 v[116:117], v[86:87], v[94:95]
	buffer_load_dword v87, off, s[0:3], 0 offset:380
	buffer_load_dword v86, off, s[0:3], 0 offset:376
	;; [unrolled: 1-line block ×56, first 2 shown]
	ds_read_b128 v[126:129], v136 offset:800
	ds_read_b128 v[130:133], v136 offset:816
	v_mul_f64 v[20:21], v[20:21], v[38:39]
	v_fma_f64 v[18:19], v[18:19], v[60:61], -v[20:21]
	v_mul_f64 v[16:17], v[16:17], v[48:49]
	s_waitcnt vmcnt(62)
	v_fmac_f64_e32 v[110:111], v[8:9], v[56:57]
	v_add_f64 v[18:19], v[22:23], v[18:19]
	v_fma_f64 v[14:15], v[14:15], v[58:59], -v[16:17]
	v_add_f64 v[110:111], v[116:117], v[110:111]
	s_waitcnt lgkmcnt(2)
	v_mul_f64 v[116:117], v[2:3], v[50:51]
	v_add_f64 v[14:15], v[18:19], v[14:15]
	v_fma_f64 v[10:11], v[10:11], v[42:43], -v[12:13]
	v_mul_f64 v[8:9], v[8:9], v[54:55]
	v_fmac_f64_e32 v[116:117], v[4:5], v[52:53]
	ds_read_b128 v[138:141], v136 offset:832
	ds_read_b128 v[142:145], v136 offset:848
	v_add_f64 v[10:11], v[14:15], v[10:11]
	v_fma_f64 v[6:7], v[6:7], v[56:57], -v[8:9]
	v_mul_f64 v[4:5], v[4:5], v[50:51]
	v_add_f64 v[6:7], v[10:11], v[6:7]
	v_fma_f64 v[2:3], v[2:3], v[52:53], -v[4:5]
	s_waitcnt lgkmcnt(3)
	v_mul_f64 v[4:5], v[128:129], v[66:67]
	v_add_f64 v[110:111], v[110:111], v[116:117]
	v_mul_f64 v[116:117], v[126:127], v[66:67]
	v_add_f64 v[2:3], v[6:7], v[2:3]
	v_fma_f64 v[4:5], v[126:127], v[68:69], -v[4:5]
	v_fmac_f64_e32 v[116:117], v[128:129], v[68:69]
	v_add_f64 v[2:3], v[2:3], v[4:5]
	s_waitcnt lgkmcnt(2)
	v_mul_f64 v[4:5], v[132:133], v[62:63]
	v_add_f64 v[110:111], v[110:111], v[116:117]
	v_mul_f64 v[116:117], v[130:131], v[62:63]
	ds_read_b128 v[146:149], v136 offset:864
	ds_read_b128 v[150:153], v136 offset:880
	v_fma_f64 v[4:5], v[130:131], v[64:65], -v[4:5]
	v_fmac_f64_e32 v[116:117], v[132:133], v[64:65]
	v_add_f64 v[2:3], v[2:3], v[4:5]
	s_waitcnt lgkmcnt(3)
	v_mul_f64 v[4:5], v[140:141], v[74:75]
	v_add_f64 v[110:111], v[110:111], v[116:117]
	v_mul_f64 v[116:117], v[138:139], v[74:75]
	v_fma_f64 v[4:5], v[138:139], v[76:77], -v[4:5]
	v_fmac_f64_e32 v[116:117], v[140:141], v[76:77]
	v_add_f64 v[2:3], v[2:3], v[4:5]
	s_waitcnt lgkmcnt(2)
	v_mul_f64 v[4:5], v[144:145], v[70:71]
	v_add_f64 v[110:111], v[110:111], v[116:117]
	v_mul_f64 v[116:117], v[142:143], v[70:71]
	ds_read_b128 v[154:157], v136 offset:896
	ds_read_b128 v[158:161], v136 offset:912
	v_fma_f64 v[4:5], v[142:143], v[72:73], -v[4:5]
	v_fmac_f64_e32 v[116:117], v[144:145], v[72:73]
	v_add_f64 v[2:3], v[2:3], v[4:5]
	s_waitcnt vmcnt(58) lgkmcnt(3)
	v_mul_f64 v[4:5], v[148:149], v[82:83]
	v_add_f64 v[110:111], v[110:111], v[116:117]
	v_mul_f64 v[116:117], v[146:147], v[82:83]
	s_waitcnt vmcnt(56)
	v_fma_f64 v[4:5], v[146:147], v[84:85], -v[4:5]
	v_fmac_f64_e32 v[116:117], v[148:149], v[84:85]
	v_add_f64 v[2:3], v[2:3], v[4:5]
	s_waitcnt lgkmcnt(2)
	v_mul_f64 v[4:5], v[152:153], v[78:79]
	v_add_f64 v[110:111], v[110:111], v[116:117]
	v_mul_f64 v[116:117], v[150:151], v[78:79]
	ds_read_b128 v[162:165], v136 offset:928
	ds_read_b128 v[166:169], v136 offset:944
	v_fma_f64 v[4:5], v[150:151], v[80:81], -v[4:5]
	v_fmac_f64_e32 v[116:117], v[152:153], v[80:81]
	v_add_f64 v[2:3], v[2:3], v[4:5]
	s_waitcnt vmcnt(50) lgkmcnt(3)
	v_mul_f64 v[4:5], v[156:157], v[90:91]
	v_add_f64 v[110:111], v[110:111], v[116:117]
	v_mul_f64 v[116:117], v[154:155], v[90:91]
	s_waitcnt vmcnt(48)
	;; [unrolled: 17-line block ×7, first 2 shown]
	v_fma_f64 v[4:5], v[204:205], v[228:229], -v[4:5]
	v_fmac_f64_e32 v[116:117], v[206:207], v[228:229]
	v_add_f64 v[2:3], v[2:3], v[4:5]
	s_waitcnt lgkmcnt(2)
	v_mul_f64 v[4:5], v[210:211], v[222:223]
	v_add_f64 v[110:111], v[110:111], v[116:117]
	v_mul_f64 v[116:117], v[208:209], v[222:223]
	v_fma_f64 v[4:5], v[208:209], v[224:225], -v[4:5]
	v_fmac_f64_e32 v[116:117], v[210:211], v[224:225]
	v_add_f64 v[2:3], v[2:3], v[4:5]
	s_waitcnt vmcnt(2) lgkmcnt(1)
	v_mul_f64 v[4:5], v[214:215], v[234:235]
	v_add_f64 v[110:111], v[110:111], v[116:117]
	v_mul_f64 v[116:117], v[212:213], v[234:235]
	s_waitcnt vmcnt(0)
	v_fma_f64 v[4:5], v[212:213], v[236:237], -v[4:5]
	v_fmac_f64_e32 v[116:117], v[214:215], v[236:237]
	v_add_f64 v[2:3], v[2:3], v[4:5]
	s_waitcnt lgkmcnt(0)
	v_mul_f64 v[4:5], v[218:219], v[230:231]
	v_add_f64 v[110:111], v[110:111], v[116:117]
	v_mul_f64 v[116:117], v[216:217], v[230:231]
	v_fma_f64 v[4:5], v[216:217], v[232:233], -v[4:5]
	v_fmac_f64_e32 v[116:117], v[218:219], v[232:233]
	v_add_f64 v[2:3], v[2:3], v[4:5]
	v_add_f64 v[110:111], v[110:111], v[116:117]
	v_add_f64 v[2:3], v[46:47], -v[2:3]
	v_add_f64 v[4:5], v[44:45], -v[110:111]
	buffer_store_dword v3, off, s[0:3], 0 offset:132
	buffer_store_dword v2, off, s[0:3], 0 offset:128
	;; [unrolled: 1-line block ×4, first 2 shown]
	s_and_saveexec_b64 s[4:5], vcc
	s_cbranch_execz .LBB98_211
; %bb.210:
	v_accvgpr_read_b32 v5, a92
	buffer_load_dword v2, v5, s[0:3], 0 offen
	buffer_load_dword v3, v5, s[0:3], 0 offen offset:4
	buffer_load_dword v4, v5, s[0:3], 0 offen offset:8
	s_nop 0
	buffer_load_dword v5, v5, s[0:3], 0 offen offset:12
	s_nop 0
	buffer_store_dword v136, off, s[0:3], 0 offset:112
	buffer_store_dword v136, off, s[0:3], 0 offset:116
	;; [unrolled: 1-line block ×4, first 2 shown]
	s_waitcnt vmcnt(4)
	ds_write_b128 v1, v[2:5]
.LBB98_211:
	s_or_b64 exec, exec, s[4:5]
	s_waitcnt lgkmcnt(0)
	; wave barrier
	s_waitcnt lgkmcnt(0)
	buffer_load_dword v34, off, s[0:3], 0 offset:128
	buffer_load_dword v35, off, s[0:3], 0 offset:132
	;; [unrolled: 1-line block ×32, first 2 shown]
	ds_read_b128 v[30:33], v136 offset:672
	ds_read_b128 v[26:29], v136 offset:688
	;; [unrolled: 1-line block ×8, first 2 shown]
	buffer_load_dword v67, off, s[0:3], 0 offset:268
	buffer_load_dword v66, off, s[0:3], 0 offset:264
	;; [unrolled: 1-line block ×24, first 2 shown]
	v_cmp_lt_u32_e32 vcc, 5, v0
	s_waitcnt vmcnt(52) lgkmcnt(7)
	v_mul_f64 v[90:91], v[30:31], v[38:39]
	v_fmac_f64_e32 v[90:91], v[32:33], v[34:35]
	v_add_f64 v[90:91], v[90:91], 0
	v_mul_f64 v[32:33], v[32:33], v[38:39]
	s_waitcnt vmcnt(48) lgkmcnt(6)
	v_mul_f64 v[92:93], v[26:27], v[40:41]
	v_fmac_f64_e32 v[92:93], v[28:29], v[36:37]
	s_waitcnt vmcnt(46) lgkmcnt(5)
	v_mul_f64 v[94:95], v[22:23], v[42:43]
	v_add_f64 v[90:91], v[90:91], v[92:93]
	s_waitcnt vmcnt(44) lgkmcnt(4)
	v_mul_f64 v[96:97], v[18:19], v[48:49]
	v_fma_f64 v[30:31], v[30:31], v[34:35], -v[32:33]
	s_waitcnt vmcnt(42) lgkmcnt(1)
	v_mul_f64 v[124:125], v[2:3], v[50:51]
	v_mul_f64 v[28:29], v[28:29], v[40:41]
	s_waitcnt vmcnt(18) lgkmcnt(0)
	v_mul_f64 v[140:141], v[14:15], v[70:71]
	v_mul_f64 v[100:101], v[6:7], v[54:55]
	s_waitcnt vmcnt(16)
	v_fmac_f64_e32 v[140:141], v[16:17], v[72:73]
	v_mul_f64 v[98:99], v[10:11], v[56:57]
	v_add_f64 v[30:31], v[30:31], 0
	v_fmac_f64_e32 v[98:99], v[12:13], v[58:59]
	v_fma_f64 v[26:27], v[26:27], v[36:37], -v[28:29]
	v_fmac_f64_e32 v[94:95], v[24:25], v[64:65]
	v_add_f64 v[90:91], v[90:91], v[94:95]
	v_fmac_f64_e32 v[96:97], v[20:21], v[62:63]
	v_add_f64 v[90:91], v[90:91], v[96:97]
	;; [unrolled: 2-line block ×3, first 2 shown]
	v_add_f64 v[126:127], v[90:91], v[100:101]
	buffer_load_dword v91, off, s[0:3], 0 offset:364
	buffer_load_dword v90, off, s[0:3], 0 offset:360
	;; [unrolled: 1-line block ×56, first 2 shown]
	v_fmac_f64_e32 v[124:125], v[4:5], v[52:53]
	v_add_f64 v[138:139], v[126:127], v[124:125]
	ds_read_b128 v[124:127], v136 offset:800
	buffer_load_dword v239, off, s[0:3], 0 offset:572
	buffer_load_dword v238, off, s[0:3], 0 offset:568
	;; [unrolled: 1-line block ×4, first 2 shown]
	v_add_f64 v[142:143], v[138:139], v[140:141]
	ds_read_b128 v[138:141], v136 offset:816
	v_mul_f64 v[24:25], v[24:25], v[42:43]
	s_waitcnt lgkmcnt(1)
	v_mul_f64 v[144:145], v[124:125], v[66:67]
	v_fmac_f64_e32 v[144:145], v[126:127], v[68:69]
	v_add_f64 v[146:147], v[142:143], v[144:145]
	ds_read_b128 v[142:145], v136 offset:832
	s_waitcnt vmcnt(62) lgkmcnt(1)
	v_mul_f64 v[148:149], v[138:139], v[78:79]
	v_fmac_f64_e32 v[148:149], v[140:141], v[80:81]
	v_add_f64 v[150:151], v[146:147], v[148:149]
	ds_read_b128 v[146:149], v136 offset:848
	s_waitcnt lgkmcnt(1)
	v_mul_f64 v[152:153], v[142:143], v[74:75]
	v_fmac_f64_e32 v[152:153], v[144:145], v[76:77]
	v_add_f64 v[154:155], v[150:151], v[152:153]
	ds_read_b128 v[150:153], v136 offset:864
	s_waitcnt lgkmcnt(1)
	v_mul_f64 v[156:157], v[146:147], v[86:87]
	s_waitcnt vmcnt(60)
	v_fmac_f64_e32 v[156:157], v[148:149], v[88:89]
	v_add_f64 v[158:159], v[154:155], v[156:157]
	ds_read_b128 v[154:157], v136 offset:880
	s_waitcnt lgkmcnt(1)
	v_mul_f64 v[160:161], v[150:151], v[82:83]
	v_fmac_f64_e32 v[160:161], v[152:153], v[84:85]
	v_add_f64 v[162:163], v[158:159], v[160:161]
	ds_read_b128 v[158:161], v136 offset:896
	v_add_f64 v[26:27], v[30:31], v[26:27]
	v_fma_f64 v[22:23], v[22:23], v[64:65], -v[24:25]
	s_waitcnt vmcnt(54) lgkmcnt(1)
	v_mul_f64 v[164:165], v[154:155], v[94:95]
	v_mul_f64 v[20:21], v[20:21], v[48:49]
	s_waitcnt vmcnt(52)
	v_fmac_f64_e32 v[164:165], v[156:157], v[96:97]
	v_add_f64 v[166:167], v[162:163], v[164:165]
	ds_read_b128 v[162:165], v136 offset:912
	s_waitcnt lgkmcnt(1)
	v_mul_f64 v[168:169], v[158:159], v[90:91]
	v_fmac_f64_e32 v[168:169], v[160:161], v[92:93]
	v_add_f64 v[22:23], v[26:27], v[22:23]
	v_fma_f64 v[18:19], v[18:19], v[62:63], -v[20:21]
	v_mul_f64 v[12:13], v[12:13], v[56:57]
	v_add_f64 v[170:171], v[166:167], v[168:169]
	ds_read_b128 v[166:169], v136 offset:928
	v_add_f64 v[18:19], v[22:23], v[18:19]
	v_fma_f64 v[10:11], v[10:11], v[58:59], -v[12:13]
	v_mul_f64 v[8:9], v[8:9], v[54:55]
	v_add_f64 v[10:11], v[18:19], v[10:11]
	v_fma_f64 v[6:7], v[6:7], v[60:61], -v[8:9]
	v_mul_f64 v[4:5], v[4:5], v[50:51]
	;; [unrolled: 3-line block ×3, first 2 shown]
	s_waitcnt vmcnt(46) lgkmcnt(1)
	v_mul_f64 v[172:173], v[162:163], v[102:103]
	v_add_f64 v[2:3], v[6:7], v[2:3]
	v_fma_f64 v[4:5], v[14:15], v[72:73], -v[4:5]
	s_waitcnt vmcnt(44)
	v_fmac_f64_e32 v[172:173], v[164:165], v[104:105]
	v_add_f64 v[2:3], v[2:3], v[4:5]
	v_mul_f64 v[4:5], v[126:127], v[66:67]
	v_add_f64 v[174:175], v[170:171], v[172:173]
	ds_read_b128 v[170:173], v136 offset:944
	s_waitcnt lgkmcnt(1)
	v_mul_f64 v[176:177], v[166:167], v[98:99]
	v_fma_f64 v[4:5], v[124:125], v[68:69], -v[4:5]
	v_fmac_f64_e32 v[176:177], v[168:169], v[100:101]
	v_add_f64 v[2:3], v[2:3], v[4:5]
	v_mul_f64 v[4:5], v[140:141], v[78:79]
	v_add_f64 v[188:189], v[174:175], v[176:177]
	ds_read_b128 v[174:177], v136 offset:960
	v_fma_f64 v[4:5], v[138:139], v[80:81], -v[4:5]
	v_add_f64 v[2:3], v[2:3], v[4:5]
	v_mul_f64 v[4:5], v[144:145], v[74:75]
	v_fma_f64 v[4:5], v[142:143], v[76:77], -v[4:5]
	s_waitcnt vmcnt(38) lgkmcnt(1)
	v_mul_f64 v[190:191], v[170:171], v[110:111]
	v_add_f64 v[2:3], v[2:3], v[4:5]
	v_mul_f64 v[4:5], v[148:149], v[86:87]
	s_waitcnt vmcnt(36)
	v_fmac_f64_e32 v[190:191], v[172:173], v[112:113]
	v_fma_f64 v[4:5], v[146:147], v[88:89], -v[4:5]
	v_add_f64 v[192:193], v[188:189], v[190:191]
	ds_read_b128 v[188:191], v136 offset:976
	s_waitcnt lgkmcnt(1)
	v_mul_f64 v[194:195], v[174:175], v[106:107]
	v_add_f64 v[2:3], v[2:3], v[4:5]
	v_mul_f64 v[4:5], v[152:153], v[82:83]
	v_fmac_f64_e32 v[194:195], v[176:177], v[108:109]
	v_fma_f64 v[4:5], v[150:151], v[84:85], -v[4:5]
	v_add_f64 v[196:197], v[192:193], v[194:195]
	ds_read_b128 v[192:195], v136 offset:992
	v_add_f64 v[2:3], v[2:3], v[4:5]
	v_mul_f64 v[4:5], v[156:157], v[94:95]
	v_fma_f64 v[4:5], v[154:155], v[96:97], -v[4:5]
	v_add_f64 v[2:3], v[2:3], v[4:5]
	v_mul_f64 v[4:5], v[160:161], v[90:91]
	s_waitcnt vmcnt(30) lgkmcnt(1)
	v_mul_f64 v[198:199], v[188:189], v[120:121]
	v_fma_f64 v[4:5], v[158:159], v[92:93], -v[4:5]
	s_waitcnt vmcnt(28)
	v_fmac_f64_e32 v[198:199], v[190:191], v[122:123]
	v_add_f64 v[2:3], v[2:3], v[4:5]
	v_mul_f64 v[4:5], v[164:165], v[102:103]
	v_add_f64 v[200:201], v[196:197], v[198:199]
	ds_read_b128 v[196:199], v136 offset:1008
	s_waitcnt lgkmcnt(1)
	v_mul_f64 v[202:203], v[192:193], v[114:115]
	v_fma_f64 v[4:5], v[162:163], v[104:105], -v[4:5]
	v_fmac_f64_e32 v[202:203], v[194:195], v[116:117]
	v_add_f64 v[2:3], v[2:3], v[4:5]
	v_mul_f64 v[4:5], v[168:169], v[98:99]
	v_add_f64 v[204:205], v[200:201], v[202:203]
	ds_read_b128 v[200:203], v136 offset:1024
	v_fma_f64 v[4:5], v[166:167], v[100:101], -v[4:5]
	v_add_f64 v[2:3], v[2:3], v[4:5]
	v_mul_f64 v[4:5], v[172:173], v[110:111]
	v_fma_f64 v[4:5], v[170:171], v[112:113], -v[4:5]
	s_waitcnt vmcnt(22) lgkmcnt(1)
	v_mul_f64 v[206:207], v[196:197], v[132:133]
	v_add_f64 v[2:3], v[2:3], v[4:5]
	v_mul_f64 v[4:5], v[176:177], v[106:107]
	s_waitcnt vmcnt(20)
	v_fmac_f64_e32 v[206:207], v[198:199], v[134:135]
	v_fma_f64 v[4:5], v[174:175], v[108:109], -v[4:5]
	v_add_f64 v[208:209], v[204:205], v[206:207]
	ds_read_b128 v[204:207], v136 offset:1040
	s_waitcnt lgkmcnt(1)
	v_mul_f64 v[210:211], v[200:201], v[128:129]
	v_add_f64 v[2:3], v[2:3], v[4:5]
	v_mul_f64 v[4:5], v[190:191], v[120:121]
	v_fmac_f64_e32 v[210:211], v[202:203], v[130:131]
	v_fma_f64 v[4:5], v[188:189], v[122:123], -v[4:5]
	v_add_f64 v[212:213], v[208:209], v[210:211]
	ds_read_b128 v[208:211], v136 offset:1056
	v_add_f64 v[2:3], v[2:3], v[4:5]
	v_mul_f64 v[4:5], v[194:195], v[114:115]
	v_fma_f64 v[4:5], v[192:193], v[116:117], -v[4:5]
	v_add_f64 v[2:3], v[2:3], v[4:5]
	v_mul_f64 v[4:5], v[198:199], v[132:133]
	s_waitcnt vmcnt(14) lgkmcnt(1)
	v_mul_f64 v[214:215], v[204:205], v[226:227]
	v_fma_f64 v[4:5], v[196:197], v[134:135], -v[4:5]
	s_waitcnt vmcnt(12)
	v_fmac_f64_e32 v[214:215], v[206:207], v[228:229]
	v_add_f64 v[2:3], v[2:3], v[4:5]
	v_mul_f64 v[4:5], v[202:203], v[128:129]
	v_add_f64 v[216:217], v[212:213], v[214:215]
	ds_read_b128 v[212:215], v136 offset:1072
	s_waitcnt lgkmcnt(1)
	v_mul_f64 v[218:219], v[208:209], v[178:179]
	v_fma_f64 v[4:5], v[200:201], v[130:131], -v[4:5]
	v_fmac_f64_e32 v[218:219], v[210:211], v[224:225]
	v_add_f64 v[2:3], v[2:3], v[4:5]
	v_mul_f64 v[4:5], v[206:207], v[226:227]
	v_add_f64 v[242:243], v[216:217], v[218:219]
	ds_read_b128 v[216:219], v136 offset:1088
	v_fma_f64 v[4:5], v[204:205], v[228:229], -v[4:5]
	v_add_f64 v[2:3], v[2:3], v[4:5]
	v_mul_f64 v[4:5], v[210:211], v[178:179]
	ds_read_b128 v[220:223], v136 offset:1104
	v_fma_f64 v[4:5], v[208:209], v[224:225], -v[4:5]
	v_add_f64 v[2:3], v[2:3], v[4:5]
	s_waitcnt vmcnt(6) lgkmcnt(2)
	v_mul_f64 v[4:5], v[214:215], v[234:235]
	v_mul_f64 v[244:245], v[212:213], v[234:235]
	s_waitcnt vmcnt(4)
	v_fma_f64 v[4:5], v[212:213], v[236:237], -v[4:5]
	v_fmac_f64_e32 v[244:245], v[214:215], v[236:237]
	v_add_f64 v[2:3], v[2:3], v[4:5]
	s_waitcnt lgkmcnt(1)
	v_mul_f64 v[4:5], v[218:219], v[230:231]
	v_add_f64 v[136:137], v[242:243], v[244:245]
	v_mul_f64 v[242:243], v[216:217], v[230:231]
	v_fma_f64 v[4:5], v[216:217], v[232:233], -v[4:5]
	v_fmac_f64_e32 v[242:243], v[218:219], v[232:233]
	v_add_f64 v[2:3], v[2:3], v[4:5]
	s_waitcnt vmcnt(2) lgkmcnt(0)
	v_mul_f64 v[4:5], v[222:223], v[238:239]
	v_add_f64 v[136:137], v[136:137], v[242:243]
	v_mul_f64 v[242:243], v[220:221], v[238:239]
	s_waitcnt vmcnt(0)
	v_fma_f64 v[4:5], v[220:221], v[240:241], -v[4:5]
	v_fmac_f64_e32 v[242:243], v[222:223], v[240:241]
	v_add_f64 v[2:3], v[2:3], v[4:5]
	v_add_f64 v[136:137], v[136:137], v[242:243]
	v_add_f64 v[2:3], v[46:47], -v[2:3]
	v_add_f64 v[4:5], v[44:45], -v[136:137]
	buffer_store_dword v3, off, s[0:3], 0 offset:116
	buffer_store_dword v2, off, s[0:3], 0 offset:112
	;; [unrolled: 1-line block ×4, first 2 shown]
	s_and_saveexec_b64 s[4:5], vcc
	s_cbranch_execz .LBB98_213
; %bb.212:
	v_accvgpr_read_b32 v5, a94
	buffer_load_dword v2, v5, s[0:3], 0 offen
	buffer_load_dword v3, v5, s[0:3], 0 offen offset:4
	buffer_load_dword v4, v5, s[0:3], 0 offen offset:8
	s_nop 0
	buffer_load_dword v5, v5, s[0:3], 0 offen offset:12
	v_mov_b32_e32 v6, 0
	buffer_store_dword v6, off, s[0:3], 0 offset:96
	buffer_store_dword v6, off, s[0:3], 0 offset:100
	;; [unrolled: 1-line block ×4, first 2 shown]
	s_waitcnt vmcnt(4)
	ds_write_b128 v1, v[2:5]
.LBB98_213:
	s_or_b64 exec, exec, s[4:5]
	s_waitcnt lgkmcnt(0)
	; wave barrier
	s_waitcnt lgkmcnt(0)
	buffer_load_dword v38, off, s[0:3], 0 offset:112
	buffer_load_dword v39, off, s[0:3], 0 offset:116
	;; [unrolled: 1-line block ×48, first 2 shown]
	v_mov_b32_e32 v152, 0
	ds_read_b128 v[34:37], v152 offset:656
	ds_read_b128 v[30:33], v152 offset:672
	ds_read_b128 v[26:29], v152 offset:688
	ds_read_b128 v[22:25], v152 offset:704
	ds_read_b128 v[18:21], v152 offset:720
	ds_read_b128 v[14:17], v152 offset:736
	ds_read_b128 v[10:13], v152 offset:752
	ds_read_b128 v[6:9], v152 offset:768
	ds_read_b128 v[2:5], v152 offset:784
	v_cmp_lt_u32_e32 vcc, 4, v0
	s_waitcnt vmcnt(44) lgkmcnt(8)
	v_mul_f64 v[86:87], v[34:35], v[42:43]
	v_fmac_f64_e32 v[86:87], v[36:37], v[38:39]
	v_add_f64 v[86:87], v[86:87], 0
	v_mul_f64 v[36:37], v[36:37], v[42:43]
	s_waitcnt vmcnt(40) lgkmcnt(7)
	v_mul_f64 v[88:89], v[30:31], v[44:45]
	v_fmac_f64_e32 v[88:89], v[32:33], v[40:41]
	s_waitcnt vmcnt(38) lgkmcnt(6)
	v_mul_f64 v[90:91], v[26:27], v[46:47]
	v_add_f64 v[86:87], v[86:87], v[88:89]
	s_waitcnt vmcnt(36) lgkmcnt(4)
	v_mul_f64 v[94:95], v[18:19], v[48:49]
	v_fma_f64 v[34:35], v[34:35], v[38:39], -v[36:37]
	s_waitcnt vmcnt(34)
	v_fmac_f64_e32 v[94:95], v[20:21], v[50:51]
	v_mul_f64 v[32:33], v[32:33], v[44:45]
	s_waitcnt vmcnt(32)
	v_mul_f64 v[92:93], v[22:23], v[52:53]
	v_add_f64 v[34:35], v[34:35], 0
	s_waitcnt vmcnt(30) lgkmcnt(2)
	v_mul_f64 v[98:99], v[10:11], v[54:55]
	v_fma_f64 v[30:31], v[30:31], v[40:41], -v[32:33]
	s_waitcnt vmcnt(28)
	v_fmac_f64_e32 v[98:99], v[12:13], v[56:57]
	v_add_f64 v[30:31], v[34:35], v[30:31]
	s_waitcnt vmcnt(26)
	v_mul_f64 v[96:97], v[14:15], v[58:59]
	v_mul_f64 v[20:21], v[20:21], v[48:49]
	v_fma_f64 v[18:19], v[18:19], v[50:51], -v[20:21]
	v_mul_f64 v[12:13], v[12:13], v[54:55]
	s_waitcnt vmcnt(22) lgkmcnt(1)
	v_mul_f64 v[110:111], v[6:7], v[68:69]
	v_fma_f64 v[10:11], v[10:11], v[56:57], -v[12:13]
	s_waitcnt vmcnt(20)
	v_fmac_f64_e32 v[90:91], v[28:29], v[76:77]
	v_add_f64 v[86:87], v[86:87], v[90:91]
	s_waitcnt vmcnt(18)
	v_fmac_f64_e32 v[92:93], v[24:25], v[74:75]
	v_add_f64 v[86:87], v[86:87], v[92:93]
	;; [unrolled: 3-line block ×3, first 2 shown]
	v_add_f64 v[86:87], v[86:87], v[96:97]
	v_add_f64 v[112:113], v[86:87], v[98:99]
	buffer_load_dword v87, off, s[0:3], 0 offset:316
	buffer_load_dword v86, off, s[0:3], 0 offset:312
	;; [unrolled: 1-line block ×72, first 2 shown]
	s_waitcnt vmcnt(62)
	v_fmac_f64_e32 v[110:111], v[8:9], v[70:71]
	v_add_f64 v[144:145], v[112:113], v[110:111]
	ds_read_b128 v[110:113], v152 offset:800
	s_waitcnt lgkmcnt(1)
	v_mul_f64 v[146:147], v[2:3], v[64:65]
	v_fmac_f64_e32 v[146:147], v[4:5], v[66:67]
	v_add_f64 v[148:149], v[144:145], v[146:147]
	ds_read_b128 v[144:147], v152 offset:816
	s_waitcnt lgkmcnt(1)
	v_mul_f64 v[150:151], v[110:111], v[82:83]
	;; [unrolled: 5-line block ×5, first 2 shown]
	v_fmac_f64_e32 v[164:165], v[156:157], v[88:89]
	v_add_f64 v[166:167], v[162:163], v[164:165]
	ds_read_b128 v[162:165], v152 offset:880
	s_waitcnt vmcnt(58) lgkmcnt(1)
	v_mul_f64 v[168:169], v[158:159], v[98:99]
	s_waitcnt vmcnt(56)
	v_fmac_f64_e32 v[168:169], v[160:161], v[100:101]
	v_add_f64 v[170:171], v[166:167], v[168:169]
	ds_read_b128 v[166:169], v152 offset:896
	s_waitcnt lgkmcnt(1)
	v_mul_f64 v[172:173], v[162:163], v[94:95]
	v_fmac_f64_e32 v[172:173], v[164:165], v[96:97]
	v_mul_f64 v[28:29], v[28:29], v[46:47]
	v_add_f64 v[174:175], v[170:171], v[172:173]
	ds_read_b128 v[170:173], v152 offset:912
	s_waitcnt vmcnt(50) lgkmcnt(1)
	v_mul_f64 v[176:177], v[166:167], v[106:107]
	v_fma_f64 v[26:27], v[26:27], v[76:77], -v[28:29]
	v_mul_f64 v[24:25], v[24:25], v[52:53]
	s_waitcnt vmcnt(48)
	v_fmac_f64_e32 v[176:177], v[168:169], v[108:109]
	v_add_f64 v[26:27], v[30:31], v[26:27]
	v_fma_f64 v[22:23], v[22:23], v[74:75], -v[24:25]
	v_add_f64 v[188:189], v[174:175], v[176:177]
	ds_read_b128 v[174:177], v152 offset:928
	v_add_f64 v[22:23], v[26:27], v[22:23]
	v_mul_f64 v[16:17], v[16:17], v[58:59]
	v_add_f64 v[18:19], v[22:23], v[18:19]
	v_fma_f64 v[14:15], v[14:15], v[72:73], -v[16:17]
	v_add_f64 v[14:15], v[18:19], v[14:15]
	v_mul_f64 v[8:9], v[8:9], v[68:69]
	s_waitcnt lgkmcnt(1)
	v_mul_f64 v[190:191], v[170:171], v[102:103]
	v_add_f64 v[10:11], v[14:15], v[10:11]
	v_fma_f64 v[6:7], v[6:7], v[70:71], -v[8:9]
	v_mul_f64 v[4:5], v[4:5], v[64:65]
	v_fmac_f64_e32 v[190:191], v[172:173], v[104:105]
	v_add_f64 v[6:7], v[10:11], v[6:7]
	v_fma_f64 v[2:3], v[2:3], v[66:67], -v[4:5]
	v_mul_f64 v[4:5], v[112:113], v[82:83]
	v_add_f64 v[192:193], v[188:189], v[190:191]
	ds_read_b128 v[188:191], v152 offset:944
	s_waitcnt vmcnt(42) lgkmcnt(1)
	v_mul_f64 v[194:195], v[174:175], v[120:121]
	v_add_f64 v[2:3], v[6:7], v[2:3]
	v_fma_f64 v[4:5], v[110:111], v[84:85], -v[4:5]
	s_waitcnt vmcnt(40)
	v_fmac_f64_e32 v[194:195], v[176:177], v[122:123]
	v_add_f64 v[2:3], v[2:3], v[4:5]
	v_mul_f64 v[4:5], v[146:147], v[78:79]
	v_add_f64 v[196:197], v[192:193], v[194:195]
	ds_read_b128 v[192:195], v152 offset:960
	v_fma_f64 v[4:5], v[144:145], v[80:81], -v[4:5]
	v_add_f64 v[2:3], v[2:3], v[4:5]
	v_mul_f64 v[4:5], v[150:151], v[90:91]
	v_fma_f64 v[4:5], v[148:149], v[92:93], -v[4:5]
	s_waitcnt lgkmcnt(1)
	v_mul_f64 v[198:199], v[188:189], v[114:115]
	v_add_f64 v[2:3], v[2:3], v[4:5]
	v_mul_f64 v[4:5], v[156:157], v[86:87]
	v_fmac_f64_e32 v[198:199], v[190:191], v[116:117]
	v_fma_f64 v[4:5], v[154:155], v[88:89], -v[4:5]
	v_add_f64 v[200:201], v[196:197], v[198:199]
	ds_read_b128 v[196:199], v152 offset:976
	s_waitcnt vmcnt(34) lgkmcnt(1)
	v_mul_f64 v[202:203], v[192:193], v[128:129]
	v_add_f64 v[2:3], v[2:3], v[4:5]
	v_mul_f64 v[4:5], v[160:161], v[98:99]
	s_waitcnt vmcnt(32)
	v_fmac_f64_e32 v[202:203], v[194:195], v[130:131]
	v_fma_f64 v[4:5], v[158:159], v[100:101], -v[4:5]
	v_add_f64 v[204:205], v[200:201], v[202:203]
	ds_read_b128 v[200:203], v152 offset:992
	v_add_f64 v[2:3], v[2:3], v[4:5]
	v_mul_f64 v[4:5], v[164:165], v[94:95]
	v_fma_f64 v[4:5], v[162:163], v[96:97], -v[4:5]
	v_add_f64 v[2:3], v[2:3], v[4:5]
	v_mul_f64 v[4:5], v[168:169], v[106:107]
	s_waitcnt lgkmcnt(1)
	v_mul_f64 v[206:207], v[196:197], v[124:125]
	v_fma_f64 v[4:5], v[166:167], v[108:109], -v[4:5]
	v_fmac_f64_e32 v[206:207], v[198:199], v[126:127]
	v_add_f64 v[2:3], v[2:3], v[4:5]
	v_mul_f64 v[4:5], v[172:173], v[102:103]
	v_add_f64 v[208:209], v[204:205], v[206:207]
	ds_read_b128 v[204:207], v152 offset:1008
	s_waitcnt vmcnt(26) lgkmcnt(1)
	v_mul_f64 v[210:211], v[200:201], v[136:137]
	v_fma_f64 v[4:5], v[170:171], v[104:105], -v[4:5]
	s_waitcnt vmcnt(24)
	v_fmac_f64_e32 v[210:211], v[202:203], v[138:139]
	v_add_f64 v[2:3], v[2:3], v[4:5]
	v_mul_f64 v[4:5], v[176:177], v[120:121]
	v_add_f64 v[212:213], v[208:209], v[210:211]
	ds_read_b128 v[208:211], v152 offset:1024
	v_fma_f64 v[4:5], v[174:175], v[122:123], -v[4:5]
	v_add_f64 v[2:3], v[2:3], v[4:5]
	v_mul_f64 v[4:5], v[190:191], v[114:115]
	v_fma_f64 v[4:5], v[188:189], v[116:117], -v[4:5]
	s_waitcnt lgkmcnt(1)
	v_mul_f64 v[214:215], v[204:205], v[132:133]
	v_add_f64 v[2:3], v[2:3], v[4:5]
	v_mul_f64 v[4:5], v[194:195], v[128:129]
	v_fmac_f64_e32 v[214:215], v[206:207], v[134:135]
	v_fma_f64 v[4:5], v[192:193], v[130:131], -v[4:5]
	v_add_f64 v[216:217], v[212:213], v[214:215]
	ds_read_b128 v[212:215], v152 offset:1040
	s_waitcnt vmcnt(18) lgkmcnt(1)
	v_mul_f64 v[218:219], v[208:209], v[178:179]
	v_add_f64 v[2:3], v[2:3], v[4:5]
	v_mul_f64 v[4:5], v[198:199], v[124:125]
	s_waitcnt vmcnt(16)
	v_fmac_f64_e32 v[218:219], v[210:211], v[232:233]
	v_fma_f64 v[4:5], v[196:197], v[126:127], -v[4:5]
	v_add_f64 v[220:221], v[216:217], v[218:219]
	ds_read_b128 v[216:219], v152 offset:1056
	v_add_f64 v[2:3], v[2:3], v[4:5]
	v_mul_f64 v[4:5], v[202:203], v[136:137]
	v_fma_f64 v[4:5], v[200:201], v[138:139], -v[4:5]
	v_add_f64 v[2:3], v[2:3], v[4:5]
	v_mul_f64 v[4:5], v[206:207], v[132:133]
	s_waitcnt lgkmcnt(1)
	v_mul_f64 v[222:223], v[212:213], v[140:141]
	v_fma_f64 v[4:5], v[204:205], v[134:135], -v[4:5]
	v_fmac_f64_e32 v[222:223], v[214:215], v[142:143]
	v_add_f64 v[2:3], v[2:3], v[4:5]
	v_mul_f64 v[4:5], v[210:211], v[178:179]
	v_add_f64 v[224:225], v[220:221], v[222:223]
	ds_read_b128 v[220:223], v152 offset:1072
	s_waitcnt vmcnt(10) lgkmcnt(1)
	v_mul_f64 v[226:227], v[216:217], v[238:239]
	v_fma_f64 v[4:5], v[208:209], v[232:233], -v[4:5]
	s_waitcnt vmcnt(8)
	v_fmac_f64_e32 v[226:227], v[218:219], v[240:241]
	v_add_f64 v[2:3], v[2:3], v[4:5]
	v_mul_f64 v[4:5], v[214:215], v[140:141]
	v_add_f64 v[250:251], v[224:225], v[226:227]
	ds_read_b128 v[224:227], v152 offset:1088
	ds_read_b128 v[228:231], v152 offset:1104
	v_fma_f64 v[4:5], v[212:213], v[142:143], -v[4:5]
	v_add_f64 v[2:3], v[2:3], v[4:5]
	v_mul_f64 v[4:5], v[218:219], v[238:239]
	v_fma_f64 v[4:5], v[216:217], v[240:241], -v[4:5]
	v_add_f64 v[2:3], v[2:3], v[4:5]
	s_waitcnt lgkmcnt(2)
	v_mul_f64 v[4:5], v[222:223], v[234:235]
	v_mul_f64 v[252:253], v[220:221], v[234:235]
	v_fma_f64 v[4:5], v[220:221], v[236:237], -v[4:5]
	v_fmac_f64_e32 v[252:253], v[222:223], v[236:237]
	v_add_f64 v[2:3], v[2:3], v[4:5]
	s_waitcnt vmcnt(2) lgkmcnt(1)
	v_mul_f64 v[4:5], v[226:227], v[246:247]
	v_add_f64 v[250:251], v[250:251], v[252:253]
	v_mul_f64 v[252:253], v[224:225], v[246:247]
	s_waitcnt vmcnt(0)
	v_fma_f64 v[4:5], v[224:225], v[248:249], -v[4:5]
	v_fmac_f64_e32 v[252:253], v[226:227], v[248:249]
	v_add_f64 v[2:3], v[2:3], v[4:5]
	s_waitcnt lgkmcnt(0)
	v_mul_f64 v[4:5], v[230:231], v[242:243]
	v_add_f64 v[250:251], v[250:251], v[252:253]
	v_mul_f64 v[252:253], v[228:229], v[242:243]
	v_fma_f64 v[4:5], v[228:229], v[244:245], -v[4:5]
	v_fmac_f64_e32 v[252:253], v[230:231], v[244:245]
	v_add_f64 v[2:3], v[2:3], v[4:5]
	v_add_f64 v[250:251], v[250:251], v[252:253]
	v_add_f64 v[2:3], v[62:63], -v[2:3]
	v_add_f64 v[4:5], v[60:61], -v[250:251]
	buffer_store_dword v3, off, s[0:3], 0 offset:100
	buffer_store_dword v2, off, s[0:3], 0 offset:96
	;; [unrolled: 1-line block ×4, first 2 shown]
	s_and_saveexec_b64 s[4:5], vcc
	s_cbranch_execz .LBB98_215
; %bb.214:
	v_accvgpr_read_b32 v5, a93
	buffer_load_dword v2, v5, s[0:3], 0 offen
	buffer_load_dword v3, v5, s[0:3], 0 offen offset:4
	buffer_load_dword v4, v5, s[0:3], 0 offen offset:8
	s_nop 0
	buffer_load_dword v5, v5, s[0:3], 0 offen offset:12
	s_nop 0
	buffer_store_dword v152, off, s[0:3], 0 offset:80
	buffer_store_dword v152, off, s[0:3], 0 offset:84
	;; [unrolled: 1-line block ×4, first 2 shown]
	s_waitcnt vmcnt(4)
	ds_write_b128 v1, v[2:5]
.LBB98_215:
	s_or_b64 exec, exec, s[4:5]
	s_waitcnt lgkmcnt(0)
	; wave barrier
	s_waitcnt lgkmcnt(0)
	buffer_load_dword v48, off, s[0:3], 0 offset:96
	buffer_load_dword v49, off, s[0:3], 0 offset:100
	;; [unrolled: 1-line block ×40, first 2 shown]
	ds_read_b128 v[38:41], v152 offset:640
	ds_read_b128 v[34:37], v152 offset:656
	;; [unrolled: 1-line block ×10, first 2 shown]
	buffer_load_dword v83, off, s[0:3], 0 offset:268
	buffer_load_dword v82, off, s[0:3], 0 offset:264
	;; [unrolled: 1-line block ×8, first 2 shown]
	v_cmp_lt_u32_e32 vcc, 3, v0
	s_waitcnt vmcnt(44) lgkmcnt(9)
	v_mul_f64 v[90:91], v[38:39], v[50:51]
	v_fmac_f64_e32 v[90:91], v[40:41], v[48:49]
	v_add_f64 v[90:91], v[90:91], 0
	v_mul_f64 v[40:41], v[40:41], v[50:51]
	s_waitcnt vmcnt(40) lgkmcnt(8)
	v_mul_f64 v[92:93], v[34:35], v[44:45]
	v_fmac_f64_e32 v[92:93], v[36:37], v[42:43]
	s_waitcnt vmcnt(38) lgkmcnt(7)
	v_mul_f64 v[94:95], v[30:31], v[46:47]
	v_add_f64 v[90:91], v[90:91], v[92:93]
	s_waitcnt vmcnt(36) lgkmcnt(5)
	v_mul_f64 v[98:99], v[22:23], v[52:53]
	v_mul_f64 v[36:37], v[36:37], v[44:45]
	s_waitcnt vmcnt(34)
	v_fmac_f64_e32 v[98:99], v[24:25], v[54:55]
	v_fma_f64 v[34:35], v[34:35], v[42:43], -v[36:37]
	s_waitcnt vmcnt(32)
	v_mul_f64 v[96:97], v[26:27], v[56:57]
	v_mul_f64 v[24:25], v[24:25], v[52:53]
	s_waitcnt vmcnt(30) lgkmcnt(4)
	v_mul_f64 v[100:101], v[18:19], v[62:63]
	v_fma_f64 v[22:23], v[22:23], v[54:55], -v[24:25]
	s_waitcnt vmcnt(28) lgkmcnt(1)
	v_mul_f64 v[124:125], v[2:3], v[64:65]
	s_waitcnt vmcnt(25)
	v_mul_f64 v[104:105], v[6:7], v[68:69]
	s_waitcnt vmcnt(23)
	;; [unrolled: 2-line block ×3, first 2 shown]
	v_fmac_f64_e32 v[102:103], v[12:13], v[72:73]
	v_mul_f64 v[12:13], v[12:13], v[70:71]
	s_waitcnt vmcnt(19)
	v_fmac_f64_e32 v[94:95], v[32:33], v[80:81]
	v_add_f64 v[90:91], v[90:91], v[94:95]
	s_waitcnt vmcnt(17)
	v_fmac_f64_e32 v[96:97], v[28:29], v[78:79]
	v_add_f64 v[90:91], v[90:91], v[96:97]
	;; [unrolled: 3-line block ×3, first 2 shown]
	v_add_f64 v[90:91], v[90:91], v[100:101]
	s_waitcnt vmcnt(13)
	v_fmac_f64_e32 v[104:105], v[8:9], v[74:75]
	v_add_f64 v[90:91], v[90:91], v[102:103]
	v_add_f64 v[126:127], v[90:91], v[104:105]
	buffer_load_dword v91, off, s[0:3], 0 offset:300
	buffer_load_dword v90, off, s[0:3], 0 offset:296
	;; [unrolled: 1-line block ×72, first 2 shown]
	s_waitcnt vmcnt(62)
	v_fmac_f64_e32 v[124:125], v[4:5], v[66:67]
	v_add_f64 v[154:155], v[126:127], v[124:125]
	ds_read_b128 v[124:127], v152 offset:800
	buffer_load_dword v247, off, s[0:3], 0 offset:572
	buffer_load_dword v246, off, s[0:3], 0 offset:568
	;; [unrolled: 1-line block ×4, first 2 shown]
	s_waitcnt lgkmcnt(1)
	v_mul_f64 v[156:157], v[14:15], v[86:87]
	v_fmac_f64_e32 v[156:157], v[16:17], v[88:89]
	v_add_f64 v[158:159], v[154:155], v[156:157]
	ds_read_b128 v[154:157], v152 offset:816
	s_waitcnt lgkmcnt(1)
	v_mul_f64 v[160:161], v[124:125], v[82:83]
	v_fmac_f64_e32 v[160:161], v[126:127], v[84:85]
	v_add_f64 v[162:163], v[158:159], v[160:161]
	ds_read_b128 v[158:161], v152 offset:832
	v_mul_f64 v[32:33], v[32:33], v[46:47]
	s_waitcnt lgkmcnt(1)
	v_mul_f64 v[164:165], v[154:155], v[94:95]
	v_fma_f64 v[30:31], v[30:31], v[80:81], -v[32:33]
	v_fmac_f64_e32 v[164:165], v[156:157], v[96:97]
	v_add_f64 v[166:167], v[162:163], v[164:165]
	ds_read_b128 v[162:165], v152 offset:848
	s_waitcnt lgkmcnt(1)
	v_mul_f64 v[168:169], v[158:159], v[90:91]
	v_fmac_f64_e32 v[168:169], v[160:161], v[92:93]
	v_add_f64 v[170:171], v[166:167], v[168:169]
	ds_read_b128 v[166:169], v152 offset:864
	s_waitcnt vmcnt(62) lgkmcnt(1)
	v_mul_f64 v[172:173], v[162:163], v[102:103]
	s_waitcnt vmcnt(60)
	v_fmac_f64_e32 v[172:173], v[164:165], v[104:105]
	v_add_f64 v[174:175], v[170:171], v[172:173]
	ds_read_b128 v[170:173], v152 offset:880
	s_waitcnt lgkmcnt(1)
	v_mul_f64 v[176:177], v[166:167], v[98:99]
	v_fmac_f64_e32 v[176:177], v[168:169], v[100:101]
	v_add_f64 v[188:189], v[174:175], v[176:177]
	ds_read_b128 v[174:177], v152 offset:896
	s_waitcnt vmcnt(54) lgkmcnt(1)
	v_mul_f64 v[190:191], v[170:171], v[110:111]
	s_waitcnt vmcnt(52)
	;; [unrolled: 11-line block ×7, first 2 shown]
	v_fmac_f64_e32 v[230:231], v[222:223], v[236:237]
	v_add_f64 v[250:251], v[228:229], v[230:231]
	ds_read_b128 v[228:231], v152 offset:1072
	s_waitcnt lgkmcnt(1)
	v_mul_f64 v[252:253], v[224:225], v[178:179]
	v_fmac_f64_e32 v[252:253], v[226:227], v[232:233]
	v_add_f64 v[250:251], v[250:251], v[252:253]
	v_fma_f64 v[252:253], v[38:39], v[48:49], -v[40:41]
	ds_read_b128 v[38:41], v152 offset:1088
	ds_read_b128 v[48:51], v152 offset:1104
	s_waitcnt vmcnt(6) lgkmcnt(2)
	v_mul_f64 v[254:255], v[228:229], v[242:243]
	s_waitcnt vmcnt(4)
	v_fmac_f64_e32 v[254:255], v[230:231], v[244:245]
	v_add_f64 v[152:153], v[250:251], v[254:255]
	s_waitcnt lgkmcnt(1)
	v_mul_f64 v[250:251], v[38:39], v[238:239]
	v_fmac_f64_e32 v[250:251], v[40:41], v[240:241]
	v_add_f64 v[152:153], v[152:153], v[250:251]
	s_waitcnt vmcnt(2) lgkmcnt(0)
	v_mul_f64 v[250:251], v[48:49], v[246:247]
	s_waitcnt vmcnt(0)
	v_fmac_f64_e32 v[250:251], v[50:51], v[248:249]
	v_add_f64 v[152:153], v[152:153], v[250:251]
	v_add_f64 v[250:251], v[252:253], 0
	;; [unrolled: 1-line block ×3, first 2 shown]
	v_mul_f64 v[28:29], v[28:29], v[56:57]
	v_add_f64 v[30:31], v[34:35], v[30:31]
	v_fma_f64 v[26:27], v[26:27], v[78:79], -v[28:29]
	v_add_f64 v[26:27], v[30:31], v[26:27]
	v_mul_f64 v[20:21], v[20:21], v[62:63]
	v_add_f64 v[22:23], v[26:27], v[22:23]
	v_fma_f64 v[18:19], v[18:19], v[76:77], -v[20:21]
	v_add_f64 v[18:19], v[22:23], v[18:19]
	v_fma_f64 v[10:11], v[10:11], v[72:73], -v[12:13]
	v_mul_f64 v[8:9], v[8:9], v[68:69]
	v_add_f64 v[10:11], v[18:19], v[10:11]
	v_fma_f64 v[6:7], v[6:7], v[74:75], -v[8:9]
	v_mul_f64 v[4:5], v[4:5], v[64:65]
	;; [unrolled: 3-line block ×3, first 2 shown]
	v_add_f64 v[2:3], v[6:7], v[2:3]
	v_fma_f64 v[4:5], v[14:15], v[88:89], -v[4:5]
	v_add_f64 v[2:3], v[2:3], v[4:5]
	v_mul_f64 v[4:5], v[126:127], v[82:83]
	v_fma_f64 v[4:5], v[124:125], v[84:85], -v[4:5]
	v_add_f64 v[2:3], v[2:3], v[4:5]
	v_mul_f64 v[4:5], v[156:157], v[94:95]
	;; [unrolled: 3-line block ×20, first 2 shown]
	v_fma_f64 v[4:5], v[48:49], v[248:249], -v[4:5]
	v_add_f64 v[2:3], v[2:3], v[4:5]
	v_add_f64 v[2:3], v[60:61], -v[2:3]
	v_add_f64 v[4:5], v[58:59], -v[152:153]
	buffer_store_dword v3, off, s[0:3], 0 offset:84
	buffer_store_dword v2, off, s[0:3], 0 offset:80
	;; [unrolled: 1-line block ×4, first 2 shown]
	s_and_saveexec_b64 s[4:5], vcc
	s_cbranch_execz .LBB98_217
; %bb.216:
	v_accvgpr_read_b32 v5, a97
	buffer_load_dword v2, v5, s[0:3], 0 offen
	buffer_load_dword v3, v5, s[0:3], 0 offen offset:4
	buffer_load_dword v4, v5, s[0:3], 0 offen offset:8
	s_nop 0
	buffer_load_dword v5, v5, s[0:3], 0 offen offset:12
	v_mov_b32_e32 v6, 0
	buffer_store_dword v6, off, s[0:3], 0 offset:64
	buffer_store_dword v6, off, s[0:3], 0 offset:68
	buffer_store_dword v6, off, s[0:3], 0 offset:72
	buffer_store_dword v6, off, s[0:3], 0 offset:76
	s_waitcnt vmcnt(4)
	ds_write_b128 v1, v[2:5]
.LBB98_217:
	s_or_b64 exec, exec, s[4:5]
	s_waitcnt lgkmcnt(0)
	; wave barrier
	s_waitcnt lgkmcnt(0)
	buffer_load_dword v106, off, s[0:3], 0 offset:80
	buffer_load_dword v107, off, s[0:3], 0 offset:84
	;; [unrolled: 1-line block ×49, first 2 shown]
	v_mov_b32_e32 v178, 0
	ds_read_b128 v[110:113], v178 offset:624
	ds_read_b128 v[174:177], v178 offset:640
	;; [unrolled: 1-line block ×10, first 2 shown]
	buffer_load_dword v124, off, s[0:3], 0 offset:272
	buffer_load_dword v139, off, s[0:3], 0 offset:268
	;; [unrolled: 1-line block ×69, first 2 shown]
	v_cmp_lt_u32_e32 vcc, 2, v0
	s_waitcnt vmcnt(62) lgkmcnt(9)
	v_mul_f64 v[34:35], v[110:111], v[108:109]
	v_fmac_f64_e32 v[34:35], v[112:113], v[106:107]
	v_add_f64 v[34:35], v[34:35], 0
	v_mul_f64 v[108:109], v[112:113], v[108:109]
	s_waitcnt lgkmcnt(8)
	v_mul_f64 v[36:37], v[174:175], v[116:117]
	v_fmac_f64_e32 v[36:37], v[176:177], v[114:115]
	s_waitcnt lgkmcnt(7)
	v_mul_f64 v[38:39], v[30:31], v[188:189]
	v_add_f64 v[34:35], v[34:35], v[36:37]
	s_waitcnt lgkmcnt(5)
	v_mul_f64 v[42:43], v[22:23], v[190:191]
	v_mul_f64 v[116:117], v[176:177], v[116:117]
	v_fmac_f64_e32 v[42:43], v[24:25], v[192:193]
	v_fma_f64 v[174:175], v[174:175], v[114:115], -v[116:117]
	v_mul_f64 v[40:41], v[26:27], v[194:195]
	v_mul_f64 v[24:25], v[24:25], v[190:191]
	s_waitcnt lgkmcnt(3)
	v_mul_f64 v[46:47], v[14:15], v[196:197]
	v_fma_f64 v[22:23], v[22:23], v[192:193], -v[24:25]
	v_fmac_f64_e32 v[46:47], v[16:17], v[198:199]
	v_mul_f64 v[16:17], v[16:17], v[196:197]
	v_mul_f64 v[44:45], v[18:19], v[200:201]
	v_fma_f64 v[14:15], v[14:15], v[198:199], -v[16:17]
	s_waitcnt lgkmcnt(1)
	v_mul_f64 v[50:51], v[6:7], v[202:203]
	v_fmac_f64_e32 v[50:51], v[8:9], v[204:205]
	v_mul_f64 v[8:9], v[8:9], v[202:203]
	v_mul_f64 v[48:49], v[10:11], v[210:211]
	v_fma_f64 v[6:7], v[6:7], v[204:205], -v[8:9]
	s_waitcnt lgkmcnt(0)
	v_mul_f64 v[52:53], v[2:3], v[206:207]
	v_fmac_f64_e32 v[38:39], v[32:33], v[222:223]
	v_add_f64 v[34:35], v[34:35], v[38:39]
	v_fmac_f64_e32 v[40:41], v[28:29], v[220:221]
	v_add_f64 v[34:35], v[34:35], v[40:41]
	v_fmac_f64_e32 v[44:45], v[20:21], v[218:219]
	v_add_f64 v[34:35], v[34:35], v[42:43]
	v_add_f64 v[34:35], v[34:35], v[44:45]
	v_fmac_f64_e32 v[48:49], v[12:13], v[216:217]
	v_add_f64 v[34:35], v[34:35], v[46:47]
	v_add_f64 v[34:35], v[34:35], v[48:49]
	v_fmac_f64_e32 v[52:53], v[4:5], v[214:215]
	v_add_f64 v[34:35], v[34:35], v[50:51]
	v_add_f64 v[42:43], v[34:35], v[52:53]
	ds_read_b128 v[38:41], v178 offset:784
	ds_read_b128 v[34:37], v178 offset:800
	buffer_load_dword v243, off, s[0:3], 0 offset:572
	buffer_load_dword v242, off, s[0:3], 0 offset:568
	;; [unrolled: 1-line block ×8, first 2 shown]
	ds_read_b128 v[114:117], v178 offset:1104
	v_mul_f64 v[32:33], v[32:33], v[188:189]
	s_waitcnt lgkmcnt(2)
	v_mul_f64 v[44:45], v[38:39], v[212:213]
	v_fmac_f64_e32 v[44:45], v[40:41], v[120:121]
	v_add_f64 v[46:47], v[42:43], v[44:45]
	ds_read_b128 v[42:45], v178 offset:816
	s_waitcnt lgkmcnt(2)
	v_mul_f64 v[48:49], v[34:35], v[138:139]
	v_fmac_f64_e32 v[48:49], v[36:37], v[142:143]
	v_add_f64 v[50:51], v[46:47], v[48:49]
	ds_read_b128 v[46:49], v178 offset:832
	;; [unrolled: 5-line block ×3, first 2 shown]
	s_waitcnt vmcnt(62) lgkmcnt(1)
	v_mul_f64 v[56:57], v[46:47], v[146:147]
	v_fmac_f64_e32 v[56:57], v[48:49], v[150:151]
	v_add_f64 v[58:59], v[54:55], v[56:57]
	ds_read_b128 v[54:57], v178 offset:864
	s_waitcnt lgkmcnt(1)
	v_mul_f64 v[60:61], v[50:51], v[126:127]
	v_fmac_f64_e32 v[60:61], v[52:53], v[128:129]
	v_add_f64 v[62:63], v[58:59], v[60:61]
	ds_read_b128 v[58:61], v178 offset:880
	s_waitcnt vmcnt(58) lgkmcnt(1)
	v_mul_f64 v[64:65], v[54:55], v[154:155]
	s_waitcnt vmcnt(56)
	v_fmac_f64_e32 v[64:65], v[56:57], v[158:159]
	v_add_f64 v[66:67], v[62:63], v[64:65]
	ds_read_b128 v[62:65], v178 offset:896
	s_waitcnt lgkmcnt(1)
	v_mul_f64 v[68:69], v[58:59], v[130:131]
	v_fmac_f64_e32 v[68:69], v[60:61], v[132:133]
	v_add_f64 v[70:71], v[66:67], v[68:69]
	ds_read_b128 v[66:69], v178 offset:912
	s_waitcnt vmcnt(50) lgkmcnt(1)
	v_mul_f64 v[72:73], v[62:63], v[162:163]
	s_waitcnt vmcnt(48)
	;; [unrolled: 11-line block ×5, first 2 shown]
	v_fmac_f64_e32 v[96:97], v[88:89], v[240:241]
	v_add_f64 v[98:99], v[94:95], v[96:97]
	ds_read_b128 v[94:97], v178 offset:1024
	s_waitcnt lgkmcnt(1)
	v_mul_f64 v[100:101], v[90:91], v[156:157]
	v_fmac_f64_e32 v[100:101], v[92:93], v[160:161]
	v_add_f64 v[170:171], v[98:99], v[100:101]
	ds_read_b128 v[98:101], v178 offset:1040
	ds_read_b128 v[102:105], v178 offset:1056
	s_waitcnt vmcnt(18) lgkmcnt(2)
	v_mul_f64 v[172:173], v[94:95], v[244:245]
	s_waitcnt vmcnt(16)
	v_fmac_f64_e32 v[172:173], v[96:97], v[248:249]
	v_add_f64 v[170:171], v[170:171], v[172:173]
	s_waitcnt lgkmcnt(1)
	v_mul_f64 v[172:173], v[98:99], v[164:165]
	v_fmac_f64_e32 v[172:173], v[100:101], v[224:225]
	v_add_f64 v[170:171], v[170:171], v[172:173]
	v_fma_f64 v[172:173], v[110:111], v[106:107], -v[108:109]
	ds_read_b128 v[110:113], v178 offset:1072
	ds_read_b128 v[106:109], v178 offset:1088
	s_waitcnt vmcnt(10) lgkmcnt(2)
	v_mul_f64 v[180:181], v[102:103], v[250:251]
	s_waitcnt vmcnt(8)
	v_fmac_f64_e32 v[180:181], v[104:105], v[252:253]
	v_add_f64 v[170:171], v[170:171], v[180:181]
	s_waitcnt lgkmcnt(1)
	v_mul_f64 v[176:177], v[110:111], v[228:229]
	v_fmac_f64_e32 v[176:177], v[112:113], v[232:233]
	v_add_f64 v[170:171], v[170:171], v[176:177]
	s_waitcnt vmcnt(2) lgkmcnt(0)
	v_mul_f64 v[176:177], v[106:107], v[254:255]
	s_waitcnt vmcnt(0)
	v_fmac_f64_e32 v[176:177], v[108:109], v[168:169]
	v_add_f64 v[170:171], v[170:171], v[176:177]
	v_mul_f64 v[176:177], v[114:115], v[242:243]
	v_fmac_f64_e32 v[176:177], v[116:117], v[246:247]
	v_add_f64 v[170:171], v[170:171], v[176:177]
	buffer_load_dword v176, off, s[0:3], 0 offset:72
	buffer_load_dword v177, off, s[0:3], 0 offset:76
	v_add_f64 v[172:173], v[172:173], 0
	v_add_f64 v[172:173], v[172:173], v[174:175]
	v_fma_f64 v[30:31], v[30:31], v[222:223], -v[32:33]
	v_mul_f64 v[28:29], v[28:29], v[194:195]
	v_add_f64 v[30:31], v[172:173], v[30:31]
	v_fma_f64 v[26:27], v[26:27], v[220:221], -v[28:29]
	v_add_f64 v[26:27], v[30:31], v[26:27]
	v_mul_f64 v[20:21], v[20:21], v[200:201]
	v_add_f64 v[22:23], v[26:27], v[22:23]
	v_fma_f64 v[18:19], v[18:19], v[218:219], -v[20:21]
	v_add_f64 v[18:19], v[22:23], v[18:19]
	;; [unrolled: 4-line block ×3, first 2 shown]
	v_mul_f64 v[4:5], v[4:5], v[206:207]
	v_add_f64 v[6:7], v[10:11], v[6:7]
	v_fma_f64 v[2:3], v[2:3], v[214:215], -v[4:5]
	v_mul_f64 v[4:5], v[40:41], v[212:213]
	v_add_f64 v[2:3], v[6:7], v[2:3]
	v_fma_f64 v[4:5], v[38:39], v[120:121], -v[4:5]
	v_add_f64 v[2:3], v[2:3], v[4:5]
	v_mul_f64 v[4:5], v[36:37], v[138:139]
	v_fma_f64 v[4:5], v[34:35], v[142:143], -v[4:5]
	v_add_f64 v[2:3], v[2:3], v[4:5]
	v_mul_f64 v[4:5], v[44:45], v[122:123]
	;; [unrolled: 3-line block ×20, first 2 shown]
	v_fma_f64 v[4:5], v[114:115], v[246:247], -v[4:5]
	v_add_f64 v[2:3], v[2:3], v[4:5]
	v_add_f64 v[2:3], v[208:209], -v[2:3]
	s_waitcnt vmcnt(0)
	v_add_f64 v[4:5], v[176:177], -v[170:171]
	buffer_store_dword v3, off, s[0:3], 0 offset:68
	buffer_store_dword v2, off, s[0:3], 0 offset:64
	buffer_store_dword v5, off, s[0:3], 0 offset:76
	buffer_store_dword v4, off, s[0:3], 0 offset:72
	s_and_saveexec_b64 s[4:5], vcc
	s_cbranch_execz .LBB98_219
; %bb.218:
	v_accvgpr_read_b32 v5, a95
	buffer_load_dword v2, v5, s[0:3], 0 offen
	buffer_load_dword v3, v5, s[0:3], 0 offen offset:4
	buffer_load_dword v4, v5, s[0:3], 0 offen offset:8
	s_nop 0
	buffer_load_dword v5, v5, s[0:3], 0 offen offset:12
	s_nop 0
	buffer_store_dword v178, off, s[0:3], 0 offset:48
	buffer_store_dword v178, off, s[0:3], 0 offset:52
	;; [unrolled: 1-line block ×4, first 2 shown]
	s_waitcnt vmcnt(4)
	ds_write_b128 v1, v[2:5]
.LBB98_219:
	s_or_b64 exec, exec, s[4:5]
	s_waitcnt lgkmcnt(0)
	; wave barrier
	s_waitcnt lgkmcnt(0)
	buffer_load_dword v112, off, s[0:3], 0 offset:64
	buffer_load_dword v113, off, s[0:3], 0 offset:68
	;; [unrolled: 1-line block ×36, first 2 shown]
	ds_read_b128 v[102:105], v178 offset:608
	ds_read_b128 v[106:109], v178 offset:624
	;; [unrolled: 1-line block ×9, first 2 shown]
	buffer_load_dword v213, off, s[0:3], 0 offset:236
	buffer_load_dword v212, off, s[0:3], 0 offset:232
	;; [unrolled: 1-line block ×78, first 2 shown]
	v_cmp_lt_u32_e32 vcc, 1, v0
	s_waitcnt vmcnt(62) lgkmcnt(8)
	v_mul_f64 v[26:27], v[102:103], v[170:171]
	v_fmac_f64_e32 v[26:27], v[104:105], v[112:113]
	v_add_f64 v[26:27], v[26:27], 0
	v_mul_f64 v[104:105], v[104:105], v[170:171]
	s_waitcnt lgkmcnt(7)
	v_mul_f64 v[28:29], v[106:107], v[172:173]
	v_fmac_f64_e32 v[28:29], v[108:109], v[110:111]
	s_waitcnt lgkmcnt(6)
	v_mul_f64 v[30:31], v[114:115], v[168:169]
	v_add_f64 v[26:27], v[26:27], v[28:29]
	s_waitcnt lgkmcnt(4)
	v_mul_f64 v[34:35], v[18:19], v[188:189]
	v_fma_f64 v[170:171], v[102:103], v[112:113], -v[104:105]
	v_fmac_f64_e32 v[34:35], v[20:21], v[190:191]
	v_mul_f64 v[108:109], v[108:109], v[172:173]
	v_mul_f64 v[32:33], v[22:23], v[192:193]
	v_fma_f64 v[172:173], v[106:107], v[110:111], -v[108:109]
	s_waitcnt lgkmcnt(2)
	v_mul_f64 v[38:39], v[10:11], v[194:195]
	v_add_f64 v[170:171], v[170:171], 0
	v_fmac_f64_e32 v[38:39], v[12:13], v[196:197]
	v_add_f64 v[170:171], v[170:171], v[172:173]
	v_mul_f64 v[36:37], v[14:15], v[200:201]
	v_mul_f64 v[20:21], v[20:21], v[188:189]
	s_waitcnt lgkmcnt(1)
	v_mul_f64 v[40:41], v[6:7], v[198:199]
	v_fma_f64 v[18:19], v[18:19], v[190:191], -v[20:21]
	v_fmac_f64_e32 v[30:31], v[116:117], v[174:175]
	v_add_f64 v[26:27], v[26:27], v[30:31]
	v_fmac_f64_e32 v[32:33], v[24:25], v[208:209]
	v_add_f64 v[26:27], v[26:27], v[32:33]
	v_fmac_f64_e32 v[36:37], v[16:17], v[206:207]
	v_add_f64 v[26:27], v[26:27], v[34:35]
	v_add_f64 v[26:27], v[26:27], v[36:37]
	v_fmac_f64_e32 v[40:41], v[8:9], v[204:205]
	v_add_f64 v[30:31], v[26:27], v[38:39]
	ds_read_b128 v[26:29], v178 offset:752
	s_waitcnt lgkmcnt(1)
	v_mul_f64 v[32:33], v[2:3], v[202:203]
	v_add_f64 v[30:31], v[30:31], v[40:41]
	v_fmac_f64_e32 v[32:33], v[4:5], v[210:211]
	v_add_f64 v[34:35], v[30:31], v[32:33]
	ds_read_b128 v[30:33], v178 offset:768
	s_waitcnt lgkmcnt(1)
	v_mul_f64 v[36:37], v[26:27], v[216:217]
	buffer_load_dword v163, off, s[0:3], 0 offset:500
	buffer_load_dword v162, off, s[0:3], 0 offset:496
	v_fmac_f64_e32 v[36:37], v[28:29], v[218:219]
	v_add_f64 v[38:39], v[34:35], v[36:37]
	s_waitcnt lgkmcnt(0)
	v_mul_f64 v[40:41], v[30:31], v[212:213]
	ds_read_b128 v[34:37], v178 offset:784
	v_fmac_f64_e32 v[40:41], v[32:33], v[214:215]
	v_add_f64 v[42:43], v[38:39], v[40:41]
	ds_read_b128 v[38:41], v178 offset:800
	v_mul_f64 v[116:117], v[116:117], v[168:169]
	s_waitcnt lgkmcnt(1)
	v_mul_f64 v[44:45], v[34:35], v[128:129]
	v_fmac_f64_e32 v[44:45], v[36:37], v[130:131]
	v_add_f64 v[46:47], v[42:43], v[44:45]
	s_waitcnt lgkmcnt(0)
	v_mul_f64 v[48:49], v[38:39], v[120:121]
	v_fmac_f64_e32 v[48:49], v[40:41], v[122:123]
	ds_read_b128 v[42:45], v178 offset:816
	v_add_f64 v[50:51], v[46:47], v[48:49]
	ds_read_b128 v[46:49], v178 offset:832
	buffer_load_dword v165, off, s[0:3], 0 offset:556
	buffer_load_dword v167, off, s[0:3], 0 offset:540
	;; [unrolled: 1-line block ×12, first 2 shown]
	ds_read_b128 v[106:109], v178 offset:1072
	s_waitcnt vmcnt(62) lgkmcnt(2)
	v_mul_f64 v[52:53], v[42:43], v[222:223]
	v_fmac_f64_e32 v[52:53], v[44:45], v[224:225]
	v_add_f64 v[54:55], v[50:51], v[52:53]
	ds_read_b128 v[50:53], v178 offset:848
	s_waitcnt lgkmcnt(2)
	v_mul_f64 v[56:57], v[46:47], v[124:125]
	v_fmac_f64_e32 v[56:57], v[48:49], v[126:127]
	v_add_f64 v[58:59], v[54:55], v[56:57]
	ds_read_b128 v[54:57], v178 offset:864
	s_waitcnt lgkmcnt(1)
	v_mul_f64 v[60:61], v[50:51], v[146:147]
	s_waitcnt vmcnt(60)
	v_fmac_f64_e32 v[60:61], v[52:53], v[226:227]
	v_add_f64 v[62:63], v[58:59], v[60:61]
	ds_read_b128 v[58:61], v178 offset:880
	s_waitcnt lgkmcnt(1)
	v_mul_f64 v[64:65], v[54:55], v[132:133]
	v_fmac_f64_e32 v[64:65], v[56:57], v[134:135]
	v_add_f64 v[66:67], v[62:63], v[64:65]
	ds_read_b128 v[62:65], v178 offset:896
	s_waitcnt vmcnt(54) lgkmcnt(1)
	v_mul_f64 v[68:69], v[58:59], v[230:231]
	s_waitcnt vmcnt(52)
	v_fmac_f64_e32 v[68:69], v[60:61], v[234:235]
	v_add_f64 v[70:71], v[66:67], v[68:69]
	ds_read_b128 v[66:69], v178 offset:912
	s_waitcnt lgkmcnt(1)
	v_mul_f64 v[72:73], v[62:63], v[136:137]
	v_fmac_f64_e32 v[72:73], v[64:65], v[138:139]
	v_add_f64 v[74:75], v[70:71], v[72:73]
	ds_read_b128 v[70:73], v178 offset:928
	s_waitcnt vmcnt(46) lgkmcnt(1)
	;; [unrolled: 11-line block ×4, first 2 shown]
	v_mul_f64 v[92:93], v[82:83], v[156:157]
	s_waitcnt vmcnt(28)
	v_fmac_f64_e32 v[92:93], v[84:85], v[158:159]
	v_add_f64 v[98:99], v[90:91], v[92:93]
	ds_read_b128 v[90:93], v178 offset:1008
	ds_read_b128 v[94:97], v178 offset:1024
	s_waitcnt lgkmcnt(2)
	v_mul_f64 v[100:101], v[86:87], v[148:149]
	v_fmac_f64_e32 v[100:101], v[88:89], v[228:229]
	v_add_f64 v[98:99], v[98:99], v[100:101]
	s_waitcnt vmcnt(22) lgkmcnt(1)
	v_mul_f64 v[100:101], v[90:91], v[160:161]
	s_waitcnt vmcnt(20)
	v_fmac_f64_e32 v[100:101], v[92:93], v[244:245]
	v_add_f64 v[98:99], v[98:99], v[100:101]
	s_waitcnt lgkmcnt(0)
	v_mul_f64 v[100:101], v[94:95], v[232:233]
	v_fmac_f64_e32 v[100:101], v[96:97], v[150:151]
	v_add_f64 v[176:177], v[98:99], v[100:101]
	ds_read_b128 v[98:101], v178 offset:1040
	ds_read_b128 v[102:105], v178 offset:1056
	v_fma_f64 v[174:175], v[114:115], v[174:175], -v[116:117]
	ds_read_b128 v[114:117], v178 offset:1104
	v_mul_f64 v[24:25], v[24:25], v[192:193]
	s_waitcnt vmcnt(14) lgkmcnt(2)
	v_mul_f64 v[112:113], v[98:99], v[246:247]
	s_waitcnt lgkmcnt(1)
	v_mul_f64 v[110:111], v[102:103], v[152:153]
	s_waitcnt vmcnt(12)
	v_fmac_f64_e32 v[112:113], v[100:101], v[162:163]
	v_add_f64 v[112:113], v[176:177], v[112:113]
	v_fmac_f64_e32 v[110:111], v[104:105], v[154:155]
	v_add_f64 v[176:177], v[112:113], v[110:111]
	ds_read_b128 v[110:113], v178 offset:1088
	v_add_f64 v[170:171], v[170:171], v[174:175]
	v_fma_f64 v[22:23], v[22:23], v[208:209], -v[24:25]
	v_add_f64 v[22:23], v[170:171], v[22:23]
	s_waitcnt vmcnt(9)
	v_mul_f64 v[168:169], v[106:107], v[166:167]
	v_mul_f64 v[16:17], v[16:17], v[200:201]
	s_waitcnt vmcnt(7)
	v_fmac_f64_e32 v[168:169], v[108:109], v[252:253]
	v_add_f64 v[168:169], v[176:177], v[168:169]
	s_waitcnt vmcnt(6) lgkmcnt(0)
	v_mul_f64 v[176:177], v[110:111], v[164:165]
	s_waitcnt vmcnt(4)
	v_fmac_f64_e32 v[176:177], v[112:113], v[250:251]
	v_add_f64 v[168:169], v[168:169], v[176:177]
	s_waitcnt vmcnt(2)
	v_mul_f64 v[176:177], v[114:115], v[248:249]
	v_add_f64 v[18:19], v[22:23], v[18:19]
	s_waitcnt vmcnt(0)
	v_fmac_f64_e32 v[176:177], v[116:117], v[254:255]
	v_add_f64 v[168:169], v[168:169], v[176:177]
	buffer_load_dword v178, off, s[0:3], 0 offset:48
	buffer_load_dword v179, off, s[0:3], 0 offset:52
	;; [unrolled: 1-line block ×4, first 2 shown]
	v_fma_f64 v[14:15], v[14:15], v[206:207], -v[16:17]
	v_mul_f64 v[12:13], v[12:13], v[194:195]
	v_add_f64 v[14:15], v[18:19], v[14:15]
	v_fma_f64 v[10:11], v[10:11], v[196:197], -v[12:13]
	v_mul_f64 v[8:9], v[8:9], v[198:199]
	v_add_f64 v[10:11], v[14:15], v[10:11]
	;; [unrolled: 3-line block ×4, first 2 shown]
	v_fma_f64 v[4:5], v[26:27], v[218:219], -v[4:5]
	v_add_f64 v[2:3], v[2:3], v[4:5]
	v_mul_f64 v[4:5], v[32:33], v[212:213]
	v_fma_f64 v[4:5], v[30:31], v[214:215], -v[4:5]
	v_add_f64 v[2:3], v[2:3], v[4:5]
	v_mul_f64 v[4:5], v[36:37], v[128:129]
	;; [unrolled: 3-line block ×22, first 2 shown]
	v_fma_f64 v[4:5], v[114:115], v[254:255], -v[4:5]
	v_add_f64 v[2:3], v[2:3], v[4:5]
	s_waitcnt vmcnt(2)
	v_add_f64 v[2:3], v[178:179], -v[2:3]
	s_waitcnt vmcnt(0)
	v_add_f64 v[4:5], v[176:177], -v[168:169]
	buffer_store_dword v3, off, s[0:3], 0 offset:52
	buffer_store_dword v2, off, s[0:3], 0 offset:48
	;; [unrolled: 1-line block ×4, first 2 shown]
	s_and_saveexec_b64 s[4:5], vcc
	s_cbranch_execz .LBB98_221
; %bb.220:
	v_accvgpr_read_b32 v5, a96
	buffer_load_dword v2, v5, s[0:3], 0 offen
	buffer_load_dword v3, v5, s[0:3], 0 offen offset:4
	buffer_load_dword v4, v5, s[0:3], 0 offen offset:8
	s_nop 0
	buffer_load_dword v5, v5, s[0:3], 0 offen offset:12
	v_mov_b32_e32 v6, 0
	buffer_store_dword v6, off, s[0:3], 0 offset:32
	buffer_store_dword v6, off, s[0:3], 0 offset:36
	;; [unrolled: 1-line block ×4, first 2 shown]
	s_waitcnt vmcnt(4)
	ds_write_b128 v1, v[2:5]
.LBB98_221:
	s_or_b64 exec, exec, s[4:5]
	s_waitcnt lgkmcnt(0)
	; wave barrier
	s_waitcnt lgkmcnt(0)
	buffer_load_dword v94, off, s[0:3], 0 offset:48
	buffer_load_dword v95, off, s[0:3], 0 offset:52
	;; [unrolled: 1-line block ×52, first 2 shown]
	v_mov_b32_e32 v178, 0
	ds_read_b128 v[102:105], v178 offset:592
	ds_read_b128 v[114:117], v178 offset:608
	;; [unrolled: 1-line block ×10, first 2 shown]
	v_cmp_ne_u32_e32 vcc, 0, v0
	s_waitcnt vmcnt(48) lgkmcnt(9)
	v_mul_f64 v[26:27], v[102:103], v[96:97]
	v_fmac_f64_e32 v[26:27], v[104:105], v[94:95]
	v_add_f64 v[26:27], v[26:27], 0
	v_mul_f64 v[96:97], v[104:105], v[96:97]
	s_waitcnt vmcnt(44) lgkmcnt(8)
	v_mul_f64 v[28:29], v[114:115], v[100:101]
	v_fmac_f64_e32 v[28:29], v[116:117], v[98:99]
	s_waitcnt vmcnt(42) lgkmcnt(7)
	v_mul_f64 v[30:31], v[168:169], v[106:107]
	v_add_f64 v[26:27], v[26:27], v[28:29]
	s_waitcnt vmcnt(40) lgkmcnt(5)
	v_mul_f64 v[34:35], v[22:23], v[190:191]
	v_fma_f64 v[180:181], v[102:103], v[94:95], -v[96:97]
	s_waitcnt vmcnt(38)
	v_fmac_f64_e32 v[34:35], v[24:25], v[194:195]
	v_mul_f64 v[100:101], v[116:117], v[100:101]
	s_waitcnt vmcnt(36)
	v_mul_f64 v[32:33], v[174:175], v[110:111]
	v_fma_f64 v[182:183], v[114:115], v[98:99], -v[100:101]
	s_waitcnt vmcnt(34) lgkmcnt(3)
	v_mul_f64 v[38:39], v[14:15], v[188:189]
	v_mul_f64 v[106:107], v[170:171], v[106:107]
	s_waitcnt vmcnt(32)
	v_fmac_f64_e32 v[38:39], v[16:17], v[192:193]
	v_mul_f64 v[110:111], v[176:177], v[110:111]
	s_waitcnt vmcnt(30)
	v_mul_f64 v[36:37], v[18:19], v[200:201]
	v_mul_f64 v[24:25], v[24:25], v[190:191]
	v_fma_f64 v[22:23], v[22:23], v[194:195], -v[24:25]
	s_waitcnt vmcnt(27) lgkmcnt(2)
	v_mul_f64 v[40:41], v[10:11], v[198:199]
	s_waitcnt vmcnt(26) lgkmcnt(1)
	v_mul_f64 v[42:43], v[6:7], v[196:197]
	v_mul_f64 v[16:17], v[16:17], v[188:189]
	s_waitcnt vmcnt(24)
	v_fmac_f64_e32 v[30:31], v[170:171], v[108:109]
	v_add_f64 v[26:27], v[26:27], v[30:31]
	s_waitcnt vmcnt(22)
	v_fmac_f64_e32 v[32:33], v[176:177], v[112:113]
	v_add_f64 v[26:27], v[26:27], v[32:33]
	;; [unrolled: 3-line block ×3, first 2 shown]
	v_add_f64 v[26:27], v[26:27], v[36:37]
	s_waitcnt vmcnt(18)
	v_fmac_f64_e32 v[40:41], v[12:13], v[202:203]
	v_add_f64 v[26:27], v[26:27], v[38:39]
	v_add_f64 v[26:27], v[26:27], v[40:41]
	s_waitcnt vmcnt(16)
	v_fmac_f64_e32 v[42:43], v[8:9], v[208:209]
	v_add_f64 v[34:35], v[26:27], v[42:43]
	ds_read_b128 v[26:29], v178 offset:752
	ds_read_b128 v[30:33], v178 offset:768
	buffer_load_dword v121, off, s[0:3], 0 offset:284
	buffer_load_dword v120, off, s[0:3], 0 offset:280
	;; [unrolled: 1-line block ×56, first 2 shown]
	s_waitcnt vmcnt(62) lgkmcnt(2)
	v_mul_f64 v[36:37], v[2:3], v[212:213]
	v_fmac_f64_e32 v[36:37], v[4:5], v[214:215]
	v_add_f64 v[34:35], v[34:35], v[36:37]
	s_waitcnt lgkmcnt(1)
	v_mul_f64 v[36:37], v[26:27], v[206:207]
	v_fmac_f64_e32 v[36:37], v[28:29], v[210:211]
	v_add_f64 v[34:35], v[34:35], v[36:37]
	s_waitcnt lgkmcnt(0)
	v_mul_f64 v[36:37], v[30:31], v[216:217]
	s_waitcnt vmcnt(60)
	v_fmac_f64_e32 v[36:37], v[32:33], v[220:221]
	v_add_f64 v[42:43], v[34:35], v[36:37]
	ds_read_b128 v[34:37], v178 offset:784
	buffer_load_dword v165, off, s[0:3], 0 offset:508
	buffer_load_dword v164, off, s[0:3], 0 offset:504
	;; [unrolled: 1-line block ×16, first 2 shown]
	ds_read_b128 v[38:41], v178 offset:800
	buffer_load_dword v245, off, s[0:3], 0 offset:572
	buffer_load_dword v244, off, s[0:3], 0 offset:568
	;; [unrolled: 1-line block ×8, first 2 shown]
	ds_read_b128 v[98:101], v178 offset:1040
	s_waitcnt vmcnt(62) lgkmcnt(2)
	v_mul_f64 v[44:45], v[34:35], v[218:219]
	v_fmac_f64_e32 v[44:45], v[36:37], v[222:223]
	v_add_f64 v[46:47], v[42:43], v[44:45]
	ds_read_b128 v[42:45], v178 offset:816
	v_fma_f64 v[170:171], v[174:175], v[112:113], -v[110:111]
	v_mul_f64 v[20:21], v[20:21], v[200:201]
	v_fma_f64 v[18:19], v[18:19], v[204:205], -v[20:21]
	v_fma_f64 v[14:15], v[14:15], v[192:193], -v[16:17]
	v_mul_f64 v[12:13], v[12:13], v[198:199]
	v_fma_f64 v[10:11], v[10:11], v[202:203], -v[12:13]
	v_mul_f64 v[8:9], v[8:9], v[196:197]
	;; [unrolled: 2-line block ×4, first 2 shown]
	s_waitcnt lgkmcnt(2)
	v_mul_f64 v[48:49], v[38:39], v[136:137]
	v_fma_f64 v[4:5], v[26:27], v[210:211], -v[4:5]
	v_fmac_f64_e32 v[48:49], v[40:41], v[140:141]
	v_add_f64 v[50:51], v[46:47], v[48:49]
	ds_read_b128 v[46:49], v178 offset:832
	s_waitcnt lgkmcnt(1)
	v_mul_f64 v[52:53], v[42:43], v[120:121]
	v_fmac_f64_e32 v[52:53], v[44:45], v[122:123]
	v_add_f64 v[54:55], v[50:51], v[52:53]
	ds_read_b128 v[50:53], v178 offset:848
	s_waitcnt lgkmcnt(1)
	v_mul_f64 v[56:57], v[46:47], v[144:145]
	;; [unrolled: 5-line block ×3, first 2 shown]
	v_fmac_f64_e32 v[60:61], v[52:53], v[126:127]
	v_add_f64 v[62:63], v[58:59], v[60:61]
	ds_read_b128 v[58:61], v178 offset:880
	s_waitcnt vmcnt(58) lgkmcnt(1)
	v_mul_f64 v[64:65], v[54:55], v[152:153]
	s_waitcnt vmcnt(56)
	v_fmac_f64_e32 v[64:65], v[56:57], v[156:157]
	v_add_f64 v[66:67], v[62:63], v[64:65]
	ds_read_b128 v[62:65], v178 offset:896
	s_waitcnt lgkmcnt(1)
	v_mul_f64 v[68:69], v[58:59], v[128:129]
	v_fmac_f64_e32 v[68:69], v[60:61], v[130:131]
	v_add_f64 v[70:71], v[66:67], v[68:69]
	ds_read_b128 v[66:69], v178 offset:912
	s_waitcnt vmcnt(50) lgkmcnt(1)
	v_mul_f64 v[72:73], v[62:63], v[160:161]
	s_waitcnt vmcnt(48)
	v_fmac_f64_e32 v[72:73], v[64:65], v[162:163]
	v_add_f64 v[74:75], v[70:71], v[72:73]
	ds_read_b128 v[70:73], v178 offset:928
	s_waitcnt lgkmcnt(1)
	v_mul_f64 v[76:77], v[66:67], v[132:133]
	;; [unrolled: 11-line block ×3, first 2 shown]
	v_fmac_f64_e32 v[84:85], v[76:77], v[142:143]
	v_add_f64 v[90:91], v[82:83], v[84:85]
	ds_read_b128 v[82:85], v178 offset:976
	ds_read_b128 v[86:89], v178 offset:992
	s_waitcnt vmcnt(34) lgkmcnt(2)
	v_mul_f64 v[92:93], v[78:79], v[232:233]
	s_waitcnt vmcnt(32)
	v_fmac_f64_e32 v[92:93], v[80:81], v[238:239]
	v_add_f64 v[90:91], v[90:91], v[92:93]
	s_waitcnt lgkmcnt(1)
	v_mul_f64 v[92:93], v[82:83], v[146:147]
	v_fmac_f64_e32 v[92:93], v[84:85], v[150:151]
	v_add_f64 v[90:91], v[90:91], v[92:93]
	s_waitcnt vmcnt(27) lgkmcnt(0)
	v_mul_f64 v[92:93], v[86:87], v[236:237]
	s_waitcnt vmcnt(25)
	v_fmac_f64_e32 v[92:93], v[88:89], v[240:241]
	v_add_f64 v[172:173], v[90:91], v[92:93]
	ds_read_b128 v[90:93], v178 offset:1008
	ds_read_b128 v[94:97], v178 offset:1024
	;; [unrolled: 1-line block ×3, first 2 shown]
	s_waitcnt lgkmcnt(2)
	v_mul_f64 v[102:103], v[90:91], v[154:155]
	s_waitcnt vmcnt(24)
	v_fmac_f64_e32 v[102:103], v[92:93], v[158:159]
	s_waitcnt vmcnt(18) lgkmcnt(1)
	v_mul_f64 v[104:105], v[94:95], v[242:243]
	v_add_f64 v[102:103], v[172:173], v[102:103]
	s_waitcnt vmcnt(16)
	v_fmac_f64_e32 v[104:105], v[96:97], v[246:247]
	v_add_f64 v[102:103], v[102:103], v[104:105]
	v_fma_f64 v[172:173], v[168:169], v[108:109], -v[106:107]
	ds_read_b128 v[106:109], v178 offset:1072
	v_mul_f64 v[104:105], v[98:99], v[164:165]
	v_fmac_f64_e32 v[104:105], v[100:101], v[226:227]
	v_add_f64 v[114:115], v[102:103], v[104:105]
	ds_read_b128 v[102:105], v178 offset:1056
	s_waitcnt vmcnt(10) lgkmcnt(0)
	v_mul_f64 v[116:117], v[102:103], v[250:251]
	s_waitcnt vmcnt(8)
	v_fmac_f64_e32 v[116:117], v[104:105], v[252:253]
	v_add_f64 v[114:115], v[114:115], v[116:117]
	v_mul_f64 v[116:117], v[106:107], v[230:231]
	v_fmac_f64_e32 v[116:117], v[108:109], v[234:235]
	v_add_f64 v[114:115], v[114:115], v[116:117]
	s_waitcnt vmcnt(2)
	v_mul_f64 v[116:117], v[110:111], v[254:255]
	s_waitcnt vmcnt(0)
	v_fmac_f64_e32 v[116:117], v[112:113], v[166:167]
	v_add_f64 v[168:169], v[114:115], v[116:117]
	ds_read_b128 v[114:117], v178 offset:1104
	buffer_load_dword v176, off, s[0:3], 0 offset:32
	buffer_load_dword v177, off, s[0:3], 0 offset:36
	s_waitcnt lgkmcnt(0)
	v_mul_f64 v[174:175], v[114:115], v[244:245]
	v_fmac_f64_e32 v[174:175], v[116:117], v[248:249]
	v_add_f64 v[168:169], v[168:169], v[174:175]
	v_add_f64 v[174:175], v[180:181], 0
	;; [unrolled: 1-line block ×4, first 2 shown]
	buffer_load_dword v172, off, s[0:3], 0 offset:40
	buffer_load_dword v173, off, s[0:3], 0 offset:44
	v_add_f64 v[170:171], v[174:175], v[170:171]
	v_add_f64 v[22:23], v[170:171], v[22:23]
	;; [unrolled: 1-line block ×8, first 2 shown]
	v_mul_f64 v[4:5], v[32:33], v[216:217]
	v_fma_f64 v[4:5], v[30:31], v[220:221], -v[4:5]
	v_add_f64 v[2:3], v[2:3], v[4:5]
	v_mul_f64 v[4:5], v[36:37], v[218:219]
	v_fma_f64 v[4:5], v[34:35], v[222:223], -v[4:5]
	v_add_f64 v[2:3], v[2:3], v[4:5]
	;; [unrolled: 3-line block ×22, first 2 shown]
	s_waitcnt vmcnt(2)
	v_add_f64 v[2:3], v[176:177], -v[2:3]
	s_waitcnt vmcnt(0)
	v_add_f64 v[4:5], v[172:173], -v[168:169]
	buffer_store_dword v3, off, s[0:3], 0 offset:36
	buffer_store_dword v2, off, s[0:3], 0 offset:32
	;; [unrolled: 1-line block ×4, first 2 shown]
	s_and_saveexec_b64 s[4:5], vcc
	s_cbranch_execz .LBB98_223
; %bb.222:
	buffer_load_dword v2, off, s[0:3], 0 offset:16
	buffer_load_dword v3, off, s[0:3], 0 offset:20
	;; [unrolled: 1-line block ×4, first 2 shown]
	s_nop 0
	buffer_store_dword v178, off, s[0:3], 0 offset:16
	buffer_store_dword v178, off, s[0:3], 0 offset:20
	;; [unrolled: 1-line block ×4, first 2 shown]
	s_waitcnt vmcnt(4)
	ds_write_b128 v1, v[2:5]
.LBB98_223:
	s_or_b64 exec, exec, s[4:5]
	s_waitcnt lgkmcnt(0)
	; wave barrier
	s_waitcnt lgkmcnt(0)
	buffer_load_dword v88, off, s[0:3], 0 offset:32
	buffer_load_dword v89, off, s[0:3], 0 offset:36
	;; [unrolled: 1-line block ×26, first 2 shown]
	ds_read_b128 v[84:87], v178 offset:576
	ds_read_b128 v[92:95], v178 offset:592
	;; [unrolled: 1-line block ×6, first 2 shown]
	buffer_load_dword v193, off, s[0:3], 0 offset:116
	buffer_load_dword v192, off, s[0:3], 0 offset:112
	ds_read_b128 v[4:7], v178 offset:672
	buffer_load_dword v195, off, s[0:3], 0 offset:172
	buffer_load_dword v194, off, s[0:3], 0 offset:168
	;; [unrolled: 1-line block ×72, first 2 shown]
	s_and_b64 vcc, exec, s[16:17]
	s_waitcnt vmcnt(62) lgkmcnt(6)
	v_mul_f64 v[8:9], v[84:85], v[90:91]
	v_fmac_f64_e32 v[8:9], v[86:87], v[88:89]
	v_add_f64 v[8:9], v[8:9], 0
	v_mul_f64 v[86:87], v[86:87], v[90:91]
	s_waitcnt lgkmcnt(5)
	v_mul_f64 v[10:11], v[92:93], v[112:113]
	v_fmac_f64_e32 v[10:11], v[94:95], v[100:101]
	s_waitcnt lgkmcnt(4)
	v_mul_f64 v[12:13], v[96:97], v[102:103]
	v_add_f64 v[8:9], v[8:9], v[10:11]
	s_waitcnt lgkmcnt(2)
	v_mul_f64 v[16:17], v[108:109], v[114:115]
	v_fma_f64 v[180:181], v[84:85], v[88:89], -v[86:87]
	v_mul_f64 v[94:95], v[94:95], v[112:113]
	v_mul_f64 v[14:15], v[104:105], v[168:169]
	s_waitcnt lgkmcnt(1)
	v_mul_f64 v[18:19], v[0:1], v[116:117]
	v_fmac_f64_e32 v[12:13], v[98:99], v[172:173]
	v_add_f64 v[8:9], v[8:9], v[12:13]
	v_fmac_f64_e32 v[14:15], v[106:107], v[170:171]
	v_fmac_f64_e32 v[16:17], v[110:111], v[166:167]
	v_add_f64 v[8:9], v[8:9], v[14:15]
	v_add_f64 v[8:9], v[8:9], v[16:17]
	v_mul_f64 v[98:99], v[98:99], v[102:103]
	s_waitcnt lgkmcnt(0)
	v_mul_f64 v[14:15], v[4:5], v[188:189]
	v_fmac_f64_e32 v[14:15], v[6:7], v[190:191]
	v_fmac_f64_e32 v[18:19], v[2:3], v[192:193]
	v_add_f64 v[12:13], v[8:9], v[18:19]
	ds_read_b128 v[8:11], v178 offset:688
	v_add_f64 v[20:21], v[12:13], v[14:15]
	ds_read_b128 v[12:15], v178 offset:704
	ds_read_b128 v[16:19], v178 offset:720
	v_fma_f64 v[172:173], v[96:97], v[172:173], -v[98:99]
	s_waitcnt lgkmcnt(2)
	v_mul_f64 v[22:23], v[8:9], v[198:199]
	v_fmac_f64_e32 v[22:23], v[10:11], v[200:201]
	v_add_f64 v[20:21], v[20:21], v[22:23]
	s_waitcnt lgkmcnt(1)
	v_mul_f64 v[22:23], v[12:13], v[194:195]
	v_fmac_f64_e32 v[22:23], v[14:15], v[196:197]
	v_add_f64 v[24:25], v[20:21], v[22:23]
	ds_read_b128 v[20:23], v178 offset:736
	s_waitcnt vmcnt(58) lgkmcnt(1)
	v_mul_f64 v[26:27], v[16:17], v[206:207]
	s_waitcnt vmcnt(56)
	v_fmac_f64_e32 v[26:27], v[18:19], v[208:209]
	buffer_load_dword v131, off, s[0:3], 0 offset:460
	buffer_load_dword v130, off, s[0:3], 0 offset:456
	buffer_load_dword v133, off, s[0:3], 0 offset:452
	buffer_load_dword v132, off, s[0:3], 0 offset:448
	buffer_load_dword v135, off, s[0:3], 0 offset:444
	buffer_load_dword v134, off, s[0:3], 0 offset:440
	buffer_load_dword v137, off, s[0:3], 0 offset:436
	buffer_load_dword v136, off, s[0:3], 0 offset:432
	v_add_f64 v[28:29], v[24:25], v[26:27]
	ds_read_b128 v[24:27], v178 offset:752
	s_waitcnt lgkmcnt(1)
	v_mul_f64 v[30:31], v[20:21], v[202:203]
	v_fmac_f64_e32 v[30:31], v[22:23], v[204:205]
	v_add_f64 v[32:33], v[28:29], v[30:31]
	ds_read_b128 v[28:31], v178 offset:768
	s_waitcnt vmcnt(58) lgkmcnt(1)
	v_mul_f64 v[34:35], v[24:25], v[214:215]
	s_waitcnt vmcnt(56)
	v_fmac_f64_e32 v[34:35], v[26:27], v[216:217]
	v_add_f64 v[36:37], v[32:33], v[34:35]
	ds_read_b128 v[32:35], v178 offset:784
	s_waitcnt lgkmcnt(1)
	v_mul_f64 v[38:39], v[28:29], v[210:211]
	v_fmac_f64_e32 v[38:39], v[30:31], v[212:213]
	v_add_f64 v[40:41], v[36:37], v[38:39]
	ds_read_b128 v[36:39], v178 offset:800
	s_waitcnt vmcnt(50) lgkmcnt(1)
	v_mul_f64 v[42:43], v[32:33], v[224:225]
	s_waitcnt vmcnt(48)
	v_fmac_f64_e32 v[42:43], v[34:35], v[226:227]
	v_add_f64 v[44:45], v[40:41], v[42:43]
	ds_read_b128 v[40:43], v178 offset:816
	buffer_load_dword v139, off, s[0:3], 0 offset:476
	buffer_load_dword v138, off, s[0:3], 0 offset:472
	;; [unrolled: 1-line block ×4, first 2 shown]
	s_waitcnt lgkmcnt(1)
	v_mul_f64 v[46:47], v[36:37], v[218:219]
	v_fmac_f64_e32 v[46:47], v[38:39], v[220:221]
	v_add_f64 v[48:49], v[44:45], v[46:47]
	ds_read_b128 v[44:47], v178 offset:832
	buffer_load_dword v143, off, s[0:3], 0 offset:492
	buffer_load_dword v142, off, s[0:3], 0 offset:488
	;; [unrolled: 1-line block ×8, first 2 shown]
	s_waitcnt vmcnt(54) lgkmcnt(1)
	v_mul_f64 v[50:51], v[40:41], v[242:243]
	s_waitcnt vmcnt(52)
	v_fmac_f64_e32 v[50:51], v[42:43], v[246:247]
	v_add_f64 v[52:53], v[48:49], v[50:51]
	ds_read_b128 v[48:51], v178 offset:848
	buffer_load_dword v153, off, s[0:3], 0 offset:524
	buffer_load_dword v152, off, s[0:3], 0 offset:520
	;; [unrolled: 1-line block ×12, first 2 shown]
	s_waitcnt lgkmcnt(1)
	v_mul_f64 v[54:55], v[44:45], v[222:223]
	v_fmac_f64_e32 v[54:55], v[46:47], v[228:229]
	v_add_f64 v[56:57], v[52:53], v[54:55]
	ds_read_b128 v[52:55], v178 offset:864
	buffer_load_dword v163, off, s[0:3], 0 offset:572
	buffer_load_dword v162, off, s[0:3], 0 offset:568
	;; [unrolled: 1-line block ×4, first 2 shown]
	s_waitcnt vmcnt(62) lgkmcnt(1)
	v_mul_f64 v[58:59], v[48:49], v[250:251]
	s_waitcnt vmcnt(60)
	v_fmac_f64_e32 v[58:59], v[50:51], v[252:253]
	v_add_f64 v[60:61], v[56:57], v[58:59]
	ds_read_b128 v[56:59], v178 offset:880
	s_waitcnt lgkmcnt(1)
	v_mul_f64 v[62:63], v[52:53], v[230:231]
	v_fmac_f64_e32 v[62:63], v[54:55], v[232:233]
	v_add_f64 v[64:65], v[60:61], v[62:63]
	ds_read_b128 v[60:63], v178 offset:896
	s_waitcnt vmcnt(54) lgkmcnt(1)
	v_mul_f64 v[66:67], v[56:57], v[254:255]
	s_waitcnt vmcnt(52)
	v_fmac_f64_e32 v[66:67], v[58:59], v[120:121]
	v_add_f64 v[68:69], v[64:65], v[66:67]
	ds_read_b128 v[64:67], v178 offset:912
	s_waitcnt lgkmcnt(1)
	v_mul_f64 v[70:71], v[60:61], v[234:235]
	v_fmac_f64_e32 v[70:71], v[62:63], v[236:237]
	v_add_f64 v[76:77], v[68:69], v[70:71]
	ds_read_b128 v[68:71], v178 offset:928
	ds_read_b128 v[72:75], v178 offset:944
	s_waitcnt vmcnt(46) lgkmcnt(2)
	v_mul_f64 v[78:79], v[64:65], v[122:123]
	s_waitcnt vmcnt(44)
	v_fmac_f64_e32 v[78:79], v[66:67], v[124:125]
	v_add_f64 v[76:77], v[76:77], v[78:79]
	s_waitcnt lgkmcnt(1)
	v_mul_f64 v[78:79], v[68:69], v[238:239]
	v_fmac_f64_e32 v[78:79], v[70:71], v[240:241]
	v_add_f64 v[80:81], v[76:77], v[78:79]
	ds_read_b128 v[76:79], v178 offset:960
	s_waitcnt vmcnt(38) lgkmcnt(1)
	v_mul_f64 v[82:83], v[72:73], v[126:127]
	s_waitcnt vmcnt(36)
	v_fmac_f64_e32 v[82:83], v[74:75], v[128:129]
	v_add_f64 v[174:175], v[80:81], v[82:83]
	ds_read_b128 v[80:83], v178 offset:976
	ds_read_b128 v[84:87], v178 offset:992
	s_waitcnt lgkmcnt(2)
	v_mul_f64 v[176:177], v[76:77], v[244:245]
	v_fmac_f64_e32 v[176:177], v[78:79], v[248:249]
	v_add_f64 v[88:89], v[174:175], v[176:177]
	v_fma_f64 v[176:177], v[92:93], v[100:101], -v[94:95]
	ds_read_b128 v[96:99], v178 offset:1040
	v_mul_f64 v[106:107], v[106:107], v[168:169]
	v_fma_f64 v[168:169], v[104:105], v[170:171], -v[106:107]
	ds_read_b128 v[104:107], v178 offset:1072
	ds_read_b128 v[92:95], v178 offset:1024
	v_mul_f64 v[110:111], v[110:111], v[114:115]
	v_fma_f64 v[170:171], v[108:109], v[166:167], -v[110:111]
	v_mul_f64 v[2:3], v[2:3], v[116:117]
	v_fma_f64 v[0:1], v[0:1], v[192:193], -v[2:3]
	s_waitcnt vmcnt(30) lgkmcnt(4)
	v_mul_f64 v[90:91], v[80:81], v[134:135]
	v_mul_f64 v[2:3], v[6:7], v[188:189]
	s_waitcnt vmcnt(28)
	v_fmac_f64_e32 v[90:91], v[82:83], v[136:137]
	v_add_f64 v[88:89], v[88:89], v[90:91]
	s_waitcnt lgkmcnt(3)
	v_mul_f64 v[90:91], v[84:85], v[130:131]
	v_fmac_f64_e32 v[90:91], v[86:87], v[132:133]
	v_add_f64 v[174:175], v[88:89], v[90:91]
	ds_read_b128 v[88:91], v178 offset:1008
	v_fma_f64 v[2:3], v[4:5], v[190:191], -v[2:3]
	ds_read_b128 v[108:111], v178 offset:1088
	s_waitcnt vmcnt(26) lgkmcnt(1)
	v_mul_f64 v[100:101], v[88:89], v[138:139]
	s_waitcnt vmcnt(22)
	v_mul_f64 v[102:103], v[92:93], v[142:143]
	v_fmac_f64_e32 v[100:101], v[90:91], v[140:141]
	v_add_f64 v[100:101], v[174:175], v[100:101]
	s_waitcnt vmcnt(20)
	v_fmac_f64_e32 v[102:103], v[94:95], v[146:147]
	v_add_f64 v[100:101], v[100:101], v[102:103]
	s_waitcnt vmcnt(18)
	v_mul_f64 v[102:103], v[96:97], v[144:145]
	s_waitcnt vmcnt(16)
	v_fmac_f64_e32 v[102:103], v[98:99], v[148:149]
	v_add_f64 v[112:113], v[100:101], v[102:103]
	ds_read_b128 v[100:103], v178 offset:1056
	s_waitcnt vmcnt(9)
	v_mul_f64 v[114:115], v[104:105], v[156:157]
	s_waitcnt vmcnt(7)
	v_fmac_f64_e32 v[114:115], v[106:107], v[160:161]
	s_waitcnt lgkmcnt(0)
	v_mul_f64 v[174:175], v[100:101], v[152:153]
	v_fmac_f64_e32 v[174:175], v[102:103], v[154:155]
	v_add_f64 v[112:113], v[112:113], v[174:175]
	v_add_f64 v[112:113], v[112:113], v[114:115]
	s_waitcnt vmcnt(6)
	v_mul_f64 v[114:115], v[108:109], v[150:151]
	s_waitcnt vmcnt(4)
	v_fmac_f64_e32 v[114:115], v[110:111], v[158:159]
	v_add_f64 v[166:167], v[112:113], v[114:115]
	ds_read_b128 v[112:115], v178 offset:1104
	s_waitcnt vmcnt(2) lgkmcnt(0)
	v_mul_f64 v[174:175], v[112:113], v[162:163]
	s_waitcnt vmcnt(0)
	v_fmac_f64_e32 v[174:175], v[114:115], v[164:165]
	v_add_f64 v[166:167], v[166:167], v[174:175]
	v_add_f64 v[174:175], v[180:181], 0
	;; [unrolled: 1-line block ×3, first 2 shown]
	buffer_load_dword v176, off, s[0:3], 0 offset:16
	buffer_load_dword v177, off, s[0:3], 0 offset:20
	v_add_f64 v[174:175], v[174:175], v[172:173]
	buffer_load_dword v172, off, s[0:3], 0 offset:24
	buffer_load_dword v173, off, s[0:3], 0 offset:28
	v_add_f64 v[168:169], v[174:175], v[168:169]
	v_add_f64 v[168:169], v[168:169], v[170:171]
	;; [unrolled: 1-line block ×4, first 2 shown]
	v_mul_f64 v[2:3], v[10:11], v[198:199]
	v_fma_f64 v[2:3], v[8:9], v[200:201], -v[2:3]
	v_add_f64 v[0:1], v[0:1], v[2:3]
	v_mul_f64 v[2:3], v[14:15], v[194:195]
	v_fma_f64 v[2:3], v[12:13], v[196:197], -v[2:3]
	v_add_f64 v[0:1], v[0:1], v[2:3]
	;; [unrolled: 3-line block ×27, first 2 shown]
	s_waitcnt vmcnt(2)
	v_add_f64 v[0:1], v[176:177], -v[0:1]
	s_waitcnt vmcnt(0)
	v_add_f64 v[2:3], v[172:173], -v[166:167]
	buffer_store_dword v1, off, s[0:3], 0 offset:20
	buffer_store_dword v0, off, s[0:3], 0 offset:16
	;; [unrolled: 1-line block ×4, first 2 shown]
	s_cbranch_vccz .LBB98_293
; %bb.224:
	v_pk_mov_b32 v[0:1], s[10:11], s[10:11] op_sel:[0,1]
	flat_load_dword v0, v[0:1] offset:132
	s_waitcnt vmcnt(0) lgkmcnt(0)
	v_add_u32_e32 v0, -1, v0
	v_cmp_ne_u32_e32 vcc, 33, v0
	s_and_saveexec_b64 s[4:5], vcc
	s_cbranch_execz .LBB98_226
; %bb.225:
	v_mov_b32_e32 v1, 16
	v_accvgpr_read_b32 v9, a65
	v_lshl_add_u32 v0, v0, 4, v1
	buffer_load_dword v1, v9, s[0:3], 0 offen offset:4
	buffer_load_dword v2, v9, s[0:3], 0 offen offset:8
	buffer_load_dword v3, v9, s[0:3], 0 offen offset:12
	buffer_load_dword v4, v0, s[0:3], 0 offen
	buffer_load_dword v5, v0, s[0:3], 0 offen offset:4
	buffer_load_dword v6, v0, s[0:3], 0 offen offset:8
	buffer_load_dword v7, v0, s[0:3], 0 offen offset:12
	buffer_load_dword v8, v9, s[0:3], 0 offen
	s_waitcnt vmcnt(4)
	buffer_store_dword v4, v9, s[0:3], 0 offen
	s_waitcnt vmcnt(4)
	buffer_store_dword v5, v9, s[0:3], 0 offen offset:4
	s_waitcnt vmcnt(4)
	buffer_store_dword v6, v9, s[0:3], 0 offen offset:8
	s_waitcnt vmcnt(4)
	buffer_store_dword v7, v9, s[0:3], 0 offen offset:12
	buffer_store_dword v3, v0, s[0:3], 0 offen offset:12
	buffer_store_dword v2, v0, s[0:3], 0 offen offset:8
	buffer_store_dword v1, v0, s[0:3], 0 offen offset:4
	s_waitcnt vmcnt(7)
	buffer_store_dword v8, v0, s[0:3], 0 offen
.LBB98_226:
	s_or_b64 exec, exec, s[4:5]
	v_pk_mov_b32 v[0:1], s[10:11], s[10:11] op_sel:[0,1]
	flat_load_dword v0, v[0:1] offset:128
	s_waitcnt vmcnt(0) lgkmcnt(0)
	v_add_u32_e32 v0, -1, v0
	v_cmp_ne_u32_e32 vcc, 32, v0
	s_and_saveexec_b64 s[4:5], vcc
	s_cbranch_execz .LBB98_228
; %bb.227:
	v_mov_b32_e32 v1, 16
	v_accvgpr_read_b32 v9, a66
	v_lshl_add_u32 v0, v0, 4, v1
	buffer_load_dword v1, v9, s[0:3], 0 offen offset:4
	buffer_load_dword v2, v9, s[0:3], 0 offen offset:8
	buffer_load_dword v3, v9, s[0:3], 0 offen offset:12
	buffer_load_dword v4, v0, s[0:3], 0 offen
	buffer_load_dword v5, v0, s[0:3], 0 offen offset:4
	buffer_load_dword v6, v0, s[0:3], 0 offen offset:8
	buffer_load_dword v7, v0, s[0:3], 0 offen offset:12
	buffer_load_dword v8, v9, s[0:3], 0 offen
	s_waitcnt vmcnt(4)
	buffer_store_dword v4, v9, s[0:3], 0 offen
	s_waitcnt vmcnt(4)
	buffer_store_dword v5, v9, s[0:3], 0 offen offset:4
	s_waitcnt vmcnt(4)
	buffer_store_dword v6, v9, s[0:3], 0 offen offset:8
	s_waitcnt vmcnt(4)
	buffer_store_dword v7, v9, s[0:3], 0 offen offset:12
	buffer_store_dword v3, v0, s[0:3], 0 offen offset:12
	buffer_store_dword v2, v0, s[0:3], 0 offen offset:8
	buffer_store_dword v1, v0, s[0:3], 0 offen offset:4
	s_waitcnt vmcnt(7)
	buffer_store_dword v8, v0, s[0:3], 0 offen
.LBB98_228:
	s_or_b64 exec, exec, s[4:5]
	;; [unrolled: 34-line block ×33, first 2 shown]
	v_pk_mov_b32 v[0:1], s[10:11], s[10:11] op_sel:[0,1]
	flat_load_dword v0, v[0:1]
	s_waitcnt vmcnt(0) lgkmcnt(0)
	v_add_u32_e32 v0, -1, v0
	v_cmp_ne_u32_e32 vcc, 0, v0
	s_and_saveexec_b64 s[4:5], vcc
	s_cbranch_execz .LBB98_292
; %bb.291:
	v_mov_b32_e32 v1, 16
	v_lshl_add_u32 v0, v0, 4, v1
	buffer_load_dword v1, v0, s[0:3], 0 offen
	buffer_load_dword v2, v0, s[0:3], 0 offen offset:4
	buffer_load_dword v3, v0, s[0:3], 0 offen offset:8
	;; [unrolled: 1-line block ×3, first 2 shown]
	buffer_load_dword v5, off, s[0:3], 0 offset:28
	buffer_load_dword v6, off, s[0:3], 0 offset:24
	;; [unrolled: 1-line block ×4, first 2 shown]
	s_waitcnt vmcnt(7)
	buffer_store_dword v1, off, s[0:3], 0 offset:16
	s_waitcnt vmcnt(7)
	buffer_store_dword v2, off, s[0:3], 0 offset:20
	;; [unrolled: 2-line block ×4, first 2 shown]
	s_waitcnt vmcnt(7)
	buffer_store_dword v5, v0, s[0:3], 0 offen offset:12
	s_waitcnt vmcnt(7)
	buffer_store_dword v6, v0, s[0:3], 0 offen offset:8
	;; [unrolled: 2-line block ×3, first 2 shown]
	s_waitcnt vmcnt(7)
	buffer_store_dword v8, v0, s[0:3], 0 offen
.LBB98_292:
	s_or_b64 exec, exec, s[4:5]
.LBB98_293:
	buffer_load_dword v0, off, s[0:3], 0 offset:16
	buffer_load_dword v1, off, s[0:3], 0 offset:20
	;; [unrolled: 1-line block ×4, first 2 shown]
	v_accvgpr_read_b32 v20, a96
	buffer_load_dword v4, v20, s[0:3], 0 offen
	buffer_load_dword v5, v20, s[0:3], 0 offen offset:4
	buffer_load_dword v6, v20, s[0:3], 0 offen offset:8
	;; [unrolled: 1-line block ×3, first 2 shown]
	v_accvgpr_read_b32 v16, a95
	buffer_load_dword v9, v16, s[0:3], 0 offen offset:4
	buffer_load_dword v10, v16, s[0:3], 0 offen offset:8
	;; [unrolled: 1-line block ×3, first 2 shown]
	v_accvgpr_read_b32 v21, a97
	buffer_load_dword v12, v21, s[0:3], 0 offen
	buffer_load_dword v13, v21, s[0:3], 0 offen offset:4
	buffer_load_dword v14, v21, s[0:3], 0 offen offset:8
	buffer_load_dword v8, v16, s[0:3], 0 offen
	buffer_load_dword v15, v21, s[0:3], 0 offen offset:12
	v_accvgpr_read_b32 v28, a93
	buffer_load_dword v17, v28, s[0:3], 0 offen offset:4
	buffer_load_dword v18, v28, s[0:3], 0 offen offset:8
	;; [unrolled: 1-line block ×3, first 2 shown]
	v_accvgpr_read_b32 v29, a94
                                        ; kill: killed $vgpr20
                                        ; kill: killed $vgpr21
                                        ; kill: killed $vgpr16
	buffer_load_dword v20, v29, s[0:3], 0 offen
	buffer_load_dword v21, v29, s[0:3], 0 offen offset:4
	buffer_load_dword v22, v29, s[0:3], 0 offen offset:8
	buffer_load_dword v16, v28, s[0:3], 0 offen
	buffer_load_dword v23, v29, s[0:3], 0 offen offset:12
	v_accvgpr_read_b32 v24, a92
	buffer_load_dword v25, v24, s[0:3], 0 offen offset:4
	buffer_load_dword v26, v24, s[0:3], 0 offen offset:8
	;; [unrolled: 1-line block ×3, first 2 shown]
	v_accvgpr_read_b32 v31, a91
                                        ; kill: killed $vgpr29
                                        ; kill: killed $vgpr28
	buffer_load_dword v28, v31, s[0:3], 0 offen
	buffer_load_dword v29, v31, s[0:3], 0 offen offset:4
	buffer_load_dword v30, v31, s[0:3], 0 offen offset:8
	s_nop 0
	buffer_load_dword v24, v24, s[0:3], 0 offen
	s_nop 0
	buffer_load_dword v31, v31, s[0:3], 0 offen offset:12
	v_accvgpr_read_b32 v32, a90
	buffer_load_dword v33, v32, s[0:3], 0 offen offset:4
	buffer_load_dword v34, v32, s[0:3], 0 offen offset:8
	buffer_load_dword v35, v32, s[0:3], 0 offen offset:12
	v_accvgpr_read_b32 v39, a89
	buffer_load_dword v36, v39, s[0:3], 0 offen
	buffer_load_dword v37, v39, s[0:3], 0 offen offset:4
	buffer_load_dword v38, v39, s[0:3], 0 offen offset:8
	s_nop 0
	buffer_load_dword v32, v32, s[0:3], 0 offen
	s_nop 0
	buffer_load_dword v39, v39, s[0:3], 0 offen offset:12
	v_accvgpr_read_b32 v40, a88
	buffer_load_dword v41, v40, s[0:3], 0 offen offset:4
	buffer_load_dword v42, v40, s[0:3], 0 offen offset:8
	buffer_load_dword v43, v40, s[0:3], 0 offen offset:12
	v_accvgpr_read_b32 v47, a87
	;; [unrolled: 12-line block ×12, first 2 shown]
	buffer_load_dword v128, v116, s[0:3], 0 offen
	buffer_load_dword v129, v116, s[0:3], 0 offen offset:4
	buffer_load_dword v130, v116, s[0:3], 0 offen offset:8
	buffer_load_dword v124, v117, s[0:3], 0 offen
	buffer_load_dword v131, v116, s[0:3], 0 offen offset:12
	v_accvgpr_read_b32 v117, a66
	v_accvgpr_read_b32 v116, a65
	buffer_load_dword v133, v117, s[0:3], 0 offen offset:4
	buffer_load_dword v134, v117, s[0:3], 0 offen offset:8
	;; [unrolled: 1-line block ×3, first 2 shown]
	buffer_load_dword v136, v116, s[0:3], 0 offen
	buffer_load_dword v137, v116, s[0:3], 0 offen offset:4
	buffer_load_dword v138, v116, s[0:3], 0 offen offset:8
	buffer_load_dword v132, v117, s[0:3], 0 offen
	buffer_load_dword v139, v116, s[0:3], 0 offen offset:12
	v_accvgpr_read_b32 v116, a64
	buffer_load_dword v140, v116, s[0:3], 0 offen
	buffer_load_dword v141, v116, s[0:3], 0 offen offset:4
	buffer_load_dword v142, v116, s[0:3], 0 offen offset:8
	;; [unrolled: 1-line block ×3, first 2 shown]
	s_waitcnt vmcnt(62)
	global_store_dwordx4 v[118:119], v[0:3], off
	s_nop 0
	v_accvgpr_read_b32 v0, a0
	v_accvgpr_read_b32 v1, a1
	global_store_dwordx4 v[0:1], v[4:7], off
	v_accvgpr_read_b32 v0, a2
	v_accvgpr_read_b32 v1, a3
	global_store_dwordx4 v[0:1], v[8:11], off
	;; [unrolled: 3-line block ×17, first 2 shown]
	v_accvgpr_read_b32 v0, a34
	v_accvgpr_read_b32 v1, a35
	s_waitcnt vmcnt(62)
	global_store_dwordx4 v[0:1], v[72:75], off
	v_accvgpr_read_b32 v0, a36
	v_accvgpr_read_b32 v1, a37
	global_store_dwordx4 v[0:1], v[76:79], off
	v_accvgpr_read_b32 v0, a38
	v_accvgpr_read_b32 v1, a39
	;; [unrolled: 3-line block ×6, first 2 shown]
	s_waitcnt vmcnt(61)
	global_store_dwordx4 v[0:1], v[96:99], off
	v_accvgpr_read_b32 v0, a48
	v_accvgpr_read_b32 v1, a49
	s_waitcnt vmcnt(61)
	global_store_dwordx4 v[0:1], v[100:103], off
	v_accvgpr_read_b32 v0, a50
	v_accvgpr_read_b32 v1, a51
	;; [unrolled: 4-line block ×8, first 2 shown]
	s_waitcnt vmcnt(37)
	global_store_dwordx4 v[0:1], v[132:135], off
	s_waitcnt vmcnt(37)
	global_store_dwordx4 v[184:185], v[136:139], off
	;; [unrolled: 2-line block ×3, first 2 shown]
	s_endpgm
	.section	.rodata,"a",@progbits
	.p2align	6, 0x0
	.amdhsa_kernel _ZN9rocsolver6v33100L18getri_kernel_smallILi35E19rocblas_complex_numIdEPKPS3_EEvT1_iilPiilS8_bb
		.amdhsa_group_segment_fixed_size 1128
		.amdhsa_private_segment_fixed_size 592
		.amdhsa_kernarg_size 60
		.amdhsa_user_sgpr_count 8
		.amdhsa_user_sgpr_private_segment_buffer 1
		.amdhsa_user_sgpr_dispatch_ptr 0
		.amdhsa_user_sgpr_queue_ptr 0
		.amdhsa_user_sgpr_kernarg_segment_ptr 1
		.amdhsa_user_sgpr_dispatch_id 0
		.amdhsa_user_sgpr_flat_scratch_init 1
		.amdhsa_user_sgpr_kernarg_preload_length 0
		.amdhsa_user_sgpr_kernarg_preload_offset 0
		.amdhsa_user_sgpr_private_segment_size 0
		.amdhsa_uses_dynamic_stack 0
		.amdhsa_system_sgpr_private_segment_wavefront_offset 1
		.amdhsa_system_sgpr_workgroup_id_x 1
		.amdhsa_system_sgpr_workgroup_id_y 0
		.amdhsa_system_sgpr_workgroup_id_z 0
		.amdhsa_system_sgpr_workgroup_info 0
		.amdhsa_system_vgpr_workitem_id 0
		.amdhsa_next_free_vgpr 354
		.amdhsa_next_free_sgpr 22
		.amdhsa_accum_offset 256
		.amdhsa_reserve_vcc 1
		.amdhsa_reserve_flat_scratch 1
		.amdhsa_float_round_mode_32 0
		.amdhsa_float_round_mode_16_64 0
		.amdhsa_float_denorm_mode_32 3
		.amdhsa_float_denorm_mode_16_64 3
		.amdhsa_dx10_clamp 1
		.amdhsa_ieee_mode 1
		.amdhsa_fp16_overflow 0
		.amdhsa_tg_split 0
		.amdhsa_exception_fp_ieee_invalid_op 0
		.amdhsa_exception_fp_denorm_src 0
		.amdhsa_exception_fp_ieee_div_zero 0
		.amdhsa_exception_fp_ieee_overflow 0
		.amdhsa_exception_fp_ieee_underflow 0
		.amdhsa_exception_fp_ieee_inexact 0
		.amdhsa_exception_int_div_zero 0
	.end_amdhsa_kernel
	.section	.text._ZN9rocsolver6v33100L18getri_kernel_smallILi35E19rocblas_complex_numIdEPKPS3_EEvT1_iilPiilS8_bb,"axG",@progbits,_ZN9rocsolver6v33100L18getri_kernel_smallILi35E19rocblas_complex_numIdEPKPS3_EEvT1_iilPiilS8_bb,comdat
.Lfunc_end98:
	.size	_ZN9rocsolver6v33100L18getri_kernel_smallILi35E19rocblas_complex_numIdEPKPS3_EEvT1_iilPiilS8_bb, .Lfunc_end98-_ZN9rocsolver6v33100L18getri_kernel_smallILi35E19rocblas_complex_numIdEPKPS3_EEvT1_iilPiilS8_bb
                                        ; -- End function
	.section	.AMDGPU.csdata,"",@progbits
; Kernel info:
; codeLenInByte = 85188
; NumSgprs: 28
; NumVgprs: 256
; NumAgprs: 98
; TotalNumVgprs: 354
; ScratchSize: 592
; MemoryBound: 0
; FloatMode: 240
; IeeeMode: 1
; LDSByteSize: 1128 bytes/workgroup (compile time only)
; SGPRBlocks: 3
; VGPRBlocks: 44
; NumSGPRsForWavesPerEU: 28
; NumVGPRsForWavesPerEU: 354
; AccumOffset: 256
; Occupancy: 1
; WaveLimiterHint : 1
; COMPUTE_PGM_RSRC2:SCRATCH_EN: 1
; COMPUTE_PGM_RSRC2:USER_SGPR: 8
; COMPUTE_PGM_RSRC2:TRAP_HANDLER: 0
; COMPUTE_PGM_RSRC2:TGID_X_EN: 1
; COMPUTE_PGM_RSRC2:TGID_Y_EN: 0
; COMPUTE_PGM_RSRC2:TGID_Z_EN: 0
; COMPUTE_PGM_RSRC2:TIDIG_COMP_CNT: 0
; COMPUTE_PGM_RSRC3_GFX90A:ACCUM_OFFSET: 63
; COMPUTE_PGM_RSRC3_GFX90A:TG_SPLIT: 0
	.section	.text._ZN9rocsolver6v33100L18getri_kernel_smallILi36E19rocblas_complex_numIdEPKPS3_EEvT1_iilPiilS8_bb,"axG",@progbits,_ZN9rocsolver6v33100L18getri_kernel_smallILi36E19rocblas_complex_numIdEPKPS3_EEvT1_iilPiilS8_bb,comdat
	.globl	_ZN9rocsolver6v33100L18getri_kernel_smallILi36E19rocblas_complex_numIdEPKPS3_EEvT1_iilPiilS8_bb ; -- Begin function _ZN9rocsolver6v33100L18getri_kernel_smallILi36E19rocblas_complex_numIdEPKPS3_EEvT1_iilPiilS8_bb
	.p2align	8
	.type	_ZN9rocsolver6v33100L18getri_kernel_smallILi36E19rocblas_complex_numIdEPKPS3_EEvT1_iilPiilS8_bb,@function
_ZN9rocsolver6v33100L18getri_kernel_smallILi36E19rocblas_complex_numIdEPKPS3_EEvT1_iilPiilS8_bb: ; @_ZN9rocsolver6v33100L18getri_kernel_smallILi36E19rocblas_complex_numIdEPKPS3_EEvT1_iilPiilS8_bb
; %bb.0:
	s_add_u32 flat_scratch_lo, s6, s9
	s_addc_u32 flat_scratch_hi, s7, 0
	s_add_u32 s0, s0, s9
	s_addc_u32 s1, s1, 0
	v_cmp_gt_u32_e32 vcc, 36, v0
	s_and_saveexec_b64 s[6:7], vcc
	s_cbranch_execz .LBB99_158
; %bb.1:
	s_load_dword s18, s[4:5], 0x38
	s_load_dwordx2 s[6:7], s[4:5], 0x0
	s_load_dwordx4 s[12:15], s[4:5], 0x28
	s_waitcnt lgkmcnt(0)
	s_bitcmp1_b32 s18, 8
	s_cselect_b64 s[16:17], -1, 0
	s_ashr_i32 s9, s8, 31
	s_lshl_b64 s[10:11], s[8:9], 3
	s_add_u32 s6, s6, s10
	s_addc_u32 s7, s7, s11
	s_load_dwordx2 s[6:7], s[6:7], 0x0
	s_bfe_u32 s10, s18, 0x10008
	s_cmp_eq_u32 s10, 0
                                        ; implicit-def: $sgpr10_sgpr11
	s_cbranch_scc1 .LBB99_3
; %bb.2:
	s_load_dword s10, s[4:5], 0x20
	s_load_dwordx2 s[20:21], s[4:5], 0x18
	s_mul_i32 s11, s8, s13
	s_mul_hi_u32 s13, s8, s12
	s_add_i32 s13, s13, s11
	s_mul_i32 s19, s9, s12
	s_add_i32 s13, s13, s19
	s_mul_i32 s12, s8, s12
	s_waitcnt lgkmcnt(0)
	s_ashr_i32 s11, s10, 31
	s_lshl_b64 s[12:13], s[12:13], 2
	s_add_u32 s12, s20, s12
	s_addc_u32 s13, s21, s13
	s_lshl_b64 s[10:11], s[10:11], 2
	s_add_u32 s10, s12, s10
	s_addc_u32 s11, s13, s11
.LBB99_3:
	s_load_dwordx2 s[4:5], s[4:5], 0x8
	v_lshlrev_b32_e32 v1, 4, v0
	s_waitcnt lgkmcnt(0)
	s_ashr_i32 s13, s4, 31
	s_mov_b32 s12, s4
	s_lshl_b64 s[12:13], s[12:13], 4
	s_add_u32 s6, s6, s12
	s_addc_u32 s7, s7, s13
	s_add_i32 s4, s5, s5
	v_add_u32_e32 v2, s4, v0
	v_ashrrev_i32_e32 v3, 31, v2
	v_add_u32_e32 v4, s5, v2
	v_lshlrev_b64 v[2:3], 4, v[2:3]
	v_mov_b32_e32 v5, s7
	v_add_co_u32_e32 v22, vcc, s6, v2
	v_addc_co_u32_e32 v23, vcc, v5, v3, vcc
	global_load_dwordx4 v[14:17], v1, s[6:7]
	v_mov_b32_e32 v2, s7
	v_add_co_u32_e32 v120, vcc, s6, v1
	s_mov_b32 s12, s5
	s_ashr_i32 s13, s5, 31
	v_addc_co_u32_e32 v121, vcc, 0, v2, vcc
	s_lshl_b64 s[12:13], s[12:13], 4
	v_mov_b32_e32 v2, s13
	v_add_co_u32_e32 v18, vcc, s12, v120
	v_addc_co_u32_e32 v19, vcc, v121, v2, vcc
	v_accvgpr_write_b32 a2, v18
	v_accvgpr_write_b32 a3, v19
	global_load_dwordx4 v[18:21], v[18:19], off
	v_accvgpr_write_b32 a0, v22
	v_accvgpr_write_b32 a1, v23
	global_load_dwordx4 v[22:25], v[22:23], off
	v_ashrrev_i32_e32 v5, 31, v4
	v_lshlrev_b64 v[2:3], 4, v[4:5]
	v_add_u32_e32 v6, s5, v4
	v_mov_b32_e32 v4, s7
	v_add_co_u32_e32 v26, vcc, s6, v2
	v_addc_co_u32_e32 v27, vcc, v4, v3, vcc
	v_accvgpr_write_b32 a4, v26
	v_ashrrev_i32_e32 v7, 31, v6
	v_accvgpr_write_b32 a5, v27
	global_load_dwordx4 v[26:29], v[26:27], off
	v_lshlrev_b64 v[2:3], 4, v[6:7]
	v_add_co_u32_e32 v2, vcc, s6, v2
	v_add_u32_e32 v8, s5, v6
	v_addc_co_u32_e32 v3, vcc, v4, v3, vcc
	v_accvgpr_write_b32 a7, v3
	global_load_dwordx4 v[30:33], v[2:3], off
	v_ashrrev_i32_e32 v9, 31, v8
	v_accvgpr_write_b32 a6, v2
	v_lshlrev_b64 v[2:3], 4, v[8:9]
	v_add_u32_e32 v34, s5, v8
	v_add_co_u32_e32 v6, vcc, s6, v2
	v_addc_co_u32_e32 v7, vcc, v4, v3, vcc
	v_ashrrev_i32_e32 v35, 31, v34
	v_add_u32_e32 v42, s5, v34
	v_lshlrev_b64 v[2:3], 4, v[34:35]
	global_load_dwordx4 v[34:37], v[6:7], off
	v_add_co_u32_e32 v2, vcc, s6, v2
	v_addc_co_u32_e32 v3, vcc, v4, v3, vcc
	global_load_dwordx4 v[38:41], v[2:3], off
	v_accvgpr_write_b32 a11, v3
	v_ashrrev_i32_e32 v43, 31, v42
	v_accvgpr_write_b32 a9, v7
	v_accvgpr_write_b32 a10, v2
	v_lshlrev_b64 v[2:3], 4, v[42:43]
	v_add_u32_e32 v44, s5, v42
	v_accvgpr_write_b32 a8, v6
	v_add_co_u32_e32 v6, vcc, s6, v2
	v_addc_co_u32_e32 v7, vcc, v4, v3, vcc
	v_ashrrev_i32_e32 v45, 31, v44
	v_add_u32_e32 v50, s5, v44
	v_lshlrev_b64 v[2:3], 4, v[44:45]
	global_load_dwordx4 v[42:45], v[6:7], off
	v_add_co_u32_e32 v2, vcc, s6, v2
	v_addc_co_u32_e32 v3, vcc, v4, v3, vcc
	global_load_dwordx4 v[46:49], v[2:3], off
	v_accvgpr_write_b32 a15, v3
	v_ashrrev_i32_e32 v51, 31, v50
	v_accvgpr_write_b32 a13, v7
	v_accvgpr_write_b32 a14, v2
	v_lshlrev_b64 v[2:3], 4, v[50:51]
	v_add_u32_e32 v52, s5, v50
	v_accvgpr_write_b32 a12, v6
	;; [unrolled: 16-line block ×4, first 2 shown]
	v_add_co_u32_e32 v6, vcc, s6, v2
	v_addc_co_u32_e32 v7, vcc, v4, v3, vcc
	v_ashrrev_i32_e32 v69, 31, v68
	v_add_u32_e32 v70, s5, v68
	v_lshlrev_b64 v[2:3], 4, v[68:69]
	global_load_dwordx4 v[66:69], v[6:7], off
	v_add_co_u32_e32 v2, vcc, s6, v2
	v_add_u32_e32 v72, s5, v70
	v_accvgpr_write_b32 a25, v7
	v_addc_co_u32_e32 v3, vcc, v4, v3, vcc
	v_add_u32_e32 v74, s5, v72
	v_accvgpr_write_b32 a24, v6
	global_load_dwordx4 v[6:9], v[2:3], off
	v_add_u32_e32 v76, s5, v74
	v_add_u32_e32 v12, s5, v76
	;; [unrolled: 1-line block ×16, first 2 shown]
	v_accvgpr_write_b32 a29, v3
	v_add_u32_e32 v104, s5, v102
	v_accvgpr_write_b32 a28, v2
	v_add_u32_e32 v2, s5, v104
	v_ashrrev_i32_e32 v3, 31, v2
	v_lshlrev_b64 v[2:3], 4, v[2:3]
	v_add_co_u32_e32 v2, vcc, s6, v2
	v_addc_co_u32_e32 v3, vcc, v4, v3, vcc
	v_accvgpr_write_b32 a27, v3
	v_ashrrev_i32_e32 v71, 31, v70
	v_accvgpr_write_b32 a26, v2
	global_load_dwordx4 v[2:5], v[2:3], off
	s_waitcnt vmcnt(15)
	buffer_store_dword v17, off, s[0:3], 0 offset:28
	buffer_store_dword v16, off, s[0:3], 0 offset:24
	buffer_store_dword v15, off, s[0:3], 0 offset:20
	buffer_store_dword v14, off, s[0:3], 0 offset:16
	s_waitcnt vmcnt(18)
	buffer_store_dword v21, off, s[0:3], 0 offset:44
	buffer_store_dword v20, off, s[0:3], 0 offset:40
	buffer_store_dword v19, off, s[0:3], 0 offset:36
	buffer_store_dword v18, off, s[0:3], 0 offset:32
	s_waitcnt vmcnt(21)
	buffer_store_dword v25, off, s[0:3], 0 offset:60
	buffer_store_dword v24, off, s[0:3], 0 offset:56
	buffer_store_dword v23, off, s[0:3], 0 offset:52
	buffer_store_dword v22, off, s[0:3], 0 offset:48
	s_waitcnt vmcnt(24)
	buffer_store_dword v29, off, s[0:3], 0 offset:76
	buffer_store_dword v28, off, s[0:3], 0 offset:72
	buffer_store_dword v27, off, s[0:3], 0 offset:68
	buffer_store_dword v26, off, s[0:3], 0 offset:64
	s_waitcnt vmcnt(27)
	buffer_store_dword v33, off, s[0:3], 0 offset:92
	buffer_store_dword v32, off, s[0:3], 0 offset:88
	buffer_store_dword v31, off, s[0:3], 0 offset:84
	buffer_store_dword v30, off, s[0:3], 0 offset:80
	s_waitcnt vmcnt(30)
	buffer_store_dword v37, off, s[0:3], 0 offset:108
	buffer_store_dword v36, off, s[0:3], 0 offset:104
	buffer_store_dword v35, off, s[0:3], 0 offset:100
	buffer_store_dword v34, off, s[0:3], 0 offset:96
	s_waitcnt vmcnt(33)
	buffer_store_dword v41, off, s[0:3], 0 offset:124
	buffer_store_dword v40, off, s[0:3], 0 offset:120
	buffer_store_dword v39, off, s[0:3], 0 offset:116
	buffer_store_dword v38, off, s[0:3], 0 offset:112
	s_waitcnt vmcnt(36)
	buffer_store_dword v45, off, s[0:3], 0 offset:140
	buffer_store_dword v44, off, s[0:3], 0 offset:136
	buffer_store_dword v43, off, s[0:3], 0 offset:132
	buffer_store_dword v42, off, s[0:3], 0 offset:128
	s_waitcnt vmcnt(39)
	buffer_store_dword v49, off, s[0:3], 0 offset:156
	buffer_store_dword v48, off, s[0:3], 0 offset:152
	buffer_store_dword v47, off, s[0:3], 0 offset:148
	buffer_store_dword v46, off, s[0:3], 0 offset:144
	s_waitcnt vmcnt(42)
	buffer_store_dword v50, off, s[0:3], 0 offset:160
	buffer_store_dword v51, off, s[0:3], 0 offset:164
	buffer_store_dword v52, off, s[0:3], 0 offset:168
	buffer_store_dword v53, off, s[0:3], 0 offset:172
	s_waitcnt vmcnt(45)
	buffer_store_dword v54, off, s[0:3], 0 offset:176
	buffer_store_dword v55, off, s[0:3], 0 offset:180
	buffer_store_dword v56, off, s[0:3], 0 offset:184
	buffer_store_dword v57, off, s[0:3], 0 offset:188
	s_waitcnt vmcnt(48)
	buffer_store_dword v58, off, s[0:3], 0 offset:192
	buffer_store_dword v59, off, s[0:3], 0 offset:196
	buffer_store_dword v60, off, s[0:3], 0 offset:200
	buffer_store_dword v61, off, s[0:3], 0 offset:204
	s_waitcnt vmcnt(51)
	buffer_store_dword v65, off, s[0:3], 0 offset:220
	buffer_store_dword v64, off, s[0:3], 0 offset:216
	buffer_store_dword v63, off, s[0:3], 0 offset:212
	buffer_store_dword v62, off, s[0:3], 0 offset:208
	s_waitcnt vmcnt(54)
	buffer_store_dword v69, off, s[0:3], 0 offset:236
	buffer_store_dword v68, off, s[0:3], 0 offset:232
	buffer_store_dword v67, off, s[0:3], 0 offset:228
	buffer_store_dword v66, off, s[0:3], 0 offset:224
	s_waitcnt vmcnt(57)
	buffer_store_dword v9, off, s[0:3], 0 offset:252
	v_lshlrev_b64 v[14:15], 4, v[70:71]
	v_mov_b32_e32 v9, s7
	v_add_co_u32_e32 v16, vcc, s6, v14
	v_ashrrev_i32_e32 v73, 31, v72
	v_addc_co_u32_e32 v17, vcc, v9, v15, vcc
	v_lshlrev_b64 v[14:15], 4, v[72:73]
	v_add_co_u32_e32 v18, vcc, s6, v14
	v_accvgpr_write_b32 a31, v17
	v_addc_co_u32_e32 v19, vcc, v9, v15, vcc
	v_accvgpr_write_b32 a30, v16
	global_load_dwordx4 v[14:17], v[16:17], off
	v_accvgpr_write_b32 a33, v19
	v_ashrrev_i32_e32 v75, 31, v74
	v_accvgpr_write_b32 a32, v18
	global_load_dwordx4 v[18:21], v[18:19], off
	v_lshlrev_b64 v[22:23], 4, v[74:75]
	v_add_co_u32_e32 v24, vcc, s6, v22
	v_ashrrev_i32_e32 v77, 31, v76
	v_addc_co_u32_e32 v25, vcc, v9, v23, vcc
	v_lshlrev_b64 v[22:23], 4, v[76:77]
	v_add_co_u32_e32 v26, vcc, s6, v22
	v_accvgpr_write_b32 a35, v25
	v_addc_co_u32_e32 v27, vcc, v9, v23, vcc
	v_accvgpr_write_b32 a34, v24
	global_load_dwordx4 v[22:25], v[24:25], off
	v_accvgpr_write_b32 a37, v27
	v_ashrrev_i32_e32 v13, 31, v12
	v_accvgpr_write_b32 a36, v26
	global_load_dwordx4 v[26:29], v[26:27], off
	v_lshlrev_b64 v[12:13], 4, v[12:13]
	v_add_co_u32_e32 v12, vcc, s6, v12
	v_ashrrev_i32_e32 v11, 31, v10
	v_addc_co_u32_e32 v13, vcc, v9, v13, vcc
	v_lshlrev_b64 v[10:11], 4, v[10:11]
	v_add_co_u32_e32 v30, vcc, s6, v10
	v_accvgpr_write_b32 a39, v13
	v_addc_co_u32_e32 v31, vcc, v9, v11, vcc
	v_accvgpr_write_b32 a38, v12
	global_load_dwordx4 v[10:13], v[12:13], off
	v_accvgpr_write_b32 a41, v31
	v_ashrrev_i32_e32 v79, 31, v78
	v_accvgpr_write_b32 a40, v30
	global_load_dwordx4 v[30:33], v[30:31], off
	v_lshlrev_b64 v[34:35], 4, v[78:79]
	v_add_co_u32_e32 v36, vcc, s6, v34
	v_ashrrev_i32_e32 v81, 31, v80
	v_addc_co_u32_e32 v37, vcc, v9, v35, vcc
	v_lshlrev_b64 v[34:35], 4, v[80:81]
	v_add_co_u32_e32 v38, vcc, s6, v34
	v_accvgpr_write_b32 a43, v37
	v_addc_co_u32_e32 v39, vcc, v9, v35, vcc
	v_accvgpr_write_b32 a42, v36
	global_load_dwordx4 v[34:37], v[36:37], off
	v_accvgpr_write_b32 a45, v39
	v_ashrrev_i32_e32 v83, 31, v82
	v_accvgpr_write_b32 a44, v38
	global_load_dwordx4 v[38:41], v[38:39], off
	v_lshlrev_b64 v[42:43], 4, v[82:83]
	v_add_co_u32_e32 v44, vcc, s6, v42
	v_ashrrev_i32_e32 v85, 31, v84
	v_addc_co_u32_e32 v45, vcc, v9, v43, vcc
	v_lshlrev_b64 v[42:43], 4, v[84:85]
	v_add_co_u32_e32 v46, vcc, s6, v42
	v_accvgpr_write_b32 a47, v45
	v_addc_co_u32_e32 v47, vcc, v9, v43, vcc
	v_accvgpr_write_b32 a46, v44
	global_load_dwordx4 v[42:45], v[44:45], off
	v_accvgpr_write_b32 a49, v47
	v_ashrrev_i32_e32 v87, 31, v86
	v_accvgpr_write_b32 a48, v46
	global_load_dwordx4 v[46:49], v[46:47], off
	v_lshlrev_b64 v[50:51], 4, v[86:87]
	v_add_co_u32_e32 v52, vcc, s6, v50
	v_ashrrev_i32_e32 v89, 31, v88
	v_addc_co_u32_e32 v53, vcc, v9, v51, vcc
	v_lshlrev_b64 v[50:51], 4, v[88:89]
	v_add_co_u32_e32 v54, vcc, s6, v50
	v_accvgpr_write_b32 a50, v52
	v_addc_co_u32_e32 v55, vcc, v9, v51, vcc
	v_accvgpr_write_b32 a51, v53
	global_load_dwordx4 v[50:53], v[52:53], off
	v_accvgpr_write_b32 a52, v54
	v_ashrrev_i32_e32 v91, 31, v90
	v_accvgpr_write_b32 a53, v55
	global_load_dwordx4 v[54:57], v[54:55], off
	v_lshlrev_b64 v[58:59], 4, v[90:91]
	v_add_co_u32_e32 v60, vcc, s6, v58
	v_ashrrev_i32_e32 v93, 31, v92
	v_addc_co_u32_e32 v61, vcc, v9, v59, vcc
	v_lshlrev_b64 v[58:59], 4, v[92:93]
	v_add_co_u32_e32 v62, vcc, s6, v58
	v_accvgpr_write_b32 a54, v60
	v_addc_co_u32_e32 v63, vcc, v9, v59, vcc
	v_accvgpr_write_b32 a55, v61
	global_load_dwordx4 v[58:61], v[60:61], off
	v_accvgpr_write_b32 a56, v62
	v_ashrrev_i32_e32 v95, 31, v94
	v_accvgpr_write_b32 a57, v63
	global_load_dwordx4 v[62:65], v[62:63], off
	v_lshlrev_b64 v[66:67], 4, v[94:95]
	v_add_co_u32_e32 v68, vcc, s6, v66
	v_ashrrev_i32_e32 v97, 31, v96
	v_addc_co_u32_e32 v69, vcc, v9, v67, vcc
	v_lshlrev_b64 v[66:67], 4, v[96:97]
	v_add_co_u32_e32 v70, vcc, s6, v66
	v_accvgpr_write_b32 a58, v68
	v_addc_co_u32_e32 v71, vcc, v9, v67, vcc
	v_accvgpr_write_b32 a59, v69
	global_load_dwordx4 v[66:69], v[68:69], off
	v_accvgpr_write_b32 a60, v70
	v_ashrrev_i32_e32 v99, 31, v98
	v_accvgpr_write_b32 a61, v71
	global_load_dwordx4 v[70:73], v[70:71], off
	v_lshlrev_b64 v[74:75], 4, v[98:99]
	v_add_co_u32_e32 v76, vcc, s6, v74
	v_ashrrev_i32_e32 v101, 31, v100
	v_addc_co_u32_e32 v77, vcc, v9, v75, vcc
	v_lshlrev_b64 v[74:75], 4, v[100:101]
	v_add_co_u32_e32 v78, vcc, s6, v74
	v_accvgpr_write_b32 a62, v76
	v_addc_co_u32_e32 v79, vcc, v9, v75, vcc
	v_accvgpr_write_b32 a63, v77
	global_load_dwordx4 v[74:77], v[76:77], off
	v_accvgpr_write_b32 a64, v78
	v_accvgpr_write_b32 a65, v79
	global_load_dwordx4 v[78:81], v[78:79], off
	v_ashrrev_i32_e32 v103, 31, v102
	v_lshlrev_b64 v[82:83], 4, v[102:103]
	v_add_co_u32_e32 v82, vcc, s6, v82
	v_addc_co_u32_e32 v83, vcc, v9, v83, vcc
	v_accvgpr_write_b32 a66, v82
	v_ashrrev_i32_e32 v105, 31, v104
	v_accvgpr_write_b32 a67, v83
	global_load_dwordx4 v[82:85], v[82:83], off
	v_lshlrev_b64 v[86:87], 4, v[104:105]
	v_add_co_u32_e32 v188, vcc, s6, v86
	v_addc_co_u32_e32 v189, vcc, v9, v87, vcc
	global_load_dwordx4 v[86:89], v[188:189], off
	s_nop 0
	buffer_store_dword v8, off, s[0:3], 0 offset:248
	buffer_store_dword v7, off, s[0:3], 0 offset:244
	buffer_store_dword v6, off, s[0:3], 0 offset:240
	s_waitcnt vmcnt(22)
	buffer_store_dword v17, off, s[0:3], 0 offset:268
	buffer_store_dword v16, off, s[0:3], 0 offset:264
	buffer_store_dword v15, off, s[0:3], 0 offset:260
	buffer_store_dword v14, off, s[0:3], 0 offset:256
	s_waitcnt vmcnt(25)
	buffer_store_dword v21, off, s[0:3], 0 offset:284
	;; [unrolled: 5-line block ×15, first 2 shown]
	buffer_store_dword v68, off, s[0:3], 0 offset:488
	buffer_store_dword v67, off, s[0:3], 0 offset:484
	;; [unrolled: 1-line block ×11, first 2 shown]
	s_waitcnt vmcnt(62)
	buffer_store_dword v81, off, s[0:3], 0 offset:540
	buffer_store_dword v80, off, s[0:3], 0 offset:536
	;; [unrolled: 1-line block ×16, first 2 shown]
	v_mov_b32_e32 v2, 16
	v_add_u32_e32 v3, 16, v2
	v_accvgpr_write_b32 a100, v3
	v_add_u32_e32 v3, 32, v2
	v_accvgpr_write_b32 a99, v3
	;; [unrolled: 2-line block ×34, first 2 shown]
	v_add_u32_e32 v187, 0x230, v2
	s_bitcmp0_b32 s18, 0
	s_mov_b64 s[6:7], -1
	s_cbranch_scc1 .LBB99_156
; %bb.4:
	v_cmp_eq_u32_e64 s[4:5], 0, v0
	s_and_saveexec_b64 s[6:7], s[4:5]
	s_cbranch_execz .LBB99_6
; %bb.5:
	v_mov_b32_e32 v2, 0
	ds_write_b32 v2, v2 offset:1152
.LBB99_6:
	s_or_b64 exec, exec, s[6:7]
	v_mov_b32_e32 v2, 16
	v_lshl_add_u32 v12, v0, 4, v2
	s_waitcnt lgkmcnt(0)
	; wave barrier
	s_waitcnt lgkmcnt(0)
	buffer_load_dword v2, v12, s[0:3], 0 offen
	buffer_load_dword v3, v12, s[0:3], 0 offen offset:4
	buffer_load_dword v4, v12, s[0:3], 0 offen offset:8
	;; [unrolled: 1-line block ×3, first 2 shown]
	s_waitcnt vmcnt(2)
	v_cmp_eq_f64_e32 vcc, 0, v[2:3]
	s_waitcnt vmcnt(0)
	v_cmp_eq_f64_e64 s[6:7], 0, v[4:5]
	s_and_b64 s[6:7], vcc, s[6:7]
	s_and_saveexec_b64 s[12:13], s[6:7]
	s_cbranch_execz .LBB99_10
; %bb.7:
	v_mov_b32_e32 v2, 0
	ds_read_b32 v4, v2 offset:1152
	v_add_u32_e32 v3, 1, v0
	s_waitcnt lgkmcnt(0)
	v_readfirstlane_b32 s6, v4
	s_cmp_eq_u32 s6, 0
	s_cselect_b64 s[18:19], -1, 0
	v_cmp_gt_i32_e32 vcc, s6, v3
	s_or_b64 s[18:19], s[18:19], vcc
	s_and_b64 exec, exec, s[18:19]
	s_cbranch_execz .LBB99_10
; %bb.8:
	s_mov_b64 s[18:19], 0
	v_mov_b32_e32 v4, s6
.LBB99_9:                               ; =>This Inner Loop Header: Depth=1
	ds_cmpst_rtn_b32 v4, v2, v4, v3 offset:1152
	s_waitcnt lgkmcnt(0)
	v_cmp_ne_u32_e32 vcc, 0, v4
	v_cmp_le_i32_e64 s[6:7], v4, v3
	s_and_b64 s[6:7], vcc, s[6:7]
	s_and_b64 s[6:7], exec, s[6:7]
	s_or_b64 s[18:19], s[6:7], s[18:19]
	s_andn2_b64 exec, exec, s[18:19]
	s_cbranch_execnz .LBB99_9
.LBB99_10:
	s_or_b64 exec, exec, s[12:13]
	v_mov_b32_e32 v3, 0
	s_waitcnt lgkmcnt(0)
	; wave barrier
	ds_read_b32 v2, v3 offset:1152
	s_and_saveexec_b64 s[6:7], s[4:5]
	s_cbranch_execz .LBB99_12
; %bb.11:
	s_lshl_b64 s[12:13], s[8:9], 2
	s_add_u32 s12, s14, s12
	s_addc_u32 s13, s15, s13
	s_waitcnt lgkmcnt(0)
	global_store_dword v3, v2, s[12:13]
.LBB99_12:
	s_or_b64 exec, exec, s[6:7]
	s_waitcnt lgkmcnt(0)
	v_cmp_ne_u32_e32 vcc, 0, v2
	s_mov_b64 s[6:7], 0
	s_cbranch_vccnz .LBB99_156
; %bb.13:
	buffer_load_dword v7, v12, s[0:3], 0 offen offset:4
	buffer_load_dword v6, v12, s[0:3], 0 offen
	buffer_load_dword v9, v12, s[0:3], 0 offen offset:12
	buffer_load_dword v8, v12, s[0:3], 0 offen offset:8
                                        ; implicit-def: $vgpr10_vgpr11
	s_waitcnt vmcnt(3)
	v_xor_b32_e32 v3, 0x80000000, v7
	s_waitcnt vmcnt(2)
	v_cmp_gt_f64_e32 vcc, 0, v[6:7]
	s_waitcnt vmcnt(1)
	v_xor_b32_e32 v4, 0x80000000, v9
	v_cndmask_b32_e32 v3, v7, v3, vcc
	s_waitcnt vmcnt(0)
	v_cmp_gt_f64_e32 vcc, 0, v[8:9]
	v_mov_b32_e32 v2, v6
	v_cndmask_b32_e32 v5, v9, v4, vcc
	v_mov_b32_e32 v4, v8
	v_cmp_ngt_f64_e32 vcc, v[2:3], v[4:5]
                                        ; implicit-def: $vgpr4_vgpr5
	s_and_saveexec_b64 s[6:7], vcc
	s_xor_b64 s[6:7], exec, s[6:7]
	s_cbranch_execz .LBB99_15
; %bb.14:
	v_div_scale_f64 v[2:3], s[12:13], v[8:9], v[8:9], v[6:7]
	v_rcp_f64_e32 v[4:5], v[2:3]
	v_div_scale_f64 v[10:11], vcc, v[6:7], v[8:9], v[6:7]
	v_fma_f64 v[14:15], -v[2:3], v[4:5], 1.0
	v_fmac_f64_e32 v[4:5], v[4:5], v[14:15]
	v_fma_f64 v[14:15], -v[2:3], v[4:5], 1.0
	v_fmac_f64_e32 v[4:5], v[4:5], v[14:15]
	v_mul_f64 v[14:15], v[10:11], v[4:5]
	v_fma_f64 v[2:3], -v[2:3], v[14:15], v[10:11]
	v_div_fmas_f64 v[2:3], v[2:3], v[4:5], v[14:15]
	v_div_fixup_f64 v[2:3], v[2:3], v[8:9], v[6:7]
	v_fmac_f64_e32 v[8:9], v[6:7], v[2:3]
	v_div_scale_f64 v[4:5], s[12:13], v[8:9], v[8:9], 1.0
	v_rcp_f64_e32 v[6:7], v[4:5]
	v_fma_f64 v[10:11], -v[4:5], v[6:7], 1.0
	v_fmac_f64_e32 v[6:7], v[6:7], v[10:11]
	v_fma_f64 v[10:11], -v[4:5], v[6:7], 1.0
	v_fmac_f64_e32 v[6:7], v[6:7], v[10:11]
	v_div_scale_f64 v[10:11], vcc, 1.0, v[8:9], 1.0
	v_mul_f64 v[14:15], v[10:11], v[6:7]
	v_fma_f64 v[4:5], -v[4:5], v[14:15], v[10:11]
	s_nop 1
	v_div_fmas_f64 v[4:5], v[4:5], v[6:7], v[14:15]
	v_div_fixup_f64 v[4:5], v[4:5], v[8:9], 1.0
	v_mul_f64 v[10:11], v[2:3], v[4:5]
	v_xor_b32_e32 v5, 0x80000000, v5
	v_xor_b32_e32 v3, 0x80000000, v11
	v_mov_b32_e32 v2, v10
                                        ; implicit-def: $vgpr6_vgpr7
                                        ; implicit-def: $vgpr8_vgpr9
.LBB99_15:
	s_andn2_saveexec_b64 s[6:7], s[6:7]
	s_cbranch_execz .LBB99_17
; %bb.16:
	v_div_scale_f64 v[2:3], s[12:13], v[6:7], v[6:7], v[8:9]
	v_rcp_f64_e32 v[4:5], v[2:3]
	v_div_scale_f64 v[10:11], vcc, v[8:9], v[6:7], v[8:9]
	v_fma_f64 v[14:15], -v[2:3], v[4:5], 1.0
	v_fmac_f64_e32 v[4:5], v[4:5], v[14:15]
	v_fma_f64 v[14:15], -v[2:3], v[4:5], 1.0
	v_fmac_f64_e32 v[4:5], v[4:5], v[14:15]
	v_mul_f64 v[14:15], v[10:11], v[4:5]
	v_fma_f64 v[2:3], -v[2:3], v[14:15], v[10:11]
	v_div_fmas_f64 v[2:3], v[2:3], v[4:5], v[14:15]
	v_div_fixup_f64 v[4:5], v[2:3], v[6:7], v[8:9]
	v_fmac_f64_e32 v[6:7], v[8:9], v[4:5]
	v_div_scale_f64 v[2:3], s[12:13], v[6:7], v[6:7], 1.0
	v_rcp_f64_e32 v[8:9], v[2:3]
	v_fma_f64 v[10:11], -v[2:3], v[8:9], 1.0
	v_fmac_f64_e32 v[8:9], v[8:9], v[10:11]
	v_fma_f64 v[10:11], -v[2:3], v[8:9], 1.0
	v_fmac_f64_e32 v[8:9], v[8:9], v[10:11]
	v_div_scale_f64 v[10:11], vcc, 1.0, v[6:7], 1.0
	v_mul_f64 v[14:15], v[10:11], v[8:9]
	v_fma_f64 v[2:3], -v[2:3], v[14:15], v[10:11]
	s_nop 1
	v_div_fmas_f64 v[2:3], v[2:3], v[8:9], v[14:15]
	v_div_fixup_f64 v[10:11], v[2:3], v[6:7], 1.0
	v_xor_b32_e32 v3, 0x80000000, v11
	v_mov_b32_e32 v2, v10
	v_mul_f64 v[4:5], v[4:5], -v[10:11]
.LBB99_17:
	s_or_b64 exec, exec, s[6:7]
	buffer_store_dword v11, v12, s[0:3], 0 offen offset:4
	buffer_store_dword v10, v12, s[0:3], 0 offen
	buffer_store_dword v5, v12, s[0:3], 0 offen offset:12
	buffer_store_dword v4, v12, s[0:3], 0 offen offset:8
	v_accvgpr_read_b32 v6, a100
	buffer_load_dword v11, v6, s[0:3], 0 offen offset:12
	buffer_load_dword v10, v6, s[0:3], 0 offen offset:8
	;; [unrolled: 1-line block ×3, first 2 shown]
	buffer_load_dword v8, v6, s[0:3], 0 offen
	v_xor_b32_e32 v5, 0x80000000, v5
	v_add_u32_e32 v6, 0x240, v1
	ds_write_b128 v1, v[2:5]
	s_waitcnt vmcnt(0)
	ds_write_b128 v1, v[8:11] offset:576
	s_waitcnt lgkmcnt(0)
	; wave barrier
	s_waitcnt lgkmcnt(0)
	s_and_saveexec_b64 s[6:7], s[4:5]
	s_cbranch_execz .LBB99_19
; %bb.18:
	buffer_load_dword v14, v12, s[0:3], 0 offen offset:8
	buffer_load_dword v15, v12, s[0:3], 0 offen offset:12
	buffer_load_dword v16, v12, s[0:3], 0 offen
	buffer_load_dword v17, v12, s[0:3], 0 offen offset:4
	ds_read_b128 v[2:5], v6
	v_mov_b32_e32 v7, 0
	ds_read_b128 v[8:11], v7 offset:16
	s_waitcnt vmcnt(2) lgkmcnt(1)
	v_mul_f64 v[18:19], v[4:5], v[14:15]
	v_mul_f64 v[14:15], v[2:3], v[14:15]
	s_waitcnt vmcnt(0)
	v_fmac_f64_e32 v[14:15], v[4:5], v[16:17]
	v_fma_f64 v[2:3], v[2:3], v[16:17], -v[18:19]
	v_add_f64 v[4:5], v[14:15], 0
	v_add_f64 v[2:3], v[2:3], 0
	s_waitcnt lgkmcnt(0)
	v_mul_f64 v[14:15], v[4:5], v[10:11]
	v_mul_f64 v[10:11], v[2:3], v[10:11]
	v_fma_f64 v[2:3], v[2:3], v[8:9], -v[14:15]
	v_fmac_f64_e32 v[10:11], v[4:5], v[8:9]
	buffer_store_dword v2, off, s[0:3], 0 offset:32
	buffer_store_dword v3, off, s[0:3], 0 offset:36
	;; [unrolled: 1-line block ×4, first 2 shown]
.LBB99_19:
	s_or_b64 exec, exec, s[6:7]
	v_accvgpr_read_b32 v5, a99
	s_waitcnt lgkmcnt(0)
	; wave barrier
	buffer_load_dword v2, v5, s[0:3], 0 offen
	buffer_load_dword v3, v5, s[0:3], 0 offen offset:4
	buffer_load_dword v4, v5, s[0:3], 0 offen offset:8
	s_nop 0
	buffer_load_dword v5, v5, s[0:3], 0 offen offset:12
	v_cmp_gt_u32_e32 vcc, 2, v0
	s_waitcnt vmcnt(0)
	ds_write_b128 v6, v[2:5]
	s_waitcnt lgkmcnt(0)
	; wave barrier
	s_waitcnt lgkmcnt(0)
	s_and_saveexec_b64 s[6:7], vcc
	s_cbranch_execz .LBB99_23
; %bb.20:
	buffer_load_dword v8, v12, s[0:3], 0 offen offset:8
	buffer_load_dword v9, v12, s[0:3], 0 offen offset:12
	buffer_load_dword v10, v12, s[0:3], 0 offen
	buffer_load_dword v11, v12, s[0:3], 0 offen offset:4
	ds_read_b128 v[2:5], v6
	s_waitcnt vmcnt(2) lgkmcnt(0)
	v_mul_f64 v[12:13], v[4:5], v[8:9]
	v_mul_f64 v[8:9], v[2:3], v[8:9]
	s_waitcnt vmcnt(0)
	v_fma_f64 v[2:3], v[2:3], v[10:11], -v[12:13]
	v_fmac_f64_e32 v[8:9], v[4:5], v[10:11]
	v_add_f64 v[4:5], v[2:3], 0
	v_add_f64 v[2:3], v[8:9], 0
	s_and_saveexec_b64 s[12:13], s[4:5]
	s_cbranch_execz .LBB99_22
; %bb.21:
	buffer_load_dword v12, off, s[0:3], 0 offset:40
	buffer_load_dword v13, off, s[0:3], 0 offset:44
	;; [unrolled: 1-line block ×4, first 2 shown]
	v_mov_b32_e32 v7, 0
	ds_read_b128 v[8:11], v7 offset:592
	s_waitcnt vmcnt(2) lgkmcnt(0)
	v_mul_f64 v[16:17], v[8:9], v[12:13]
	v_mul_f64 v[12:13], v[10:11], v[12:13]
	s_waitcnt vmcnt(0)
	v_fmac_f64_e32 v[16:17], v[10:11], v[14:15]
	v_fma_f64 v[8:9], v[8:9], v[14:15], -v[12:13]
	v_add_f64 v[2:3], v[2:3], v[16:17]
	v_add_f64 v[4:5], v[4:5], v[8:9]
.LBB99_22:
	s_or_b64 exec, exec, s[12:13]
	v_mov_b32_e32 v7, 0
	ds_read_b128 v[8:11], v7 offset:32
	s_waitcnt lgkmcnt(0)
	v_mul_f64 v[12:13], v[2:3], v[10:11]
	v_mul_f64 v[10:11], v[4:5], v[10:11]
	v_fma_f64 v[4:5], v[4:5], v[8:9], -v[12:13]
	v_fmac_f64_e32 v[10:11], v[2:3], v[8:9]
	buffer_store_dword v5, off, s[0:3], 0 offset:52
	buffer_store_dword v4, off, s[0:3], 0 offset:48
	;; [unrolled: 1-line block ×4, first 2 shown]
.LBB99_23:
	s_or_b64 exec, exec, s[6:7]
	v_accvgpr_read_b32 v5, a101
	s_waitcnt lgkmcnt(0)
	; wave barrier
	buffer_load_dword v2, v5, s[0:3], 0 offen
	buffer_load_dword v3, v5, s[0:3], 0 offen offset:4
	buffer_load_dword v4, v5, s[0:3], 0 offen offset:8
	s_nop 0
	buffer_load_dword v5, v5, s[0:3], 0 offen offset:12
	v_cmp_gt_u32_e32 vcc, 3, v0
	v_add_u32_e32 v7, -1, v0
	s_waitcnt vmcnt(0)
	ds_write_b128 v6, v[2:5]
	s_waitcnt lgkmcnt(0)
	; wave barrier
	s_waitcnt lgkmcnt(0)
	s_and_saveexec_b64 s[4:5], vcc
	s_cbranch_execz .LBB99_27
; %bb.24:
	v_pk_mov_b32 v[2:3], 0, 0
	v_add_u32_e32 v8, -1, v0
	v_add_u32_e32 v9, 0x240, v1
	v_add_u32_e32 v10, 16, v1
	s_mov_b64 s[6:7], 0
	v_pk_mov_b32 v[4:5], v[2:3], v[2:3] op_sel:[0,1]
.LBB99_25:                              ; =>This Inner Loop Header: Depth=1
	buffer_load_dword v16, v10, s[0:3], 0 offen offset:8
	buffer_load_dword v17, v10, s[0:3], 0 offen offset:12
	buffer_load_dword v18, v10, s[0:3], 0 offen
	buffer_load_dword v19, v10, s[0:3], 0 offen offset:4
	ds_read_b128 v[12:15], v9
	v_add_u32_e32 v8, 1, v8
	v_cmp_lt_u32_e32 vcc, 1, v8
	v_add_u32_e32 v9, 16, v9
	v_add_u32_e32 v10, 16, v10
	s_or_b64 s[6:7], vcc, s[6:7]
	s_waitcnt vmcnt(2) lgkmcnt(0)
	v_mul_f64 v[20:21], v[14:15], v[16:17]
	v_mul_f64 v[16:17], v[12:13], v[16:17]
	s_waitcnt vmcnt(0)
	v_fma_f64 v[12:13], v[12:13], v[18:19], -v[20:21]
	v_fmac_f64_e32 v[16:17], v[14:15], v[18:19]
	v_add_f64 v[4:5], v[4:5], v[12:13]
	v_add_f64 v[2:3], v[2:3], v[16:17]
	s_andn2_b64 exec, exec, s[6:7]
	s_cbranch_execnz .LBB99_25
; %bb.26:
	s_or_b64 exec, exec, s[6:7]
	v_mov_b32_e32 v8, 0
	ds_read_b128 v[8:11], v8 offset:48
	s_waitcnt lgkmcnt(0)
	v_mul_f64 v[12:13], v[2:3], v[10:11]
	v_mul_f64 v[10:11], v[4:5], v[10:11]
	v_fma_f64 v[4:5], v[4:5], v[8:9], -v[12:13]
	v_fmac_f64_e32 v[10:11], v[2:3], v[8:9]
	buffer_store_dword v5, off, s[0:3], 0 offset:68
	buffer_store_dword v4, off, s[0:3], 0 offset:64
	buffer_store_dword v11, off, s[0:3], 0 offset:76
	buffer_store_dword v10, off, s[0:3], 0 offset:72
.LBB99_27:
	s_or_b64 exec, exec, s[4:5]
	v_accvgpr_read_b32 v5, a98
	s_waitcnt lgkmcnt(0)
	; wave barrier
	buffer_load_dword v2, v5, s[0:3], 0 offen
	buffer_load_dword v3, v5, s[0:3], 0 offen offset:4
	buffer_load_dword v4, v5, s[0:3], 0 offen offset:8
	s_nop 0
	buffer_load_dword v5, v5, s[0:3], 0 offen offset:12
	v_cmp_gt_u32_e32 vcc, 4, v0
	s_waitcnt vmcnt(0)
	ds_write_b128 v6, v[2:5]
	s_waitcnt lgkmcnt(0)
	; wave barrier
	s_waitcnt lgkmcnt(0)
	s_and_saveexec_b64 s[4:5], vcc
	s_cbranch_execz .LBB99_31
; %bb.28:
	v_pk_mov_b32 v[2:3], 0, 0
	v_add_u32_e32 v8, -1, v0
	v_add_u32_e32 v9, 0x240, v1
	v_add_u32_e32 v10, 16, v1
	s_mov_b64 s[6:7], 0
	v_pk_mov_b32 v[4:5], v[2:3], v[2:3] op_sel:[0,1]
.LBB99_29:                              ; =>This Inner Loop Header: Depth=1
	buffer_load_dword v16, v10, s[0:3], 0 offen offset:8
	buffer_load_dword v17, v10, s[0:3], 0 offen offset:12
	buffer_load_dword v18, v10, s[0:3], 0 offen
	buffer_load_dword v19, v10, s[0:3], 0 offen offset:4
	ds_read_b128 v[12:15], v9
	v_add_u32_e32 v8, 1, v8
	v_cmp_lt_u32_e32 vcc, 2, v8
	v_add_u32_e32 v9, 16, v9
	v_add_u32_e32 v10, 16, v10
	s_or_b64 s[6:7], vcc, s[6:7]
	s_waitcnt vmcnt(2) lgkmcnt(0)
	v_mul_f64 v[20:21], v[14:15], v[16:17]
	v_mul_f64 v[16:17], v[12:13], v[16:17]
	s_waitcnt vmcnt(0)
	v_fma_f64 v[12:13], v[12:13], v[18:19], -v[20:21]
	v_fmac_f64_e32 v[16:17], v[14:15], v[18:19]
	v_add_f64 v[4:5], v[4:5], v[12:13]
	v_add_f64 v[2:3], v[2:3], v[16:17]
	s_andn2_b64 exec, exec, s[6:7]
	s_cbranch_execnz .LBB99_29
; %bb.30:
	s_or_b64 exec, exec, s[6:7]
	v_mov_b32_e32 v8, 0
	ds_read_b128 v[8:11], v8 offset:64
	s_waitcnt lgkmcnt(0)
	v_mul_f64 v[12:13], v[2:3], v[10:11]
	v_mul_f64 v[10:11], v[4:5], v[10:11]
	v_fma_f64 v[4:5], v[4:5], v[8:9], -v[12:13]
	v_fmac_f64_e32 v[10:11], v[2:3], v[8:9]
	buffer_store_dword v5, off, s[0:3], 0 offset:84
	buffer_store_dword v4, off, s[0:3], 0 offset:80
	buffer_store_dword v11, off, s[0:3], 0 offset:92
	buffer_store_dword v10, off, s[0:3], 0 offset:88
.LBB99_31:
	s_or_b64 exec, exec, s[4:5]
	v_accvgpr_read_b32 v5, a97
	s_waitcnt lgkmcnt(0)
	; wave barrier
	buffer_load_dword v2, v5, s[0:3], 0 offen
	buffer_load_dword v3, v5, s[0:3], 0 offen offset:4
	buffer_load_dword v4, v5, s[0:3], 0 offen offset:8
	s_nop 0
	buffer_load_dword v5, v5, s[0:3], 0 offen offset:12
	v_cmp_gt_u32_e32 vcc, 5, v0
	s_waitcnt vmcnt(0)
	ds_write_b128 v6, v[2:5]
	s_waitcnt lgkmcnt(0)
	; wave barrier
	s_waitcnt lgkmcnt(0)
	s_and_saveexec_b64 s[4:5], vcc
	s_cbranch_execz .LBB99_35
; %bb.32:
	v_pk_mov_b32 v[2:3], 0, 0
	v_add_u32_e32 v8, -1, v0
	v_add_u32_e32 v9, 0x240, v1
	v_add_u32_e32 v10, 16, v1
	s_mov_b64 s[6:7], 0
	v_pk_mov_b32 v[4:5], v[2:3], v[2:3] op_sel:[0,1]
.LBB99_33:                              ; =>This Inner Loop Header: Depth=1
	buffer_load_dword v16, v10, s[0:3], 0 offen offset:8
	buffer_load_dword v17, v10, s[0:3], 0 offen offset:12
	buffer_load_dword v18, v10, s[0:3], 0 offen
	buffer_load_dword v19, v10, s[0:3], 0 offen offset:4
	ds_read_b128 v[12:15], v9
	v_add_u32_e32 v8, 1, v8
	v_cmp_lt_u32_e32 vcc, 3, v8
	v_add_u32_e32 v9, 16, v9
	v_add_u32_e32 v10, 16, v10
	s_or_b64 s[6:7], vcc, s[6:7]
	s_waitcnt vmcnt(2) lgkmcnt(0)
	v_mul_f64 v[20:21], v[14:15], v[16:17]
	v_mul_f64 v[16:17], v[12:13], v[16:17]
	s_waitcnt vmcnt(0)
	v_fma_f64 v[12:13], v[12:13], v[18:19], -v[20:21]
	v_fmac_f64_e32 v[16:17], v[14:15], v[18:19]
	v_add_f64 v[4:5], v[4:5], v[12:13]
	v_add_f64 v[2:3], v[2:3], v[16:17]
	s_andn2_b64 exec, exec, s[6:7]
	s_cbranch_execnz .LBB99_33
; %bb.34:
	s_or_b64 exec, exec, s[6:7]
	v_mov_b32_e32 v8, 0
	ds_read_b128 v[8:11], v8 offset:80
	s_waitcnt lgkmcnt(0)
	v_mul_f64 v[12:13], v[2:3], v[10:11]
	v_mul_f64 v[10:11], v[4:5], v[10:11]
	v_fma_f64 v[4:5], v[4:5], v[8:9], -v[12:13]
	v_fmac_f64_e32 v[10:11], v[2:3], v[8:9]
	buffer_store_dword v5, off, s[0:3], 0 offset:100
	buffer_store_dword v4, off, s[0:3], 0 offset:96
	buffer_store_dword v11, off, s[0:3], 0 offset:108
	buffer_store_dword v10, off, s[0:3], 0 offset:104
.LBB99_35:
	s_or_b64 exec, exec, s[4:5]
	v_accvgpr_read_b32 v5, a96
	s_waitcnt lgkmcnt(0)
	; wave barrier
	buffer_load_dword v2, v5, s[0:3], 0 offen
	buffer_load_dword v3, v5, s[0:3], 0 offen offset:4
	buffer_load_dword v4, v5, s[0:3], 0 offen offset:8
	s_nop 0
	buffer_load_dword v5, v5, s[0:3], 0 offen offset:12
	v_cmp_gt_u32_e32 vcc, 6, v0
	s_waitcnt vmcnt(0)
	ds_write_b128 v6, v[2:5]
	s_waitcnt lgkmcnt(0)
	; wave barrier
	s_waitcnt lgkmcnt(0)
	s_and_saveexec_b64 s[4:5], vcc
	s_cbranch_execz .LBB99_39
; %bb.36:
	v_pk_mov_b32 v[2:3], 0, 0
	v_add_u32_e32 v8, -1, v0
	v_add_u32_e32 v9, 0x240, v1
	v_add_u32_e32 v10, 16, v1
	s_mov_b64 s[6:7], 0
	v_pk_mov_b32 v[4:5], v[2:3], v[2:3] op_sel:[0,1]
.LBB99_37:                              ; =>This Inner Loop Header: Depth=1
	buffer_load_dword v16, v10, s[0:3], 0 offen offset:8
	buffer_load_dword v17, v10, s[0:3], 0 offen offset:12
	buffer_load_dword v18, v10, s[0:3], 0 offen
	buffer_load_dword v19, v10, s[0:3], 0 offen offset:4
	ds_read_b128 v[12:15], v9
	v_add_u32_e32 v8, 1, v8
	v_cmp_lt_u32_e32 vcc, 4, v8
	v_add_u32_e32 v9, 16, v9
	v_add_u32_e32 v10, 16, v10
	s_or_b64 s[6:7], vcc, s[6:7]
	s_waitcnt vmcnt(2) lgkmcnt(0)
	v_mul_f64 v[20:21], v[14:15], v[16:17]
	v_mul_f64 v[16:17], v[12:13], v[16:17]
	s_waitcnt vmcnt(0)
	v_fma_f64 v[12:13], v[12:13], v[18:19], -v[20:21]
	v_fmac_f64_e32 v[16:17], v[14:15], v[18:19]
	v_add_f64 v[4:5], v[4:5], v[12:13]
	v_add_f64 v[2:3], v[2:3], v[16:17]
	s_andn2_b64 exec, exec, s[6:7]
	s_cbranch_execnz .LBB99_37
; %bb.38:
	s_or_b64 exec, exec, s[6:7]
	v_mov_b32_e32 v8, 0
	ds_read_b128 v[8:11], v8 offset:96
	s_waitcnt lgkmcnt(0)
	v_mul_f64 v[12:13], v[2:3], v[10:11]
	v_mul_f64 v[10:11], v[4:5], v[10:11]
	v_fma_f64 v[4:5], v[4:5], v[8:9], -v[12:13]
	v_fmac_f64_e32 v[10:11], v[2:3], v[8:9]
	buffer_store_dword v5, off, s[0:3], 0 offset:116
	buffer_store_dword v4, off, s[0:3], 0 offset:112
	buffer_store_dword v11, off, s[0:3], 0 offset:124
	buffer_store_dword v10, off, s[0:3], 0 offset:120
.LBB99_39:
	s_or_b64 exec, exec, s[4:5]
	v_accvgpr_read_b32 v5, a95
	s_waitcnt lgkmcnt(0)
	; wave barrier
	buffer_load_dword v2, v5, s[0:3], 0 offen
	buffer_load_dword v3, v5, s[0:3], 0 offen offset:4
	buffer_load_dword v4, v5, s[0:3], 0 offen offset:8
	s_nop 0
	buffer_load_dword v5, v5, s[0:3], 0 offen offset:12
	v_cmp_gt_u32_e32 vcc, 7, v0
	s_waitcnt vmcnt(0)
	ds_write_b128 v6, v[2:5]
	s_waitcnt lgkmcnt(0)
	; wave barrier
	s_waitcnt lgkmcnt(0)
	s_and_saveexec_b64 s[4:5], vcc
	s_cbranch_execz .LBB99_43
; %bb.40:
	v_pk_mov_b32 v[2:3], 0, 0
	v_add_u32_e32 v8, -1, v0
	v_add_u32_e32 v9, 0x240, v1
	v_add_u32_e32 v10, 16, v1
	s_mov_b64 s[6:7], 0
	v_pk_mov_b32 v[4:5], v[2:3], v[2:3] op_sel:[0,1]
.LBB99_41:                              ; =>This Inner Loop Header: Depth=1
	buffer_load_dword v16, v10, s[0:3], 0 offen offset:8
	buffer_load_dword v17, v10, s[0:3], 0 offen offset:12
	buffer_load_dword v18, v10, s[0:3], 0 offen
	buffer_load_dword v19, v10, s[0:3], 0 offen offset:4
	ds_read_b128 v[12:15], v9
	v_add_u32_e32 v8, 1, v8
	v_cmp_lt_u32_e32 vcc, 5, v8
	v_add_u32_e32 v9, 16, v9
	v_add_u32_e32 v10, 16, v10
	s_or_b64 s[6:7], vcc, s[6:7]
	s_waitcnt vmcnt(2) lgkmcnt(0)
	v_mul_f64 v[20:21], v[14:15], v[16:17]
	v_mul_f64 v[16:17], v[12:13], v[16:17]
	s_waitcnt vmcnt(0)
	v_fma_f64 v[12:13], v[12:13], v[18:19], -v[20:21]
	v_fmac_f64_e32 v[16:17], v[14:15], v[18:19]
	v_add_f64 v[4:5], v[4:5], v[12:13]
	v_add_f64 v[2:3], v[2:3], v[16:17]
	s_andn2_b64 exec, exec, s[6:7]
	s_cbranch_execnz .LBB99_41
; %bb.42:
	s_or_b64 exec, exec, s[6:7]
	v_mov_b32_e32 v8, 0
	ds_read_b128 v[8:11], v8 offset:112
	s_waitcnt lgkmcnt(0)
	v_mul_f64 v[12:13], v[2:3], v[10:11]
	v_mul_f64 v[10:11], v[4:5], v[10:11]
	v_fma_f64 v[4:5], v[4:5], v[8:9], -v[12:13]
	v_fmac_f64_e32 v[10:11], v[2:3], v[8:9]
	buffer_store_dword v5, off, s[0:3], 0 offset:132
	buffer_store_dword v4, off, s[0:3], 0 offset:128
	buffer_store_dword v11, off, s[0:3], 0 offset:140
	buffer_store_dword v10, off, s[0:3], 0 offset:136
.LBB99_43:
	s_or_b64 exec, exec, s[4:5]
	v_accvgpr_read_b32 v5, a94
	s_waitcnt lgkmcnt(0)
	; wave barrier
	buffer_load_dword v2, v5, s[0:3], 0 offen
	buffer_load_dword v3, v5, s[0:3], 0 offen offset:4
	buffer_load_dword v4, v5, s[0:3], 0 offen offset:8
	s_nop 0
	buffer_load_dword v5, v5, s[0:3], 0 offen offset:12
	v_cmp_gt_u32_e32 vcc, 8, v0
	s_waitcnt vmcnt(0)
	ds_write_b128 v6, v[2:5]
	s_waitcnt lgkmcnt(0)
	; wave barrier
	s_waitcnt lgkmcnt(0)
	s_and_saveexec_b64 s[4:5], vcc
	s_cbranch_execz .LBB99_47
; %bb.44:
	v_pk_mov_b32 v[2:3], 0, 0
	v_add_u32_e32 v8, -1, v0
	v_add_u32_e32 v9, 0x240, v1
	v_add_u32_e32 v10, 16, v1
	s_mov_b64 s[6:7], 0
	v_pk_mov_b32 v[4:5], v[2:3], v[2:3] op_sel:[0,1]
.LBB99_45:                              ; =>This Inner Loop Header: Depth=1
	buffer_load_dword v16, v10, s[0:3], 0 offen offset:8
	buffer_load_dword v17, v10, s[0:3], 0 offen offset:12
	buffer_load_dword v18, v10, s[0:3], 0 offen
	buffer_load_dword v19, v10, s[0:3], 0 offen offset:4
	ds_read_b128 v[12:15], v9
	v_add_u32_e32 v8, 1, v8
	v_cmp_lt_u32_e32 vcc, 6, v8
	v_add_u32_e32 v9, 16, v9
	v_add_u32_e32 v10, 16, v10
	s_or_b64 s[6:7], vcc, s[6:7]
	s_waitcnt vmcnt(2) lgkmcnt(0)
	v_mul_f64 v[20:21], v[14:15], v[16:17]
	v_mul_f64 v[16:17], v[12:13], v[16:17]
	s_waitcnt vmcnt(0)
	v_fma_f64 v[12:13], v[12:13], v[18:19], -v[20:21]
	v_fmac_f64_e32 v[16:17], v[14:15], v[18:19]
	v_add_f64 v[4:5], v[4:5], v[12:13]
	v_add_f64 v[2:3], v[2:3], v[16:17]
	s_andn2_b64 exec, exec, s[6:7]
	s_cbranch_execnz .LBB99_45
; %bb.46:
	s_or_b64 exec, exec, s[6:7]
	v_mov_b32_e32 v8, 0
	ds_read_b128 v[8:11], v8 offset:128
	s_waitcnt lgkmcnt(0)
	v_mul_f64 v[12:13], v[2:3], v[10:11]
	v_mul_f64 v[10:11], v[4:5], v[10:11]
	v_fma_f64 v[4:5], v[4:5], v[8:9], -v[12:13]
	v_fmac_f64_e32 v[10:11], v[2:3], v[8:9]
	buffer_store_dword v5, off, s[0:3], 0 offset:148
	buffer_store_dword v4, off, s[0:3], 0 offset:144
	buffer_store_dword v11, off, s[0:3], 0 offset:156
	buffer_store_dword v10, off, s[0:3], 0 offset:152
.LBB99_47:
	s_or_b64 exec, exec, s[4:5]
	v_accvgpr_read_b32 v5, a93
	s_waitcnt lgkmcnt(0)
	; wave barrier
	buffer_load_dword v2, v5, s[0:3], 0 offen
	buffer_load_dword v3, v5, s[0:3], 0 offen offset:4
	buffer_load_dword v4, v5, s[0:3], 0 offen offset:8
	s_nop 0
	buffer_load_dword v5, v5, s[0:3], 0 offen offset:12
	v_cmp_gt_u32_e32 vcc, 9, v0
	s_waitcnt vmcnt(0)
	ds_write_b128 v6, v[2:5]
	s_waitcnt lgkmcnt(0)
	; wave barrier
	s_waitcnt lgkmcnt(0)
	s_and_saveexec_b64 s[4:5], vcc
	s_cbranch_execz .LBB99_51
; %bb.48:
	v_pk_mov_b32 v[2:3], 0, 0
	v_add_u32_e32 v8, -1, v0
	v_add_u32_e32 v9, 0x240, v1
	v_add_u32_e32 v10, 16, v1
	s_mov_b64 s[6:7], 0
	v_pk_mov_b32 v[4:5], v[2:3], v[2:3] op_sel:[0,1]
.LBB99_49:                              ; =>This Inner Loop Header: Depth=1
	buffer_load_dword v16, v10, s[0:3], 0 offen offset:8
	buffer_load_dword v17, v10, s[0:3], 0 offen offset:12
	buffer_load_dword v18, v10, s[0:3], 0 offen
	buffer_load_dword v19, v10, s[0:3], 0 offen offset:4
	ds_read_b128 v[12:15], v9
	v_add_u32_e32 v8, 1, v8
	v_cmp_lt_u32_e32 vcc, 7, v8
	v_add_u32_e32 v9, 16, v9
	v_add_u32_e32 v10, 16, v10
	s_or_b64 s[6:7], vcc, s[6:7]
	s_waitcnt vmcnt(2) lgkmcnt(0)
	v_mul_f64 v[20:21], v[14:15], v[16:17]
	v_mul_f64 v[16:17], v[12:13], v[16:17]
	s_waitcnt vmcnt(0)
	v_fma_f64 v[12:13], v[12:13], v[18:19], -v[20:21]
	v_fmac_f64_e32 v[16:17], v[14:15], v[18:19]
	v_add_f64 v[4:5], v[4:5], v[12:13]
	v_add_f64 v[2:3], v[2:3], v[16:17]
	s_andn2_b64 exec, exec, s[6:7]
	s_cbranch_execnz .LBB99_49
; %bb.50:
	s_or_b64 exec, exec, s[6:7]
	v_mov_b32_e32 v8, 0
	ds_read_b128 v[8:11], v8 offset:144
	s_waitcnt lgkmcnt(0)
	v_mul_f64 v[12:13], v[2:3], v[10:11]
	v_mul_f64 v[10:11], v[4:5], v[10:11]
	v_fma_f64 v[4:5], v[4:5], v[8:9], -v[12:13]
	v_fmac_f64_e32 v[10:11], v[2:3], v[8:9]
	buffer_store_dword v5, off, s[0:3], 0 offset:164
	buffer_store_dword v4, off, s[0:3], 0 offset:160
	buffer_store_dword v11, off, s[0:3], 0 offset:172
	buffer_store_dword v10, off, s[0:3], 0 offset:168
.LBB99_51:
	s_or_b64 exec, exec, s[4:5]
	v_accvgpr_read_b32 v5, a92
	s_waitcnt lgkmcnt(0)
	; wave barrier
	buffer_load_dword v2, v5, s[0:3], 0 offen
	buffer_load_dword v3, v5, s[0:3], 0 offen offset:4
	buffer_load_dword v4, v5, s[0:3], 0 offen offset:8
	s_nop 0
	buffer_load_dword v5, v5, s[0:3], 0 offen offset:12
	v_cmp_gt_u32_e32 vcc, 10, v0
	s_waitcnt vmcnt(0)
	ds_write_b128 v6, v[2:5]
	s_waitcnt lgkmcnt(0)
	; wave barrier
	s_waitcnt lgkmcnt(0)
	s_and_saveexec_b64 s[4:5], vcc
	s_cbranch_execz .LBB99_55
; %bb.52:
	v_pk_mov_b32 v[2:3], 0, 0
	v_add_u32_e32 v8, -1, v0
	v_add_u32_e32 v9, 0x240, v1
	v_add_u32_e32 v10, 16, v1
	s_mov_b64 s[6:7], 0
	v_pk_mov_b32 v[4:5], v[2:3], v[2:3] op_sel:[0,1]
.LBB99_53:                              ; =>This Inner Loop Header: Depth=1
	buffer_load_dword v16, v10, s[0:3], 0 offen offset:8
	buffer_load_dword v17, v10, s[0:3], 0 offen offset:12
	buffer_load_dword v18, v10, s[0:3], 0 offen
	buffer_load_dword v19, v10, s[0:3], 0 offen offset:4
	ds_read_b128 v[12:15], v9
	v_add_u32_e32 v8, 1, v8
	v_cmp_lt_u32_e32 vcc, 8, v8
	v_add_u32_e32 v9, 16, v9
	v_add_u32_e32 v10, 16, v10
	s_or_b64 s[6:7], vcc, s[6:7]
	s_waitcnt vmcnt(2) lgkmcnt(0)
	v_mul_f64 v[20:21], v[14:15], v[16:17]
	v_mul_f64 v[16:17], v[12:13], v[16:17]
	s_waitcnt vmcnt(0)
	v_fma_f64 v[12:13], v[12:13], v[18:19], -v[20:21]
	v_fmac_f64_e32 v[16:17], v[14:15], v[18:19]
	v_add_f64 v[4:5], v[4:5], v[12:13]
	v_add_f64 v[2:3], v[2:3], v[16:17]
	s_andn2_b64 exec, exec, s[6:7]
	s_cbranch_execnz .LBB99_53
; %bb.54:
	s_or_b64 exec, exec, s[6:7]
	v_mov_b32_e32 v8, 0
	ds_read_b128 v[8:11], v8 offset:160
	s_waitcnt lgkmcnt(0)
	v_mul_f64 v[12:13], v[2:3], v[10:11]
	v_mul_f64 v[10:11], v[4:5], v[10:11]
	v_fma_f64 v[4:5], v[4:5], v[8:9], -v[12:13]
	v_fmac_f64_e32 v[10:11], v[2:3], v[8:9]
	buffer_store_dword v5, off, s[0:3], 0 offset:180
	buffer_store_dword v4, off, s[0:3], 0 offset:176
	buffer_store_dword v11, off, s[0:3], 0 offset:188
	buffer_store_dword v10, off, s[0:3], 0 offset:184
.LBB99_55:
	s_or_b64 exec, exec, s[4:5]
	v_accvgpr_read_b32 v5, a91
	s_waitcnt lgkmcnt(0)
	; wave barrier
	buffer_load_dword v2, v5, s[0:3], 0 offen
	buffer_load_dword v3, v5, s[0:3], 0 offen offset:4
	buffer_load_dword v4, v5, s[0:3], 0 offen offset:8
	s_nop 0
	buffer_load_dword v5, v5, s[0:3], 0 offen offset:12
	v_cmp_gt_u32_e32 vcc, 11, v0
	s_waitcnt vmcnt(0)
	ds_write_b128 v6, v[2:5]
	s_waitcnt lgkmcnt(0)
	; wave barrier
	s_waitcnt lgkmcnt(0)
	s_and_saveexec_b64 s[4:5], vcc
	s_cbranch_execz .LBB99_59
; %bb.56:
	v_pk_mov_b32 v[2:3], 0, 0
	v_add_u32_e32 v8, -1, v0
	v_add_u32_e32 v9, 0x240, v1
	v_add_u32_e32 v10, 16, v1
	s_mov_b64 s[6:7], 0
	v_pk_mov_b32 v[4:5], v[2:3], v[2:3] op_sel:[0,1]
.LBB99_57:                              ; =>This Inner Loop Header: Depth=1
	buffer_load_dword v16, v10, s[0:3], 0 offen offset:8
	buffer_load_dword v17, v10, s[0:3], 0 offen offset:12
	buffer_load_dword v18, v10, s[0:3], 0 offen
	buffer_load_dword v19, v10, s[0:3], 0 offen offset:4
	ds_read_b128 v[12:15], v9
	v_add_u32_e32 v8, 1, v8
	v_cmp_lt_u32_e32 vcc, 9, v8
	v_add_u32_e32 v9, 16, v9
	v_add_u32_e32 v10, 16, v10
	s_or_b64 s[6:7], vcc, s[6:7]
	s_waitcnt vmcnt(2) lgkmcnt(0)
	v_mul_f64 v[20:21], v[14:15], v[16:17]
	v_mul_f64 v[16:17], v[12:13], v[16:17]
	s_waitcnt vmcnt(0)
	v_fma_f64 v[12:13], v[12:13], v[18:19], -v[20:21]
	v_fmac_f64_e32 v[16:17], v[14:15], v[18:19]
	v_add_f64 v[4:5], v[4:5], v[12:13]
	v_add_f64 v[2:3], v[2:3], v[16:17]
	s_andn2_b64 exec, exec, s[6:7]
	s_cbranch_execnz .LBB99_57
; %bb.58:
	s_or_b64 exec, exec, s[6:7]
	v_mov_b32_e32 v8, 0
	ds_read_b128 v[8:11], v8 offset:176
	s_waitcnt lgkmcnt(0)
	v_mul_f64 v[12:13], v[2:3], v[10:11]
	v_mul_f64 v[10:11], v[4:5], v[10:11]
	v_fma_f64 v[4:5], v[4:5], v[8:9], -v[12:13]
	v_fmac_f64_e32 v[10:11], v[2:3], v[8:9]
	buffer_store_dword v5, off, s[0:3], 0 offset:196
	buffer_store_dword v4, off, s[0:3], 0 offset:192
	buffer_store_dword v11, off, s[0:3], 0 offset:204
	buffer_store_dword v10, off, s[0:3], 0 offset:200
.LBB99_59:
	s_or_b64 exec, exec, s[4:5]
	v_accvgpr_read_b32 v5, a90
	s_waitcnt lgkmcnt(0)
	; wave barrier
	buffer_load_dword v2, v5, s[0:3], 0 offen
	buffer_load_dword v3, v5, s[0:3], 0 offen offset:4
	buffer_load_dword v4, v5, s[0:3], 0 offen offset:8
	s_nop 0
	buffer_load_dword v5, v5, s[0:3], 0 offen offset:12
	v_cmp_gt_u32_e32 vcc, 12, v0
	s_waitcnt vmcnt(0)
	ds_write_b128 v6, v[2:5]
	s_waitcnt lgkmcnt(0)
	; wave barrier
	s_waitcnt lgkmcnt(0)
	s_and_saveexec_b64 s[4:5], vcc
	s_cbranch_execz .LBB99_63
; %bb.60:
	v_pk_mov_b32 v[2:3], 0, 0
	v_add_u32_e32 v8, -1, v0
	v_add_u32_e32 v9, 0x240, v1
	v_add_u32_e32 v10, 16, v1
	s_mov_b64 s[6:7], 0
	v_pk_mov_b32 v[4:5], v[2:3], v[2:3] op_sel:[0,1]
.LBB99_61:                              ; =>This Inner Loop Header: Depth=1
	buffer_load_dword v16, v10, s[0:3], 0 offen offset:8
	buffer_load_dword v17, v10, s[0:3], 0 offen offset:12
	buffer_load_dword v18, v10, s[0:3], 0 offen
	buffer_load_dword v19, v10, s[0:3], 0 offen offset:4
	ds_read_b128 v[12:15], v9
	v_add_u32_e32 v8, 1, v8
	v_cmp_lt_u32_e32 vcc, 10, v8
	v_add_u32_e32 v9, 16, v9
	v_add_u32_e32 v10, 16, v10
	s_or_b64 s[6:7], vcc, s[6:7]
	s_waitcnt vmcnt(2) lgkmcnt(0)
	v_mul_f64 v[20:21], v[14:15], v[16:17]
	v_mul_f64 v[16:17], v[12:13], v[16:17]
	s_waitcnt vmcnt(0)
	v_fma_f64 v[12:13], v[12:13], v[18:19], -v[20:21]
	v_fmac_f64_e32 v[16:17], v[14:15], v[18:19]
	v_add_f64 v[4:5], v[4:5], v[12:13]
	v_add_f64 v[2:3], v[2:3], v[16:17]
	s_andn2_b64 exec, exec, s[6:7]
	s_cbranch_execnz .LBB99_61
; %bb.62:
	s_or_b64 exec, exec, s[6:7]
	v_mov_b32_e32 v8, 0
	ds_read_b128 v[8:11], v8 offset:192
	s_waitcnt lgkmcnt(0)
	v_mul_f64 v[12:13], v[2:3], v[10:11]
	v_mul_f64 v[10:11], v[4:5], v[10:11]
	v_fma_f64 v[4:5], v[4:5], v[8:9], -v[12:13]
	v_fmac_f64_e32 v[10:11], v[2:3], v[8:9]
	buffer_store_dword v5, off, s[0:3], 0 offset:212
	buffer_store_dword v4, off, s[0:3], 0 offset:208
	buffer_store_dword v11, off, s[0:3], 0 offset:220
	buffer_store_dword v10, off, s[0:3], 0 offset:216
.LBB99_63:
	s_or_b64 exec, exec, s[4:5]
	v_accvgpr_read_b32 v5, a89
	s_waitcnt lgkmcnt(0)
	; wave barrier
	buffer_load_dword v2, v5, s[0:3], 0 offen
	buffer_load_dword v3, v5, s[0:3], 0 offen offset:4
	buffer_load_dword v4, v5, s[0:3], 0 offen offset:8
	s_nop 0
	buffer_load_dword v5, v5, s[0:3], 0 offen offset:12
	v_cmp_gt_u32_e32 vcc, 13, v0
	s_waitcnt vmcnt(0)
	ds_write_b128 v6, v[2:5]
	s_waitcnt lgkmcnt(0)
	; wave barrier
	s_waitcnt lgkmcnt(0)
	s_and_saveexec_b64 s[4:5], vcc
	s_cbranch_execz .LBB99_67
; %bb.64:
	v_pk_mov_b32 v[2:3], 0, 0
	v_add_u32_e32 v8, -1, v0
	v_add_u32_e32 v9, 0x240, v1
	v_add_u32_e32 v10, 16, v1
	s_mov_b64 s[6:7], 0
	v_pk_mov_b32 v[4:5], v[2:3], v[2:3] op_sel:[0,1]
.LBB99_65:                              ; =>This Inner Loop Header: Depth=1
	buffer_load_dword v16, v10, s[0:3], 0 offen offset:8
	buffer_load_dword v17, v10, s[0:3], 0 offen offset:12
	buffer_load_dword v18, v10, s[0:3], 0 offen
	buffer_load_dword v19, v10, s[0:3], 0 offen offset:4
	ds_read_b128 v[12:15], v9
	v_add_u32_e32 v8, 1, v8
	v_cmp_lt_u32_e32 vcc, 11, v8
	v_add_u32_e32 v9, 16, v9
	v_add_u32_e32 v10, 16, v10
	s_or_b64 s[6:7], vcc, s[6:7]
	s_waitcnt vmcnt(2) lgkmcnt(0)
	v_mul_f64 v[20:21], v[14:15], v[16:17]
	v_mul_f64 v[16:17], v[12:13], v[16:17]
	s_waitcnt vmcnt(0)
	v_fma_f64 v[12:13], v[12:13], v[18:19], -v[20:21]
	v_fmac_f64_e32 v[16:17], v[14:15], v[18:19]
	v_add_f64 v[4:5], v[4:5], v[12:13]
	v_add_f64 v[2:3], v[2:3], v[16:17]
	s_andn2_b64 exec, exec, s[6:7]
	s_cbranch_execnz .LBB99_65
; %bb.66:
	s_or_b64 exec, exec, s[6:7]
	v_mov_b32_e32 v8, 0
	ds_read_b128 v[8:11], v8 offset:208
	s_waitcnt lgkmcnt(0)
	v_mul_f64 v[12:13], v[2:3], v[10:11]
	v_mul_f64 v[10:11], v[4:5], v[10:11]
	v_fma_f64 v[4:5], v[4:5], v[8:9], -v[12:13]
	v_fmac_f64_e32 v[10:11], v[2:3], v[8:9]
	buffer_store_dword v5, off, s[0:3], 0 offset:228
	buffer_store_dword v4, off, s[0:3], 0 offset:224
	buffer_store_dword v11, off, s[0:3], 0 offset:236
	buffer_store_dword v10, off, s[0:3], 0 offset:232
.LBB99_67:
	s_or_b64 exec, exec, s[4:5]
	v_accvgpr_read_b32 v5, a88
	s_waitcnt lgkmcnt(0)
	; wave barrier
	buffer_load_dword v2, v5, s[0:3], 0 offen
	buffer_load_dword v3, v5, s[0:3], 0 offen offset:4
	buffer_load_dword v4, v5, s[0:3], 0 offen offset:8
	s_nop 0
	buffer_load_dword v5, v5, s[0:3], 0 offen offset:12
	v_cmp_gt_u32_e32 vcc, 14, v0
	s_waitcnt vmcnt(0)
	ds_write_b128 v6, v[2:5]
	s_waitcnt lgkmcnt(0)
	; wave barrier
	s_waitcnt lgkmcnt(0)
	s_and_saveexec_b64 s[4:5], vcc
	s_cbranch_execz .LBB99_71
; %bb.68:
	v_pk_mov_b32 v[2:3], 0, 0
	v_add_u32_e32 v8, -1, v0
	v_add_u32_e32 v9, 0x240, v1
	v_add_u32_e32 v10, 16, v1
	s_mov_b64 s[6:7], 0
	v_pk_mov_b32 v[4:5], v[2:3], v[2:3] op_sel:[0,1]
.LBB99_69:                              ; =>This Inner Loop Header: Depth=1
	buffer_load_dword v16, v10, s[0:3], 0 offen offset:8
	buffer_load_dword v17, v10, s[0:3], 0 offen offset:12
	buffer_load_dword v18, v10, s[0:3], 0 offen
	buffer_load_dword v19, v10, s[0:3], 0 offen offset:4
	ds_read_b128 v[12:15], v9
	v_add_u32_e32 v8, 1, v8
	v_cmp_lt_u32_e32 vcc, 12, v8
	v_add_u32_e32 v9, 16, v9
	v_add_u32_e32 v10, 16, v10
	s_or_b64 s[6:7], vcc, s[6:7]
	s_waitcnt vmcnt(2) lgkmcnt(0)
	v_mul_f64 v[20:21], v[14:15], v[16:17]
	v_mul_f64 v[16:17], v[12:13], v[16:17]
	s_waitcnt vmcnt(0)
	v_fma_f64 v[12:13], v[12:13], v[18:19], -v[20:21]
	v_fmac_f64_e32 v[16:17], v[14:15], v[18:19]
	v_add_f64 v[4:5], v[4:5], v[12:13]
	v_add_f64 v[2:3], v[2:3], v[16:17]
	s_andn2_b64 exec, exec, s[6:7]
	s_cbranch_execnz .LBB99_69
; %bb.70:
	s_or_b64 exec, exec, s[6:7]
	v_mov_b32_e32 v8, 0
	ds_read_b128 v[8:11], v8 offset:224
	s_waitcnt lgkmcnt(0)
	v_mul_f64 v[12:13], v[2:3], v[10:11]
	v_mul_f64 v[10:11], v[4:5], v[10:11]
	v_fma_f64 v[4:5], v[4:5], v[8:9], -v[12:13]
	v_fmac_f64_e32 v[10:11], v[2:3], v[8:9]
	buffer_store_dword v5, off, s[0:3], 0 offset:244
	buffer_store_dword v4, off, s[0:3], 0 offset:240
	buffer_store_dword v11, off, s[0:3], 0 offset:252
	buffer_store_dword v10, off, s[0:3], 0 offset:248
.LBB99_71:
	s_or_b64 exec, exec, s[4:5]
	v_accvgpr_read_b32 v5, a87
	s_waitcnt lgkmcnt(0)
	; wave barrier
	buffer_load_dword v2, v5, s[0:3], 0 offen
	buffer_load_dword v3, v5, s[0:3], 0 offen offset:4
	buffer_load_dword v4, v5, s[0:3], 0 offen offset:8
	s_nop 0
	buffer_load_dword v5, v5, s[0:3], 0 offen offset:12
	v_cmp_gt_u32_e32 vcc, 15, v0
	s_waitcnt vmcnt(0)
	ds_write_b128 v6, v[2:5]
	s_waitcnt lgkmcnt(0)
	; wave barrier
	s_waitcnt lgkmcnt(0)
	s_and_saveexec_b64 s[4:5], vcc
	s_cbranch_execz .LBB99_75
; %bb.72:
	v_pk_mov_b32 v[2:3], 0, 0
	v_add_u32_e32 v8, -1, v0
	v_add_u32_e32 v9, 0x240, v1
	v_add_u32_e32 v10, 16, v1
	s_mov_b64 s[6:7], 0
	v_pk_mov_b32 v[4:5], v[2:3], v[2:3] op_sel:[0,1]
.LBB99_73:                              ; =>This Inner Loop Header: Depth=1
	buffer_load_dword v16, v10, s[0:3], 0 offen offset:8
	buffer_load_dword v17, v10, s[0:3], 0 offen offset:12
	buffer_load_dword v18, v10, s[0:3], 0 offen
	buffer_load_dword v19, v10, s[0:3], 0 offen offset:4
	ds_read_b128 v[12:15], v9
	v_add_u32_e32 v8, 1, v8
	v_cmp_lt_u32_e32 vcc, 13, v8
	v_add_u32_e32 v9, 16, v9
	v_add_u32_e32 v10, 16, v10
	s_or_b64 s[6:7], vcc, s[6:7]
	s_waitcnt vmcnt(2) lgkmcnt(0)
	v_mul_f64 v[20:21], v[14:15], v[16:17]
	v_mul_f64 v[16:17], v[12:13], v[16:17]
	s_waitcnt vmcnt(0)
	v_fma_f64 v[12:13], v[12:13], v[18:19], -v[20:21]
	v_fmac_f64_e32 v[16:17], v[14:15], v[18:19]
	v_add_f64 v[4:5], v[4:5], v[12:13]
	v_add_f64 v[2:3], v[2:3], v[16:17]
	s_andn2_b64 exec, exec, s[6:7]
	s_cbranch_execnz .LBB99_73
; %bb.74:
	s_or_b64 exec, exec, s[6:7]
	v_mov_b32_e32 v8, 0
	ds_read_b128 v[8:11], v8 offset:240
	s_waitcnt lgkmcnt(0)
	v_mul_f64 v[12:13], v[2:3], v[10:11]
	v_mul_f64 v[10:11], v[4:5], v[10:11]
	v_fma_f64 v[4:5], v[4:5], v[8:9], -v[12:13]
	v_fmac_f64_e32 v[10:11], v[2:3], v[8:9]
	buffer_store_dword v5, off, s[0:3], 0 offset:260
	buffer_store_dword v4, off, s[0:3], 0 offset:256
	buffer_store_dword v11, off, s[0:3], 0 offset:268
	buffer_store_dword v10, off, s[0:3], 0 offset:264
.LBB99_75:
	s_or_b64 exec, exec, s[4:5]
	v_accvgpr_read_b32 v5, a86
	s_waitcnt lgkmcnt(0)
	; wave barrier
	buffer_load_dword v2, v5, s[0:3], 0 offen
	buffer_load_dword v3, v5, s[0:3], 0 offen offset:4
	buffer_load_dword v4, v5, s[0:3], 0 offen offset:8
	s_nop 0
	buffer_load_dword v5, v5, s[0:3], 0 offen offset:12
	v_cmp_gt_u32_e32 vcc, 16, v0
	s_waitcnt vmcnt(0)
	ds_write_b128 v6, v[2:5]
	s_waitcnt lgkmcnt(0)
	; wave barrier
	s_waitcnt lgkmcnt(0)
	s_and_saveexec_b64 s[4:5], vcc
	s_cbranch_execz .LBB99_79
; %bb.76:
	v_pk_mov_b32 v[2:3], 0, 0
	v_add_u32_e32 v8, -1, v0
	v_add_u32_e32 v9, 0x240, v1
	v_add_u32_e32 v10, 16, v1
	s_mov_b64 s[6:7], 0
	v_pk_mov_b32 v[4:5], v[2:3], v[2:3] op_sel:[0,1]
.LBB99_77:                              ; =>This Inner Loop Header: Depth=1
	buffer_load_dword v16, v10, s[0:3], 0 offen offset:8
	buffer_load_dword v17, v10, s[0:3], 0 offen offset:12
	buffer_load_dword v18, v10, s[0:3], 0 offen
	buffer_load_dword v19, v10, s[0:3], 0 offen offset:4
	ds_read_b128 v[12:15], v9
	v_add_u32_e32 v8, 1, v8
	v_cmp_lt_u32_e32 vcc, 14, v8
	v_add_u32_e32 v9, 16, v9
	v_add_u32_e32 v10, 16, v10
	s_or_b64 s[6:7], vcc, s[6:7]
	s_waitcnt vmcnt(2) lgkmcnt(0)
	v_mul_f64 v[20:21], v[14:15], v[16:17]
	v_mul_f64 v[16:17], v[12:13], v[16:17]
	s_waitcnt vmcnt(0)
	v_fma_f64 v[12:13], v[12:13], v[18:19], -v[20:21]
	v_fmac_f64_e32 v[16:17], v[14:15], v[18:19]
	v_add_f64 v[4:5], v[4:5], v[12:13]
	v_add_f64 v[2:3], v[2:3], v[16:17]
	s_andn2_b64 exec, exec, s[6:7]
	s_cbranch_execnz .LBB99_77
; %bb.78:
	s_or_b64 exec, exec, s[6:7]
	v_mov_b32_e32 v8, 0
	ds_read_b128 v[8:11], v8 offset:256
	s_waitcnt lgkmcnt(0)
	v_mul_f64 v[12:13], v[2:3], v[10:11]
	v_mul_f64 v[10:11], v[4:5], v[10:11]
	v_fma_f64 v[4:5], v[4:5], v[8:9], -v[12:13]
	v_fmac_f64_e32 v[10:11], v[2:3], v[8:9]
	buffer_store_dword v5, off, s[0:3], 0 offset:276
	buffer_store_dword v4, off, s[0:3], 0 offset:272
	buffer_store_dword v11, off, s[0:3], 0 offset:284
	buffer_store_dword v10, off, s[0:3], 0 offset:280
.LBB99_79:
	s_or_b64 exec, exec, s[4:5]
	v_accvgpr_read_b32 v5, a85
	s_waitcnt lgkmcnt(0)
	; wave barrier
	buffer_load_dword v2, v5, s[0:3], 0 offen
	buffer_load_dword v3, v5, s[0:3], 0 offen offset:4
	buffer_load_dword v4, v5, s[0:3], 0 offen offset:8
	s_nop 0
	buffer_load_dword v5, v5, s[0:3], 0 offen offset:12
	v_cmp_gt_u32_e32 vcc, 17, v0
	s_waitcnt vmcnt(0)
	ds_write_b128 v6, v[2:5]
	s_waitcnt lgkmcnt(0)
	; wave barrier
	s_waitcnt lgkmcnt(0)
	s_and_saveexec_b64 s[4:5], vcc
	s_cbranch_execz .LBB99_83
; %bb.80:
	v_pk_mov_b32 v[2:3], 0, 0
	v_add_u32_e32 v8, -1, v0
	v_add_u32_e32 v9, 0x240, v1
	v_add_u32_e32 v10, 16, v1
	s_mov_b64 s[6:7], 0
	v_pk_mov_b32 v[4:5], v[2:3], v[2:3] op_sel:[0,1]
.LBB99_81:                              ; =>This Inner Loop Header: Depth=1
	buffer_load_dword v16, v10, s[0:3], 0 offen offset:8
	buffer_load_dword v17, v10, s[0:3], 0 offen offset:12
	buffer_load_dword v18, v10, s[0:3], 0 offen
	buffer_load_dword v19, v10, s[0:3], 0 offen offset:4
	ds_read_b128 v[12:15], v9
	v_add_u32_e32 v8, 1, v8
	v_cmp_lt_u32_e32 vcc, 15, v8
	v_add_u32_e32 v9, 16, v9
	v_add_u32_e32 v10, 16, v10
	s_or_b64 s[6:7], vcc, s[6:7]
	s_waitcnt vmcnt(2) lgkmcnt(0)
	v_mul_f64 v[20:21], v[14:15], v[16:17]
	v_mul_f64 v[16:17], v[12:13], v[16:17]
	s_waitcnt vmcnt(0)
	v_fma_f64 v[12:13], v[12:13], v[18:19], -v[20:21]
	v_fmac_f64_e32 v[16:17], v[14:15], v[18:19]
	v_add_f64 v[4:5], v[4:5], v[12:13]
	v_add_f64 v[2:3], v[2:3], v[16:17]
	s_andn2_b64 exec, exec, s[6:7]
	s_cbranch_execnz .LBB99_81
; %bb.82:
	s_or_b64 exec, exec, s[6:7]
	v_mov_b32_e32 v8, 0
	ds_read_b128 v[8:11], v8 offset:272
	s_waitcnt lgkmcnt(0)
	v_mul_f64 v[12:13], v[2:3], v[10:11]
	v_mul_f64 v[10:11], v[4:5], v[10:11]
	v_fma_f64 v[4:5], v[4:5], v[8:9], -v[12:13]
	v_fmac_f64_e32 v[10:11], v[2:3], v[8:9]
	buffer_store_dword v5, off, s[0:3], 0 offset:292
	buffer_store_dword v4, off, s[0:3], 0 offset:288
	buffer_store_dword v11, off, s[0:3], 0 offset:300
	buffer_store_dword v10, off, s[0:3], 0 offset:296
.LBB99_83:
	s_or_b64 exec, exec, s[4:5]
	v_accvgpr_read_b32 v5, a84
	s_waitcnt lgkmcnt(0)
	; wave barrier
	buffer_load_dword v2, v5, s[0:3], 0 offen
	buffer_load_dword v3, v5, s[0:3], 0 offen offset:4
	buffer_load_dword v4, v5, s[0:3], 0 offen offset:8
	s_nop 0
	buffer_load_dword v5, v5, s[0:3], 0 offen offset:12
	v_cmp_gt_u32_e32 vcc, 18, v0
	s_waitcnt vmcnt(0)
	ds_write_b128 v6, v[2:5]
	s_waitcnt lgkmcnt(0)
	; wave barrier
	s_waitcnt lgkmcnt(0)
	s_and_saveexec_b64 s[4:5], vcc
	s_cbranch_execz .LBB99_87
; %bb.84:
	v_pk_mov_b32 v[2:3], 0, 0
	v_add_u32_e32 v8, -1, v0
	v_add_u32_e32 v9, 0x240, v1
	v_add_u32_e32 v10, 16, v1
	s_mov_b64 s[6:7], 0
	v_pk_mov_b32 v[4:5], v[2:3], v[2:3] op_sel:[0,1]
.LBB99_85:                              ; =>This Inner Loop Header: Depth=1
	buffer_load_dword v16, v10, s[0:3], 0 offen offset:8
	buffer_load_dword v17, v10, s[0:3], 0 offen offset:12
	buffer_load_dword v18, v10, s[0:3], 0 offen
	buffer_load_dword v19, v10, s[0:3], 0 offen offset:4
	ds_read_b128 v[12:15], v9
	v_add_u32_e32 v8, 1, v8
	v_cmp_lt_u32_e32 vcc, 16, v8
	v_add_u32_e32 v9, 16, v9
	v_add_u32_e32 v10, 16, v10
	s_or_b64 s[6:7], vcc, s[6:7]
	s_waitcnt vmcnt(2) lgkmcnt(0)
	v_mul_f64 v[20:21], v[14:15], v[16:17]
	v_mul_f64 v[16:17], v[12:13], v[16:17]
	s_waitcnt vmcnt(0)
	v_fma_f64 v[12:13], v[12:13], v[18:19], -v[20:21]
	v_fmac_f64_e32 v[16:17], v[14:15], v[18:19]
	v_add_f64 v[4:5], v[4:5], v[12:13]
	v_add_f64 v[2:3], v[2:3], v[16:17]
	s_andn2_b64 exec, exec, s[6:7]
	s_cbranch_execnz .LBB99_85
; %bb.86:
	s_or_b64 exec, exec, s[6:7]
	v_mov_b32_e32 v8, 0
	ds_read_b128 v[8:11], v8 offset:288
	s_waitcnt lgkmcnt(0)
	v_mul_f64 v[12:13], v[2:3], v[10:11]
	v_mul_f64 v[10:11], v[4:5], v[10:11]
	v_fma_f64 v[4:5], v[4:5], v[8:9], -v[12:13]
	v_fmac_f64_e32 v[10:11], v[2:3], v[8:9]
	buffer_store_dword v5, off, s[0:3], 0 offset:308
	buffer_store_dword v4, off, s[0:3], 0 offset:304
	buffer_store_dword v11, off, s[0:3], 0 offset:316
	buffer_store_dword v10, off, s[0:3], 0 offset:312
.LBB99_87:
	s_or_b64 exec, exec, s[4:5]
	v_accvgpr_read_b32 v5, a83
	s_waitcnt lgkmcnt(0)
	; wave barrier
	buffer_load_dword v2, v5, s[0:3], 0 offen
	buffer_load_dword v3, v5, s[0:3], 0 offen offset:4
	buffer_load_dword v4, v5, s[0:3], 0 offen offset:8
	s_nop 0
	buffer_load_dword v5, v5, s[0:3], 0 offen offset:12
	v_cmp_gt_u32_e32 vcc, 19, v0
	s_waitcnt vmcnt(0)
	ds_write_b128 v6, v[2:5]
	s_waitcnt lgkmcnt(0)
	; wave barrier
	s_waitcnt lgkmcnt(0)
	s_and_saveexec_b64 s[4:5], vcc
	s_cbranch_execz .LBB99_91
; %bb.88:
	v_pk_mov_b32 v[2:3], 0, 0
	v_add_u32_e32 v8, -1, v0
	v_add_u32_e32 v9, 0x240, v1
	v_add_u32_e32 v10, 16, v1
	s_mov_b64 s[6:7], 0
	v_pk_mov_b32 v[4:5], v[2:3], v[2:3] op_sel:[0,1]
.LBB99_89:                              ; =>This Inner Loop Header: Depth=1
	buffer_load_dword v16, v10, s[0:3], 0 offen offset:8
	buffer_load_dword v17, v10, s[0:3], 0 offen offset:12
	buffer_load_dword v18, v10, s[0:3], 0 offen
	buffer_load_dword v19, v10, s[0:3], 0 offen offset:4
	ds_read_b128 v[12:15], v9
	v_add_u32_e32 v8, 1, v8
	v_cmp_lt_u32_e32 vcc, 17, v8
	v_add_u32_e32 v9, 16, v9
	v_add_u32_e32 v10, 16, v10
	s_or_b64 s[6:7], vcc, s[6:7]
	s_waitcnt vmcnt(2) lgkmcnt(0)
	v_mul_f64 v[20:21], v[14:15], v[16:17]
	v_mul_f64 v[16:17], v[12:13], v[16:17]
	s_waitcnt vmcnt(0)
	v_fma_f64 v[12:13], v[12:13], v[18:19], -v[20:21]
	v_fmac_f64_e32 v[16:17], v[14:15], v[18:19]
	v_add_f64 v[4:5], v[4:5], v[12:13]
	v_add_f64 v[2:3], v[2:3], v[16:17]
	s_andn2_b64 exec, exec, s[6:7]
	s_cbranch_execnz .LBB99_89
; %bb.90:
	s_or_b64 exec, exec, s[6:7]
	v_mov_b32_e32 v8, 0
	ds_read_b128 v[8:11], v8 offset:304
	s_waitcnt lgkmcnt(0)
	v_mul_f64 v[12:13], v[2:3], v[10:11]
	v_mul_f64 v[10:11], v[4:5], v[10:11]
	v_fma_f64 v[4:5], v[4:5], v[8:9], -v[12:13]
	v_fmac_f64_e32 v[10:11], v[2:3], v[8:9]
	buffer_store_dword v5, off, s[0:3], 0 offset:324
	buffer_store_dword v4, off, s[0:3], 0 offset:320
	buffer_store_dword v11, off, s[0:3], 0 offset:332
	buffer_store_dword v10, off, s[0:3], 0 offset:328
.LBB99_91:
	s_or_b64 exec, exec, s[4:5]
	v_accvgpr_read_b32 v5, a82
	s_waitcnt lgkmcnt(0)
	; wave barrier
	buffer_load_dword v2, v5, s[0:3], 0 offen
	buffer_load_dword v3, v5, s[0:3], 0 offen offset:4
	buffer_load_dword v4, v5, s[0:3], 0 offen offset:8
	s_nop 0
	buffer_load_dword v5, v5, s[0:3], 0 offen offset:12
	v_cmp_gt_u32_e32 vcc, 20, v0
	s_waitcnt vmcnt(0)
	ds_write_b128 v6, v[2:5]
	s_waitcnt lgkmcnt(0)
	; wave barrier
	s_waitcnt lgkmcnt(0)
	s_and_saveexec_b64 s[4:5], vcc
	s_cbranch_execz .LBB99_95
; %bb.92:
	v_pk_mov_b32 v[2:3], 0, 0
	v_add_u32_e32 v8, -1, v0
	v_add_u32_e32 v9, 0x240, v1
	v_add_u32_e32 v10, 16, v1
	s_mov_b64 s[6:7], 0
	v_pk_mov_b32 v[4:5], v[2:3], v[2:3] op_sel:[0,1]
.LBB99_93:                              ; =>This Inner Loop Header: Depth=1
	buffer_load_dword v16, v10, s[0:3], 0 offen offset:8
	buffer_load_dword v17, v10, s[0:3], 0 offen offset:12
	buffer_load_dword v18, v10, s[0:3], 0 offen
	buffer_load_dword v19, v10, s[0:3], 0 offen offset:4
	ds_read_b128 v[12:15], v9
	v_add_u32_e32 v8, 1, v8
	v_cmp_lt_u32_e32 vcc, 18, v8
	v_add_u32_e32 v9, 16, v9
	v_add_u32_e32 v10, 16, v10
	s_or_b64 s[6:7], vcc, s[6:7]
	s_waitcnt vmcnt(2) lgkmcnt(0)
	v_mul_f64 v[20:21], v[14:15], v[16:17]
	v_mul_f64 v[16:17], v[12:13], v[16:17]
	s_waitcnt vmcnt(0)
	v_fma_f64 v[12:13], v[12:13], v[18:19], -v[20:21]
	v_fmac_f64_e32 v[16:17], v[14:15], v[18:19]
	v_add_f64 v[4:5], v[4:5], v[12:13]
	v_add_f64 v[2:3], v[2:3], v[16:17]
	s_andn2_b64 exec, exec, s[6:7]
	s_cbranch_execnz .LBB99_93
; %bb.94:
	s_or_b64 exec, exec, s[6:7]
	v_mov_b32_e32 v8, 0
	ds_read_b128 v[8:11], v8 offset:320
	s_waitcnt lgkmcnt(0)
	v_mul_f64 v[12:13], v[2:3], v[10:11]
	v_mul_f64 v[10:11], v[4:5], v[10:11]
	v_fma_f64 v[4:5], v[4:5], v[8:9], -v[12:13]
	v_fmac_f64_e32 v[10:11], v[2:3], v[8:9]
	buffer_store_dword v5, off, s[0:3], 0 offset:340
	buffer_store_dword v4, off, s[0:3], 0 offset:336
	buffer_store_dword v11, off, s[0:3], 0 offset:348
	buffer_store_dword v10, off, s[0:3], 0 offset:344
.LBB99_95:
	s_or_b64 exec, exec, s[4:5]
	v_accvgpr_read_b32 v5, a81
	s_waitcnt lgkmcnt(0)
	; wave barrier
	buffer_load_dword v2, v5, s[0:3], 0 offen
	buffer_load_dword v3, v5, s[0:3], 0 offen offset:4
	buffer_load_dword v4, v5, s[0:3], 0 offen offset:8
	s_nop 0
	buffer_load_dword v5, v5, s[0:3], 0 offen offset:12
	v_cmp_gt_u32_e32 vcc, 21, v0
	s_waitcnt vmcnt(0)
	ds_write_b128 v6, v[2:5]
	s_waitcnt lgkmcnt(0)
	; wave barrier
	s_waitcnt lgkmcnt(0)
	s_and_saveexec_b64 s[4:5], vcc
	s_cbranch_execz .LBB99_99
; %bb.96:
	v_pk_mov_b32 v[2:3], 0, 0
	v_add_u32_e32 v8, -1, v0
	v_add_u32_e32 v9, 0x240, v1
	v_add_u32_e32 v10, 16, v1
	s_mov_b64 s[6:7], 0
	v_pk_mov_b32 v[4:5], v[2:3], v[2:3] op_sel:[0,1]
.LBB99_97:                              ; =>This Inner Loop Header: Depth=1
	buffer_load_dword v16, v10, s[0:3], 0 offen offset:8
	buffer_load_dword v17, v10, s[0:3], 0 offen offset:12
	buffer_load_dword v18, v10, s[0:3], 0 offen
	buffer_load_dword v19, v10, s[0:3], 0 offen offset:4
	ds_read_b128 v[12:15], v9
	v_add_u32_e32 v8, 1, v8
	v_cmp_lt_u32_e32 vcc, 19, v8
	v_add_u32_e32 v9, 16, v9
	v_add_u32_e32 v10, 16, v10
	s_or_b64 s[6:7], vcc, s[6:7]
	s_waitcnt vmcnt(2) lgkmcnt(0)
	v_mul_f64 v[20:21], v[14:15], v[16:17]
	v_mul_f64 v[16:17], v[12:13], v[16:17]
	s_waitcnt vmcnt(0)
	v_fma_f64 v[12:13], v[12:13], v[18:19], -v[20:21]
	v_fmac_f64_e32 v[16:17], v[14:15], v[18:19]
	v_add_f64 v[4:5], v[4:5], v[12:13]
	v_add_f64 v[2:3], v[2:3], v[16:17]
	s_andn2_b64 exec, exec, s[6:7]
	s_cbranch_execnz .LBB99_97
; %bb.98:
	s_or_b64 exec, exec, s[6:7]
	v_mov_b32_e32 v8, 0
	ds_read_b128 v[8:11], v8 offset:336
	s_waitcnt lgkmcnt(0)
	v_mul_f64 v[12:13], v[2:3], v[10:11]
	v_mul_f64 v[10:11], v[4:5], v[10:11]
	v_fma_f64 v[4:5], v[4:5], v[8:9], -v[12:13]
	v_fmac_f64_e32 v[10:11], v[2:3], v[8:9]
	buffer_store_dword v5, off, s[0:3], 0 offset:356
	buffer_store_dword v4, off, s[0:3], 0 offset:352
	buffer_store_dword v11, off, s[0:3], 0 offset:364
	buffer_store_dword v10, off, s[0:3], 0 offset:360
.LBB99_99:
	s_or_b64 exec, exec, s[4:5]
	v_accvgpr_read_b32 v5, a80
	s_waitcnt lgkmcnt(0)
	; wave barrier
	buffer_load_dword v2, v5, s[0:3], 0 offen
	buffer_load_dword v3, v5, s[0:3], 0 offen offset:4
	buffer_load_dword v4, v5, s[0:3], 0 offen offset:8
	s_nop 0
	buffer_load_dword v5, v5, s[0:3], 0 offen offset:12
	v_cmp_gt_u32_e32 vcc, 22, v0
	s_waitcnt vmcnt(0)
	ds_write_b128 v6, v[2:5]
	s_waitcnt lgkmcnt(0)
	; wave barrier
	s_waitcnt lgkmcnt(0)
	s_and_saveexec_b64 s[4:5], vcc
	s_cbranch_execz .LBB99_103
; %bb.100:
	v_pk_mov_b32 v[2:3], 0, 0
	v_add_u32_e32 v8, -1, v0
	v_add_u32_e32 v9, 0x240, v1
	v_add_u32_e32 v10, 16, v1
	s_mov_b64 s[6:7], 0
	v_pk_mov_b32 v[4:5], v[2:3], v[2:3] op_sel:[0,1]
.LBB99_101:                             ; =>This Inner Loop Header: Depth=1
	buffer_load_dword v16, v10, s[0:3], 0 offen offset:8
	buffer_load_dword v17, v10, s[0:3], 0 offen offset:12
	buffer_load_dword v18, v10, s[0:3], 0 offen
	buffer_load_dword v19, v10, s[0:3], 0 offen offset:4
	ds_read_b128 v[12:15], v9
	v_add_u32_e32 v8, 1, v8
	v_cmp_lt_u32_e32 vcc, 20, v8
	v_add_u32_e32 v9, 16, v9
	v_add_u32_e32 v10, 16, v10
	s_or_b64 s[6:7], vcc, s[6:7]
	s_waitcnt vmcnt(2) lgkmcnt(0)
	v_mul_f64 v[20:21], v[14:15], v[16:17]
	v_mul_f64 v[16:17], v[12:13], v[16:17]
	s_waitcnt vmcnt(0)
	v_fma_f64 v[12:13], v[12:13], v[18:19], -v[20:21]
	v_fmac_f64_e32 v[16:17], v[14:15], v[18:19]
	v_add_f64 v[4:5], v[4:5], v[12:13]
	v_add_f64 v[2:3], v[2:3], v[16:17]
	s_andn2_b64 exec, exec, s[6:7]
	s_cbranch_execnz .LBB99_101
; %bb.102:
	s_or_b64 exec, exec, s[6:7]
	v_mov_b32_e32 v8, 0
	ds_read_b128 v[8:11], v8 offset:352
	s_waitcnt lgkmcnt(0)
	v_mul_f64 v[12:13], v[2:3], v[10:11]
	v_mul_f64 v[10:11], v[4:5], v[10:11]
	v_fma_f64 v[4:5], v[4:5], v[8:9], -v[12:13]
	v_fmac_f64_e32 v[10:11], v[2:3], v[8:9]
	buffer_store_dword v5, off, s[0:3], 0 offset:372
	buffer_store_dword v4, off, s[0:3], 0 offset:368
	buffer_store_dword v11, off, s[0:3], 0 offset:380
	buffer_store_dword v10, off, s[0:3], 0 offset:376
.LBB99_103:
	s_or_b64 exec, exec, s[4:5]
	v_accvgpr_read_b32 v5, a79
	s_waitcnt lgkmcnt(0)
	; wave barrier
	buffer_load_dword v2, v5, s[0:3], 0 offen
	buffer_load_dword v3, v5, s[0:3], 0 offen offset:4
	buffer_load_dword v4, v5, s[0:3], 0 offen offset:8
	s_nop 0
	buffer_load_dword v5, v5, s[0:3], 0 offen offset:12
	v_cmp_gt_u32_e32 vcc, 23, v0
	s_waitcnt vmcnt(0)
	ds_write_b128 v6, v[2:5]
	s_waitcnt lgkmcnt(0)
	; wave barrier
	s_waitcnt lgkmcnt(0)
	s_and_saveexec_b64 s[4:5], vcc
	s_cbranch_execz .LBB99_107
; %bb.104:
	v_pk_mov_b32 v[2:3], 0, 0
	v_add_u32_e32 v8, -1, v0
	v_add_u32_e32 v9, 0x240, v1
	v_add_u32_e32 v10, 16, v1
	s_mov_b64 s[6:7], 0
	v_pk_mov_b32 v[4:5], v[2:3], v[2:3] op_sel:[0,1]
.LBB99_105:                             ; =>This Inner Loop Header: Depth=1
	buffer_load_dword v16, v10, s[0:3], 0 offen offset:8
	buffer_load_dword v17, v10, s[0:3], 0 offen offset:12
	buffer_load_dword v18, v10, s[0:3], 0 offen
	buffer_load_dword v19, v10, s[0:3], 0 offen offset:4
	ds_read_b128 v[12:15], v9
	v_add_u32_e32 v8, 1, v8
	v_cmp_lt_u32_e32 vcc, 21, v8
	v_add_u32_e32 v9, 16, v9
	v_add_u32_e32 v10, 16, v10
	s_or_b64 s[6:7], vcc, s[6:7]
	s_waitcnt vmcnt(2) lgkmcnt(0)
	v_mul_f64 v[20:21], v[14:15], v[16:17]
	v_mul_f64 v[16:17], v[12:13], v[16:17]
	s_waitcnt vmcnt(0)
	v_fma_f64 v[12:13], v[12:13], v[18:19], -v[20:21]
	v_fmac_f64_e32 v[16:17], v[14:15], v[18:19]
	v_add_f64 v[4:5], v[4:5], v[12:13]
	v_add_f64 v[2:3], v[2:3], v[16:17]
	s_andn2_b64 exec, exec, s[6:7]
	s_cbranch_execnz .LBB99_105
; %bb.106:
	s_or_b64 exec, exec, s[6:7]
	v_mov_b32_e32 v8, 0
	ds_read_b128 v[8:11], v8 offset:368
	s_waitcnt lgkmcnt(0)
	v_mul_f64 v[12:13], v[2:3], v[10:11]
	v_mul_f64 v[10:11], v[4:5], v[10:11]
	v_fma_f64 v[4:5], v[4:5], v[8:9], -v[12:13]
	v_fmac_f64_e32 v[10:11], v[2:3], v[8:9]
	buffer_store_dword v5, off, s[0:3], 0 offset:388
	buffer_store_dword v4, off, s[0:3], 0 offset:384
	buffer_store_dword v11, off, s[0:3], 0 offset:396
	buffer_store_dword v10, off, s[0:3], 0 offset:392
.LBB99_107:
	s_or_b64 exec, exec, s[4:5]
	v_accvgpr_read_b32 v5, a78
	s_waitcnt lgkmcnt(0)
	; wave barrier
	buffer_load_dword v2, v5, s[0:3], 0 offen
	buffer_load_dword v3, v5, s[0:3], 0 offen offset:4
	buffer_load_dword v4, v5, s[0:3], 0 offen offset:8
	s_nop 0
	buffer_load_dword v5, v5, s[0:3], 0 offen offset:12
	v_cmp_gt_u32_e32 vcc, 24, v0
	;; [unrolled: 59-line block ×12, first 2 shown]
	s_waitcnt vmcnt(0)
	ds_write_b128 v6, v[2:5]
	s_waitcnt lgkmcnt(0)
	; wave barrier
	s_waitcnt lgkmcnt(0)
	s_and_saveexec_b64 s[4:5], vcc
	s_cbranch_execz .LBB99_151
; %bb.148:
	v_pk_mov_b32 v[2:3], 0, 0
	v_add_u32_e32 v8, -1, v0
	v_add_u32_e32 v9, 0x240, v1
	v_add_u32_e32 v10, 16, v1
	s_mov_b64 s[6:7], 0
	v_pk_mov_b32 v[4:5], v[2:3], v[2:3] op_sel:[0,1]
.LBB99_149:                             ; =>This Inner Loop Header: Depth=1
	buffer_load_dword v16, v10, s[0:3], 0 offen offset:8
	buffer_load_dword v17, v10, s[0:3], 0 offen offset:12
	buffer_load_dword v18, v10, s[0:3], 0 offen
	buffer_load_dword v19, v10, s[0:3], 0 offen offset:4
	ds_read_b128 v[12:15], v9
	v_add_u32_e32 v8, 1, v8
	v_cmp_lt_u32_e32 vcc, 32, v8
	v_add_u32_e32 v9, 16, v9
	v_add_u32_e32 v10, 16, v10
	s_or_b64 s[6:7], vcc, s[6:7]
	s_waitcnt vmcnt(2) lgkmcnt(0)
	v_mul_f64 v[20:21], v[14:15], v[16:17]
	v_mul_f64 v[16:17], v[12:13], v[16:17]
	s_waitcnt vmcnt(0)
	v_fma_f64 v[12:13], v[12:13], v[18:19], -v[20:21]
	v_fmac_f64_e32 v[16:17], v[14:15], v[18:19]
	v_add_f64 v[4:5], v[4:5], v[12:13]
	v_add_f64 v[2:3], v[2:3], v[16:17]
	s_andn2_b64 exec, exec, s[6:7]
	s_cbranch_execnz .LBB99_149
; %bb.150:
	s_or_b64 exec, exec, s[6:7]
	v_mov_b32_e32 v8, 0
	ds_read_b128 v[8:11], v8 offset:544
	s_waitcnt lgkmcnt(0)
	v_mul_f64 v[12:13], v[2:3], v[10:11]
	v_mul_f64 v[10:11], v[4:5], v[10:11]
	v_fma_f64 v[4:5], v[4:5], v[8:9], -v[12:13]
	v_fmac_f64_e32 v[10:11], v[2:3], v[8:9]
	buffer_store_dword v5, off, s[0:3], 0 offset:564
	buffer_store_dword v4, off, s[0:3], 0 offset:560
	;; [unrolled: 1-line block ×4, first 2 shown]
.LBB99_151:
	s_or_b64 exec, exec, s[4:5]
	s_waitcnt lgkmcnt(0)
	; wave barrier
	buffer_load_dword v2, v187, s[0:3], 0 offen
	buffer_load_dword v3, v187, s[0:3], 0 offen offset:4
	buffer_load_dword v4, v187, s[0:3], 0 offen offset:8
	;; [unrolled: 1-line block ×3, first 2 shown]
	v_cmp_ne_u32_e32 vcc, 35, v0
	s_waitcnt vmcnt(0)
	ds_write_b128 v6, v[2:5]
	s_waitcnt lgkmcnt(0)
	; wave barrier
	s_waitcnt lgkmcnt(0)
	s_and_saveexec_b64 s[4:5], vcc
	s_cbranch_execz .LBB99_155
; %bb.152:
	v_pk_mov_b32 v[2:3], 0, 0
	v_add_u32_e32 v6, 0x240, v1
	v_add_u32_e32 v1, 16, v1
	s_mov_b64 s[6:7], 0
	v_pk_mov_b32 v[4:5], v[2:3], v[2:3] op_sel:[0,1]
.LBB99_153:                             ; =>This Inner Loop Header: Depth=1
	buffer_load_dword v12, v1, s[0:3], 0 offen offset:8
	buffer_load_dword v13, v1, s[0:3], 0 offen offset:12
	buffer_load_dword v14, v1, s[0:3], 0 offen
	buffer_load_dword v15, v1, s[0:3], 0 offen offset:4
	ds_read_b128 v[8:11], v6
	v_add_u32_e32 v7, 1, v7
	v_cmp_lt_u32_e32 vcc, 33, v7
	v_add_u32_e32 v6, 16, v6
	v_add_u32_e32 v1, 16, v1
	s_or_b64 s[6:7], vcc, s[6:7]
	s_waitcnt vmcnt(2) lgkmcnt(0)
	v_mul_f64 v[16:17], v[10:11], v[12:13]
	v_mul_f64 v[12:13], v[8:9], v[12:13]
	s_waitcnt vmcnt(0)
	v_fma_f64 v[8:9], v[8:9], v[14:15], -v[16:17]
	v_fmac_f64_e32 v[12:13], v[10:11], v[14:15]
	v_add_f64 v[4:5], v[4:5], v[8:9]
	v_add_f64 v[2:3], v[2:3], v[12:13]
	s_andn2_b64 exec, exec, s[6:7]
	s_cbranch_execnz .LBB99_153
; %bb.154:
	s_or_b64 exec, exec, s[6:7]
	v_mov_b32_e32 v1, 0
	ds_read_b128 v[6:9], v1 offset:560
	s_waitcnt lgkmcnt(0)
	v_mul_f64 v[10:11], v[2:3], v[8:9]
	v_mul_f64 v[8:9], v[4:5], v[8:9]
	v_fma_f64 v[4:5], v[4:5], v[6:7], -v[10:11]
	v_fmac_f64_e32 v[8:9], v[2:3], v[6:7]
	buffer_store_dword v5, off, s[0:3], 0 offset:580
	buffer_store_dword v4, off, s[0:3], 0 offset:576
	;; [unrolled: 1-line block ×4, first 2 shown]
.LBB99_155:
	s_or_b64 exec, exec, s[4:5]
	s_mov_b64 s[6:7], -1
	s_waitcnt lgkmcnt(0)
	; wave barrier
.LBB99_156:
	s_and_b64 vcc, exec, s[6:7]
	s_cbranch_vccz .LBB99_158
; %bb.157:
	s_lshl_b64 s[4:5], s[8:9], 2
	s_add_u32 s4, s14, s4
	s_addc_u32 s5, s15, s5
	v_mov_b32_e32 v1, 0
	global_load_dword v1, v1, s[4:5]
	s_waitcnt vmcnt(0)
	v_cmp_ne_u32_e32 vcc, 0, v1
	s_cbranch_vccz .LBB99_159
.LBB99_158:
	s_endpgm
.LBB99_159:
	v_mov_b32_e32 v1, 0x240
	v_lshl_add_u32 v1, v0, 4, v1
	v_cmp_eq_u32_e32 vcc, 35, v0
	s_and_saveexec_b64 s[4:5], vcc
	s_cbranch_execz .LBB99_161
; %bb.160:
	v_accvgpr_read_b32 v5, a68
	buffer_load_dword v2, v5, s[0:3], 0 offen
	buffer_load_dword v3, v5, s[0:3], 0 offen offset:4
	buffer_load_dword v4, v5, s[0:3], 0 offen offset:8
	s_nop 0
	buffer_load_dword v5, v5, s[0:3], 0 offen offset:12
	v_mov_b32_e32 v6, 0
	buffer_store_dword v6, off, s[0:3], 0 offset:560
	buffer_store_dword v6, off, s[0:3], 0 offset:564
	;; [unrolled: 1-line block ×4, first 2 shown]
	s_waitcnt vmcnt(4)
	ds_write_b128 v1, v[2:5]
.LBB99_161:
	s_or_b64 exec, exec, s[4:5]
	s_waitcnt lgkmcnt(0)
	; wave barrier
	s_waitcnt lgkmcnt(0)
	buffer_load_dword v8, off, s[0:3], 0 offset:584
	buffer_load_dword v9, off, s[0:3], 0 offset:588
	buffer_load_dword v10, off, s[0:3], 0 offset:576
	buffer_load_dword v11, off, s[0:3], 0 offset:580
	buffer_load_dword v12, off, s[0:3], 0 offset:560
	buffer_load_dword v13, off, s[0:3], 0 offset:564
	buffer_load_dword v14, off, s[0:3], 0 offset:568
	buffer_load_dword v15, off, s[0:3], 0 offset:572
	v_mov_b32_e32 v2, 0
	ds_read_b128 v[4:7], v2 offset:1136
	v_cmp_lt_u32_e32 vcc, 33, v0
	s_waitcnt vmcnt(6) lgkmcnt(0)
	v_mul_f64 v[16:17], v[4:5], v[8:9]
	v_mul_f64 v[8:9], v[6:7], v[8:9]
	s_waitcnt vmcnt(4)
	v_fma_f64 v[4:5], v[4:5], v[10:11], -v[8:9]
	v_fmac_f64_e32 v[16:17], v[6:7], v[10:11]
	v_add_f64 v[4:5], v[4:5], 0
	v_add_f64 v[6:7], v[16:17], 0
	s_waitcnt vmcnt(2)
	v_add_f64 v[4:5], v[12:13], -v[4:5]
	s_waitcnt vmcnt(0)
	v_add_f64 v[6:7], v[14:15], -v[6:7]
	buffer_store_dword v4, off, s[0:3], 0 offset:560
	buffer_store_dword v5, off, s[0:3], 0 offset:564
	;; [unrolled: 1-line block ×4, first 2 shown]
	s_and_saveexec_b64 s[4:5], vcc
	s_cbranch_execz .LBB99_163
; %bb.162:
	v_accvgpr_read_b32 v3, a69
	buffer_load_dword v4, v3, s[0:3], 0 offen
	buffer_load_dword v5, v3, s[0:3], 0 offen offset:4
	buffer_load_dword v6, v3, s[0:3], 0 offen offset:8
	buffer_load_dword v7, v3, s[0:3], 0 offen offset:12
	s_nop 0
	buffer_store_dword v2, off, s[0:3], 0 offset:544
	buffer_store_dword v2, off, s[0:3], 0 offset:548
	;; [unrolled: 1-line block ×4, first 2 shown]
	s_waitcnt vmcnt(4)
	ds_write_b128 v1, v[4:7]
.LBB99_163:
	s_or_b64 exec, exec, s[4:5]
	s_waitcnt lgkmcnt(0)
	; wave barrier
	s_waitcnt lgkmcnt(0)
	buffer_load_dword v12, off, s[0:3], 0 offset:568
	buffer_load_dword v13, off, s[0:3], 0 offset:572
	;; [unrolled: 1-line block ×12, first 2 shown]
	ds_read_b128 v[4:7], v2 offset:1120
	ds_read_b128 v[8:11], v2 offset:1136
	v_cmp_lt_u32_e32 vcc, 32, v0
	s_waitcnt vmcnt(10) lgkmcnt(1)
	v_mul_f64 v[2:3], v[4:5], v[12:13]
	v_mul_f64 v[12:13], v[6:7], v[12:13]
	s_waitcnt vmcnt(8) lgkmcnt(0)
	v_mul_f64 v[24:25], v[8:9], v[14:15]
	v_mul_f64 v[14:15], v[10:11], v[14:15]
	s_waitcnt vmcnt(6)
	v_fma_f64 v[4:5], v[4:5], v[16:17], -v[12:13]
	v_fmac_f64_e32 v[2:3], v[6:7], v[16:17]
	s_waitcnt vmcnt(4)
	v_fma_f64 v[6:7], v[8:9], v[18:19], -v[14:15]
	v_add_f64 v[4:5], v[4:5], 0
	v_fmac_f64_e32 v[24:25], v[10:11], v[18:19]
	v_add_f64 v[2:3], v[2:3], 0
	v_add_f64 v[4:5], v[4:5], v[6:7]
	;; [unrolled: 1-line block ×3, first 2 shown]
	s_waitcnt vmcnt(2)
	v_add_f64 v[4:5], v[20:21], -v[4:5]
	s_waitcnt vmcnt(0)
	v_add_f64 v[2:3], v[22:23], -v[2:3]
	buffer_store_dword v4, off, s[0:3], 0 offset:544
	buffer_store_dword v5, off, s[0:3], 0 offset:548
	;; [unrolled: 1-line block ×4, first 2 shown]
	s_and_saveexec_b64 s[4:5], vcc
	s_cbranch_execz .LBB99_165
; %bb.164:
	v_accvgpr_read_b32 v5, a70
	buffer_load_dword v2, v5, s[0:3], 0 offen
	buffer_load_dword v3, v5, s[0:3], 0 offen offset:4
	buffer_load_dword v4, v5, s[0:3], 0 offen offset:8
	s_nop 0
	buffer_load_dword v5, v5, s[0:3], 0 offen offset:12
	v_mov_b32_e32 v6, 0
	buffer_store_dword v6, off, s[0:3], 0 offset:528
	buffer_store_dword v6, off, s[0:3], 0 offset:532
	;; [unrolled: 1-line block ×4, first 2 shown]
	s_waitcnt vmcnt(4)
	ds_write_b128 v1, v[2:5]
.LBB99_165:
	s_or_b64 exec, exec, s[4:5]
	s_waitcnt lgkmcnt(0)
	; wave barrier
	s_waitcnt lgkmcnt(0)
	buffer_load_dword v16, off, s[0:3], 0 offset:552
	buffer_load_dword v17, off, s[0:3], 0 offset:556
	;; [unrolled: 1-line block ×16, first 2 shown]
	v_mov_b32_e32 v2, 0
	ds_read_b128 v[4:7], v2 offset:1104
	ds_read_b128 v[8:11], v2 offset:1120
	;; [unrolled: 1-line block ×3, first 2 shown]
	v_cmp_lt_u32_e32 vcc, 31, v0
	s_waitcnt vmcnt(14) lgkmcnt(2)
	v_mul_f64 v[32:33], v[4:5], v[16:17]
	v_mul_f64 v[16:17], v[6:7], v[16:17]
	s_waitcnt vmcnt(12) lgkmcnt(1)
	v_mul_f64 v[34:35], v[8:9], v[18:19]
	v_mul_f64 v[18:19], v[10:11], v[18:19]
	s_waitcnt vmcnt(10) lgkmcnt(0)
	v_mul_f64 v[36:37], v[12:13], v[20:21]
	v_mul_f64 v[20:21], v[14:15], v[20:21]
	s_waitcnt vmcnt(8)
	v_fma_f64 v[4:5], v[4:5], v[22:23], -v[16:17]
	v_fmac_f64_e32 v[32:33], v[6:7], v[22:23]
	s_waitcnt vmcnt(6)
	v_fma_f64 v[6:7], v[8:9], v[24:25], -v[18:19]
	v_add_f64 v[4:5], v[4:5], 0
	v_fmac_f64_e32 v[34:35], v[10:11], v[24:25]
	s_waitcnt vmcnt(4)
	v_fma_f64 v[8:9], v[12:13], v[26:27], -v[20:21]
	v_add_f64 v[10:11], v[32:33], 0
	v_add_f64 v[4:5], v[4:5], v[6:7]
	v_fmac_f64_e32 v[36:37], v[14:15], v[26:27]
	v_add_f64 v[10:11], v[10:11], v[34:35]
	v_add_f64 v[4:5], v[4:5], v[8:9]
	;; [unrolled: 1-line block ×3, first 2 shown]
	s_waitcnt vmcnt(2)
	v_add_f64 v[4:5], v[28:29], -v[4:5]
	s_waitcnt vmcnt(0)
	v_add_f64 v[6:7], v[30:31], -v[6:7]
	buffer_store_dword v4, off, s[0:3], 0 offset:528
	buffer_store_dword v5, off, s[0:3], 0 offset:532
	;; [unrolled: 1-line block ×4, first 2 shown]
	s_and_saveexec_b64 s[4:5], vcc
	s_cbranch_execz .LBB99_167
; %bb.166:
	v_accvgpr_read_b32 v3, a71
	buffer_load_dword v4, v3, s[0:3], 0 offen
	buffer_load_dword v5, v3, s[0:3], 0 offen offset:4
	buffer_load_dword v6, v3, s[0:3], 0 offen offset:8
	;; [unrolled: 1-line block ×3, first 2 shown]
	s_nop 0
	buffer_store_dword v2, off, s[0:3], 0 offset:512
	buffer_store_dword v2, off, s[0:3], 0 offset:516
	;; [unrolled: 1-line block ×4, first 2 shown]
	s_waitcnt vmcnt(4)
	ds_write_b128 v1, v[4:7]
.LBB99_167:
	s_or_b64 exec, exec, s[4:5]
	s_waitcnt lgkmcnt(0)
	; wave barrier
	s_waitcnt lgkmcnt(0)
	buffer_load_dword v20, off, s[0:3], 0 offset:536
	buffer_load_dword v21, off, s[0:3], 0 offset:540
	;; [unrolled: 1-line block ×20, first 2 shown]
	ds_read_b128 v[4:7], v2 offset:1088
	ds_read_b128 v[8:11], v2 offset:1104
	;; [unrolled: 1-line block ×4, first 2 shown]
	v_cmp_lt_u32_e32 vcc, 30, v0
	s_waitcnt vmcnt(18) lgkmcnt(3)
	v_mul_f64 v[2:3], v[4:5], v[20:21]
	v_mul_f64 v[20:21], v[6:7], v[20:21]
	s_waitcnt vmcnt(16) lgkmcnt(2)
	v_mul_f64 v[40:41], v[8:9], v[22:23]
	v_mul_f64 v[22:23], v[10:11], v[22:23]
	;; [unrolled: 3-line block ×4, first 2 shown]
	s_waitcnt vmcnt(10)
	v_fma_f64 v[4:5], v[4:5], v[28:29], -v[20:21]
	v_fmac_f64_e32 v[2:3], v[6:7], v[28:29]
	s_waitcnt vmcnt(8)
	v_fma_f64 v[6:7], v[8:9], v[30:31], -v[22:23]
	v_add_f64 v[4:5], v[4:5], 0
	v_fmac_f64_e32 v[40:41], v[10:11], v[30:31]
	s_waitcnt vmcnt(6)
	v_fma_f64 v[8:9], v[12:13], v[32:33], -v[24:25]
	v_add_f64 v[2:3], v[2:3], 0
	v_add_f64 v[4:5], v[4:5], v[6:7]
	v_fmac_f64_e32 v[42:43], v[14:15], v[32:33]
	s_waitcnt vmcnt(4)
	v_fma_f64 v[10:11], v[16:17], v[34:35], -v[26:27]
	v_add_f64 v[2:3], v[2:3], v[40:41]
	v_add_f64 v[4:5], v[4:5], v[8:9]
	v_fmac_f64_e32 v[44:45], v[18:19], v[34:35]
	v_add_f64 v[2:3], v[2:3], v[42:43]
	v_add_f64 v[4:5], v[4:5], v[10:11]
	;; [unrolled: 1-line block ×3, first 2 shown]
	s_waitcnt vmcnt(2)
	v_add_f64 v[4:5], v[36:37], -v[4:5]
	s_waitcnt vmcnt(0)
	v_add_f64 v[2:3], v[38:39], -v[2:3]
	buffer_store_dword v4, off, s[0:3], 0 offset:512
	buffer_store_dword v5, off, s[0:3], 0 offset:516
	;; [unrolled: 1-line block ×4, first 2 shown]
	s_and_saveexec_b64 s[4:5], vcc
	s_cbranch_execz .LBB99_169
; %bb.168:
	v_accvgpr_read_b32 v5, a72
	buffer_load_dword v2, v5, s[0:3], 0 offen
	buffer_load_dword v3, v5, s[0:3], 0 offen offset:4
	buffer_load_dword v4, v5, s[0:3], 0 offen offset:8
	s_nop 0
	buffer_load_dword v5, v5, s[0:3], 0 offen offset:12
	v_mov_b32_e32 v6, 0
	buffer_store_dword v6, off, s[0:3], 0 offset:496
	buffer_store_dword v6, off, s[0:3], 0 offset:500
	;; [unrolled: 1-line block ×4, first 2 shown]
	s_waitcnt vmcnt(4)
	ds_write_b128 v1, v[2:5]
.LBB99_169:
	s_or_b64 exec, exec, s[4:5]
	s_waitcnt lgkmcnt(0)
	; wave barrier
	s_waitcnt lgkmcnt(0)
	buffer_load_dword v24, off, s[0:3], 0 offset:520
	buffer_load_dword v25, off, s[0:3], 0 offset:524
	;; [unrolled: 1-line block ×24, first 2 shown]
	v_mov_b32_e32 v2, 0
	ds_read_b128 v[4:7], v2 offset:1072
	ds_read_b128 v[8:11], v2 offset:1088
	;; [unrolled: 1-line block ×5, first 2 shown]
	v_cmp_lt_u32_e32 vcc, 29, v0
	s_waitcnt vmcnt(22) lgkmcnt(4)
	v_mul_f64 v[48:49], v[4:5], v[24:25]
	v_mul_f64 v[24:25], v[6:7], v[24:25]
	s_waitcnt vmcnt(20) lgkmcnt(3)
	v_mul_f64 v[50:51], v[8:9], v[26:27]
	v_mul_f64 v[26:27], v[10:11], v[26:27]
	;; [unrolled: 3-line block ×4, first 2 shown]
	s_waitcnt vmcnt(13) lgkmcnt(0)
	v_mul_f64 v[56:57], v[20:21], v[30:31]
	s_waitcnt vmcnt(11)
	v_fma_f64 v[4:5], v[4:5], v[36:37], -v[24:25]
	v_fmac_f64_e32 v[48:49], v[6:7], v[36:37]
	s_waitcnt vmcnt(9)
	v_fma_f64 v[6:7], v[8:9], v[38:39], -v[26:27]
	v_add_f64 v[4:5], v[4:5], 0
	v_fmac_f64_e32 v[50:51], v[10:11], v[38:39]
	s_waitcnt vmcnt(7)
	v_fmac_f64_e32 v[52:53], v[14:15], v[40:41]
	v_fma_f64 v[8:9], v[12:13], v[40:41], -v[28:29]
	v_add_f64 v[14:15], v[48:49], 0
	v_add_f64 v[4:5], v[4:5], v[6:7]
	v_mul_f64 v[30:31], v[22:23], v[30:31]
	s_waitcnt vmcnt(5)
	v_fma_f64 v[10:11], v[16:17], v[42:43], -v[34:35]
	v_add_f64 v[14:15], v[14:15], v[50:51]
	v_add_f64 v[4:5], v[4:5], v[8:9]
	v_fmac_f64_e32 v[54:55], v[18:19], v[42:43]
	s_waitcnt vmcnt(4)
	v_fma_f64 v[12:13], v[20:21], v[32:33], -v[30:31]
	v_add_f64 v[6:7], v[14:15], v[52:53]
	v_add_f64 v[4:5], v[4:5], v[10:11]
	v_fmac_f64_e32 v[56:57], v[22:23], v[32:33]
	v_add_f64 v[6:7], v[6:7], v[54:55]
	v_add_f64 v[4:5], v[4:5], v[12:13]
	;; [unrolled: 1-line block ×3, first 2 shown]
	s_waitcnt vmcnt(2)
	v_add_f64 v[4:5], v[44:45], -v[4:5]
	s_waitcnt vmcnt(0)
	v_add_f64 v[6:7], v[46:47], -v[6:7]
	buffer_store_dword v5, off, s[0:3], 0 offset:500
	buffer_store_dword v4, off, s[0:3], 0 offset:496
	;; [unrolled: 1-line block ×4, first 2 shown]
	s_and_saveexec_b64 s[4:5], vcc
	s_cbranch_execz .LBB99_171
; %bb.170:
	v_accvgpr_read_b32 v3, a73
	buffer_load_dword v4, v3, s[0:3], 0 offen
	buffer_load_dword v5, v3, s[0:3], 0 offen offset:4
	buffer_load_dword v6, v3, s[0:3], 0 offen offset:8
	;; [unrolled: 1-line block ×3, first 2 shown]
	s_nop 0
	buffer_store_dword v2, off, s[0:3], 0 offset:480
	buffer_store_dword v2, off, s[0:3], 0 offset:484
	;; [unrolled: 1-line block ×4, first 2 shown]
	s_waitcnt vmcnt(4)
	ds_write_b128 v1, v[4:7]
.LBB99_171:
	s_or_b64 exec, exec, s[4:5]
	s_waitcnt lgkmcnt(0)
	; wave barrier
	s_waitcnt lgkmcnt(0)
	ds_read_b128 v[4:7], v2 offset:1056
	ds_read_b128 v[8:11], v2 offset:1072
	;; [unrolled: 1-line block ×4, first 2 shown]
	buffer_load_dword v28, off, s[0:3], 0 offset:480
	buffer_load_dword v29, off, s[0:3], 0 offset:484
	;; [unrolled: 1-line block ×20, first 2 shown]
	v_cmp_lt_u32_e32 vcc, 28, v0
	s_waitcnt vmcnt(12) lgkmcnt(3)
	v_mul_f64 v[20:21], v[4:5], v[34:35]
	v_fmac_f64_e32 v[20:21], v[6:7], v[32:33]
	v_add_f64 v[20:21], v[20:21], 0
	v_mul_f64 v[6:7], v[6:7], v[34:35]
	s_waitcnt vmcnt(8) lgkmcnt(2)
	v_mul_f64 v[22:23], v[8:9], v[38:39]
	v_fmac_f64_e32 v[22:23], v[10:11], v[36:37]
	v_add_f64 v[20:21], v[20:21], v[22:23]
	v_fma_f64 v[4:5], v[4:5], v[32:33], -v[6:7]
	s_waitcnt vmcnt(4) lgkmcnt(1)
	v_mul_f64 v[22:23], v[12:13], v[42:43]
	v_fmac_f64_e32 v[22:23], v[14:15], v[40:41]
	v_add_f64 v[20:21], v[20:21], v[22:23]
	s_waitcnt vmcnt(0) lgkmcnt(0)
	v_mul_f64 v[22:23], v[16:17], v[46:47]
	v_fmac_f64_e32 v[22:23], v[18:19], v[44:45]
	v_add_f64 v[24:25], v[20:21], v[22:23]
	ds_read_b128 v[20:23], v2 offset:1120
	buffer_load_dword v49, off, s[0:3], 0 offset:564
	buffer_load_dword v48, off, s[0:3], 0 offset:560
	;; [unrolled: 1-line block ×4, first 2 shown]
	v_mul_f64 v[6:7], v[10:11], v[38:39]
	v_add_f64 v[4:5], v[4:5], 0
	v_fma_f64 v[6:7], v[8:9], v[36:37], -v[6:7]
	v_add_f64 v[4:5], v[4:5], v[6:7]
	v_mul_f64 v[6:7], v[14:15], v[42:43]
	v_fma_f64 v[6:7], v[12:13], v[40:41], -v[6:7]
	v_add_f64 v[4:5], v[4:5], v[6:7]
	v_mul_f64 v[6:7], v[18:19], v[46:47]
	v_fma_f64 v[6:7], v[16:17], v[44:45], -v[6:7]
	v_add_f64 v[4:5], v[4:5], v[6:7]
	s_waitcnt vmcnt(0) lgkmcnt(0)
	v_mul_f64 v[26:27], v[20:21], v[50:51]
	v_fmac_f64_e32 v[26:27], v[22:23], v[48:49]
	v_add_f64 v[52:53], v[24:25], v[26:27]
	ds_read_b128 v[24:27], v2 offset:1136
	buffer_load_dword v3, off, s[0:3], 0 offset:580
	buffer_load_dword v2, off, s[0:3], 0 offset:576
	;; [unrolled: 1-line block ×4, first 2 shown]
	v_mul_f64 v[6:7], v[22:23], v[50:51]
	v_fma_f64 v[6:7], v[20:21], v[48:49], -v[6:7]
	v_add_f64 v[4:5], v[4:5], v[6:7]
	s_waitcnt vmcnt(0) lgkmcnt(0)
	v_mul_f64 v[56:57], v[24:25], v[54:55]
	v_mul_f64 v[6:7], v[26:27], v[54:55]
	v_fmac_f64_e32 v[56:57], v[26:27], v[2:3]
	v_fma_f64 v[2:3], v[24:25], v[2:3], -v[6:7]
	v_add_f64 v[2:3], v[4:5], v[2:3]
	v_add_f64 v[52:53], v[52:53], v[56:57]
	v_add_f64 v[2:3], v[28:29], -v[2:3]
	v_add_f64 v[4:5], v[30:31], -v[52:53]
	buffer_store_dword v3, off, s[0:3], 0 offset:484
	buffer_store_dword v2, off, s[0:3], 0 offset:480
	buffer_store_dword v5, off, s[0:3], 0 offset:492
	buffer_store_dword v4, off, s[0:3], 0 offset:488
	s_and_saveexec_b64 s[4:5], vcc
	s_cbranch_execz .LBB99_173
; %bb.172:
	v_accvgpr_read_b32 v5, a74
	buffer_load_dword v2, v5, s[0:3], 0 offen
	buffer_load_dword v3, v5, s[0:3], 0 offen offset:4
	buffer_load_dword v4, v5, s[0:3], 0 offen offset:8
	s_nop 0
	buffer_load_dword v5, v5, s[0:3], 0 offen offset:12
	v_mov_b32_e32 v6, 0
	buffer_store_dword v6, off, s[0:3], 0 offset:464
	buffer_store_dword v6, off, s[0:3], 0 offset:468
	;; [unrolled: 1-line block ×4, first 2 shown]
	s_waitcnt vmcnt(4)
	ds_write_b128 v1, v[2:5]
.LBB99_173:
	s_or_b64 exec, exec, s[4:5]
	s_waitcnt lgkmcnt(0)
	; wave barrier
	s_waitcnt lgkmcnt(0)
	buffer_load_dword v32, off, s[0:3], 0 offset:488
	buffer_load_dword v33, off, s[0:3], 0 offset:492
	;; [unrolled: 1-line block ×32, first 2 shown]
	v_mov_b32_e32 v2, 0
	ds_read_b128 v[4:7], v2 offset:1040
	ds_read_b128 v[8:11], v2 offset:1056
	;; [unrolled: 1-line block ×7, first 2 shown]
	v_cmp_lt_u32_e32 vcc, 27, v0
	s_waitcnt vmcnt(30) lgkmcnt(6)
	v_mul_f64 v[64:65], v[4:5], v[32:33]
	v_mul_f64 v[32:33], v[6:7], v[32:33]
	s_waitcnt vmcnt(28) lgkmcnt(5)
	v_mul_f64 v[66:67], v[8:9], v[34:35]
	v_mul_f64 v[34:35], v[10:11], v[34:35]
	s_waitcnt vmcnt(26) lgkmcnt(4)
	v_mul_f64 v[68:69], v[12:13], v[36:37]
	v_mul_f64 v[36:37], v[14:15], v[36:37]
	s_waitcnt vmcnt(24) lgkmcnt(2)
	v_mul_f64 v[72:73], v[20:21], v[38:39]
	v_mul_f64 v[38:39], v[22:23], v[38:39]
	s_waitcnt vmcnt(21)
	v_mul_f64 v[70:71], v[16:17], v[42:43]
	v_mul_f64 v[42:43], v[18:19], v[42:43]
	s_waitcnt vmcnt(17) lgkmcnt(1)
	v_mul_f64 v[74:75], v[24:25], v[48:49]
	v_mul_f64 v[48:49], v[26:27], v[48:49]
	s_waitcnt vmcnt(16) lgkmcnt(0)
	v_mul_f64 v[76:77], v[28:29], v[44:45]
	v_mul_f64 v[44:45], v[30:31], v[44:45]
	s_waitcnt vmcnt(13)
	v_fma_f64 v[4:5], v[4:5], v[50:51], -v[32:33]
	v_fmac_f64_e32 v[64:65], v[6:7], v[50:51]
	s_waitcnt vmcnt(11)
	v_fma_f64 v[6:7], v[8:9], v[52:53], -v[34:35]
	v_add_f64 v[4:5], v[4:5], 0
	v_fmac_f64_e32 v[66:67], v[10:11], v[52:53]
	s_waitcnt vmcnt(9)
	v_fma_f64 v[8:9], v[12:13], v[54:55], -v[36:37]
	s_waitcnt vmcnt(7)
	v_fmac_f64_e32 v[70:71], v[18:19], v[56:57]
	v_add_f64 v[18:19], v[64:65], 0
	v_add_f64 v[4:5], v[4:5], v[6:7]
	v_fmac_f64_e32 v[68:69], v[14:15], v[54:55]
	v_fma_f64 v[10:11], v[16:17], v[56:57], -v[42:43]
	v_add_f64 v[18:19], v[18:19], v[66:67]
	v_add_f64 v[4:5], v[4:5], v[8:9]
	v_fma_f64 v[12:13], v[20:21], v[40:41], -v[38:39]
	v_add_f64 v[6:7], v[18:19], v[68:69]
	v_add_f64 v[4:5], v[4:5], v[10:11]
	v_fmac_f64_e32 v[72:73], v[22:23], v[40:41]
	s_waitcnt vmcnt(5)
	v_fma_f64 v[14:15], v[24:25], v[58:59], -v[48:49]
	v_add_f64 v[6:7], v[6:7], v[70:71]
	v_add_f64 v[4:5], v[4:5], v[12:13]
	v_fmac_f64_e32 v[74:75], v[26:27], v[58:59]
	s_waitcnt vmcnt(4)
	v_fma_f64 v[16:17], v[28:29], v[46:47], -v[44:45]
	v_add_f64 v[6:7], v[6:7], v[72:73]
	v_add_f64 v[4:5], v[4:5], v[14:15]
	v_fmac_f64_e32 v[76:77], v[30:31], v[46:47]
	v_add_f64 v[6:7], v[6:7], v[74:75]
	v_add_f64 v[4:5], v[4:5], v[16:17]
	;; [unrolled: 1-line block ×3, first 2 shown]
	s_waitcnt vmcnt(2)
	v_add_f64 v[4:5], v[60:61], -v[4:5]
	s_waitcnt vmcnt(0)
	v_add_f64 v[6:7], v[62:63], -v[6:7]
	buffer_store_dword v5, off, s[0:3], 0 offset:468
	buffer_store_dword v4, off, s[0:3], 0 offset:464
	;; [unrolled: 1-line block ×4, first 2 shown]
	s_and_saveexec_b64 s[4:5], vcc
	s_cbranch_execz .LBB99_175
; %bb.174:
	v_accvgpr_read_b32 v3, a75
	buffer_load_dword v4, v3, s[0:3], 0 offen
	buffer_load_dword v5, v3, s[0:3], 0 offen offset:4
	buffer_load_dword v6, v3, s[0:3], 0 offen offset:8
	;; [unrolled: 1-line block ×3, first 2 shown]
	s_nop 0
	buffer_store_dword v2, off, s[0:3], 0 offset:448
	buffer_store_dword v2, off, s[0:3], 0 offset:452
	;; [unrolled: 1-line block ×4, first 2 shown]
	s_waitcnt vmcnt(4)
	ds_write_b128 v1, v[4:7]
.LBB99_175:
	s_or_b64 exec, exec, s[4:5]
	s_waitcnt lgkmcnt(0)
	; wave barrier
	s_waitcnt lgkmcnt(0)
	buffer_load_dword v36, off, s[0:3], 0 offset:472
	buffer_load_dword v37, off, s[0:3], 0 offset:476
	;; [unrolled: 1-line block ×36, first 2 shown]
	ds_read_b128 v[4:7], v2 offset:1024
	ds_read_b128 v[8:11], v2 offset:1040
	ds_read_b128 v[12:15], v2 offset:1056
	ds_read_b128 v[16:19], v2 offset:1072
	ds_read_b128 v[20:23], v2 offset:1088
	ds_read_b128 v[24:27], v2 offset:1104
	ds_read_b128 v[28:31], v2 offset:1120
	ds_read_b128 v[32:35], v2 offset:1136
	v_cmp_lt_u32_e32 vcc, 26, v0
	s_waitcnt vmcnt(34) lgkmcnt(7)
	v_mul_f64 v[2:3], v[4:5], v[36:37]
	v_mul_f64 v[36:37], v[6:7], v[36:37]
	s_waitcnt vmcnt(32) lgkmcnt(6)
	v_mul_f64 v[72:73], v[8:9], v[38:39]
	v_mul_f64 v[38:39], v[10:11], v[38:39]
	;; [unrolled: 3-line block ×4, first 2 shown]
	s_waitcnt vmcnt(25)
	v_mul_f64 v[76:77], v[16:17], v[46:47]
	v_mul_f64 v[46:47], v[18:19], v[46:47]
	s_waitcnt vmcnt(23) lgkmcnt(1)
	v_mul_f64 v[82:83], v[28:29], v[48:49]
	v_mul_f64 v[48:49], v[30:31], v[48:49]
	s_waitcnt vmcnt(20)
	v_mul_f64 v[80:81], v[24:25], v[52:53]
	v_mul_f64 v[52:53], v[26:27], v[52:53]
	s_waitcnt vmcnt(18) lgkmcnt(0)
	v_mul_f64 v[84:85], v[32:33], v[54:55]
	s_waitcnt vmcnt(17)
	v_fmac_f64_e32 v[78:79], v[22:23], v[44:45]
	s_waitcnt vmcnt(16)
	v_fmac_f64_e32 v[82:83], v[30:31], v[50:51]
	s_waitcnt vmcnt(14)
	v_fma_f64 v[4:5], v[4:5], v[56:57], -v[36:37]
	v_fmac_f64_e32 v[2:3], v[6:7], v[56:57]
	s_waitcnt vmcnt(12)
	v_fma_f64 v[6:7], v[8:9], v[58:59], -v[38:39]
	v_add_f64 v[4:5], v[4:5], 0
	v_fmac_f64_e32 v[72:73], v[10:11], v[58:59]
	s_waitcnt vmcnt(10)
	v_fma_f64 v[8:9], v[12:13], v[60:61], -v[40:41]
	v_add_f64 v[2:3], v[2:3], 0
	v_add_f64 v[4:5], v[4:5], v[6:7]
	v_fmac_f64_e32 v[74:75], v[14:15], v[60:61]
	s_waitcnt vmcnt(8)
	v_fma_f64 v[10:11], v[16:17], v[62:63], -v[46:47]
	v_add_f64 v[2:3], v[2:3], v[72:73]
	v_add_f64 v[4:5], v[4:5], v[8:9]
	v_fmac_f64_e32 v[76:77], v[18:19], v[62:63]
	v_fma_f64 v[12:13], v[20:21], v[44:45], -v[42:43]
	v_add_f64 v[2:3], v[2:3], v[74:75]
	v_add_f64 v[4:5], v[4:5], v[10:11]
	s_waitcnt vmcnt(6)
	v_fma_f64 v[14:15], v[24:25], v[64:65], -v[52:53]
	v_add_f64 v[2:3], v[2:3], v[76:77]
	v_add_f64 v[4:5], v[4:5], v[12:13]
	v_fmac_f64_e32 v[80:81], v[26:27], v[64:65]
	v_fma_f64 v[16:17], v[28:29], v[50:51], -v[48:49]
	v_add_f64 v[2:3], v[2:3], v[78:79]
	v_add_f64 v[4:5], v[4:5], v[14:15]
	v_mul_f64 v[6:7], v[34:35], v[54:55]
	v_add_f64 v[2:3], v[2:3], v[80:81]
	v_add_f64 v[4:5], v[4:5], v[16:17]
	s_waitcnt vmcnt(4)
	v_fma_f64 v[6:7], v[32:33], v[66:67], -v[6:7]
	v_fmac_f64_e32 v[84:85], v[34:35], v[66:67]
	v_add_f64 v[2:3], v[2:3], v[82:83]
	v_add_f64 v[4:5], v[4:5], v[6:7]
	;; [unrolled: 1-line block ×3, first 2 shown]
	s_waitcnt vmcnt(2)
	v_add_f64 v[4:5], v[68:69], -v[4:5]
	s_waitcnt vmcnt(0)
	v_add_f64 v[2:3], v[70:71], -v[2:3]
	buffer_store_dword v5, off, s[0:3], 0 offset:452
	buffer_store_dword v4, off, s[0:3], 0 offset:448
	;; [unrolled: 1-line block ×4, first 2 shown]
	s_and_saveexec_b64 s[4:5], vcc
	s_cbranch_execz .LBB99_177
; %bb.176:
	v_accvgpr_read_b32 v5, a76
	buffer_load_dword v2, v5, s[0:3], 0 offen
	buffer_load_dword v3, v5, s[0:3], 0 offen offset:4
	buffer_load_dword v4, v5, s[0:3], 0 offen offset:8
	s_nop 0
	buffer_load_dword v5, v5, s[0:3], 0 offen offset:12
	v_mov_b32_e32 v6, 0
	buffer_store_dword v6, off, s[0:3], 0 offset:432
	buffer_store_dword v6, off, s[0:3], 0 offset:436
	;; [unrolled: 1-line block ×4, first 2 shown]
	s_waitcnt vmcnt(4)
	ds_write_b128 v1, v[2:5]
.LBB99_177:
	s_or_b64 exec, exec, s[4:5]
	s_waitcnt lgkmcnt(0)
	; wave barrier
	s_waitcnt lgkmcnt(0)
	buffer_load_dword v40, off, s[0:3], 0 offset:456
	buffer_load_dword v41, off, s[0:3], 0 offset:460
	;; [unrolled: 1-line block ×40, first 2 shown]
	v_mov_b32_e32 v6, 0
	ds_read_b128 v[2:5], v6 offset:1008
	ds_read_b128 v[8:11], v6 offset:1024
	;; [unrolled: 1-line block ×9, first 2 shown]
	v_cmp_lt_u32_e32 vcc, 25, v0
	s_waitcnt vmcnt(38) lgkmcnt(8)
	v_mul_f64 v[80:81], v[2:3], v[40:41]
	v_mul_f64 v[40:41], v[4:5], v[40:41]
	s_waitcnt vmcnt(36) lgkmcnt(7)
	v_mul_f64 v[82:83], v[8:9], v[42:43]
	v_mul_f64 v[42:43], v[10:11], v[42:43]
	s_waitcnt vmcnt(34) lgkmcnt(6)
	v_mul_f64 v[84:85], v[12:13], v[44:45]
	v_mul_f64 v[44:45], v[14:15], v[44:45]
	s_waitcnt vmcnt(32) lgkmcnt(4)
	v_mul_f64 v[88:89], v[20:21], v[46:47]
	s_waitcnt vmcnt(30)
	v_fmac_f64_e32 v[88:89], v[22:23], v[48:49]
	s_waitcnt vmcnt(28)
	v_mul_f64 v[86:87], v[16:17], v[50:51]
	v_mul_f64 v[50:51], v[18:19], v[50:51]
	s_waitcnt vmcnt(26) lgkmcnt(2)
	v_mul_f64 v[92:93], v[28:29], v[52:53]
	s_waitcnt vmcnt(24)
	v_fmac_f64_e32 v[92:93], v[30:31], v[54:55]
	s_waitcnt vmcnt(22)
	v_mul_f64 v[90:91], v[24:25], v[56:57]
	s_waitcnt vmcnt(18) lgkmcnt(1)
	v_mul_f64 v[94:95], v[32:33], v[62:63]
	s_waitcnt vmcnt(17) lgkmcnt(0)
	v_mul_f64 v[96:97], v[36:37], v[58:59]
	s_waitcnt vmcnt(15)
	v_fma_f64 v[2:3], v[2:3], v[64:65], -v[40:41]
	v_fmac_f64_e32 v[80:81], v[4:5], v[64:65]
	s_waitcnt vmcnt(13)
	v_fma_f64 v[4:5], v[8:9], v[66:67], -v[42:43]
	v_add_f64 v[2:3], v[2:3], 0
	s_waitcnt vmcnt(11)
	v_fma_f64 v[8:9], v[12:13], v[68:69], -v[44:45]
	v_add_f64 v[2:3], v[2:3], v[4:5]
	v_fmac_f64_e32 v[82:83], v[10:11], v[66:67]
	s_waitcnt vmcnt(9)
	v_fma_f64 v[10:11], v[16:17], v[70:71], -v[50:51]
	v_add_f64 v[2:3], v[2:3], v[8:9]
	v_mul_f64 v[8:9], v[22:23], v[46:47]
	v_add_f64 v[2:3], v[2:3], v[10:11]
	v_fma_f64 v[8:9], v[20:21], v[48:49], -v[8:9]
	v_add_f64 v[2:3], v[2:3], v[8:9]
	v_mul_f64 v[8:9], v[26:27], v[56:57]
	v_add_f64 v[12:13], v[80:81], 0
	s_waitcnt vmcnt(7)
	v_fma_f64 v[8:9], v[24:25], v[72:73], -v[8:9]
	v_fmac_f64_e32 v[84:85], v[14:15], v[68:69]
	v_add_f64 v[12:13], v[12:13], v[82:83]
	v_add_f64 v[2:3], v[2:3], v[8:9]
	v_mul_f64 v[8:9], v[30:31], v[52:53]
	v_fmac_f64_e32 v[86:87], v[18:19], v[70:71]
	v_add_f64 v[4:5], v[12:13], v[84:85]
	v_fma_f64 v[8:9], v[28:29], v[54:55], -v[8:9]
	v_add_f64 v[4:5], v[4:5], v[86:87]
	v_add_f64 v[2:3], v[2:3], v[8:9]
	v_mul_f64 v[8:9], v[34:35], v[62:63]
	v_fmac_f64_e32 v[90:91], v[26:27], v[72:73]
	v_add_f64 v[4:5], v[4:5], v[88:89]
	s_waitcnt vmcnt(5)
	v_fma_f64 v[8:9], v[32:33], v[74:75], -v[8:9]
	v_add_f64 v[4:5], v[4:5], v[90:91]
	v_add_f64 v[2:3], v[2:3], v[8:9]
	v_mul_f64 v[8:9], v[38:39], v[58:59]
	v_fmac_f64_e32 v[94:95], v[34:35], v[74:75]
	v_add_f64 v[4:5], v[4:5], v[92:93]
	s_waitcnt vmcnt(4)
	v_fma_f64 v[8:9], v[36:37], v[60:61], -v[8:9]
	v_fmac_f64_e32 v[96:97], v[38:39], v[60:61]
	v_add_f64 v[4:5], v[4:5], v[94:95]
	v_add_f64 v[2:3], v[2:3], v[8:9]
	;; [unrolled: 1-line block ×3, first 2 shown]
	s_waitcnt vmcnt(2)
	v_add_f64 v[2:3], v[76:77], -v[2:3]
	s_waitcnt vmcnt(0)
	v_add_f64 v[4:5], v[78:79], -v[4:5]
	buffer_store_dword v3, off, s[0:3], 0 offset:436
	buffer_store_dword v2, off, s[0:3], 0 offset:432
	;; [unrolled: 1-line block ×4, first 2 shown]
	s_and_saveexec_b64 s[4:5], vcc
	s_cbranch_execz .LBB99_179
; %bb.178:
	v_accvgpr_read_b32 v5, a77
	buffer_load_dword v2, v5, s[0:3], 0 offen
	buffer_load_dword v3, v5, s[0:3], 0 offen offset:4
	buffer_load_dword v4, v5, s[0:3], 0 offen offset:8
	s_nop 0
	buffer_load_dword v5, v5, s[0:3], 0 offen offset:12
	s_nop 0
	buffer_store_dword v6, off, s[0:3], 0 offset:416
	buffer_store_dword v6, off, s[0:3], 0 offset:420
	;; [unrolled: 1-line block ×4, first 2 shown]
	s_waitcnt vmcnt(4)
	ds_write_b128 v1, v[2:5]
.LBB99_179:
	s_or_b64 exec, exec, s[4:5]
	s_waitcnt lgkmcnt(0)
	; wave barrier
	s_waitcnt lgkmcnt(0)
	buffer_load_dword v4, off, s[0:3], 0 offset:432
	buffer_load_dword v5, off, s[0:3], 0 offset:436
	;; [unrolled: 1-line block ×44, first 2 shown]
	ds_read_b128 v[8:11], v6 offset:992
	ds_read_b128 v[12:15], v6 offset:1008
	;; [unrolled: 1-line block ×10, first 2 shown]
	v_cmp_lt_u32_e32 vcc, 24, v0
	s_waitcnt vmcnt(40) lgkmcnt(9)
	v_mul_f64 v[6:7], v[8:9], v[48:49]
	v_mul_f64 v[48:49], v[10:11], v[48:49]
	s_waitcnt vmcnt(38) lgkmcnt(8)
	v_mul_f64 v[88:89], v[12:13], v[50:51]
	v_mul_f64 v[50:51], v[14:15], v[50:51]
	v_fmac_f64_e32 v[6:7], v[10:11], v[4:5]
	v_fma_f64 v[4:5], v[8:9], v[4:5], -v[48:49]
	s_waitcnt vmcnt(36) lgkmcnt(7)
	v_mul_f64 v[90:91], v[16:17], v[2:3]
	v_add_f64 v[4:5], v[4:5], 0
	v_mul_f64 v[2:3], v[18:19], v[2:3]
	v_add_f64 v[6:7], v[6:7], 0
	s_waitcnt vmcnt(30) lgkmcnt(6)
	v_mul_f64 v[92:93], v[20:21], v[56:57]
	s_waitcnt lgkmcnt(5)
	v_mul_f64 v[94:95], v[24:25], v[52:53]
	v_fmac_f64_e32 v[94:95], v[26:27], v[54:55]
	s_waitcnt vmcnt(28) lgkmcnt(3)
	v_mul_f64 v[98:99], v[32:33], v[58:59]
	s_waitcnt vmcnt(26)
	v_fmac_f64_e32 v[98:99], v[34:35], v[60:61]
	s_waitcnt vmcnt(24)
	v_mul_f64 v[96:97], v[28:29], v[62:63]
	s_waitcnt vmcnt(22) lgkmcnt(1)
	v_mul_f64 v[102:103], v[40:41], v[64:65]
	s_waitcnt vmcnt(20)
	v_fmac_f64_e32 v[102:103], v[42:43], v[66:67]
	s_waitcnt vmcnt(18)
	v_mul_f64 v[100:101], v[36:37], v[68:69]
	s_waitcnt vmcnt(16) lgkmcnt(0)
	v_mul_f64 v[104:105], v[44:45], v[70:71]
	s_waitcnt vmcnt(14)
	v_fma_f64 v[8:9], v[12:13], v[72:73], -v[50:51]
	v_add_f64 v[4:5], v[4:5], v[8:9]
	s_waitcnt vmcnt(12)
	v_fma_f64 v[2:3], v[16:17], v[74:75], -v[2:3]
	v_add_f64 v[2:3], v[4:5], v[2:3]
	v_mul_f64 v[4:5], v[22:23], v[56:57]
	s_waitcnt vmcnt(10)
	v_fma_f64 v[4:5], v[20:21], v[76:77], -v[4:5]
	v_add_f64 v[2:3], v[2:3], v[4:5]
	v_mul_f64 v[4:5], v[26:27], v[52:53]
	v_fma_f64 v[4:5], v[24:25], v[54:55], -v[4:5]
	v_add_f64 v[2:3], v[2:3], v[4:5]
	v_mul_f64 v[4:5], v[30:31], v[62:63]
	s_waitcnt vmcnt(8)
	v_fma_f64 v[4:5], v[28:29], v[78:79], -v[4:5]
	v_fmac_f64_e32 v[88:89], v[14:15], v[72:73]
	v_add_f64 v[2:3], v[2:3], v[4:5]
	v_mul_f64 v[4:5], v[34:35], v[58:59]
	v_fmac_f64_e32 v[90:91], v[18:19], v[74:75]
	v_add_f64 v[6:7], v[6:7], v[88:89]
	v_fma_f64 v[4:5], v[32:33], v[60:61], -v[4:5]
	v_fmac_f64_e32 v[92:93], v[22:23], v[76:77]
	v_add_f64 v[6:7], v[6:7], v[90:91]
	v_add_f64 v[2:3], v[2:3], v[4:5]
	v_mul_f64 v[4:5], v[38:39], v[68:69]
	v_add_f64 v[6:7], v[6:7], v[92:93]
	s_waitcnt vmcnt(6)
	v_fma_f64 v[4:5], v[36:37], v[80:81], -v[4:5]
	v_fmac_f64_e32 v[96:97], v[30:31], v[78:79]
	v_add_f64 v[6:7], v[6:7], v[94:95]
	v_add_f64 v[2:3], v[2:3], v[4:5]
	v_mul_f64 v[4:5], v[42:43], v[64:65]
	v_add_f64 v[6:7], v[6:7], v[96:97]
	v_fma_f64 v[4:5], v[40:41], v[66:67], -v[4:5]
	v_fmac_f64_e32 v[100:101], v[38:39], v[80:81]
	v_add_f64 v[6:7], v[6:7], v[98:99]
	v_add_f64 v[2:3], v[2:3], v[4:5]
	v_mul_f64 v[4:5], v[46:47], v[70:71]
	v_add_f64 v[6:7], v[6:7], v[100:101]
	s_waitcnt vmcnt(4)
	v_fma_f64 v[4:5], v[44:45], v[82:83], -v[4:5]
	v_fmac_f64_e32 v[104:105], v[46:47], v[82:83]
	v_add_f64 v[6:7], v[6:7], v[102:103]
	v_add_f64 v[2:3], v[2:3], v[4:5]
	v_add_f64 v[6:7], v[6:7], v[104:105]
	s_waitcnt vmcnt(2)
	v_add_f64 v[2:3], v[84:85], -v[2:3]
	s_waitcnt vmcnt(0)
	v_add_f64 v[4:5], v[86:87], -v[6:7]
	buffer_store_dword v3, off, s[0:3], 0 offset:420
	buffer_store_dword v2, off, s[0:3], 0 offset:416
	;; [unrolled: 1-line block ×4, first 2 shown]
	s_and_saveexec_b64 s[4:5], vcc
	s_cbranch_execz .LBB99_181
; %bb.180:
	v_accvgpr_read_b32 v5, a78
	buffer_load_dword v2, v5, s[0:3], 0 offen
	buffer_load_dword v3, v5, s[0:3], 0 offen offset:4
	buffer_load_dword v4, v5, s[0:3], 0 offen offset:8
	s_nop 0
	buffer_load_dword v5, v5, s[0:3], 0 offen offset:12
	v_mov_b32_e32 v6, 0
	buffer_store_dword v6, off, s[0:3], 0 offset:400
	buffer_store_dword v6, off, s[0:3], 0 offset:404
	;; [unrolled: 1-line block ×4, first 2 shown]
	s_waitcnt vmcnt(4)
	ds_write_b128 v1, v[2:5]
.LBB99_181:
	s_or_b64 exec, exec, s[4:5]
	s_waitcnt lgkmcnt(0)
	; wave barrier
	s_waitcnt lgkmcnt(0)
	buffer_load_dword v2, off, s[0:3], 0 offset:416
	buffer_load_dword v3, off, s[0:3], 0 offset:420
	;; [unrolled: 1-line block ×48, first 2 shown]
	v_mov_b32_e32 v12, 0
	ds_read_b128 v[14:17], v12 offset:976
	ds_read_b128 v[18:21], v12 offset:992
	ds_read_b128 v[22:25], v12 offset:1008
	ds_read_b128 v[26:29], v12 offset:1024
	ds_read_b128 v[30:33], v12 offset:1040
	ds_read_b128 v[34:37], v12 offset:1056
	ds_read_b128 v[38:41], v12 offset:1072
	ds_read_b128 v[42:45], v12 offset:1088
	ds_read_b128 v[46:49], v12 offset:1104
	ds_read_b128 v[50:53], v12 offset:1120
	ds_read_b128 v[54:57], v12 offset:1136
	v_cmp_lt_u32_e32 vcc, 23, v0
	s_waitcnt vmcnt(44) lgkmcnt(10)
	v_mul_f64 v[96:97], v[14:15], v[6:7]
	v_mul_f64 v[6:7], v[16:17], v[6:7]
	v_fmac_f64_e32 v[96:97], v[16:17], v[2:3]
	v_fma_f64 v[2:3], v[14:15], v[2:3], -v[6:7]
	s_waitcnt vmcnt(40) lgkmcnt(9)
	v_mul_f64 v[98:99], v[18:19], v[8:9]
	v_mul_f64 v[6:7], v[20:21], v[8:9]
	v_fmac_f64_e32 v[98:99], v[20:21], v[4:5]
	v_add_f64 v[2:3], v[2:3], 0
	v_fma_f64 v[4:5], v[18:19], v[4:5], -v[6:7]
	v_add_f64 v[2:3], v[2:3], v[4:5]
	s_waitcnt vmcnt(38) lgkmcnt(8)
	v_mul_f64 v[4:5], v[24:25], v[10:11]
	v_mul_f64 v[100:101], v[22:23], v[10:11]
	v_add_f64 v[96:97], v[96:97], 0
	s_waitcnt vmcnt(32) lgkmcnt(7)
	v_mul_f64 v[102:103], v[26:27], v[62:63]
	v_add_f64 v[96:97], v[96:97], v[98:99]
	s_waitcnt lgkmcnt(6)
	v_mul_f64 v[104:105], v[30:31], v[58:59]
	v_fmac_f64_e32 v[104:105], v[32:33], v[60:61]
	s_waitcnt vmcnt(30) lgkmcnt(4)
	v_mul_f64 v[108:109], v[38:39], v[64:65]
	s_waitcnt vmcnt(26)
	v_mul_f64 v[106:107], v[34:35], v[68:69]
	v_fmac_f64_e32 v[108:109], v[40:41], v[66:67]
	s_waitcnt vmcnt(24) lgkmcnt(2)
	v_mul_f64 v[112:113], v[46:47], v[70:71]
	s_waitcnt vmcnt(22)
	v_fmac_f64_e32 v[112:113], v[48:49], v[72:73]
	s_waitcnt vmcnt(20)
	v_mul_f64 v[110:111], v[42:43], v[74:75]
	s_waitcnt vmcnt(16) lgkmcnt(1)
	v_mul_f64 v[114:115], v[50:51], v[80:81]
	s_waitcnt vmcnt(14)
	v_fma_f64 v[4:5], v[22:23], v[82:83], -v[4:5]
	v_add_f64 v[2:3], v[2:3], v[4:5]
	v_mul_f64 v[4:5], v[28:29], v[62:63]
	s_waitcnt vmcnt(12)
	v_fma_f64 v[4:5], v[26:27], v[84:85], -v[4:5]
	v_add_f64 v[2:3], v[2:3], v[4:5]
	v_mul_f64 v[4:5], v[32:33], v[58:59]
	v_fma_f64 v[4:5], v[30:31], v[60:61], -v[4:5]
	v_add_f64 v[2:3], v[2:3], v[4:5]
	v_mul_f64 v[4:5], v[36:37], v[68:69]
	s_waitcnt vmcnt(10)
	v_fma_f64 v[4:5], v[34:35], v[86:87], -v[4:5]
	v_add_f64 v[2:3], v[2:3], v[4:5]
	v_mul_f64 v[4:5], v[40:41], v[64:65]
	v_fma_f64 v[4:5], v[38:39], v[66:67], -v[4:5]
	v_fmac_f64_e32 v[100:101], v[24:25], v[82:83]
	v_add_f64 v[2:3], v[2:3], v[4:5]
	v_mul_f64 v[4:5], v[44:45], v[74:75]
	v_fmac_f64_e32 v[102:103], v[28:29], v[84:85]
	v_add_f64 v[96:97], v[96:97], v[100:101]
	s_waitcnt vmcnt(8)
	v_fma_f64 v[4:5], v[42:43], v[88:89], -v[4:5]
	v_add_f64 v[96:97], v[96:97], v[102:103]
	v_add_f64 v[2:3], v[2:3], v[4:5]
	v_mul_f64 v[4:5], v[48:49], v[70:71]
	v_fmac_f64_e32 v[106:107], v[36:37], v[86:87]
	v_add_f64 v[96:97], v[96:97], v[104:105]
	v_fma_f64 v[4:5], v[46:47], v[72:73], -v[4:5]
	v_add_f64 v[96:97], v[96:97], v[106:107]
	v_add_f64 v[2:3], v[2:3], v[4:5]
	v_mul_f64 v[4:5], v[52:53], v[80:81]
	v_fmac_f64_e32 v[110:111], v[44:45], v[88:89]
	v_add_f64 v[96:97], v[96:97], v[108:109]
	s_waitcnt vmcnt(6)
	v_fma_f64 v[4:5], v[50:51], v[90:91], -v[4:5]
	v_add_f64 v[96:97], v[96:97], v[110:111]
	v_add_f64 v[2:3], v[2:3], v[4:5]
	s_waitcnt vmcnt(5) lgkmcnt(0)
	v_mul_f64 v[4:5], v[56:57], v[76:77]
	v_fmac_f64_e32 v[114:115], v[52:53], v[90:91]
	v_add_f64 v[96:97], v[96:97], v[112:113]
	v_mul_f64 v[98:99], v[54:55], v[76:77]
	s_waitcnt vmcnt(4)
	v_fma_f64 v[4:5], v[54:55], v[78:79], -v[4:5]
	v_add_f64 v[96:97], v[96:97], v[114:115]
	v_fmac_f64_e32 v[98:99], v[56:57], v[78:79]
	v_add_f64 v[2:3], v[2:3], v[4:5]
	v_add_f64 v[96:97], v[96:97], v[98:99]
	s_waitcnt vmcnt(2)
	v_add_f64 v[2:3], v[92:93], -v[2:3]
	s_waitcnt vmcnt(0)
	v_add_f64 v[4:5], v[94:95], -v[96:97]
	buffer_store_dword v3, off, s[0:3], 0 offset:404
	buffer_store_dword v2, off, s[0:3], 0 offset:400
	;; [unrolled: 1-line block ×4, first 2 shown]
	s_and_saveexec_b64 s[4:5], vcc
	s_cbranch_execz .LBB99_183
; %bb.182:
	v_accvgpr_read_b32 v5, a79
	buffer_load_dword v2, v5, s[0:3], 0 offen
	buffer_load_dword v3, v5, s[0:3], 0 offen offset:4
	buffer_load_dword v4, v5, s[0:3], 0 offen offset:8
	s_nop 0
	buffer_load_dword v5, v5, s[0:3], 0 offen offset:12
	s_nop 0
	buffer_store_dword v12, off, s[0:3], 0 offset:384
	buffer_store_dword v12, off, s[0:3], 0 offset:388
	;; [unrolled: 1-line block ×4, first 2 shown]
	s_waitcnt vmcnt(4)
	ds_write_b128 v1, v[2:5]
.LBB99_183:
	s_or_b64 exec, exec, s[4:5]
	s_waitcnt lgkmcnt(0)
	; wave barrier
	s_waitcnt lgkmcnt(0)
	buffer_load_dword v2, off, s[0:3], 0 offset:400
	buffer_load_dword v3, off, s[0:3], 0 offset:404
	;; [unrolled: 1-line block ×52, first 2 shown]
	ds_read_b128 v[14:17], v12 offset:960
	ds_read_b128 v[18:21], v12 offset:976
	;; [unrolled: 1-line block ×10, first 2 shown]
	v_cmp_lt_u32_e32 vcc, 22, v0
	s_waitcnt vmcnt(48) lgkmcnt(9)
	v_mul_f64 v[54:55], v[14:15], v[6:7]
	v_mul_f64 v[6:7], v[16:17], v[6:7]
	v_fmac_f64_e32 v[54:55], v[16:17], v[2:3]
	v_fma_f64 v[2:3], v[14:15], v[2:3], -v[6:7]
	s_waitcnt vmcnt(44) lgkmcnt(8)
	v_mul_f64 v[56:57], v[18:19], v[8:9]
	v_mul_f64 v[6:7], v[20:21], v[8:9]
	v_fmac_f64_e32 v[56:57], v[20:21], v[4:5]
	v_add_f64 v[2:3], v[2:3], 0
	v_fma_f64 v[4:5], v[18:19], v[4:5], -v[6:7]
	v_add_f64 v[2:3], v[2:3], v[4:5]
	s_waitcnt vmcnt(42) lgkmcnt(7)
	v_mul_f64 v[4:5], v[24:25], v[10:11]
	v_mul_f64 v[58:59], v[22:23], v[10:11]
	v_add_f64 v[54:55], v[54:55], 0
	s_waitcnt vmcnt(36) lgkmcnt(6)
	v_mul_f64 v[60:61], v[26:27], v[66:67]
	v_add_f64 v[54:55], v[54:55], v[56:57]
	s_waitcnt lgkmcnt(5)
	v_mul_f64 v[104:105], v[30:31], v[62:63]
	v_fmac_f64_e32 v[104:105], v[32:33], v[64:65]
	s_waitcnt vmcnt(34) lgkmcnt(3)
	v_mul_f64 v[108:109], v[38:39], v[68:69]
	s_waitcnt vmcnt(30)
	v_mul_f64 v[106:107], v[34:35], v[72:73]
	v_fmac_f64_e32 v[108:109], v[40:41], v[70:71]
	s_waitcnt vmcnt(26) lgkmcnt(2)
	v_mul_f64 v[110:111], v[42:43], v[78:79]
	s_waitcnt vmcnt(25) lgkmcnt(1)
	v_mul_f64 v[112:113], v[46:47], v[74:75]
	s_waitcnt vmcnt(23)
	v_fma_f64 v[4:5], v[22:23], v[80:81], -v[4:5]
	v_add_f64 v[2:3], v[2:3], v[4:5]
	v_mul_f64 v[4:5], v[28:29], v[66:67]
	s_waitcnt vmcnt(21)
	v_fma_f64 v[4:5], v[26:27], v[82:83], -v[4:5]
	v_fmac_f64_e32 v[58:59], v[24:25], v[80:81]
	v_add_f64 v[2:3], v[2:3], v[4:5]
	v_mul_f64 v[4:5], v[32:33], v[62:63]
	v_fmac_f64_e32 v[60:61], v[28:29], v[82:83]
	v_add_f64 v[54:55], v[54:55], v[58:59]
	v_fma_f64 v[4:5], v[30:31], v[64:65], -v[4:5]
	v_add_f64 v[54:55], v[54:55], v[60:61]
	v_add_f64 v[2:3], v[2:3], v[4:5]
	v_mul_f64 v[4:5], v[36:37], v[72:73]
	s_waitcnt vmcnt(19)
	v_fmac_f64_e32 v[106:107], v[36:37], v[84:85]
	v_add_f64 v[54:55], v[54:55], v[104:105]
	v_fma_f64 v[4:5], v[34:35], v[84:85], -v[4:5]
	v_add_f64 v[54:55], v[54:55], v[106:107]
	v_add_f64 v[2:3], v[2:3], v[4:5]
	v_mul_f64 v[4:5], v[40:41], v[68:69]
	s_waitcnt vmcnt(17)
	v_fmac_f64_e32 v[110:111], v[44:45], v[86:87]
	v_add_f64 v[54:55], v[54:55], v[108:109]
	v_fma_f64 v[4:5], v[38:39], v[70:71], -v[4:5]
	s_waitcnt vmcnt(16)
	v_fmac_f64_e32 v[112:113], v[48:49], v[76:77]
	v_add_f64 v[54:55], v[54:55], v[110:111]
	v_add_f64 v[2:3], v[2:3], v[4:5]
	v_mul_f64 v[4:5], v[44:45], v[78:79]
	v_add_f64 v[104:105], v[54:55], v[112:113]
	ds_read_b128 v[54:57], v12 offset:1120
	ds_read_b128 v[58:61], v12 offset:1136
	v_fma_f64 v[4:5], v[42:43], v[86:87], -v[4:5]
	v_add_f64 v[2:3], v[2:3], v[4:5]
	v_mul_f64 v[4:5], v[48:49], v[74:75]
	v_fma_f64 v[4:5], v[46:47], v[76:77], -v[4:5]
	v_add_f64 v[2:3], v[2:3], v[4:5]
	s_waitcnt vmcnt(12) lgkmcnt(2)
	v_mul_f64 v[4:5], v[52:53], v[92:93]
	v_mul_f64 v[106:107], v[50:51], v[92:93]
	s_waitcnt vmcnt(10)
	v_fma_f64 v[4:5], v[50:51], v[94:95], -v[4:5]
	v_fmac_f64_e32 v[106:107], v[52:53], v[94:95]
	v_add_f64 v[2:3], v[2:3], v[4:5]
	s_waitcnt vmcnt(8) lgkmcnt(1)
	v_mul_f64 v[4:5], v[56:57], v[88:89]
	v_add_f64 v[12:13], v[104:105], v[106:107]
	v_mul_f64 v[104:105], v[54:55], v[88:89]
	v_fma_f64 v[4:5], v[54:55], v[90:91], -v[4:5]
	v_fmac_f64_e32 v[104:105], v[56:57], v[90:91]
	v_add_f64 v[2:3], v[2:3], v[4:5]
	s_waitcnt vmcnt(6) lgkmcnt(0)
	v_mul_f64 v[4:5], v[60:61], v[96:97]
	v_add_f64 v[12:13], v[12:13], v[104:105]
	v_mul_f64 v[104:105], v[58:59], v[96:97]
	s_waitcnt vmcnt(4)
	v_fma_f64 v[4:5], v[58:59], v[98:99], -v[4:5]
	v_fmac_f64_e32 v[104:105], v[60:61], v[98:99]
	v_add_f64 v[2:3], v[2:3], v[4:5]
	v_add_f64 v[12:13], v[12:13], v[104:105]
	s_waitcnt vmcnt(2)
	v_add_f64 v[2:3], v[100:101], -v[2:3]
	s_waitcnt vmcnt(0)
	v_add_f64 v[4:5], v[102:103], -v[12:13]
	buffer_store_dword v3, off, s[0:3], 0 offset:388
	buffer_store_dword v2, off, s[0:3], 0 offset:384
	;; [unrolled: 1-line block ×4, first 2 shown]
	s_and_saveexec_b64 s[4:5], vcc
	s_cbranch_execz .LBB99_185
; %bb.184:
	v_accvgpr_read_b32 v5, a80
	buffer_load_dword v2, v5, s[0:3], 0 offen
	buffer_load_dword v3, v5, s[0:3], 0 offen offset:4
	buffer_load_dword v4, v5, s[0:3], 0 offen offset:8
	s_nop 0
	buffer_load_dword v5, v5, s[0:3], 0 offen offset:12
	v_mov_b32_e32 v6, 0
	buffer_store_dword v6, off, s[0:3], 0 offset:368
	buffer_store_dword v6, off, s[0:3], 0 offset:372
	;; [unrolled: 1-line block ×4, first 2 shown]
	s_waitcnt vmcnt(4)
	ds_write_b128 v1, v[2:5]
.LBB99_185:
	s_or_b64 exec, exec, s[4:5]
	s_waitcnt lgkmcnt(0)
	; wave barrier
	s_waitcnt lgkmcnt(0)
	buffer_load_dword v2, off, s[0:3], 0 offset:384
	buffer_load_dword v3, off, s[0:3], 0 offset:388
	;; [unrolled: 1-line block ×56, first 2 shown]
	v_mov_b32_e32 v24, 0
	ds_read_b128 v[18:21], v24 offset:944
	ds_read_b128 v[26:29], v24 offset:960
	;; [unrolled: 1-line block ×9, first 2 shown]
	v_cmp_lt_u32_e32 vcc, 21, v0
	s_waitcnt vmcnt(52) lgkmcnt(8)
	v_mul_f64 v[54:55], v[18:19], v[6:7]
	v_fmac_f64_e32 v[54:55], v[20:21], v[2:3]
	v_mul_f64 v[6:7], v[20:21], v[6:7]
	v_add_f64 v[54:55], v[54:55], 0
	s_waitcnt vmcnt(48) lgkmcnt(7)
	v_mul_f64 v[56:57], v[26:27], v[8:9]
	v_fmac_f64_e32 v[56:57], v[28:29], v[4:5]
	s_waitcnt vmcnt(46) lgkmcnt(6)
	v_mul_f64 v[58:59], v[30:31], v[10:11]
	v_fma_f64 v[2:3], v[18:19], v[2:3], -v[6:7]
	v_mul_f64 v[6:7], v[28:29], v[8:9]
	v_add_f64 v[54:55], v[54:55], v[56:57]
	v_add_f64 v[2:3], v[2:3], 0
	v_fma_f64 v[4:5], v[26:27], v[4:5], -v[6:7]
	s_waitcnt vmcnt(40) lgkmcnt(5)
	v_mul_f64 v[60:61], v[34:35], v[16:17]
	s_waitcnt lgkmcnt(4)
	v_mul_f64 v[62:63], v[38:39], v[12:13]
	v_add_f64 v[2:3], v[2:3], v[4:5]
	v_mul_f64 v[4:5], v[32:33], v[10:11]
	s_waitcnt vmcnt(36) lgkmcnt(3)
	v_mul_f64 v[64:65], v[42:43], v[76:77]
	v_fmac_f64_e32 v[62:63], v[40:41], v[14:15]
	s_waitcnt vmcnt(35) lgkmcnt(2)
	v_mul_f64 v[66:67], v[46:47], v[22:23]
	s_waitcnt vmcnt(33)
	v_fmac_f64_e32 v[58:59], v[32:33], v[78:79]
	v_add_f64 v[54:55], v[54:55], v[58:59]
	s_waitcnt vmcnt(31)
	v_fmac_f64_e32 v[60:61], v[36:37], v[80:81]
	v_add_f64 v[54:55], v[54:55], v[60:61]
	v_fma_f64 v[4:5], v[30:31], v[78:79], -v[4:5]
	s_waitcnt vmcnt(29)
	v_fmac_f64_e32 v[64:65], v[44:45], v[82:83]
	v_add_f64 v[54:55], v[54:55], v[62:63]
	v_add_f64 v[2:3], v[2:3], v[4:5]
	v_mul_f64 v[4:5], v[36:37], v[16:17]
	s_waitcnt vmcnt(28)
	v_fmac_f64_e32 v[66:67], v[48:49], v[74:75]
	v_add_f64 v[54:55], v[54:55], v[64:65]
	v_fma_f64 v[4:5], v[34:35], v[80:81], -v[4:5]
	v_add_f64 v[58:59], v[54:55], v[66:67]
	ds_read_b128 v[54:57], v24 offset:1072
	s_waitcnt vmcnt(24) lgkmcnt(2)
	v_mul_f64 v[60:61], v[50:51], v[88:89]
	v_add_f64 v[2:3], v[2:3], v[4:5]
	v_mul_f64 v[4:5], v[40:41], v[12:13]
	s_waitcnt vmcnt(22)
	v_fmac_f64_e32 v[60:61], v[52:53], v[90:91]
	v_fma_f64 v[4:5], v[38:39], v[14:15], -v[4:5]
	v_add_f64 v[62:63], v[58:59], v[60:61]
	ds_read_b128 v[58:61], v24 offset:1088
	v_add_f64 v[2:3], v[2:3], v[4:5]
	v_mul_f64 v[4:5], v[44:45], v[76:77]
	v_fma_f64 v[4:5], v[42:43], v[82:83], -v[4:5]
	v_add_f64 v[2:3], v[2:3], v[4:5]
	v_mul_f64 v[4:5], v[48:49], v[22:23]
	s_waitcnt vmcnt(20) lgkmcnt(1)
	v_mul_f64 v[64:65], v[54:55], v[84:85]
	v_fma_f64 v[4:5], v[46:47], v[74:75], -v[4:5]
	v_fmac_f64_e32 v[64:65], v[56:57], v[86:87]
	v_add_f64 v[2:3], v[2:3], v[4:5]
	v_mul_f64 v[4:5], v[52:53], v[88:89]
	v_add_f64 v[66:67], v[62:63], v[64:65]
	ds_read_b128 v[62:65], v24 offset:1104
	s_waitcnt vmcnt(16) lgkmcnt(1)
	v_mul_f64 v[68:69], v[58:59], v[96:97]
	v_fma_f64 v[4:5], v[50:51], v[90:91], -v[4:5]
	s_waitcnt vmcnt(14)
	v_fmac_f64_e32 v[68:69], v[60:61], v[98:99]
	v_add_f64 v[2:3], v[2:3], v[4:5]
	v_mul_f64 v[4:5], v[56:57], v[84:85]
	v_add_f64 v[112:113], v[66:67], v[68:69]
	ds_read_b128 v[66:69], v24 offset:1120
	v_fma_f64 v[4:5], v[54:55], v[86:87], -v[4:5]
	v_add_f64 v[2:3], v[2:3], v[4:5]
	v_mul_f64 v[4:5], v[60:61], v[96:97]
	v_fma_f64 v[4:5], v[58:59], v[98:99], -v[4:5]
	v_add_f64 v[2:3], v[2:3], v[4:5]
	s_waitcnt vmcnt(12) lgkmcnt(1)
	v_mul_f64 v[4:5], v[64:65], v[92:93]
	v_mul_f64 v[114:115], v[62:63], v[92:93]
	v_fma_f64 v[4:5], v[62:63], v[94:95], -v[4:5]
	v_fmac_f64_e32 v[114:115], v[64:65], v[94:95]
	v_add_f64 v[2:3], v[2:3], v[4:5]
	s_waitcnt vmcnt(8) lgkmcnt(0)
	v_mul_f64 v[4:5], v[68:69], v[104:105]
	v_add_f64 v[112:113], v[112:113], v[114:115]
	v_mul_f64 v[114:115], v[66:67], v[104:105]
	s_waitcnt vmcnt(6)
	v_fma_f64 v[4:5], v[66:67], v[106:107], -v[4:5]
	v_fmac_f64_e32 v[114:115], v[68:69], v[106:107]
	v_add_f64 v[2:3], v[2:3], v[4:5]
	s_waitcnt vmcnt(5)
	v_mul_f64 v[4:5], v[72:73], v[100:101]
	v_add_f64 v[112:113], v[112:113], v[114:115]
	v_mul_f64 v[114:115], v[70:71], v[100:101]
	s_waitcnt vmcnt(4)
	v_fma_f64 v[4:5], v[70:71], v[102:103], -v[4:5]
	v_fmac_f64_e32 v[114:115], v[72:73], v[102:103]
	v_add_f64 v[2:3], v[2:3], v[4:5]
	v_add_f64 v[112:113], v[112:113], v[114:115]
	s_waitcnt vmcnt(2)
	v_add_f64 v[2:3], v[108:109], -v[2:3]
	s_waitcnt vmcnt(0)
	v_add_f64 v[4:5], v[110:111], -v[112:113]
	buffer_store_dword v3, off, s[0:3], 0 offset:372
	buffer_store_dword v2, off, s[0:3], 0 offset:368
	;; [unrolled: 1-line block ×4, first 2 shown]
	s_and_saveexec_b64 s[4:5], vcc
	s_cbranch_execz .LBB99_187
; %bb.186:
	v_accvgpr_read_b32 v5, a81
	buffer_load_dword v2, v5, s[0:3], 0 offen
	buffer_load_dword v3, v5, s[0:3], 0 offen offset:4
	buffer_load_dword v4, v5, s[0:3], 0 offen offset:8
	s_nop 0
	buffer_load_dword v5, v5, s[0:3], 0 offen offset:12
	s_nop 0
	buffer_store_dword v24, off, s[0:3], 0 offset:352
	buffer_store_dword v24, off, s[0:3], 0 offset:356
	;; [unrolled: 1-line block ×4, first 2 shown]
	s_waitcnt vmcnt(4)
	ds_write_b128 v1, v[2:5]
.LBB99_187:
	s_or_b64 exec, exec, s[4:5]
	s_waitcnt lgkmcnt(0)
	; wave barrier
	s_waitcnt lgkmcnt(0)
	buffer_load_dword v2, off, s[0:3], 0 offset:368
	buffer_load_dword v3, off, s[0:3], 0 offset:372
	;; [unrolled: 1-line block ×60, first 2 shown]
	ds_read_b128 v[26:29], v24 offset:928
	ds_read_b128 v[30:33], v24 offset:944
	;; [unrolled: 1-line block ×8, first 2 shown]
	v_cmp_lt_u32_e32 vcc, 20, v0
	ds_read_b128 v[78:81], v24 offset:1136
	s_waitcnt vmcnt(56) lgkmcnt(8)
	v_mul_f64 v[58:59], v[26:27], v[6:7]
	v_fmac_f64_e32 v[58:59], v[28:29], v[2:3]
	v_add_f64 v[58:59], v[58:59], 0
	v_mul_f64 v[6:7], v[28:29], v[6:7]
	s_waitcnt vmcnt(52) lgkmcnt(7)
	v_mul_f64 v[60:61], v[30:31], v[8:9]
	v_fmac_f64_e32 v[60:61], v[32:33], v[4:5]
	s_waitcnt vmcnt(50) lgkmcnt(6)
	v_mul_f64 v[62:63], v[34:35], v[10:11]
	v_add_f64 v[58:59], v[58:59], v[60:61]
	s_waitcnt vmcnt(48) lgkmcnt(4)
	v_mul_f64 v[66:67], v[42:43], v[12:13]
	v_fma_f64 v[2:3], v[26:27], v[2:3], -v[6:7]
	s_waitcnt vmcnt(46)
	v_fmac_f64_e32 v[66:67], v[44:45], v[14:15]
	v_mul_f64 v[6:7], v[32:33], v[8:9]
	s_waitcnt vmcnt(44)
	v_mul_f64 v[64:65], v[38:39], v[16:17]
	v_add_f64 v[2:3], v[2:3], 0
	v_fma_f64 v[4:5], v[30:31], v[4:5], -v[6:7]
	v_add_f64 v[2:3], v[2:3], v[4:5]
	s_waitcnt vmcnt(40) lgkmcnt(3)
	v_mul_f64 v[68:69], v[46:47], v[22:23]
	v_mul_f64 v[4:5], v[36:37], v[10:11]
	s_waitcnt vmcnt(38)
	v_fmac_f64_e32 v[62:63], v[36:37], v[82:83]
	v_add_f64 v[58:59], v[58:59], v[62:63]
	s_waitcnt vmcnt(36)
	v_fmac_f64_e32 v[64:65], v[40:41], v[84:85]
	v_add_f64 v[58:59], v[58:59], v[64:65]
	;; [unrolled: 3-line block ×3, first 2 shown]
	s_waitcnt vmcnt(32) lgkmcnt(2)
	v_mul_f64 v[60:61], v[50:51], v[18:19]
	v_add_f64 v[58:59], v[58:59], v[68:69]
	v_fmac_f64_e32 v[60:61], v[52:53], v[20:21]
	v_add_f64 v[62:63], v[58:59], v[60:61]
	ds_read_b128 v[58:61], v24 offset:1056
	v_fma_f64 v[4:5], v[34:35], v[82:83], -v[4:5]
	v_add_f64 v[2:3], v[2:3], v[4:5]
	v_mul_f64 v[4:5], v[40:41], v[16:17]
	v_fma_f64 v[4:5], v[38:39], v[84:85], -v[4:5]
	s_waitcnt vmcnt(28) lgkmcnt(2)
	v_mul_f64 v[64:65], v[54:55], v[92:93]
	v_add_f64 v[2:3], v[2:3], v[4:5]
	v_mul_f64 v[4:5], v[44:45], v[12:13]
	s_waitcnt vmcnt(26)
	v_fmac_f64_e32 v[64:65], v[56:57], v[94:95]
	v_fma_f64 v[4:5], v[42:43], v[14:15], -v[4:5]
	v_add_f64 v[66:67], v[62:63], v[64:65]
	ds_read_b128 v[62:65], v24 offset:1072
	s_waitcnt vmcnt(24) lgkmcnt(1)
	v_mul_f64 v[68:69], v[58:59], v[88:89]
	v_add_f64 v[2:3], v[2:3], v[4:5]
	v_mul_f64 v[4:5], v[48:49], v[22:23]
	v_fmac_f64_e32 v[68:69], v[60:61], v[90:91]
	v_fma_f64 v[4:5], v[46:47], v[86:87], -v[4:5]
	v_add_f64 v[70:71], v[66:67], v[68:69]
	ds_read_b128 v[66:69], v24 offset:1088
	v_add_f64 v[2:3], v[2:3], v[4:5]
	v_mul_f64 v[4:5], v[52:53], v[18:19]
	v_fma_f64 v[4:5], v[50:51], v[20:21], -v[4:5]
	v_add_f64 v[2:3], v[2:3], v[4:5]
	v_mul_f64 v[4:5], v[56:57], v[92:93]
	s_waitcnt vmcnt(20) lgkmcnt(1)
	v_mul_f64 v[72:73], v[62:63], v[100:101]
	v_fma_f64 v[4:5], v[54:55], v[94:95], -v[4:5]
	s_waitcnt vmcnt(18)
	v_fmac_f64_e32 v[72:73], v[64:65], v[102:103]
	v_add_f64 v[2:3], v[2:3], v[4:5]
	v_mul_f64 v[4:5], v[60:61], v[88:89]
	v_add_f64 v[74:75], v[70:71], v[72:73]
	ds_read_b128 v[70:73], v24 offset:1104
	s_waitcnt vmcnt(16) lgkmcnt(1)
	v_mul_f64 v[76:77], v[66:67], v[96:97]
	v_fma_f64 v[4:5], v[58:59], v[90:91], -v[4:5]
	v_fmac_f64_e32 v[76:77], v[68:69], v[98:99]
	v_add_f64 v[2:3], v[2:3], v[4:5]
	v_mul_f64 v[4:5], v[64:65], v[100:101]
	v_add_f64 v[122:123], v[74:75], v[76:77]
	ds_read_b128 v[74:77], v24 offset:1120
	v_fma_f64 v[4:5], v[62:63], v[102:103], -v[4:5]
	v_add_f64 v[2:3], v[2:3], v[4:5]
	v_mul_f64 v[4:5], v[68:69], v[96:97]
	v_fma_f64 v[4:5], v[66:67], v[98:99], -v[4:5]
	v_add_f64 v[2:3], v[2:3], v[4:5]
	s_waitcnt vmcnt(12) lgkmcnt(1)
	v_mul_f64 v[4:5], v[72:73], v[108:109]
	v_mul_f64 v[124:125], v[70:71], v[108:109]
	s_waitcnt vmcnt(10)
	v_fma_f64 v[4:5], v[70:71], v[110:111], -v[4:5]
	v_fmac_f64_e32 v[124:125], v[72:73], v[110:111]
	v_add_f64 v[2:3], v[2:3], v[4:5]
	s_waitcnt vmcnt(8) lgkmcnt(0)
	v_mul_f64 v[4:5], v[76:77], v[104:105]
	v_add_f64 v[24:25], v[122:123], v[124:125]
	v_mul_f64 v[122:123], v[74:75], v[104:105]
	v_fma_f64 v[4:5], v[74:75], v[106:107], -v[4:5]
	v_fmac_f64_e32 v[122:123], v[76:77], v[106:107]
	v_add_f64 v[2:3], v[2:3], v[4:5]
	s_waitcnt vmcnt(6)
	v_mul_f64 v[4:5], v[80:81], v[112:113]
	v_add_f64 v[24:25], v[24:25], v[122:123]
	v_mul_f64 v[122:123], v[78:79], v[112:113]
	s_waitcnt vmcnt(4)
	v_fma_f64 v[4:5], v[78:79], v[114:115], -v[4:5]
	v_fmac_f64_e32 v[122:123], v[80:81], v[114:115]
	v_add_f64 v[2:3], v[2:3], v[4:5]
	v_add_f64 v[24:25], v[24:25], v[122:123]
	s_waitcnt vmcnt(2)
	v_add_f64 v[2:3], v[116:117], -v[2:3]
	s_waitcnt vmcnt(0)
	v_add_f64 v[4:5], v[118:119], -v[24:25]
	buffer_store_dword v3, off, s[0:3], 0 offset:356
	buffer_store_dword v2, off, s[0:3], 0 offset:352
	;; [unrolled: 1-line block ×4, first 2 shown]
	s_and_saveexec_b64 s[4:5], vcc
	s_cbranch_execz .LBB99_189
; %bb.188:
	v_accvgpr_read_b32 v5, a82
	buffer_load_dword v2, v5, s[0:3], 0 offen
	buffer_load_dword v3, v5, s[0:3], 0 offen offset:4
	buffer_load_dword v4, v5, s[0:3], 0 offen offset:8
	s_nop 0
	buffer_load_dword v5, v5, s[0:3], 0 offen offset:12
	v_mov_b32_e32 v6, 0
	buffer_store_dword v6, off, s[0:3], 0 offset:336
	buffer_store_dword v6, off, s[0:3], 0 offset:340
	buffer_store_dword v6, off, s[0:3], 0 offset:344
	buffer_store_dword v6, off, s[0:3], 0 offset:348
	s_waitcnt vmcnt(4)
	ds_write_b128 v1, v[2:5]
.LBB99_189:
	s_or_b64 exec, exec, s[4:5]
	s_waitcnt lgkmcnt(0)
	; wave barrier
	s_waitcnt lgkmcnt(0)
	buffer_load_dword v2, off, s[0:3], 0 offset:352
	buffer_load_dword v3, off, s[0:3], 0 offset:356
	;; [unrolled: 1-line block ×64, first 2 shown]
	v_mov_b32_e32 v38, 0
	ds_read_b128 v[30:33], v38 offset:912
	ds_read_b128 v[34:37], v38 offset:928
	;; [unrolled: 1-line block ×7, first 2 shown]
	v_cmp_lt_u32_e32 vcc, 19, v0
	s_waitcnt vmcnt(60) lgkmcnt(6)
	v_mul_f64 v[56:57], v[30:31], v[6:7]
	v_fmac_f64_e32 v[56:57], v[32:33], v[2:3]
	v_add_f64 v[56:57], v[56:57], 0
	v_mul_f64 v[6:7], v[32:33], v[6:7]
	s_waitcnt vmcnt(56) lgkmcnt(5)
	v_mul_f64 v[58:59], v[34:35], v[8:9]
	v_fmac_f64_e32 v[58:59], v[36:37], v[4:5]
	s_waitcnt vmcnt(54) lgkmcnt(4)
	v_mul_f64 v[60:61], v[40:41], v[10:11]
	v_add_f64 v[56:57], v[56:57], v[58:59]
	v_fma_f64 v[2:3], v[30:31], v[2:3], -v[6:7]
	v_mul_f64 v[6:7], v[36:37], v[8:9]
	s_waitcnt vmcnt(50) lgkmcnt(3)
	v_mul_f64 v[62:63], v[44:45], v[16:17]
	s_waitcnt vmcnt(49) lgkmcnt(2)
	v_mul_f64 v[64:65], v[48:49], v[12:13]
	v_add_f64 v[2:3], v[2:3], 0
	s_waitcnt vmcnt(47)
	v_fmac_f64_e32 v[60:61], v[42:43], v[20:21]
	v_add_f64 v[56:57], v[56:57], v[60:61]
	s_waitcnt vmcnt(45)
	v_fmac_f64_e32 v[62:63], v[46:47], v[18:19]
	;; [unrolled: 3-line block ×3, first 2 shown]
	v_add_f64 v[60:61], v[56:57], v[64:65]
	ds_read_b128 v[56:59], v38 offset:1008
	s_waitcnt vmcnt(40) lgkmcnt(2)
	v_mul_f64 v[62:63], v[52:53], v[26:27]
	v_fma_f64 v[4:5], v[34:35], v[4:5], -v[6:7]
	s_waitcnt vmcnt(38)
	v_fmac_f64_e32 v[62:63], v[54:55], v[28:29]
	v_add_f64 v[64:65], v[60:61], v[62:63]
	ds_read_b128 v[60:63], v38 offset:1024
	s_waitcnt vmcnt(36) lgkmcnt(1)
	v_mul_f64 v[66:67], v[56:57], v[22:23]
	v_fmac_f64_e32 v[66:67], v[58:59], v[24:25]
	v_add_f64 v[2:3], v[2:3], v[4:5]
	v_mul_f64 v[4:5], v[42:43], v[10:11]
	v_add_f64 v[68:69], v[64:65], v[66:67]
	ds_read_b128 v[64:67], v38 offset:1040
	s_waitcnt vmcnt(32) lgkmcnt(1)
	v_mul_f64 v[70:71], v[60:61], v[96:97]
	v_fma_f64 v[4:5], v[40:41], v[20:21], -v[4:5]
	s_waitcnt vmcnt(30)
	v_fmac_f64_e32 v[70:71], v[62:63], v[98:99]
	v_add_f64 v[2:3], v[2:3], v[4:5]
	v_mul_f64 v[4:5], v[46:47], v[16:17]
	v_add_f64 v[72:73], v[68:69], v[70:71]
	ds_read_b128 v[68:71], v38 offset:1056
	v_fma_f64 v[4:5], v[44:45], v[18:19], -v[4:5]
	v_add_f64 v[2:3], v[2:3], v[4:5]
	v_mul_f64 v[4:5], v[50:51], v[12:13]
	v_fma_f64 v[4:5], v[48:49], v[14:15], -v[4:5]
	s_waitcnt vmcnt(28) lgkmcnt(1)
	v_mul_f64 v[74:75], v[64:65], v[92:93]
	v_add_f64 v[2:3], v[2:3], v[4:5]
	v_mul_f64 v[4:5], v[54:55], v[26:27]
	v_fmac_f64_e32 v[74:75], v[66:67], v[94:95]
	v_fma_f64 v[4:5], v[52:53], v[28:29], -v[4:5]
	v_add_f64 v[76:77], v[72:73], v[74:75]
	ds_read_b128 v[72:75], v38 offset:1072
	s_waitcnt vmcnt(24) lgkmcnt(1)
	v_mul_f64 v[78:79], v[68:69], v[104:105]
	v_add_f64 v[2:3], v[2:3], v[4:5]
	v_mul_f64 v[4:5], v[58:59], v[22:23]
	s_waitcnt vmcnt(22)
	v_fmac_f64_e32 v[78:79], v[70:71], v[106:107]
	v_fma_f64 v[4:5], v[56:57], v[24:25], -v[4:5]
	v_add_f64 v[80:81], v[76:77], v[78:79]
	ds_read_b128 v[76:79], v38 offset:1088
	v_add_f64 v[2:3], v[2:3], v[4:5]
	v_mul_f64 v[4:5], v[62:63], v[96:97]
	v_fma_f64 v[4:5], v[60:61], v[98:99], -v[4:5]
	v_add_f64 v[2:3], v[2:3], v[4:5]
	v_mul_f64 v[4:5], v[66:67], v[92:93]
	s_waitcnt vmcnt(20) lgkmcnt(1)
	v_mul_f64 v[82:83], v[72:73], v[100:101]
	v_fma_f64 v[4:5], v[64:65], v[94:95], -v[4:5]
	v_fmac_f64_e32 v[82:83], v[74:75], v[102:103]
	v_add_f64 v[2:3], v[2:3], v[4:5]
	v_mul_f64 v[4:5], v[70:71], v[104:105]
	v_add_f64 v[84:85], v[80:81], v[82:83]
	ds_read_b128 v[80:83], v38 offset:1104
	s_waitcnt vmcnt(16) lgkmcnt(1)
	v_mul_f64 v[86:87], v[76:77], v[112:113]
	v_fma_f64 v[4:5], v[68:69], v[106:107], -v[4:5]
	s_waitcnt vmcnt(14)
	v_fmac_f64_e32 v[86:87], v[78:79], v[114:115]
	v_add_f64 v[2:3], v[2:3], v[4:5]
	v_mul_f64 v[4:5], v[74:75], v[100:101]
	v_add_f64 v[130:131], v[84:85], v[86:87]
	ds_read_b128 v[84:87], v38 offset:1120
	v_fma_f64 v[4:5], v[72:73], v[102:103], -v[4:5]
	v_add_f64 v[2:3], v[2:3], v[4:5]
	v_mul_f64 v[4:5], v[78:79], v[112:113]
	v_fma_f64 v[4:5], v[76:77], v[114:115], -v[4:5]
	v_add_f64 v[2:3], v[2:3], v[4:5]
	s_waitcnt vmcnt(12) lgkmcnt(1)
	v_mul_f64 v[4:5], v[82:83], v[108:109]
	v_mul_f64 v[132:133], v[80:81], v[108:109]
	v_fma_f64 v[4:5], v[80:81], v[110:111], -v[4:5]
	v_fmac_f64_e32 v[132:133], v[82:83], v[110:111]
	v_add_f64 v[2:3], v[2:3], v[4:5]
	s_waitcnt vmcnt(8) lgkmcnt(0)
	v_mul_f64 v[4:5], v[86:87], v[122:123]
	v_add_f64 v[130:131], v[130:131], v[132:133]
	v_mul_f64 v[132:133], v[84:85], v[122:123]
	s_waitcnt vmcnt(6)
	v_fma_f64 v[4:5], v[84:85], v[124:125], -v[4:5]
	v_fmac_f64_e32 v[132:133], v[86:87], v[124:125]
	v_add_f64 v[2:3], v[2:3], v[4:5]
	s_waitcnt vmcnt(5)
	v_mul_f64 v[4:5], v[90:91], v[116:117]
	v_add_f64 v[130:131], v[130:131], v[132:133]
	v_mul_f64 v[132:133], v[88:89], v[116:117]
	s_waitcnt vmcnt(4)
	v_fma_f64 v[4:5], v[88:89], v[118:119], -v[4:5]
	v_fmac_f64_e32 v[132:133], v[90:91], v[118:119]
	v_add_f64 v[2:3], v[2:3], v[4:5]
	v_add_f64 v[130:131], v[130:131], v[132:133]
	s_waitcnt vmcnt(2)
	v_add_f64 v[2:3], v[126:127], -v[2:3]
	s_waitcnt vmcnt(0)
	v_add_f64 v[4:5], v[128:129], -v[130:131]
	buffer_store_dword v3, off, s[0:3], 0 offset:340
	buffer_store_dword v2, off, s[0:3], 0 offset:336
	buffer_store_dword v5, off, s[0:3], 0 offset:348
	buffer_store_dword v4, off, s[0:3], 0 offset:344
	s_and_saveexec_b64 s[4:5], vcc
	s_cbranch_execz .LBB99_191
; %bb.190:
	v_accvgpr_read_b32 v5, a83
	buffer_load_dword v2, v5, s[0:3], 0 offen
	buffer_load_dword v3, v5, s[0:3], 0 offen offset:4
	buffer_load_dword v4, v5, s[0:3], 0 offen offset:8
	s_nop 0
	buffer_load_dword v5, v5, s[0:3], 0 offen offset:12
	s_nop 0
	buffer_store_dword v38, off, s[0:3], 0 offset:320
	buffer_store_dword v38, off, s[0:3], 0 offset:324
	;; [unrolled: 1-line block ×4, first 2 shown]
	s_waitcnt vmcnt(4)
	ds_write_b128 v1, v[2:5]
.LBB99_191:
	s_or_b64 exec, exec, s[4:5]
	s_waitcnt lgkmcnt(0)
	; wave barrier
	s_waitcnt lgkmcnt(0)
	buffer_load_dword v2, off, s[0:3], 0 offset:336
	buffer_load_dword v3, off, s[0:3], 0 offset:340
	;; [unrolled: 1-line block ×64, first 2 shown]
	ds_read_b128 v[40:43], v38 offset:896
	ds_read_b128 v[44:47], v38 offset:912
	;; [unrolled: 1-line block ×4, first 2 shown]
	buffer_load_dword v134, off, s[0:3], 0 offset:320
	buffer_load_dword v135, off, s[0:3], 0 offset:324
	;; [unrolled: 1-line block ×4, first 2 shown]
	v_cmp_lt_u32_e32 vcc, 18, v0
	ds_read_b128 v[100:103], v38 offset:1136
	s_waitcnt vmcnt(62) lgkmcnt(4)
	v_mul_f64 v[56:57], v[40:41], v[4:5]
	v_fmac_f64_e32 v[56:57], v[42:43], v[2:3]
	s_waitcnt lgkmcnt(3)
	v_mul_f64 v[58:59], v[44:45], v[6:7]
	v_add_f64 v[56:57], v[56:57], 0
	s_waitcnt vmcnt(60) lgkmcnt(2)
	v_mul_f64 v[60:61], v[48:49], v[8:9]
	v_mul_f64 v[4:5], v[42:43], v[4:5]
	v_fma_f64 v[2:3], v[40:41], v[2:3], -v[4:5]
	v_mul_f64 v[4:5], v[46:47], v[6:7]
	s_waitcnt vmcnt(56) lgkmcnt(1)
	v_mul_f64 v[62:63], v[52:53], v[14:15]
	v_add_f64 v[2:3], v[2:3], 0
	s_waitcnt vmcnt(54)
	v_fmac_f64_e32 v[58:59], v[46:47], v[20:21]
	v_add_f64 v[64:65], v[56:57], v[58:59]
	ds_read_b128 v[56:59], v38 offset:960
	s_waitcnt vmcnt(52)
	v_fmac_f64_e32 v[60:61], v[50:51], v[18:19]
	v_add_f64 v[60:61], v[64:65], v[60:61]
	s_waitcnt vmcnt(50)
	v_fmac_f64_e32 v[62:63], v[54:55], v[16:17]
	v_add_f64 v[64:65], v[60:61], v[62:63]
	ds_read_b128 v[60:63], v38 offset:976
	s_waitcnt vmcnt(48) lgkmcnt(1)
	v_mul_f64 v[66:67], v[56:57], v[10:11]
	v_fmac_f64_e32 v[66:67], v[58:59], v[12:13]
	v_add_f64 v[68:69], v[64:65], v[66:67]
	ds_read_b128 v[64:67], v38 offset:992
	s_waitcnt vmcnt(44) lgkmcnt(1)
	v_mul_f64 v[70:71], v[60:61], v[26:27]
	s_waitcnt vmcnt(42)
	v_fmac_f64_e32 v[70:71], v[62:63], v[28:29]
	v_add_f64 v[72:73], v[68:69], v[70:71]
	ds_read_b128 v[68:71], v38 offset:1008
	s_waitcnt vmcnt(40) lgkmcnt(1)
	v_mul_f64 v[74:75], v[64:65], v[22:23]
	v_fmac_f64_e32 v[74:75], v[66:67], v[24:25]
	v_add_f64 v[76:77], v[72:73], v[74:75]
	ds_read_b128 v[72:75], v38 offset:1024
	v_fma_f64 v[4:5], v[44:45], v[20:21], -v[4:5]
	v_add_f64 v[2:3], v[2:3], v[4:5]
	v_mul_f64 v[4:5], v[50:51], v[8:9]
	s_waitcnt vmcnt(36) lgkmcnt(1)
	v_mul_f64 v[78:79], v[68:69], v[34:35]
	v_fma_f64 v[4:5], v[48:49], v[18:19], -v[4:5]
	s_waitcnt vmcnt(34)
	v_fmac_f64_e32 v[78:79], v[70:71], v[36:37]
	v_add_f64 v[2:3], v[2:3], v[4:5]
	v_mul_f64 v[4:5], v[54:55], v[14:15]
	v_add_f64 v[80:81], v[76:77], v[78:79]
	ds_read_b128 v[76:79], v38 offset:1040
	s_waitcnt vmcnt(32) lgkmcnt(1)
	v_mul_f64 v[82:83], v[72:73], v[30:31]
	v_fma_f64 v[4:5], v[52:53], v[16:17], -v[4:5]
	v_fmac_f64_e32 v[82:83], v[74:75], v[32:33]
	v_add_f64 v[2:3], v[2:3], v[4:5]
	v_mul_f64 v[4:5], v[58:59], v[10:11]
	v_add_f64 v[84:85], v[80:81], v[82:83]
	ds_read_b128 v[80:83], v38 offset:1056
	v_fma_f64 v[4:5], v[56:57], v[12:13], -v[4:5]
	v_add_f64 v[2:3], v[2:3], v[4:5]
	v_mul_f64 v[4:5], v[62:63], v[26:27]
	v_fma_f64 v[4:5], v[60:61], v[28:29], -v[4:5]
	s_waitcnt vmcnt(28) lgkmcnt(1)
	v_mul_f64 v[86:87], v[76:77], v[108:109]
	v_add_f64 v[2:3], v[2:3], v[4:5]
	v_mul_f64 v[4:5], v[66:67], v[22:23]
	s_waitcnt vmcnt(26)
	v_fmac_f64_e32 v[86:87], v[78:79], v[110:111]
	v_fma_f64 v[4:5], v[64:65], v[24:25], -v[4:5]
	v_add_f64 v[88:89], v[84:85], v[86:87]
	ds_read_b128 v[84:87], v38 offset:1072
	s_waitcnt vmcnt(24) lgkmcnt(1)
	v_mul_f64 v[90:91], v[80:81], v[104:105]
	v_add_f64 v[2:3], v[2:3], v[4:5]
	v_mul_f64 v[4:5], v[70:71], v[34:35]
	v_fmac_f64_e32 v[90:91], v[82:83], v[106:107]
	v_fma_f64 v[4:5], v[68:69], v[36:37], -v[4:5]
	v_add_f64 v[92:93], v[88:89], v[90:91]
	ds_read_b128 v[88:91], v38 offset:1088
	v_add_f64 v[2:3], v[2:3], v[4:5]
	v_mul_f64 v[4:5], v[74:75], v[30:31]
	v_fma_f64 v[4:5], v[72:73], v[32:33], -v[4:5]
	v_add_f64 v[2:3], v[2:3], v[4:5]
	v_mul_f64 v[4:5], v[78:79], v[108:109]
	s_waitcnt vmcnt(20) lgkmcnt(1)
	v_mul_f64 v[94:95], v[84:85], v[116:117]
	v_fma_f64 v[4:5], v[76:77], v[110:111], -v[4:5]
	s_waitcnt vmcnt(18)
	v_fmac_f64_e32 v[94:95], v[86:87], v[118:119]
	v_add_f64 v[2:3], v[2:3], v[4:5]
	v_mul_f64 v[4:5], v[82:83], v[104:105]
	v_add_f64 v[96:97], v[92:93], v[94:95]
	ds_read_b128 v[92:95], v38 offset:1104
	s_waitcnt vmcnt(16) lgkmcnt(1)
	v_mul_f64 v[98:99], v[88:89], v[112:113]
	v_fma_f64 v[4:5], v[80:81], v[106:107], -v[4:5]
	v_fmac_f64_e32 v[98:99], v[90:91], v[114:115]
	v_add_f64 v[2:3], v[2:3], v[4:5]
	v_mul_f64 v[4:5], v[86:87], v[116:117]
	v_add_f64 v[138:139], v[96:97], v[98:99]
	ds_read_b128 v[96:99], v38 offset:1120
	v_fma_f64 v[4:5], v[84:85], v[118:119], -v[4:5]
	v_add_f64 v[2:3], v[2:3], v[4:5]
	v_mul_f64 v[4:5], v[90:91], v[112:113]
	v_fma_f64 v[4:5], v[88:89], v[114:115], -v[4:5]
	v_add_f64 v[2:3], v[2:3], v[4:5]
	s_waitcnt vmcnt(12) lgkmcnt(1)
	v_mul_f64 v[4:5], v[94:95], v[126:127]
	v_mul_f64 v[140:141], v[92:93], v[126:127]
	s_waitcnt vmcnt(10)
	v_fma_f64 v[4:5], v[92:93], v[128:129], -v[4:5]
	v_fmac_f64_e32 v[140:141], v[94:95], v[128:129]
	v_add_f64 v[2:3], v[2:3], v[4:5]
	s_waitcnt vmcnt(8) lgkmcnt(0)
	v_mul_f64 v[4:5], v[98:99], v[122:123]
	v_add_f64 v[38:39], v[138:139], v[140:141]
	v_mul_f64 v[138:139], v[96:97], v[122:123]
	v_fma_f64 v[4:5], v[96:97], v[124:125], -v[4:5]
	v_fmac_f64_e32 v[138:139], v[98:99], v[124:125]
	v_add_f64 v[2:3], v[2:3], v[4:5]
	s_waitcnt vmcnt(6)
	v_mul_f64 v[4:5], v[102:103], v[130:131]
	v_add_f64 v[38:39], v[38:39], v[138:139]
	v_mul_f64 v[138:139], v[100:101], v[130:131]
	s_waitcnt vmcnt(4)
	v_fma_f64 v[4:5], v[100:101], v[132:133], -v[4:5]
	v_fmac_f64_e32 v[138:139], v[102:103], v[132:133]
	v_add_f64 v[2:3], v[2:3], v[4:5]
	v_add_f64 v[38:39], v[38:39], v[138:139]
	s_waitcnt vmcnt(2)
	v_add_f64 v[2:3], v[134:135], -v[2:3]
	s_waitcnt vmcnt(0)
	v_add_f64 v[4:5], v[136:137], -v[38:39]
	buffer_store_dword v3, off, s[0:3], 0 offset:324
	buffer_store_dword v2, off, s[0:3], 0 offset:320
	buffer_store_dword v5, off, s[0:3], 0 offset:332
	buffer_store_dword v4, off, s[0:3], 0 offset:328
	s_and_saveexec_b64 s[4:5], vcc
	s_cbranch_execz .LBB99_193
; %bb.192:
	v_accvgpr_read_b32 v5, a84
	buffer_load_dword v2, v5, s[0:3], 0 offen
	buffer_load_dword v3, v5, s[0:3], 0 offen offset:4
	buffer_load_dword v4, v5, s[0:3], 0 offen offset:8
	s_nop 0
	buffer_load_dword v5, v5, s[0:3], 0 offen offset:12
	v_mov_b32_e32 v6, 0
	buffer_store_dword v6, off, s[0:3], 0 offset:304
	buffer_store_dword v6, off, s[0:3], 0 offset:308
	;; [unrolled: 1-line block ×4, first 2 shown]
	s_waitcnt vmcnt(4)
	ds_write_b128 v1, v[2:5]
.LBB99_193:
	s_or_b64 exec, exec, s[4:5]
	s_waitcnt lgkmcnt(0)
	; wave barrier
	s_waitcnt lgkmcnt(0)
	buffer_load_dword v2, off, s[0:3], 0 offset:320
	buffer_load_dword v3, off, s[0:3], 0 offset:324
	;; [unrolled: 1-line block ×68, first 2 shown]
	v_mov_b32_e32 v52, 0
	ds_read_b128 v[42:45], v52 offset:880
	ds_read_b128 v[46:49], v52 offset:896
	buffer_load_dword v142, off, s[0:3], 0 offset:304
	buffer_load_dword v143, off, s[0:3], 0 offset:308
	;; [unrolled: 1-line block ×4, first 2 shown]
	ds_read_b128 v[54:57], v52 offset:912
	ds_read_b128 v[58:61], v52 offset:928
	ds_read_b128 v[110:113], v52 offset:1136
	v_cmp_lt_u32_e32 vcc, 17, v0
	s_waitcnt vmcnt(62) lgkmcnt(4)
	v_mul_f64 v[62:63], v[42:43], v[8:9]
	v_fmac_f64_e32 v[62:63], v[44:45], v[2:3]
	v_add_f64 v[62:63], v[62:63], 0
	v_mul_f64 v[8:9], v[44:45], v[8:9]
	s_waitcnt lgkmcnt(3)
	v_mul_f64 v[64:65], v[46:47], v[10:11]
	v_fmac_f64_e32 v[64:65], v[48:49], v[4:5]
	v_add_f64 v[62:63], v[62:63], v[64:65]
	v_fma_f64 v[2:3], v[42:43], v[2:3], -v[8:9]
	s_waitcnt vmcnt(60) lgkmcnt(2)
	v_mul_f64 v[64:65], v[54:55], v[12:13]
	v_fmac_f64_e32 v[64:65], v[56:57], v[6:7]
	v_add_f64 v[66:67], v[62:63], v[64:65]
	ds_read_b128 v[62:65], v52 offset:944
	s_waitcnt vmcnt(56) lgkmcnt(2)
	v_mul_f64 v[68:69], v[58:59], v[18:19]
	v_mul_f64 v[8:9], v[48:49], v[10:11]
	s_waitcnt vmcnt(54)
	v_fmac_f64_e32 v[68:69], v[60:61], v[20:21]
	v_add_f64 v[70:71], v[66:67], v[68:69]
	ds_read_b128 v[66:69], v52 offset:960
	s_waitcnt vmcnt(52) lgkmcnt(1)
	v_mul_f64 v[72:73], v[62:63], v[14:15]
	v_fmac_f64_e32 v[72:73], v[64:65], v[16:17]
	v_add_f64 v[74:75], v[70:71], v[72:73]
	ds_read_b128 v[70:73], v52 offset:976
	s_waitcnt vmcnt(48) lgkmcnt(1)
	v_mul_f64 v[76:77], v[66:67], v[26:27]
	s_waitcnt vmcnt(46)
	v_fmac_f64_e32 v[76:77], v[68:69], v[28:29]
	v_add_f64 v[78:79], v[74:75], v[76:77]
	ds_read_b128 v[74:77], v52 offset:992
	s_waitcnt vmcnt(44) lgkmcnt(1)
	v_mul_f64 v[80:81], v[70:71], v[22:23]
	v_fmac_f64_e32 v[80:81], v[72:73], v[24:25]
	v_add_f64 v[82:83], v[78:79], v[80:81]
	ds_read_b128 v[78:81], v52 offset:1008
	s_waitcnt vmcnt(40) lgkmcnt(1)
	v_mul_f64 v[84:85], v[74:75], v[34:35]
	s_waitcnt vmcnt(38)
	v_fmac_f64_e32 v[84:85], v[76:77], v[36:37]
	v_add_f64 v[2:3], v[2:3], 0
	v_fma_f64 v[4:5], v[46:47], v[4:5], -v[8:9]
	v_add_f64 v[86:87], v[82:83], v[84:85]
	ds_read_b128 v[82:85], v52 offset:1024
	v_add_f64 v[2:3], v[2:3], v[4:5]
	v_mul_f64 v[4:5], v[56:57], v[12:13]
	v_fma_f64 v[4:5], v[54:55], v[6:7], -v[4:5]
	v_add_f64 v[2:3], v[2:3], v[4:5]
	v_mul_f64 v[4:5], v[60:61], v[18:19]
	s_waitcnt vmcnt(36) lgkmcnt(1)
	v_mul_f64 v[88:89], v[78:79], v[30:31]
	v_fma_f64 v[4:5], v[58:59], v[20:21], -v[4:5]
	v_fmac_f64_e32 v[88:89], v[80:81], v[32:33]
	v_add_f64 v[2:3], v[2:3], v[4:5]
	v_mul_f64 v[4:5], v[64:65], v[14:15]
	v_add_f64 v[90:91], v[86:87], v[88:89]
	ds_read_b128 v[86:89], v52 offset:1040
	s_waitcnt vmcnt(32) lgkmcnt(1)
	v_mul_f64 v[92:93], v[82:83], v[50:51]
	v_fma_f64 v[4:5], v[62:63], v[16:17], -v[4:5]
	s_waitcnt vmcnt(30)
	v_fmac_f64_e32 v[92:93], v[84:85], v[114:115]
	v_add_f64 v[2:3], v[2:3], v[4:5]
	v_mul_f64 v[4:5], v[68:69], v[26:27]
	v_add_f64 v[94:95], v[90:91], v[92:93]
	ds_read_b128 v[90:93], v52 offset:1056
	v_fma_f64 v[4:5], v[66:67], v[28:29], -v[4:5]
	v_add_f64 v[2:3], v[2:3], v[4:5]
	v_mul_f64 v[4:5], v[72:73], v[22:23]
	v_fma_f64 v[4:5], v[70:71], v[24:25], -v[4:5]
	s_waitcnt vmcnt(28) lgkmcnt(1)
	v_mul_f64 v[96:97], v[86:87], v[38:39]
	v_add_f64 v[2:3], v[2:3], v[4:5]
	v_mul_f64 v[4:5], v[76:77], v[34:35]
	v_fmac_f64_e32 v[96:97], v[88:89], v[40:41]
	v_fma_f64 v[4:5], v[74:75], v[36:37], -v[4:5]
	v_add_f64 v[98:99], v[94:95], v[96:97]
	ds_read_b128 v[94:97], v52 offset:1072
	s_waitcnt vmcnt(24) lgkmcnt(1)
	v_mul_f64 v[100:101], v[90:91], v[122:123]
	v_add_f64 v[2:3], v[2:3], v[4:5]
	v_mul_f64 v[4:5], v[80:81], v[30:31]
	s_waitcnt vmcnt(22)
	v_fmac_f64_e32 v[100:101], v[92:93], v[124:125]
	v_fma_f64 v[4:5], v[78:79], v[32:33], -v[4:5]
	v_add_f64 v[102:103], v[98:99], v[100:101]
	ds_read_b128 v[98:101], v52 offset:1088
	v_add_f64 v[2:3], v[2:3], v[4:5]
	v_mul_f64 v[4:5], v[84:85], v[50:51]
	v_fma_f64 v[4:5], v[82:83], v[114:115], -v[4:5]
	v_add_f64 v[2:3], v[2:3], v[4:5]
	v_mul_f64 v[4:5], v[88:89], v[38:39]
	s_waitcnt vmcnt(20) lgkmcnt(1)
	v_mul_f64 v[104:105], v[94:95], v[116:117]
	v_fma_f64 v[4:5], v[86:87], v[40:41], -v[4:5]
	v_fmac_f64_e32 v[104:105], v[96:97], v[118:119]
	v_add_f64 v[2:3], v[2:3], v[4:5]
	v_mul_f64 v[4:5], v[92:93], v[122:123]
	v_add_f64 v[106:107], v[102:103], v[104:105]
	ds_read_b128 v[102:105], v52 offset:1104
	s_waitcnt vmcnt(16) lgkmcnt(1)
	v_mul_f64 v[108:109], v[98:99], v[130:131]
	v_fma_f64 v[4:5], v[90:91], v[124:125], -v[4:5]
	s_waitcnt vmcnt(14)
	v_fmac_f64_e32 v[108:109], v[100:101], v[132:133]
	v_add_f64 v[2:3], v[2:3], v[4:5]
	v_mul_f64 v[4:5], v[96:97], v[116:117]
	v_add_f64 v[146:147], v[106:107], v[108:109]
	ds_read_b128 v[106:109], v52 offset:1120
	v_fma_f64 v[4:5], v[94:95], v[118:119], -v[4:5]
	v_add_f64 v[2:3], v[2:3], v[4:5]
	v_mul_f64 v[4:5], v[100:101], v[130:131]
	v_fma_f64 v[4:5], v[98:99], v[132:133], -v[4:5]
	v_add_f64 v[2:3], v[2:3], v[4:5]
	s_waitcnt vmcnt(12) lgkmcnt(1)
	v_mul_f64 v[4:5], v[104:105], v[126:127]
	v_mul_f64 v[148:149], v[102:103], v[126:127]
	v_fma_f64 v[4:5], v[102:103], v[128:129], -v[4:5]
	v_fmac_f64_e32 v[148:149], v[104:105], v[128:129]
	v_add_f64 v[2:3], v[2:3], v[4:5]
	s_waitcnt vmcnt(8) lgkmcnt(0)
	v_mul_f64 v[4:5], v[108:109], v[138:139]
	v_add_f64 v[146:147], v[146:147], v[148:149]
	v_mul_f64 v[148:149], v[106:107], v[138:139]
	s_waitcnt vmcnt(6)
	v_fma_f64 v[4:5], v[106:107], v[140:141], -v[4:5]
	v_fmac_f64_e32 v[148:149], v[108:109], v[140:141]
	v_add_f64 v[2:3], v[2:3], v[4:5]
	s_waitcnt vmcnt(5)
	v_mul_f64 v[4:5], v[112:113], v[134:135]
	v_add_f64 v[146:147], v[146:147], v[148:149]
	v_mul_f64 v[148:149], v[110:111], v[134:135]
	s_waitcnt vmcnt(4)
	v_fma_f64 v[4:5], v[110:111], v[136:137], -v[4:5]
	v_fmac_f64_e32 v[148:149], v[112:113], v[136:137]
	v_add_f64 v[2:3], v[2:3], v[4:5]
	v_add_f64 v[146:147], v[146:147], v[148:149]
	s_waitcnt vmcnt(2)
	v_add_f64 v[2:3], v[142:143], -v[2:3]
	s_waitcnt vmcnt(0)
	v_add_f64 v[4:5], v[144:145], -v[146:147]
	buffer_store_dword v3, off, s[0:3], 0 offset:308
	buffer_store_dword v2, off, s[0:3], 0 offset:304
	;; [unrolled: 1-line block ×4, first 2 shown]
	s_and_saveexec_b64 s[4:5], vcc
	s_cbranch_execz .LBB99_195
; %bb.194:
	v_accvgpr_read_b32 v5, a85
	buffer_load_dword v2, v5, s[0:3], 0 offen
	buffer_load_dword v3, v5, s[0:3], 0 offen offset:4
	buffer_load_dword v4, v5, s[0:3], 0 offen offset:8
	s_nop 0
	buffer_load_dword v5, v5, s[0:3], 0 offen offset:12
	s_nop 0
	buffer_store_dword v52, off, s[0:3], 0 offset:288
	buffer_store_dword v52, off, s[0:3], 0 offset:292
	;; [unrolled: 1-line block ×4, first 2 shown]
	s_waitcnt vmcnt(4)
	ds_write_b128 v1, v[2:5]
.LBB99_195:
	s_or_b64 exec, exec, s[4:5]
	s_waitcnt lgkmcnt(0)
	; wave barrier
	s_waitcnt lgkmcnt(0)
	buffer_load_dword v2, off, s[0:3], 0 offset:304
	buffer_load_dword v3, off, s[0:3], 0 offset:308
	;; [unrolled: 1-line block ×72, first 2 shown]
	ds_read_b128 v[54:57], v52 offset:864
	buffer_load_dword v150, off, s[0:3], 0 offset:288
	buffer_load_dword v151, off, s[0:3], 0 offset:292
	;; [unrolled: 1-line block ×4, first 2 shown]
	ds_read_b128 v[58:61], v52 offset:880
	ds_read_b128 v[62:65], v52 offset:896
	;; [unrolled: 1-line block ×3, first 2 shown]
	v_cmp_lt_u32_e32 vcc, 16, v0
	ds_read_b128 v[126:129], v52 offset:1136
	s_waitcnt vmcnt(62) lgkmcnt(4)
	v_mul_f64 v[70:71], v[54:55], v[8:9]
	v_fmac_f64_e32 v[70:71], v[56:57], v[2:3]
	v_add_f64 v[70:71], v[70:71], 0
	v_mul_f64 v[8:9], v[56:57], v[8:9]
	s_waitcnt lgkmcnt(3)
	v_mul_f64 v[72:73], v[58:59], v[10:11]
	v_fmac_f64_e32 v[72:73], v[60:61], v[4:5]
	v_add_f64 v[70:71], v[70:71], v[72:73]
	v_fma_f64 v[2:3], v[54:55], v[2:3], -v[8:9]
	s_waitcnt lgkmcnt(2)
	v_mul_f64 v[72:73], v[62:63], v[12:13]
	v_fmac_f64_e32 v[72:73], v[64:65], v[6:7]
	v_add_f64 v[74:75], v[70:71], v[72:73]
	ds_read_b128 v[70:73], v52 offset:928
	s_waitcnt vmcnt(60) lgkmcnt(2)
	v_mul_f64 v[76:77], v[66:67], v[18:19]
	v_mul_f64 v[8:9], v[60:61], v[10:11]
	s_waitcnt vmcnt(58)
	v_fmac_f64_e32 v[76:77], v[68:69], v[20:21]
	v_add_f64 v[78:79], v[74:75], v[76:77]
	ds_read_b128 v[74:77], v52 offset:944
	s_waitcnt vmcnt(57) lgkmcnt(1)
	v_mul_f64 v[80:81], v[70:71], v[14:15]
	s_waitcnt vmcnt(56)
	v_fmac_f64_e32 v[80:81], v[72:73], v[16:17]
	v_add_f64 v[82:83], v[78:79], v[80:81]
	ds_read_b128 v[78:81], v52 offset:960
	s_waitcnt vmcnt(52) lgkmcnt(1)
	;; [unrolled: 6-line block ×4, first 2 shown]
	v_mul_f64 v[92:93], v[82:83], v[34:35]
	s_waitcnt vmcnt(42)
	v_fmac_f64_e32 v[92:93], v[84:85], v[36:37]
	v_add_f64 v[2:3], v[2:3], 0
	v_fma_f64 v[4:5], v[58:59], v[4:5], -v[8:9]
	v_add_f64 v[94:95], v[90:91], v[92:93]
	ds_read_b128 v[90:93], v52 offset:1008
	s_waitcnt vmcnt(41) lgkmcnt(1)
	v_mul_f64 v[96:97], v[86:87], v[30:31]
	v_add_f64 v[2:3], v[2:3], v[4:5]
	v_mul_f64 v[4:5], v[64:65], v[12:13]
	s_waitcnt vmcnt(40)
	v_fmac_f64_e32 v[96:97], v[88:89], v[32:33]
	v_fma_f64 v[4:5], v[62:63], v[6:7], -v[4:5]
	v_add_f64 v[98:99], v[94:95], v[96:97]
	ds_read_b128 v[94:97], v52 offset:1024
	v_add_f64 v[2:3], v[2:3], v[4:5]
	v_mul_f64 v[4:5], v[68:69], v[18:19]
	v_fma_f64 v[4:5], v[66:67], v[20:21], -v[4:5]
	v_add_f64 v[2:3], v[2:3], v[4:5]
	v_mul_f64 v[4:5], v[72:73], v[14:15]
	s_waitcnt vmcnt(36) lgkmcnt(1)
	v_mul_f64 v[100:101], v[90:91], v[42:43]
	v_fma_f64 v[4:5], v[70:71], v[16:17], -v[4:5]
	s_waitcnt vmcnt(34)
	v_fmac_f64_e32 v[100:101], v[92:93], v[44:45]
	v_add_f64 v[2:3], v[2:3], v[4:5]
	v_mul_f64 v[4:5], v[76:77], v[26:27]
	v_add_f64 v[102:103], v[98:99], v[100:101]
	ds_read_b128 v[98:101], v52 offset:1040
	s_waitcnt vmcnt(33) lgkmcnt(1)
	v_mul_f64 v[104:105], v[94:95], v[38:39]
	v_fma_f64 v[4:5], v[74:75], v[28:29], -v[4:5]
	s_waitcnt vmcnt(32)
	v_fmac_f64_e32 v[104:105], v[96:97], v[40:41]
	v_add_f64 v[2:3], v[2:3], v[4:5]
	v_mul_f64 v[4:5], v[80:81], v[22:23]
	v_add_f64 v[106:107], v[102:103], v[104:105]
	ds_read_b128 v[102:105], v52 offset:1056
	v_fma_f64 v[4:5], v[78:79], v[24:25], -v[4:5]
	v_add_f64 v[2:3], v[2:3], v[4:5]
	v_mul_f64 v[4:5], v[84:85], v[34:35]
	v_fma_f64 v[4:5], v[82:83], v[36:37], -v[4:5]
	s_waitcnt vmcnt(28) lgkmcnt(1)
	v_mul_f64 v[108:109], v[98:99], v[50:51]
	v_add_f64 v[2:3], v[2:3], v[4:5]
	v_mul_f64 v[4:5], v[88:89], v[30:31]
	s_waitcnt vmcnt(26)
	v_fmac_f64_e32 v[108:109], v[100:101], v[118:119]
	v_fma_f64 v[4:5], v[86:87], v[32:33], -v[4:5]
	v_add_f64 v[110:111], v[106:107], v[108:109]
	ds_read_b128 v[106:109], v52 offset:1072
	s_waitcnt vmcnt(25) lgkmcnt(1)
	v_mul_f64 v[112:113], v[102:103], v[46:47]
	v_add_f64 v[2:3], v[2:3], v[4:5]
	v_mul_f64 v[4:5], v[92:93], v[42:43]
	s_waitcnt vmcnt(24)
	v_fmac_f64_e32 v[112:113], v[104:105], v[48:49]
	v_fma_f64 v[4:5], v[90:91], v[44:45], -v[4:5]
	v_add_f64 v[114:115], v[110:111], v[112:113]
	ds_read_b128 v[110:113], v52 offset:1088
	v_add_f64 v[2:3], v[2:3], v[4:5]
	v_mul_f64 v[4:5], v[96:97], v[38:39]
	v_fma_f64 v[4:5], v[94:95], v[40:41], -v[4:5]
	v_add_f64 v[2:3], v[2:3], v[4:5]
	v_mul_f64 v[4:5], v[100:101], v[50:51]
	s_waitcnt vmcnt(20) lgkmcnt(1)
	v_mul_f64 v[116:117], v[106:107], v[134:135]
	v_fma_f64 v[4:5], v[98:99], v[118:119], -v[4:5]
	s_waitcnt vmcnt(18)
	v_fmac_f64_e32 v[116:117], v[108:109], v[136:137]
	v_add_f64 v[2:3], v[2:3], v[4:5]
	v_mul_f64 v[4:5], v[104:105], v[46:47]
	v_add_f64 v[122:123], v[114:115], v[116:117]
	ds_read_b128 v[114:117], v52 offset:1104
	s_waitcnt vmcnt(17) lgkmcnt(1)
	v_mul_f64 v[124:125], v[110:111], v[130:131]
	v_fma_f64 v[4:5], v[102:103], v[48:49], -v[4:5]
	s_waitcnt vmcnt(16)
	v_fmac_f64_e32 v[124:125], v[112:113], v[132:133]
	v_add_f64 v[2:3], v[2:3], v[4:5]
	v_mul_f64 v[4:5], v[108:109], v[134:135]
	v_add_f64 v[154:155], v[122:123], v[124:125]
	ds_read_b128 v[122:125], v52 offset:1120
	v_fma_f64 v[4:5], v[106:107], v[136:137], -v[4:5]
	v_add_f64 v[2:3], v[2:3], v[4:5]
	v_mul_f64 v[4:5], v[112:113], v[130:131]
	v_fma_f64 v[4:5], v[110:111], v[132:133], -v[4:5]
	v_add_f64 v[2:3], v[2:3], v[4:5]
	s_waitcnt vmcnt(12) lgkmcnt(1)
	v_mul_f64 v[4:5], v[116:117], v[142:143]
	v_mul_f64 v[156:157], v[114:115], v[142:143]
	s_waitcnt vmcnt(10)
	v_fma_f64 v[4:5], v[114:115], v[144:145], -v[4:5]
	v_fmac_f64_e32 v[156:157], v[116:117], v[144:145]
	v_add_f64 v[2:3], v[2:3], v[4:5]
	s_waitcnt vmcnt(9) lgkmcnt(0)
	v_mul_f64 v[4:5], v[124:125], v[138:139]
	v_add_f64 v[52:53], v[154:155], v[156:157]
	v_mul_f64 v[154:155], v[122:123], v[138:139]
	s_waitcnt vmcnt(8)
	v_fma_f64 v[4:5], v[122:123], v[140:141], -v[4:5]
	v_fmac_f64_e32 v[154:155], v[124:125], v[140:141]
	v_add_f64 v[2:3], v[2:3], v[4:5]
	s_waitcnt vmcnt(6)
	v_mul_f64 v[4:5], v[128:129], v[146:147]
	v_add_f64 v[52:53], v[52:53], v[154:155]
	v_mul_f64 v[154:155], v[126:127], v[146:147]
	s_waitcnt vmcnt(4)
	v_fma_f64 v[4:5], v[126:127], v[148:149], -v[4:5]
	v_fmac_f64_e32 v[154:155], v[128:129], v[148:149]
	v_add_f64 v[2:3], v[2:3], v[4:5]
	v_add_f64 v[52:53], v[52:53], v[154:155]
	s_waitcnt vmcnt(2)
	v_add_f64 v[2:3], v[150:151], -v[2:3]
	s_waitcnt vmcnt(0)
	v_add_f64 v[4:5], v[152:153], -v[52:53]
	buffer_store_dword v3, off, s[0:3], 0 offset:292
	buffer_store_dword v2, off, s[0:3], 0 offset:288
	;; [unrolled: 1-line block ×4, first 2 shown]
	s_and_saveexec_b64 s[4:5], vcc
	s_cbranch_execz .LBB99_197
; %bb.196:
	v_accvgpr_read_b32 v5, a86
	buffer_load_dword v2, v5, s[0:3], 0 offen
	buffer_load_dword v3, v5, s[0:3], 0 offen offset:4
	buffer_load_dword v4, v5, s[0:3], 0 offen offset:8
	s_nop 0
	buffer_load_dword v5, v5, s[0:3], 0 offen offset:12
	v_mov_b32_e32 v6, 0
	buffer_store_dword v6, off, s[0:3], 0 offset:272
	buffer_store_dword v6, off, s[0:3], 0 offset:276
	;; [unrolled: 1-line block ×4, first 2 shown]
	s_waitcnt vmcnt(4)
	ds_write_b128 v1, v[2:5]
.LBB99_197:
	s_or_b64 exec, exec, s[4:5]
	s_waitcnt lgkmcnt(0)
	; wave barrier
	s_waitcnt lgkmcnt(0)
	buffer_load_dword v2, off, s[0:3], 0 offset:288
	buffer_load_dword v3, off, s[0:3], 0 offset:292
	;; [unrolled: 1-line block ×76, first 2 shown]
	v_mov_b32_e32 v54, 0
	ds_read_b128 v[56:59], v54 offset:848
	buffer_load_dword v158, off, s[0:3], 0 offset:272
	buffer_load_dword v159, off, s[0:3], 0 offset:276
	;; [unrolled: 1-line block ×4, first 2 shown]
	ds_read_b128 v[60:63], v54 offset:864
	ds_read_b128 v[64:67], v54 offset:880
	ds_read_b128 v[68:71], v54 offset:896
	ds_read_b128 v[130:133], v54 offset:1136
	v_cmp_lt_u32_e32 vcc, 15, v0
	s_waitcnt vmcnt(62) lgkmcnt(4)
	v_mul_f64 v[72:73], v[56:57], v[8:9]
	v_fmac_f64_e32 v[72:73], v[58:59], v[2:3]
	v_add_f64 v[72:73], v[72:73], 0
	v_mul_f64 v[8:9], v[58:59], v[8:9]
	s_waitcnt lgkmcnt(3)
	v_mul_f64 v[74:75], v[60:61], v[10:11]
	v_fmac_f64_e32 v[74:75], v[62:63], v[4:5]
	v_add_f64 v[72:73], v[72:73], v[74:75]
	v_fma_f64 v[2:3], v[56:57], v[2:3], -v[8:9]
	s_waitcnt lgkmcnt(2)
	v_mul_f64 v[74:75], v[64:65], v[12:13]
	v_fmac_f64_e32 v[74:75], v[66:67], v[6:7]
	v_add_f64 v[76:77], v[72:73], v[74:75]
	ds_read_b128 v[72:75], v54 offset:912
	s_waitcnt lgkmcnt(2)
	v_mul_f64 v[78:79], v[68:69], v[18:19]
	v_mul_f64 v[8:9], v[62:63], v[10:11]
	v_fmac_f64_e32 v[78:79], v[70:71], v[20:21]
	v_add_f64 v[80:81], v[76:77], v[78:79]
	ds_read_b128 v[76:79], v54 offset:928
	s_waitcnt vmcnt(61) lgkmcnt(1)
	v_mul_f64 v[82:83], v[72:73], v[14:15]
	s_waitcnt vmcnt(60)
	v_fmac_f64_e32 v[82:83], v[74:75], v[16:17]
	v_add_f64 v[84:85], v[80:81], v[82:83]
	ds_read_b128 v[80:83], v54 offset:944
	s_waitcnt vmcnt(56) lgkmcnt(1)
	v_mul_f64 v[86:87], v[76:77], v[26:27]
	s_waitcnt vmcnt(54)
	v_fmac_f64_e32 v[86:87], v[78:79], v[28:29]
	v_add_f64 v[88:89], v[84:85], v[86:87]
	ds_read_b128 v[84:87], v54 offset:960
	s_waitcnt vmcnt(53) lgkmcnt(1)
	v_mul_f64 v[90:91], v[80:81], v[22:23]
	s_waitcnt vmcnt(52)
	v_fmac_f64_e32 v[90:91], v[82:83], v[24:25]
	v_add_f64 v[92:93], v[88:89], v[90:91]
	ds_read_b128 v[88:91], v54 offset:976
	s_waitcnt vmcnt(48) lgkmcnt(1)
	v_mul_f64 v[94:95], v[84:85], v[34:35]
	s_waitcnt vmcnt(46)
	v_fmac_f64_e32 v[94:95], v[86:87], v[36:37]
	v_add_f64 v[96:97], v[92:93], v[94:95]
	ds_read_b128 v[92:95], v54 offset:992
	v_add_f64 v[2:3], v[2:3], 0
	v_fma_f64 v[4:5], v[60:61], v[4:5], -v[8:9]
	s_waitcnt vmcnt(45) lgkmcnt(1)
	v_mul_f64 v[98:99], v[88:89], v[30:31]
	v_add_f64 v[2:3], v[2:3], v[4:5]
	v_mul_f64 v[4:5], v[66:67], v[12:13]
	s_waitcnt vmcnt(44)
	v_fmac_f64_e32 v[98:99], v[90:91], v[32:33]
	v_fma_f64 v[4:5], v[64:65], v[6:7], -v[4:5]
	v_add_f64 v[100:101], v[96:97], v[98:99]
	ds_read_b128 v[96:99], v54 offset:1008
	s_waitcnt vmcnt(40) lgkmcnt(1)
	v_mul_f64 v[102:103], v[92:93], v[42:43]
	v_add_f64 v[2:3], v[2:3], v[4:5]
	v_mul_f64 v[4:5], v[70:71], v[18:19]
	s_waitcnt vmcnt(38)
	v_fmac_f64_e32 v[102:103], v[94:95], v[44:45]
	v_fma_f64 v[4:5], v[68:69], v[20:21], -v[4:5]
	v_add_f64 v[104:105], v[100:101], v[102:103]
	ds_read_b128 v[100:103], v54 offset:1024
	v_add_f64 v[2:3], v[2:3], v[4:5]
	v_mul_f64 v[4:5], v[74:75], v[14:15]
	v_fma_f64 v[4:5], v[72:73], v[16:17], -v[4:5]
	v_add_f64 v[2:3], v[2:3], v[4:5]
	v_mul_f64 v[4:5], v[78:79], v[26:27]
	s_waitcnt vmcnt(37) lgkmcnt(1)
	v_mul_f64 v[106:107], v[96:97], v[38:39]
	v_fma_f64 v[4:5], v[76:77], v[28:29], -v[4:5]
	s_waitcnt vmcnt(36)
	v_fmac_f64_e32 v[106:107], v[98:99], v[40:41]
	v_add_f64 v[2:3], v[2:3], v[4:5]
	v_mul_f64 v[4:5], v[82:83], v[22:23]
	v_add_f64 v[108:109], v[104:105], v[106:107]
	ds_read_b128 v[104:107], v54 offset:1040
	s_waitcnt vmcnt(32) lgkmcnt(1)
	v_mul_f64 v[110:111], v[100:101], v[50:51]
	v_fma_f64 v[4:5], v[80:81], v[24:25], -v[4:5]
	s_waitcnt vmcnt(30)
	v_fmac_f64_e32 v[110:111], v[102:103], v[52:53]
	v_add_f64 v[2:3], v[2:3], v[4:5]
	v_mul_f64 v[4:5], v[86:87], v[34:35]
	v_add_f64 v[112:113], v[108:109], v[110:111]
	ds_read_b128 v[108:111], v54 offset:1056
	v_fma_f64 v[4:5], v[84:85], v[36:37], -v[4:5]
	v_add_f64 v[2:3], v[2:3], v[4:5]
	v_mul_f64 v[4:5], v[90:91], v[30:31]
	v_fma_f64 v[4:5], v[88:89], v[32:33], -v[4:5]
	s_waitcnt vmcnt(29) lgkmcnt(1)
	v_mul_f64 v[114:115], v[104:105], v[46:47]
	v_add_f64 v[2:3], v[2:3], v[4:5]
	v_mul_f64 v[4:5], v[94:95], v[42:43]
	s_waitcnt vmcnt(28)
	v_fmac_f64_e32 v[114:115], v[106:107], v[48:49]
	v_fma_f64 v[4:5], v[92:93], v[44:45], -v[4:5]
	v_add_f64 v[116:117], v[112:113], v[114:115]
	ds_read_b128 v[112:115], v54 offset:1072
	s_waitcnt vmcnt(24) lgkmcnt(1)
	v_mul_f64 v[118:119], v[108:109], v[138:139]
	v_add_f64 v[2:3], v[2:3], v[4:5]
	v_mul_f64 v[4:5], v[98:99], v[38:39]
	s_waitcnt vmcnt(22)
	v_fmac_f64_e32 v[118:119], v[110:111], v[140:141]
	v_fma_f64 v[4:5], v[96:97], v[40:41], -v[4:5]
	v_add_f64 v[122:123], v[116:117], v[118:119]
	ds_read_b128 v[116:119], v54 offset:1088
	v_add_f64 v[2:3], v[2:3], v[4:5]
	v_mul_f64 v[4:5], v[102:103], v[50:51]
	v_fma_f64 v[4:5], v[100:101], v[52:53], -v[4:5]
	v_add_f64 v[2:3], v[2:3], v[4:5]
	v_mul_f64 v[4:5], v[106:107], v[46:47]
	s_waitcnt vmcnt(21) lgkmcnt(1)
	v_mul_f64 v[124:125], v[112:113], v[134:135]
	v_fma_f64 v[4:5], v[104:105], v[48:49], -v[4:5]
	s_waitcnt vmcnt(20)
	v_fmac_f64_e32 v[124:125], v[114:115], v[136:137]
	v_add_f64 v[2:3], v[2:3], v[4:5]
	v_mul_f64 v[4:5], v[110:111], v[138:139]
	v_add_f64 v[126:127], v[122:123], v[124:125]
	ds_read_b128 v[122:125], v54 offset:1104
	s_waitcnt vmcnt(16) lgkmcnt(1)
	v_mul_f64 v[128:129], v[116:117], v[146:147]
	v_fma_f64 v[4:5], v[108:109], v[140:141], -v[4:5]
	s_waitcnt vmcnt(14)
	v_fmac_f64_e32 v[128:129], v[118:119], v[148:149]
	v_add_f64 v[2:3], v[2:3], v[4:5]
	v_mul_f64 v[4:5], v[114:115], v[134:135]
	v_add_f64 v[162:163], v[126:127], v[128:129]
	ds_read_b128 v[126:129], v54 offset:1120
	v_fma_f64 v[4:5], v[112:113], v[136:137], -v[4:5]
	v_add_f64 v[2:3], v[2:3], v[4:5]
	v_mul_f64 v[4:5], v[118:119], v[146:147]
	v_fma_f64 v[4:5], v[116:117], v[148:149], -v[4:5]
	v_add_f64 v[2:3], v[2:3], v[4:5]
	s_waitcnt vmcnt(13) lgkmcnt(1)
	v_mul_f64 v[4:5], v[124:125], v[142:143]
	v_mul_f64 v[164:165], v[122:123], v[142:143]
	s_waitcnt vmcnt(12)
	v_fma_f64 v[4:5], v[122:123], v[144:145], -v[4:5]
	v_fmac_f64_e32 v[164:165], v[124:125], v[144:145]
	v_add_f64 v[2:3], v[2:3], v[4:5]
	s_waitcnt vmcnt(8) lgkmcnt(0)
	v_mul_f64 v[4:5], v[128:129], v[154:155]
	v_add_f64 v[162:163], v[162:163], v[164:165]
	v_mul_f64 v[164:165], v[126:127], v[154:155]
	s_waitcnt vmcnt(6)
	v_fma_f64 v[4:5], v[126:127], v[156:157], -v[4:5]
	v_fmac_f64_e32 v[164:165], v[128:129], v[156:157]
	v_add_f64 v[2:3], v[2:3], v[4:5]
	s_waitcnt vmcnt(5)
	v_mul_f64 v[4:5], v[132:133], v[150:151]
	v_add_f64 v[162:163], v[162:163], v[164:165]
	v_mul_f64 v[164:165], v[130:131], v[150:151]
	s_waitcnt vmcnt(4)
	v_fma_f64 v[4:5], v[130:131], v[152:153], -v[4:5]
	v_fmac_f64_e32 v[164:165], v[132:133], v[152:153]
	v_add_f64 v[2:3], v[2:3], v[4:5]
	v_add_f64 v[162:163], v[162:163], v[164:165]
	s_waitcnt vmcnt(2)
	v_add_f64 v[2:3], v[158:159], -v[2:3]
	s_waitcnt vmcnt(0)
	v_add_f64 v[4:5], v[160:161], -v[162:163]
	buffer_store_dword v3, off, s[0:3], 0 offset:276
	buffer_store_dword v2, off, s[0:3], 0 offset:272
	buffer_store_dword v5, off, s[0:3], 0 offset:284
	buffer_store_dword v4, off, s[0:3], 0 offset:280
	s_and_saveexec_b64 s[4:5], vcc
	s_cbranch_execz .LBB99_199
; %bb.198:
	v_accvgpr_read_b32 v5, a87
	buffer_load_dword v2, v5, s[0:3], 0 offen
	buffer_load_dword v3, v5, s[0:3], 0 offen offset:4
	buffer_load_dword v4, v5, s[0:3], 0 offen offset:8
	s_nop 0
	buffer_load_dword v5, v5, s[0:3], 0 offen offset:12
	s_nop 0
	buffer_store_dword v54, off, s[0:3], 0 offset:256
	buffer_store_dword v54, off, s[0:3], 0 offset:260
	;; [unrolled: 1-line block ×4, first 2 shown]
	s_waitcnt vmcnt(4)
	ds_write_b128 v1, v[2:5]
.LBB99_199:
	s_or_b64 exec, exec, s[4:5]
	s_waitcnt lgkmcnt(0)
	; wave barrier
	s_waitcnt lgkmcnt(0)
	buffer_load_dword v2, off, s[0:3], 0 offset:272
	buffer_load_dword v3, off, s[0:3], 0 offset:276
	buffer_load_dword v8, off, s[0:3], 0 offset:280
	buffer_load_dword v9, off, s[0:3], 0 offset:284
	buffer_load_dword v4, off, s[0:3], 0 offset:288
	buffer_load_dword v5, off, s[0:3], 0 offset:292
	buffer_load_dword v10, off, s[0:3], 0 offset:296
	buffer_load_dword v11, off, s[0:3], 0 offset:300
	buffer_load_dword v6, off, s[0:3], 0 offset:304
	buffer_load_dword v7, off, s[0:3], 0 offset:308
	buffer_load_dword v12, off, s[0:3], 0 offset:312
	buffer_load_dword v13, off, s[0:3], 0 offset:316
	buffer_load_dword v15, off, s[0:3], 0 offset:348
	buffer_load_dword v14, off, s[0:3], 0 offset:344
	buffer_load_dword v17, off, s[0:3], 0 offset:340
	buffer_load_dword v16, off, s[0:3], 0 offset:336
	buffer_load_dword v19, off, s[0:3], 0 offset:332
	buffer_load_dword v18, off, s[0:3], 0 offset:328
	buffer_load_dword v21, off, s[0:3], 0 offset:324
	buffer_load_dword v20, off, s[0:3], 0 offset:320
	buffer_load_dword v23, off, s[0:3], 0 offset:380
	buffer_load_dword v22, off, s[0:3], 0 offset:376
	buffer_load_dword v25, off, s[0:3], 0 offset:372
	buffer_load_dword v24, off, s[0:3], 0 offset:368
	buffer_load_dword v27, off, s[0:3], 0 offset:364
	buffer_load_dword v26, off, s[0:3], 0 offset:360
	buffer_load_dword v29, off, s[0:3], 0 offset:356
	buffer_load_dword v28, off, s[0:3], 0 offset:352
	buffer_load_dword v31, off, s[0:3], 0 offset:412
	buffer_load_dword v30, off, s[0:3], 0 offset:408
	buffer_load_dword v33, off, s[0:3], 0 offset:404
	buffer_load_dword v32, off, s[0:3], 0 offset:400
	buffer_load_dword v35, off, s[0:3], 0 offset:396
	buffer_load_dword v34, off, s[0:3], 0 offset:392
	buffer_load_dword v37, off, s[0:3], 0 offset:388
	buffer_load_dword v36, off, s[0:3], 0 offset:384
	buffer_load_dword v39, off, s[0:3], 0 offset:444
	buffer_load_dword v38, off, s[0:3], 0 offset:440
	buffer_load_dword v41, off, s[0:3], 0 offset:436
	buffer_load_dword v40, off, s[0:3], 0 offset:432
	buffer_load_dword v43, off, s[0:3], 0 offset:428
	buffer_load_dword v42, off, s[0:3], 0 offset:424
	buffer_load_dword v45, off, s[0:3], 0 offset:420
	buffer_load_dword v44, off, s[0:3], 0 offset:416
	buffer_load_dword v47, off, s[0:3], 0 offset:476
	buffer_load_dword v46, off, s[0:3], 0 offset:472
	buffer_load_dword v49, off, s[0:3], 0 offset:468
	buffer_load_dword v48, off, s[0:3], 0 offset:464
	buffer_load_dword v51, off, s[0:3], 0 offset:460
	buffer_load_dword v50, off, s[0:3], 0 offset:456
	buffer_load_dword v53, off, s[0:3], 0 offset:452
	buffer_load_dword v52, off, s[0:3], 0 offset:448
	buffer_load_dword v139, off, s[0:3], 0 offset:508
	buffer_load_dword v138, off, s[0:3], 0 offset:504
	buffer_load_dword v141, off, s[0:3], 0 offset:500
	buffer_load_dword v140, off, s[0:3], 0 offset:496
	buffer_load_dword v143, off, s[0:3], 0 offset:492
	buffer_load_dword v142, off, s[0:3], 0 offset:488
	buffer_load_dword v145, off, s[0:3], 0 offset:484
	buffer_load_dword v144, off, s[0:3], 0 offset:480
	buffer_load_dword v147, off, s[0:3], 0 offset:540
	buffer_load_dword v146, off, s[0:3], 0 offset:536
	buffer_load_dword v149, off, s[0:3], 0 offset:532
	buffer_load_dword v148, off, s[0:3], 0 offset:528
	buffer_load_dword v151, off, s[0:3], 0 offset:524
	buffer_load_dword v150, off, s[0:3], 0 offset:520
	buffer_load_dword v153, off, s[0:3], 0 offset:516
	buffer_load_dword v152, off, s[0:3], 0 offset:512
	buffer_load_dword v155, off, s[0:3], 0 offset:572
	buffer_load_dword v154, off, s[0:3], 0 offset:568
	buffer_load_dword v157, off, s[0:3], 0 offset:564
	buffer_load_dword v156, off, s[0:3], 0 offset:560
	buffer_load_dword v159, off, s[0:3], 0 offset:556
	buffer_load_dword v158, off, s[0:3], 0 offset:552
	buffer_load_dword v161, off, s[0:3], 0 offset:548
	buffer_load_dword v160, off, s[0:3], 0 offset:544
	ds_read_b128 v[56:59], v54 offset:832
	buffer_load_dword v163, off, s[0:3], 0 offset:588
	buffer_load_dword v162, off, s[0:3], 0 offset:584
	;; [unrolled: 1-line block ×8, first 2 shown]
	ds_read_b128 v[60:63], v54 offset:848
	ds_read_b128 v[64:67], v54 offset:864
	ds_read_b128 v[68:71], v54 offset:880
	v_cmp_lt_u32_e32 vcc, 14, v0
	ds_read_b128 v[134:137], v54 offset:1136
	s_waitcnt vmcnt(62) lgkmcnt(4)
	v_mul_f64 v[72:73], v[56:57], v[8:9]
	v_fmac_f64_e32 v[72:73], v[58:59], v[2:3]
	v_add_f64 v[72:73], v[72:73], 0
	v_mul_f64 v[8:9], v[58:59], v[8:9]
	s_waitcnt lgkmcnt(3)
	v_mul_f64 v[74:75], v[60:61], v[10:11]
	v_fmac_f64_e32 v[74:75], v[62:63], v[4:5]
	v_add_f64 v[72:73], v[72:73], v[74:75]
	v_fma_f64 v[2:3], v[56:57], v[2:3], -v[8:9]
	s_waitcnt lgkmcnt(2)
	v_mul_f64 v[74:75], v[64:65], v[12:13]
	v_fmac_f64_e32 v[74:75], v[66:67], v[6:7]
	v_add_f64 v[76:77], v[72:73], v[74:75]
	ds_read_b128 v[72:75], v54 offset:896
	v_mul_f64 v[8:9], v[62:63], v[10:11]
	v_add_f64 v[2:3], v[2:3], 0
	s_waitcnt lgkmcnt(2)
	v_mul_f64 v[78:79], v[68:69], v[18:19]
	v_fma_f64 v[4:5], v[60:61], v[4:5], -v[8:9]
	v_fmac_f64_e32 v[78:79], v[70:71], v[20:21]
	v_add_f64 v[80:81], v[76:77], v[78:79]
	ds_read_b128 v[76:79], v54 offset:912
	s_waitcnt lgkmcnt(1)
	v_mul_f64 v[82:83], v[72:73], v[14:15]
	v_fmac_f64_e32 v[82:83], v[74:75], v[16:17]
	v_add_f64 v[84:85], v[80:81], v[82:83]
	ds_read_b128 v[80:83], v54 offset:928
	s_waitcnt vmcnt(58) lgkmcnt(1)
	v_mul_f64 v[86:87], v[76:77], v[26:27]
	s_waitcnt vmcnt(56)
	v_fmac_f64_e32 v[86:87], v[78:79], v[28:29]
	v_add_f64 v[88:89], v[84:85], v[86:87]
	ds_read_b128 v[84:87], v54 offset:944
	s_waitcnt lgkmcnt(1)
	v_mul_f64 v[90:91], v[80:81], v[22:23]
	v_fmac_f64_e32 v[90:91], v[82:83], v[24:25]
	v_add_f64 v[92:93], v[88:89], v[90:91]
	ds_read_b128 v[88:91], v54 offset:960
	s_waitcnt vmcnt(50) lgkmcnt(1)
	v_mul_f64 v[94:95], v[84:85], v[34:35]
	s_waitcnt vmcnt(48)
	v_fmac_f64_e32 v[94:95], v[86:87], v[36:37]
	v_add_f64 v[96:97], v[92:93], v[94:95]
	ds_read_b128 v[92:95], v54 offset:976
	s_waitcnt lgkmcnt(1)
	v_mul_f64 v[98:99], v[88:89], v[30:31]
	v_fmac_f64_e32 v[98:99], v[90:91], v[32:33]
	v_add_f64 v[100:101], v[96:97], v[98:99]
	ds_read_b128 v[96:99], v54 offset:992
	v_add_f64 v[2:3], v[2:3], v[4:5]
	v_mul_f64 v[4:5], v[66:67], v[12:13]
	v_fma_f64 v[4:5], v[64:65], v[6:7], -v[4:5]
	s_waitcnt vmcnt(42) lgkmcnt(1)
	v_mul_f64 v[102:103], v[92:93], v[42:43]
	v_add_f64 v[2:3], v[2:3], v[4:5]
	v_mul_f64 v[4:5], v[70:71], v[18:19]
	s_waitcnt vmcnt(40)
	v_fmac_f64_e32 v[102:103], v[94:95], v[44:45]
	v_fma_f64 v[4:5], v[68:69], v[20:21], -v[4:5]
	v_add_f64 v[104:105], v[100:101], v[102:103]
	ds_read_b128 v[100:103], v54 offset:1008
	s_waitcnt lgkmcnt(1)
	v_mul_f64 v[106:107], v[96:97], v[38:39]
	v_add_f64 v[2:3], v[2:3], v[4:5]
	v_mul_f64 v[4:5], v[74:75], v[14:15]
	v_fmac_f64_e32 v[106:107], v[98:99], v[40:41]
	v_fma_f64 v[4:5], v[72:73], v[16:17], -v[4:5]
	v_add_f64 v[108:109], v[104:105], v[106:107]
	ds_read_b128 v[104:107], v54 offset:1024
	v_add_f64 v[2:3], v[2:3], v[4:5]
	v_mul_f64 v[4:5], v[78:79], v[26:27]
	v_fma_f64 v[4:5], v[76:77], v[28:29], -v[4:5]
	v_add_f64 v[2:3], v[2:3], v[4:5]
	v_mul_f64 v[4:5], v[82:83], v[22:23]
	s_waitcnt vmcnt(34) lgkmcnt(1)
	v_mul_f64 v[110:111], v[100:101], v[50:51]
	v_fma_f64 v[4:5], v[80:81], v[24:25], -v[4:5]
	s_waitcnt vmcnt(32)
	v_fmac_f64_e32 v[110:111], v[102:103], v[52:53]
	v_add_f64 v[2:3], v[2:3], v[4:5]
	v_mul_f64 v[4:5], v[86:87], v[34:35]
	v_add_f64 v[112:113], v[108:109], v[110:111]
	ds_read_b128 v[108:111], v54 offset:1040
	s_waitcnt lgkmcnt(1)
	v_mul_f64 v[114:115], v[104:105], v[46:47]
	v_fma_f64 v[4:5], v[84:85], v[36:37], -v[4:5]
	v_fmac_f64_e32 v[114:115], v[106:107], v[48:49]
	v_add_f64 v[2:3], v[2:3], v[4:5]
	v_mul_f64 v[4:5], v[90:91], v[30:31]
	v_add_f64 v[116:117], v[112:113], v[114:115]
	ds_read_b128 v[112:115], v54 offset:1056
	v_fma_f64 v[4:5], v[88:89], v[32:33], -v[4:5]
	v_add_f64 v[2:3], v[2:3], v[4:5]
	v_mul_f64 v[4:5], v[94:95], v[42:43]
	v_fma_f64 v[4:5], v[92:93], v[44:45], -v[4:5]
	s_waitcnt vmcnt(26) lgkmcnt(1)
	v_mul_f64 v[118:119], v[108:109], v[142:143]
	v_add_f64 v[2:3], v[2:3], v[4:5]
	v_mul_f64 v[4:5], v[98:99], v[38:39]
	s_waitcnt vmcnt(24)
	v_fmac_f64_e32 v[118:119], v[110:111], v[144:145]
	v_fma_f64 v[4:5], v[96:97], v[40:41], -v[4:5]
	v_add_f64 v[122:123], v[116:117], v[118:119]
	ds_read_b128 v[116:119], v54 offset:1072
	s_waitcnt lgkmcnt(1)
	v_mul_f64 v[124:125], v[112:113], v[138:139]
	v_add_f64 v[2:3], v[2:3], v[4:5]
	v_mul_f64 v[4:5], v[102:103], v[50:51]
	v_fmac_f64_e32 v[124:125], v[114:115], v[140:141]
	v_fma_f64 v[4:5], v[100:101], v[52:53], -v[4:5]
	v_add_f64 v[126:127], v[122:123], v[124:125]
	ds_read_b128 v[122:125], v54 offset:1088
	v_add_f64 v[2:3], v[2:3], v[4:5]
	v_mul_f64 v[4:5], v[106:107], v[46:47]
	v_fma_f64 v[4:5], v[104:105], v[48:49], -v[4:5]
	v_add_f64 v[2:3], v[2:3], v[4:5]
	v_mul_f64 v[4:5], v[110:111], v[142:143]
	s_waitcnt vmcnt(18) lgkmcnt(1)
	v_mul_f64 v[128:129], v[116:117], v[150:151]
	v_fma_f64 v[4:5], v[108:109], v[144:145], -v[4:5]
	s_waitcnt vmcnt(16)
	v_fmac_f64_e32 v[128:129], v[118:119], v[152:153]
	v_add_f64 v[2:3], v[2:3], v[4:5]
	v_mul_f64 v[4:5], v[114:115], v[138:139]
	v_add_f64 v[130:131], v[126:127], v[128:129]
	ds_read_b128 v[126:129], v54 offset:1104
	s_waitcnt lgkmcnt(1)
	v_mul_f64 v[132:133], v[122:123], v[146:147]
	v_fma_f64 v[4:5], v[112:113], v[140:141], -v[4:5]
	v_fmac_f64_e32 v[132:133], v[124:125], v[148:149]
	v_add_f64 v[2:3], v[2:3], v[4:5]
	v_mul_f64 v[4:5], v[118:119], v[150:151]
	v_add_f64 v[170:171], v[130:131], v[132:133]
	ds_read_b128 v[130:133], v54 offset:1120
	v_fma_f64 v[4:5], v[116:117], v[152:153], -v[4:5]
	v_add_f64 v[2:3], v[2:3], v[4:5]
	v_mul_f64 v[4:5], v[124:125], v[146:147]
	v_fma_f64 v[4:5], v[122:123], v[148:149], -v[4:5]
	v_add_f64 v[2:3], v[2:3], v[4:5]
	s_waitcnt vmcnt(10) lgkmcnt(1)
	v_mul_f64 v[4:5], v[128:129], v[158:159]
	v_mul_f64 v[172:173], v[126:127], v[158:159]
	s_waitcnt vmcnt(8)
	v_fma_f64 v[4:5], v[126:127], v[160:161], -v[4:5]
	v_fmac_f64_e32 v[172:173], v[128:129], v[160:161]
	v_add_f64 v[2:3], v[2:3], v[4:5]
	s_waitcnt lgkmcnt(0)
	v_mul_f64 v[4:5], v[132:133], v[154:155]
	v_add_f64 v[54:55], v[170:171], v[172:173]
	v_mul_f64 v[170:171], v[130:131], v[154:155]
	v_fma_f64 v[4:5], v[130:131], v[156:157], -v[4:5]
	v_fmac_f64_e32 v[170:171], v[132:133], v[156:157]
	v_add_f64 v[2:3], v[2:3], v[4:5]
	s_waitcnt vmcnt(6)
	v_mul_f64 v[4:5], v[136:137], v[162:163]
	v_add_f64 v[54:55], v[54:55], v[170:171]
	v_mul_f64 v[170:171], v[134:135], v[162:163]
	s_waitcnt vmcnt(4)
	v_fma_f64 v[4:5], v[134:135], v[164:165], -v[4:5]
	v_fmac_f64_e32 v[170:171], v[136:137], v[164:165]
	v_add_f64 v[2:3], v[2:3], v[4:5]
	v_add_f64 v[54:55], v[54:55], v[170:171]
	s_waitcnt vmcnt(2)
	v_add_f64 v[2:3], v[166:167], -v[2:3]
	s_waitcnt vmcnt(0)
	v_add_f64 v[4:5], v[168:169], -v[54:55]
	buffer_store_dword v3, off, s[0:3], 0 offset:260
	buffer_store_dword v2, off, s[0:3], 0 offset:256
	;; [unrolled: 1-line block ×4, first 2 shown]
	s_and_saveexec_b64 s[4:5], vcc
	s_cbranch_execz .LBB99_201
; %bb.200:
	v_accvgpr_read_b32 v5, a88
	buffer_load_dword v2, v5, s[0:3], 0 offen
	buffer_load_dword v3, v5, s[0:3], 0 offen offset:4
	buffer_load_dword v4, v5, s[0:3], 0 offen offset:8
	s_nop 0
	buffer_load_dword v5, v5, s[0:3], 0 offen offset:12
	v_mov_b32_e32 v6, 0
	buffer_store_dword v6, off, s[0:3], 0 offset:240
	buffer_store_dword v6, off, s[0:3], 0 offset:244
	;; [unrolled: 1-line block ×4, first 2 shown]
	s_waitcnt vmcnt(4)
	ds_write_b128 v1, v[2:5]
.LBB99_201:
	s_or_b64 exec, exec, s[4:5]
	s_waitcnt lgkmcnt(0)
	; wave barrier
	s_waitcnt lgkmcnt(0)
	buffer_load_dword v4, off, s[0:3], 0 offset:240
	buffer_load_dword v5, off, s[0:3], 0 offset:244
	buffer_load_dword v2, off, s[0:3], 0 offset:248
	buffer_load_dword v3, off, s[0:3], 0 offset:252
	buffer_load_dword v6, off, s[0:3], 0 offset:256
	buffer_load_dword v7, off, s[0:3], 0 offset:260
	buffer_load_dword v12, off, s[0:3], 0 offset:264
	buffer_load_dword v13, off, s[0:3], 0 offset:268
	buffer_load_dword v8, off, s[0:3], 0 offset:272
	buffer_load_dword v9, off, s[0:3], 0 offset:276
	buffer_load_dword v14, off, s[0:3], 0 offset:280
	buffer_load_dword v15, off, s[0:3], 0 offset:284
	buffer_load_dword v10, off, s[0:3], 0 offset:288
	buffer_load_dword v11, off, s[0:3], 0 offset:292
	buffer_load_dword v16, off, s[0:3], 0 offset:296
	buffer_load_dword v17, off, s[0:3], 0 offset:300
	buffer_load_dword v19, off, s[0:3], 0 offset:332
	buffer_load_dword v18, off, s[0:3], 0 offset:328
	buffer_load_dword v21, off, s[0:3], 0 offset:324
	buffer_load_dword v20, off, s[0:3], 0 offset:320
	buffer_load_dword v23, off, s[0:3], 0 offset:316
	buffer_load_dword v22, off, s[0:3], 0 offset:312
	buffer_load_dword v25, off, s[0:3], 0 offset:308
	buffer_load_dword v24, off, s[0:3], 0 offset:304
	buffer_load_dword v27, off, s[0:3], 0 offset:364
	buffer_load_dword v26, off, s[0:3], 0 offset:360
	buffer_load_dword v29, off, s[0:3], 0 offset:356
	buffer_load_dword v28, off, s[0:3], 0 offset:352
	buffer_load_dword v31, off, s[0:3], 0 offset:348
	buffer_load_dword v30, off, s[0:3], 0 offset:344
	buffer_load_dword v33, off, s[0:3], 0 offset:340
	buffer_load_dword v32, off, s[0:3], 0 offset:336
	buffer_load_dword v35, off, s[0:3], 0 offset:396
	buffer_load_dword v34, off, s[0:3], 0 offset:392
	buffer_load_dword v37, off, s[0:3], 0 offset:388
	buffer_load_dword v36, off, s[0:3], 0 offset:384
	buffer_load_dword v39, off, s[0:3], 0 offset:380
	buffer_load_dword v38, off, s[0:3], 0 offset:376
	buffer_load_dword v41, off, s[0:3], 0 offset:372
	buffer_load_dword v40, off, s[0:3], 0 offset:368
	buffer_load_dword v43, off, s[0:3], 0 offset:428
	buffer_load_dword v42, off, s[0:3], 0 offset:424
	buffer_load_dword v45, off, s[0:3], 0 offset:420
	buffer_load_dword v44, off, s[0:3], 0 offset:416
	buffer_load_dword v47, off, s[0:3], 0 offset:412
	buffer_load_dword v46, off, s[0:3], 0 offset:408
	buffer_load_dword v49, off, s[0:3], 0 offset:404
	buffer_load_dword v48, off, s[0:3], 0 offset:400
	buffer_load_dword v51, off, s[0:3], 0 offset:460
	buffer_load_dword v50, off, s[0:3], 0 offset:456
	buffer_load_dword v53, off, s[0:3], 0 offset:452
	buffer_load_dword v52, off, s[0:3], 0 offset:448
	buffer_load_dword v55, off, s[0:3], 0 offset:444
	buffer_load_dword v54, off, s[0:3], 0 offset:440
	buffer_load_dword v57, off, s[0:3], 0 offset:436
	buffer_load_dword v56, off, s[0:3], 0 offset:432
	buffer_load_dword v59, off, s[0:3], 0 offset:492
	buffer_load_dword v58, off, s[0:3], 0 offset:488
	buffer_load_dword v61, off, s[0:3], 0 offset:484
	buffer_load_dword v60, off, s[0:3], 0 offset:480
	buffer_load_dword v63, off, s[0:3], 0 offset:476
	buffer_load_dword v62, off, s[0:3], 0 offset:472
	buffer_load_dword v65, off, s[0:3], 0 offset:468
	buffer_load_dword v64, off, s[0:3], 0 offset:464
	buffer_load_dword v155, off, s[0:3], 0 offset:524
	buffer_load_dword v154, off, s[0:3], 0 offset:520
	buffer_load_dword v157, off, s[0:3], 0 offset:516
	buffer_load_dword v156, off, s[0:3], 0 offset:512
	buffer_load_dword v159, off, s[0:3], 0 offset:508
	buffer_load_dword v158, off, s[0:3], 0 offset:504
	buffer_load_dword v161, off, s[0:3], 0 offset:500
	buffer_load_dword v160, off, s[0:3], 0 offset:496
	buffer_load_dword v163, off, s[0:3], 0 offset:556
	buffer_load_dword v162, off, s[0:3], 0 offset:552
	buffer_load_dword v165, off, s[0:3], 0 offset:548
	buffer_load_dword v164, off, s[0:3], 0 offset:544
	buffer_load_dword v167, off, s[0:3], 0 offset:540
	buffer_load_dword v166, off, s[0:3], 0 offset:536
	buffer_load_dword v169, off, s[0:3], 0 offset:532
	buffer_load_dword v168, off, s[0:3], 0 offset:528
	buffer_load_dword v171, off, s[0:3], 0 offset:572
	buffer_load_dword v170, off, s[0:3], 0 offset:568
	buffer_load_dword v173, off, s[0:3], 0 offset:564
	buffer_load_dword v172, off, s[0:3], 0 offset:560
	v_mov_b32_e32 v86, 0
	ds_read_b128 v[66:69], v86 offset:816
	buffer_load_dword v175, off, s[0:3], 0 offset:588
	buffer_load_dword v174, off, s[0:3], 0 offset:584
	;; [unrolled: 1-line block ×4, first 2 shown]
	ds_read_b128 v[70:73], v86 offset:832
	ds_read_b128 v[74:77], v86 offset:848
	;; [unrolled: 1-line block ×4, first 2 shown]
	v_cmp_lt_u32_e32 vcc, 13, v0
	s_waitcnt vmcnt(62) lgkmcnt(4)
	v_mul_f64 v[82:83], v[66:67], v[12:13]
	v_fmac_f64_e32 v[82:83], v[68:69], v[6:7]
	s_waitcnt lgkmcnt(3)
	v_mul_f64 v[84:85], v[70:71], v[14:15]
	v_add_f64 v[82:83], v[82:83], 0
	v_fmac_f64_e32 v[84:85], v[72:73], v[8:9]
	v_add_f64 v[82:83], v[82:83], v[84:85]
	s_waitcnt lgkmcnt(2)
	v_mul_f64 v[84:85], v[74:75], v[16:17]
	v_fmac_f64_e32 v[84:85], v[76:77], v[10:11]
	v_add_f64 v[88:89], v[82:83], v[84:85]
	ds_read_b128 v[82:85], v86 offset:880
	v_mul_f64 v[12:13], v[68:69], v[12:13]
	s_waitcnt lgkmcnt(2)
	v_mul_f64 v[90:91], v[78:79], v[22:23]
	v_fma_f64 v[6:7], v[66:67], v[6:7], -v[12:13]
	v_fmac_f64_e32 v[90:91], v[80:81], v[24:25]
	v_add_f64 v[92:93], v[88:89], v[90:91]
	ds_read_b128 v[88:91], v86 offset:896
	s_waitcnt lgkmcnt(1)
	v_mul_f64 v[94:95], v[82:83], v[18:19]
	v_fmac_f64_e32 v[94:95], v[84:85], v[20:21]
	v_add_f64 v[96:97], v[92:93], v[94:95]
	ds_read_b128 v[92:95], v86 offset:912
	s_waitcnt vmcnt(58) lgkmcnt(1)
	v_mul_f64 v[98:99], v[88:89], v[30:31]
	s_waitcnt vmcnt(56)
	v_fmac_f64_e32 v[98:99], v[90:91], v[32:33]
	v_add_f64 v[100:101], v[96:97], v[98:99]
	ds_read_b128 v[96:99], v86 offset:928
	s_waitcnt lgkmcnt(1)
	v_mul_f64 v[102:103], v[92:93], v[26:27]
	v_fmac_f64_e32 v[102:103], v[94:95], v[28:29]
	v_add_f64 v[104:105], v[100:101], v[102:103]
	ds_read_b128 v[100:103], v86 offset:944
	s_waitcnt vmcnt(50) lgkmcnt(1)
	v_mul_f64 v[106:107], v[96:97], v[38:39]
	s_waitcnt vmcnt(48)
	v_fmac_f64_e32 v[106:107], v[98:99], v[40:41]
	v_add_f64 v[108:109], v[104:105], v[106:107]
	ds_read_b128 v[104:107], v86 offset:960
	s_waitcnt lgkmcnt(1)
	v_mul_f64 v[110:111], v[100:101], v[34:35]
	v_fmac_f64_e32 v[110:111], v[102:103], v[36:37]
	v_mul_f64 v[12:13], v[72:73], v[14:15]
	v_add_f64 v[112:113], v[108:109], v[110:111]
	ds_read_b128 v[108:111], v86 offset:976
	s_waitcnt vmcnt(42) lgkmcnt(1)
	v_mul_f64 v[114:115], v[104:105], v[46:47]
	v_add_f64 v[6:7], v[6:7], 0
	v_fma_f64 v[8:9], v[70:71], v[8:9], -v[12:13]
	s_waitcnt vmcnt(40)
	v_fmac_f64_e32 v[114:115], v[106:107], v[48:49]
	v_add_f64 v[6:7], v[6:7], v[8:9]
	v_mul_f64 v[8:9], v[76:77], v[16:17]
	v_add_f64 v[116:117], v[112:113], v[114:115]
	ds_read_b128 v[112:115], v86 offset:992
	v_fma_f64 v[8:9], v[74:75], v[10:11], -v[8:9]
	v_add_f64 v[6:7], v[6:7], v[8:9]
	v_mul_f64 v[8:9], v[80:81], v[22:23]
	v_fma_f64 v[8:9], v[78:79], v[24:25], -v[8:9]
	s_waitcnt lgkmcnt(1)
	v_mul_f64 v[118:119], v[108:109], v[42:43]
	v_add_f64 v[6:7], v[6:7], v[8:9]
	v_mul_f64 v[8:9], v[84:85], v[18:19]
	v_fmac_f64_e32 v[118:119], v[110:111], v[44:45]
	v_fma_f64 v[8:9], v[82:83], v[20:21], -v[8:9]
	v_add_f64 v[122:123], v[116:117], v[118:119]
	ds_read_b128 v[116:119], v86 offset:1008
	s_waitcnt vmcnt(34) lgkmcnt(1)
	v_mul_f64 v[124:125], v[112:113], v[54:55]
	v_add_f64 v[6:7], v[6:7], v[8:9]
	v_mul_f64 v[8:9], v[90:91], v[30:31]
	s_waitcnt vmcnt(32)
	v_fmac_f64_e32 v[124:125], v[114:115], v[56:57]
	v_fma_f64 v[8:9], v[88:89], v[32:33], -v[8:9]
	v_add_f64 v[126:127], v[122:123], v[124:125]
	ds_read_b128 v[122:125], v86 offset:1024
	v_add_f64 v[6:7], v[6:7], v[8:9]
	v_mul_f64 v[8:9], v[94:95], v[26:27]
	v_fma_f64 v[8:9], v[92:93], v[28:29], -v[8:9]
	v_add_f64 v[6:7], v[6:7], v[8:9]
	v_mul_f64 v[8:9], v[98:99], v[38:39]
	s_waitcnt lgkmcnt(1)
	v_mul_f64 v[128:129], v[116:117], v[50:51]
	v_fma_f64 v[8:9], v[96:97], v[40:41], -v[8:9]
	v_fmac_f64_e32 v[128:129], v[118:119], v[52:53]
	v_add_f64 v[6:7], v[6:7], v[8:9]
	v_mul_f64 v[8:9], v[102:103], v[34:35]
	v_add_f64 v[130:131], v[126:127], v[128:129]
	ds_read_b128 v[126:129], v86 offset:1040
	s_waitcnt vmcnt(26) lgkmcnt(1)
	v_mul_f64 v[132:133], v[122:123], v[62:63]
	v_fma_f64 v[8:9], v[100:101], v[36:37], -v[8:9]
	s_waitcnt vmcnt(24)
	v_fmac_f64_e32 v[132:133], v[124:125], v[64:65]
	v_add_f64 v[6:7], v[6:7], v[8:9]
	v_mul_f64 v[8:9], v[106:107], v[46:47]
	v_add_f64 v[134:135], v[130:131], v[132:133]
	ds_read_b128 v[130:133], v86 offset:1056
	v_fma_f64 v[8:9], v[104:105], v[48:49], -v[8:9]
	v_add_f64 v[6:7], v[6:7], v[8:9]
	v_mul_f64 v[8:9], v[110:111], v[42:43]
	v_fma_f64 v[8:9], v[108:109], v[44:45], -v[8:9]
	s_waitcnt lgkmcnt(1)
	v_mul_f64 v[136:137], v[126:127], v[58:59]
	v_add_f64 v[6:7], v[6:7], v[8:9]
	v_mul_f64 v[8:9], v[114:115], v[54:55]
	v_fmac_f64_e32 v[136:137], v[128:129], v[60:61]
	v_fma_f64 v[8:9], v[112:113], v[56:57], -v[8:9]
	v_add_f64 v[138:139], v[134:135], v[136:137]
	ds_read_b128 v[134:137], v86 offset:1072
	s_waitcnt vmcnt(18) lgkmcnt(1)
	v_mul_f64 v[140:141], v[130:131], v[158:159]
	v_add_f64 v[6:7], v[6:7], v[8:9]
	v_mul_f64 v[8:9], v[118:119], v[50:51]
	s_waitcnt vmcnt(16)
	v_fmac_f64_e32 v[140:141], v[132:133], v[160:161]
	v_fma_f64 v[8:9], v[116:117], v[52:53], -v[8:9]
	v_add_f64 v[142:143], v[138:139], v[140:141]
	ds_read_b128 v[138:141], v86 offset:1088
	v_add_f64 v[6:7], v[6:7], v[8:9]
	v_mul_f64 v[8:9], v[124:125], v[62:63]
	v_fma_f64 v[8:9], v[122:123], v[64:65], -v[8:9]
	v_add_f64 v[6:7], v[6:7], v[8:9]
	v_mul_f64 v[8:9], v[128:129], v[58:59]
	s_waitcnt lgkmcnt(1)
	v_mul_f64 v[144:145], v[134:135], v[154:155]
	v_fma_f64 v[8:9], v[126:127], v[60:61], -v[8:9]
	v_fmac_f64_e32 v[144:145], v[136:137], v[156:157]
	v_add_f64 v[6:7], v[6:7], v[8:9]
	v_mul_f64 v[8:9], v[132:133], v[158:159]
	v_add_f64 v[146:147], v[142:143], v[144:145]
	ds_read_b128 v[142:145], v86 offset:1104
	s_waitcnt vmcnt(10) lgkmcnt(1)
	v_mul_f64 v[148:149], v[138:139], v[166:167]
	v_fma_f64 v[8:9], v[130:131], v[160:161], -v[8:9]
	s_waitcnt vmcnt(8)
	v_fmac_f64_e32 v[148:149], v[140:141], v[168:169]
	v_add_f64 v[6:7], v[6:7], v[8:9]
	v_mul_f64 v[8:9], v[136:137], v[154:155]
	v_add_f64 v[178:179], v[146:147], v[148:149]
	ds_read_b128 v[146:149], v86 offset:1120
	v_fma_f64 v[8:9], v[134:135], v[156:157], -v[8:9]
	v_add_f64 v[6:7], v[6:7], v[8:9]
	v_mul_f64 v[8:9], v[140:141], v[166:167]
	v_fma_f64 v[8:9], v[138:139], v[168:169], -v[8:9]
	v_add_f64 v[6:7], v[6:7], v[8:9]
	s_waitcnt lgkmcnt(1)
	v_mul_f64 v[8:9], v[144:145], v[162:163]
	v_mul_f64 v[180:181], v[142:143], v[162:163]
	v_fma_f64 v[8:9], v[142:143], v[164:165], -v[8:9]
	v_fmac_f64_e32 v[180:181], v[144:145], v[164:165]
	v_add_f64 v[6:7], v[6:7], v[8:9]
	s_waitcnt vmcnt(6) lgkmcnt(0)
	v_mul_f64 v[8:9], v[148:149], v[170:171]
	v_add_f64 v[178:179], v[178:179], v[180:181]
	v_mul_f64 v[180:181], v[146:147], v[170:171]
	s_waitcnt vmcnt(4)
	v_fma_f64 v[8:9], v[146:147], v[172:173], -v[8:9]
	v_fmac_f64_e32 v[180:181], v[148:149], v[172:173]
	v_add_f64 v[6:7], v[6:7], v[8:9]
	s_waitcnt vmcnt(2)
	v_mul_f64 v[8:9], v[152:153], v[174:175]
	v_add_f64 v[178:179], v[178:179], v[180:181]
	v_mul_f64 v[180:181], v[150:151], v[174:175]
	s_waitcnt vmcnt(0)
	v_fma_f64 v[8:9], v[150:151], v[176:177], -v[8:9]
	v_fmac_f64_e32 v[180:181], v[152:153], v[176:177]
	v_add_f64 v[6:7], v[6:7], v[8:9]
	v_add_f64 v[178:179], v[178:179], v[180:181]
	v_add_f64 v[4:5], v[4:5], -v[6:7]
	v_add_f64 v[2:3], v[2:3], -v[178:179]
	buffer_store_dword v5, off, s[0:3], 0 offset:244
	buffer_store_dword v4, off, s[0:3], 0 offset:240
	;; [unrolled: 1-line block ×4, first 2 shown]
	s_and_saveexec_b64 s[4:5], vcc
	s_cbranch_execz .LBB99_203
; %bb.202:
	v_accvgpr_read_b32 v5, a89
	buffer_load_dword v2, v5, s[0:3], 0 offen
	buffer_load_dword v3, v5, s[0:3], 0 offen offset:4
	buffer_load_dword v4, v5, s[0:3], 0 offen offset:8
	s_nop 0
	buffer_load_dword v5, v5, s[0:3], 0 offen offset:12
	s_nop 0
	buffer_store_dword v86, off, s[0:3], 0 offset:224
	buffer_store_dword v86, off, s[0:3], 0 offset:228
	buffer_store_dword v86, off, s[0:3], 0 offset:232
	buffer_store_dword v86, off, s[0:3], 0 offset:236
	s_waitcnt vmcnt(4)
	ds_write_b128 v1, v[2:5]
.LBB99_203:
	s_or_b64 exec, exec, s[4:5]
	s_waitcnt lgkmcnt(0)
	; wave barrier
	s_waitcnt lgkmcnt(0)
	ds_read_b128 v[14:17], v86 offset:800
	ds_read_b128 v[10:13], v86 offset:816
	;; [unrolled: 1-line block ×4, first 2 shown]
	buffer_load_dword v20, off, s[0:3], 0 offset:224
	buffer_load_dword v21, off, s[0:3], 0 offset:228
	;; [unrolled: 1-line block ×92, first 2 shown]
	s_waitcnt vmcnt(62) lgkmcnt(3)
	v_mul_f64 v[88:89], v[14:15], v[28:29]
	v_fmac_f64_e32 v[88:89], v[16:17], v[22:23]
	s_waitcnt lgkmcnt(2)
	v_mul_f64 v[90:91], v[10:11], v[30:31]
	v_add_f64 v[88:89], v[88:89], 0
	v_fmac_f64_e32 v[90:91], v[12:13], v[24:25]
	v_add_f64 v[88:89], v[88:89], v[90:91]
	s_waitcnt lgkmcnt(1)
	v_mul_f64 v[90:91], v[6:7], v[32:33]
	v_fmac_f64_e32 v[90:91], v[8:9], v[26:27]
	v_add_f64 v[92:93], v[88:89], v[90:91]
	ds_read_b128 v[88:91], v86 offset:864
	v_mul_f64 v[16:17], v[16:17], v[28:29]
	v_fma_f64 v[14:15], v[14:15], v[22:23], -v[16:17]
	s_waitcnt lgkmcnt(1)
	v_mul_f64 v[94:95], v[2:3], v[38:39]
	v_mul_f64 v[12:13], v[12:13], v[30:31]
	v_fmac_f64_e32 v[94:95], v[4:5], v[40:41]
	v_add_f64 v[96:97], v[92:93], v[94:95]
	ds_read_b128 v[92:95], v86 offset:880
	s_waitcnt lgkmcnt(1)
	v_mul_f64 v[98:99], v[88:89], v[34:35]
	v_fmac_f64_e32 v[98:99], v[90:91], v[36:37]
	v_add_f64 v[100:101], v[96:97], v[98:99]
	ds_read_b128 v[96:99], v86 offset:896
	s_waitcnt lgkmcnt(1)
	v_mul_f64 v[102:103], v[92:93], v[46:47]
	s_waitcnt vmcnt(60)
	v_fmac_f64_e32 v[102:103], v[94:95], v[48:49]
	v_add_f64 v[104:105], v[100:101], v[102:103]
	ds_read_b128 v[100:103], v86 offset:912
	s_waitcnt lgkmcnt(1)
	v_mul_f64 v[106:107], v[96:97], v[42:43]
	v_fmac_f64_e32 v[106:107], v[98:99], v[44:45]
	v_add_f64 v[108:109], v[104:105], v[106:107]
	ds_read_b128 v[104:107], v86 offset:928
	s_waitcnt vmcnt(54) lgkmcnt(1)
	v_mul_f64 v[110:111], v[100:101], v[54:55]
	s_waitcnt vmcnt(52)
	v_fmac_f64_e32 v[110:111], v[102:103], v[56:57]
	v_add_f64 v[112:113], v[108:109], v[110:111]
	ds_read_b128 v[108:111], v86 offset:944
	s_waitcnt lgkmcnt(1)
	v_mul_f64 v[114:115], v[104:105], v[50:51]
	v_fmac_f64_e32 v[114:115], v[106:107], v[52:53]
	v_add_f64 v[116:117], v[112:113], v[114:115]
	ds_read_b128 v[112:115], v86 offset:960
	s_waitcnt vmcnt(46) lgkmcnt(1)
	v_mul_f64 v[118:119], v[108:109], v[62:63]
	s_waitcnt vmcnt(44)
	v_fmac_f64_e32 v[118:119], v[110:111], v[64:65]
	v_add_f64 v[122:123], v[116:117], v[118:119]
	ds_read_b128 v[116:119], v86 offset:976
	s_waitcnt lgkmcnt(1)
	v_mul_f64 v[124:125], v[112:113], v[58:59]
	v_fmac_f64_e32 v[124:125], v[114:115], v[60:61]
	v_add_f64 v[14:15], v[14:15], 0
	v_fma_f64 v[10:11], v[10:11], v[24:25], -v[12:13]
	v_mul_f64 v[8:9], v[8:9], v[32:33]
	v_add_f64 v[126:127], v[122:123], v[124:125]
	ds_read_b128 v[122:125], v86 offset:992
	v_add_f64 v[10:11], v[14:15], v[10:11]
	v_fma_f64 v[6:7], v[6:7], v[26:27], -v[8:9]
	v_mul_f64 v[4:5], v[4:5], v[38:39]
	v_add_f64 v[6:7], v[10:11], v[6:7]
	v_fma_f64 v[2:3], v[2:3], v[40:41], -v[4:5]
	v_mul_f64 v[4:5], v[90:91], v[34:35]
	v_add_f64 v[2:3], v[6:7], v[2:3]
	v_fma_f64 v[4:5], v[88:89], v[36:37], -v[4:5]
	s_waitcnt vmcnt(38) lgkmcnt(1)
	v_mul_f64 v[128:129], v[116:117], v[70:71]
	v_add_f64 v[2:3], v[2:3], v[4:5]
	v_mul_f64 v[4:5], v[94:95], v[46:47]
	s_waitcnt vmcnt(36)
	v_fmac_f64_e32 v[128:129], v[118:119], v[72:73]
	v_fma_f64 v[4:5], v[92:93], v[48:49], -v[4:5]
	v_add_f64 v[130:131], v[126:127], v[128:129]
	ds_read_b128 v[126:129], v86 offset:1008
	s_waitcnt lgkmcnt(1)
	v_mul_f64 v[132:133], v[122:123], v[66:67]
	v_add_f64 v[2:3], v[2:3], v[4:5]
	v_mul_f64 v[4:5], v[98:99], v[42:43]
	v_fmac_f64_e32 v[132:133], v[124:125], v[68:69]
	v_fma_f64 v[4:5], v[96:97], v[44:45], -v[4:5]
	v_add_f64 v[134:135], v[130:131], v[132:133]
	ds_read_b128 v[130:133], v86 offset:1024
	v_add_f64 v[2:3], v[2:3], v[4:5]
	v_mul_f64 v[4:5], v[102:103], v[54:55]
	v_fma_f64 v[4:5], v[100:101], v[56:57], -v[4:5]
	v_add_f64 v[2:3], v[2:3], v[4:5]
	v_mul_f64 v[4:5], v[106:107], v[50:51]
	s_waitcnt vmcnt(30) lgkmcnt(1)
	v_mul_f64 v[136:137], v[126:127], v[78:79]
	v_fma_f64 v[4:5], v[104:105], v[52:53], -v[4:5]
	s_waitcnt vmcnt(28)
	v_fmac_f64_e32 v[136:137], v[128:129], v[80:81]
	v_add_f64 v[2:3], v[2:3], v[4:5]
	v_mul_f64 v[4:5], v[110:111], v[62:63]
	v_add_f64 v[138:139], v[134:135], v[136:137]
	ds_read_b128 v[134:137], v86 offset:1040
	s_waitcnt lgkmcnt(1)
	v_mul_f64 v[140:141], v[130:131], v[74:75]
	v_fma_f64 v[4:5], v[108:109], v[64:65], -v[4:5]
	v_fmac_f64_e32 v[140:141], v[132:133], v[76:77]
	v_add_f64 v[2:3], v[2:3], v[4:5]
	v_mul_f64 v[4:5], v[114:115], v[58:59]
	v_add_f64 v[142:143], v[138:139], v[140:141]
	ds_read_b128 v[138:141], v86 offset:1056
	v_fma_f64 v[4:5], v[112:113], v[60:61], -v[4:5]
	v_add_f64 v[2:3], v[2:3], v[4:5]
	v_mul_f64 v[4:5], v[118:119], v[70:71]
	v_fma_f64 v[4:5], v[116:117], v[72:73], -v[4:5]
	s_waitcnt vmcnt(22) lgkmcnt(1)
	v_mul_f64 v[144:145], v[134:135], v[162:163]
	v_add_f64 v[2:3], v[2:3], v[4:5]
	v_mul_f64 v[4:5], v[124:125], v[66:67]
	s_waitcnt vmcnt(20)
	v_fmac_f64_e32 v[144:145], v[136:137], v[164:165]
	v_fma_f64 v[4:5], v[122:123], v[68:69], -v[4:5]
	v_add_f64 v[146:147], v[142:143], v[144:145]
	ds_read_b128 v[142:145], v86 offset:1072
	s_waitcnt lgkmcnt(1)
	v_mul_f64 v[148:149], v[138:139], v[82:83]
	v_add_f64 v[2:3], v[2:3], v[4:5]
	v_mul_f64 v[4:5], v[128:129], v[78:79]
	v_fmac_f64_e32 v[148:149], v[140:141], v[84:85]
	v_fma_f64 v[4:5], v[126:127], v[80:81], -v[4:5]
	v_add_f64 v[150:151], v[146:147], v[148:149]
	ds_read_b128 v[146:149], v86 offset:1088
	v_add_f64 v[2:3], v[2:3], v[4:5]
	v_mul_f64 v[4:5], v[132:133], v[74:75]
	v_fma_f64 v[4:5], v[130:131], v[76:77], -v[4:5]
	v_add_f64 v[2:3], v[2:3], v[4:5]
	v_mul_f64 v[4:5], v[136:137], v[162:163]
	s_waitcnt vmcnt(14) lgkmcnt(1)
	v_mul_f64 v[152:153], v[142:143], v[170:171]
	v_fma_f64 v[4:5], v[134:135], v[164:165], -v[4:5]
	s_waitcnt vmcnt(12)
	v_fmac_f64_e32 v[152:153], v[144:145], v[172:173]
	v_add_f64 v[2:3], v[2:3], v[4:5]
	v_mul_f64 v[4:5], v[140:141], v[82:83]
	v_add_f64 v[154:155], v[150:151], v[152:153]
	ds_read_b128 v[150:153], v86 offset:1104
	s_waitcnt lgkmcnt(1)
	v_mul_f64 v[156:157], v[146:147], v[166:167]
	v_fma_f64 v[4:5], v[138:139], v[84:85], -v[4:5]
	v_fmac_f64_e32 v[156:157], v[148:149], v[168:169]
	v_add_f64 v[2:3], v[2:3], v[4:5]
	v_mul_f64 v[4:5], v[144:145], v[170:171]
	v_add_f64 v[190:191], v[154:155], v[156:157]
	ds_read_b128 v[154:157], v86 offset:1120
	ds_read_b128 v[158:161], v86 offset:1136
	v_fma_f64 v[4:5], v[142:143], v[172:173], -v[4:5]
	v_add_f64 v[2:3], v[2:3], v[4:5]
	v_mul_f64 v[4:5], v[148:149], v[166:167]
	v_fma_f64 v[4:5], v[146:147], v[168:169], -v[4:5]
	v_add_f64 v[2:3], v[2:3], v[4:5]
	s_waitcnt vmcnt(6) lgkmcnt(2)
	v_mul_f64 v[4:5], v[152:153], v[178:179]
	v_mul_f64 v[192:193], v[150:151], v[178:179]
	s_waitcnt vmcnt(4)
	v_fma_f64 v[4:5], v[150:151], v[180:181], -v[4:5]
	v_fmac_f64_e32 v[192:193], v[152:153], v[180:181]
	v_add_f64 v[2:3], v[2:3], v[4:5]
	s_waitcnt lgkmcnt(1)
	v_mul_f64 v[4:5], v[156:157], v[174:175]
	v_add_f64 v[86:87], v[190:191], v[192:193]
	v_mul_f64 v[190:191], v[154:155], v[174:175]
	v_fma_f64 v[4:5], v[154:155], v[176:177], -v[4:5]
	v_fmac_f64_e32 v[190:191], v[156:157], v[176:177]
	v_add_f64 v[2:3], v[2:3], v[4:5]
	s_waitcnt vmcnt(2) lgkmcnt(0)
	v_mul_f64 v[4:5], v[160:161], v[182:183]
	v_add_f64 v[86:87], v[86:87], v[190:191]
	v_mul_f64 v[190:191], v[158:159], v[182:183]
	s_waitcnt vmcnt(0)
	v_fma_f64 v[4:5], v[158:159], v[184:185], -v[4:5]
	v_fmac_f64_e32 v[190:191], v[160:161], v[184:185]
	v_add_f64 v[2:3], v[2:3], v[4:5]
	v_add_f64 v[86:87], v[86:87], v[190:191]
	v_add_f64 v[2:3], v[20:21], -v[2:3]
	v_cmp_lt_u32_e32 vcc, 12, v0
	v_add_f64 v[4:5], v[18:19], -v[86:87]
	buffer_store_dword v3, off, s[0:3], 0 offset:228
	buffer_store_dword v2, off, s[0:3], 0 offset:224
	;; [unrolled: 1-line block ×4, first 2 shown]
	s_and_saveexec_b64 s[4:5], vcc
	s_cbranch_execz .LBB99_205
; %bb.204:
	v_accvgpr_read_b32 v5, a90
	buffer_load_dword v2, v5, s[0:3], 0 offen
	buffer_load_dword v3, v5, s[0:3], 0 offen offset:4
	buffer_load_dword v4, v5, s[0:3], 0 offen offset:8
	s_nop 0
	buffer_load_dword v5, v5, s[0:3], 0 offen offset:12
	v_mov_b32_e32 v6, 0
	buffer_store_dword v6, off, s[0:3], 0 offset:208
	buffer_store_dword v6, off, s[0:3], 0 offset:212
	;; [unrolled: 1-line block ×4, first 2 shown]
	s_waitcnt vmcnt(4)
	ds_write_b128 v1, v[2:5]
.LBB99_205:
	s_or_b64 exec, exec, s[4:5]
	s_waitcnt lgkmcnt(0)
	; wave barrier
	s_waitcnt lgkmcnt(0)
	buffer_load_dword v9, off, s[0:3], 0 offset:236
	buffer_load_dword v6, off, s[0:3], 0 offset:248
	;; [unrolled: 1-line block ×64, first 2 shown]
	v_mov_b32_e32 v98, 0
	ds_read_b128 v[74:77], v98 offset:784
	ds_read_b128 v[78:81], v98 offset:800
	buffer_load_dword v67, off, s[0:3], 0 offset:492
	buffer_load_dword v66, off, s[0:3], 0 offset:488
	;; [unrolled: 1-line block ×8, first 2 shown]
	ds_read_b128 v[82:85], v98 offset:816
	ds_read_b128 v[86:89], v98 offset:832
	buffer_load_dword v171, off, s[0:3], 0 offset:524
	buffer_load_dword v170, off, s[0:3], 0 offset:520
	buffer_load_dword v173, off, s[0:3], 0 offset:516
	buffer_load_dword v172, off, s[0:3], 0 offset:512
	buffer_load_dword v175, off, s[0:3], 0 offset:508
	buffer_load_dword v174, off, s[0:3], 0 offset:504
	buffer_load_dword v177, off, s[0:3], 0 offset:500
	buffer_load_dword v176, off, s[0:3], 0 offset:496
	buffer_load_dword v179, off, s[0:3], 0 offset:556
	buffer_load_dword v178, off, s[0:3], 0 offset:552
	buffer_load_dword v181, off, s[0:3], 0 offset:548
	buffer_load_dword v180, off, s[0:3], 0 offset:544
	buffer_load_dword v183, off, s[0:3], 0 offset:540
	buffer_load_dword v182, off, s[0:3], 0 offset:536
	buffer_load_dword v185, off, s[0:3], 0 offset:532
	buffer_load_dword v184, off, s[0:3], 0 offset:528
	buffer_load_dword v191, off, s[0:3], 0 offset:588
	buffer_load_dword v190, off, s[0:3], 0 offset:584
	buffer_load_dword v193, off, s[0:3], 0 offset:580
	buffer_load_dword v192, off, s[0:3], 0 offset:576
	buffer_load_dword v195, off, s[0:3], 0 offset:572
	buffer_load_dword v194, off, s[0:3], 0 offset:568
	buffer_load_dword v197, off, s[0:3], 0 offset:564
	buffer_load_dword v196, off, s[0:3], 0 offset:560
	ds_read_b128 v[166:169], v98 offset:1136
	v_cmp_lt_u32_e32 vcc, 11, v0
	s_waitcnt vmcnt(62) lgkmcnt(1)
	v_mul_f64 v[96:97], v[86:87], v[22:23]
	v_fmac_f64_e32 v[96:97], v[88:89], v[24:25]
	v_mul_f64 v[92:93], v[78:79], v[6:7]
	v_mul_f64 v[90:91], v[74:75], v[8:9]
	;; [unrolled: 1-line block ×3, first 2 shown]
	v_fmac_f64_e32 v[90:91], v[76:77], v[10:11]
	v_add_f64 v[90:91], v[90:91], 0
	v_fma_f64 v[8:9], v[74:75], v[10:11], -v[8:9]
	v_mul_f64 v[6:7], v[80:81], v[6:7]
	v_add_f64 v[8:9], v[8:9], 0
	v_fmac_f64_e32 v[92:93], v[80:81], v[14:15]
	v_add_f64 v[90:91], v[90:91], v[92:93]
	v_mul_f64 v[92:93], v[82:83], v[16:17]
	v_fmac_f64_e32 v[92:93], v[84:85], v[12:13]
	v_add_f64 v[94:95], v[90:91], v[92:93]
	ds_read_b128 v[90:93], v98 offset:848
	v_add_f64 v[100:101], v[94:95], v[96:97]
	ds_read_b128 v[94:97], v98 offset:864
	v_fma_f64 v[6:7], v[78:79], v[14:15], -v[6:7]
	v_add_f64 v[6:7], v[8:9], v[6:7]
	s_waitcnt lgkmcnt(1)
	v_mul_f64 v[102:103], v[90:91], v[18:19]
	v_fmac_f64_e32 v[102:103], v[92:93], v[20:21]
	v_add_f64 v[104:105], v[100:101], v[102:103]
	ds_read_b128 v[100:103], v98 offset:880
	s_waitcnt lgkmcnt(1)
	v_mul_f64 v[106:107], v[94:95], v[30:31]
	v_fmac_f64_e32 v[106:107], v[96:97], v[32:33]
	v_add_f64 v[108:109], v[104:105], v[106:107]
	ds_read_b128 v[104:107], v98 offset:896
	;; [unrolled: 5-line block ×3, first 2 shown]
	s_waitcnt vmcnt(58) lgkmcnt(1)
	v_mul_f64 v[114:115], v[104:105], v[38:39]
	s_waitcnt vmcnt(56)
	v_fmac_f64_e32 v[114:115], v[106:107], v[40:41]
	v_add_f64 v[116:117], v[112:113], v[114:115]
	ds_read_b128 v[112:115], v98 offset:928
	s_waitcnt lgkmcnt(1)
	v_mul_f64 v[118:119], v[108:109], v[34:35]
	v_fmac_f64_e32 v[118:119], v[110:111], v[36:37]
	v_add_f64 v[122:123], v[116:117], v[118:119]
	ds_read_b128 v[116:119], v98 offset:944
	s_waitcnt vmcnt(50) lgkmcnt(1)
	v_mul_f64 v[124:125], v[112:113], v[46:47]
	s_waitcnt vmcnt(48)
	v_fmac_f64_e32 v[124:125], v[114:115], v[48:49]
	v_add_f64 v[126:127], v[122:123], v[124:125]
	ds_read_b128 v[122:125], v98 offset:960
	v_mul_f64 v[8:9], v[84:85], v[16:17]
	s_waitcnt lgkmcnt(1)
	v_mul_f64 v[128:129], v[116:117], v[42:43]
	v_fma_f64 v[8:9], v[82:83], v[12:13], -v[8:9]
	v_fmac_f64_e32 v[128:129], v[118:119], v[44:45]
	v_add_f64 v[6:7], v[6:7], v[8:9]
	v_mul_f64 v[8:9], v[88:89], v[22:23]
	v_add_f64 v[130:131], v[126:127], v[128:129]
	ds_read_b128 v[126:129], v98 offset:976
	s_waitcnt vmcnt(42) lgkmcnt(1)
	v_mul_f64 v[132:133], v[122:123], v[54:55]
	v_fma_f64 v[8:9], v[86:87], v[24:25], -v[8:9]
	s_waitcnt vmcnt(40)
	v_fmac_f64_e32 v[132:133], v[124:125], v[56:57]
	v_add_f64 v[6:7], v[6:7], v[8:9]
	v_mul_f64 v[8:9], v[92:93], v[18:19]
	v_add_f64 v[134:135], v[130:131], v[132:133]
	ds_read_b128 v[130:133], v98 offset:992
	v_fma_f64 v[8:9], v[90:91], v[20:21], -v[8:9]
	v_add_f64 v[6:7], v[6:7], v[8:9]
	v_mul_f64 v[8:9], v[96:97], v[30:31]
	v_fma_f64 v[8:9], v[94:95], v[32:33], -v[8:9]
	s_waitcnt lgkmcnt(1)
	v_mul_f64 v[136:137], v[126:127], v[50:51]
	v_add_f64 v[6:7], v[6:7], v[8:9]
	v_mul_f64 v[8:9], v[102:103], v[26:27]
	v_fmac_f64_e32 v[136:137], v[128:129], v[52:53]
	v_fma_f64 v[8:9], v[100:101], v[28:29], -v[8:9]
	v_add_f64 v[138:139], v[134:135], v[136:137]
	ds_read_b128 v[134:137], v98 offset:1008
	s_waitcnt vmcnt(34) lgkmcnt(1)
	v_mul_f64 v[140:141], v[130:131], v[62:63]
	v_add_f64 v[6:7], v[6:7], v[8:9]
	v_mul_f64 v[8:9], v[106:107], v[38:39]
	s_waitcnt vmcnt(32)
	v_fmac_f64_e32 v[140:141], v[132:133], v[64:65]
	v_fma_f64 v[8:9], v[104:105], v[40:41], -v[8:9]
	v_add_f64 v[142:143], v[138:139], v[140:141]
	ds_read_b128 v[138:141], v98 offset:1024
	v_add_f64 v[6:7], v[6:7], v[8:9]
	v_mul_f64 v[8:9], v[110:111], v[34:35]
	v_fma_f64 v[8:9], v[108:109], v[36:37], -v[8:9]
	v_add_f64 v[6:7], v[6:7], v[8:9]
	v_mul_f64 v[8:9], v[114:115], v[46:47]
	s_waitcnt lgkmcnt(1)
	v_mul_f64 v[144:145], v[134:135], v[58:59]
	v_fma_f64 v[8:9], v[112:113], v[48:49], -v[8:9]
	v_fmac_f64_e32 v[144:145], v[136:137], v[60:61]
	v_add_f64 v[6:7], v[6:7], v[8:9]
	v_mul_f64 v[8:9], v[118:119], v[42:43]
	v_add_f64 v[146:147], v[142:143], v[144:145]
	ds_read_b128 v[142:145], v98 offset:1040
	s_waitcnt vmcnt(26) lgkmcnt(1)
	v_mul_f64 v[148:149], v[138:139], v[70:71]
	v_fma_f64 v[8:9], v[116:117], v[44:45], -v[8:9]
	s_waitcnt vmcnt(24)
	v_fmac_f64_e32 v[148:149], v[140:141], v[72:73]
	v_add_f64 v[6:7], v[6:7], v[8:9]
	v_mul_f64 v[8:9], v[124:125], v[54:55]
	v_add_f64 v[150:151], v[146:147], v[148:149]
	ds_read_b128 v[146:149], v98 offset:1056
	v_fma_f64 v[8:9], v[122:123], v[56:57], -v[8:9]
	v_add_f64 v[6:7], v[6:7], v[8:9]
	v_mul_f64 v[8:9], v[128:129], v[50:51]
	v_fma_f64 v[8:9], v[126:127], v[52:53], -v[8:9]
	s_waitcnt lgkmcnt(1)
	v_mul_f64 v[152:153], v[142:143], v[66:67]
	v_add_f64 v[6:7], v[6:7], v[8:9]
	v_mul_f64 v[8:9], v[132:133], v[62:63]
	v_fmac_f64_e32 v[152:153], v[144:145], v[68:69]
	v_fma_f64 v[8:9], v[130:131], v[64:65], -v[8:9]
	v_add_f64 v[154:155], v[150:151], v[152:153]
	ds_read_b128 v[150:153], v98 offset:1072
	s_waitcnt vmcnt(18) lgkmcnt(1)
	v_mul_f64 v[156:157], v[146:147], v[174:175]
	v_add_f64 v[6:7], v[6:7], v[8:9]
	v_mul_f64 v[8:9], v[136:137], v[58:59]
	s_waitcnt vmcnt(16)
	v_fmac_f64_e32 v[156:157], v[148:149], v[176:177]
	v_fma_f64 v[8:9], v[134:135], v[60:61], -v[8:9]
	v_add_f64 v[158:159], v[154:155], v[156:157]
	ds_read_b128 v[154:157], v98 offset:1088
	v_add_f64 v[6:7], v[6:7], v[8:9]
	v_mul_f64 v[8:9], v[140:141], v[70:71]
	v_fma_f64 v[8:9], v[138:139], v[72:73], -v[8:9]
	v_add_f64 v[6:7], v[6:7], v[8:9]
	v_mul_f64 v[8:9], v[144:145], v[66:67]
	s_waitcnt lgkmcnt(1)
	v_mul_f64 v[160:161], v[150:151], v[170:171]
	v_fma_f64 v[8:9], v[142:143], v[68:69], -v[8:9]
	v_fmac_f64_e32 v[160:161], v[152:153], v[172:173]
	v_add_f64 v[6:7], v[6:7], v[8:9]
	v_mul_f64 v[8:9], v[148:149], v[174:175]
	v_add_f64 v[162:163], v[158:159], v[160:161]
	ds_read_b128 v[158:161], v98 offset:1104
	s_waitcnt vmcnt(10) lgkmcnt(1)
	v_mul_f64 v[164:165], v[154:155], v[182:183]
	v_fma_f64 v[8:9], v[146:147], v[176:177], -v[8:9]
	s_waitcnt vmcnt(8)
	v_fmac_f64_e32 v[164:165], v[156:157], v[184:185]
	v_add_f64 v[6:7], v[6:7], v[8:9]
	v_mul_f64 v[8:9], v[152:153], v[170:171]
	v_add_f64 v[198:199], v[162:163], v[164:165]
	ds_read_b128 v[162:165], v98 offset:1120
	v_fma_f64 v[8:9], v[150:151], v[172:173], -v[8:9]
	v_add_f64 v[6:7], v[6:7], v[8:9]
	v_mul_f64 v[8:9], v[156:157], v[182:183]
	v_fma_f64 v[8:9], v[154:155], v[184:185], -v[8:9]
	v_add_f64 v[6:7], v[6:7], v[8:9]
	s_waitcnt lgkmcnt(1)
	v_mul_f64 v[8:9], v[160:161], v[178:179]
	v_mul_f64 v[200:201], v[158:159], v[178:179]
	v_fma_f64 v[8:9], v[158:159], v[180:181], -v[8:9]
	v_fmac_f64_e32 v[200:201], v[160:161], v[180:181]
	v_add_f64 v[6:7], v[6:7], v[8:9]
	s_waitcnt vmcnt(2) lgkmcnt(0)
	v_mul_f64 v[8:9], v[164:165], v[194:195]
	v_add_f64 v[198:199], v[198:199], v[200:201]
	v_mul_f64 v[200:201], v[162:163], v[194:195]
	s_waitcnt vmcnt(0)
	v_fma_f64 v[8:9], v[162:163], v[196:197], -v[8:9]
	v_fmac_f64_e32 v[200:201], v[164:165], v[196:197]
	v_add_f64 v[6:7], v[6:7], v[8:9]
	v_mul_f64 v[8:9], v[168:169], v[190:191]
	v_add_f64 v[198:199], v[198:199], v[200:201]
	v_mul_f64 v[200:201], v[166:167], v[190:191]
	v_fma_f64 v[8:9], v[166:167], v[192:193], -v[8:9]
	v_fmac_f64_e32 v[200:201], v[168:169], v[192:193]
	v_add_f64 v[6:7], v[6:7], v[8:9]
	v_add_f64 v[198:199], v[198:199], v[200:201]
	v_add_f64 v[4:5], v[4:5], -v[6:7]
	v_add_f64 v[2:3], v[2:3], -v[198:199]
	buffer_store_dword v5, off, s[0:3], 0 offset:212
	buffer_store_dword v4, off, s[0:3], 0 offset:208
	;; [unrolled: 1-line block ×4, first 2 shown]
	s_and_saveexec_b64 s[4:5], vcc
	s_cbranch_execz .LBB99_207
; %bb.206:
	v_accvgpr_read_b32 v5, a91
	buffer_load_dword v2, v5, s[0:3], 0 offen
	buffer_load_dword v3, v5, s[0:3], 0 offen offset:4
	buffer_load_dword v4, v5, s[0:3], 0 offen offset:8
	s_nop 0
	buffer_load_dword v5, v5, s[0:3], 0 offen offset:12
	s_nop 0
	buffer_store_dword v98, off, s[0:3], 0 offset:192
	buffer_store_dword v98, off, s[0:3], 0 offset:196
	;; [unrolled: 1-line block ×4, first 2 shown]
	s_waitcnt vmcnt(4)
	ds_write_b128 v1, v[2:5]
.LBB99_207:
	s_or_b64 exec, exec, s[4:5]
	s_waitcnt lgkmcnt(0)
	; wave barrier
	s_waitcnt lgkmcnt(0)
	buffer_load_dword v22, off, s[0:3], 0 offset:208
	buffer_load_dword v23, off, s[0:3], 0 offset:212
	;; [unrolled: 1-line block ×16, first 2 shown]
	ds_read_b128 v[2:5], v98 offset:768
	ds_read_b128 v[6:9], v98 offset:784
	;; [unrolled: 1-line block ×4, first 2 shown]
	buffer_load_dword v35, off, s[0:3], 0 offset:284
	buffer_load_dword v34, off, s[0:3], 0 offset:280
	;; [unrolled: 1-line block ×48, first 2 shown]
	v_cmp_lt_u32_e32 vcc, 10, v0
	s_waitcnt vmcnt(42) lgkmcnt(0)
	v_mul_f64 v[106:107], v[14:15], v[38:39]
	s_waitcnt vmcnt(40)
	v_fmac_f64_e32 v[106:107], v[16:17], v[40:41]
	v_mul_f64 v[82:83], v[2:3], v[24:25]
	v_fmac_f64_e32 v[82:83], v[4:5], v[22:23]
	v_add_f64 v[82:83], v[82:83], 0
	v_mul_f64 v[4:5], v[4:5], v[24:25]
	v_mul_f64 v[84:85], v[6:7], v[32:33]
	v_fma_f64 v[2:3], v[2:3], v[22:23], -v[4:5]
	v_mul_f64 v[100:101], v[10:11], v[26:27]
	v_fmac_f64_e32 v[100:101], v[12:13], v[30:31]
	v_fmac_f64_e32 v[84:85], v[8:9], v[28:29]
	v_add_f64 v[102:103], v[82:83], v[84:85]
	buffer_load_dword v83, off, s[0:3], 0 offset:476
	buffer_load_dword v82, off, s[0:3], 0 offset:472
	;; [unrolled: 1-line block ×32, first 2 shown]
	v_add_f64 v[104:105], v[102:103], v[100:101]
	ds_read_b128 v[100:103], v98 offset:832
	buffer_load_dword v203, off, s[0:3], 0 offset:588
	buffer_load_dword v202, off, s[0:3], 0 offset:584
	;; [unrolled: 1-line block ×4, first 2 shown]
	v_add_f64 v[108:109], v[104:105], v[106:107]
	ds_read_b128 v[104:107], v98 offset:848
	v_mul_f64 v[4:5], v[8:9], v[32:33]
	s_waitcnt lgkmcnt(1)
	v_mul_f64 v[110:111], v[100:101], v[34:35]
	v_fmac_f64_e32 v[110:111], v[102:103], v[36:37]
	v_add_f64 v[112:113], v[108:109], v[110:111]
	ds_read_b128 v[108:111], v98 offset:864
	s_waitcnt vmcnt(62) lgkmcnt(1)
	v_mul_f64 v[114:115], v[104:105], v[46:47]
	v_fmac_f64_e32 v[114:115], v[106:107], v[48:49]
	v_add_f64 v[116:117], v[112:113], v[114:115]
	ds_read_b128 v[112:115], v98 offset:880
	s_waitcnt lgkmcnt(1)
	v_mul_f64 v[118:119], v[108:109], v[42:43]
	v_fmac_f64_e32 v[118:119], v[110:111], v[44:45]
	v_add_f64 v[122:123], v[116:117], v[118:119]
	ds_read_b128 v[116:119], v98 offset:896
	s_waitcnt lgkmcnt(1)
	v_mul_f64 v[124:125], v[112:113], v[54:55]
	s_waitcnt vmcnt(60)
	v_fmac_f64_e32 v[124:125], v[114:115], v[56:57]
	v_add_f64 v[126:127], v[122:123], v[124:125]
	ds_read_b128 v[122:125], v98 offset:912
	s_waitcnt lgkmcnt(1)
	v_mul_f64 v[128:129], v[116:117], v[50:51]
	v_fmac_f64_e32 v[128:129], v[118:119], v[52:53]
	v_add_f64 v[130:131], v[126:127], v[128:129]
	ds_read_b128 v[126:129], v98 offset:928
	s_waitcnt vmcnt(54) lgkmcnt(1)
	v_mul_f64 v[132:133], v[122:123], v[62:63]
	s_waitcnt vmcnt(52)
	v_fmac_f64_e32 v[132:133], v[124:125], v[64:65]
	v_add_f64 v[134:135], v[130:131], v[132:133]
	ds_read_b128 v[130:133], v98 offset:944
	s_waitcnt lgkmcnt(1)
	v_mul_f64 v[136:137], v[126:127], v[58:59]
	v_fmac_f64_e32 v[136:137], v[128:129], v[60:61]
	v_add_f64 v[2:3], v[2:3], 0
	v_fma_f64 v[4:5], v[6:7], v[28:29], -v[4:5]
	v_add_f64 v[138:139], v[134:135], v[136:137]
	ds_read_b128 v[134:137], v98 offset:960
	v_add_f64 v[2:3], v[2:3], v[4:5]
	v_mul_f64 v[4:5], v[12:13], v[26:27]
	v_fma_f64 v[4:5], v[10:11], v[30:31], -v[4:5]
	v_add_f64 v[2:3], v[2:3], v[4:5]
	v_mul_f64 v[4:5], v[16:17], v[38:39]
	s_waitcnt vmcnt(46) lgkmcnt(1)
	v_mul_f64 v[140:141], v[130:131], v[70:71]
	v_fma_f64 v[4:5], v[14:15], v[40:41], -v[4:5]
	s_waitcnt vmcnt(44)
	v_fmac_f64_e32 v[140:141], v[132:133], v[72:73]
	v_add_f64 v[2:3], v[2:3], v[4:5]
	v_mul_f64 v[4:5], v[102:103], v[34:35]
	v_add_f64 v[142:143], v[138:139], v[140:141]
	ds_read_b128 v[138:141], v98 offset:976
	s_waitcnt lgkmcnt(1)
	v_mul_f64 v[144:145], v[134:135], v[66:67]
	v_fma_f64 v[4:5], v[100:101], v[36:37], -v[4:5]
	v_fmac_f64_e32 v[144:145], v[136:137], v[68:69]
	v_add_f64 v[2:3], v[2:3], v[4:5]
	v_mul_f64 v[4:5], v[106:107], v[46:47]
	v_add_f64 v[146:147], v[142:143], v[144:145]
	ds_read_b128 v[142:145], v98 offset:992
	v_fma_f64 v[4:5], v[104:105], v[48:49], -v[4:5]
	v_add_f64 v[2:3], v[2:3], v[4:5]
	v_mul_f64 v[4:5], v[110:111], v[42:43]
	v_fma_f64 v[4:5], v[108:109], v[44:45], -v[4:5]
	s_waitcnt vmcnt(38) lgkmcnt(1)
	v_mul_f64 v[148:149], v[138:139], v[78:79]
	v_add_f64 v[2:3], v[2:3], v[4:5]
	v_mul_f64 v[4:5], v[114:115], v[54:55]
	s_waitcnt vmcnt(36)
	v_fmac_f64_e32 v[148:149], v[140:141], v[80:81]
	v_fma_f64 v[4:5], v[112:113], v[56:57], -v[4:5]
	v_add_f64 v[150:151], v[146:147], v[148:149]
	ds_read_b128 v[146:149], v98 offset:1008
	s_waitcnt lgkmcnt(1)
	v_mul_f64 v[152:153], v[142:143], v[74:75]
	v_add_f64 v[2:3], v[2:3], v[4:5]
	v_mul_f64 v[4:5], v[118:119], v[50:51]
	v_fmac_f64_e32 v[152:153], v[144:145], v[76:77]
	v_fma_f64 v[4:5], v[116:117], v[52:53], -v[4:5]
	v_add_f64 v[154:155], v[150:151], v[152:153]
	ds_read_b128 v[150:153], v98 offset:1024
	v_add_f64 v[2:3], v[2:3], v[4:5]
	v_mul_f64 v[4:5], v[124:125], v[62:63]
	v_fma_f64 v[4:5], v[122:123], v[64:65], -v[4:5]
	v_add_f64 v[2:3], v[2:3], v[4:5]
	v_mul_f64 v[4:5], v[128:129], v[58:59]
	s_waitcnt vmcnt(30) lgkmcnt(1)
	v_mul_f64 v[156:157], v[146:147], v[86:87]
	v_fma_f64 v[4:5], v[126:127], v[60:61], -v[4:5]
	s_waitcnt vmcnt(28)
	v_fmac_f64_e32 v[156:157], v[148:149], v[88:89]
	v_add_f64 v[2:3], v[2:3], v[4:5]
	v_mul_f64 v[4:5], v[132:133], v[70:71]
	v_add_f64 v[158:159], v[154:155], v[156:157]
	ds_read_b128 v[154:157], v98 offset:1040
	s_waitcnt lgkmcnt(1)
	v_mul_f64 v[160:161], v[150:151], v[82:83]
	v_fma_f64 v[4:5], v[130:131], v[72:73], -v[4:5]
	v_fmac_f64_e32 v[160:161], v[152:153], v[84:85]
	v_add_f64 v[2:3], v[2:3], v[4:5]
	v_mul_f64 v[4:5], v[136:137], v[66:67]
	v_add_f64 v[162:163], v[158:159], v[160:161]
	ds_read_b128 v[158:161], v98 offset:1056
	v_fma_f64 v[4:5], v[134:135], v[68:69], -v[4:5]
	v_add_f64 v[2:3], v[2:3], v[4:5]
	v_mul_f64 v[4:5], v[140:141], v[78:79]
	v_fma_f64 v[4:5], v[138:139], v[80:81], -v[4:5]
	s_waitcnt vmcnt(22) lgkmcnt(1)
	v_mul_f64 v[164:165], v[154:155], v[94:95]
	v_add_f64 v[2:3], v[2:3], v[4:5]
	v_mul_f64 v[4:5], v[144:145], v[74:75]
	s_waitcnt vmcnt(20)
	v_fmac_f64_e32 v[164:165], v[156:157], v[96:97]
	v_fma_f64 v[4:5], v[142:143], v[76:77], -v[4:5]
	v_add_f64 v[166:167], v[162:163], v[164:165]
	ds_read_b128 v[162:165], v98 offset:1072
	s_waitcnt lgkmcnt(1)
	v_mul_f64 v[168:169], v[158:159], v[90:91]
	v_add_f64 v[2:3], v[2:3], v[4:5]
	v_mul_f64 v[4:5], v[148:149], v[86:87]
	v_fmac_f64_e32 v[168:169], v[160:161], v[92:93]
	v_fma_f64 v[4:5], v[146:147], v[88:89], -v[4:5]
	v_add_f64 v[170:171], v[166:167], v[168:169]
	ds_read_b128 v[166:169], v98 offset:1088
	v_add_f64 v[2:3], v[2:3], v[4:5]
	v_mul_f64 v[4:5], v[152:153], v[82:83]
	v_fma_f64 v[4:5], v[150:151], v[84:85], -v[4:5]
	v_add_f64 v[2:3], v[2:3], v[4:5]
	v_mul_f64 v[4:5], v[156:157], v[94:95]
	s_waitcnt vmcnt(14) lgkmcnt(1)
	v_mul_f64 v[172:173], v[162:163], v[190:191]
	v_fma_f64 v[4:5], v[154:155], v[96:97], -v[4:5]
	s_waitcnt vmcnt(12)
	v_fmac_f64_e32 v[172:173], v[164:165], v[192:193]
	v_add_f64 v[2:3], v[2:3], v[4:5]
	v_mul_f64 v[4:5], v[160:161], v[90:91]
	v_add_f64 v[174:175], v[170:171], v[172:173]
	ds_read_b128 v[170:173], v98 offset:1104
	s_waitcnt lgkmcnt(1)
	v_mul_f64 v[176:177], v[166:167], v[182:183]
	v_fma_f64 v[4:5], v[158:159], v[92:93], -v[4:5]
	v_fmac_f64_e32 v[176:177], v[168:169], v[184:185]
	v_add_f64 v[2:3], v[2:3], v[4:5]
	v_mul_f64 v[4:5], v[164:165], v[190:191]
	v_add_f64 v[206:207], v[174:175], v[176:177]
	ds_read_b128 v[174:177], v98 offset:1120
	v_fma_f64 v[4:5], v[162:163], v[192:193], -v[4:5]
	v_add_f64 v[2:3], v[2:3], v[4:5]
	v_mul_f64 v[4:5], v[168:169], v[182:183]
	ds_read_b128 v[178:181], v98 offset:1136
	v_fma_f64 v[4:5], v[166:167], v[184:185], -v[4:5]
	v_add_f64 v[2:3], v[2:3], v[4:5]
	s_waitcnt vmcnt(6) lgkmcnt(2)
	v_mul_f64 v[4:5], v[172:173], v[198:199]
	v_mul_f64 v[208:209], v[170:171], v[198:199]
	s_waitcnt vmcnt(4)
	v_fma_f64 v[4:5], v[170:171], v[200:201], -v[4:5]
	v_fmac_f64_e32 v[208:209], v[172:173], v[200:201]
	v_add_f64 v[2:3], v[2:3], v[4:5]
	s_waitcnt lgkmcnt(1)
	v_mul_f64 v[4:5], v[176:177], v[194:195]
	v_add_f64 v[98:99], v[206:207], v[208:209]
	v_mul_f64 v[206:207], v[174:175], v[194:195]
	v_fma_f64 v[4:5], v[174:175], v[196:197], -v[4:5]
	v_fmac_f64_e32 v[206:207], v[176:177], v[196:197]
	v_add_f64 v[2:3], v[2:3], v[4:5]
	s_waitcnt vmcnt(2) lgkmcnt(0)
	v_mul_f64 v[4:5], v[180:181], v[202:203]
	v_add_f64 v[98:99], v[98:99], v[206:207]
	v_mul_f64 v[206:207], v[178:179], v[202:203]
	s_waitcnt vmcnt(0)
	v_fma_f64 v[4:5], v[178:179], v[204:205], -v[4:5]
	v_fmac_f64_e32 v[206:207], v[180:181], v[204:205]
	v_add_f64 v[2:3], v[2:3], v[4:5]
	v_add_f64 v[98:99], v[98:99], v[206:207]
	v_add_f64 v[2:3], v[20:21], -v[2:3]
	v_add_f64 v[4:5], v[18:19], -v[98:99]
	buffer_store_dword v3, off, s[0:3], 0 offset:196
	buffer_store_dword v2, off, s[0:3], 0 offset:192
	;; [unrolled: 1-line block ×4, first 2 shown]
	s_and_saveexec_b64 s[4:5], vcc
	s_cbranch_execz .LBB99_209
; %bb.208:
	v_accvgpr_read_b32 v5, a92
	buffer_load_dword v2, v5, s[0:3], 0 offen
	buffer_load_dword v3, v5, s[0:3], 0 offen offset:4
	buffer_load_dword v4, v5, s[0:3], 0 offen offset:8
	s_nop 0
	buffer_load_dword v5, v5, s[0:3], 0 offen offset:12
	v_mov_b32_e32 v6, 0
	buffer_store_dword v6, off, s[0:3], 0 offset:176
	buffer_store_dword v6, off, s[0:3], 0 offset:180
	;; [unrolled: 1-line block ×4, first 2 shown]
	s_waitcnt vmcnt(4)
	ds_write_b128 v1, v[2:5]
.LBB99_209:
	s_or_b64 exec, exec, s[4:5]
	s_waitcnt lgkmcnt(0)
	; wave barrier
	s_waitcnt lgkmcnt(0)
	buffer_load_dword v22, off, s[0:3], 0 offset:192
	buffer_load_dword v23, off, s[0:3], 0 offset:196
	;; [unrolled: 1-line block ×64, first 2 shown]
	v_mov_b32_e32 v114, 0
	ds_read_b128 v[18:21], v114 offset:752
	ds_read_b128 v[14:17], v114 offset:768
	;; [unrolled: 1-line block ×5, first 2 shown]
	v_cmp_lt_u32_e32 vcc, 9, v0
	s_waitcnt vmcnt(60) lgkmcnt(4)
	v_mul_f64 v[86:87], v[18:19], v[26:27]
	v_fmac_f64_e32 v[86:87], v[20:21], v[22:23]
	v_add_f64 v[86:87], v[86:87], 0
	v_mul_f64 v[20:21], v[20:21], v[26:27]
	s_waitcnt vmcnt(56) lgkmcnt(3)
	v_mul_f64 v[88:89], v[14:15], v[28:29]
	v_fmac_f64_e32 v[88:89], v[16:17], v[24:25]
	s_waitcnt vmcnt(54) lgkmcnt(2)
	v_mul_f64 v[90:91], v[10:11], v[30:31]
	v_add_f64 v[86:87], v[86:87], v[88:89]
	v_fma_f64 v[18:19], v[18:19], v[22:23], -v[20:21]
	v_mul_f64 v[16:17], v[16:17], v[28:29]
	s_waitcnt vmcnt(50) lgkmcnt(1)
	v_mul_f64 v[102:103], v[6:7], v[40:41]
	v_add_f64 v[18:19], v[18:19], 0
	s_waitcnt vmcnt(48)
	v_fmac_f64_e32 v[90:91], v[12:13], v[44:45]
	v_add_f64 v[104:105], v[86:87], v[90:91]
	buffer_load_dword v87, off, s[0:3], 0 offset:460
	buffer_load_dword v86, off, s[0:3], 0 offset:456
	;; [unrolled: 1-line block ×40, first 2 shown]
	s_waitcnt vmcnt(62)
	v_fmac_f64_e32 v[102:103], v[8:9], v[42:43]
	v_add_f64 v[106:107], v[104:105], v[102:103]
	ds_read_b128 v[102:105], v114 offset:832
	s_waitcnt lgkmcnt(1)
	v_mul_f64 v[108:109], v[2:3], v[36:37]
	v_fmac_f64_e32 v[108:109], v[4:5], v[38:39]
	v_add_f64 v[110:111], v[106:107], v[108:109]
	ds_read_b128 v[106:109], v114 offset:848
	s_waitcnt lgkmcnt(1)
	v_mul_f64 v[112:113], v[102:103], v[50:51]
	;; [unrolled: 5-line block ×5, first 2 shown]
	v_fmac_f64_e32 v[128:129], v[118:119], v[56:57]
	v_add_f64 v[130:131], v[126:127], v[128:129]
	ds_read_b128 v[126:129], v114 offset:912
	s_waitcnt vmcnt(58) lgkmcnt(1)
	v_mul_f64 v[132:133], v[122:123], v[66:67]
	s_waitcnt vmcnt(56)
	v_fmac_f64_e32 v[132:133], v[124:125], v[68:69]
	v_add_f64 v[134:135], v[130:131], v[132:133]
	ds_read_b128 v[130:133], v114 offset:928
	s_waitcnt lgkmcnt(1)
	v_mul_f64 v[136:137], v[126:127], v[62:63]
	v_fmac_f64_e32 v[136:137], v[128:129], v[64:65]
	v_add_f64 v[138:139], v[134:135], v[136:137]
	ds_read_b128 v[134:137], v114 offset:944
	s_waitcnt vmcnt(50) lgkmcnt(1)
	v_mul_f64 v[140:141], v[130:131], v[74:75]
	s_waitcnt vmcnt(48)
	v_fmac_f64_e32 v[140:141], v[132:133], v[76:77]
	v_add_f64 v[142:143], v[138:139], v[140:141]
	ds_read_b128 v[138:141], v114 offset:960
	v_fma_f64 v[14:15], v[14:15], v[24:25], -v[16:17]
	v_mul_f64 v[12:13], v[12:13], v[30:31]
	v_add_f64 v[14:15], v[18:19], v[14:15]
	v_fma_f64 v[10:11], v[10:11], v[44:45], -v[12:13]
	v_mul_f64 v[8:9], v[8:9], v[40:41]
	s_waitcnt lgkmcnt(1)
	v_mul_f64 v[144:145], v[134:135], v[70:71]
	v_add_f64 v[10:11], v[14:15], v[10:11]
	v_fma_f64 v[6:7], v[6:7], v[42:43], -v[8:9]
	v_mul_f64 v[4:5], v[4:5], v[36:37]
	v_fmac_f64_e32 v[144:145], v[136:137], v[72:73]
	v_add_f64 v[6:7], v[10:11], v[6:7]
	v_fma_f64 v[2:3], v[2:3], v[38:39], -v[4:5]
	v_mul_f64 v[4:5], v[104:105], v[50:51]
	v_add_f64 v[146:147], v[142:143], v[144:145]
	ds_read_b128 v[142:145], v114 offset:976
	s_waitcnt vmcnt(42) lgkmcnt(1)
	v_mul_f64 v[148:149], v[138:139], v[82:83]
	v_add_f64 v[2:3], v[6:7], v[2:3]
	v_fma_f64 v[4:5], v[102:103], v[52:53], -v[4:5]
	s_waitcnt vmcnt(40)
	v_fmac_f64_e32 v[148:149], v[140:141], v[84:85]
	v_add_f64 v[2:3], v[2:3], v[4:5]
	v_mul_f64 v[4:5], v[108:109], v[46:47]
	v_add_f64 v[150:151], v[146:147], v[148:149]
	ds_read_b128 v[146:149], v114 offset:992
	v_fma_f64 v[4:5], v[106:107], v[48:49], -v[4:5]
	v_add_f64 v[2:3], v[2:3], v[4:5]
	v_mul_f64 v[4:5], v[112:113], v[58:59]
	v_fma_f64 v[4:5], v[110:111], v[60:61], -v[4:5]
	s_waitcnt lgkmcnt(1)
	v_mul_f64 v[152:153], v[142:143], v[78:79]
	v_add_f64 v[2:3], v[2:3], v[4:5]
	v_mul_f64 v[4:5], v[118:119], v[54:55]
	v_fmac_f64_e32 v[152:153], v[144:145], v[80:81]
	v_fma_f64 v[4:5], v[116:117], v[56:57], -v[4:5]
	v_add_f64 v[154:155], v[150:151], v[152:153]
	ds_read_b128 v[150:153], v114 offset:1008
	s_waitcnt vmcnt(34) lgkmcnt(1)
	v_mul_f64 v[156:157], v[146:147], v[90:91]
	v_add_f64 v[2:3], v[2:3], v[4:5]
	v_mul_f64 v[4:5], v[124:125], v[66:67]
	s_waitcnt vmcnt(32)
	v_fmac_f64_e32 v[156:157], v[148:149], v[92:93]
	v_fma_f64 v[4:5], v[122:123], v[68:69], -v[4:5]
	v_add_f64 v[158:159], v[154:155], v[156:157]
	ds_read_b128 v[154:157], v114 offset:1024
	v_add_f64 v[2:3], v[2:3], v[4:5]
	v_mul_f64 v[4:5], v[128:129], v[62:63]
	v_fma_f64 v[4:5], v[126:127], v[64:65], -v[4:5]
	v_add_f64 v[2:3], v[2:3], v[4:5]
	v_mul_f64 v[4:5], v[132:133], v[74:75]
	s_waitcnt lgkmcnt(1)
	v_mul_f64 v[160:161], v[150:151], v[86:87]
	v_fma_f64 v[4:5], v[130:131], v[76:77], -v[4:5]
	v_fmac_f64_e32 v[160:161], v[152:153], v[88:89]
	v_add_f64 v[2:3], v[2:3], v[4:5]
	v_mul_f64 v[4:5], v[136:137], v[70:71]
	v_add_f64 v[162:163], v[158:159], v[160:161]
	ds_read_b128 v[158:161], v114 offset:1040
	s_waitcnt vmcnt(26) lgkmcnt(1)
	v_mul_f64 v[164:165], v[154:155], v[98:99]
	v_fma_f64 v[4:5], v[134:135], v[72:73], -v[4:5]
	s_waitcnt vmcnt(24)
	v_fmac_f64_e32 v[164:165], v[156:157], v[100:101]
	v_add_f64 v[2:3], v[2:3], v[4:5]
	v_mul_f64 v[4:5], v[140:141], v[82:83]
	v_add_f64 v[166:167], v[162:163], v[164:165]
	ds_read_b128 v[162:165], v114 offset:1056
	v_fma_f64 v[4:5], v[138:139], v[84:85], -v[4:5]
	v_add_f64 v[2:3], v[2:3], v[4:5]
	v_mul_f64 v[4:5], v[144:145], v[78:79]
	v_fma_f64 v[4:5], v[142:143], v[80:81], -v[4:5]
	s_waitcnt lgkmcnt(1)
	v_mul_f64 v[168:169], v[158:159], v[94:95]
	v_add_f64 v[2:3], v[2:3], v[4:5]
	v_mul_f64 v[4:5], v[148:149], v[90:91]
	v_fmac_f64_e32 v[168:169], v[160:161], v[96:97]
	v_fma_f64 v[4:5], v[146:147], v[92:93], -v[4:5]
	v_add_f64 v[170:171], v[166:167], v[168:169]
	ds_read_b128 v[166:169], v114 offset:1072
	s_waitcnt vmcnt(18) lgkmcnt(1)
	v_mul_f64 v[172:173], v[162:163], v[194:195]
	v_add_f64 v[2:3], v[2:3], v[4:5]
	v_mul_f64 v[4:5], v[152:153], v[86:87]
	s_waitcnt vmcnt(16)
	v_fmac_f64_e32 v[172:173], v[164:165], v[196:197]
	v_fma_f64 v[4:5], v[150:151], v[88:89], -v[4:5]
	v_add_f64 v[174:175], v[170:171], v[172:173]
	ds_read_b128 v[170:173], v114 offset:1088
	v_add_f64 v[2:3], v[2:3], v[4:5]
	v_mul_f64 v[4:5], v[156:157], v[98:99]
	v_fma_f64 v[4:5], v[154:155], v[100:101], -v[4:5]
	v_add_f64 v[2:3], v[2:3], v[4:5]
	v_mul_f64 v[4:5], v[160:161], v[94:95]
	s_waitcnt lgkmcnt(1)
	v_mul_f64 v[176:177], v[166:167], v[182:183]
	v_fma_f64 v[4:5], v[158:159], v[96:97], -v[4:5]
	v_fmac_f64_e32 v[176:177], v[168:169], v[184:185]
	v_add_f64 v[2:3], v[2:3], v[4:5]
	v_mul_f64 v[4:5], v[164:165], v[194:195]
	v_add_f64 v[178:179], v[174:175], v[176:177]
	ds_read_b128 v[174:177], v114 offset:1104
	s_waitcnt vmcnt(10) lgkmcnt(1)
	v_mul_f64 v[180:181], v[170:171], v[202:203]
	v_fma_f64 v[4:5], v[162:163], v[196:197], -v[4:5]
	s_waitcnt vmcnt(8)
	v_fmac_f64_e32 v[180:181], v[172:173], v[204:205]
	v_add_f64 v[2:3], v[2:3], v[4:5]
	v_mul_f64 v[4:5], v[168:169], v[182:183]
	v_add_f64 v[214:215], v[178:179], v[180:181]
	ds_read_b128 v[178:181], v114 offset:1120
	ds_read_b128 v[190:193], v114 offset:1136
	v_fma_f64 v[4:5], v[166:167], v[184:185], -v[4:5]
	v_add_f64 v[2:3], v[2:3], v[4:5]
	v_mul_f64 v[4:5], v[172:173], v[202:203]
	v_fma_f64 v[4:5], v[170:171], v[204:205], -v[4:5]
	v_add_f64 v[2:3], v[2:3], v[4:5]
	s_waitcnt lgkmcnt(2)
	v_mul_f64 v[4:5], v[176:177], v[198:199]
	v_mul_f64 v[216:217], v[174:175], v[198:199]
	v_fma_f64 v[4:5], v[174:175], v[200:201], -v[4:5]
	v_fmac_f64_e32 v[216:217], v[176:177], v[200:201]
	v_add_f64 v[2:3], v[2:3], v[4:5]
	s_waitcnt vmcnt(2) lgkmcnt(1)
	v_mul_f64 v[4:5], v[180:181], v[210:211]
	v_add_f64 v[214:215], v[214:215], v[216:217]
	v_mul_f64 v[216:217], v[178:179], v[210:211]
	s_waitcnt vmcnt(0)
	v_fma_f64 v[4:5], v[178:179], v[212:213], -v[4:5]
	v_fmac_f64_e32 v[216:217], v[180:181], v[212:213]
	v_add_f64 v[2:3], v[2:3], v[4:5]
	s_waitcnt lgkmcnt(0)
	v_mul_f64 v[4:5], v[192:193], v[206:207]
	v_add_f64 v[214:215], v[214:215], v[216:217]
	v_mul_f64 v[216:217], v[190:191], v[206:207]
	v_fma_f64 v[4:5], v[190:191], v[208:209], -v[4:5]
	v_fmac_f64_e32 v[216:217], v[192:193], v[208:209]
	v_add_f64 v[2:3], v[2:3], v[4:5]
	v_add_f64 v[214:215], v[214:215], v[216:217]
	v_add_f64 v[2:3], v[34:35], -v[2:3]
	v_add_f64 v[4:5], v[32:33], -v[214:215]
	buffer_store_dword v3, off, s[0:3], 0 offset:180
	buffer_store_dword v2, off, s[0:3], 0 offset:176
	;; [unrolled: 1-line block ×4, first 2 shown]
	s_and_saveexec_b64 s[4:5], vcc
	s_cbranch_execz .LBB99_211
; %bb.210:
	v_accvgpr_read_b32 v5, a93
	buffer_load_dword v2, v5, s[0:3], 0 offen
	buffer_load_dword v3, v5, s[0:3], 0 offen offset:4
	buffer_load_dword v4, v5, s[0:3], 0 offen offset:8
	s_nop 0
	buffer_load_dword v5, v5, s[0:3], 0 offen offset:12
	s_nop 0
	buffer_store_dword v114, off, s[0:3], 0 offset:160
	buffer_store_dword v114, off, s[0:3], 0 offset:164
	;; [unrolled: 1-line block ×4, first 2 shown]
	s_waitcnt vmcnt(4)
	ds_write_b128 v1, v[2:5]
.LBB99_211:
	s_or_b64 exec, exec, s[4:5]
	s_waitcnt lgkmcnt(0)
	; wave barrier
	s_waitcnt lgkmcnt(0)
	buffer_load_dword v26, off, s[0:3], 0 offset:176
	buffer_load_dword v27, off, s[0:3], 0 offset:180
	;; [unrolled: 1-line block ×24, first 2 shown]
	ds_read_b128 v[22:25], v114 offset:736
	ds_read_b128 v[18:21], v114 offset:752
	;; [unrolled: 1-line block ×6, first 2 shown]
	buffer_load_dword v51, off, s[0:3], 0 offset:284
	buffer_load_dword v50, off, s[0:3], 0 offset:280
	;; [unrolled: 1-line block ×40, first 2 shown]
	v_cmp_lt_u32_e32 vcc, 8, v0
	s_waitcnt vmcnt(34) lgkmcnt(0)
	v_mul_f64 v[124:125], v[14:15], v[54:55]
	s_waitcnt vmcnt(32)
	v_fmac_f64_e32 v[124:125], v[16:17], v[56:57]
	v_mul_f64 v[90:91], v[22:23], v[28:29]
	v_fmac_f64_e32 v[90:91], v[24:25], v[26:27]
	v_mul_f64 v[92:93], v[18:19], v[30:31]
	v_add_f64 v[90:91], v[90:91], 0
	v_mul_f64 v[94:95], v[10:11], v[32:33]
	v_mul_f64 v[24:25], v[24:25], v[28:29]
	;; [unrolled: 1-line block ×3, first 2 shown]
	v_fma_f64 v[22:23], v[22:23], v[26:27], -v[24:25]
	v_add_f64 v[22:23], v[22:23], 0
	v_mul_f64 v[96:97], v[6:7], v[42:43]
	v_fmac_f64_e32 v[92:93], v[20:21], v[48:49]
	v_add_f64 v[90:91], v[90:91], v[92:93]
	v_fmac_f64_e32 v[94:95], v[12:13], v[46:47]
	v_add_f64 v[90:91], v[90:91], v[94:95]
	;; [unrolled: 2-line block ×3, first 2 shown]
	buffer_load_dword v91, off, s[0:3], 0 offset:444
	buffer_load_dword v90, off, s[0:3], 0 offset:440
	;; [unrolled: 1-line block ×40, first 2 shown]
	v_fmac_f64_e32 v[116:117], v[4:5], v[40:41]
	v_add_f64 v[122:123], v[118:119], v[116:117]
	ds_read_b128 v[116:119], v114 offset:832
	buffer_load_dword v219, off, s[0:3], 0 offset:588
	buffer_load_dword v218, off, s[0:3], 0 offset:584
	;; [unrolled: 1-line block ×4, first 2 shown]
	v_add_f64 v[126:127], v[122:123], v[124:125]
	ds_read_b128 v[122:125], v114 offset:848
	v_mul_f64 v[20:21], v[20:21], v[30:31]
	s_waitcnt lgkmcnt(1)
	v_mul_f64 v[128:129], v[116:117], v[50:51]
	v_fmac_f64_e32 v[128:129], v[118:119], v[52:53]
	v_add_f64 v[130:131], v[126:127], v[128:129]
	ds_read_b128 v[126:129], v114 offset:864
	s_waitcnt vmcnt(62) lgkmcnt(1)
	v_mul_f64 v[132:133], v[122:123], v[62:63]
	v_fmac_f64_e32 v[132:133], v[124:125], v[64:65]
	v_add_f64 v[134:135], v[130:131], v[132:133]
	ds_read_b128 v[130:133], v114 offset:880
	s_waitcnt lgkmcnt(1)
	v_mul_f64 v[136:137], v[126:127], v[58:59]
	v_fmac_f64_e32 v[136:137], v[128:129], v[60:61]
	v_add_f64 v[138:139], v[134:135], v[136:137]
	ds_read_b128 v[134:137], v114 offset:896
	s_waitcnt lgkmcnt(1)
	v_mul_f64 v[140:141], v[130:131], v[70:71]
	s_waitcnt vmcnt(60)
	v_fmac_f64_e32 v[140:141], v[132:133], v[72:73]
	v_add_f64 v[142:143], v[138:139], v[140:141]
	ds_read_b128 v[138:141], v114 offset:912
	s_waitcnt lgkmcnt(1)
	v_mul_f64 v[144:145], v[134:135], v[66:67]
	v_fmac_f64_e32 v[144:145], v[136:137], v[68:69]
	v_add_f64 v[146:147], v[142:143], v[144:145]
	ds_read_b128 v[142:145], v114 offset:928
	s_waitcnt vmcnt(54) lgkmcnt(1)
	v_mul_f64 v[148:149], v[138:139], v[78:79]
	s_waitcnt vmcnt(52)
	v_fmac_f64_e32 v[148:149], v[140:141], v[80:81]
	v_add_f64 v[150:151], v[146:147], v[148:149]
	ds_read_b128 v[146:149], v114 offset:944
	s_waitcnt lgkmcnt(1)
	v_mul_f64 v[152:153], v[142:143], v[74:75]
	v_fmac_f64_e32 v[152:153], v[144:145], v[76:77]
	v_fma_f64 v[18:19], v[18:19], v[48:49], -v[20:21]
	v_mul_f64 v[12:13], v[12:13], v[32:33]
	v_add_f64 v[154:155], v[150:151], v[152:153]
	ds_read_b128 v[150:153], v114 offset:960
	v_add_f64 v[18:19], v[22:23], v[18:19]
	v_fma_f64 v[10:11], v[10:11], v[46:47], -v[12:13]
	v_mul_f64 v[8:9], v[8:9], v[42:43]
	v_add_f64 v[10:11], v[18:19], v[10:11]
	v_fma_f64 v[6:7], v[6:7], v[44:45], -v[8:9]
	v_mul_f64 v[4:5], v[4:5], v[38:39]
	;; [unrolled: 3-line block ×3, first 2 shown]
	s_waitcnt vmcnt(46) lgkmcnt(1)
	v_mul_f64 v[156:157], v[146:147], v[86:87]
	v_add_f64 v[2:3], v[6:7], v[2:3]
	v_fma_f64 v[4:5], v[14:15], v[56:57], -v[4:5]
	s_waitcnt vmcnt(44)
	v_fmac_f64_e32 v[156:157], v[148:149], v[88:89]
	v_add_f64 v[2:3], v[2:3], v[4:5]
	v_mul_f64 v[4:5], v[118:119], v[50:51]
	v_add_f64 v[158:159], v[154:155], v[156:157]
	ds_read_b128 v[154:157], v114 offset:976
	s_waitcnt lgkmcnt(1)
	v_mul_f64 v[160:161], v[150:151], v[82:83]
	v_fma_f64 v[4:5], v[116:117], v[52:53], -v[4:5]
	v_fmac_f64_e32 v[160:161], v[152:153], v[84:85]
	v_add_f64 v[2:3], v[2:3], v[4:5]
	v_mul_f64 v[4:5], v[124:125], v[62:63]
	v_add_f64 v[162:163], v[158:159], v[160:161]
	ds_read_b128 v[158:161], v114 offset:992
	v_fma_f64 v[4:5], v[122:123], v[64:65], -v[4:5]
	v_add_f64 v[2:3], v[2:3], v[4:5]
	v_mul_f64 v[4:5], v[128:129], v[58:59]
	v_fma_f64 v[4:5], v[126:127], v[60:61], -v[4:5]
	s_waitcnt vmcnt(38) lgkmcnt(1)
	v_mul_f64 v[164:165], v[154:155], v[94:95]
	v_add_f64 v[2:3], v[2:3], v[4:5]
	v_mul_f64 v[4:5], v[132:133], v[70:71]
	s_waitcnt vmcnt(36)
	v_fmac_f64_e32 v[164:165], v[156:157], v[96:97]
	v_fma_f64 v[4:5], v[130:131], v[72:73], -v[4:5]
	v_add_f64 v[166:167], v[162:163], v[164:165]
	ds_read_b128 v[162:165], v114 offset:1008
	s_waitcnt lgkmcnt(1)
	v_mul_f64 v[168:169], v[158:159], v[90:91]
	v_add_f64 v[2:3], v[2:3], v[4:5]
	v_mul_f64 v[4:5], v[136:137], v[66:67]
	v_fmac_f64_e32 v[168:169], v[160:161], v[92:93]
	v_fma_f64 v[4:5], v[134:135], v[68:69], -v[4:5]
	v_add_f64 v[170:171], v[166:167], v[168:169]
	ds_read_b128 v[166:169], v114 offset:1024
	v_add_f64 v[2:3], v[2:3], v[4:5]
	v_mul_f64 v[4:5], v[140:141], v[78:79]
	v_fma_f64 v[4:5], v[138:139], v[80:81], -v[4:5]
	v_add_f64 v[2:3], v[2:3], v[4:5]
	v_mul_f64 v[4:5], v[144:145], v[74:75]
	s_waitcnt vmcnt(30) lgkmcnt(1)
	v_mul_f64 v[172:173], v[162:163], v[102:103]
	v_fma_f64 v[4:5], v[142:143], v[76:77], -v[4:5]
	s_waitcnt vmcnt(28)
	v_fmac_f64_e32 v[172:173], v[164:165], v[104:105]
	v_add_f64 v[2:3], v[2:3], v[4:5]
	v_mul_f64 v[4:5], v[148:149], v[86:87]
	v_add_f64 v[174:175], v[170:171], v[172:173]
	ds_read_b128 v[170:173], v114 offset:1040
	s_waitcnt lgkmcnt(1)
	v_mul_f64 v[176:177], v[166:167], v[98:99]
	v_fma_f64 v[4:5], v[146:147], v[88:89], -v[4:5]
	v_fmac_f64_e32 v[176:177], v[168:169], v[100:101]
	v_add_f64 v[2:3], v[2:3], v[4:5]
	v_mul_f64 v[4:5], v[152:153], v[82:83]
	v_add_f64 v[178:179], v[174:175], v[176:177]
	ds_read_b128 v[174:177], v114 offset:1056
	v_fma_f64 v[4:5], v[150:151], v[84:85], -v[4:5]
	v_add_f64 v[2:3], v[2:3], v[4:5]
	v_mul_f64 v[4:5], v[156:157], v[94:95]
	v_fma_f64 v[4:5], v[154:155], v[96:97], -v[4:5]
	s_waitcnt vmcnt(22) lgkmcnt(1)
	v_mul_f64 v[180:181], v[170:171], v[110:111]
	v_add_f64 v[2:3], v[2:3], v[4:5]
	v_mul_f64 v[4:5], v[160:161], v[90:91]
	s_waitcnt vmcnt(20)
	v_fmac_f64_e32 v[180:181], v[172:173], v[112:113]
	v_fma_f64 v[4:5], v[158:159], v[92:93], -v[4:5]
	v_add_f64 v[190:191], v[178:179], v[180:181]
	ds_read_b128 v[178:181], v114 offset:1072
	s_waitcnt lgkmcnt(1)
	v_mul_f64 v[192:193], v[174:175], v[106:107]
	v_add_f64 v[2:3], v[2:3], v[4:5]
	v_mul_f64 v[4:5], v[164:165], v[102:103]
	v_fmac_f64_e32 v[192:193], v[176:177], v[108:109]
	v_fma_f64 v[4:5], v[162:163], v[104:105], -v[4:5]
	v_add_f64 v[194:195], v[190:191], v[192:193]
	ds_read_b128 v[190:193], v114 offset:1088
	v_add_f64 v[2:3], v[2:3], v[4:5]
	v_mul_f64 v[4:5], v[168:169], v[98:99]
	v_fma_f64 v[4:5], v[166:167], v[100:101], -v[4:5]
	v_add_f64 v[2:3], v[2:3], v[4:5]
	v_mul_f64 v[4:5], v[172:173], v[110:111]
	s_waitcnt vmcnt(14) lgkmcnt(1)
	v_mul_f64 v[196:197], v[178:179], v[206:207]
	v_fma_f64 v[4:5], v[170:171], v[112:113], -v[4:5]
	s_waitcnt vmcnt(12)
	v_fmac_f64_e32 v[196:197], v[180:181], v[208:209]
	v_add_f64 v[2:3], v[2:3], v[4:5]
	v_mul_f64 v[4:5], v[176:177], v[106:107]
	v_add_f64 v[198:199], v[194:195], v[196:197]
	ds_read_b128 v[194:197], v114 offset:1104
	s_waitcnt lgkmcnt(1)
	v_mul_f64 v[200:201], v[190:191], v[182:183]
	v_fma_f64 v[4:5], v[174:175], v[108:109], -v[4:5]
	v_fmac_f64_e32 v[200:201], v[192:193], v[184:185]
	v_add_f64 v[2:3], v[2:3], v[4:5]
	v_mul_f64 v[4:5], v[180:181], v[206:207]
	v_add_f64 v[222:223], v[198:199], v[200:201]
	ds_read_b128 v[198:201], v114 offset:1120
	v_fma_f64 v[4:5], v[178:179], v[208:209], -v[4:5]
	v_add_f64 v[2:3], v[2:3], v[4:5]
	v_mul_f64 v[4:5], v[192:193], v[182:183]
	ds_read_b128 v[202:205], v114 offset:1136
	v_fma_f64 v[4:5], v[190:191], v[184:185], -v[4:5]
	v_add_f64 v[2:3], v[2:3], v[4:5]
	s_waitcnt vmcnt(6) lgkmcnt(2)
	v_mul_f64 v[4:5], v[196:197], v[214:215]
	v_mul_f64 v[224:225], v[194:195], v[214:215]
	s_waitcnt vmcnt(4)
	v_fma_f64 v[4:5], v[194:195], v[216:217], -v[4:5]
	v_fmac_f64_e32 v[224:225], v[196:197], v[216:217]
	v_add_f64 v[2:3], v[2:3], v[4:5]
	s_waitcnt lgkmcnt(1)
	v_mul_f64 v[4:5], v[200:201], v[210:211]
	v_add_f64 v[114:115], v[222:223], v[224:225]
	v_mul_f64 v[222:223], v[198:199], v[210:211]
	v_fma_f64 v[4:5], v[198:199], v[212:213], -v[4:5]
	v_fmac_f64_e32 v[222:223], v[200:201], v[212:213]
	v_add_f64 v[2:3], v[2:3], v[4:5]
	s_waitcnt vmcnt(2) lgkmcnt(0)
	v_mul_f64 v[4:5], v[204:205], v[218:219]
	v_add_f64 v[114:115], v[114:115], v[222:223]
	v_mul_f64 v[222:223], v[202:203], v[218:219]
	s_waitcnt vmcnt(0)
	v_fma_f64 v[4:5], v[202:203], v[220:221], -v[4:5]
	v_fmac_f64_e32 v[222:223], v[204:205], v[220:221]
	v_add_f64 v[2:3], v[2:3], v[4:5]
	v_add_f64 v[114:115], v[114:115], v[222:223]
	v_add_f64 v[2:3], v[36:37], -v[2:3]
	v_add_f64 v[4:5], v[34:35], -v[114:115]
	buffer_store_dword v3, off, s[0:3], 0 offset:164
	buffer_store_dword v2, off, s[0:3], 0 offset:160
	;; [unrolled: 1-line block ×4, first 2 shown]
	s_and_saveexec_b64 s[4:5], vcc
	s_cbranch_execz .LBB99_213
; %bb.212:
	v_accvgpr_read_b32 v5, a94
	buffer_load_dword v2, v5, s[0:3], 0 offen
	buffer_load_dword v3, v5, s[0:3], 0 offen offset:4
	buffer_load_dword v4, v5, s[0:3], 0 offen offset:8
	s_nop 0
	buffer_load_dword v5, v5, s[0:3], 0 offen offset:12
	v_mov_b32_e32 v6, 0
	buffer_store_dword v6, off, s[0:3], 0 offset:144
	buffer_store_dword v6, off, s[0:3], 0 offset:148
	;; [unrolled: 1-line block ×4, first 2 shown]
	s_waitcnt vmcnt(4)
	ds_write_b128 v1, v[2:5]
.LBB99_213:
	s_or_b64 exec, exec, s[4:5]
	s_waitcnt lgkmcnt(0)
	; wave barrier
	s_waitcnt lgkmcnt(0)
	buffer_load_dword v30, off, s[0:3], 0 offset:160
	buffer_load_dword v31, off, s[0:3], 0 offset:164
	;; [unrolled: 1-line block ×56, first 2 shown]
	v_mov_b32_e32 v136, 0
	ds_read_b128 v[26:29], v136 offset:720
	ds_read_b128 v[22:25], v136 offset:736
	;; [unrolled: 1-line block ×7, first 2 shown]
	v_cmp_lt_u32_e32 vcc, 7, v0
	s_waitcnt vmcnt(52) lgkmcnt(6)
	v_mul_f64 v[86:87], v[26:27], v[34:35]
	v_fmac_f64_e32 v[86:87], v[28:29], v[30:31]
	v_add_f64 v[86:87], v[86:87], 0
	v_mul_f64 v[28:29], v[28:29], v[34:35]
	s_waitcnt vmcnt(48) lgkmcnt(5)
	v_mul_f64 v[88:89], v[22:23], v[36:37]
	v_fmac_f64_e32 v[88:89], v[24:25], v[32:33]
	s_waitcnt vmcnt(46) lgkmcnt(4)
	v_mul_f64 v[90:91], v[18:19], v[38:39]
	v_add_f64 v[86:87], v[86:87], v[88:89]
	s_waitcnt vmcnt(44) lgkmcnt(2)
	v_mul_f64 v[94:95], v[10:11], v[40:41]
	v_fma_f64 v[26:27], v[26:27], v[30:31], -v[28:29]
	s_waitcnt vmcnt(42)
	v_fmac_f64_e32 v[94:95], v[12:13], v[42:43]
	v_mul_f64 v[24:25], v[24:25], v[36:37]
	s_waitcnt vmcnt(40)
	v_mul_f64 v[92:93], v[14:15], v[48:49]
	v_add_f64 v[26:27], v[26:27], 0
	v_fma_f64 v[22:23], v[22:23], v[32:33], -v[24:25]
	v_add_f64 v[22:23], v[26:27], v[22:23]
	s_waitcnt vmcnt(36) lgkmcnt(1)
	v_mul_f64 v[110:111], v[6:7], v[54:55]
	v_mul_f64 v[12:13], v[12:13], v[40:41]
	s_waitcnt vmcnt(34)
	v_fmac_f64_e32 v[90:91], v[20:21], v[60:61]
	v_add_f64 v[86:87], v[86:87], v[90:91]
	s_waitcnt vmcnt(32)
	v_fmac_f64_e32 v[92:93], v[16:17], v[58:59]
	v_add_f64 v[86:87], v[86:87], v[92:93]
	v_add_f64 v[116:117], v[86:87], v[94:95]
	buffer_load_dword v87, off, s[0:3], 0 offset:396
	buffer_load_dword v86, off, s[0:3], 0 offset:392
	;; [unrolled: 1-line block ×56, first 2 shown]
	ds_read_b128 v[126:129], v136 offset:832
	ds_read_b128 v[130:133], v136 offset:848
	v_mul_f64 v[20:21], v[20:21], v[38:39]
	v_fma_f64 v[18:19], v[18:19], v[60:61], -v[20:21]
	v_mul_f64 v[16:17], v[16:17], v[48:49]
	s_waitcnt vmcnt(62)
	v_fmac_f64_e32 v[110:111], v[8:9], v[56:57]
	v_add_f64 v[18:19], v[22:23], v[18:19]
	v_fma_f64 v[14:15], v[14:15], v[58:59], -v[16:17]
	v_add_f64 v[110:111], v[116:117], v[110:111]
	s_waitcnt lgkmcnt(2)
	v_mul_f64 v[116:117], v[2:3], v[50:51]
	v_add_f64 v[14:15], v[18:19], v[14:15]
	v_fma_f64 v[10:11], v[10:11], v[42:43], -v[12:13]
	v_mul_f64 v[8:9], v[8:9], v[54:55]
	v_fmac_f64_e32 v[116:117], v[4:5], v[52:53]
	ds_read_b128 v[138:141], v136 offset:864
	ds_read_b128 v[142:145], v136 offset:880
	v_add_f64 v[10:11], v[14:15], v[10:11]
	v_fma_f64 v[6:7], v[6:7], v[56:57], -v[8:9]
	v_mul_f64 v[4:5], v[4:5], v[50:51]
	v_add_f64 v[6:7], v[10:11], v[6:7]
	v_fma_f64 v[2:3], v[2:3], v[52:53], -v[4:5]
	s_waitcnt lgkmcnt(3)
	v_mul_f64 v[4:5], v[128:129], v[66:67]
	v_add_f64 v[110:111], v[110:111], v[116:117]
	v_mul_f64 v[116:117], v[126:127], v[66:67]
	v_add_f64 v[2:3], v[6:7], v[2:3]
	v_fma_f64 v[4:5], v[126:127], v[68:69], -v[4:5]
	v_fmac_f64_e32 v[116:117], v[128:129], v[68:69]
	v_add_f64 v[2:3], v[2:3], v[4:5]
	s_waitcnt lgkmcnt(2)
	v_mul_f64 v[4:5], v[132:133], v[62:63]
	v_add_f64 v[110:111], v[110:111], v[116:117]
	v_mul_f64 v[116:117], v[130:131], v[62:63]
	ds_read_b128 v[146:149], v136 offset:896
	ds_read_b128 v[150:153], v136 offset:912
	v_fma_f64 v[4:5], v[130:131], v[64:65], -v[4:5]
	v_fmac_f64_e32 v[116:117], v[132:133], v[64:65]
	v_add_f64 v[2:3], v[2:3], v[4:5]
	s_waitcnt lgkmcnt(3)
	v_mul_f64 v[4:5], v[140:141], v[74:75]
	v_add_f64 v[110:111], v[110:111], v[116:117]
	v_mul_f64 v[116:117], v[138:139], v[74:75]
	v_fma_f64 v[4:5], v[138:139], v[76:77], -v[4:5]
	v_fmac_f64_e32 v[116:117], v[140:141], v[76:77]
	v_add_f64 v[2:3], v[2:3], v[4:5]
	s_waitcnt lgkmcnt(2)
	v_mul_f64 v[4:5], v[144:145], v[70:71]
	v_add_f64 v[110:111], v[110:111], v[116:117]
	v_mul_f64 v[116:117], v[142:143], v[70:71]
	ds_read_b128 v[154:157], v136 offset:928
	ds_read_b128 v[158:161], v136 offset:944
	v_fma_f64 v[4:5], v[142:143], v[72:73], -v[4:5]
	v_fmac_f64_e32 v[116:117], v[144:145], v[72:73]
	v_add_f64 v[2:3], v[2:3], v[4:5]
	s_waitcnt vmcnt(58) lgkmcnt(3)
	v_mul_f64 v[4:5], v[148:149], v[82:83]
	v_add_f64 v[110:111], v[110:111], v[116:117]
	v_mul_f64 v[116:117], v[146:147], v[82:83]
	s_waitcnt vmcnt(56)
	v_fma_f64 v[4:5], v[146:147], v[84:85], -v[4:5]
	v_fmac_f64_e32 v[116:117], v[148:149], v[84:85]
	v_add_f64 v[2:3], v[2:3], v[4:5]
	s_waitcnt lgkmcnt(2)
	v_mul_f64 v[4:5], v[152:153], v[78:79]
	v_add_f64 v[110:111], v[110:111], v[116:117]
	v_mul_f64 v[116:117], v[150:151], v[78:79]
	ds_read_b128 v[162:165], v136 offset:960
	ds_read_b128 v[166:169], v136 offset:976
	v_fma_f64 v[4:5], v[150:151], v[80:81], -v[4:5]
	v_fmac_f64_e32 v[116:117], v[152:153], v[80:81]
	v_add_f64 v[2:3], v[2:3], v[4:5]
	s_waitcnt vmcnt(50) lgkmcnt(3)
	v_mul_f64 v[4:5], v[156:157], v[90:91]
	v_add_f64 v[110:111], v[110:111], v[116:117]
	v_mul_f64 v[116:117], v[154:155], v[90:91]
	s_waitcnt vmcnt(48)
	;; [unrolled: 17-line block ×7, first 2 shown]
	v_fma_f64 v[4:5], v[202:203], v[224:225], -v[4:5]
	v_fmac_f64_e32 v[116:117], v[204:205], v[224:225]
	v_add_f64 v[2:3], v[2:3], v[4:5]
	s_waitcnt lgkmcnt(2)
	v_mul_f64 v[4:5], v[208:209], v[218:219]
	v_add_f64 v[110:111], v[110:111], v[116:117]
	v_mul_f64 v[116:117], v[206:207], v[218:219]
	v_fma_f64 v[4:5], v[206:207], v[220:221], -v[4:5]
	v_fmac_f64_e32 v[116:117], v[208:209], v[220:221]
	v_add_f64 v[2:3], v[2:3], v[4:5]
	s_waitcnt vmcnt(2) lgkmcnt(1)
	v_mul_f64 v[4:5], v[212:213], v[230:231]
	v_add_f64 v[110:111], v[110:111], v[116:117]
	v_mul_f64 v[116:117], v[210:211], v[230:231]
	s_waitcnt vmcnt(0)
	v_fma_f64 v[4:5], v[210:211], v[232:233], -v[4:5]
	v_fmac_f64_e32 v[116:117], v[212:213], v[232:233]
	v_add_f64 v[2:3], v[2:3], v[4:5]
	s_waitcnt lgkmcnt(0)
	v_mul_f64 v[4:5], v[216:217], v[226:227]
	v_add_f64 v[110:111], v[110:111], v[116:117]
	v_mul_f64 v[116:117], v[214:215], v[226:227]
	v_fma_f64 v[4:5], v[214:215], v[228:229], -v[4:5]
	v_fmac_f64_e32 v[116:117], v[216:217], v[228:229]
	v_add_f64 v[2:3], v[2:3], v[4:5]
	v_add_f64 v[110:111], v[110:111], v[116:117]
	v_add_f64 v[2:3], v[46:47], -v[2:3]
	v_add_f64 v[4:5], v[44:45], -v[110:111]
	buffer_store_dword v3, off, s[0:3], 0 offset:148
	buffer_store_dword v2, off, s[0:3], 0 offset:144
	buffer_store_dword v5, off, s[0:3], 0 offset:156
	buffer_store_dword v4, off, s[0:3], 0 offset:152
	s_and_saveexec_b64 s[4:5], vcc
	s_cbranch_execz .LBB99_215
; %bb.214:
	v_accvgpr_read_b32 v5, a95
	buffer_load_dword v2, v5, s[0:3], 0 offen
	buffer_load_dword v3, v5, s[0:3], 0 offen offset:4
	buffer_load_dword v4, v5, s[0:3], 0 offen offset:8
	s_nop 0
	buffer_load_dword v5, v5, s[0:3], 0 offen offset:12
	s_nop 0
	buffer_store_dword v136, off, s[0:3], 0 offset:128
	buffer_store_dword v136, off, s[0:3], 0 offset:132
	;; [unrolled: 1-line block ×4, first 2 shown]
	s_waitcnt vmcnt(4)
	ds_write_b128 v1, v[2:5]
.LBB99_215:
	s_or_b64 exec, exec, s[4:5]
	s_waitcnt lgkmcnt(0)
	; wave barrier
	s_waitcnt lgkmcnt(0)
	buffer_load_dword v34, off, s[0:3], 0 offset:144
	buffer_load_dword v35, off, s[0:3], 0 offset:148
	;; [unrolled: 1-line block ×32, first 2 shown]
	ds_read_b128 v[30:33], v136 offset:704
	ds_read_b128 v[26:29], v136 offset:720
	;; [unrolled: 1-line block ×8, first 2 shown]
	buffer_load_dword v67, off, s[0:3], 0 offset:284
	buffer_load_dword v66, off, s[0:3], 0 offset:280
	;; [unrolled: 1-line block ×24, first 2 shown]
	v_cmp_lt_u32_e32 vcc, 6, v0
	s_waitcnt vmcnt(52) lgkmcnt(7)
	v_mul_f64 v[90:91], v[30:31], v[38:39]
	v_fmac_f64_e32 v[90:91], v[32:33], v[34:35]
	v_add_f64 v[90:91], v[90:91], 0
	v_mul_f64 v[32:33], v[32:33], v[38:39]
	s_waitcnt vmcnt(48) lgkmcnt(6)
	v_mul_f64 v[92:93], v[26:27], v[40:41]
	v_fmac_f64_e32 v[92:93], v[28:29], v[36:37]
	s_waitcnt vmcnt(46) lgkmcnt(5)
	v_mul_f64 v[94:95], v[22:23], v[42:43]
	v_add_f64 v[90:91], v[90:91], v[92:93]
	s_waitcnt vmcnt(44) lgkmcnt(4)
	v_mul_f64 v[96:97], v[18:19], v[48:49]
	v_fma_f64 v[30:31], v[30:31], v[34:35], -v[32:33]
	s_waitcnt vmcnt(42) lgkmcnt(1)
	v_mul_f64 v[124:125], v[2:3], v[50:51]
	v_mul_f64 v[28:29], v[28:29], v[40:41]
	s_waitcnt vmcnt(18) lgkmcnt(0)
	v_mul_f64 v[140:141], v[14:15], v[70:71]
	v_mul_f64 v[100:101], v[6:7], v[54:55]
	s_waitcnt vmcnt(16)
	v_fmac_f64_e32 v[140:141], v[16:17], v[72:73]
	v_mul_f64 v[98:99], v[10:11], v[56:57]
	v_add_f64 v[30:31], v[30:31], 0
	v_fmac_f64_e32 v[98:99], v[12:13], v[58:59]
	v_fma_f64 v[26:27], v[26:27], v[36:37], -v[28:29]
	v_fmac_f64_e32 v[94:95], v[24:25], v[64:65]
	v_add_f64 v[90:91], v[90:91], v[94:95]
	v_fmac_f64_e32 v[96:97], v[20:21], v[62:63]
	v_add_f64 v[90:91], v[90:91], v[96:97]
	;; [unrolled: 2-line block ×3, first 2 shown]
	v_add_f64 v[126:127], v[90:91], v[100:101]
	buffer_load_dword v91, off, s[0:3], 0 offset:380
	buffer_load_dword v90, off, s[0:3], 0 offset:376
	;; [unrolled: 1-line block ×56, first 2 shown]
	v_fmac_f64_e32 v[124:125], v[4:5], v[52:53]
	v_add_f64 v[138:139], v[126:127], v[124:125]
	ds_read_b128 v[124:127], v136 offset:832
	buffer_load_dword v235, off, s[0:3], 0 offset:588
	buffer_load_dword v234, off, s[0:3], 0 offset:584
	buffer_load_dword v237, off, s[0:3], 0 offset:580
	buffer_load_dword v236, off, s[0:3], 0 offset:576
	v_add_f64 v[142:143], v[138:139], v[140:141]
	ds_read_b128 v[138:141], v136 offset:848
	v_mul_f64 v[24:25], v[24:25], v[42:43]
	s_waitcnt lgkmcnt(1)
	v_mul_f64 v[144:145], v[124:125], v[66:67]
	v_fmac_f64_e32 v[144:145], v[126:127], v[68:69]
	v_add_f64 v[146:147], v[142:143], v[144:145]
	ds_read_b128 v[142:145], v136 offset:864
	s_waitcnt vmcnt(62) lgkmcnt(1)
	v_mul_f64 v[148:149], v[138:139], v[78:79]
	v_fmac_f64_e32 v[148:149], v[140:141], v[80:81]
	v_add_f64 v[150:151], v[146:147], v[148:149]
	ds_read_b128 v[146:149], v136 offset:880
	s_waitcnt lgkmcnt(1)
	v_mul_f64 v[152:153], v[142:143], v[74:75]
	v_fmac_f64_e32 v[152:153], v[144:145], v[76:77]
	v_add_f64 v[154:155], v[150:151], v[152:153]
	ds_read_b128 v[150:153], v136 offset:896
	s_waitcnt lgkmcnt(1)
	v_mul_f64 v[156:157], v[146:147], v[86:87]
	s_waitcnt vmcnt(60)
	v_fmac_f64_e32 v[156:157], v[148:149], v[88:89]
	v_add_f64 v[158:159], v[154:155], v[156:157]
	ds_read_b128 v[154:157], v136 offset:912
	s_waitcnt lgkmcnt(1)
	v_mul_f64 v[160:161], v[150:151], v[82:83]
	v_fmac_f64_e32 v[160:161], v[152:153], v[84:85]
	v_add_f64 v[162:163], v[158:159], v[160:161]
	ds_read_b128 v[158:161], v136 offset:928
	v_add_f64 v[26:27], v[30:31], v[26:27]
	v_fma_f64 v[22:23], v[22:23], v[64:65], -v[24:25]
	s_waitcnt vmcnt(54) lgkmcnt(1)
	v_mul_f64 v[164:165], v[154:155], v[94:95]
	v_mul_f64 v[20:21], v[20:21], v[48:49]
	s_waitcnt vmcnt(52)
	v_fmac_f64_e32 v[164:165], v[156:157], v[96:97]
	v_add_f64 v[166:167], v[162:163], v[164:165]
	ds_read_b128 v[162:165], v136 offset:944
	s_waitcnt lgkmcnt(1)
	v_mul_f64 v[168:169], v[158:159], v[90:91]
	v_fmac_f64_e32 v[168:169], v[160:161], v[92:93]
	v_add_f64 v[22:23], v[26:27], v[22:23]
	v_fma_f64 v[18:19], v[18:19], v[62:63], -v[20:21]
	v_mul_f64 v[12:13], v[12:13], v[56:57]
	v_add_f64 v[170:171], v[166:167], v[168:169]
	ds_read_b128 v[166:169], v136 offset:960
	v_add_f64 v[18:19], v[22:23], v[18:19]
	v_fma_f64 v[10:11], v[10:11], v[58:59], -v[12:13]
	v_mul_f64 v[8:9], v[8:9], v[54:55]
	v_add_f64 v[10:11], v[18:19], v[10:11]
	v_fma_f64 v[6:7], v[6:7], v[60:61], -v[8:9]
	v_mul_f64 v[4:5], v[4:5], v[50:51]
	;; [unrolled: 3-line block ×3, first 2 shown]
	s_waitcnt vmcnt(46) lgkmcnt(1)
	v_mul_f64 v[172:173], v[162:163], v[102:103]
	v_add_f64 v[2:3], v[6:7], v[2:3]
	v_fma_f64 v[4:5], v[14:15], v[72:73], -v[4:5]
	s_waitcnt vmcnt(44)
	v_fmac_f64_e32 v[172:173], v[164:165], v[104:105]
	v_add_f64 v[2:3], v[2:3], v[4:5]
	v_mul_f64 v[4:5], v[126:127], v[66:67]
	v_add_f64 v[174:175], v[170:171], v[172:173]
	ds_read_b128 v[170:173], v136 offset:976
	s_waitcnt lgkmcnt(1)
	v_mul_f64 v[176:177], v[166:167], v[98:99]
	v_fma_f64 v[4:5], v[124:125], v[68:69], -v[4:5]
	v_fmac_f64_e32 v[176:177], v[168:169], v[100:101]
	v_add_f64 v[2:3], v[2:3], v[4:5]
	v_mul_f64 v[4:5], v[140:141], v[78:79]
	v_add_f64 v[178:179], v[174:175], v[176:177]
	ds_read_b128 v[174:177], v136 offset:992
	v_fma_f64 v[4:5], v[138:139], v[80:81], -v[4:5]
	v_add_f64 v[2:3], v[2:3], v[4:5]
	v_mul_f64 v[4:5], v[144:145], v[74:75]
	v_fma_f64 v[4:5], v[142:143], v[76:77], -v[4:5]
	s_waitcnt vmcnt(38) lgkmcnt(1)
	v_mul_f64 v[180:181], v[170:171], v[110:111]
	v_add_f64 v[2:3], v[2:3], v[4:5]
	v_mul_f64 v[4:5], v[148:149], v[86:87]
	s_waitcnt vmcnt(36)
	v_fmac_f64_e32 v[180:181], v[172:173], v[112:113]
	v_fma_f64 v[4:5], v[146:147], v[88:89], -v[4:5]
	v_add_f64 v[190:191], v[178:179], v[180:181]
	ds_read_b128 v[178:181], v136 offset:1008
	s_waitcnt lgkmcnt(1)
	v_mul_f64 v[192:193], v[174:175], v[106:107]
	v_add_f64 v[2:3], v[2:3], v[4:5]
	v_mul_f64 v[4:5], v[152:153], v[82:83]
	v_fmac_f64_e32 v[192:193], v[176:177], v[108:109]
	v_fma_f64 v[4:5], v[150:151], v[84:85], -v[4:5]
	v_add_f64 v[194:195], v[190:191], v[192:193]
	ds_read_b128 v[190:193], v136 offset:1024
	v_add_f64 v[2:3], v[2:3], v[4:5]
	v_mul_f64 v[4:5], v[156:157], v[94:95]
	v_fma_f64 v[4:5], v[154:155], v[96:97], -v[4:5]
	v_add_f64 v[2:3], v[2:3], v[4:5]
	v_mul_f64 v[4:5], v[160:161], v[90:91]
	s_waitcnt vmcnt(30) lgkmcnt(1)
	v_mul_f64 v[196:197], v[178:179], v[118:119]
	v_fma_f64 v[4:5], v[158:159], v[92:93], -v[4:5]
	s_waitcnt vmcnt(28)
	v_fmac_f64_e32 v[196:197], v[180:181], v[122:123]
	v_add_f64 v[2:3], v[2:3], v[4:5]
	v_mul_f64 v[4:5], v[164:165], v[102:103]
	v_add_f64 v[198:199], v[194:195], v[196:197]
	ds_read_b128 v[194:197], v136 offset:1040
	s_waitcnt lgkmcnt(1)
	v_mul_f64 v[200:201], v[190:191], v[114:115]
	v_fma_f64 v[4:5], v[162:163], v[104:105], -v[4:5]
	v_fmac_f64_e32 v[200:201], v[192:193], v[116:117]
	v_add_f64 v[2:3], v[2:3], v[4:5]
	v_mul_f64 v[4:5], v[168:169], v[98:99]
	v_add_f64 v[202:203], v[198:199], v[200:201]
	ds_read_b128 v[198:201], v136 offset:1056
	v_fma_f64 v[4:5], v[166:167], v[100:101], -v[4:5]
	v_add_f64 v[2:3], v[2:3], v[4:5]
	v_mul_f64 v[4:5], v[172:173], v[110:111]
	v_fma_f64 v[4:5], v[170:171], v[112:113], -v[4:5]
	s_waitcnt vmcnt(22) lgkmcnt(1)
	v_mul_f64 v[204:205], v[194:195], v[132:133]
	v_add_f64 v[2:3], v[2:3], v[4:5]
	v_mul_f64 v[4:5], v[176:177], v[106:107]
	s_waitcnt vmcnt(20)
	v_fmac_f64_e32 v[204:205], v[196:197], v[134:135]
	v_fma_f64 v[4:5], v[174:175], v[108:109], -v[4:5]
	v_add_f64 v[206:207], v[202:203], v[204:205]
	ds_read_b128 v[202:205], v136 offset:1072
	s_waitcnt lgkmcnt(1)
	v_mul_f64 v[208:209], v[198:199], v[128:129]
	v_add_f64 v[2:3], v[2:3], v[4:5]
	v_mul_f64 v[4:5], v[180:181], v[118:119]
	v_fmac_f64_e32 v[208:209], v[200:201], v[130:131]
	v_fma_f64 v[4:5], v[178:179], v[122:123], -v[4:5]
	v_add_f64 v[210:211], v[206:207], v[208:209]
	ds_read_b128 v[206:209], v136 offset:1088
	v_add_f64 v[2:3], v[2:3], v[4:5]
	v_mul_f64 v[4:5], v[192:193], v[114:115]
	v_fma_f64 v[4:5], v[190:191], v[116:117], -v[4:5]
	v_add_f64 v[2:3], v[2:3], v[4:5]
	v_mul_f64 v[4:5], v[196:197], v[132:133]
	s_waitcnt vmcnt(14) lgkmcnt(1)
	v_mul_f64 v[212:213], v[202:203], v[222:223]
	v_fma_f64 v[4:5], v[194:195], v[134:135], -v[4:5]
	s_waitcnt vmcnt(12)
	v_fmac_f64_e32 v[212:213], v[204:205], v[224:225]
	v_add_f64 v[2:3], v[2:3], v[4:5]
	v_mul_f64 v[4:5], v[200:201], v[128:129]
	v_add_f64 v[214:215], v[210:211], v[212:213]
	ds_read_b128 v[210:213], v136 offset:1104
	s_waitcnt lgkmcnt(1)
	v_mul_f64 v[216:217], v[206:207], v[182:183]
	v_fma_f64 v[4:5], v[198:199], v[130:131], -v[4:5]
	v_fmac_f64_e32 v[216:217], v[208:209], v[184:185]
	v_add_f64 v[2:3], v[2:3], v[4:5]
	v_mul_f64 v[4:5], v[204:205], v[222:223]
	v_add_f64 v[238:239], v[214:215], v[216:217]
	ds_read_b128 v[214:217], v136 offset:1120
	v_fma_f64 v[4:5], v[202:203], v[224:225], -v[4:5]
	v_add_f64 v[2:3], v[2:3], v[4:5]
	v_mul_f64 v[4:5], v[208:209], v[182:183]
	ds_read_b128 v[218:221], v136 offset:1136
	v_fma_f64 v[4:5], v[206:207], v[184:185], -v[4:5]
	v_add_f64 v[2:3], v[2:3], v[4:5]
	s_waitcnt vmcnt(6) lgkmcnt(2)
	v_mul_f64 v[4:5], v[212:213], v[230:231]
	v_mul_f64 v[240:241], v[210:211], v[230:231]
	s_waitcnt vmcnt(4)
	v_fma_f64 v[4:5], v[210:211], v[232:233], -v[4:5]
	v_fmac_f64_e32 v[240:241], v[212:213], v[232:233]
	v_add_f64 v[2:3], v[2:3], v[4:5]
	s_waitcnt lgkmcnt(1)
	v_mul_f64 v[4:5], v[216:217], v[226:227]
	v_add_f64 v[136:137], v[238:239], v[240:241]
	v_mul_f64 v[238:239], v[214:215], v[226:227]
	v_fma_f64 v[4:5], v[214:215], v[228:229], -v[4:5]
	v_fmac_f64_e32 v[238:239], v[216:217], v[228:229]
	v_add_f64 v[2:3], v[2:3], v[4:5]
	s_waitcnt vmcnt(2) lgkmcnt(0)
	v_mul_f64 v[4:5], v[220:221], v[234:235]
	v_add_f64 v[136:137], v[136:137], v[238:239]
	v_mul_f64 v[238:239], v[218:219], v[234:235]
	s_waitcnt vmcnt(0)
	v_fma_f64 v[4:5], v[218:219], v[236:237], -v[4:5]
	v_fmac_f64_e32 v[238:239], v[220:221], v[236:237]
	v_add_f64 v[2:3], v[2:3], v[4:5]
	v_add_f64 v[136:137], v[136:137], v[238:239]
	v_add_f64 v[2:3], v[46:47], -v[2:3]
	v_add_f64 v[4:5], v[44:45], -v[136:137]
	buffer_store_dword v3, off, s[0:3], 0 offset:132
	buffer_store_dword v2, off, s[0:3], 0 offset:128
	buffer_store_dword v5, off, s[0:3], 0 offset:140
	buffer_store_dword v4, off, s[0:3], 0 offset:136
	s_and_saveexec_b64 s[4:5], vcc
	s_cbranch_execz .LBB99_217
; %bb.216:
	v_accvgpr_read_b32 v5, a96
	buffer_load_dword v2, v5, s[0:3], 0 offen
	buffer_load_dword v3, v5, s[0:3], 0 offen offset:4
	buffer_load_dword v4, v5, s[0:3], 0 offen offset:8
	s_nop 0
	buffer_load_dword v5, v5, s[0:3], 0 offen offset:12
	v_mov_b32_e32 v6, 0
	buffer_store_dword v6, off, s[0:3], 0 offset:112
	buffer_store_dword v6, off, s[0:3], 0 offset:116
	;; [unrolled: 1-line block ×4, first 2 shown]
	s_waitcnt vmcnt(4)
	ds_write_b128 v1, v[2:5]
.LBB99_217:
	s_or_b64 exec, exec, s[4:5]
	s_waitcnt lgkmcnt(0)
	; wave barrier
	s_waitcnt lgkmcnt(0)
	buffer_load_dword v38, off, s[0:3], 0 offset:128
	buffer_load_dword v39, off, s[0:3], 0 offset:132
	;; [unrolled: 1-line block ×48, first 2 shown]
	v_mov_b32_e32 v152, 0
	ds_read_b128 v[34:37], v152 offset:688
	ds_read_b128 v[30:33], v152 offset:704
	;; [unrolled: 1-line block ×9, first 2 shown]
	v_cmp_lt_u32_e32 vcc, 5, v0
	s_waitcnt vmcnt(44) lgkmcnt(8)
	v_mul_f64 v[86:87], v[34:35], v[42:43]
	v_fmac_f64_e32 v[86:87], v[36:37], v[38:39]
	v_add_f64 v[86:87], v[86:87], 0
	v_mul_f64 v[36:37], v[36:37], v[42:43]
	s_waitcnt vmcnt(40) lgkmcnt(7)
	v_mul_f64 v[88:89], v[30:31], v[44:45]
	v_fmac_f64_e32 v[88:89], v[32:33], v[40:41]
	s_waitcnt vmcnt(38) lgkmcnt(6)
	v_mul_f64 v[90:91], v[26:27], v[46:47]
	v_add_f64 v[86:87], v[86:87], v[88:89]
	s_waitcnt vmcnt(36) lgkmcnt(4)
	v_mul_f64 v[94:95], v[18:19], v[48:49]
	v_fma_f64 v[34:35], v[34:35], v[38:39], -v[36:37]
	s_waitcnt vmcnt(34)
	v_fmac_f64_e32 v[94:95], v[20:21], v[50:51]
	v_mul_f64 v[32:33], v[32:33], v[44:45]
	s_waitcnt vmcnt(32)
	v_mul_f64 v[92:93], v[22:23], v[52:53]
	v_add_f64 v[34:35], v[34:35], 0
	s_waitcnt vmcnt(30) lgkmcnt(2)
	v_mul_f64 v[98:99], v[10:11], v[54:55]
	v_fma_f64 v[30:31], v[30:31], v[40:41], -v[32:33]
	s_waitcnt vmcnt(28)
	v_fmac_f64_e32 v[98:99], v[12:13], v[56:57]
	v_add_f64 v[30:31], v[34:35], v[30:31]
	s_waitcnt vmcnt(26)
	v_mul_f64 v[96:97], v[14:15], v[58:59]
	v_mul_f64 v[20:21], v[20:21], v[48:49]
	v_fma_f64 v[18:19], v[18:19], v[50:51], -v[20:21]
	v_mul_f64 v[12:13], v[12:13], v[54:55]
	s_waitcnt vmcnt(22) lgkmcnt(1)
	v_mul_f64 v[110:111], v[6:7], v[68:69]
	v_fma_f64 v[10:11], v[10:11], v[56:57], -v[12:13]
	s_waitcnt vmcnt(20)
	v_fmac_f64_e32 v[90:91], v[28:29], v[76:77]
	v_add_f64 v[86:87], v[86:87], v[90:91]
	s_waitcnt vmcnt(18)
	v_fmac_f64_e32 v[92:93], v[24:25], v[74:75]
	v_add_f64 v[86:87], v[86:87], v[92:93]
	;; [unrolled: 3-line block ×3, first 2 shown]
	v_add_f64 v[86:87], v[86:87], v[96:97]
	v_add_f64 v[112:113], v[86:87], v[98:99]
	buffer_load_dword v87, off, s[0:3], 0 offset:332
	buffer_load_dword v86, off, s[0:3], 0 offset:328
	;; [unrolled: 1-line block ×72, first 2 shown]
	s_waitcnt vmcnt(62)
	v_fmac_f64_e32 v[110:111], v[8:9], v[70:71]
	v_add_f64 v[144:145], v[112:113], v[110:111]
	ds_read_b128 v[110:113], v152 offset:832
	s_waitcnt lgkmcnt(1)
	v_mul_f64 v[146:147], v[2:3], v[64:65]
	v_fmac_f64_e32 v[146:147], v[4:5], v[66:67]
	v_add_f64 v[148:149], v[144:145], v[146:147]
	ds_read_b128 v[144:147], v152 offset:848
	s_waitcnt lgkmcnt(1)
	v_mul_f64 v[150:151], v[110:111], v[82:83]
	;; [unrolled: 5-line block ×5, first 2 shown]
	v_fmac_f64_e32 v[164:165], v[156:157], v[88:89]
	v_add_f64 v[166:167], v[162:163], v[164:165]
	ds_read_b128 v[162:165], v152 offset:912
	s_waitcnt vmcnt(58) lgkmcnt(1)
	v_mul_f64 v[168:169], v[158:159], v[98:99]
	s_waitcnt vmcnt(56)
	v_fmac_f64_e32 v[168:169], v[160:161], v[100:101]
	v_add_f64 v[170:171], v[166:167], v[168:169]
	ds_read_b128 v[166:169], v152 offset:928
	s_waitcnt lgkmcnt(1)
	v_mul_f64 v[172:173], v[162:163], v[94:95]
	v_fmac_f64_e32 v[172:173], v[164:165], v[96:97]
	v_mul_f64 v[28:29], v[28:29], v[46:47]
	v_add_f64 v[174:175], v[170:171], v[172:173]
	ds_read_b128 v[170:173], v152 offset:944
	s_waitcnt vmcnt(50) lgkmcnt(1)
	v_mul_f64 v[176:177], v[166:167], v[106:107]
	v_fma_f64 v[26:27], v[26:27], v[76:77], -v[28:29]
	v_mul_f64 v[24:25], v[24:25], v[52:53]
	s_waitcnt vmcnt(48)
	v_fmac_f64_e32 v[176:177], v[168:169], v[108:109]
	v_add_f64 v[26:27], v[30:31], v[26:27]
	v_fma_f64 v[22:23], v[22:23], v[74:75], -v[24:25]
	v_add_f64 v[178:179], v[174:175], v[176:177]
	ds_read_b128 v[174:177], v152 offset:960
	v_add_f64 v[22:23], v[26:27], v[22:23]
	v_mul_f64 v[16:17], v[16:17], v[58:59]
	v_add_f64 v[18:19], v[22:23], v[18:19]
	v_fma_f64 v[14:15], v[14:15], v[72:73], -v[16:17]
	v_add_f64 v[14:15], v[18:19], v[14:15]
	v_mul_f64 v[8:9], v[8:9], v[68:69]
	s_waitcnt lgkmcnt(1)
	v_mul_f64 v[180:181], v[170:171], v[102:103]
	v_add_f64 v[10:11], v[14:15], v[10:11]
	v_fma_f64 v[6:7], v[6:7], v[70:71], -v[8:9]
	v_mul_f64 v[4:5], v[4:5], v[64:65]
	v_fmac_f64_e32 v[180:181], v[172:173], v[104:105]
	v_add_f64 v[6:7], v[10:11], v[6:7]
	v_fma_f64 v[2:3], v[2:3], v[66:67], -v[4:5]
	v_mul_f64 v[4:5], v[112:113], v[82:83]
	v_add_f64 v[190:191], v[178:179], v[180:181]
	ds_read_b128 v[178:181], v152 offset:976
	s_waitcnt vmcnt(42) lgkmcnt(1)
	v_mul_f64 v[192:193], v[174:175], v[118:119]
	v_add_f64 v[2:3], v[6:7], v[2:3]
	v_fma_f64 v[4:5], v[110:111], v[84:85], -v[4:5]
	s_waitcnt vmcnt(40)
	v_fmac_f64_e32 v[192:193], v[176:177], v[122:123]
	v_add_f64 v[2:3], v[2:3], v[4:5]
	v_mul_f64 v[4:5], v[146:147], v[78:79]
	v_add_f64 v[194:195], v[190:191], v[192:193]
	ds_read_b128 v[190:193], v152 offset:992
	v_fma_f64 v[4:5], v[144:145], v[80:81], -v[4:5]
	v_add_f64 v[2:3], v[2:3], v[4:5]
	v_mul_f64 v[4:5], v[150:151], v[90:91]
	v_fma_f64 v[4:5], v[148:149], v[92:93], -v[4:5]
	s_waitcnt lgkmcnt(1)
	v_mul_f64 v[196:197], v[178:179], v[114:115]
	v_add_f64 v[2:3], v[2:3], v[4:5]
	v_mul_f64 v[4:5], v[156:157], v[86:87]
	v_fmac_f64_e32 v[196:197], v[180:181], v[116:117]
	v_fma_f64 v[4:5], v[154:155], v[88:89], -v[4:5]
	v_add_f64 v[198:199], v[194:195], v[196:197]
	ds_read_b128 v[194:197], v152 offset:1008
	s_waitcnt vmcnt(34) lgkmcnt(1)
	v_mul_f64 v[200:201], v[190:191], v[128:129]
	v_add_f64 v[2:3], v[2:3], v[4:5]
	v_mul_f64 v[4:5], v[160:161], v[98:99]
	s_waitcnt vmcnt(32)
	v_fmac_f64_e32 v[200:201], v[192:193], v[130:131]
	v_fma_f64 v[4:5], v[158:159], v[100:101], -v[4:5]
	v_add_f64 v[202:203], v[198:199], v[200:201]
	ds_read_b128 v[198:201], v152 offset:1024
	v_add_f64 v[2:3], v[2:3], v[4:5]
	v_mul_f64 v[4:5], v[164:165], v[94:95]
	v_fma_f64 v[4:5], v[162:163], v[96:97], -v[4:5]
	v_add_f64 v[2:3], v[2:3], v[4:5]
	v_mul_f64 v[4:5], v[168:169], v[106:107]
	s_waitcnt lgkmcnt(1)
	v_mul_f64 v[204:205], v[194:195], v[124:125]
	v_fma_f64 v[4:5], v[166:167], v[108:109], -v[4:5]
	v_fmac_f64_e32 v[204:205], v[196:197], v[126:127]
	v_add_f64 v[2:3], v[2:3], v[4:5]
	v_mul_f64 v[4:5], v[172:173], v[102:103]
	v_add_f64 v[206:207], v[202:203], v[204:205]
	ds_read_b128 v[202:205], v152 offset:1040
	s_waitcnt vmcnt(26) lgkmcnt(1)
	v_mul_f64 v[208:209], v[198:199], v[136:137]
	v_fma_f64 v[4:5], v[170:171], v[104:105], -v[4:5]
	s_waitcnt vmcnt(24)
	v_fmac_f64_e32 v[208:209], v[200:201], v[138:139]
	v_add_f64 v[2:3], v[2:3], v[4:5]
	v_mul_f64 v[4:5], v[176:177], v[118:119]
	v_add_f64 v[210:211], v[206:207], v[208:209]
	ds_read_b128 v[206:209], v152 offset:1056
	v_fma_f64 v[4:5], v[174:175], v[122:123], -v[4:5]
	v_add_f64 v[2:3], v[2:3], v[4:5]
	v_mul_f64 v[4:5], v[180:181], v[114:115]
	v_fma_f64 v[4:5], v[178:179], v[116:117], -v[4:5]
	s_waitcnt lgkmcnt(1)
	v_mul_f64 v[212:213], v[202:203], v[132:133]
	v_add_f64 v[2:3], v[2:3], v[4:5]
	v_mul_f64 v[4:5], v[192:193], v[128:129]
	v_fmac_f64_e32 v[212:213], v[204:205], v[134:135]
	v_fma_f64 v[4:5], v[190:191], v[130:131], -v[4:5]
	v_add_f64 v[214:215], v[210:211], v[212:213]
	ds_read_b128 v[210:213], v152 offset:1072
	s_waitcnt vmcnt(18) lgkmcnt(1)
	v_mul_f64 v[216:217], v[206:207], v[182:183]
	v_add_f64 v[2:3], v[2:3], v[4:5]
	v_mul_f64 v[4:5], v[196:197], v[124:125]
	s_waitcnt vmcnt(16)
	v_fmac_f64_e32 v[216:217], v[208:209], v[184:185]
	v_fma_f64 v[4:5], v[194:195], v[126:127], -v[4:5]
	v_add_f64 v[218:219], v[214:215], v[216:217]
	ds_read_b128 v[214:217], v152 offset:1088
	v_add_f64 v[2:3], v[2:3], v[4:5]
	v_mul_f64 v[4:5], v[200:201], v[136:137]
	v_fma_f64 v[4:5], v[198:199], v[138:139], -v[4:5]
	v_add_f64 v[2:3], v[2:3], v[4:5]
	v_mul_f64 v[4:5], v[204:205], v[132:133]
	s_waitcnt lgkmcnt(1)
	v_mul_f64 v[220:221], v[210:211], v[140:141]
	v_fma_f64 v[4:5], v[202:203], v[134:135], -v[4:5]
	v_fmac_f64_e32 v[220:221], v[212:213], v[142:143]
	v_add_f64 v[2:3], v[2:3], v[4:5]
	v_mul_f64 v[4:5], v[208:209], v[182:183]
	v_add_f64 v[222:223], v[218:219], v[220:221]
	ds_read_b128 v[218:221], v152 offset:1104
	s_waitcnt vmcnt(10) lgkmcnt(1)
	v_mul_f64 v[224:225], v[214:215], v[234:235]
	v_fma_f64 v[4:5], v[206:207], v[184:185], -v[4:5]
	s_waitcnt vmcnt(8)
	v_fmac_f64_e32 v[224:225], v[216:217], v[236:237]
	v_add_f64 v[2:3], v[2:3], v[4:5]
	v_mul_f64 v[4:5], v[212:213], v[140:141]
	v_add_f64 v[246:247], v[222:223], v[224:225]
	ds_read_b128 v[222:225], v152 offset:1120
	ds_read_b128 v[226:229], v152 offset:1136
	v_fma_f64 v[4:5], v[210:211], v[142:143], -v[4:5]
	v_add_f64 v[2:3], v[2:3], v[4:5]
	v_mul_f64 v[4:5], v[216:217], v[234:235]
	v_fma_f64 v[4:5], v[214:215], v[236:237], -v[4:5]
	v_add_f64 v[2:3], v[2:3], v[4:5]
	s_waitcnt lgkmcnt(2)
	v_mul_f64 v[4:5], v[220:221], v[230:231]
	v_mul_f64 v[248:249], v[218:219], v[230:231]
	v_fma_f64 v[4:5], v[218:219], v[232:233], -v[4:5]
	v_fmac_f64_e32 v[248:249], v[220:221], v[232:233]
	v_add_f64 v[2:3], v[2:3], v[4:5]
	s_waitcnt vmcnt(2) lgkmcnt(1)
	v_mul_f64 v[4:5], v[224:225], v[242:243]
	v_add_f64 v[246:247], v[246:247], v[248:249]
	v_mul_f64 v[248:249], v[222:223], v[242:243]
	s_waitcnt vmcnt(0)
	v_fma_f64 v[4:5], v[222:223], v[244:245], -v[4:5]
	v_fmac_f64_e32 v[248:249], v[224:225], v[244:245]
	v_add_f64 v[2:3], v[2:3], v[4:5]
	s_waitcnt lgkmcnt(0)
	v_mul_f64 v[4:5], v[228:229], v[238:239]
	v_add_f64 v[246:247], v[246:247], v[248:249]
	v_mul_f64 v[248:249], v[226:227], v[238:239]
	v_fma_f64 v[4:5], v[226:227], v[240:241], -v[4:5]
	v_fmac_f64_e32 v[248:249], v[228:229], v[240:241]
	v_add_f64 v[2:3], v[2:3], v[4:5]
	v_add_f64 v[246:247], v[246:247], v[248:249]
	v_add_f64 v[2:3], v[62:63], -v[2:3]
	v_add_f64 v[4:5], v[60:61], -v[246:247]
	buffer_store_dword v3, off, s[0:3], 0 offset:116
	buffer_store_dword v2, off, s[0:3], 0 offset:112
	;; [unrolled: 1-line block ×4, first 2 shown]
	s_and_saveexec_b64 s[4:5], vcc
	s_cbranch_execz .LBB99_219
; %bb.218:
	v_accvgpr_read_b32 v5, a97
	buffer_load_dword v2, v5, s[0:3], 0 offen
	buffer_load_dword v3, v5, s[0:3], 0 offen offset:4
	buffer_load_dword v4, v5, s[0:3], 0 offen offset:8
	s_nop 0
	buffer_load_dword v5, v5, s[0:3], 0 offen offset:12
	s_nop 0
	buffer_store_dword v152, off, s[0:3], 0 offset:96
	buffer_store_dword v152, off, s[0:3], 0 offset:100
	;; [unrolled: 1-line block ×4, first 2 shown]
	s_waitcnt vmcnt(4)
	ds_write_b128 v1, v[2:5]
.LBB99_219:
	s_or_b64 exec, exec, s[4:5]
	s_waitcnt lgkmcnt(0)
	; wave barrier
	s_waitcnt lgkmcnt(0)
	buffer_load_dword v48, off, s[0:3], 0 offset:112
	buffer_load_dword v49, off, s[0:3], 0 offset:116
	;; [unrolled: 1-line block ×40, first 2 shown]
	ds_read_b128 v[38:41], v152 offset:672
	ds_read_b128 v[34:37], v152 offset:688
	;; [unrolled: 1-line block ×10, first 2 shown]
	buffer_load_dword v83, off, s[0:3], 0 offset:284
	buffer_load_dword v82, off, s[0:3], 0 offset:280
	;; [unrolled: 1-line block ×8, first 2 shown]
	v_cmp_lt_u32_e32 vcc, 4, v0
	s_waitcnt vmcnt(44) lgkmcnt(9)
	v_mul_f64 v[90:91], v[38:39], v[50:51]
	v_fmac_f64_e32 v[90:91], v[40:41], v[48:49]
	v_add_f64 v[90:91], v[90:91], 0
	v_mul_f64 v[40:41], v[40:41], v[50:51]
	s_waitcnt vmcnt(40) lgkmcnt(8)
	v_mul_f64 v[92:93], v[34:35], v[44:45]
	v_fmac_f64_e32 v[92:93], v[36:37], v[42:43]
	s_waitcnt vmcnt(38) lgkmcnt(7)
	v_mul_f64 v[94:95], v[30:31], v[46:47]
	v_add_f64 v[90:91], v[90:91], v[92:93]
	s_waitcnt vmcnt(36) lgkmcnt(5)
	v_mul_f64 v[98:99], v[22:23], v[52:53]
	v_mul_f64 v[36:37], v[36:37], v[44:45]
	s_waitcnt vmcnt(34)
	v_fmac_f64_e32 v[98:99], v[24:25], v[54:55]
	v_fma_f64 v[34:35], v[34:35], v[42:43], -v[36:37]
	s_waitcnt vmcnt(32)
	v_mul_f64 v[96:97], v[26:27], v[56:57]
	v_mul_f64 v[24:25], v[24:25], v[52:53]
	s_waitcnt vmcnt(30) lgkmcnt(4)
	v_mul_f64 v[100:101], v[18:19], v[62:63]
	v_fma_f64 v[22:23], v[22:23], v[54:55], -v[24:25]
	s_waitcnt vmcnt(28) lgkmcnt(1)
	v_mul_f64 v[124:125], v[2:3], v[64:65]
	s_waitcnt vmcnt(25)
	v_mul_f64 v[104:105], v[6:7], v[68:69]
	s_waitcnt vmcnt(23)
	;; [unrolled: 2-line block ×3, first 2 shown]
	v_fmac_f64_e32 v[102:103], v[12:13], v[72:73]
	v_mul_f64 v[12:13], v[12:13], v[70:71]
	s_waitcnt vmcnt(19)
	v_fmac_f64_e32 v[94:95], v[32:33], v[80:81]
	v_add_f64 v[90:91], v[90:91], v[94:95]
	s_waitcnt vmcnt(17)
	v_fmac_f64_e32 v[96:97], v[28:29], v[78:79]
	v_add_f64 v[90:91], v[90:91], v[96:97]
	;; [unrolled: 3-line block ×3, first 2 shown]
	v_add_f64 v[90:91], v[90:91], v[100:101]
	s_waitcnt vmcnt(13)
	v_fmac_f64_e32 v[104:105], v[8:9], v[74:75]
	v_add_f64 v[90:91], v[90:91], v[102:103]
	v_add_f64 v[126:127], v[90:91], v[104:105]
	buffer_load_dword v91, off, s[0:3], 0 offset:316
	buffer_load_dword v90, off, s[0:3], 0 offset:312
	;; [unrolled: 1-line block ×72, first 2 shown]
	s_waitcnt vmcnt(62)
	v_fmac_f64_e32 v[124:125], v[4:5], v[66:67]
	v_add_f64 v[154:155], v[126:127], v[124:125]
	ds_read_b128 v[124:127], v152 offset:832
	buffer_load_dword v243, off, s[0:3], 0 offset:588
	buffer_load_dword v242, off, s[0:3], 0 offset:584
	;; [unrolled: 1-line block ×4, first 2 shown]
	s_waitcnt lgkmcnt(1)
	v_mul_f64 v[156:157], v[14:15], v[86:87]
	v_fmac_f64_e32 v[156:157], v[16:17], v[88:89]
	v_add_f64 v[158:159], v[154:155], v[156:157]
	ds_read_b128 v[154:157], v152 offset:848
	s_waitcnt lgkmcnt(1)
	v_mul_f64 v[160:161], v[124:125], v[82:83]
	v_fmac_f64_e32 v[160:161], v[126:127], v[84:85]
	v_add_f64 v[162:163], v[158:159], v[160:161]
	ds_read_b128 v[158:161], v152 offset:864
	v_mul_f64 v[32:33], v[32:33], v[46:47]
	s_waitcnt lgkmcnt(1)
	v_mul_f64 v[164:165], v[154:155], v[94:95]
	v_fma_f64 v[30:31], v[30:31], v[80:81], -v[32:33]
	v_fmac_f64_e32 v[164:165], v[156:157], v[96:97]
	v_add_f64 v[166:167], v[162:163], v[164:165]
	ds_read_b128 v[162:165], v152 offset:880
	s_waitcnt lgkmcnt(1)
	v_mul_f64 v[168:169], v[158:159], v[90:91]
	v_fmac_f64_e32 v[168:169], v[160:161], v[92:93]
	v_add_f64 v[170:171], v[166:167], v[168:169]
	ds_read_b128 v[166:169], v152 offset:896
	s_waitcnt vmcnt(62) lgkmcnt(1)
	v_mul_f64 v[172:173], v[162:163], v[102:103]
	s_waitcnt vmcnt(60)
	v_fmac_f64_e32 v[172:173], v[164:165], v[104:105]
	v_add_f64 v[174:175], v[170:171], v[172:173]
	ds_read_b128 v[170:173], v152 offset:912
	s_waitcnt lgkmcnt(1)
	v_mul_f64 v[176:177], v[166:167], v[98:99]
	v_fmac_f64_e32 v[176:177], v[168:169], v[100:101]
	v_add_f64 v[178:179], v[174:175], v[176:177]
	ds_read_b128 v[174:177], v152 offset:928
	s_waitcnt vmcnt(54) lgkmcnt(1)
	v_mul_f64 v[180:181], v[170:171], v[110:111]
	s_waitcnt vmcnt(52)
	;; [unrolled: 11-line block ×7, first 2 shown]
	v_fmac_f64_e32 v[228:229], v[220:221], v[232:233]
	v_add_f64 v[246:247], v[226:227], v[228:229]
	ds_read_b128 v[226:229], v152 offset:1104
	s_waitcnt lgkmcnt(1)
	v_mul_f64 v[248:249], v[222:223], v[182:183]
	v_fmac_f64_e32 v[248:249], v[224:225], v[184:185]
	v_add_f64 v[246:247], v[246:247], v[248:249]
	v_fma_f64 v[248:249], v[38:39], v[48:49], -v[40:41]
	ds_read_b128 v[38:41], v152 offset:1120
	ds_read_b128 v[48:51], v152 offset:1136
	s_waitcnt vmcnt(6) lgkmcnt(2)
	v_mul_f64 v[250:251], v[226:227], v[238:239]
	s_waitcnt vmcnt(4)
	v_fmac_f64_e32 v[250:251], v[228:229], v[240:241]
	v_add_f64 v[152:153], v[246:247], v[250:251]
	s_waitcnt lgkmcnt(1)
	v_mul_f64 v[246:247], v[38:39], v[234:235]
	v_fmac_f64_e32 v[246:247], v[40:41], v[236:237]
	v_add_f64 v[152:153], v[152:153], v[246:247]
	s_waitcnt vmcnt(2) lgkmcnt(0)
	v_mul_f64 v[246:247], v[48:49], v[242:243]
	s_waitcnt vmcnt(0)
	v_fmac_f64_e32 v[246:247], v[50:51], v[244:245]
	v_add_f64 v[152:153], v[152:153], v[246:247]
	v_add_f64 v[246:247], v[248:249], 0
	;; [unrolled: 1-line block ×3, first 2 shown]
	v_mul_f64 v[28:29], v[28:29], v[56:57]
	v_add_f64 v[30:31], v[34:35], v[30:31]
	v_fma_f64 v[26:27], v[26:27], v[78:79], -v[28:29]
	v_add_f64 v[26:27], v[30:31], v[26:27]
	v_mul_f64 v[20:21], v[20:21], v[62:63]
	v_add_f64 v[22:23], v[26:27], v[22:23]
	v_fma_f64 v[18:19], v[18:19], v[76:77], -v[20:21]
	v_add_f64 v[18:19], v[22:23], v[18:19]
	v_fma_f64 v[10:11], v[10:11], v[72:73], -v[12:13]
	v_mul_f64 v[8:9], v[8:9], v[68:69]
	v_add_f64 v[10:11], v[18:19], v[10:11]
	v_fma_f64 v[6:7], v[6:7], v[74:75], -v[8:9]
	v_mul_f64 v[4:5], v[4:5], v[64:65]
	;; [unrolled: 3-line block ×3, first 2 shown]
	v_add_f64 v[2:3], v[6:7], v[2:3]
	v_fma_f64 v[4:5], v[14:15], v[88:89], -v[4:5]
	v_add_f64 v[2:3], v[2:3], v[4:5]
	v_mul_f64 v[4:5], v[126:127], v[82:83]
	v_fma_f64 v[4:5], v[124:125], v[84:85], -v[4:5]
	v_add_f64 v[2:3], v[2:3], v[4:5]
	v_mul_f64 v[4:5], v[156:157], v[94:95]
	v_fma_f64 v[4:5], v[154:155], v[96:97], -v[4:5]
	v_add_f64 v[2:3], v[2:3], v[4:5]
	v_mul_f64 v[4:5], v[160:161], v[90:91]
	v_fma_f64 v[4:5], v[158:159], v[92:93], -v[4:5]
	v_add_f64 v[2:3], v[2:3], v[4:5]
	v_mul_f64 v[4:5], v[164:165], v[102:103]
	v_fma_f64 v[4:5], v[162:163], v[104:105], -v[4:5]
	v_add_f64 v[2:3], v[2:3], v[4:5]
	v_mul_f64 v[4:5], v[168:169], v[98:99]
	v_fma_f64 v[4:5], v[166:167], v[100:101], -v[4:5]
	v_add_f64 v[2:3], v[2:3], v[4:5]
	v_mul_f64 v[4:5], v[172:173], v[110:111]
	v_fma_f64 v[4:5], v[170:171], v[112:113], -v[4:5]
	v_add_f64 v[2:3], v[2:3], v[4:5]
	v_mul_f64 v[4:5], v[176:177], v[106:107]
	v_fma_f64 v[4:5], v[174:175], v[108:109], -v[4:5]
	v_add_f64 v[2:3], v[2:3], v[4:5]
	v_mul_f64 v[4:5], v[180:181], v[118:119]
	v_fma_f64 v[4:5], v[178:179], v[122:123], -v[4:5]
	v_add_f64 v[2:3], v[2:3], v[4:5]
	v_mul_f64 v[4:5], v[192:193], v[114:115]
	v_fma_f64 v[4:5], v[190:191], v[116:117], -v[4:5]
	v_add_f64 v[2:3], v[2:3], v[4:5]
	v_mul_f64 v[4:5], v[196:197], v[132:133]
	v_fma_f64 v[4:5], v[194:195], v[134:135], -v[4:5]
	v_add_f64 v[2:3], v[2:3], v[4:5]
	v_mul_f64 v[4:5], v[200:201], v[128:129]
	v_fma_f64 v[4:5], v[198:199], v[130:131], -v[4:5]
	v_add_f64 v[2:3], v[2:3], v[4:5]
	v_mul_f64 v[4:5], v[204:205], v[140:141]
	v_fma_f64 v[4:5], v[202:203], v[142:143], -v[4:5]
	v_add_f64 v[2:3], v[2:3], v[4:5]
	v_mul_f64 v[4:5], v[208:209], v[136:137]
	v_fma_f64 v[4:5], v[206:207], v[138:139], -v[4:5]
	v_add_f64 v[2:3], v[2:3], v[4:5]
	v_mul_f64 v[4:5], v[212:213], v[148:149]
	v_fma_f64 v[4:5], v[210:211], v[150:151], -v[4:5]
	v_add_f64 v[2:3], v[2:3], v[4:5]
	v_mul_f64 v[4:5], v[216:217], v[144:145]
	v_fma_f64 v[4:5], v[214:215], v[146:147], -v[4:5]
	v_add_f64 v[2:3], v[2:3], v[4:5]
	v_mul_f64 v[4:5], v[220:221], v[230:231]
	v_fma_f64 v[4:5], v[218:219], v[232:233], -v[4:5]
	v_add_f64 v[2:3], v[2:3], v[4:5]
	v_mul_f64 v[4:5], v[224:225], v[182:183]
	v_fma_f64 v[4:5], v[222:223], v[184:185], -v[4:5]
	v_add_f64 v[2:3], v[2:3], v[4:5]
	v_mul_f64 v[4:5], v[228:229], v[238:239]
	v_fma_f64 v[4:5], v[226:227], v[240:241], -v[4:5]
	v_add_f64 v[2:3], v[2:3], v[4:5]
	v_mul_f64 v[4:5], v[40:41], v[234:235]
	v_fma_f64 v[4:5], v[38:39], v[236:237], -v[4:5]
	v_add_f64 v[2:3], v[2:3], v[4:5]
	v_mul_f64 v[4:5], v[50:51], v[242:243]
	v_fma_f64 v[4:5], v[48:49], v[244:245], -v[4:5]
	v_add_f64 v[2:3], v[2:3], v[4:5]
	v_add_f64 v[2:3], v[60:61], -v[2:3]
	v_add_f64 v[4:5], v[58:59], -v[152:153]
	buffer_store_dword v3, off, s[0:3], 0 offset:100
	buffer_store_dword v2, off, s[0:3], 0 offset:96
	;; [unrolled: 1-line block ×4, first 2 shown]
	s_and_saveexec_b64 s[4:5], vcc
	s_cbranch_execz .LBB99_221
; %bb.220:
	v_accvgpr_read_b32 v5, a98
	buffer_load_dword v2, v5, s[0:3], 0 offen
	buffer_load_dword v3, v5, s[0:3], 0 offen offset:4
	buffer_load_dword v4, v5, s[0:3], 0 offen offset:8
	s_nop 0
	buffer_load_dword v5, v5, s[0:3], 0 offen offset:12
	v_mov_b32_e32 v6, 0
	buffer_store_dword v6, off, s[0:3], 0 offset:80
	buffer_store_dword v6, off, s[0:3], 0 offset:84
	;; [unrolled: 1-line block ×4, first 2 shown]
	s_waitcnt vmcnt(4)
	ds_write_b128 v1, v[2:5]
.LBB99_221:
	s_or_b64 exec, exec, s[4:5]
	s_waitcnt lgkmcnt(0)
	; wave barrier
	s_waitcnt lgkmcnt(0)
	buffer_load_dword v106, off, s[0:3], 0 offset:96
	buffer_load_dword v107, off, s[0:3], 0 offset:100
	;; [unrolled: 1-line block ×49, first 2 shown]
	v_mov_b32_e32 v180, 0
	ds_read_b128 v[110:113], v180 offset:656
	ds_read_b128 v[182:185], v180 offset:672
	;; [unrolled: 1-line block ×10, first 2 shown]
	buffer_load_dword v152, off, s[0:3], 0 offset:288
	buffer_load_dword v167, off, s[0:3], 0 offset:284
	;; [unrolled: 1-line block ×69, first 2 shown]
	v_cmp_lt_u32_e32 vcc, 3, v0
	s_waitcnt vmcnt(62) lgkmcnt(9)
	v_mul_f64 v[34:35], v[110:111], v[108:109]
	v_fmac_f64_e32 v[34:35], v[112:113], v[106:107]
	v_add_f64 v[34:35], v[34:35], 0
	v_mul_f64 v[108:109], v[112:113], v[108:109]
	s_waitcnt lgkmcnt(8)
	v_mul_f64 v[36:37], v[182:183], v[116:117]
	v_fmac_f64_e32 v[36:37], v[184:185], v[114:115]
	s_waitcnt lgkmcnt(7)
	v_mul_f64 v[38:39], v[30:31], v[190:191]
	v_add_f64 v[34:35], v[34:35], v[36:37]
	s_waitcnt lgkmcnt(5)
	v_mul_f64 v[42:43], v[22:23], v[192:193]
	v_mul_f64 v[116:117], v[184:185], v[116:117]
	v_fmac_f64_e32 v[42:43], v[24:25], v[194:195]
	v_fma_f64 v[254:255], v[182:183], v[114:115], -v[116:117]
	v_mul_f64 v[40:41], v[26:27], v[196:197]
	v_mul_f64 v[24:25], v[24:25], v[192:193]
	s_waitcnt lgkmcnt(3)
	v_mul_f64 v[46:47], v[14:15], v[118:119]
	v_fma_f64 v[22:23], v[22:23], v[194:195], -v[24:25]
	v_fmac_f64_e32 v[46:47], v[16:17], v[122:123]
	v_mul_f64 v[16:17], v[16:17], v[118:119]
	v_mul_f64 v[44:45], v[18:19], v[124:125]
	v_fma_f64 v[14:15], v[14:15], v[122:123], -v[16:17]
	s_waitcnt lgkmcnt(1)
	v_mul_f64 v[50:51], v[6:7], v[126:127]
	v_fmac_f64_e32 v[50:51], v[8:9], v[128:129]
	v_mul_f64 v[8:9], v[8:9], v[126:127]
	v_mul_f64 v[48:49], v[10:11], v[134:135]
	v_fma_f64 v[6:7], v[6:7], v[128:129], -v[8:9]
	s_waitcnt lgkmcnt(0)
	v_mul_f64 v[52:53], v[2:3], v[130:131]
	v_fmac_f64_e32 v[38:39], v[32:33], v[146:147]
	v_add_f64 v[34:35], v[34:35], v[38:39]
	v_fmac_f64_e32 v[40:41], v[28:29], v[144:145]
	v_add_f64 v[34:35], v[34:35], v[40:41]
	;; [unrolled: 2-line block ×3, first 2 shown]
	v_add_f64 v[34:35], v[34:35], v[44:45]
	v_fmac_f64_e32 v[48:49], v[12:13], v[140:141]
	v_add_f64 v[34:35], v[34:35], v[46:47]
	v_add_f64 v[34:35], v[34:35], v[48:49]
	v_fmac_f64_e32 v[52:53], v[4:5], v[138:139]
	v_add_f64 v[34:35], v[34:35], v[50:51]
	v_add_f64 v[42:43], v[34:35], v[52:53]
	ds_read_b128 v[38:41], v180 offset:816
	ds_read_b128 v[34:37], v180 offset:832
	buffer_load_dword v241, off, s[0:3], 0 offset:588
	buffer_load_dword v240, off, s[0:3], 0 offset:584
	;; [unrolled: 1-line block ×8, first 2 shown]
	ds_read_b128 v[114:117], v180 offset:1136
	v_mul_f64 v[32:33], v[32:33], v[190:191]
	s_waitcnt lgkmcnt(2)
	v_mul_f64 v[44:45], v[38:39], v[136:137]
	v_fmac_f64_e32 v[44:45], v[40:41], v[148:149]
	v_add_f64 v[46:47], v[42:43], v[44:45]
	ds_read_b128 v[42:45], v180 offset:848
	s_waitcnt lgkmcnt(2)
	v_mul_f64 v[48:49], v[34:35], v[166:167]
	v_fmac_f64_e32 v[48:49], v[36:37], v[170:171]
	v_add_f64 v[50:51], v[46:47], v[48:49]
	ds_read_b128 v[46:49], v180 offset:864
	;; [unrolled: 5-line block ×3, first 2 shown]
	s_waitcnt vmcnt(62) lgkmcnt(1)
	v_mul_f64 v[56:57], v[46:47], v[200:201]
	v_fmac_f64_e32 v[56:57], v[48:49], v[204:205]
	v_add_f64 v[58:59], v[54:55], v[56:57]
	ds_read_b128 v[54:57], v180 offset:896
	s_waitcnt lgkmcnt(1)
	v_mul_f64 v[60:61], v[50:51], v[154:155]
	v_fmac_f64_e32 v[60:61], v[52:53], v[156:157]
	v_add_f64 v[62:63], v[58:59], v[60:61]
	ds_read_b128 v[58:61], v180 offset:912
	s_waitcnt vmcnt(58) lgkmcnt(1)
	v_mul_f64 v[64:65], v[54:55], v[208:209]
	s_waitcnt vmcnt(56)
	v_fmac_f64_e32 v[64:65], v[56:57], v[212:213]
	v_add_f64 v[66:67], v[62:63], v[64:65]
	ds_read_b128 v[62:65], v180 offset:928
	s_waitcnt lgkmcnt(1)
	v_mul_f64 v[68:69], v[58:59], v[158:159]
	v_fmac_f64_e32 v[68:69], v[60:61], v[160:161]
	v_add_f64 v[70:71], v[66:67], v[68:69]
	ds_read_b128 v[66:69], v180 offset:944
	s_waitcnt vmcnt(50) lgkmcnt(1)
	v_mul_f64 v[72:73], v[62:63], v[216:217]
	s_waitcnt vmcnt(48)
	;; [unrolled: 11-line block ×5, first 2 shown]
	v_fmac_f64_e32 v[96:97], v[88:89], v[238:239]
	v_add_f64 v[98:99], v[94:95], v[96:97]
	ds_read_b128 v[94:97], v180 offset:1056
	s_waitcnt lgkmcnt(1)
	v_mul_f64 v[100:101], v[90:91], v[210:211]
	v_fmac_f64_e32 v[100:101], v[92:93], v[214:215]
	v_add_f64 v[174:175], v[98:99], v[100:101]
	ds_read_b128 v[98:101], v180 offset:1072
	ds_read_b128 v[102:105], v180 offset:1088
	s_waitcnt vmcnt(18) lgkmcnt(2)
	v_mul_f64 v[176:177], v[94:95], v[242:243]
	s_waitcnt vmcnt(16)
	v_fmac_f64_e32 v[176:177], v[96:97], v[246:247]
	v_add_f64 v[174:175], v[174:175], v[176:177]
	s_waitcnt lgkmcnt(1)
	v_mul_f64 v[176:177], v[98:99], v[218:219]
	v_fmac_f64_e32 v[176:177], v[100:101], v[222:223]
	v_add_f64 v[174:175], v[174:175], v[176:177]
	v_fma_f64 v[176:177], v[110:111], v[106:107], -v[108:109]
	ds_read_b128 v[110:113], v180 offset:1104
	ds_read_b128 v[106:109], v180 offset:1120
	s_waitcnt vmcnt(10) lgkmcnt(2)
	v_mul_f64 v[178:179], v[102:103], v[248:249]
	s_waitcnt vmcnt(8)
	v_fmac_f64_e32 v[178:179], v[104:105], v[250:251]
	v_add_f64 v[174:175], v[174:175], v[178:179]
	s_waitcnt lgkmcnt(1)
	v_mul_f64 v[178:179], v[110:111], v[226:227]
	v_fmac_f64_e32 v[178:179], v[112:113], v[230:231]
	v_add_f64 v[174:175], v[174:175], v[178:179]
	s_waitcnt vmcnt(2) lgkmcnt(0)
	v_mul_f64 v[178:179], v[106:107], v[172:173]
	s_waitcnt vmcnt(0)
	v_fmac_f64_e32 v[178:179], v[108:109], v[252:253]
	v_add_f64 v[174:175], v[174:175], v[178:179]
	v_mul_f64 v[178:179], v[114:115], v[240:241]
	v_fmac_f64_e32 v[178:179], v[116:117], v[244:245]
	v_add_f64 v[174:175], v[174:175], v[178:179]
	buffer_load_dword v178, off, s[0:3], 0 offset:88
	buffer_load_dword v179, off, s[0:3], 0 offset:92
	v_add_f64 v[176:177], v[176:177], 0
	v_add_f64 v[176:177], v[176:177], v[254:255]
	v_fma_f64 v[30:31], v[30:31], v[146:147], -v[32:33]
	v_mul_f64 v[28:29], v[28:29], v[196:197]
	v_add_f64 v[30:31], v[176:177], v[30:31]
	v_fma_f64 v[26:27], v[26:27], v[144:145], -v[28:29]
	v_add_f64 v[26:27], v[30:31], v[26:27]
	v_mul_f64 v[20:21], v[20:21], v[124:125]
	v_add_f64 v[22:23], v[26:27], v[22:23]
	v_fma_f64 v[18:19], v[18:19], v[142:143], -v[20:21]
	v_add_f64 v[18:19], v[22:23], v[18:19]
	;; [unrolled: 4-line block ×3, first 2 shown]
	v_mul_f64 v[4:5], v[4:5], v[130:131]
	v_add_f64 v[6:7], v[10:11], v[6:7]
	v_fma_f64 v[2:3], v[2:3], v[138:139], -v[4:5]
	v_mul_f64 v[4:5], v[40:41], v[136:137]
	v_add_f64 v[2:3], v[6:7], v[2:3]
	v_fma_f64 v[4:5], v[38:39], v[148:149], -v[4:5]
	v_add_f64 v[2:3], v[2:3], v[4:5]
	v_mul_f64 v[4:5], v[36:37], v[166:167]
	v_fma_f64 v[4:5], v[34:35], v[170:171], -v[4:5]
	v_add_f64 v[2:3], v[2:3], v[4:5]
	v_mul_f64 v[4:5], v[44:45], v[150:151]
	;; [unrolled: 3-line block ×20, first 2 shown]
	v_fma_f64 v[4:5], v[114:115], v[244:245], -v[4:5]
	v_add_f64 v[2:3], v[2:3], v[4:5]
	v_add_f64 v[2:3], v[132:133], -v[2:3]
	s_waitcnt vmcnt(0)
	v_add_f64 v[4:5], v[178:179], -v[174:175]
	buffer_store_dword v3, off, s[0:3], 0 offset:84
	buffer_store_dword v2, off, s[0:3], 0 offset:80
	;; [unrolled: 1-line block ×4, first 2 shown]
	s_and_saveexec_b64 s[4:5], vcc
	s_cbranch_execz .LBB99_223
; %bb.222:
	v_accvgpr_read_b32 v5, a101
	buffer_load_dword v2, v5, s[0:3], 0 offen
	buffer_load_dword v3, v5, s[0:3], 0 offen offset:4
	buffer_load_dword v4, v5, s[0:3], 0 offen offset:8
	s_nop 0
	buffer_load_dword v5, v5, s[0:3], 0 offen offset:12
	s_nop 0
	buffer_store_dword v180, off, s[0:3], 0 offset:64
	buffer_store_dword v180, off, s[0:3], 0 offset:68
	;; [unrolled: 1-line block ×4, first 2 shown]
	s_waitcnt vmcnt(4)
	ds_write_b128 v1, v[2:5]
.LBB99_223:
	s_or_b64 exec, exec, s[4:5]
	s_waitcnt lgkmcnt(0)
	; wave barrier
	s_waitcnt lgkmcnt(0)
	buffer_load_dword v112, off, s[0:3], 0 offset:80
	buffer_load_dword v113, off, s[0:3], 0 offset:84
	;; [unrolled: 1-line block ×36, first 2 shown]
	ds_read_b128 v[102:105], v180 offset:640
	ds_read_b128 v[106:109], v180 offset:656
	;; [unrolled: 1-line block ×9, first 2 shown]
	buffer_load_dword v123, off, s[0:3], 0 offset:252
	buffer_load_dword v122, off, s[0:3], 0 offset:248
	;; [unrolled: 1-line block ×78, first 2 shown]
	v_cmp_lt_u32_e32 vcc, 2, v0
	s_waitcnt vmcnt(62) lgkmcnt(8)
	v_mul_f64 v[26:27], v[102:103], v[174:175]
	v_fmac_f64_e32 v[26:27], v[104:105], v[112:113]
	v_add_f64 v[26:27], v[26:27], 0
	v_mul_f64 v[104:105], v[104:105], v[174:175]
	s_waitcnt lgkmcnt(7)
	v_mul_f64 v[28:29], v[106:107], v[176:177]
	v_fmac_f64_e32 v[28:29], v[108:109], v[110:111]
	s_waitcnt lgkmcnt(6)
	v_mul_f64 v[30:31], v[114:115], v[172:173]
	v_add_f64 v[26:27], v[26:27], v[28:29]
	s_waitcnt lgkmcnt(4)
	v_mul_f64 v[34:35], v[18:19], v[190:191]
	v_fma_f64 v[174:175], v[102:103], v[112:113], -v[104:105]
	v_fmac_f64_e32 v[34:35], v[20:21], v[192:193]
	v_mul_f64 v[108:109], v[108:109], v[176:177]
	v_mul_f64 v[32:33], v[22:23], v[194:195]
	v_fma_f64 v[176:177], v[106:107], v[110:111], -v[108:109]
	s_waitcnt lgkmcnt(2)
	v_mul_f64 v[38:39], v[10:11], v[196:197]
	v_add_f64 v[174:175], v[174:175], 0
	v_fmac_f64_e32 v[38:39], v[12:13], v[198:199]
	v_add_f64 v[174:175], v[174:175], v[176:177]
	v_mul_f64 v[36:37], v[14:15], v[202:203]
	v_mul_f64 v[20:21], v[20:21], v[190:191]
	s_waitcnt lgkmcnt(1)
	v_mul_f64 v[40:41], v[6:7], v[200:201]
	v_fma_f64 v[18:19], v[18:19], v[192:193], -v[20:21]
	v_fmac_f64_e32 v[30:31], v[116:117], v[254:255]
	v_add_f64 v[26:27], v[26:27], v[30:31]
	v_fmac_f64_e32 v[32:33], v[24:25], v[210:211]
	v_add_f64 v[26:27], v[26:27], v[32:33]
	;; [unrolled: 2-line block ×3, first 2 shown]
	v_add_f64 v[26:27], v[26:27], v[36:37]
	v_fmac_f64_e32 v[40:41], v[8:9], v[206:207]
	v_add_f64 v[30:31], v[26:27], v[38:39]
	ds_read_b128 v[26:29], v180 offset:784
	s_waitcnt lgkmcnt(1)
	v_mul_f64 v[32:33], v[2:3], v[204:205]
	v_add_f64 v[30:31], v[30:31], v[40:41]
	v_fmac_f64_e32 v[32:33], v[4:5], v[118:119]
	v_add_f64 v[34:35], v[30:31], v[32:33]
	ds_read_b128 v[30:33], v180 offset:800
	s_waitcnt lgkmcnt(1)
	v_mul_f64 v[36:37], v[26:27], v[126:127]
	buffer_load_dword v241, off, s[0:3], 0 offset:516
	buffer_load_dword v240, off, s[0:3], 0 offset:512
	v_fmac_f64_e32 v[36:37], v[28:29], v[128:129]
	v_add_f64 v[38:39], v[34:35], v[36:37]
	s_waitcnt lgkmcnt(0)
	v_mul_f64 v[40:41], v[30:31], v[122:123]
	ds_read_b128 v[34:37], v180 offset:816
	v_fmac_f64_e32 v[40:41], v[32:33], v[124:125]
	v_add_f64 v[42:43], v[38:39], v[40:41]
	ds_read_b128 v[38:41], v180 offset:832
	v_mul_f64 v[116:117], v[116:117], v[172:173]
	s_waitcnt lgkmcnt(1)
	v_mul_f64 v[44:45], v[34:35], v[138:139]
	v_fmac_f64_e32 v[44:45], v[36:37], v[140:141]
	v_add_f64 v[46:47], v[42:43], v[44:45]
	s_waitcnt lgkmcnt(0)
	v_mul_f64 v[48:49], v[38:39], v[130:131]
	v_fmac_f64_e32 v[48:49], v[40:41], v[132:133]
	ds_read_b128 v[42:45], v180 offset:848
	v_add_f64 v[50:51], v[46:47], v[48:49]
	ds_read_b128 v[46:49], v180 offset:864
	buffer_load_dword v243, off, s[0:3], 0 offset:572
	buffer_load_dword v245, off, s[0:3], 0 offset:556
	;; [unrolled: 1-line block ×12, first 2 shown]
	ds_read_b128 v[106:109], v180 offset:1104
	s_waitcnt vmcnt(62) lgkmcnt(2)
	v_mul_f64 v[52:53], v[42:43], v[154:155]
	v_fmac_f64_e32 v[52:53], v[44:45], v[158:159]
	v_add_f64 v[54:55], v[50:51], v[52:53]
	ds_read_b128 v[50:53], v180 offset:880
	s_waitcnt lgkmcnt(2)
	v_mul_f64 v[56:57], v[46:47], v[134:135]
	v_fmac_f64_e32 v[56:57], v[48:49], v[136:137]
	v_add_f64 v[58:59], v[54:55], v[56:57]
	ds_read_b128 v[54:57], v180 offset:896
	s_waitcnt lgkmcnt(1)
	v_mul_f64 v[60:61], v[50:51], v[162:163]
	s_waitcnt vmcnt(60)
	v_fmac_f64_e32 v[60:61], v[52:53], v[166:167]
	v_add_f64 v[62:63], v[58:59], v[60:61]
	ds_read_b128 v[58:61], v180 offset:912
	s_waitcnt lgkmcnt(1)
	v_mul_f64 v[64:65], v[54:55], v[142:143]
	v_fmac_f64_e32 v[64:65], v[56:57], v[144:145]
	v_add_f64 v[66:67], v[62:63], v[64:65]
	ds_read_b128 v[62:65], v180 offset:928
	s_waitcnt vmcnt(54) lgkmcnt(1)
	v_mul_f64 v[68:69], v[58:59], v[170:171]
	s_waitcnt vmcnt(52)
	v_fmac_f64_e32 v[68:69], v[60:61], v[214:215]
	v_add_f64 v[70:71], v[66:67], v[68:69]
	ds_read_b128 v[66:69], v180 offset:944
	s_waitcnt lgkmcnt(1)
	v_mul_f64 v[72:73], v[62:63], v[146:147]
	v_fmac_f64_e32 v[72:73], v[64:65], v[148:149]
	v_add_f64 v[74:75], v[70:71], v[72:73]
	ds_read_b128 v[70:73], v180 offset:960
	s_waitcnt vmcnt(46) lgkmcnt(1)
	;; [unrolled: 11-line block ×4, first 2 shown]
	v_mul_f64 v[92:93], v[82:83], v[230:231]
	s_waitcnt vmcnt(28)
	v_fmac_f64_e32 v[92:93], v[84:85], v[232:233]
	v_add_f64 v[98:99], v[90:91], v[92:93]
	ds_read_b128 v[90:93], v180 offset:1040
	ds_read_b128 v[94:97], v180 offset:1056
	s_waitcnt lgkmcnt(2)
	v_mul_f64 v[100:101], v[86:87], v[164:165]
	v_fmac_f64_e32 v[100:101], v[88:89], v[168:169]
	v_add_f64 v[98:99], v[98:99], v[100:101]
	s_waitcnt vmcnt(22) lgkmcnt(1)
	v_mul_f64 v[100:101], v[90:91], v[234:235]
	s_waitcnt vmcnt(20)
	v_fmac_f64_e32 v[100:101], v[92:93], v[236:237]
	v_add_f64 v[98:99], v[98:99], v[100:101]
	s_waitcnt lgkmcnt(0)
	v_mul_f64 v[100:101], v[94:95], v[212:213]
	v_fmac_f64_e32 v[100:101], v[96:97], v[216:217]
	v_add_f64 v[178:179], v[98:99], v[100:101]
	ds_read_b128 v[98:101], v180 offset:1072
	ds_read_b128 v[102:105], v180 offset:1088
	v_fma_f64 v[254:255], v[114:115], v[254:255], -v[116:117]
	ds_read_b128 v[114:117], v180 offset:1136
	v_mul_f64 v[24:25], v[24:25], v[194:195]
	s_waitcnt vmcnt(14) lgkmcnt(2)
	v_mul_f64 v[112:113], v[98:99], v[238:239]
	s_waitcnt lgkmcnt(1)
	v_mul_f64 v[110:111], v[102:103], v[220:221]
	s_waitcnt vmcnt(12)
	v_fmac_f64_e32 v[112:113], v[100:101], v[240:241]
	v_add_f64 v[112:113], v[178:179], v[112:113]
	v_fmac_f64_e32 v[110:111], v[104:105], v[224:225]
	v_add_f64 v[178:179], v[112:113], v[110:111]
	ds_read_b128 v[110:113], v180 offset:1120
	v_add_f64 v[174:175], v[174:175], v[254:255]
	v_fma_f64 v[22:23], v[22:23], v[210:211], -v[24:25]
	v_add_f64 v[22:23], v[174:175], v[22:23]
	s_waitcnt vmcnt(9)
	v_mul_f64 v[172:173], v[106:107], v[244:245]
	v_mul_f64 v[16:17], v[16:17], v[202:203]
	s_waitcnt vmcnt(7)
	v_fmac_f64_e32 v[172:173], v[108:109], v[250:251]
	v_add_f64 v[172:173], v[178:179], v[172:173]
	s_waitcnt vmcnt(6) lgkmcnt(0)
	v_mul_f64 v[178:179], v[110:111], v[242:243]
	s_waitcnt vmcnt(4)
	v_fmac_f64_e32 v[178:179], v[112:113], v[248:249]
	v_add_f64 v[172:173], v[172:173], v[178:179]
	s_waitcnt vmcnt(2)
	v_mul_f64 v[178:179], v[114:115], v[246:247]
	v_add_f64 v[18:19], v[22:23], v[18:19]
	s_waitcnt vmcnt(0)
	v_fmac_f64_e32 v[178:179], v[116:117], v[252:253]
	v_add_f64 v[172:173], v[172:173], v[178:179]
	buffer_load_dword v180, off, s[0:3], 0 offset:64
	buffer_load_dword v181, off, s[0:3], 0 offset:68
	;; [unrolled: 1-line block ×4, first 2 shown]
	v_fma_f64 v[14:15], v[14:15], v[208:209], -v[16:17]
	v_mul_f64 v[12:13], v[12:13], v[196:197]
	v_add_f64 v[14:15], v[18:19], v[14:15]
	v_fma_f64 v[10:11], v[10:11], v[198:199], -v[12:13]
	v_mul_f64 v[8:9], v[8:9], v[200:201]
	v_add_f64 v[10:11], v[14:15], v[10:11]
	;; [unrolled: 3-line block ×4, first 2 shown]
	v_fma_f64 v[4:5], v[26:27], v[128:129], -v[4:5]
	v_add_f64 v[2:3], v[2:3], v[4:5]
	v_mul_f64 v[4:5], v[32:33], v[122:123]
	v_fma_f64 v[4:5], v[30:31], v[124:125], -v[4:5]
	v_add_f64 v[2:3], v[2:3], v[4:5]
	v_mul_f64 v[4:5], v[36:37], v[138:139]
	;; [unrolled: 3-line block ×22, first 2 shown]
	v_fma_f64 v[4:5], v[114:115], v[252:253], -v[4:5]
	v_add_f64 v[2:3], v[2:3], v[4:5]
	s_waitcnt vmcnt(2)
	v_add_f64 v[2:3], v[180:181], -v[2:3]
	s_waitcnt vmcnt(0)
	v_add_f64 v[4:5], v[178:179], -v[172:173]
	buffer_store_dword v3, off, s[0:3], 0 offset:68
	buffer_store_dword v2, off, s[0:3], 0 offset:64
	buffer_store_dword v5, off, s[0:3], 0 offset:76
	buffer_store_dword v4, off, s[0:3], 0 offset:72
	s_and_saveexec_b64 s[4:5], vcc
	s_cbranch_execz .LBB99_225
; %bb.224:
	v_accvgpr_read_b32 v5, a99
	buffer_load_dword v2, v5, s[0:3], 0 offen
	buffer_load_dword v3, v5, s[0:3], 0 offen offset:4
	buffer_load_dword v4, v5, s[0:3], 0 offen offset:8
	s_nop 0
	buffer_load_dword v5, v5, s[0:3], 0 offen offset:12
	v_mov_b32_e32 v6, 0
	buffer_store_dword v6, off, s[0:3], 0 offset:48
	buffer_store_dword v6, off, s[0:3], 0 offset:52
	;; [unrolled: 1-line block ×4, first 2 shown]
	s_waitcnt vmcnt(4)
	ds_write_b128 v1, v[2:5]
.LBB99_225:
	s_or_b64 exec, exec, s[4:5]
	s_waitcnt lgkmcnt(0)
	; wave barrier
	s_waitcnt lgkmcnt(0)
	buffer_load_dword v94, off, s[0:3], 0 offset:64
	buffer_load_dword v95, off, s[0:3], 0 offset:68
	buffer_load_dword v96, off, s[0:3], 0 offset:72
	buffer_load_dword v97, off, s[0:3], 0 offset:76
	buffer_load_dword v98, off, s[0:3], 0 offset:80
	buffer_load_dword v99, off, s[0:3], 0 offset:84
	buffer_load_dword v100, off, s[0:3], 0 offset:88
	buffer_load_dword v101, off, s[0:3], 0 offset:92
	buffer_load_dword v106, off, s[0:3], 0 offset:104
	buffer_load_dword v107, off, s[0:3], 0 offset:108
	buffer_load_dword v193, off, s[0:3], 0 offset:140
	buffer_load_dword v192, off, s[0:3], 0 offset:136
	buffer_load_dword v197, off, s[0:3], 0 offset:132
	buffer_load_dword v196, off, s[0:3], 0 offset:128
	buffer_load_dword v111, off, s[0:3], 0 offset:124
	buffer_load_dword v110, off, s[0:3], 0 offset:120
	buffer_load_dword v191, off, s[0:3], 0 offset:172
	buffer_load_dword v190, off, s[0:3], 0 offset:168
	buffer_load_dword v195, off, s[0:3], 0 offset:164
	buffer_load_dword v194, off, s[0:3], 0 offset:160
	buffer_load_dword v203, off, s[0:3], 0 offset:156
	buffer_load_dword v202, off, s[0:3], 0 offset:152
	buffer_load_dword v198, off, s[0:3], 0 offset:200
	buffer_load_dword v201, off, s[0:3], 0 offset:188
	buffer_load_dword v200, off, s[0:3], 0 offset:184
	buffer_load_dword v199, off, s[0:3], 0 offset:204
	buffer_load_dword v108, off, s[0:3], 0 offset:96
	buffer_load_dword v109, off, s[0:3], 0 offset:100
	buffer_load_dword v113, off, s[0:3], 0 offset:116
	buffer_load_dword v112, off, s[0:3], 0 offset:112
	buffer_load_dword v207, off, s[0:3], 0 offset:148
	buffer_load_dword v206, off, s[0:3], 0 offset:144
	buffer_load_dword v205, off, s[0:3], 0 offset:180
	buffer_load_dword v204, off, s[0:3], 0 offset:176
	buffer_load_dword v210, off, s[0:3], 0 offset:192
	buffer_load_dword v211, off, s[0:3], 0 offset:196
	buffer_load_dword v208, off, s[0:3], 0 offset:232
	buffer_load_dword v215, off, s[0:3], 0 offset:220
	buffer_load_dword v214, off, s[0:3], 0 offset:216
	buffer_load_dword v217, off, s[0:3], 0 offset:212
	buffer_load_dword v216, off, s[0:3], 0 offset:208
	buffer_load_dword v213, off, s[0:3], 0 offset:228
	buffer_load_dword v212, off, s[0:3], 0 offset:224
	buffer_load_dword v209, off, s[0:3], 0 offset:236
	buffer_load_dword v119, off, s[0:3], 0 offset:252
	buffer_load_dword v118, off, s[0:3], 0 offset:248
	buffer_load_dword v125, off, s[0:3], 0 offset:244
	buffer_load_dword v124, off, s[0:3], 0 offset:240
	buffer_load_dword v122, off, s[0:3], 0 offset:264
	buffer_load_dword v126, off, s[0:3], 0 offset:256
	buffer_load_dword v127, off, s[0:3], 0 offset:260
	buffer_load_dword v123, off, s[0:3], 0 offset:268
	v_mov_b32_e32 v180, 0
	ds_read_b128 v[102:105], v180 offset:624
	ds_read_b128 v[114:117], v180 offset:640
	;; [unrolled: 1-line block ×10, first 2 shown]
	v_cmp_lt_u32_e32 vcc, 1, v0
	s_waitcnt vmcnt(48) lgkmcnt(9)
	v_mul_f64 v[26:27], v[102:103], v[96:97]
	v_fmac_f64_e32 v[26:27], v[104:105], v[94:95]
	v_add_f64 v[26:27], v[26:27], 0
	v_mul_f64 v[96:97], v[104:105], v[96:97]
	s_waitcnt vmcnt(44) lgkmcnt(8)
	v_mul_f64 v[28:29], v[114:115], v[100:101]
	v_fmac_f64_e32 v[28:29], v[116:117], v[98:99]
	s_waitcnt vmcnt(42) lgkmcnt(7)
	v_mul_f64 v[30:31], v[172:173], v[106:107]
	v_add_f64 v[26:27], v[26:27], v[28:29]
	s_waitcnt vmcnt(40) lgkmcnt(5)
	v_mul_f64 v[34:35], v[22:23], v[192:193]
	v_fma_f64 v[178:179], v[102:103], v[94:95], -v[96:97]
	s_waitcnt vmcnt(38)
	v_fmac_f64_e32 v[34:35], v[24:25], v[196:197]
	v_mul_f64 v[100:101], v[116:117], v[100:101]
	s_waitcnt vmcnt(36)
	v_mul_f64 v[32:33], v[182:183], v[110:111]
	v_fma_f64 v[254:255], v[114:115], v[98:99], -v[100:101]
	s_waitcnt vmcnt(34) lgkmcnt(3)
	v_mul_f64 v[38:39], v[14:15], v[190:191]
	v_mul_f64 v[106:107], v[174:175], v[106:107]
	s_waitcnt vmcnt(32)
	v_fmac_f64_e32 v[38:39], v[16:17], v[194:195]
	v_mul_f64 v[110:111], v[184:185], v[110:111]
	s_waitcnt vmcnt(30)
	v_mul_f64 v[36:37], v[18:19], v[202:203]
	v_add_f64 v[178:179], v[178:179], 0
	v_add_f64 v[254:255], v[178:179], v[254:255]
	s_waitcnt vmcnt(27) lgkmcnt(2)
	v_mul_f64 v[40:41], v[10:11], v[200:201]
	s_waitcnt vmcnt(26) lgkmcnt(1)
	v_mul_f64 v[42:43], v[6:7], v[198:199]
	v_mul_f64 v[24:25], v[24:25], v[192:193]
	s_waitcnt vmcnt(24)
	v_fmac_f64_e32 v[30:31], v[174:175], v[108:109]
	v_add_f64 v[26:27], v[26:27], v[30:31]
	s_waitcnt vmcnt(22)
	v_fmac_f64_e32 v[32:33], v[184:185], v[112:113]
	v_add_f64 v[26:27], v[26:27], v[32:33]
	;; [unrolled: 3-line block ×3, first 2 shown]
	v_add_f64 v[26:27], v[26:27], v[36:37]
	s_waitcnt vmcnt(18)
	v_fmac_f64_e32 v[40:41], v[12:13], v[204:205]
	v_add_f64 v[26:27], v[26:27], v[38:39]
	v_add_f64 v[26:27], v[26:27], v[40:41]
	s_waitcnt vmcnt(16)
	v_fmac_f64_e32 v[42:43], v[8:9], v[210:211]
	v_add_f64 v[34:35], v[26:27], v[42:43]
	ds_read_b128 v[26:29], v180 offset:784
	ds_read_b128 v[30:33], v180 offset:800
	buffer_load_dword v129, off, s[0:3], 0 offset:300
	buffer_load_dword v128, off, s[0:3], 0 offset:296
	;; [unrolled: 1-line block ×56, first 2 shown]
	s_waitcnt vmcnt(62) lgkmcnt(2)
	v_mul_f64 v[36:37], v[2:3], v[214:215]
	v_fmac_f64_e32 v[36:37], v[4:5], v[216:217]
	v_add_f64 v[34:35], v[34:35], v[36:37]
	s_waitcnt lgkmcnt(1)
	v_mul_f64 v[36:37], v[26:27], v[208:209]
	v_fmac_f64_e32 v[36:37], v[28:29], v[212:213]
	v_add_f64 v[34:35], v[34:35], v[36:37]
	s_waitcnt lgkmcnt(0)
	v_mul_f64 v[36:37], v[30:31], v[118:119]
	s_waitcnt vmcnt(60)
	v_fmac_f64_e32 v[36:37], v[32:33], v[124:125]
	v_add_f64 v[42:43], v[34:35], v[36:37]
	ds_read_b128 v[34:37], v180 offset:816
	buffer_load_dword v219, off, s[0:3], 0 offset:524
	buffer_load_dword v218, off, s[0:3], 0 offset:520
	;; [unrolled: 1-line block ×16, first 2 shown]
	ds_read_b128 v[38:41], v180 offset:832
	buffer_load_dword v241, off, s[0:3], 0 offset:588
	buffer_load_dword v240, off, s[0:3], 0 offset:584
	;; [unrolled: 1-line block ×8, first 2 shown]
	ds_read_b128 v[98:101], v180 offset:1072
	s_waitcnt vmcnt(62) lgkmcnt(2)
	v_mul_f64 v[44:45], v[34:35], v[122:123]
	v_fmac_f64_e32 v[44:45], v[36:37], v[126:127]
	v_add_f64 v[46:47], v[42:43], v[44:45]
	ds_read_b128 v[42:45], v180 offset:848
	v_fma_f64 v[174:175], v[182:183], v[112:113], -v[110:111]
	v_fma_f64 v[22:23], v[22:23], v[196:197], -v[24:25]
	v_mul_f64 v[20:21], v[20:21], v[202:203]
	v_fma_f64 v[18:19], v[18:19], v[206:207], -v[20:21]
	v_mul_f64 v[16:17], v[16:17], v[190:191]
	;; [unrolled: 2-line block ×5, first 2 shown]
	s_waitcnt lgkmcnt(2)
	v_mul_f64 v[48:49], v[38:39], v[144:145]
	v_fma_f64 v[2:3], v[2:3], v[216:217], -v[4:5]
	v_fmac_f64_e32 v[48:49], v[40:41], v[148:149]
	v_add_f64 v[50:51], v[46:47], v[48:49]
	ds_read_b128 v[46:49], v180 offset:864
	s_waitcnt lgkmcnt(1)
	v_mul_f64 v[52:53], v[42:43], v[128:129]
	v_fmac_f64_e32 v[52:53], v[44:45], v[130:131]
	v_add_f64 v[54:55], v[50:51], v[52:53]
	ds_read_b128 v[50:53], v180 offset:880
	s_waitcnt lgkmcnt(1)
	v_mul_f64 v[56:57], v[46:47], v[152:153]
	;; [unrolled: 5-line block ×3, first 2 shown]
	v_fmac_f64_e32 v[60:61], v[52:53], v[134:135]
	v_add_f64 v[62:63], v[58:59], v[60:61]
	ds_read_b128 v[58:61], v180 offset:912
	s_waitcnt vmcnt(58) lgkmcnt(1)
	v_mul_f64 v[64:65], v[54:55], v[160:161]
	s_waitcnt vmcnt(56)
	v_fmac_f64_e32 v[64:65], v[56:57], v[164:165]
	v_add_f64 v[66:67], v[62:63], v[64:65]
	ds_read_b128 v[62:65], v180 offset:928
	s_waitcnt lgkmcnt(1)
	v_mul_f64 v[68:69], v[58:59], v[136:137]
	v_fmac_f64_e32 v[68:69], v[60:61], v[138:139]
	v_add_f64 v[70:71], v[66:67], v[68:69]
	ds_read_b128 v[66:69], v180 offset:944
	s_waitcnt vmcnt(50) lgkmcnt(1)
	v_mul_f64 v[72:73], v[62:63], v[168:169]
	s_waitcnt vmcnt(48)
	v_fmac_f64_e32 v[72:73], v[64:65], v[170:171]
	v_add_f64 v[74:75], v[70:71], v[72:73]
	ds_read_b128 v[70:73], v180 offset:960
	s_waitcnt lgkmcnt(1)
	v_mul_f64 v[76:77], v[66:67], v[140:141]
	;; [unrolled: 11-line block ×3, first 2 shown]
	v_fmac_f64_e32 v[84:85], v[76:77], v[150:151]
	v_add_f64 v[90:91], v[82:83], v[84:85]
	ds_read_b128 v[82:85], v180 offset:1008
	ds_read_b128 v[86:89], v180 offset:1024
	s_waitcnt vmcnt(34) lgkmcnt(2)
	v_mul_f64 v[92:93], v[78:79], v[228:229]
	s_waitcnt vmcnt(32)
	v_fmac_f64_e32 v[92:93], v[80:81], v[234:235]
	v_add_f64 v[90:91], v[90:91], v[92:93]
	s_waitcnt lgkmcnt(1)
	v_mul_f64 v[92:93], v[82:83], v[154:155]
	v_fmac_f64_e32 v[92:93], v[84:85], v[158:159]
	v_add_f64 v[90:91], v[90:91], v[92:93]
	s_waitcnt vmcnt(27) lgkmcnt(0)
	v_mul_f64 v[92:93], v[86:87], v[232:233]
	s_waitcnt vmcnt(25)
	v_fmac_f64_e32 v[92:93], v[88:89], v[236:237]
	v_add_f64 v[176:177], v[90:91], v[92:93]
	ds_read_b128 v[90:93], v180 offset:1040
	ds_read_b128 v[94:97], v180 offset:1056
	;; [unrolled: 1-line block ×3, first 2 shown]
	v_mul_f64 v[4:5], v[28:29], v[208:209]
	v_fma_f64 v[4:5], v[26:27], v[212:213], -v[4:5]
	s_waitcnt lgkmcnt(2)
	v_mul_f64 v[102:103], v[90:91], v[162:163]
	s_waitcnt vmcnt(24)
	v_fmac_f64_e32 v[102:103], v[92:93], v[166:167]
	s_waitcnt vmcnt(18) lgkmcnt(1)
	v_mul_f64 v[104:105], v[94:95], v[238:239]
	v_add_f64 v[102:103], v[176:177], v[102:103]
	s_waitcnt vmcnt(16)
	v_fmac_f64_e32 v[104:105], v[96:97], v[242:243]
	v_add_f64 v[102:103], v[102:103], v[104:105]
	v_fma_f64 v[176:177], v[172:173], v[108:109], -v[106:107]
	ds_read_b128 v[106:109], v180 offset:1104
	v_mul_f64 v[104:105], v[98:99], v[218:219]
	v_fmac_f64_e32 v[104:105], v[100:101], v[222:223]
	v_add_f64 v[114:115], v[102:103], v[104:105]
	ds_read_b128 v[102:105], v180 offset:1088
	s_waitcnt vmcnt(10) lgkmcnt(0)
	v_mul_f64 v[116:117], v[102:103], v[246:247]
	s_waitcnt vmcnt(8)
	v_fmac_f64_e32 v[116:117], v[104:105], v[248:249]
	v_add_f64 v[114:115], v[114:115], v[116:117]
	v_mul_f64 v[116:117], v[106:107], v[226:227]
	v_fmac_f64_e32 v[116:117], v[108:109], v[230:231]
	v_add_f64 v[114:115], v[114:115], v[116:117]
	s_waitcnt vmcnt(2)
	v_mul_f64 v[116:117], v[110:111], v[250:251]
	s_waitcnt vmcnt(0)
	v_fmac_f64_e32 v[116:117], v[112:113], v[252:253]
	v_add_f64 v[172:173], v[114:115], v[116:117]
	ds_read_b128 v[114:117], v180 offset:1136
	buffer_load_dword v178, off, s[0:3], 0 offset:48
	buffer_load_dword v179, off, s[0:3], 0 offset:52
	s_waitcnt lgkmcnt(0)
	v_mul_f64 v[182:183], v[114:115], v[240:241]
	v_fmac_f64_e32 v[182:183], v[116:117], v[244:245]
	v_add_f64 v[172:173], v[172:173], v[182:183]
	v_add_f64 v[182:183], v[254:255], v[176:177]
	buffer_load_dword v176, off, s[0:3], 0 offset:56
	buffer_load_dword v177, off, s[0:3], 0 offset:60
	v_add_f64 v[174:175], v[182:183], v[174:175]
	v_add_f64 v[22:23], v[174:175], v[22:23]
	;; [unrolled: 1-line block ×8, first 2 shown]
	v_mul_f64 v[4:5], v[32:33], v[118:119]
	v_fma_f64 v[4:5], v[30:31], v[124:125], -v[4:5]
	v_add_f64 v[2:3], v[2:3], v[4:5]
	v_mul_f64 v[4:5], v[36:37], v[122:123]
	v_fma_f64 v[4:5], v[34:35], v[126:127], -v[4:5]
	v_add_f64 v[2:3], v[2:3], v[4:5]
	;; [unrolled: 3-line block ×22, first 2 shown]
	s_waitcnt vmcnt(2)
	v_add_f64 v[2:3], v[178:179], -v[2:3]
	s_waitcnt vmcnt(0)
	v_add_f64 v[4:5], v[176:177], -v[172:173]
	buffer_store_dword v3, off, s[0:3], 0 offset:52
	buffer_store_dword v2, off, s[0:3], 0 offset:48
	;; [unrolled: 1-line block ×4, first 2 shown]
	s_and_saveexec_b64 s[4:5], vcc
	s_cbranch_execz .LBB99_227
; %bb.226:
	v_accvgpr_read_b32 v5, a100
	buffer_load_dword v2, v5, s[0:3], 0 offen
	buffer_load_dword v3, v5, s[0:3], 0 offen offset:4
	buffer_load_dword v4, v5, s[0:3], 0 offen offset:8
	s_nop 0
	buffer_load_dword v5, v5, s[0:3], 0 offen offset:12
	s_nop 0
	buffer_store_dword v180, off, s[0:3], 0 offset:32
	buffer_store_dword v180, off, s[0:3], 0 offset:36
	;; [unrolled: 1-line block ×4, first 2 shown]
	s_waitcnt vmcnt(4)
	ds_write_b128 v1, v[2:5]
.LBB99_227:
	s_or_b64 exec, exec, s[4:5]
	s_waitcnt lgkmcnt(0)
	; wave barrier
	s_waitcnt lgkmcnt(0)
	buffer_load_dword v86, off, s[0:3], 0 offset:48
	buffer_load_dword v87, off, s[0:3], 0 offset:52
	;; [unrolled: 1-line block ×42, first 2 shown]
	ds_read_b128 v[94:97], v180 offset:608
	ds_read_b128 v[106:109], v180 offset:624
	;; [unrolled: 1-line block ×10, first 2 shown]
	buffer_load_dword v217, off, s[0:3], 0 offset:196
	buffer_load_dword v216, off, s[0:3], 0 offset:192
	ds_read_b128 v[6:9], v180 offset:768
	buffer_load_dword v213, off, s[0:3], 0 offset:252
	buffer_load_dword v212, off, s[0:3], 0 offset:248
	;; [unrolled: 1-line block ×80, first 2 shown]
	v_cmp_ne_u32_e32 vcc, 0, v0
	s_waitcnt vmcnt(62) lgkmcnt(10)
	v_mul_f64 v[26:27], v[94:95], v[88:89]
	v_fmac_f64_e32 v[26:27], v[96:97], v[86:87]
	v_add_f64 v[26:27], v[26:27], 0
	v_mul_f64 v[88:89], v[96:97], v[88:89]
	s_waitcnt lgkmcnt(9)
	v_mul_f64 v[28:29], v[106:107], v[92:93]
	v_fmac_f64_e32 v[28:29], v[108:109], v[90:91]
	s_waitcnt lgkmcnt(8)
	v_mul_f64 v[30:31], v[114:115], v[98:99]
	v_add_f64 v[26:27], v[26:27], v[28:29]
	s_waitcnt lgkmcnt(6)
	v_mul_f64 v[34:35], v[174:175], v[110:111]
	v_fma_f64 v[182:183], v[94:95], v[86:87], -v[88:89]
	v_fmac_f64_e32 v[34:35], v[176:177], v[112:113]
	v_mul_f64 v[92:93], v[108:109], v[92:93]
	v_mul_f64 v[32:33], v[170:171], v[102:103]
	;; [unrolled: 1-line block ×3, first 2 shown]
	s_waitcnt lgkmcnt(4)
	v_mul_f64 v[38:39], v[18:19], v[190:191]
	v_mul_f64 v[102:103], v[172:173], v[102:103]
	v_fmac_f64_e32 v[38:39], v[20:21], v[192:193]
	v_mul_f64 v[110:111], v[176:177], v[110:111]
	v_mul_f64 v[36:37], v[22:23], v[194:195]
	v_fma_f64 v[174:175], v[174:175], v[112:113], -v[110:111]
	s_waitcnt lgkmcnt(2)
	v_mul_f64 v[42:43], v[10:11], v[196:197]
	v_mul_f64 v[20:21], v[20:21], v[190:191]
	v_fma_f64 v[18:19], v[18:19], v[192:193], -v[20:21]
	v_mul_f64 v[40:41], v[14:15], v[202:203]
	s_waitcnt lgkmcnt(1)
	v_mul_f64 v[44:45], v[2:3], v[200:201]
	v_fmac_f64_e32 v[30:31], v[116:117], v[100:101]
	v_add_f64 v[26:27], v[26:27], v[30:31]
	v_fmac_f64_e32 v[32:33], v[172:173], v[104:105]
	v_add_f64 v[26:27], v[26:27], v[32:33]
	;; [unrolled: 2-line block ×3, first 2 shown]
	v_add_f64 v[26:27], v[26:27], v[36:37]
	v_fmac_f64_e32 v[40:41], v[16:17], v[204:205]
	v_add_f64 v[26:27], v[26:27], v[38:39]
	v_fmac_f64_e32 v[42:43], v[12:13], v[198:199]
	v_add_f64 v[26:27], v[26:27], v[40:41]
	v_add_f64 v[26:27], v[26:27], v[42:43]
	s_waitcnt lgkmcnt(0)
	v_mul_f64 v[32:33], v[6:7], v[208:209]
	v_fmac_f64_e32 v[44:45], v[4:5], v[216:217]
	v_add_f64 v[30:31], v[26:27], v[44:45]
	ds_read_b128 v[26:29], v180 offset:784
	v_fmac_f64_e32 v[32:33], v[8:9], v[210:211]
	v_add_f64 v[34:35], v[30:31], v[32:33]
	ds_read_b128 v[30:33], v180 offset:800
	v_fma_f64 v[184:185], v[114:115], v[100:101], -v[98:99]
	s_waitcnt lgkmcnt(1)
	v_mul_f64 v[36:37], v[26:27], v[218:219]
	v_fmac_f64_e32 v[36:37], v[28:29], v[134:135]
	v_add_f64 v[38:39], v[34:35], v[36:37]
	ds_read_b128 v[34:37], v180 offset:816
	s_waitcnt lgkmcnt(1)
	v_mul_f64 v[40:41], v[30:31], v[212:213]
	v_fmac_f64_e32 v[40:41], v[32:33], v[214:215]
	v_add_f64 v[42:43], v[38:39], v[40:41]
	ds_read_b128 v[38:41], v180 offset:832
	;; [unrolled: 5-line block ×4, first 2 shown]
	s_waitcnt vmcnt(58) lgkmcnt(1)
	v_mul_f64 v[52:53], v[42:43], v[222:223]
	s_waitcnt vmcnt(56)
	v_fmac_f64_e32 v[52:53], v[44:45], v[226:227]
	v_add_f64 v[54:55], v[50:51], v[52:53]
	ds_read_b128 v[50:53], v180 offset:880
	buffer_load_dword v158, off, s[0:3], 0 offset:568
	buffer_load_dword v163, off, s[0:3], 0 offset:556
	buffer_load_dword v162, off, s[0:3], 0 offset:552
	buffer_load_dword v165, off, s[0:3], 0 offset:548
	buffer_load_dword v164, off, s[0:3], 0 offset:544
	buffer_load_dword v160, off, s[0:3], 0 offset:560
	buffer_load_dword v159, off, s[0:3], 0 offset:572
	buffer_load_dword v161, off, s[0:3], 0 offset:564
	s_waitcnt lgkmcnt(1)
	v_mul_f64 v[56:57], v[46:47], v[124:125]
	v_fmac_f64_e32 v[56:57], v[48:49], v[126:127]
	v_add_f64 v[58:59], v[54:55], v[56:57]
	ds_read_b128 v[54:57], v180 offset:896
	buffer_load_dword v167, off, s[0:3], 0 offset:588
	buffer_load_dword v166, off, s[0:3], 0 offset:584
	;; [unrolled: 1-line block ×4, first 2 shown]
	s_waitcnt vmcnt(62) lgkmcnt(1)
	v_mul_f64 v[60:61], v[50:51], v[230:231]
	s_waitcnt vmcnt(60)
	v_fmac_f64_e32 v[60:61], v[52:53], v[234:235]
	v_add_f64 v[62:63], v[58:59], v[60:61]
	ds_read_b128 v[58:61], v180 offset:912
	s_waitcnt lgkmcnt(1)
	v_mul_f64 v[64:65], v[54:55], v[128:129]
	v_fmac_f64_e32 v[64:65], v[56:57], v[130:131]
	v_add_f64 v[66:67], v[62:63], v[64:65]
	ds_read_b128 v[62:65], v180 offset:928
	s_waitcnt vmcnt(54) lgkmcnt(1)
	v_mul_f64 v[68:69], v[58:59], v[238:239]
	s_waitcnt vmcnt(52)
	v_fmac_f64_e32 v[68:69], v[60:61], v[242:243]
	v_add_f64 v[70:71], v[66:67], v[68:69]
	ds_read_b128 v[66:69], v180 offset:944
	s_waitcnt lgkmcnt(1)
	v_mul_f64 v[72:73], v[62:63], v[132:133]
	v_fmac_f64_e32 v[72:73], v[64:65], v[136:137]
	v_add_f64 v[74:75], v[70:71], v[72:73]
	ds_read_b128 v[70:73], v180 offset:960
	s_waitcnt vmcnt(46) lgkmcnt(1)
	v_mul_f64 v[76:77], v[66:67], v[246:247]
	s_waitcnt vmcnt(44)
	v_fmac_f64_e32 v[76:77], v[68:69], v[250:251]
	v_add_f64 v[82:83], v[74:75], v[76:77]
	ds_read_b128 v[74:77], v180 offset:976
	ds_read_b128 v[78:81], v180 offset:992
	s_waitcnt lgkmcnt(2)
	v_mul_f64 v[84:85], v[70:71], v[140:141]
	v_fmac_f64_e32 v[84:85], v[72:73], v[220:221]
	v_add_f64 v[82:83], v[82:83], v[84:85]
	s_waitcnt vmcnt(38) lgkmcnt(1)
	v_mul_f64 v[84:85], v[74:75], v[254:255]
	s_waitcnt vmcnt(36)
	v_fmac_f64_e32 v[84:85], v[76:77], v[144:145]
	v_add_f64 v[82:83], v[82:83], v[84:85]
	s_waitcnt lgkmcnt(0)
	v_mul_f64 v[84:85], v[78:79], v[224:225]
	v_fmac_f64_e32 v[84:85], v[80:81], v[228:229]
	v_add_f64 v[178:179], v[82:83], v[84:85]
	ds_read_b128 v[82:85], v180 offset:1008
	ds_read_b128 v[86:89], v180 offset:1024
	;; [unrolled: 1-line block ×3, first 2 shown]
	v_fma_f64 v[172:173], v[170:171], v[104:105], -v[102:103]
	ds_read_b128 v[102:105], v180 offset:1104
	ds_read_b128 v[110:113], v180 offset:1120
	s_waitcnt vmcnt(30) lgkmcnt(4)
	v_mul_f64 v[94:95], v[82:83], v[146:147]
	s_waitcnt vmcnt(28)
	v_fmac_f64_e32 v[94:95], v[84:85], v[148:149]
	v_add_f64 v[94:95], v[178:179], v[94:95]
	v_fma_f64 v[178:179], v[106:107], v[90:91], -v[92:93]
	ds_read_b128 v[90:93], v180 offset:1040
	s_waitcnt lgkmcnt(4)
	v_mul_f64 v[96:97], v[86:87], v[232:233]
	v_fmac_f64_e32 v[96:97], v[88:89], v[236:237]
	v_add_f64 v[106:107], v[94:95], v[96:97]
	ds_read_b128 v[94:97], v180 offset:1056
	s_waitcnt vmcnt(22) lgkmcnt(1)
	v_mul_f64 v[108:109], v[90:91], v[150:151]
	s_waitcnt vmcnt(20)
	v_fmac_f64_e32 v[108:109], v[92:93], v[152:153]
	v_add_f64 v[106:107], v[106:107], v[108:109]
	v_mul_f64 v[24:25], v[24:25], v[194:195]
	s_waitcnt lgkmcnt(0)
	v_mul_f64 v[108:109], v[94:95], v[240:241]
	v_fmac_f64_e32 v[108:109], v[96:97], v[244:245]
	v_add_f64 v[114:115], v[106:107], v[108:109]
	ds_read_b128 v[106:109], v180 offset:1088
	s_waitcnt vmcnt(14)
	v_mul_f64 v[116:117], v[98:99], v[154:155]
	s_waitcnt vmcnt(12)
	v_fmac_f64_e32 v[116:117], v[100:101], v[156:157]
	v_add_f64 v[114:115], v[114:115], v[116:117]
	v_fma_f64 v[22:23], v[22:23], v[206:207], -v[24:25]
	s_waitcnt lgkmcnt(0)
	v_mul_f64 v[116:117], v[106:107], v[248:249]
	v_fmac_f64_e32 v[116:117], v[108:109], v[252:253]
	v_add_f64 v[114:115], v[114:115], v[116:117]
	v_mul_f64 v[16:17], v[16:17], v[202:203]
	v_fma_f64 v[14:15], v[14:15], v[204:205], -v[16:17]
	v_mul_f64 v[12:13], v[12:13], v[196:197]
	v_fma_f64 v[10:11], v[10:11], v[198:199], -v[12:13]
	;; [unrolled: 2-line block ×4, first 2 shown]
	s_waitcnt vmcnt(9)
	v_mul_f64 v[116:117], v[102:103], v[162:163]
	s_waitcnt vmcnt(7)
	v_fmac_f64_e32 v[116:117], v[104:105], v[164:165]
	v_add_f64 v[114:115], v[114:115], v[116:117]
	s_waitcnt vmcnt(5)
	v_mul_f64 v[116:117], v[110:111], v[158:159]
	s_waitcnt vmcnt(4)
	v_fmac_f64_e32 v[116:117], v[112:113], v[160:161]
	v_add_f64 v[170:171], v[114:115], v[116:117]
	ds_read_b128 v[114:117], v180 offset:1136
	s_waitcnt vmcnt(2) lgkmcnt(0)
	v_mul_f64 v[176:177], v[114:115], v[166:167]
	s_waitcnt vmcnt(0)
	v_fmac_f64_e32 v[176:177], v[116:117], v[168:169]
	v_add_f64 v[170:171], v[170:171], v[176:177]
	v_add_f64 v[176:177], v[182:183], 0
	;; [unrolled: 1-line block ×3, first 2 shown]
	buffer_load_dword v180, off, s[0:3], 0 offset:32
	buffer_load_dword v181, off, s[0:3], 0 offset:36
	;; [unrolled: 1-line block ×4, first 2 shown]
	v_add_f64 v[176:177], v[176:177], v[184:185]
	v_add_f64 v[172:173], v[176:177], v[172:173]
	;; [unrolled: 1-line block ×9, first 2 shown]
	v_mul_f64 v[4:5], v[28:29], v[218:219]
	v_fma_f64 v[4:5], v[26:27], v[134:135], -v[4:5]
	v_add_f64 v[2:3], v[2:3], v[4:5]
	v_mul_f64 v[4:5], v[32:33], v[212:213]
	v_fma_f64 v[4:5], v[30:31], v[214:215], -v[4:5]
	v_add_f64 v[2:3], v[2:3], v[4:5]
	;; [unrolled: 3-line block ×23, first 2 shown]
	s_waitcnt vmcnt(2)
	v_add_f64 v[2:3], v[180:181], -v[2:3]
	s_waitcnt vmcnt(0)
	v_add_f64 v[4:5], v[178:179], -v[170:171]
	buffer_store_dword v3, off, s[0:3], 0 offset:36
	buffer_store_dword v2, off, s[0:3], 0 offset:32
	;; [unrolled: 1-line block ×4, first 2 shown]
	s_and_saveexec_b64 s[4:5], vcc
	s_cbranch_execz .LBB99_229
; %bb.228:
	buffer_load_dword v2, off, s[0:3], 0 offset:16
	buffer_load_dword v3, off, s[0:3], 0 offset:20
	;; [unrolled: 1-line block ×4, first 2 shown]
	v_mov_b32_e32 v0, 0
	buffer_store_dword v0, off, s[0:3], 0 offset:16
	buffer_store_dword v0, off, s[0:3], 0 offset:20
	;; [unrolled: 1-line block ×4, first 2 shown]
	s_waitcnt vmcnt(4)
	ds_write_b128 v1, v[2:5]
.LBB99_229:
	s_or_b64 exec, exec, s[4:5]
	s_waitcnt lgkmcnt(0)
	; wave barrier
	s_waitcnt lgkmcnt(0)
	buffer_load_dword v76, off, s[0:3], 0 offset:32
	buffer_load_dword v77, off, s[0:3], 0 offset:36
	;; [unrolled: 1-line block ×54, first 2 shown]
	v_mov_b32_e32 v186, 0
	ds_read_b128 v[80:83], v186 offset:592
	ds_read_b128 v[92:95], v186 offset:608
	;; [unrolled: 1-line block ×9, first 2 shown]
	buffer_load_dword v219, off, s[0:3], 0 offset:260
	buffer_load_dword v218, off, s[0:3], 0 offset:256
	;; [unrolled: 1-line block ×62, first 2 shown]
	s_and_b64 vcc, exec, s[16:17]
	s_waitcnt vmcnt(62) lgkmcnt(8)
	v_mul_f64 v[12:13], v[80:81], v[78:79]
	v_fmac_f64_e32 v[12:13], v[82:83], v[76:77]
	v_add_f64 v[12:13], v[12:13], 0
	v_mul_f64 v[78:79], v[82:83], v[78:79]
	s_waitcnt lgkmcnt(7)
	v_mul_f64 v[14:15], v[92:93], v[86:87]
	v_fmac_f64_e32 v[14:15], v[94:95], v[84:85]
	s_waitcnt lgkmcnt(6)
	v_mul_f64 v[16:17], v[104:105], v[88:89]
	v_add_f64 v[12:13], v[12:13], v[14:15]
	s_waitcnt lgkmcnt(4)
	v_mul_f64 v[20:21], v[168:169], v[100:101]
	v_fma_f64 v[180:181], v[80:81], v[76:77], -v[78:79]
	v_fmac_f64_e32 v[20:21], v[170:171], v[102:103]
	v_mul_f64 v[86:87], v[94:95], v[86:87]
	v_mul_f64 v[18:19], v[112:113], v[96:97]
	v_fma_f64 v[182:183], v[92:93], v[84:85], -v[86:87]
	s_waitcnt lgkmcnt(2)
	v_mul_f64 v[24:25], v[8:9], v[116:117]
	v_mul_f64 v[88:89], v[106:107], v[88:89]
	v_fmac_f64_e32 v[24:25], v[10:11], v[190:191]
	v_mul_f64 v[96:97], v[114:115], v[96:97]
	v_mul_f64 v[22:23], v[176:177], v[108:109]
	;; [unrolled: 1-line block ×3, first 2 shown]
	s_waitcnt lgkmcnt(1)
	v_mul_f64 v[26:27], v[4:5], v[192:193]
	v_fma_f64 v[170:171], v[168:169], v[102:103], -v[100:101]
	v_fmac_f64_e32 v[16:17], v[106:107], v[90:91]
	v_add_f64 v[12:13], v[12:13], v[16:17]
	v_fmac_f64_e32 v[18:19], v[114:115], v[98:99]
	v_add_f64 v[12:13], v[12:13], v[18:19]
	;; [unrolled: 2-line block ×3, first 2 shown]
	v_add_f64 v[12:13], v[12:13], v[22:23]
	v_fmac_f64_e32 v[26:27], v[6:7], v[196:197]
	v_add_f64 v[12:13], v[12:13], v[24:25]
	v_add_f64 v[16:17], v[12:13], v[26:27]
	s_waitcnt lgkmcnt(0)
	v_mul_f64 v[18:19], v[0:1], v[194:195]
	ds_read_b128 v[12:15], v186 offset:736
	v_fmac_f64_e32 v[18:19], v[2:3], v[198:199]
	v_add_f64 v[20:21], v[16:17], v[18:19]
	ds_read_b128 v[16:19], v186 offset:752
	v_fma_f64 v[184:185], v[104:105], v[90:91], -v[88:89]
	s_waitcnt lgkmcnt(1)
	v_mul_f64 v[22:23], v[12:13], v[204:205]
	v_fmac_f64_e32 v[22:23], v[14:15], v[206:207]
	v_add_f64 v[24:25], v[20:21], v[22:23]
	s_waitcnt lgkmcnt(0)
	v_mul_f64 v[26:27], v[16:17], v[200:201]
	ds_read_b128 v[20:23], v186 offset:768
	v_fmac_f64_e32 v[26:27], v[18:19], v[202:203]
	v_add_f64 v[28:29], v[24:25], v[26:27]
	ds_read_b128 v[24:27], v186 offset:784
	v_mul_f64 v[108:109], v[178:179], v[108:109]
	s_waitcnt lgkmcnt(1)
	v_mul_f64 v[30:31], v[20:21], v[214:215]
	v_fmac_f64_e32 v[30:31], v[22:23], v[216:217]
	v_add_f64 v[32:33], v[28:29], v[30:31]
	s_waitcnt lgkmcnt(0)
	v_mul_f64 v[34:35], v[24:25], v[208:209]
	ds_read_b128 v[28:31], v186 offset:800
	v_fmac_f64_e32 v[34:35], v[26:27], v[210:211]
	v_add_f64 v[36:37], v[32:33], v[34:35]
	ds_read_b128 v[32:35], v186 offset:816
	v_mul_f64 v[10:11], v[10:11], v[116:117]
	s_waitcnt vmcnt(58) lgkmcnt(1)
	v_mul_f64 v[38:39], v[28:29], v[232:233]
	s_waitcnt vmcnt(56)
	v_fmac_f64_e32 v[38:39], v[30:31], v[236:237]
	v_add_f64 v[40:41], v[36:37], v[38:39]
	s_waitcnt lgkmcnt(0)
	v_mul_f64 v[42:43], v[32:33], v[212:213]
	ds_read_b128 v[36:39], v186 offset:832
	v_fmac_f64_e32 v[42:43], v[34:35], v[218:219]
	v_add_f64 v[44:45], v[40:41], v[42:43]
	ds_read_b128 v[40:43], v186 offset:848
	v_fma_f64 v[8:9], v[8:9], v[190:191], -v[10:11]
	s_waitcnt vmcnt(50) lgkmcnt(1)
	v_mul_f64 v[46:47], v[36:37], v[240:241]
	s_waitcnt vmcnt(48)
	v_fmac_f64_e32 v[46:47], v[38:39], v[244:245]
	v_add_f64 v[48:49], v[44:45], v[46:47]
	s_waitcnt lgkmcnt(0)
	v_mul_f64 v[50:51], v[40:41], v[220:221]
	v_fmac_f64_e32 v[50:51], v[42:43], v[222:223]
	ds_read_b128 v[44:47], v186 offset:864
	v_add_f64 v[52:53], v[48:49], v[50:51]
	ds_read_b128 v[48:51], v186 offset:880
	buffer_load_dword v145, off, s[0:3], 0 offset:508
	buffer_load_dword v144, off, s[0:3], 0 offset:504
	;; [unrolled: 1-line block ×8, first 2 shown]
	s_waitcnt vmcnt(50) lgkmcnt(1)
	v_mul_f64 v[54:55], v[44:45], v[248:249]
	s_waitcnt vmcnt(48)
	v_fmac_f64_e32 v[54:55], v[46:47], v[252:253]
	v_add_f64 v[56:57], v[52:53], v[54:55]
	ds_read_b128 v[52:55], v186 offset:896
	buffer_load_dword v149, off, s[0:3], 0 offset:556
	buffer_load_dword v155, off, s[0:3], 0 offset:540
	;; [unrolled: 1-line block ×12, first 2 shown]
	s_waitcnt lgkmcnt(1)
	v_mul_f64 v[58:59], v[48:49], v[224:225]
	v_fmac_f64_e32 v[58:59], v[50:51], v[226:227]
	v_add_f64 v[60:61], v[56:57], v[58:59]
	ds_read_b128 v[56:59], v186 offset:912
	buffer_load_dword v164, off, s[0:3], 0 offset:584
	buffer_load_dword v166, off, s[0:3], 0 offset:576
	;; [unrolled: 1-line block ×4, first 2 shown]
	s_waitcnt vmcnt(58) lgkmcnt(1)
	v_mul_f64 v[62:63], v[52:53], v[118:119]
	s_waitcnt vmcnt(56)
	v_fmac_f64_e32 v[62:63], v[54:55], v[124:125]
	v_add_f64 v[64:65], v[60:61], v[62:63]
	s_waitcnt lgkmcnt(0)
	v_mul_f64 v[66:67], v[56:57], v[228:229]
	ds_read_b128 v[60:63], v186 offset:928
	v_fmac_f64_e32 v[66:67], v[58:59], v[230:231]
	v_add_f64 v[68:69], v[64:65], v[66:67]
	ds_read_b128 v[64:67], v186 offset:944
	ds_read_b128 v[76:79], v186 offset:992
	;; [unrolled: 1-line block ×3, first 2 shown]
	s_waitcnt vmcnt(50) lgkmcnt(3)
	v_mul_f64 v[70:71], v[60:61], v[128:129]
	s_waitcnt vmcnt(48)
	v_fmac_f64_e32 v[70:71], v[62:63], v[130:131]
	s_waitcnt lgkmcnt(2)
	v_mul_f64 v[74:75], v[64:65], v[234:235]
	v_add_f64 v[72:73], v[68:69], v[70:71]
	ds_read_b128 v[68:71], v186 offset:960
	v_fmac_f64_e32 v[74:75], v[66:67], v[238:239]
	v_add_f64 v[172:173], v[72:73], v[74:75]
	ds_read_b128 v[72:75], v186 offset:976
	ds_read_b128 v[88:91], v186 offset:1040
	s_waitcnt vmcnt(42) lgkmcnt(2)
	v_mul_f64 v[174:175], v[68:69], v[132:133]
	s_waitcnt vmcnt(40)
	v_fmac_f64_e32 v[174:175], v[70:71], v[134:135]
	v_add_f64 v[80:81], v[172:173], v[174:175]
	s_waitcnt lgkmcnt(1)
	v_mul_f64 v[82:83], v[72:73], v[242:243]
	v_fmac_f64_e32 v[82:83], v[74:75], v[246:247]
	v_add_f64 v[80:81], v[80:81], v[82:83]
	s_waitcnt vmcnt(34)
	v_mul_f64 v[82:83], v[76:77], v[136:137]
	s_waitcnt vmcnt(32)
	v_fmac_f64_e32 v[82:83], v[78:79], v[138:139]
	v_add_f64 v[172:173], v[80:81], v[82:83]
	ds_read_b128 v[80:83], v186 offset:1008
	s_waitcnt vmcnt(26)
	v_mul_f64 v[94:95], v[84:85], v[140:141]
	s_waitcnt vmcnt(24)
	v_fmac_f64_e32 v[94:95], v[86:87], v[142:143]
	v_fma_f64 v[174:175], v[112:113], v[98:99], -v[96:97]
	ds_read_b128 v[96:99], v186 offset:1072
	s_waitcnt lgkmcnt(1)
	v_mul_f64 v[92:93], v[80:81], v[250:251]
	v_fmac_f64_e32 v[92:93], v[82:83], v[254:255]
	v_add_f64 v[92:93], v[172:173], v[92:93]
	v_add_f64 v[92:93], v[92:93], v[94:95]
	v_mul_f64 v[94:95], v[88:89], v[122:123]
	v_fmac_f64_e32 v[94:95], v[90:91], v[126:127]
	v_add_f64 v[104:105], v[92:93], v[94:95]
	ds_read_b128 v[92:95], v186 offset:1056
	ds_read_b128 v[100:103], v186 offset:1088
	v_fma_f64 v[172:173], v[176:177], v[110:111], -v[108:109]
	ds_read_b128 v[108:111], v186 offset:1120
	v_mul_f64 v[6:7], v[6:7], v[192:193]
	v_fma_f64 v[4:5], v[4:5], v[196:197], -v[6:7]
	v_mul_f64 v[2:3], v[2:3], v[194:195]
	v_fma_f64 v[0:1], v[0:1], v[198:199], -v[2:3]
	;; [unrolled: 2-line block ×3, first 2 shown]
	s_waitcnt vmcnt(22) lgkmcnt(2)
	v_mul_f64 v[106:107], v[92:93], v[144:145]
	s_waitcnt vmcnt(20)
	v_fmac_f64_e32 v[106:107], v[94:95], v[146:147]
	v_add_f64 v[104:105], v[104:105], v[106:107]
	s_waitcnt vmcnt(18)
	v_mul_f64 v[106:107], v[96:97], v[150:151]
	s_waitcnt vmcnt(16)
	v_fmac_f64_e32 v[106:107], v[98:99], v[152:153]
	v_add_f64 v[112:113], v[104:105], v[106:107]
	ds_read_b128 v[104:107], v186 offset:1104
	s_waitcnt vmcnt(13) lgkmcnt(2)
	v_mul_f64 v[114:115], v[100:101], v[154:155]
	s_waitcnt vmcnt(11)
	v_fmac_f64_e32 v[114:115], v[102:103], v[160:161]
	v_add_f64 v[112:113], v[112:113], v[114:115]
	s_waitcnt vmcnt(10) lgkmcnt(0)
	v_mul_f64 v[114:115], v[104:105], v[148:149]
	s_waitcnt vmcnt(8)
	v_fmac_f64_e32 v[114:115], v[106:107], v[158:159]
	v_add_f64 v[112:113], v[112:113], v[114:115]
	s_waitcnt vmcnt(6)
	v_mul_f64 v[114:115], v[108:109], v[156:157]
	s_waitcnt vmcnt(4)
	v_fmac_f64_e32 v[114:115], v[110:111], v[162:163]
	v_add_f64 v[168:169], v[112:113], v[114:115]
	ds_read_b128 v[112:115], v186 offset:1136
	buffer_load_dword v178, off, s[0:3], 0 offset:16
	buffer_load_dword v179, off, s[0:3], 0 offset:20
	s_waitcnt vmcnt(3) lgkmcnt(0)
	v_mul_f64 v[176:177], v[112:113], v[164:165]
	s_waitcnt vmcnt(2)
	v_fmac_f64_e32 v[176:177], v[114:115], v[166:167]
	v_add_f64 v[168:169], v[168:169], v[176:177]
	v_add_f64 v[176:177], v[180:181], 0
	v_add_f64 v[176:177], v[176:177], v[182:183]
	v_add_f64 v[176:177], v[176:177], v[184:185]
	v_add_f64 v[176:177], v[176:177], v[174:175]
	buffer_load_dword v174, off, s[0:3], 0 offset:24
	buffer_load_dword v175, off, s[0:3], 0 offset:28
	v_add_f64 v[170:171], v[176:177], v[170:171]
	v_add_f64 v[170:171], v[170:171], v[172:173]
	;; [unrolled: 1-line block ×6, first 2 shown]
	v_mul_f64 v[2:3], v[18:19], v[200:201]
	v_fma_f64 v[2:3], v[16:17], v[202:203], -v[2:3]
	v_add_f64 v[0:1], v[0:1], v[2:3]
	v_mul_f64 v[2:3], v[22:23], v[214:215]
	v_fma_f64 v[2:3], v[20:21], v[216:217], -v[2:3]
	v_add_f64 v[0:1], v[0:1], v[2:3]
	;; [unrolled: 3-line block ×25, first 2 shown]
	s_waitcnt vmcnt(2)
	v_add_f64 v[0:1], v[178:179], -v[0:1]
	s_waitcnt vmcnt(0)
	v_add_f64 v[2:3], v[174:175], -v[168:169]
	buffer_store_dword v1, off, s[0:3], 0 offset:20
	buffer_store_dword v0, off, s[0:3], 0 offset:16
	;; [unrolled: 1-line block ×4, first 2 shown]
	s_cbranch_vccz .LBB99_301
; %bb.230:
	v_pk_mov_b32 v[0:1], s[10:11], s[10:11] op_sel:[0,1]
	flat_load_dword v0, v[0:1] offset:136
	s_waitcnt vmcnt(0) lgkmcnt(0)
	v_add_u32_e32 v0, -1, v0
	v_cmp_ne_u32_e32 vcc, 34, v0
	s_and_saveexec_b64 s[4:5], vcc
	s_cbranch_execz .LBB99_232
; %bb.231:
	v_mov_b32_e32 v1, 16
	v_accvgpr_read_b32 v9, a68
	v_lshl_add_u32 v0, v0, 4, v1
	buffer_load_dword v1, v9, s[0:3], 0 offen offset:4
	buffer_load_dword v2, v9, s[0:3], 0 offen offset:8
	buffer_load_dword v3, v9, s[0:3], 0 offen offset:12
	buffer_load_dword v4, v0, s[0:3], 0 offen
	buffer_load_dword v5, v0, s[0:3], 0 offen offset:4
	buffer_load_dword v6, v0, s[0:3], 0 offen offset:8
	buffer_load_dword v7, v0, s[0:3], 0 offen offset:12
	buffer_load_dword v8, v9, s[0:3], 0 offen
	s_waitcnt vmcnt(4)
	buffer_store_dword v4, v9, s[0:3], 0 offen
	s_waitcnt vmcnt(4)
	buffer_store_dword v5, v9, s[0:3], 0 offen offset:4
	s_waitcnt vmcnt(4)
	buffer_store_dword v6, v9, s[0:3], 0 offen offset:8
	s_waitcnt vmcnt(4)
	buffer_store_dword v7, v9, s[0:3], 0 offen offset:12
	buffer_store_dword v3, v0, s[0:3], 0 offen offset:12
	buffer_store_dword v2, v0, s[0:3], 0 offen offset:8
	buffer_store_dword v1, v0, s[0:3], 0 offen offset:4
	s_waitcnt vmcnt(7)
	buffer_store_dword v8, v0, s[0:3], 0 offen
.LBB99_232:
	s_or_b64 exec, exec, s[4:5]
	v_pk_mov_b32 v[0:1], s[10:11], s[10:11] op_sel:[0,1]
	flat_load_dword v0, v[0:1] offset:132
	s_waitcnt vmcnt(0) lgkmcnt(0)
	v_add_u32_e32 v0, -1, v0
	v_cmp_ne_u32_e32 vcc, 33, v0
	s_and_saveexec_b64 s[4:5], vcc
	s_cbranch_execz .LBB99_234
; %bb.233:
	v_mov_b32_e32 v1, 16
	v_accvgpr_read_b32 v9, a69
	v_lshl_add_u32 v0, v0, 4, v1
	buffer_load_dword v1, v9, s[0:3], 0 offen offset:4
	buffer_load_dword v2, v9, s[0:3], 0 offen offset:8
	buffer_load_dword v3, v9, s[0:3], 0 offen offset:12
	buffer_load_dword v4, v0, s[0:3], 0 offen
	buffer_load_dword v5, v0, s[0:3], 0 offen offset:4
	buffer_load_dword v6, v0, s[0:3], 0 offen offset:8
	buffer_load_dword v7, v0, s[0:3], 0 offen offset:12
	buffer_load_dword v8, v9, s[0:3], 0 offen
	s_waitcnt vmcnt(4)
	buffer_store_dword v4, v9, s[0:3], 0 offen
	s_waitcnt vmcnt(4)
	buffer_store_dword v5, v9, s[0:3], 0 offen offset:4
	s_waitcnt vmcnt(4)
	buffer_store_dword v6, v9, s[0:3], 0 offen offset:8
	s_waitcnt vmcnt(4)
	buffer_store_dword v7, v9, s[0:3], 0 offen offset:12
	buffer_store_dword v3, v0, s[0:3], 0 offen offset:12
	buffer_store_dword v2, v0, s[0:3], 0 offen offset:8
	buffer_store_dword v1, v0, s[0:3], 0 offen offset:4
	s_waitcnt vmcnt(7)
	buffer_store_dword v8, v0, s[0:3], 0 offen
.LBB99_234:
	s_or_b64 exec, exec, s[4:5]
	;; [unrolled: 34-line block ×34, first 2 shown]
	v_pk_mov_b32 v[0:1], s[10:11], s[10:11] op_sel:[0,1]
	flat_load_dword v0, v[0:1]
	s_waitcnt vmcnt(0) lgkmcnt(0)
	v_add_u32_e32 v0, -1, v0
	v_cmp_ne_u32_e32 vcc, 0, v0
	s_and_saveexec_b64 s[4:5], vcc
	s_cbranch_execz .LBB99_300
; %bb.299:
	v_mov_b32_e32 v1, 16
	v_lshl_add_u32 v0, v0, 4, v1
	buffer_load_dword v1, v0, s[0:3], 0 offen
	buffer_load_dword v2, v0, s[0:3], 0 offen offset:4
	buffer_load_dword v3, v0, s[0:3], 0 offen offset:8
	;; [unrolled: 1-line block ×3, first 2 shown]
	buffer_load_dword v5, off, s[0:3], 0 offset:28
	buffer_load_dword v6, off, s[0:3], 0 offset:24
	;; [unrolled: 1-line block ×4, first 2 shown]
	s_waitcnt vmcnt(7)
	buffer_store_dword v1, off, s[0:3], 0 offset:16
	s_waitcnt vmcnt(7)
	buffer_store_dword v2, off, s[0:3], 0 offset:20
	;; [unrolled: 2-line block ×4, first 2 shown]
	s_waitcnt vmcnt(7)
	buffer_store_dword v5, v0, s[0:3], 0 offen offset:12
	s_waitcnt vmcnt(7)
	buffer_store_dword v6, v0, s[0:3], 0 offen offset:8
	;; [unrolled: 2-line block ×3, first 2 shown]
	s_waitcnt vmcnt(7)
	buffer_store_dword v8, v0, s[0:3], 0 offen
.LBB99_300:
	s_or_b64 exec, exec, s[4:5]
.LBB99_301:
	buffer_load_dword v0, off, s[0:3], 0 offset:16
	buffer_load_dword v1, off, s[0:3], 0 offset:20
	;; [unrolled: 1-line block ×4, first 2 shown]
	v_accvgpr_read_b32 v20, a100
	buffer_load_dword v5, v20, s[0:3], 0 offen offset:4
	buffer_load_dword v6, v20, s[0:3], 0 offen offset:8
	buffer_load_dword v7, v20, s[0:3], 0 offen offset:12
	v_accvgpr_read_b32 v19, a99
	buffer_load_dword v8, v19, s[0:3], 0 offen
	buffer_load_dword v9, v19, s[0:3], 0 offen offset:4
	buffer_load_dword v10, v19, s[0:3], 0 offen offset:8
	buffer_load_dword v4, v20, s[0:3], 0 offen
	buffer_load_dword v11, v19, s[0:3], 0 offen offset:12
	v_accvgpr_read_b32 v21, a101
	buffer_load_dword v13, v21, s[0:3], 0 offen offset:4
	buffer_load_dword v14, v21, s[0:3], 0 offen offset:8
	;; [unrolled: 1-line block ×3, first 2 shown]
	v_accvgpr_read_b32 v25, a98
	buffer_load_dword v16, v25, s[0:3], 0 offen
	buffer_load_dword v17, v25, s[0:3], 0 offen offset:4
	buffer_load_dword v18, v25, s[0:3], 0 offen offset:8
	buffer_load_dword v12, v21, s[0:3], 0 offen
                                        ; kill: killed $vgpr20
                                        ; kill: killed $vgpr21
                                        ; kill: killed $vgpr19
	buffer_load_dword v19, v25, s[0:3], 0 offen offset:12
	v_accvgpr_read_b32 v20, a97
	buffer_load_dword v21, v20, s[0:3], 0 offen offset:4
	buffer_load_dword v22, v20, s[0:3], 0 offen offset:8
	;; [unrolled: 1-line block ×3, first 2 shown]
	v_accvgpr_read_b32 v27, a96
	buffer_load_dword v24, v27, s[0:3], 0 offen
                                        ; kill: killed $vgpr25
	buffer_load_dword v25, v27, s[0:3], 0 offen offset:4
	buffer_load_dword v26, v27, s[0:3], 0 offen offset:8
	s_nop 0
	buffer_load_dword v20, v20, s[0:3], 0 offen
	s_nop 0
	buffer_load_dword v27, v27, s[0:3], 0 offen offset:12
	v_accvgpr_read_b32 v28, a95
	buffer_load_dword v29, v28, s[0:3], 0 offen offset:4
	buffer_load_dword v30, v28, s[0:3], 0 offen offset:8
	buffer_load_dword v31, v28, s[0:3], 0 offen offset:12
	v_accvgpr_read_b32 v35, a94
	buffer_load_dword v32, v35, s[0:3], 0 offen
	buffer_load_dword v33, v35, s[0:3], 0 offen offset:4
	buffer_load_dword v34, v35, s[0:3], 0 offen offset:8
	s_nop 0
	buffer_load_dword v28, v28, s[0:3], 0 offen
	s_nop 0
	buffer_load_dword v35, v35, s[0:3], 0 offen offset:12
	v_accvgpr_read_b32 v36, a93
	buffer_load_dword v37, v36, s[0:3], 0 offen offset:4
	buffer_load_dword v38, v36, s[0:3], 0 offen offset:8
	buffer_load_dword v39, v36, s[0:3], 0 offen offset:12
	v_accvgpr_read_b32 v43, a92
	buffer_load_dword v40, v43, s[0:3], 0 offen
	;; [unrolled: 12-line block ×14, first 2 shown]
	buffer_load_dword v139, v141, s[0:3], 0 offen offset:4
	buffer_load_dword v140, v141, s[0:3], 0 offen offset:8
	s_nop 0
	buffer_load_dword v134, v134, s[0:3], 0 offen
	s_nop 0
	buffer_load_dword v141, v141, s[0:3], 0 offen offset:12
	s_nop 0
	buffer_load_dword v142, v187, s[0:3], 0 offen
	buffer_load_dword v143, v187, s[0:3], 0 offen offset:4
	buffer_load_dword v144, v187, s[0:3], 0 offen offset:8
	;; [unrolled: 1-line block ×3, first 2 shown]
	s_waitcnt vmcnt(62)
	global_store_dwordx4 v[120:121], v[0:3], off
	s_nop 0
	v_accvgpr_read_b32 v0, a2
	v_accvgpr_read_b32 v1, a3
	global_store_dwordx4 v[0:1], v[4:7], off
	v_accvgpr_read_b32 v0, a0
	v_accvgpr_read_b32 v1, a1
	global_store_dwordx4 v[0:1], v[8:11], off
	;; [unrolled: 3-line block ×18, first 2 shown]
	v_accvgpr_read_b32 v0, a38
	v_accvgpr_read_b32 v1, a39
	s_waitcnt vmcnt(62)
	global_store_dwordx4 v[0:1], v[76:79], off
	v_accvgpr_read_b32 v0, a40
	v_accvgpr_read_b32 v1, a41
	global_store_dwordx4 v[0:1], v[80:83], off
	v_accvgpr_read_b32 v0, a42
	v_accvgpr_read_b32 v1, a43
	;; [unrolled: 3-line block ×6, first 2 shown]
	s_waitcnt vmcnt(62)
	global_store_dwordx4 v[0:1], v[100:103], off
	v_accvgpr_read_b32 v0, a52
	v_accvgpr_read_b32 v1, a53
	s_waitcnt vmcnt(62)
	global_store_dwordx4 v[0:1], v[104:107], off
	v_accvgpr_read_b32 v0, a54
	v_accvgpr_read_b32 v1, a55
	;; [unrolled: 4-line block ×8, first 2 shown]
	s_waitcnt vmcnt(38)
	global_store_dwordx4 v[0:1], v[134:137], off
	s_waitcnt vmcnt(38)
	global_store_dwordx4 v[188:189], v[138:141], off
	v_accvgpr_read_b32 v0, a26
	v_accvgpr_read_b32 v1, a27
	s_waitcnt vmcnt(35)
	global_store_dwordx4 v[0:1], v[142:145], off
	s_endpgm
	.section	.rodata,"a",@progbits
	.p2align	6, 0x0
	.amdhsa_kernel _ZN9rocsolver6v33100L18getri_kernel_smallILi36E19rocblas_complex_numIdEPKPS3_EEvT1_iilPiilS8_bb
		.amdhsa_group_segment_fixed_size 1160
		.amdhsa_private_segment_fixed_size 608
		.amdhsa_kernarg_size 60
		.amdhsa_user_sgpr_count 8
		.amdhsa_user_sgpr_private_segment_buffer 1
		.amdhsa_user_sgpr_dispatch_ptr 0
		.amdhsa_user_sgpr_queue_ptr 0
		.amdhsa_user_sgpr_kernarg_segment_ptr 1
		.amdhsa_user_sgpr_dispatch_id 0
		.amdhsa_user_sgpr_flat_scratch_init 1
		.amdhsa_user_sgpr_kernarg_preload_length 0
		.amdhsa_user_sgpr_kernarg_preload_offset 0
		.amdhsa_user_sgpr_private_segment_size 0
		.amdhsa_uses_dynamic_stack 0
		.amdhsa_system_sgpr_private_segment_wavefront_offset 1
		.amdhsa_system_sgpr_workgroup_id_x 1
		.amdhsa_system_sgpr_workgroup_id_y 0
		.amdhsa_system_sgpr_workgroup_id_z 0
		.amdhsa_system_sgpr_workgroup_info 0
		.amdhsa_system_vgpr_workitem_id 0
		.amdhsa_next_free_vgpr 358
		.amdhsa_next_free_sgpr 22
		.amdhsa_accum_offset 256
		.amdhsa_reserve_vcc 1
		.amdhsa_reserve_flat_scratch 1
		.amdhsa_float_round_mode_32 0
		.amdhsa_float_round_mode_16_64 0
		.amdhsa_float_denorm_mode_32 3
		.amdhsa_float_denorm_mode_16_64 3
		.amdhsa_dx10_clamp 1
		.amdhsa_ieee_mode 1
		.amdhsa_fp16_overflow 0
		.amdhsa_tg_split 0
		.amdhsa_exception_fp_ieee_invalid_op 0
		.amdhsa_exception_fp_denorm_src 0
		.amdhsa_exception_fp_ieee_div_zero 0
		.amdhsa_exception_fp_ieee_overflow 0
		.amdhsa_exception_fp_ieee_underflow 0
		.amdhsa_exception_fp_ieee_inexact 0
		.amdhsa_exception_int_div_zero 0
	.end_amdhsa_kernel
	.section	.text._ZN9rocsolver6v33100L18getri_kernel_smallILi36E19rocblas_complex_numIdEPKPS3_EEvT1_iilPiilS8_bb,"axG",@progbits,_ZN9rocsolver6v33100L18getri_kernel_smallILi36E19rocblas_complex_numIdEPKPS3_EEvT1_iilPiilS8_bb,comdat
.Lfunc_end99:
	.size	_ZN9rocsolver6v33100L18getri_kernel_smallILi36E19rocblas_complex_numIdEPKPS3_EEvT1_iilPiilS8_bb, .Lfunc_end99-_ZN9rocsolver6v33100L18getri_kernel_smallILi36E19rocblas_complex_numIdEPKPS3_EEvT1_iilPiilS8_bb
                                        ; -- End function
	.section	.AMDGPU.csdata,"",@progbits
; Kernel info:
; codeLenInByte = 89176
; NumSgprs: 28
; NumVgprs: 256
; NumAgprs: 102
; TotalNumVgprs: 358
; ScratchSize: 608
; MemoryBound: 0
; FloatMode: 240
; IeeeMode: 1
; LDSByteSize: 1160 bytes/workgroup (compile time only)
; SGPRBlocks: 3
; VGPRBlocks: 44
; NumSGPRsForWavesPerEU: 28
; NumVGPRsForWavesPerEU: 358
; AccumOffset: 256
; Occupancy: 1
; WaveLimiterHint : 1
; COMPUTE_PGM_RSRC2:SCRATCH_EN: 1
; COMPUTE_PGM_RSRC2:USER_SGPR: 8
; COMPUTE_PGM_RSRC2:TRAP_HANDLER: 0
; COMPUTE_PGM_RSRC2:TGID_X_EN: 1
; COMPUTE_PGM_RSRC2:TGID_Y_EN: 0
; COMPUTE_PGM_RSRC2:TGID_Z_EN: 0
; COMPUTE_PGM_RSRC2:TIDIG_COMP_CNT: 0
; COMPUTE_PGM_RSRC3_GFX90A:ACCUM_OFFSET: 63
; COMPUTE_PGM_RSRC3_GFX90A:TG_SPLIT: 0
	.section	.text._ZN9rocsolver6v33100L18getri_kernel_smallILi37E19rocblas_complex_numIdEPKPS3_EEvT1_iilPiilS8_bb,"axG",@progbits,_ZN9rocsolver6v33100L18getri_kernel_smallILi37E19rocblas_complex_numIdEPKPS3_EEvT1_iilPiilS8_bb,comdat
	.globl	_ZN9rocsolver6v33100L18getri_kernel_smallILi37E19rocblas_complex_numIdEPKPS3_EEvT1_iilPiilS8_bb ; -- Begin function _ZN9rocsolver6v33100L18getri_kernel_smallILi37E19rocblas_complex_numIdEPKPS3_EEvT1_iilPiilS8_bb
	.p2align	8
	.type	_ZN9rocsolver6v33100L18getri_kernel_smallILi37E19rocblas_complex_numIdEPKPS3_EEvT1_iilPiilS8_bb,@function
_ZN9rocsolver6v33100L18getri_kernel_smallILi37E19rocblas_complex_numIdEPKPS3_EEvT1_iilPiilS8_bb: ; @_ZN9rocsolver6v33100L18getri_kernel_smallILi37E19rocblas_complex_numIdEPKPS3_EEvT1_iilPiilS8_bb
; %bb.0:
	s_add_u32 flat_scratch_lo, s6, s9
	s_addc_u32 flat_scratch_hi, s7, 0
	s_add_u32 s0, s0, s9
	s_addc_u32 s1, s1, 0
	v_cmp_gt_u32_e32 vcc, 37, v0
	s_and_saveexec_b64 s[6:7], vcc
	s_cbranch_execz .LBB100_162
; %bb.1:
	s_load_dword s18, s[4:5], 0x38
	s_load_dwordx2 s[6:7], s[4:5], 0x0
	s_load_dwordx4 s[12:15], s[4:5], 0x28
	s_waitcnt lgkmcnt(0)
	s_bitcmp1_b32 s18, 8
	s_cselect_b64 s[16:17], -1, 0
	s_ashr_i32 s9, s8, 31
	s_lshl_b64 s[10:11], s[8:9], 3
	s_add_u32 s6, s6, s10
	s_addc_u32 s7, s7, s11
	s_load_dwordx2 s[6:7], s[6:7], 0x0
	s_bfe_u32 s10, s18, 0x10008
	s_cmp_eq_u32 s10, 0
                                        ; implicit-def: $sgpr10_sgpr11
	s_cbranch_scc1 .LBB100_3
; %bb.2:
	s_load_dword s10, s[4:5], 0x20
	s_load_dwordx2 s[20:21], s[4:5], 0x18
	s_mul_i32 s11, s8, s13
	s_mul_hi_u32 s13, s8, s12
	s_add_i32 s13, s13, s11
	s_mul_i32 s19, s9, s12
	s_add_i32 s13, s13, s19
	s_mul_i32 s12, s8, s12
	s_waitcnt lgkmcnt(0)
	s_ashr_i32 s11, s10, 31
	s_lshl_b64 s[12:13], s[12:13], 2
	s_add_u32 s12, s20, s12
	s_addc_u32 s13, s21, s13
	s_lshl_b64 s[10:11], s[10:11], 2
	s_add_u32 s10, s12, s10
	s_addc_u32 s11, s13, s11
.LBB100_3:
	s_load_dwordx2 s[4:5], s[4:5], 0x8
	v_lshlrev_b32_e32 v1, 4, v0
	s_waitcnt lgkmcnt(0)
	s_ashr_i32 s13, s4, 31
	s_mov_b32 s12, s4
	s_lshl_b64 s[12:13], s[12:13], 4
	s_add_u32 s6, s6, s12
	s_addc_u32 s7, s7, s13
	v_mov_b32_e32 v2, s7
	v_add_co_u32_e32 v118, vcc, s6, v1
	s_ashr_i32 s13, s5, 31
	s_mov_b32 s12, s5
	v_addc_co_u32_e32 v119, vcc, 0, v2, vcc
	s_lshl_b64 s[12:13], s[12:13], 4
	v_mov_b32_e32 v2, s13
	v_add_co_u32_e32 v10, vcc, s12, v118
	s_add_i32 s4, s5, s5
	v_addc_co_u32_e32 v11, vcc, v119, v2, vcc
	v_add_u32_e32 v2, s4, v0
	v_ashrrev_i32_e32 v3, 31, v2
	v_lshlrev_b64 v[4:5], 4, v[2:3]
	v_mov_b32_e32 v3, s7
	v_add_co_u32_e32 v4, vcc, s6, v4
	v_add_u32_e32 v2, s5, v2
	v_addc_co_u32_e32 v5, vcc, v3, v5, vcc
	v_accvgpr_write_b32 a2, v4
	v_ashrrev_i32_e32 v3, 31, v2
	v_accvgpr_write_b32 a3, v5
	global_load_dwordx4 v[14:17], v[4:5], off
	v_lshlrev_b64 v[4:5], 4, v[2:3]
	v_mov_b32_e32 v3, s7
	v_add_co_u32_e32 v20, vcc, s6, v4
	v_add_u32_e32 v2, s5, v2
	v_addc_co_u32_e32 v21, vcc, v3, v5, vcc
	v_ashrrev_i32_e32 v3, 31, v2
	v_add_u32_e32 v4, s5, v2
	v_lshlrev_b64 v[2:3], 4, v[2:3]
	v_mov_b32_e32 v18, s7
	v_ashrrev_i32_e32 v5, 31, v4
	v_add_co_u32_e32 v22, vcc, s6, v2
	v_add_u32_e32 v26, s5, v4
	v_addc_co_u32_e32 v23, vcc, v18, v3, vcc
	v_lshlrev_b64 v[2:3], 4, v[4:5]
	v_mov_b32_e32 v28, s7
	v_ashrrev_i32_e32 v27, 31, v26
	v_add_co_u32_e32 v30, vcc, s6, v2
	v_add_u32_e32 v4, s5, v26
	v_addc_co_u32_e32 v31, vcc, v28, v3, vcc
	v_lshlrev_b64 v[2:3], 4, v[26:27]
	v_mov_b32_e32 v29, s7
	v_ashrrev_i32_e32 v5, 31, v4
	v_add_co_u32_e32 v32, vcc, s6, v2
	v_add_u32_e32 v42, s5, v4
	v_addc_co_u32_e32 v33, vcc, v29, v3, vcc
	v_lshlrev_b64 v[2:3], 4, v[4:5]
	v_mov_b32_e32 v34, s7
	v_ashrrev_i32_e32 v43, 31, v42
	v_add_co_u32_e32 v36, vcc, s6, v2
	v_addc_co_u32_e32 v37, vcc, v34, v3, vcc
	v_lshlrev_b64 v[2:3], 4, v[42:43]
	v_mov_b32_e32 v4, s7
	v_add_co_u32_e32 v2, vcc, s6, v2
	v_addc_co_u32_e32 v3, vcc, v4, v3, vcc
	v_accvgpr_write_b32 a15, v3
	global_load_dwordx4 v[6:9], v1, s[6:7]
	global_load_dwordx4 v[38:41], v[2:3], off
	v_accvgpr_write_b32 a14, v2
	v_add_u32_e32 v2, s5, v42
	v_ashrrev_i32_e32 v3, 31, v2
	v_lshlrev_b64 v[4:5], 4, v[2:3]
	v_mov_b32_e32 v3, s7
	v_add_co_u32_e32 v42, vcc, s6, v4
	v_add_u32_e32 v2, s5, v2
	v_addc_co_u32_e32 v43, vcc, v3, v5, vcc
	v_ashrrev_i32_e32 v3, 31, v2
	v_lshlrev_b64 v[4:5], 4, v[2:3]
	v_mov_b32_e32 v3, s7
	v_add_co_u32_e32 v4, vcc, s6, v4
	v_addc_co_u32_e32 v5, vcc, v3, v5, vcc
	v_add_u32_e32 v2, s5, v2
	v_accvgpr_write_b32 a4, v20
	v_accvgpr_write_b32 a19, v5
	v_ashrrev_i32_e32 v3, 31, v2
	v_accvgpr_write_b32 a5, v21
	global_load_dwordx4 v[18:21], v[20:21], off
	v_accvgpr_write_b32 a18, v4
	global_load_dwordx4 v[46:49], v[4:5], off
	v_lshlrev_b64 v[4:5], 4, v[2:3]
	v_mov_b32_e32 v3, s7
	v_add_co_u32_e32 v50, vcc, s6, v4
	v_add_u32_e32 v2, s5, v2
	v_addc_co_u32_e32 v51, vcc, v3, v5, vcc
	v_ashrrev_i32_e32 v3, 31, v2
	v_lshlrev_b64 v[4:5], 4, v[2:3]
	v_mov_b32_e32 v3, s7
	v_add_co_u32_e32 v4, vcc, s6, v4
	v_addc_co_u32_e32 v5, vcc, v3, v5, vcc
	v_add_u32_e32 v2, s5, v2
	v_accvgpr_write_b32 a6, v22
	v_accvgpr_write_b32 a23, v5
	v_ashrrev_i32_e32 v3, 31, v2
	v_accvgpr_write_b32 a7, v23
	global_load_dwordx4 v[22:25], v[22:23], off
	v_accvgpr_write_b32 a22, v4
	global_load_dwordx4 v[54:57], v[4:5], off
	v_lshlrev_b64 v[4:5], 4, v[2:3]
	v_accvgpr_write_b32 a0, v10
	v_mov_b32_e32 v3, s7
	v_add_co_u32_e32 v58, vcc, s6, v4
	v_accvgpr_write_b32 a1, v11
	global_load_dwordx4 v[10:13], v[10:11], off
	v_accvgpr_write_b32 a20, v50
	v_addc_co_u32_e32 v59, vcc, v3, v5, vcc
	v_add_u32_e32 v2, s5, v2
	v_accvgpr_write_b32 a24, v58
	v_accvgpr_write_b32 a21, v51
	global_load_dwordx4 v[50:53], v[50:51], off
	v_ashrrev_i32_e32 v3, 31, v2
	v_accvgpr_write_b32 a25, v59
	global_load_dwordx4 v[58:61], v[58:59], off
	v_lshlrev_b64 v[4:5], 4, v[2:3]
	v_mov_b32_e32 v3, s7
	v_add_co_u32_e32 v4, vcc, s6, v4
	v_addc_co_u32_e32 v5, vcc, v3, v5, vcc
	v_add_u32_e32 v2, s5, v2
	global_load_dwordx4 v[26:29], v[30:31], off
	global_load_dwordx4 v[62:65], v[4:5], off
	v_accvgpr_write_b32 a27, v5
	v_ashrrev_i32_e32 v3, 31, v2
	v_accvgpr_write_b32 a26, v4
	v_lshlrev_b64 v[4:5], 4, v[2:3]
	v_mov_b32_e32 v3, s7
	v_add_co_u32_e32 v4, vcc, s6, v4
	v_add_u32_e32 v70, s5, v2
	v_accvgpr_write_b32 a8, v30
	v_accvgpr_write_b32 a10, v32
	v_addc_co_u32_e32 v5, vcc, v3, v5, vcc
	v_ashrrev_i32_e32 v71, 31, v70
	v_accvgpr_write_b32 a9, v31
	v_accvgpr_write_b32 a11, v33
	global_load_dwordx4 v[30:33], v[32:33], off
	v_accvgpr_write_b32 a29, v5
	global_load_dwordx4 v[66:69], v[4:5], off
	v_lshlrev_b64 v[2:3], 4, v[70:71]
	v_accvgpr_write_b32 a28, v4
	v_mov_b32_e32 v4, s7
	v_add_co_u32_e32 v2, vcc, s6, v2
	v_addc_co_u32_e32 v3, vcc, v4, v3, vcc
	v_accvgpr_write_b32 a31, v3
	v_accvgpr_write_b32 a30, v2
	global_load_dwordx4 v[2:5], v[2:3], off
	v_accvgpr_write_b32 a12, v36
	v_accvgpr_write_b32 a13, v37
	global_load_dwordx4 v[34:37], v[36:37], off
	;; [unrolled: 3-line block ×3, first 2 shown]
	s_waitcnt vmcnt(15)
	buffer_store_dword v9, off, s[0:3], 0 offset:28
	buffer_store_dword v8, off, s[0:3], 0 offset:24
	buffer_store_dword v7, off, s[0:3], 0 offset:20
	buffer_store_dword v6, off, s[0:3], 0 offset:16
	s_waitcnt vmcnt(13)
	buffer_store_dword v13, off, s[0:3], 0 offset:44
	buffer_store_dword v12, off, s[0:3], 0 offset:40
	;; [unrolled: 1-line block ×16, first 2 shown]
	s_waitcnt vmcnt(26)
	buffer_store_dword v29, off, s[0:3], 0 offset:108
	buffer_store_dword v28, off, s[0:3], 0 offset:104
	buffer_store_dword v27, off, s[0:3], 0 offset:100
	buffer_store_dword v26, off, s[0:3], 0 offset:96
	s_waitcnt vmcnt(28)
	buffer_store_dword v33, off, s[0:3], 0 offset:124
	buffer_store_dword v32, off, s[0:3], 0 offset:120
	buffer_store_dword v31, off, s[0:3], 0 offset:116
	buffer_store_dword v30, off, s[0:3], 0 offset:112
	;; [unrolled: 5-line block ×3, first 2 shown]
	buffer_store_dword v41, off, s[0:3], 0 offset:156
	buffer_store_dword v40, off, s[0:3], 0 offset:152
	;; [unrolled: 1-line block ×4, first 2 shown]
	s_waitcnt vmcnt(36)
	buffer_store_dword v42, off, s[0:3], 0 offset:160
	buffer_store_dword v43, off, s[0:3], 0 offset:164
	;; [unrolled: 1-line block ×16, first 2 shown]
	v_add_u32_e32 v6, s5, v70
	v_ashrrev_i32_e32 v7, 31, v6
	v_lshlrev_b64 v[8:9], 4, v[6:7]
	v_add_u32_e32 v14, s5, v6
	v_mov_b32_e32 v7, s7
	v_add_co_u32_e32 v8, vcc, s6, v8
	v_ashrrev_i32_e32 v15, 31, v14
	v_addc_co_u32_e32 v9, vcc, v7, v9, vcc
	v_lshlrev_b64 v[6:7], 4, v[14:15]
	buffer_store_dword v61, off, s[0:3], 0 offset:236
	buffer_store_dword v60, off, s[0:3], 0 offset:232
	;; [unrolled: 1-line block ×13, first 2 shown]
	v_mov_b32_e32 v5, s7
	v_add_co_u32_e32 v10, vcc, s6, v6
	v_accvgpr_write_b32 a33, v9
	v_addc_co_u32_e32 v11, vcc, v5, v7, vcc
	v_accvgpr_write_b32 a32, v8
	global_load_dwordx4 v[6:9], v[8:9], off
	v_add_u32_e32 v14, s5, v14
	v_accvgpr_write_b32 a35, v11
	v_ashrrev_i32_e32 v15, 31, v14
	v_accvgpr_write_b32 a34, v10
	global_load_dwordx4 v[10:13], v[10:11], off
	v_lshlrev_b64 v[16:17], 4, v[14:15]
	v_add_u32_e32 v22, s5, v14
	v_add_co_u32_e32 v16, vcc, s6, v16
	v_ashrrev_i32_e32 v23, 31, v22
	v_addc_co_u32_e32 v17, vcc, v5, v17, vcc
	v_lshlrev_b64 v[14:15], 4, v[22:23]
	v_add_co_u32_e32 v18, vcc, s6, v14
	v_accvgpr_write_b32 a37, v17
	v_addc_co_u32_e32 v19, vcc, v5, v15, vcc
	v_accvgpr_write_b32 a36, v16
	global_load_dwordx4 v[14:17], v[16:17], off
	v_add_u32_e32 v22, s5, v22
	v_accvgpr_write_b32 a39, v19
	v_ashrrev_i32_e32 v23, 31, v22
	v_accvgpr_write_b32 a38, v18
	global_load_dwordx4 v[18:21], v[18:19], off
	v_lshlrev_b64 v[24:25], 4, v[22:23]
	v_add_u32_e32 v30, s5, v22
	v_add_co_u32_e32 v24, vcc, s6, v24
	v_ashrrev_i32_e32 v31, 31, v30
	v_addc_co_u32_e32 v25, vcc, v5, v25, vcc
	v_lshlrev_b64 v[22:23], 4, v[30:31]
	;; [unrolled: 16-line block ×8, first 2 shown]
	v_add_co_u32_e32 v74, vcc, s6, v70
	v_accvgpr_write_b32 a64, v72
	v_addc_co_u32_e32 v75, vcc, v5, v71, vcc
	v_accvgpr_write_b32 a65, v73
	global_load_dwordx4 v[70:73], v[72:73], off
	v_accvgpr_write_b32 a66, v74
	v_add_u32_e32 v78, s5, v78
	v_accvgpr_write_b32 a67, v75
	global_load_dwordx4 v[74:77], v[74:75], off
	v_ashrrev_i32_e32 v79, 31, v78
	v_lshlrev_b64 v[80:81], 4, v[78:79]
	v_add_co_u32_e32 v80, vcc, s6, v80
	v_add_u32_e32 v78, s5, v78
	v_addc_co_u32_e32 v81, vcc, v5, v81, vcc
	v_ashrrev_i32_e32 v79, 31, v78
	v_accvgpr_write_b32 a68, v80
	v_lshlrev_b64 v[82:83], 4, v[78:79]
	v_accvgpr_write_b32 a69, v81
	global_load_dwordx4 v[78:81], v[80:81], off
	v_add_co_u32_e32 v82, vcc, s6, v82
	v_addc_co_u32_e32 v83, vcc, v5, v83, vcc
	v_accvgpr_write_b32 a70, v82
	v_accvgpr_write_b32 a71, v83
	global_load_dwordx4 v[82:85], v[82:83], off
	s_nop 0
	buffer_store_dword v4, off, s[0:3], 0 offset:280
	buffer_store_dword v3, off, s[0:3], 0 offset:276
	buffer_store_dword v2, off, s[0:3], 0 offset:272
	s_waitcnt vmcnt(22)
	buffer_store_dword v9, off, s[0:3], 0 offset:300
	buffer_store_dword v8, off, s[0:3], 0 offset:296
	buffer_store_dword v7, off, s[0:3], 0 offset:292
	buffer_store_dword v6, off, s[0:3], 0 offset:288
	s_waitcnt vmcnt(25)
	buffer_store_dword v13, off, s[0:3], 0 offset:316
	;; [unrolled: 5-line block ×15, first 2 shown]
	buffer_store_dword v64, off, s[0:3], 0 offset:520
	buffer_store_dword v63, off, s[0:3], 0 offset:516
	;; [unrolled: 1-line block ×11, first 2 shown]
	s_waitcnt vmcnt(62)
	buffer_store_dword v77, off, s[0:3], 0 offset:572
	buffer_store_dword v76, off, s[0:3], 0 offset:568
	;; [unrolled: 1-line block ×12, first 2 shown]
	v_mov_b32_e32 v2, 16
	v_add_u32_e32 v3, 16, v2
	v_accvgpr_write_b32 a105, v3
	v_add_u32_e32 v3, 32, v2
	v_accvgpr_write_b32 a107, v3
	;; [unrolled: 2-line block ×34, first 2 shown]
	v_add_u32_e32 v3, 0x230, v2
	v_add_u32_e32 v2, 0x240, v2
	v_accvgpr_write_b32 a73, v3
	v_accvgpr_write_b32 a72, v2
	s_bitcmp0_b32 s18, 0
	s_mov_b64 s[6:7], -1
	s_cbranch_scc1 .LBB100_160
; %bb.4:
	v_cmp_eq_u32_e64 s[4:5], 0, v0
	s_and_saveexec_b64 s[6:7], s[4:5]
	s_cbranch_execz .LBB100_6
; %bb.5:
	v_mov_b32_e32 v2, 0
	ds_write_b32 v2, v2 offset:1184
.LBB100_6:
	s_or_b64 exec, exec, s[6:7]
	v_mov_b32_e32 v2, 16
	v_lshl_add_u32 v12, v0, 4, v2
	s_waitcnt lgkmcnt(0)
	; wave barrier
	s_waitcnt lgkmcnt(0)
	buffer_load_dword v2, v12, s[0:3], 0 offen
	buffer_load_dword v3, v12, s[0:3], 0 offen offset:4
	buffer_load_dword v4, v12, s[0:3], 0 offen offset:8
	;; [unrolled: 1-line block ×3, first 2 shown]
	s_waitcnt vmcnt(2)
	v_cmp_eq_f64_e32 vcc, 0, v[2:3]
	s_waitcnt vmcnt(0)
	v_cmp_eq_f64_e64 s[6:7], 0, v[4:5]
	s_and_b64 s[6:7], vcc, s[6:7]
	s_and_saveexec_b64 s[12:13], s[6:7]
	s_cbranch_execz .LBB100_10
; %bb.7:
	v_mov_b32_e32 v2, 0
	ds_read_b32 v4, v2 offset:1184
	v_add_u32_e32 v3, 1, v0
	s_waitcnt lgkmcnt(0)
	v_readfirstlane_b32 s6, v4
	s_cmp_eq_u32 s6, 0
	s_cselect_b64 s[18:19], -1, 0
	v_cmp_gt_i32_e32 vcc, s6, v3
	s_or_b64 s[18:19], s[18:19], vcc
	s_and_b64 exec, exec, s[18:19]
	s_cbranch_execz .LBB100_10
; %bb.8:
	s_mov_b64 s[18:19], 0
	v_mov_b32_e32 v4, s6
.LBB100_9:                              ; =>This Inner Loop Header: Depth=1
	ds_cmpst_rtn_b32 v4, v2, v4, v3 offset:1184
	s_waitcnt lgkmcnt(0)
	v_cmp_ne_u32_e32 vcc, 0, v4
	v_cmp_le_i32_e64 s[6:7], v4, v3
	s_and_b64 s[6:7], vcc, s[6:7]
	s_and_b64 s[6:7], exec, s[6:7]
	s_or_b64 s[18:19], s[6:7], s[18:19]
	s_andn2_b64 exec, exec, s[18:19]
	s_cbranch_execnz .LBB100_9
.LBB100_10:
	s_or_b64 exec, exec, s[12:13]
	v_mov_b32_e32 v3, 0
	s_waitcnt lgkmcnt(0)
	; wave barrier
	ds_read_b32 v2, v3 offset:1184
	s_and_saveexec_b64 s[6:7], s[4:5]
	s_cbranch_execz .LBB100_12
; %bb.11:
	s_lshl_b64 s[12:13], s[8:9], 2
	s_add_u32 s12, s14, s12
	s_addc_u32 s13, s15, s13
	s_waitcnt lgkmcnt(0)
	global_store_dword v3, v2, s[12:13]
.LBB100_12:
	s_or_b64 exec, exec, s[6:7]
	s_waitcnt lgkmcnt(0)
	v_cmp_ne_u32_e32 vcc, 0, v2
	s_mov_b64 s[6:7], 0
	s_cbranch_vccnz .LBB100_160
; %bb.13:
	buffer_load_dword v7, v12, s[0:3], 0 offen offset:4
	buffer_load_dword v6, v12, s[0:3], 0 offen
	buffer_load_dword v9, v12, s[0:3], 0 offen offset:12
	buffer_load_dword v8, v12, s[0:3], 0 offen offset:8
                                        ; implicit-def: $vgpr10_vgpr11
	s_waitcnt vmcnt(3)
	v_xor_b32_e32 v3, 0x80000000, v7
	s_waitcnt vmcnt(2)
	v_cmp_gt_f64_e32 vcc, 0, v[6:7]
	s_waitcnt vmcnt(1)
	v_xor_b32_e32 v4, 0x80000000, v9
	v_cndmask_b32_e32 v3, v7, v3, vcc
	s_waitcnt vmcnt(0)
	v_cmp_gt_f64_e32 vcc, 0, v[8:9]
	v_mov_b32_e32 v2, v6
	v_cndmask_b32_e32 v5, v9, v4, vcc
	v_mov_b32_e32 v4, v8
	v_cmp_ngt_f64_e32 vcc, v[2:3], v[4:5]
                                        ; implicit-def: $vgpr4_vgpr5
	s_and_saveexec_b64 s[6:7], vcc
	s_xor_b64 s[6:7], exec, s[6:7]
	s_cbranch_execz .LBB100_15
; %bb.14:
	v_div_scale_f64 v[2:3], s[12:13], v[8:9], v[8:9], v[6:7]
	v_rcp_f64_e32 v[4:5], v[2:3]
	v_div_scale_f64 v[10:11], vcc, v[6:7], v[8:9], v[6:7]
	v_fma_f64 v[14:15], -v[2:3], v[4:5], 1.0
	v_fmac_f64_e32 v[4:5], v[4:5], v[14:15]
	v_fma_f64 v[14:15], -v[2:3], v[4:5], 1.0
	v_fmac_f64_e32 v[4:5], v[4:5], v[14:15]
	v_mul_f64 v[14:15], v[10:11], v[4:5]
	v_fma_f64 v[2:3], -v[2:3], v[14:15], v[10:11]
	v_div_fmas_f64 v[2:3], v[2:3], v[4:5], v[14:15]
	v_div_fixup_f64 v[2:3], v[2:3], v[8:9], v[6:7]
	v_fmac_f64_e32 v[8:9], v[6:7], v[2:3]
	v_div_scale_f64 v[4:5], s[12:13], v[8:9], v[8:9], 1.0
	v_rcp_f64_e32 v[6:7], v[4:5]
	v_fma_f64 v[10:11], -v[4:5], v[6:7], 1.0
	v_fmac_f64_e32 v[6:7], v[6:7], v[10:11]
	v_fma_f64 v[10:11], -v[4:5], v[6:7], 1.0
	v_fmac_f64_e32 v[6:7], v[6:7], v[10:11]
	v_div_scale_f64 v[10:11], vcc, 1.0, v[8:9], 1.0
	v_mul_f64 v[14:15], v[10:11], v[6:7]
	v_fma_f64 v[4:5], -v[4:5], v[14:15], v[10:11]
	s_nop 1
	v_div_fmas_f64 v[4:5], v[4:5], v[6:7], v[14:15]
	v_div_fixup_f64 v[4:5], v[4:5], v[8:9], 1.0
	v_mul_f64 v[10:11], v[2:3], v[4:5]
	v_xor_b32_e32 v5, 0x80000000, v5
	v_xor_b32_e32 v3, 0x80000000, v11
	v_mov_b32_e32 v2, v10
                                        ; implicit-def: $vgpr6_vgpr7
                                        ; implicit-def: $vgpr8_vgpr9
.LBB100_15:
	s_andn2_saveexec_b64 s[6:7], s[6:7]
	s_cbranch_execz .LBB100_17
; %bb.16:
	v_div_scale_f64 v[2:3], s[12:13], v[6:7], v[6:7], v[8:9]
	v_rcp_f64_e32 v[4:5], v[2:3]
	v_div_scale_f64 v[10:11], vcc, v[8:9], v[6:7], v[8:9]
	v_fma_f64 v[14:15], -v[2:3], v[4:5], 1.0
	v_fmac_f64_e32 v[4:5], v[4:5], v[14:15]
	v_fma_f64 v[14:15], -v[2:3], v[4:5], 1.0
	v_fmac_f64_e32 v[4:5], v[4:5], v[14:15]
	v_mul_f64 v[14:15], v[10:11], v[4:5]
	v_fma_f64 v[2:3], -v[2:3], v[14:15], v[10:11]
	v_div_fmas_f64 v[2:3], v[2:3], v[4:5], v[14:15]
	v_div_fixup_f64 v[4:5], v[2:3], v[6:7], v[8:9]
	v_fmac_f64_e32 v[6:7], v[8:9], v[4:5]
	v_div_scale_f64 v[2:3], s[12:13], v[6:7], v[6:7], 1.0
	v_rcp_f64_e32 v[8:9], v[2:3]
	v_fma_f64 v[10:11], -v[2:3], v[8:9], 1.0
	v_fmac_f64_e32 v[8:9], v[8:9], v[10:11]
	v_fma_f64 v[10:11], -v[2:3], v[8:9], 1.0
	v_fmac_f64_e32 v[8:9], v[8:9], v[10:11]
	v_div_scale_f64 v[10:11], vcc, 1.0, v[6:7], 1.0
	v_mul_f64 v[14:15], v[10:11], v[8:9]
	v_fma_f64 v[2:3], -v[2:3], v[14:15], v[10:11]
	s_nop 1
	v_div_fmas_f64 v[2:3], v[2:3], v[8:9], v[14:15]
	v_div_fixup_f64 v[10:11], v[2:3], v[6:7], 1.0
	v_xor_b32_e32 v3, 0x80000000, v11
	v_mov_b32_e32 v2, v10
	v_mul_f64 v[4:5], v[4:5], -v[10:11]
.LBB100_17:
	s_or_b64 exec, exec, s[6:7]
	buffer_store_dword v11, v12, s[0:3], 0 offen offset:4
	buffer_store_dword v10, v12, s[0:3], 0 offen
	buffer_store_dword v5, v12, s[0:3], 0 offen offset:12
	buffer_store_dword v4, v12, s[0:3], 0 offen offset:8
	v_accvgpr_read_b32 v6, a105
	buffer_load_dword v11, v6, s[0:3], 0 offen offset:12
	buffer_load_dword v10, v6, s[0:3], 0 offen offset:8
	;; [unrolled: 1-line block ×3, first 2 shown]
	buffer_load_dword v8, v6, s[0:3], 0 offen
	v_xor_b32_e32 v5, 0x80000000, v5
	v_add_u32_e32 v6, 0x250, v1
	ds_write_b128 v1, v[2:5]
	s_waitcnt vmcnt(0)
	ds_write_b128 v1, v[8:11] offset:592
	s_waitcnt lgkmcnt(0)
	; wave barrier
	s_waitcnt lgkmcnt(0)
	s_and_saveexec_b64 s[6:7], s[4:5]
	s_cbranch_execz .LBB100_19
; %bb.18:
	ds_read_b128 v[2:5], v6
	buffer_load_dword v8, v12, s[0:3], 0 offen
	buffer_load_dword v9, v12, s[0:3], 0 offen offset:4
	buffer_load_dword v10, v12, s[0:3], 0 offen offset:8
	;; [unrolled: 1-line block ×3, first 2 shown]
	s_waitcnt vmcnt(0) lgkmcnt(0)
	v_mul_f64 v[14:15], v[4:5], v[10:11]
	v_fma_f64 v[14:15], v[2:3], v[8:9], -v[14:15]
	v_mul_f64 v[2:3], v[2:3], v[10:11]
	v_fmac_f64_e32 v[2:3], v[4:5], v[8:9]
	v_add_f64 v[10:11], v[2:3], 0
	v_mov_b32_e32 v2, 0
	ds_read_b128 v[2:5], v2 offset:16
	v_add_f64 v[8:9], v[14:15], 0
	s_waitcnt lgkmcnt(0)
	v_mul_f64 v[14:15], v[10:11], v[4:5]
	v_fma_f64 v[14:15], v[8:9], v[2:3], -v[14:15]
	v_mul_f64 v[4:5], v[8:9], v[4:5]
	v_fmac_f64_e32 v[4:5], v[10:11], v[2:3]
	buffer_store_dword v14, off, s[0:3], 0 offset:32
	buffer_store_dword v15, off, s[0:3], 0 offset:36
	;; [unrolled: 1-line block ×4, first 2 shown]
.LBB100_19:
	s_or_b64 exec, exec, s[6:7]
	v_accvgpr_read_b32 v5, a107
	s_waitcnt lgkmcnt(0)
	; wave barrier
	buffer_load_dword v2, v5, s[0:3], 0 offen
	buffer_load_dword v3, v5, s[0:3], 0 offen offset:4
	buffer_load_dword v4, v5, s[0:3], 0 offen offset:8
	s_nop 0
	buffer_load_dword v5, v5, s[0:3], 0 offen offset:12
	v_cmp_gt_u32_e32 vcc, 2, v0
	s_waitcnt vmcnt(0)
	ds_write_b128 v6, v[2:5]
	s_waitcnt lgkmcnt(0)
	; wave barrier
	s_waitcnt lgkmcnt(0)
	s_and_saveexec_b64 s[6:7], vcc
	s_cbranch_execz .LBB100_23
; %bb.20:
	buffer_load_dword v8, v12, s[0:3], 0 offen offset:8
	buffer_load_dword v9, v12, s[0:3], 0 offen offset:12
	buffer_load_dword v10, v12, s[0:3], 0 offen
	buffer_load_dword v11, v12, s[0:3], 0 offen offset:4
	ds_read_b128 v[2:5], v6
	s_waitcnt vmcnt(2) lgkmcnt(0)
	v_mul_f64 v[12:13], v[4:5], v[8:9]
	v_mul_f64 v[8:9], v[2:3], v[8:9]
	s_waitcnt vmcnt(0)
	v_fma_f64 v[2:3], v[2:3], v[10:11], -v[12:13]
	v_fmac_f64_e32 v[8:9], v[4:5], v[10:11]
	v_add_f64 v[4:5], v[2:3], 0
	v_add_f64 v[2:3], v[8:9], 0
	s_and_saveexec_b64 s[12:13], s[4:5]
	s_cbranch_execz .LBB100_22
; %bb.21:
	v_mov_b32_e32 v7, 0
	ds_read_b128 v[8:11], v7 offset:608
	buffer_load_dword v12, off, s[0:3], 0 offset:32
	buffer_load_dword v13, off, s[0:3], 0 offset:36
	;; [unrolled: 1-line block ×4, first 2 shown]
	s_waitcnt vmcnt(0) lgkmcnt(0)
	v_mul_f64 v[16:17], v[8:9], v[14:15]
	v_fmac_f64_e32 v[16:17], v[10:11], v[12:13]
	v_mul_f64 v[10:11], v[10:11], v[14:15]
	v_fma_f64 v[8:9], v[8:9], v[12:13], -v[10:11]
	v_add_f64 v[2:3], v[2:3], v[16:17]
	v_add_f64 v[4:5], v[4:5], v[8:9]
.LBB100_22:
	s_or_b64 exec, exec, s[12:13]
	v_mov_b32_e32 v7, 0
	ds_read_b128 v[8:11], v7 offset:32
	s_waitcnt lgkmcnt(0)
	v_mul_f64 v[12:13], v[2:3], v[10:11]
	v_mul_f64 v[10:11], v[4:5], v[10:11]
	v_fma_f64 v[4:5], v[4:5], v[8:9], -v[12:13]
	v_fmac_f64_e32 v[10:11], v[2:3], v[8:9]
	buffer_store_dword v5, off, s[0:3], 0 offset:52
	buffer_store_dword v4, off, s[0:3], 0 offset:48
	;; [unrolled: 1-line block ×4, first 2 shown]
.LBB100_23:
	s_or_b64 exec, exec, s[6:7]
	v_accvgpr_read_b32 v5, a106
	s_waitcnt lgkmcnt(0)
	; wave barrier
	buffer_load_dword v2, v5, s[0:3], 0 offen
	buffer_load_dword v3, v5, s[0:3], 0 offen offset:4
	buffer_load_dword v4, v5, s[0:3], 0 offen offset:8
	s_nop 0
	buffer_load_dword v5, v5, s[0:3], 0 offen offset:12
	v_cmp_gt_u32_e32 vcc, 3, v0
	v_add_u32_e32 v7, -1, v0
	s_waitcnt vmcnt(0)
	ds_write_b128 v6, v[2:5]
	s_waitcnt lgkmcnt(0)
	; wave barrier
	s_waitcnt lgkmcnt(0)
	s_and_saveexec_b64 s[4:5], vcc
	s_cbranch_execz .LBB100_27
; %bb.24:
	v_pk_mov_b32 v[2:3], 0, 0
	v_add_u32_e32 v8, -1, v0
	v_add_u32_e32 v9, 0x250, v1
	v_add_u32_e32 v10, 16, v1
	s_mov_b64 s[6:7], 0
	v_pk_mov_b32 v[4:5], v[2:3], v[2:3] op_sel:[0,1]
.LBB100_25:                             ; =>This Inner Loop Header: Depth=1
	buffer_load_dword v16, v10, s[0:3], 0 offen offset:8
	buffer_load_dword v17, v10, s[0:3], 0 offen offset:12
	buffer_load_dword v18, v10, s[0:3], 0 offen
	buffer_load_dword v19, v10, s[0:3], 0 offen offset:4
	ds_read_b128 v[12:15], v9
	v_add_u32_e32 v8, 1, v8
	v_cmp_lt_u32_e32 vcc, 1, v8
	v_add_u32_e32 v9, 16, v9
	v_add_u32_e32 v10, 16, v10
	s_or_b64 s[6:7], vcc, s[6:7]
	s_waitcnt vmcnt(2) lgkmcnt(0)
	v_mul_f64 v[20:21], v[14:15], v[16:17]
	v_mul_f64 v[16:17], v[12:13], v[16:17]
	s_waitcnt vmcnt(0)
	v_fma_f64 v[12:13], v[12:13], v[18:19], -v[20:21]
	v_fmac_f64_e32 v[16:17], v[14:15], v[18:19]
	v_add_f64 v[4:5], v[4:5], v[12:13]
	v_add_f64 v[2:3], v[2:3], v[16:17]
	s_andn2_b64 exec, exec, s[6:7]
	s_cbranch_execnz .LBB100_25
; %bb.26:
	s_or_b64 exec, exec, s[6:7]
	v_mov_b32_e32 v8, 0
	ds_read_b128 v[8:11], v8 offset:48
	s_waitcnt lgkmcnt(0)
	v_mul_f64 v[12:13], v[2:3], v[10:11]
	v_mul_f64 v[10:11], v[4:5], v[10:11]
	v_fma_f64 v[4:5], v[4:5], v[8:9], -v[12:13]
	v_fmac_f64_e32 v[10:11], v[2:3], v[8:9]
	buffer_store_dword v5, off, s[0:3], 0 offset:68
	buffer_store_dword v4, off, s[0:3], 0 offset:64
	buffer_store_dword v11, off, s[0:3], 0 offset:76
	buffer_store_dword v10, off, s[0:3], 0 offset:72
.LBB100_27:
	s_or_b64 exec, exec, s[4:5]
	v_accvgpr_read_b32 v5, a104
	s_waitcnt lgkmcnt(0)
	; wave barrier
	buffer_load_dword v2, v5, s[0:3], 0 offen
	buffer_load_dword v3, v5, s[0:3], 0 offen offset:4
	buffer_load_dword v4, v5, s[0:3], 0 offen offset:8
	s_nop 0
	buffer_load_dword v5, v5, s[0:3], 0 offen offset:12
	v_cmp_gt_u32_e32 vcc, 4, v0
	s_waitcnt vmcnt(0)
	ds_write_b128 v6, v[2:5]
	s_waitcnt lgkmcnt(0)
	; wave barrier
	s_waitcnt lgkmcnt(0)
	s_and_saveexec_b64 s[4:5], vcc
	s_cbranch_execz .LBB100_31
; %bb.28:
	v_pk_mov_b32 v[2:3], 0, 0
	v_add_u32_e32 v8, -1, v0
	v_add_u32_e32 v9, 0x250, v1
	v_add_u32_e32 v10, 16, v1
	s_mov_b64 s[6:7], 0
	v_pk_mov_b32 v[4:5], v[2:3], v[2:3] op_sel:[0,1]
.LBB100_29:                             ; =>This Inner Loop Header: Depth=1
	buffer_load_dword v16, v10, s[0:3], 0 offen offset:8
	buffer_load_dword v17, v10, s[0:3], 0 offen offset:12
	buffer_load_dword v18, v10, s[0:3], 0 offen
	buffer_load_dword v19, v10, s[0:3], 0 offen offset:4
	ds_read_b128 v[12:15], v9
	v_add_u32_e32 v8, 1, v8
	v_cmp_lt_u32_e32 vcc, 2, v8
	v_add_u32_e32 v9, 16, v9
	v_add_u32_e32 v10, 16, v10
	s_or_b64 s[6:7], vcc, s[6:7]
	s_waitcnt vmcnt(2) lgkmcnt(0)
	v_mul_f64 v[20:21], v[14:15], v[16:17]
	v_mul_f64 v[16:17], v[12:13], v[16:17]
	s_waitcnt vmcnt(0)
	v_fma_f64 v[12:13], v[12:13], v[18:19], -v[20:21]
	v_fmac_f64_e32 v[16:17], v[14:15], v[18:19]
	v_add_f64 v[4:5], v[4:5], v[12:13]
	v_add_f64 v[2:3], v[2:3], v[16:17]
	s_andn2_b64 exec, exec, s[6:7]
	s_cbranch_execnz .LBB100_29
; %bb.30:
	s_or_b64 exec, exec, s[6:7]
	v_mov_b32_e32 v8, 0
	ds_read_b128 v[8:11], v8 offset:64
	s_waitcnt lgkmcnt(0)
	v_mul_f64 v[12:13], v[2:3], v[10:11]
	v_mul_f64 v[10:11], v[4:5], v[10:11]
	v_fma_f64 v[4:5], v[4:5], v[8:9], -v[12:13]
	v_fmac_f64_e32 v[10:11], v[2:3], v[8:9]
	buffer_store_dword v5, off, s[0:3], 0 offset:84
	buffer_store_dword v4, off, s[0:3], 0 offset:80
	buffer_store_dword v11, off, s[0:3], 0 offset:92
	buffer_store_dword v10, off, s[0:3], 0 offset:88
.LBB100_31:
	s_or_b64 exec, exec, s[4:5]
	v_accvgpr_read_b32 v5, a103
	s_waitcnt lgkmcnt(0)
	; wave barrier
	buffer_load_dword v2, v5, s[0:3], 0 offen
	buffer_load_dword v3, v5, s[0:3], 0 offen offset:4
	buffer_load_dword v4, v5, s[0:3], 0 offen offset:8
	s_nop 0
	buffer_load_dword v5, v5, s[0:3], 0 offen offset:12
	v_cmp_gt_u32_e32 vcc, 5, v0
	;; [unrolled: 59-line block ×19, first 2 shown]
	s_waitcnt vmcnt(0)
	ds_write_b128 v6, v[2:5]
	s_waitcnt lgkmcnt(0)
	; wave barrier
	s_waitcnt lgkmcnt(0)
	s_and_saveexec_b64 s[4:5], vcc
	s_cbranch_execz .LBB100_103
; %bb.100:
	v_pk_mov_b32 v[2:3], 0, 0
	v_add_u32_e32 v8, -1, v0
	v_add_u32_e32 v9, 0x250, v1
	v_add_u32_e32 v10, 16, v1
	s_mov_b64 s[6:7], 0
	v_pk_mov_b32 v[4:5], v[2:3], v[2:3] op_sel:[0,1]
.LBB100_101:                            ; =>This Inner Loop Header: Depth=1
	buffer_load_dword v16, v10, s[0:3], 0 offen offset:8
	buffer_load_dword v17, v10, s[0:3], 0 offen offset:12
	buffer_load_dword v18, v10, s[0:3], 0 offen
	buffer_load_dword v19, v10, s[0:3], 0 offen offset:4
	ds_read_b128 v[12:15], v9
	v_add_u32_e32 v8, 1, v8
	v_cmp_lt_u32_e32 vcc, 20, v8
	v_add_u32_e32 v9, 16, v9
	v_add_u32_e32 v10, 16, v10
	s_or_b64 s[6:7], vcc, s[6:7]
	s_waitcnt vmcnt(2) lgkmcnt(0)
	v_mul_f64 v[20:21], v[14:15], v[16:17]
	v_mul_f64 v[16:17], v[12:13], v[16:17]
	s_waitcnt vmcnt(0)
	v_fma_f64 v[12:13], v[12:13], v[18:19], -v[20:21]
	v_fmac_f64_e32 v[16:17], v[14:15], v[18:19]
	v_add_f64 v[4:5], v[4:5], v[12:13]
	v_add_f64 v[2:3], v[2:3], v[16:17]
	s_andn2_b64 exec, exec, s[6:7]
	s_cbranch_execnz .LBB100_101
; %bb.102:
	s_or_b64 exec, exec, s[6:7]
	v_mov_b32_e32 v8, 0
	ds_read_b128 v[8:11], v8 offset:352
	s_waitcnt lgkmcnt(0)
	v_mul_f64 v[12:13], v[2:3], v[10:11]
	v_mul_f64 v[10:11], v[4:5], v[10:11]
	v_fma_f64 v[4:5], v[4:5], v[8:9], -v[12:13]
	v_fmac_f64_e32 v[10:11], v[2:3], v[8:9]
	buffer_store_dword v5, off, s[0:3], 0 offset:372
	buffer_store_dword v4, off, s[0:3], 0 offset:368
	buffer_store_dword v11, off, s[0:3], 0 offset:380
	buffer_store_dword v10, off, s[0:3], 0 offset:376
.LBB100_103:
	s_or_b64 exec, exec, s[4:5]
	v_accvgpr_read_b32 v5, a85
	s_waitcnt lgkmcnt(0)
	; wave barrier
	buffer_load_dword v2, v5, s[0:3], 0 offen
	buffer_load_dword v3, v5, s[0:3], 0 offen offset:4
	buffer_load_dword v4, v5, s[0:3], 0 offen offset:8
	s_nop 0
	buffer_load_dword v5, v5, s[0:3], 0 offen offset:12
	v_cmp_gt_u32_e32 vcc, 23, v0
	s_waitcnt vmcnt(0)
	ds_write_b128 v6, v[2:5]
	s_waitcnt lgkmcnt(0)
	; wave barrier
	s_waitcnt lgkmcnt(0)
	s_and_saveexec_b64 s[4:5], vcc
	s_cbranch_execz .LBB100_107
; %bb.104:
	v_pk_mov_b32 v[2:3], 0, 0
	v_add_u32_e32 v8, -1, v0
	v_add_u32_e32 v9, 0x250, v1
	v_add_u32_e32 v10, 16, v1
	s_mov_b64 s[6:7], 0
	v_pk_mov_b32 v[4:5], v[2:3], v[2:3] op_sel:[0,1]
.LBB100_105:                            ; =>This Inner Loop Header: Depth=1
	buffer_load_dword v16, v10, s[0:3], 0 offen offset:8
	buffer_load_dword v17, v10, s[0:3], 0 offen offset:12
	buffer_load_dword v18, v10, s[0:3], 0 offen
	buffer_load_dword v19, v10, s[0:3], 0 offen offset:4
	ds_read_b128 v[12:15], v9
	v_add_u32_e32 v8, 1, v8
	v_cmp_lt_u32_e32 vcc, 21, v8
	v_add_u32_e32 v9, 16, v9
	v_add_u32_e32 v10, 16, v10
	s_or_b64 s[6:7], vcc, s[6:7]
	s_waitcnt vmcnt(2) lgkmcnt(0)
	v_mul_f64 v[20:21], v[14:15], v[16:17]
	v_mul_f64 v[16:17], v[12:13], v[16:17]
	s_waitcnt vmcnt(0)
	v_fma_f64 v[12:13], v[12:13], v[18:19], -v[20:21]
	v_fmac_f64_e32 v[16:17], v[14:15], v[18:19]
	v_add_f64 v[4:5], v[4:5], v[12:13]
	v_add_f64 v[2:3], v[2:3], v[16:17]
	s_andn2_b64 exec, exec, s[6:7]
	s_cbranch_execnz .LBB100_105
; %bb.106:
	s_or_b64 exec, exec, s[6:7]
	v_mov_b32_e32 v8, 0
	ds_read_b128 v[8:11], v8 offset:368
	s_waitcnt lgkmcnt(0)
	v_mul_f64 v[12:13], v[2:3], v[10:11]
	v_mul_f64 v[10:11], v[4:5], v[10:11]
	v_fma_f64 v[4:5], v[4:5], v[8:9], -v[12:13]
	v_fmac_f64_e32 v[10:11], v[2:3], v[8:9]
	buffer_store_dword v5, off, s[0:3], 0 offset:388
	buffer_store_dword v4, off, s[0:3], 0 offset:384
	buffer_store_dword v11, off, s[0:3], 0 offset:396
	buffer_store_dword v10, off, s[0:3], 0 offset:392
.LBB100_107:
	s_or_b64 exec, exec, s[4:5]
	v_accvgpr_read_b32 v5, a84
	s_waitcnt lgkmcnt(0)
	; wave barrier
	buffer_load_dword v2, v5, s[0:3], 0 offen
	buffer_load_dword v3, v5, s[0:3], 0 offen offset:4
	buffer_load_dword v4, v5, s[0:3], 0 offen offset:8
	s_nop 0
	buffer_load_dword v5, v5, s[0:3], 0 offen offset:12
	v_cmp_gt_u32_e32 vcc, 24, v0
	;; [unrolled: 59-line block ×13, first 2 shown]
	s_waitcnt vmcnt(0)
	ds_write_b128 v6, v[2:5]
	s_waitcnt lgkmcnt(0)
	; wave barrier
	s_waitcnt lgkmcnt(0)
	s_and_saveexec_b64 s[4:5], vcc
	s_cbranch_execz .LBB100_155
; %bb.152:
	v_pk_mov_b32 v[2:3], 0, 0
	v_add_u32_e32 v8, -1, v0
	v_add_u32_e32 v9, 0x250, v1
	v_add_u32_e32 v10, 16, v1
	s_mov_b64 s[6:7], 0
	v_pk_mov_b32 v[4:5], v[2:3], v[2:3] op_sel:[0,1]
.LBB100_153:                            ; =>This Inner Loop Header: Depth=1
	buffer_load_dword v16, v10, s[0:3], 0 offen offset:8
	buffer_load_dword v17, v10, s[0:3], 0 offen offset:12
	buffer_load_dword v18, v10, s[0:3], 0 offen
	buffer_load_dword v19, v10, s[0:3], 0 offen offset:4
	ds_read_b128 v[12:15], v9
	v_add_u32_e32 v8, 1, v8
	v_cmp_lt_u32_e32 vcc, 33, v8
	v_add_u32_e32 v9, 16, v9
	v_add_u32_e32 v10, 16, v10
	s_or_b64 s[6:7], vcc, s[6:7]
	s_waitcnt vmcnt(2) lgkmcnt(0)
	v_mul_f64 v[20:21], v[14:15], v[16:17]
	v_mul_f64 v[16:17], v[12:13], v[16:17]
	s_waitcnt vmcnt(0)
	v_fma_f64 v[12:13], v[12:13], v[18:19], -v[20:21]
	v_fmac_f64_e32 v[16:17], v[14:15], v[18:19]
	v_add_f64 v[4:5], v[4:5], v[12:13]
	v_add_f64 v[2:3], v[2:3], v[16:17]
	s_andn2_b64 exec, exec, s[6:7]
	s_cbranch_execnz .LBB100_153
; %bb.154:
	s_or_b64 exec, exec, s[6:7]
	v_mov_b32_e32 v8, 0
	ds_read_b128 v[8:11], v8 offset:560
	s_waitcnt lgkmcnt(0)
	v_mul_f64 v[12:13], v[2:3], v[10:11]
	v_mul_f64 v[10:11], v[4:5], v[10:11]
	v_fma_f64 v[4:5], v[4:5], v[8:9], -v[12:13]
	v_fmac_f64_e32 v[10:11], v[2:3], v[8:9]
	buffer_store_dword v5, off, s[0:3], 0 offset:580
	buffer_store_dword v4, off, s[0:3], 0 offset:576
	;; [unrolled: 1-line block ×4, first 2 shown]
.LBB100_155:
	s_or_b64 exec, exec, s[4:5]
	v_accvgpr_read_b32 v5, a72
	s_waitcnt lgkmcnt(0)
	; wave barrier
	buffer_load_dword v2, v5, s[0:3], 0 offen
	buffer_load_dword v3, v5, s[0:3], 0 offen offset:4
	buffer_load_dword v4, v5, s[0:3], 0 offen offset:8
	s_nop 0
	buffer_load_dword v5, v5, s[0:3], 0 offen offset:12
	v_cmp_ne_u32_e32 vcc, 36, v0
	s_waitcnt vmcnt(0)
	ds_write_b128 v6, v[2:5]
	s_waitcnt lgkmcnt(0)
	; wave barrier
	s_waitcnt lgkmcnt(0)
	s_and_saveexec_b64 s[4:5], vcc
	s_cbranch_execz .LBB100_159
; %bb.156:
	v_pk_mov_b32 v[2:3], 0, 0
	v_add_u32_e32 v6, 0x250, v1
	v_add_u32_e32 v1, 16, v1
	s_mov_b64 s[6:7], 0
	v_pk_mov_b32 v[4:5], v[2:3], v[2:3] op_sel:[0,1]
.LBB100_157:                            ; =>This Inner Loop Header: Depth=1
	buffer_load_dword v12, v1, s[0:3], 0 offen offset:8
	buffer_load_dword v13, v1, s[0:3], 0 offen offset:12
	buffer_load_dword v14, v1, s[0:3], 0 offen
	buffer_load_dword v15, v1, s[0:3], 0 offen offset:4
	ds_read_b128 v[8:11], v6
	v_add_u32_e32 v7, 1, v7
	v_cmp_lt_u32_e32 vcc, 34, v7
	v_add_u32_e32 v6, 16, v6
	v_add_u32_e32 v1, 16, v1
	s_or_b64 s[6:7], vcc, s[6:7]
	s_waitcnt vmcnt(2) lgkmcnt(0)
	v_mul_f64 v[16:17], v[10:11], v[12:13]
	v_mul_f64 v[12:13], v[8:9], v[12:13]
	s_waitcnt vmcnt(0)
	v_fma_f64 v[8:9], v[8:9], v[14:15], -v[16:17]
	v_fmac_f64_e32 v[12:13], v[10:11], v[14:15]
	v_add_f64 v[4:5], v[4:5], v[8:9]
	v_add_f64 v[2:3], v[2:3], v[12:13]
	s_andn2_b64 exec, exec, s[6:7]
	s_cbranch_execnz .LBB100_157
; %bb.158:
	s_or_b64 exec, exec, s[6:7]
	v_mov_b32_e32 v1, 0
	ds_read_b128 v[6:9], v1 offset:576
	s_waitcnt lgkmcnt(0)
	v_mul_f64 v[10:11], v[2:3], v[8:9]
	v_mul_f64 v[8:9], v[4:5], v[8:9]
	v_fma_f64 v[4:5], v[4:5], v[6:7], -v[10:11]
	v_fmac_f64_e32 v[8:9], v[2:3], v[6:7]
	buffer_store_dword v5, off, s[0:3], 0 offset:596
	buffer_store_dword v4, off, s[0:3], 0 offset:592
	;; [unrolled: 1-line block ×4, first 2 shown]
.LBB100_159:
	s_or_b64 exec, exec, s[4:5]
	s_mov_b64 s[6:7], -1
	s_waitcnt lgkmcnt(0)
	; wave barrier
.LBB100_160:
	s_and_b64 vcc, exec, s[6:7]
	s_cbranch_vccz .LBB100_162
; %bb.161:
	s_lshl_b64 s[4:5], s[8:9], 2
	s_add_u32 s4, s14, s4
	s_addc_u32 s5, s15, s5
	v_mov_b32_e32 v1, 0
	global_load_dword v1, v1, s[4:5]
	s_waitcnt vmcnt(0)
	v_cmp_ne_u32_e32 vcc, 0, v1
	s_cbranch_vccz .LBB100_163
.LBB100_162:
	s_endpgm
.LBB100_163:
	v_mov_b32_e32 v1, 0x250
	v_lshl_add_u32 v1, v0, 4, v1
	v_accvgpr_write_b32 a108, v1
	v_cmp_eq_u32_e32 vcc, 36, v0
	s_and_saveexec_b64 s[4:5], vcc
	s_cbranch_execz .LBB100_165
; %bb.164:
	v_accvgpr_read_b32 v1, a73
	buffer_load_dword v2, v1, s[0:3], 0 offen
	buffer_load_dword v3, v1, s[0:3], 0 offen offset:4
	buffer_load_dword v4, v1, s[0:3], 0 offen offset:8
	;; [unrolled: 1-line block ×3, first 2 shown]
	v_mov_b32_e32 v1, 0
	v_accvgpr_read_b32 v6, a108
	buffer_store_dword v1, off, s[0:3], 0 offset:576
	buffer_store_dword v1, off, s[0:3], 0 offset:580
	;; [unrolled: 1-line block ×4, first 2 shown]
	s_waitcnt vmcnt(4)
	ds_write_b128 v6, v[2:5]
.LBB100_165:
	s_or_b64 exec, exec, s[4:5]
	s_waitcnt lgkmcnt(0)
	; wave barrier
	s_waitcnt lgkmcnt(0)
	buffer_load_dword v6, off, s[0:3], 0 offset:600
	buffer_load_dword v7, off, s[0:3], 0 offset:604
	;; [unrolled: 1-line block ×8, first 2 shown]
	v_mov_b32_e32 v1, 0
	ds_read_b128 v[2:5], v1 offset:1168
	v_cmp_lt_u32_e32 vcc, 34, v0
	s_waitcnt vmcnt(6) lgkmcnt(0)
	v_mul_f64 v[14:15], v[2:3], v[6:7]
	v_mul_f64 v[6:7], v[4:5], v[6:7]
	s_waitcnt vmcnt(4)
	v_fma_f64 v[2:3], v[2:3], v[8:9], -v[6:7]
	v_fmac_f64_e32 v[14:15], v[4:5], v[8:9]
	v_add_f64 v[2:3], v[2:3], 0
	v_add_f64 v[4:5], v[14:15], 0
	s_waitcnt vmcnt(2)
	v_add_f64 v[2:3], v[10:11], -v[2:3]
	s_waitcnt vmcnt(0)
	v_add_f64 v[4:5], v[12:13], -v[4:5]
	buffer_store_dword v2, off, s[0:3], 0 offset:576
	buffer_store_dword v3, off, s[0:3], 0 offset:580
	;; [unrolled: 1-line block ×4, first 2 shown]
	s_and_saveexec_b64 s[4:5], vcc
	s_cbranch_execz .LBB100_167
; %bb.166:
	v_accvgpr_read_b32 v5, a74
	buffer_load_dword v2, v5, s[0:3], 0 offen
	buffer_load_dword v3, v5, s[0:3], 0 offen offset:4
	buffer_load_dword v4, v5, s[0:3], 0 offen offset:8
	s_nop 0
	buffer_load_dword v5, v5, s[0:3], 0 offen offset:12
	v_accvgpr_read_b32 v6, a108
	buffer_store_dword v1, off, s[0:3], 0 offset:560
	buffer_store_dword v1, off, s[0:3], 0 offset:564
	;; [unrolled: 1-line block ×4, first 2 shown]
	s_waitcnt vmcnt(4)
	ds_write_b128 v6, v[2:5]
.LBB100_167:
	s_or_b64 exec, exec, s[4:5]
	s_waitcnt lgkmcnt(0)
	; wave barrier
	s_waitcnt lgkmcnt(0)
	buffer_load_dword v10, off, s[0:3], 0 offset:584
	buffer_load_dword v11, off, s[0:3], 0 offset:588
	;; [unrolled: 1-line block ×12, first 2 shown]
	ds_read_b128 v[2:5], v1 offset:1152
	ds_read_b128 v[6:9], v1 offset:1168
	v_cmp_lt_u32_e32 vcc, 33, v0
	s_waitcnt vmcnt(10) lgkmcnt(1)
	v_mul_f64 v[22:23], v[2:3], v[10:11]
	v_mul_f64 v[10:11], v[4:5], v[10:11]
	s_waitcnt vmcnt(8) lgkmcnt(0)
	v_mul_f64 v[24:25], v[6:7], v[12:13]
	v_mul_f64 v[12:13], v[8:9], v[12:13]
	s_waitcnt vmcnt(6)
	v_fma_f64 v[2:3], v[2:3], v[14:15], -v[10:11]
	v_fmac_f64_e32 v[22:23], v[4:5], v[14:15]
	s_waitcnt vmcnt(4)
	v_fma_f64 v[4:5], v[6:7], v[16:17], -v[12:13]
	v_add_f64 v[2:3], v[2:3], 0
	v_fmac_f64_e32 v[24:25], v[8:9], v[16:17]
	v_add_f64 v[6:7], v[22:23], 0
	v_add_f64 v[2:3], v[2:3], v[4:5]
	;; [unrolled: 1-line block ×3, first 2 shown]
	s_waitcnt vmcnt(2)
	v_add_f64 v[2:3], v[18:19], -v[2:3]
	s_waitcnt vmcnt(0)
	v_add_f64 v[4:5], v[20:21], -v[6:7]
	buffer_store_dword v2, off, s[0:3], 0 offset:560
	buffer_store_dword v3, off, s[0:3], 0 offset:564
	;; [unrolled: 1-line block ×4, first 2 shown]
	s_and_saveexec_b64 s[4:5], vcc
	s_cbranch_execz .LBB100_169
; %bb.168:
	v_accvgpr_read_b32 v1, a75
	buffer_load_dword v2, v1, s[0:3], 0 offen
	buffer_load_dword v3, v1, s[0:3], 0 offen offset:4
	buffer_load_dword v4, v1, s[0:3], 0 offen offset:8
	;; [unrolled: 1-line block ×3, first 2 shown]
	v_mov_b32_e32 v1, 0
	v_accvgpr_read_b32 v6, a108
	buffer_store_dword v1, off, s[0:3], 0 offset:544
	buffer_store_dword v1, off, s[0:3], 0 offset:548
	;; [unrolled: 1-line block ×4, first 2 shown]
	s_waitcnt vmcnt(4)
	ds_write_b128 v6, v[2:5]
.LBB100_169:
	s_or_b64 exec, exec, s[4:5]
	s_waitcnt lgkmcnt(0)
	; wave barrier
	s_waitcnt lgkmcnt(0)
	buffer_load_dword v14, off, s[0:3], 0 offset:568
	buffer_load_dword v15, off, s[0:3], 0 offset:572
	;; [unrolled: 1-line block ×16, first 2 shown]
	v_mov_b32_e32 v1, 0
	ds_read_b128 v[2:5], v1 offset:1136
	ds_read_b128 v[6:9], v1 offset:1152
	;; [unrolled: 1-line block ×3, first 2 shown]
	v_cmp_lt_u32_e32 vcc, 32, v0
	s_waitcnt vmcnt(14) lgkmcnt(2)
	v_mul_f64 v[30:31], v[2:3], v[14:15]
	v_mul_f64 v[14:15], v[4:5], v[14:15]
	s_waitcnt vmcnt(12) lgkmcnt(1)
	v_mul_f64 v[32:33], v[6:7], v[16:17]
	v_mul_f64 v[16:17], v[8:9], v[16:17]
	;; [unrolled: 3-line block ×3, first 2 shown]
	s_waitcnt vmcnt(8)
	v_fma_f64 v[2:3], v[2:3], v[20:21], -v[14:15]
	v_fmac_f64_e32 v[30:31], v[4:5], v[20:21]
	s_waitcnt vmcnt(6)
	v_fma_f64 v[4:5], v[6:7], v[22:23], -v[16:17]
	v_add_f64 v[2:3], v[2:3], 0
	v_fmac_f64_e32 v[32:33], v[8:9], v[22:23]
	s_waitcnt vmcnt(4)
	v_fma_f64 v[6:7], v[10:11], v[24:25], -v[18:19]
	v_add_f64 v[8:9], v[30:31], 0
	v_add_f64 v[2:3], v[2:3], v[4:5]
	v_fmac_f64_e32 v[34:35], v[12:13], v[24:25]
	v_add_f64 v[8:9], v[8:9], v[32:33]
	v_add_f64 v[2:3], v[2:3], v[6:7]
	;; [unrolled: 1-line block ×3, first 2 shown]
	s_waitcnt vmcnt(2)
	v_add_f64 v[2:3], v[26:27], -v[2:3]
	s_waitcnt vmcnt(0)
	v_add_f64 v[4:5], v[28:29], -v[4:5]
	buffer_store_dword v2, off, s[0:3], 0 offset:544
	buffer_store_dword v3, off, s[0:3], 0 offset:548
	buffer_store_dword v4, off, s[0:3], 0 offset:552
	buffer_store_dword v5, off, s[0:3], 0 offset:556
	s_and_saveexec_b64 s[4:5], vcc
	s_cbranch_execz .LBB100_171
; %bb.170:
	v_accvgpr_read_b32 v5, a76
	buffer_load_dword v2, v5, s[0:3], 0 offen
	buffer_load_dword v3, v5, s[0:3], 0 offen offset:4
	buffer_load_dword v4, v5, s[0:3], 0 offen offset:8
	s_nop 0
	buffer_load_dword v5, v5, s[0:3], 0 offen offset:12
	v_accvgpr_read_b32 v6, a108
	buffer_store_dword v1, off, s[0:3], 0 offset:528
	buffer_store_dword v1, off, s[0:3], 0 offset:532
	;; [unrolled: 1-line block ×4, first 2 shown]
	s_waitcnt vmcnt(4)
	ds_write_b128 v6, v[2:5]
.LBB100_171:
	s_or_b64 exec, exec, s[4:5]
	s_waitcnt lgkmcnt(0)
	; wave barrier
	s_waitcnt lgkmcnt(0)
	buffer_load_dword v18, off, s[0:3], 0 offset:552
	buffer_load_dword v19, off, s[0:3], 0 offset:556
	;; [unrolled: 1-line block ×20, first 2 shown]
	ds_read_b128 v[2:5], v1 offset:1120
	ds_read_b128 v[6:9], v1 offset:1136
	;; [unrolled: 1-line block ×4, first 2 shown]
	v_cmp_lt_u32_e32 vcc, 31, v0
	s_waitcnt vmcnt(18) lgkmcnt(3)
	v_mul_f64 v[38:39], v[2:3], v[18:19]
	v_mul_f64 v[18:19], v[4:5], v[18:19]
	s_waitcnt vmcnt(16) lgkmcnt(2)
	v_mul_f64 v[40:41], v[6:7], v[20:21]
	v_mul_f64 v[20:21], v[8:9], v[20:21]
	;; [unrolled: 3-line block ×4, first 2 shown]
	s_waitcnt vmcnt(10)
	v_fma_f64 v[2:3], v[2:3], v[26:27], -v[18:19]
	v_fmac_f64_e32 v[38:39], v[4:5], v[26:27]
	s_waitcnt vmcnt(8)
	v_fma_f64 v[4:5], v[6:7], v[28:29], -v[20:21]
	v_add_f64 v[2:3], v[2:3], 0
	v_fmac_f64_e32 v[40:41], v[8:9], v[28:29]
	s_waitcnt vmcnt(6)
	v_fma_f64 v[6:7], v[10:11], v[30:31], -v[22:23]
	v_add_f64 v[10:11], v[38:39], 0
	v_add_f64 v[2:3], v[2:3], v[4:5]
	v_fmac_f64_e32 v[42:43], v[12:13], v[30:31]
	s_waitcnt vmcnt(4)
	v_fma_f64 v[8:9], v[14:15], v[32:33], -v[24:25]
	v_add_f64 v[10:11], v[10:11], v[40:41]
	v_add_f64 v[2:3], v[2:3], v[6:7]
	v_fmac_f64_e32 v[44:45], v[16:17], v[32:33]
	v_add_f64 v[4:5], v[10:11], v[42:43]
	v_add_f64 v[2:3], v[2:3], v[8:9]
	;; [unrolled: 1-line block ×3, first 2 shown]
	s_waitcnt vmcnt(2)
	v_add_f64 v[2:3], v[34:35], -v[2:3]
	s_waitcnt vmcnt(0)
	v_add_f64 v[4:5], v[36:37], -v[4:5]
	buffer_store_dword v2, off, s[0:3], 0 offset:528
	buffer_store_dword v3, off, s[0:3], 0 offset:532
	;; [unrolled: 1-line block ×4, first 2 shown]
	s_and_saveexec_b64 s[4:5], vcc
	s_cbranch_execz .LBB100_173
; %bb.172:
	v_accvgpr_read_b32 v1, a77
	buffer_load_dword v2, v1, s[0:3], 0 offen
	buffer_load_dword v3, v1, s[0:3], 0 offen offset:4
	buffer_load_dword v4, v1, s[0:3], 0 offen offset:8
	;; [unrolled: 1-line block ×3, first 2 shown]
	v_mov_b32_e32 v1, 0
	v_accvgpr_read_b32 v6, a108
	buffer_store_dword v1, off, s[0:3], 0 offset:512
	buffer_store_dword v1, off, s[0:3], 0 offset:516
	;; [unrolled: 1-line block ×4, first 2 shown]
	s_waitcnt vmcnt(4)
	ds_write_b128 v6, v[2:5]
.LBB100_173:
	s_or_b64 exec, exec, s[4:5]
	v_mov_b32_e32 v1, 0
	s_waitcnt lgkmcnt(0)
	; wave barrier
	s_waitcnt lgkmcnt(0)
	ds_read_b128 v[2:5], v1 offset:1104
	ds_read_b128 v[6:9], v1 offset:1120
	;; [unrolled: 1-line block ×4, first 2 shown]
	buffer_load_dword v22, off, s[0:3], 0 offset:512
	buffer_load_dword v23, off, s[0:3], 0 offset:516
	;; [unrolled: 1-line block ×20, first 2 shown]
	v_cmp_lt_u32_e32 vcc, 30, v0
	s_waitcnt vmcnt(12) lgkmcnt(3)
	v_mul_f64 v[18:19], v[2:3], v[28:29]
	v_fmac_f64_e32 v[18:19], v[4:5], v[26:27]
	v_add_f64 v[18:19], v[18:19], 0
	v_mul_f64 v[4:5], v[4:5], v[28:29]
	s_waitcnt vmcnt(8) lgkmcnt(2)
	v_mul_f64 v[20:21], v[6:7], v[32:33]
	v_fmac_f64_e32 v[20:21], v[8:9], v[30:31]
	v_add_f64 v[18:19], v[18:19], v[20:21]
	v_fma_f64 v[2:3], v[2:3], v[26:27], -v[4:5]
	s_waitcnt vmcnt(4) lgkmcnt(1)
	v_mul_f64 v[20:21], v[10:11], v[36:37]
	v_fmac_f64_e32 v[20:21], v[12:13], v[34:35]
	v_add_f64 v[18:19], v[18:19], v[20:21]
	s_waitcnt vmcnt(0) lgkmcnt(0)
	v_mul_f64 v[20:21], v[14:15], v[40:41]
	v_fmac_f64_e32 v[20:21], v[16:17], v[38:39]
	v_add_f64 v[42:43], v[18:19], v[20:21]
	ds_read_b128 v[18:21], v1 offset:1168
	buffer_load_dword v45, off, s[0:3], 0 offset:596
	buffer_load_dword v44, off, s[0:3], 0 offset:592
	;; [unrolled: 1-line block ×4, first 2 shown]
	v_mul_f64 v[4:5], v[8:9], v[32:33]
	v_add_f64 v[2:3], v[2:3], 0
	v_fma_f64 v[4:5], v[6:7], v[30:31], -v[4:5]
	v_add_f64 v[2:3], v[2:3], v[4:5]
	v_mul_f64 v[4:5], v[12:13], v[36:37]
	v_fma_f64 v[4:5], v[10:11], v[34:35], -v[4:5]
	v_add_f64 v[2:3], v[2:3], v[4:5]
	v_mul_f64 v[4:5], v[16:17], v[40:41]
	v_fma_f64 v[4:5], v[14:15], v[38:39], -v[4:5]
	v_add_f64 v[2:3], v[2:3], v[4:5]
	s_waitcnt vmcnt(0) lgkmcnt(0)
	v_mul_f64 v[4:5], v[20:21], v[46:47]
	v_mul_f64 v[48:49], v[18:19], v[46:47]
	v_fma_f64 v[4:5], v[18:19], v[44:45], -v[4:5]
	v_fmac_f64_e32 v[48:49], v[20:21], v[44:45]
	v_add_f64 v[2:3], v[2:3], v[4:5]
	v_add_f64 v[42:43], v[42:43], v[48:49]
	v_add_f64 v[2:3], v[22:23], -v[2:3]
	v_add_f64 v[4:5], v[24:25], -v[42:43]
	buffer_store_dword v3, off, s[0:3], 0 offset:516
	buffer_store_dword v2, off, s[0:3], 0 offset:512
	;; [unrolled: 1-line block ×4, first 2 shown]
	s_and_saveexec_b64 s[4:5], vcc
	s_cbranch_execz .LBB100_175
; %bb.174:
	v_accvgpr_read_b32 v5, a78
	buffer_load_dword v2, v5, s[0:3], 0 offen
	buffer_load_dword v3, v5, s[0:3], 0 offen offset:4
	buffer_load_dword v4, v5, s[0:3], 0 offen offset:8
	s_nop 0
	buffer_load_dword v5, v5, s[0:3], 0 offen offset:12
	v_accvgpr_read_b32 v6, a108
	buffer_store_dword v1, off, s[0:3], 0 offset:496
	buffer_store_dword v1, off, s[0:3], 0 offset:500
	;; [unrolled: 1-line block ×4, first 2 shown]
	s_waitcnt vmcnt(4)
	ds_write_b128 v6, v[2:5]
.LBB100_175:
	s_or_b64 exec, exec, s[4:5]
	s_waitcnt lgkmcnt(0)
	; wave barrier
	s_waitcnt lgkmcnt(0)
	buffer_load_dword v26, off, s[0:3], 0 offset:520
	buffer_load_dword v27, off, s[0:3], 0 offset:524
	;; [unrolled: 1-line block ×28, first 2 shown]
	ds_read_b128 v[2:5], v1 offset:1088
	ds_read_b128 v[6:9], v1 offset:1104
	;; [unrolled: 1-line block ×6, first 2 shown]
	v_cmp_lt_u32_e32 vcc, 29, v0
	s_waitcnt vmcnt(26) lgkmcnt(5)
	v_mul_f64 v[54:55], v[2:3], v[26:27]
	v_mul_f64 v[26:27], v[4:5], v[26:27]
	s_waitcnt vmcnt(24) lgkmcnt(4)
	v_mul_f64 v[56:57], v[6:7], v[28:29]
	v_mul_f64 v[28:29], v[8:9], v[28:29]
	s_waitcnt vmcnt(22) lgkmcnt(3)
	v_mul_f64 v[58:59], v[10:11], v[30:31]
	v_mul_f64 v[30:31], v[12:13], v[30:31]
	s_waitcnt vmcnt(20) lgkmcnt(1)
	v_mul_f64 v[62:63], v[18:19], v[32:33]
	v_mul_f64 v[32:33], v[20:21], v[32:33]
	s_waitcnt vmcnt(17)
	v_mul_f64 v[60:61], v[14:15], v[36:37]
	v_mul_f64 v[36:37], v[16:17], v[36:37]
	s_waitcnt vmcnt(15) lgkmcnt(0)
	v_mul_f64 v[64:65], v[22:23], v[38:39]
	v_mul_f64 v[38:39], v[24:25], v[38:39]
	s_waitcnt vmcnt(14)
	v_fmac_f64_e32 v[62:63], v[20:21], v[34:35]
	s_waitcnt vmcnt(12)
	v_fma_f64 v[2:3], v[2:3], v[40:41], -v[26:27]
	v_fmac_f64_e32 v[54:55], v[4:5], v[40:41]
	s_waitcnt vmcnt(10)
	v_fma_f64 v[4:5], v[6:7], v[42:43], -v[28:29]
	v_add_f64 v[2:3], v[2:3], 0
	v_fmac_f64_e32 v[56:57], v[8:9], v[42:43]
	s_waitcnt vmcnt(8)
	v_fma_f64 v[6:7], v[10:11], v[44:45], -v[30:31]
	s_waitcnt vmcnt(6)
	v_fma_f64 v[8:9], v[14:15], v[46:47], -v[36:37]
	v_add_f64 v[14:15], v[54:55], 0
	v_add_f64 v[2:3], v[2:3], v[4:5]
	v_fmac_f64_e32 v[58:59], v[12:13], v[44:45]
	v_add_f64 v[14:15], v[14:15], v[56:57]
	v_add_f64 v[2:3], v[2:3], v[6:7]
	v_fmac_f64_e32 v[60:61], v[16:17], v[46:47]
	v_fma_f64 v[10:11], v[18:19], v[34:35], -v[32:33]
	v_add_f64 v[4:5], v[14:15], v[58:59]
	v_add_f64 v[2:3], v[2:3], v[8:9]
	s_waitcnt vmcnt(4)
	v_fma_f64 v[12:13], v[22:23], v[48:49], -v[38:39]
	v_add_f64 v[4:5], v[4:5], v[60:61]
	v_add_f64 v[2:3], v[2:3], v[10:11]
	v_fmac_f64_e32 v[64:65], v[24:25], v[48:49]
	v_add_f64 v[4:5], v[4:5], v[62:63]
	v_add_f64 v[2:3], v[2:3], v[12:13]
	;; [unrolled: 1-line block ×3, first 2 shown]
	s_waitcnt vmcnt(2)
	v_add_f64 v[2:3], v[50:51], -v[2:3]
	s_waitcnt vmcnt(0)
	v_add_f64 v[4:5], v[52:53], -v[4:5]
	buffer_store_dword v3, off, s[0:3], 0 offset:500
	buffer_store_dword v2, off, s[0:3], 0 offset:496
	;; [unrolled: 1-line block ×4, first 2 shown]
	s_and_saveexec_b64 s[4:5], vcc
	s_cbranch_execz .LBB100_177
; %bb.176:
	v_accvgpr_read_b32 v1, a79
	buffer_load_dword v2, v1, s[0:3], 0 offen
	buffer_load_dword v3, v1, s[0:3], 0 offen offset:4
	buffer_load_dword v4, v1, s[0:3], 0 offen offset:8
	;; [unrolled: 1-line block ×3, first 2 shown]
	v_mov_b32_e32 v1, 0
	v_accvgpr_read_b32 v6, a108
	buffer_store_dword v1, off, s[0:3], 0 offset:480
	buffer_store_dword v1, off, s[0:3], 0 offset:484
	;; [unrolled: 1-line block ×4, first 2 shown]
	s_waitcnt vmcnt(4)
	ds_write_b128 v6, v[2:5]
.LBB100_177:
	s_or_b64 exec, exec, s[4:5]
	s_waitcnt lgkmcnt(0)
	; wave barrier
	s_waitcnt lgkmcnt(0)
	buffer_load_dword v30, off, s[0:3], 0 offset:504
	buffer_load_dword v31, off, s[0:3], 0 offset:508
	;; [unrolled: 1-line block ×32, first 2 shown]
	v_mov_b32_e32 v1, 0
	ds_read_b128 v[2:5], v1 offset:1072
	ds_read_b128 v[6:9], v1 offset:1088
	ds_read_b128 v[10:13], v1 offset:1104
	ds_read_b128 v[14:17], v1 offset:1120
	ds_read_b128 v[18:21], v1 offset:1136
	ds_read_b128 v[22:25], v1 offset:1152
	ds_read_b128 v[26:29], v1 offset:1168
	v_cmp_lt_u32_e32 vcc, 28, v0
	s_waitcnt vmcnt(30) lgkmcnt(6)
	v_mul_f64 v[62:63], v[2:3], v[30:31]
	v_mul_f64 v[30:31], v[4:5], v[30:31]
	s_waitcnt vmcnt(28) lgkmcnt(5)
	v_mul_f64 v[64:65], v[6:7], v[32:33]
	v_mul_f64 v[32:33], v[8:9], v[32:33]
	;; [unrolled: 3-line block ×4, first 2 shown]
	s_waitcnt vmcnt(21)
	v_mul_f64 v[68:69], v[14:15], v[40:41]
	v_mul_f64 v[40:41], v[16:17], v[40:41]
	s_waitcnt vmcnt(17) lgkmcnt(1)
	v_mul_f64 v[72:73], v[22:23], v[46:47]
	v_mul_f64 v[46:47], v[24:25], v[46:47]
	s_waitcnt vmcnt(16) lgkmcnt(0)
	v_mul_f64 v[74:75], v[26:27], v[42:43]
	v_mul_f64 v[42:43], v[28:29], v[42:43]
	s_waitcnt vmcnt(13)
	v_fma_f64 v[2:3], v[2:3], v[48:49], -v[30:31]
	v_fmac_f64_e32 v[62:63], v[4:5], v[48:49]
	s_waitcnt vmcnt(11)
	v_fma_f64 v[4:5], v[6:7], v[50:51], -v[32:33]
	v_add_f64 v[2:3], v[2:3], 0
	v_fmac_f64_e32 v[64:65], v[8:9], v[50:51]
	s_waitcnt vmcnt(9)
	v_fma_f64 v[6:7], v[10:11], v[52:53], -v[34:35]
	s_waitcnt vmcnt(7)
	v_fmac_f64_e32 v[68:69], v[16:17], v[54:55]
	v_add_f64 v[16:17], v[62:63], 0
	v_add_f64 v[2:3], v[2:3], v[4:5]
	v_fmac_f64_e32 v[66:67], v[12:13], v[52:53]
	v_fma_f64 v[8:9], v[14:15], v[54:55], -v[40:41]
	v_add_f64 v[16:17], v[16:17], v[64:65]
	v_add_f64 v[2:3], v[2:3], v[6:7]
	v_fma_f64 v[10:11], v[18:19], v[38:39], -v[36:37]
	v_add_f64 v[4:5], v[16:17], v[66:67]
	v_add_f64 v[2:3], v[2:3], v[8:9]
	v_fmac_f64_e32 v[70:71], v[20:21], v[38:39]
	s_waitcnt vmcnt(5)
	v_fma_f64 v[12:13], v[22:23], v[56:57], -v[46:47]
	v_add_f64 v[4:5], v[4:5], v[68:69]
	v_add_f64 v[2:3], v[2:3], v[10:11]
	v_fmac_f64_e32 v[72:73], v[24:25], v[56:57]
	s_waitcnt vmcnt(4)
	v_fma_f64 v[14:15], v[26:27], v[44:45], -v[42:43]
	v_add_f64 v[4:5], v[4:5], v[70:71]
	v_add_f64 v[2:3], v[2:3], v[12:13]
	v_fmac_f64_e32 v[74:75], v[28:29], v[44:45]
	v_add_f64 v[4:5], v[4:5], v[72:73]
	v_add_f64 v[2:3], v[2:3], v[14:15]
	v_add_f64 v[4:5], v[4:5], v[74:75]
	s_waitcnt vmcnt(2)
	v_add_f64 v[2:3], v[58:59], -v[2:3]
	s_waitcnt vmcnt(0)
	v_add_f64 v[4:5], v[60:61], -v[4:5]
	buffer_store_dword v3, off, s[0:3], 0 offset:484
	buffer_store_dword v2, off, s[0:3], 0 offset:480
	;; [unrolled: 1-line block ×4, first 2 shown]
	s_and_saveexec_b64 s[4:5], vcc
	s_cbranch_execz .LBB100_179
; %bb.178:
	v_accvgpr_read_b32 v5, a80
	buffer_load_dword v2, v5, s[0:3], 0 offen
	buffer_load_dword v3, v5, s[0:3], 0 offen offset:4
	buffer_load_dword v4, v5, s[0:3], 0 offen offset:8
	s_nop 0
	buffer_load_dword v5, v5, s[0:3], 0 offen offset:12
	v_accvgpr_read_b32 v6, a108
	buffer_store_dword v1, off, s[0:3], 0 offset:464
	buffer_store_dword v1, off, s[0:3], 0 offset:468
	;; [unrolled: 1-line block ×4, first 2 shown]
	s_waitcnt vmcnt(4)
	ds_write_b128 v6, v[2:5]
.LBB100_179:
	s_or_b64 exec, exec, s[4:5]
	s_waitcnt lgkmcnt(0)
	; wave barrier
	s_waitcnt lgkmcnt(0)
	buffer_load_dword v34, off, s[0:3], 0 offset:488
	buffer_load_dword v35, off, s[0:3], 0 offset:492
	;; [unrolled: 1-line block ×36, first 2 shown]
	ds_read_b128 v[2:5], v1 offset:1056
	ds_read_b128 v[6:9], v1 offset:1072
	;; [unrolled: 1-line block ×8, first 2 shown]
	v_cmp_lt_u32_e32 vcc, 27, v0
	s_waitcnt vmcnt(34) lgkmcnt(7)
	v_mul_f64 v[70:71], v[2:3], v[34:35]
	v_mul_f64 v[34:35], v[4:5], v[34:35]
	s_waitcnt vmcnt(32) lgkmcnt(6)
	v_mul_f64 v[72:73], v[6:7], v[36:37]
	v_mul_f64 v[36:37], v[8:9], v[36:37]
	;; [unrolled: 3-line block ×4, first 2 shown]
	s_waitcnt vmcnt(25)
	v_mul_f64 v[76:77], v[14:15], v[44:45]
	v_mul_f64 v[44:45], v[16:17], v[44:45]
	s_waitcnt vmcnt(23) lgkmcnt(1)
	v_mul_f64 v[82:83], v[26:27], v[46:47]
	v_mul_f64 v[46:47], v[28:29], v[46:47]
	s_waitcnt vmcnt(20)
	v_mul_f64 v[80:81], v[22:23], v[50:51]
	v_mul_f64 v[50:51], v[24:25], v[50:51]
	s_waitcnt vmcnt(18) lgkmcnt(0)
	v_mul_f64 v[84:85], v[30:31], v[52:53]
	s_waitcnt vmcnt(17)
	v_fmac_f64_e32 v[78:79], v[20:21], v[42:43]
	s_waitcnt vmcnt(16)
	v_fmac_f64_e32 v[82:83], v[28:29], v[48:49]
	s_waitcnt vmcnt(14)
	v_fma_f64 v[2:3], v[2:3], v[54:55], -v[34:35]
	v_fmac_f64_e32 v[70:71], v[4:5], v[54:55]
	s_waitcnt vmcnt(12)
	v_fma_f64 v[4:5], v[6:7], v[56:57], -v[36:37]
	v_add_f64 v[2:3], v[2:3], 0
	v_fmac_f64_e32 v[72:73], v[8:9], v[56:57]
	s_waitcnt vmcnt(10)
	v_fma_f64 v[6:7], v[10:11], v[58:59], -v[38:39]
	s_waitcnt vmcnt(8)
	v_fmac_f64_e32 v[76:77], v[16:17], v[60:61]
	v_add_f64 v[16:17], v[70:71], 0
	v_add_f64 v[2:3], v[2:3], v[4:5]
	v_fmac_f64_e32 v[74:75], v[12:13], v[58:59]
	v_fma_f64 v[8:9], v[14:15], v[60:61], -v[44:45]
	v_add_f64 v[16:17], v[16:17], v[72:73]
	v_add_f64 v[2:3], v[2:3], v[6:7]
	v_fma_f64 v[10:11], v[18:19], v[42:43], -v[40:41]
	v_add_f64 v[4:5], v[16:17], v[74:75]
	v_add_f64 v[2:3], v[2:3], v[8:9]
	s_waitcnt vmcnt(6)
	v_fma_f64 v[12:13], v[22:23], v[62:63], -v[50:51]
	v_add_f64 v[4:5], v[4:5], v[76:77]
	v_add_f64 v[2:3], v[2:3], v[10:11]
	v_fmac_f64_e32 v[80:81], v[24:25], v[62:63]
	v_fma_f64 v[14:15], v[26:27], v[48:49], -v[46:47]
	v_add_f64 v[4:5], v[4:5], v[78:79]
	v_add_f64 v[2:3], v[2:3], v[12:13]
	v_mul_f64 v[6:7], v[32:33], v[52:53]
	v_add_f64 v[4:5], v[4:5], v[80:81]
	v_add_f64 v[2:3], v[2:3], v[14:15]
	s_waitcnt vmcnt(4)
	v_fma_f64 v[6:7], v[30:31], v[64:65], -v[6:7]
	v_fmac_f64_e32 v[84:85], v[32:33], v[64:65]
	v_add_f64 v[4:5], v[4:5], v[82:83]
	v_add_f64 v[2:3], v[2:3], v[6:7]
	;; [unrolled: 1-line block ×3, first 2 shown]
	s_waitcnt vmcnt(2)
	v_add_f64 v[2:3], v[66:67], -v[2:3]
	s_waitcnt vmcnt(0)
	v_add_f64 v[4:5], v[68:69], -v[4:5]
	buffer_store_dword v3, off, s[0:3], 0 offset:468
	buffer_store_dword v2, off, s[0:3], 0 offset:464
	;; [unrolled: 1-line block ×4, first 2 shown]
	s_and_saveexec_b64 s[4:5], vcc
	s_cbranch_execz .LBB100_181
; %bb.180:
	v_accvgpr_read_b32 v1, a81
	buffer_load_dword v2, v1, s[0:3], 0 offen
	buffer_load_dword v3, v1, s[0:3], 0 offen offset:4
	buffer_load_dword v4, v1, s[0:3], 0 offen offset:8
	;; [unrolled: 1-line block ×3, first 2 shown]
	v_mov_b32_e32 v1, 0
	v_accvgpr_read_b32 v6, a108
	buffer_store_dword v1, off, s[0:3], 0 offset:448
	buffer_store_dword v1, off, s[0:3], 0 offset:452
	;; [unrolled: 1-line block ×4, first 2 shown]
	s_waitcnt vmcnt(4)
	ds_write_b128 v6, v[2:5]
.LBB100_181:
	s_or_b64 exec, exec, s[4:5]
	s_waitcnt lgkmcnt(0)
	; wave barrier
	s_waitcnt lgkmcnt(0)
	buffer_load_dword v38, off, s[0:3], 0 offset:472
	buffer_load_dword v39, off, s[0:3], 0 offset:476
	;; [unrolled: 1-line block ×40, first 2 shown]
	v_mov_b32_e32 v1, 0
	ds_read_b128 v[2:5], v1 offset:1040
	ds_read_b128 v[6:9], v1 offset:1056
	;; [unrolled: 1-line block ×9, first 2 shown]
	v_cmp_lt_u32_e32 vcc, 26, v0
	s_waitcnt vmcnt(38) lgkmcnt(8)
	v_mul_f64 v[78:79], v[2:3], v[38:39]
	v_mul_f64 v[38:39], v[4:5], v[38:39]
	s_waitcnt vmcnt(36) lgkmcnt(7)
	v_mul_f64 v[80:81], v[6:7], v[40:41]
	v_mul_f64 v[40:41], v[8:9], v[40:41]
	;; [unrolled: 3-line block ×3, first 2 shown]
	s_waitcnt vmcnt(32) lgkmcnt(4)
	v_mul_f64 v[86:87], v[18:19], v[44:45]
	s_waitcnt vmcnt(30)
	v_fmac_f64_e32 v[86:87], v[20:21], v[46:47]
	s_waitcnt vmcnt(28)
	v_mul_f64 v[84:85], v[14:15], v[48:49]
	v_mul_f64 v[48:49], v[16:17], v[48:49]
	s_waitcnt vmcnt(26) lgkmcnt(2)
	v_mul_f64 v[90:91], v[26:27], v[50:51]
	s_waitcnt vmcnt(24)
	v_fmac_f64_e32 v[90:91], v[28:29], v[52:53]
	s_waitcnt vmcnt(22)
	v_mul_f64 v[88:89], v[22:23], v[54:55]
	s_waitcnt vmcnt(18) lgkmcnt(1)
	v_mul_f64 v[92:93], v[30:31], v[60:61]
	s_waitcnt vmcnt(17) lgkmcnt(0)
	v_mul_f64 v[94:95], v[34:35], v[56:57]
	s_waitcnt vmcnt(15)
	v_fma_f64 v[2:3], v[2:3], v[62:63], -v[38:39]
	v_fmac_f64_e32 v[78:79], v[4:5], v[62:63]
	s_waitcnt vmcnt(13)
	v_fma_f64 v[4:5], v[6:7], v[64:65], -v[40:41]
	v_add_f64 v[2:3], v[2:3], 0
	s_waitcnt vmcnt(11)
	v_fma_f64 v[6:7], v[10:11], v[66:67], -v[42:43]
	v_add_f64 v[2:3], v[2:3], v[4:5]
	v_fmac_f64_e32 v[80:81], v[8:9], v[64:65]
	s_waitcnt vmcnt(9)
	v_fma_f64 v[8:9], v[14:15], v[68:69], -v[48:49]
	v_add_f64 v[2:3], v[2:3], v[6:7]
	v_mul_f64 v[6:7], v[20:21], v[44:45]
	v_add_f64 v[2:3], v[2:3], v[8:9]
	v_fma_f64 v[6:7], v[18:19], v[46:47], -v[6:7]
	v_add_f64 v[2:3], v[2:3], v[6:7]
	v_mul_f64 v[6:7], v[24:25], v[54:55]
	v_add_f64 v[10:11], v[78:79], 0
	s_waitcnt vmcnt(7)
	v_fma_f64 v[6:7], v[22:23], v[70:71], -v[6:7]
	v_fmac_f64_e32 v[82:83], v[12:13], v[66:67]
	v_add_f64 v[10:11], v[10:11], v[80:81]
	v_add_f64 v[2:3], v[2:3], v[6:7]
	v_mul_f64 v[6:7], v[28:29], v[50:51]
	v_fmac_f64_e32 v[84:85], v[16:17], v[68:69]
	v_add_f64 v[4:5], v[10:11], v[82:83]
	v_fma_f64 v[6:7], v[26:27], v[52:53], -v[6:7]
	v_add_f64 v[4:5], v[4:5], v[84:85]
	v_add_f64 v[2:3], v[2:3], v[6:7]
	v_mul_f64 v[6:7], v[32:33], v[60:61]
	v_fmac_f64_e32 v[88:89], v[24:25], v[70:71]
	v_add_f64 v[4:5], v[4:5], v[86:87]
	s_waitcnt vmcnt(5)
	v_fma_f64 v[6:7], v[30:31], v[72:73], -v[6:7]
	v_add_f64 v[4:5], v[4:5], v[88:89]
	v_add_f64 v[2:3], v[2:3], v[6:7]
	v_mul_f64 v[6:7], v[36:37], v[56:57]
	v_fmac_f64_e32 v[92:93], v[32:33], v[72:73]
	v_add_f64 v[4:5], v[4:5], v[90:91]
	s_waitcnt vmcnt(4)
	v_fma_f64 v[6:7], v[34:35], v[58:59], -v[6:7]
	v_fmac_f64_e32 v[94:95], v[36:37], v[58:59]
	v_add_f64 v[4:5], v[4:5], v[92:93]
	v_add_f64 v[2:3], v[2:3], v[6:7]
	;; [unrolled: 1-line block ×3, first 2 shown]
	s_waitcnt vmcnt(2)
	v_add_f64 v[2:3], v[74:75], -v[2:3]
	s_waitcnt vmcnt(0)
	v_add_f64 v[4:5], v[76:77], -v[4:5]
	buffer_store_dword v3, off, s[0:3], 0 offset:452
	buffer_store_dword v2, off, s[0:3], 0 offset:448
	;; [unrolled: 1-line block ×4, first 2 shown]
	s_and_saveexec_b64 s[4:5], vcc
	s_cbranch_execz .LBB100_183
; %bb.182:
	v_accvgpr_read_b32 v5, a82
	buffer_load_dword v2, v5, s[0:3], 0 offen
	buffer_load_dword v3, v5, s[0:3], 0 offen offset:4
	buffer_load_dword v4, v5, s[0:3], 0 offen offset:8
	s_nop 0
	buffer_load_dword v5, v5, s[0:3], 0 offen offset:12
	v_accvgpr_read_b32 v6, a108
	buffer_store_dword v1, off, s[0:3], 0 offset:432
	buffer_store_dword v1, off, s[0:3], 0 offset:436
	;; [unrolled: 1-line block ×4, first 2 shown]
	s_waitcnt vmcnt(4)
	ds_write_b128 v6, v[2:5]
.LBB100_183:
	s_or_b64 exec, exec, s[4:5]
	s_waitcnt lgkmcnt(0)
	; wave barrier
	s_waitcnt lgkmcnt(0)
	buffer_load_dword v4, off, s[0:3], 0 offset:448
	buffer_load_dword v5, off, s[0:3], 0 offset:452
	;; [unrolled: 1-line block ×44, first 2 shown]
	ds_read_b128 v[6:9], v1 offset:1024
	ds_read_b128 v[10:13], v1 offset:1040
	;; [unrolled: 1-line block ×10, first 2 shown]
	v_cmp_lt_u32_e32 vcc, 25, v0
	s_waitcnt vmcnt(40) lgkmcnt(9)
	v_mul_f64 v[86:87], v[6:7], v[46:47]
	v_mul_f64 v[46:47], v[8:9], v[46:47]
	s_waitcnt vmcnt(38) lgkmcnt(8)
	v_mul_f64 v[88:89], v[10:11], v[48:49]
	v_mul_f64 v[48:49], v[12:13], v[48:49]
	v_fmac_f64_e32 v[86:87], v[8:9], v[4:5]
	v_fma_f64 v[4:5], v[6:7], v[4:5], -v[46:47]
	s_waitcnt vmcnt(36) lgkmcnt(7)
	v_mul_f64 v[90:91], v[14:15], v[2:3]
	v_add_f64 v[4:5], v[4:5], 0
	v_mul_f64 v[2:3], v[16:17], v[2:3]
	v_add_f64 v[8:9], v[86:87], 0
	s_waitcnt vmcnt(30) lgkmcnt(6)
	v_mul_f64 v[92:93], v[18:19], v[54:55]
	s_waitcnt lgkmcnt(5)
	v_mul_f64 v[94:95], v[22:23], v[50:51]
	v_fmac_f64_e32 v[94:95], v[24:25], v[52:53]
	s_waitcnt vmcnt(28) lgkmcnt(3)
	v_mul_f64 v[98:99], v[30:31], v[56:57]
	s_waitcnt vmcnt(26)
	v_fmac_f64_e32 v[98:99], v[32:33], v[58:59]
	s_waitcnt vmcnt(24)
	v_mul_f64 v[96:97], v[26:27], v[60:61]
	s_waitcnt vmcnt(22) lgkmcnt(1)
	v_mul_f64 v[102:103], v[38:39], v[62:63]
	s_waitcnt vmcnt(20)
	v_fmac_f64_e32 v[102:103], v[40:41], v[64:65]
	s_waitcnt vmcnt(18)
	v_mul_f64 v[100:101], v[34:35], v[66:67]
	s_waitcnt vmcnt(16) lgkmcnt(0)
	v_mul_f64 v[104:105], v[42:43], v[68:69]
	s_waitcnt vmcnt(14)
	v_fma_f64 v[6:7], v[10:11], v[70:71], -v[48:49]
	v_add_f64 v[4:5], v[4:5], v[6:7]
	s_waitcnt vmcnt(12)
	v_fma_f64 v[2:3], v[14:15], v[72:73], -v[2:3]
	v_add_f64 v[2:3], v[4:5], v[2:3]
	v_mul_f64 v[4:5], v[20:21], v[54:55]
	s_waitcnt vmcnt(10)
	v_fma_f64 v[4:5], v[18:19], v[74:75], -v[4:5]
	v_add_f64 v[2:3], v[2:3], v[4:5]
	v_mul_f64 v[4:5], v[24:25], v[50:51]
	v_fma_f64 v[4:5], v[22:23], v[52:53], -v[4:5]
	v_add_f64 v[2:3], v[2:3], v[4:5]
	v_mul_f64 v[4:5], v[28:29], v[60:61]
	s_waitcnt vmcnt(8)
	v_fma_f64 v[4:5], v[26:27], v[76:77], -v[4:5]
	v_fmac_f64_e32 v[88:89], v[12:13], v[70:71]
	v_add_f64 v[2:3], v[2:3], v[4:5]
	v_mul_f64 v[4:5], v[32:33], v[56:57]
	v_fmac_f64_e32 v[90:91], v[16:17], v[72:73]
	v_add_f64 v[8:9], v[8:9], v[88:89]
	v_fma_f64 v[4:5], v[30:31], v[58:59], -v[4:5]
	v_fmac_f64_e32 v[92:93], v[20:21], v[74:75]
	v_add_f64 v[6:7], v[8:9], v[90:91]
	v_add_f64 v[2:3], v[2:3], v[4:5]
	v_mul_f64 v[4:5], v[36:37], v[66:67]
	v_add_f64 v[6:7], v[6:7], v[92:93]
	s_waitcnt vmcnt(6)
	v_fma_f64 v[4:5], v[34:35], v[78:79], -v[4:5]
	v_fmac_f64_e32 v[96:97], v[28:29], v[76:77]
	v_add_f64 v[6:7], v[6:7], v[94:95]
	v_add_f64 v[2:3], v[2:3], v[4:5]
	v_mul_f64 v[4:5], v[40:41], v[62:63]
	v_add_f64 v[6:7], v[6:7], v[96:97]
	v_fma_f64 v[4:5], v[38:39], v[64:65], -v[4:5]
	v_fmac_f64_e32 v[100:101], v[36:37], v[78:79]
	v_add_f64 v[6:7], v[6:7], v[98:99]
	v_add_f64 v[2:3], v[2:3], v[4:5]
	v_mul_f64 v[4:5], v[44:45], v[68:69]
	v_add_f64 v[6:7], v[6:7], v[100:101]
	s_waitcnt vmcnt(4)
	v_fma_f64 v[4:5], v[42:43], v[80:81], -v[4:5]
	v_fmac_f64_e32 v[104:105], v[44:45], v[80:81]
	v_add_f64 v[6:7], v[6:7], v[102:103]
	v_add_f64 v[2:3], v[2:3], v[4:5]
	;; [unrolled: 1-line block ×3, first 2 shown]
	s_waitcnt vmcnt(2)
	v_add_f64 v[2:3], v[82:83], -v[2:3]
	s_waitcnt vmcnt(0)
	v_add_f64 v[4:5], v[84:85], -v[6:7]
	buffer_store_dword v3, off, s[0:3], 0 offset:436
	buffer_store_dword v2, off, s[0:3], 0 offset:432
	;; [unrolled: 1-line block ×4, first 2 shown]
	s_and_saveexec_b64 s[4:5], vcc
	s_cbranch_execz .LBB100_185
; %bb.184:
	v_accvgpr_read_b32 v1, a83
	buffer_load_dword v2, v1, s[0:3], 0 offen
	buffer_load_dword v3, v1, s[0:3], 0 offen offset:4
	buffer_load_dword v4, v1, s[0:3], 0 offen offset:8
	;; [unrolled: 1-line block ×3, first 2 shown]
	v_mov_b32_e32 v1, 0
	v_accvgpr_read_b32 v6, a108
	buffer_store_dword v1, off, s[0:3], 0 offset:416
	buffer_store_dword v1, off, s[0:3], 0 offset:420
	;; [unrolled: 1-line block ×4, first 2 shown]
	s_waitcnt vmcnt(4)
	ds_write_b128 v6, v[2:5]
.LBB100_185:
	s_or_b64 exec, exec, s[4:5]
	s_waitcnt lgkmcnt(0)
	; wave barrier
	s_waitcnt lgkmcnt(0)
	buffer_load_dword v2, off, s[0:3], 0 offset:432
	buffer_load_dword v3, off, s[0:3], 0 offset:436
	;; [unrolled: 1-line block ×48, first 2 shown]
	v_mov_b32_e32 v1, 0
	ds_read_b128 v[12:15], v1 offset:1008
	ds_read_b128 v[16:19], v1 offset:1024
	;; [unrolled: 1-line block ×11, first 2 shown]
	v_cmp_lt_u32_e32 vcc, 24, v0
	s_waitcnt vmcnt(44) lgkmcnt(10)
	v_mul_f64 v[94:95], v[12:13], v[6:7]
	v_mul_f64 v[6:7], v[14:15], v[6:7]
	v_fmac_f64_e32 v[94:95], v[14:15], v[2:3]
	v_fma_f64 v[2:3], v[12:13], v[2:3], -v[6:7]
	s_waitcnt vmcnt(40) lgkmcnt(9)
	v_mul_f64 v[96:97], v[16:17], v[8:9]
	v_mul_f64 v[6:7], v[18:19], v[8:9]
	v_fmac_f64_e32 v[96:97], v[18:19], v[4:5]
	v_add_f64 v[2:3], v[2:3], 0
	v_fma_f64 v[4:5], v[16:17], v[4:5], -v[6:7]
	v_add_f64 v[2:3], v[2:3], v[4:5]
	s_waitcnt vmcnt(38) lgkmcnt(8)
	v_mul_f64 v[4:5], v[22:23], v[10:11]
	v_mul_f64 v[98:99], v[20:21], v[10:11]
	v_add_f64 v[94:95], v[94:95], 0
	s_waitcnt vmcnt(32) lgkmcnt(7)
	v_mul_f64 v[100:101], v[24:25], v[60:61]
	v_add_f64 v[94:95], v[94:95], v[96:97]
	s_waitcnt lgkmcnt(6)
	v_mul_f64 v[102:103], v[28:29], v[56:57]
	v_fmac_f64_e32 v[102:103], v[30:31], v[58:59]
	s_waitcnt vmcnt(30) lgkmcnt(4)
	v_mul_f64 v[106:107], v[36:37], v[62:63]
	s_waitcnt vmcnt(26)
	v_mul_f64 v[104:105], v[32:33], v[66:67]
	v_fmac_f64_e32 v[106:107], v[38:39], v[64:65]
	s_waitcnt vmcnt(24) lgkmcnt(2)
	v_mul_f64 v[110:111], v[44:45], v[68:69]
	s_waitcnt vmcnt(22)
	v_fmac_f64_e32 v[110:111], v[46:47], v[70:71]
	s_waitcnt vmcnt(20)
	v_mul_f64 v[108:109], v[40:41], v[72:73]
	s_waitcnt vmcnt(16) lgkmcnt(1)
	v_mul_f64 v[112:113], v[48:49], v[78:79]
	s_waitcnt vmcnt(14)
	v_fma_f64 v[4:5], v[20:21], v[80:81], -v[4:5]
	v_add_f64 v[2:3], v[2:3], v[4:5]
	v_mul_f64 v[4:5], v[26:27], v[60:61]
	s_waitcnt vmcnt(12)
	v_fma_f64 v[4:5], v[24:25], v[82:83], -v[4:5]
	v_add_f64 v[2:3], v[2:3], v[4:5]
	v_mul_f64 v[4:5], v[30:31], v[56:57]
	v_fma_f64 v[4:5], v[28:29], v[58:59], -v[4:5]
	v_add_f64 v[2:3], v[2:3], v[4:5]
	v_mul_f64 v[4:5], v[34:35], v[66:67]
	s_waitcnt vmcnt(10)
	v_fma_f64 v[4:5], v[32:33], v[84:85], -v[4:5]
	v_add_f64 v[2:3], v[2:3], v[4:5]
	v_mul_f64 v[4:5], v[38:39], v[62:63]
	v_fma_f64 v[4:5], v[36:37], v[64:65], -v[4:5]
	v_fmac_f64_e32 v[98:99], v[22:23], v[80:81]
	v_add_f64 v[2:3], v[2:3], v[4:5]
	v_mul_f64 v[4:5], v[42:43], v[72:73]
	v_fmac_f64_e32 v[100:101], v[26:27], v[82:83]
	v_add_f64 v[94:95], v[94:95], v[98:99]
	s_waitcnt vmcnt(8)
	v_fma_f64 v[4:5], v[40:41], v[86:87], -v[4:5]
	v_add_f64 v[94:95], v[94:95], v[100:101]
	v_add_f64 v[2:3], v[2:3], v[4:5]
	v_mul_f64 v[4:5], v[46:47], v[68:69]
	v_fmac_f64_e32 v[104:105], v[34:35], v[84:85]
	v_add_f64 v[94:95], v[94:95], v[102:103]
	v_fma_f64 v[4:5], v[44:45], v[70:71], -v[4:5]
	v_add_f64 v[94:95], v[94:95], v[104:105]
	v_add_f64 v[2:3], v[2:3], v[4:5]
	v_mul_f64 v[4:5], v[50:51], v[78:79]
	v_fmac_f64_e32 v[108:109], v[42:43], v[86:87]
	v_add_f64 v[94:95], v[94:95], v[106:107]
	s_waitcnt vmcnt(6)
	v_fma_f64 v[4:5], v[48:49], v[88:89], -v[4:5]
	v_add_f64 v[94:95], v[94:95], v[108:109]
	v_add_f64 v[2:3], v[2:3], v[4:5]
	s_waitcnt vmcnt(5) lgkmcnt(0)
	v_mul_f64 v[4:5], v[54:55], v[74:75]
	v_fmac_f64_e32 v[112:113], v[50:51], v[88:89]
	v_add_f64 v[94:95], v[94:95], v[110:111]
	v_mul_f64 v[96:97], v[52:53], v[74:75]
	s_waitcnt vmcnt(4)
	v_fma_f64 v[4:5], v[52:53], v[76:77], -v[4:5]
	v_add_f64 v[94:95], v[94:95], v[112:113]
	v_fmac_f64_e32 v[96:97], v[54:55], v[76:77]
	v_add_f64 v[2:3], v[2:3], v[4:5]
	v_add_f64 v[94:95], v[94:95], v[96:97]
	s_waitcnt vmcnt(2)
	v_add_f64 v[2:3], v[90:91], -v[2:3]
	s_waitcnt vmcnt(0)
	v_add_f64 v[4:5], v[92:93], -v[94:95]
	buffer_store_dword v3, off, s[0:3], 0 offset:420
	buffer_store_dword v2, off, s[0:3], 0 offset:416
	;; [unrolled: 1-line block ×4, first 2 shown]
	s_and_saveexec_b64 s[4:5], vcc
	s_cbranch_execz .LBB100_187
; %bb.186:
	v_accvgpr_read_b32 v5, a84
	buffer_load_dword v2, v5, s[0:3], 0 offen
	buffer_load_dword v3, v5, s[0:3], 0 offen offset:4
	buffer_load_dword v4, v5, s[0:3], 0 offen offset:8
	s_nop 0
	buffer_load_dword v5, v5, s[0:3], 0 offen offset:12
	v_accvgpr_read_b32 v6, a108
	buffer_store_dword v1, off, s[0:3], 0 offset:400
	buffer_store_dword v1, off, s[0:3], 0 offset:404
	;; [unrolled: 1-line block ×4, first 2 shown]
	s_waitcnt vmcnt(4)
	ds_write_b128 v6, v[2:5]
.LBB100_187:
	s_or_b64 exec, exec, s[4:5]
	s_waitcnt lgkmcnt(0)
	; wave barrier
	s_waitcnt lgkmcnt(0)
	buffer_load_dword v2, off, s[0:3], 0 offset:416
	buffer_load_dword v3, off, s[0:3], 0 offset:420
	buffer_load_dword v6, off, s[0:3], 0 offset:424
	buffer_load_dword v7, off, s[0:3], 0 offset:428
	buffer_load_dword v4, off, s[0:3], 0 offset:432
	buffer_load_dword v5, off, s[0:3], 0 offset:436
	buffer_load_dword v8, off, s[0:3], 0 offset:440
	buffer_load_dword v9, off, s[0:3], 0 offset:444
	buffer_load_dword v10, off, s[0:3], 0 offset:456
	buffer_load_dword v11, off, s[0:3], 0 offset:460
	buffer_load_dword v61, off, s[0:3], 0 offset:492
	buffer_load_dword v60, off, s[0:3], 0 offset:488
	buffer_load_dword v63, off, s[0:3], 0 offset:484
	buffer_load_dword v62, off, s[0:3], 0 offset:480
	buffer_load_dword v65, off, s[0:3], 0 offset:476
	buffer_load_dword v64, off, s[0:3], 0 offset:472
	buffer_load_dword v67, off, s[0:3], 0 offset:524
	buffer_load_dword v66, off, s[0:3], 0 offset:520
	buffer_load_dword v69, off, s[0:3], 0 offset:516
	buffer_load_dword v68, off, s[0:3], 0 offset:512
	buffer_load_dword v71, off, s[0:3], 0 offset:508
	buffer_load_dword v70, off, s[0:3], 0 offset:504
	buffer_load_dword v72, off, s[0:3], 0 offset:552
	buffer_load_dword v74, off, s[0:3], 0 offset:544
	buffer_load_dword v77, off, s[0:3], 0 offset:540
	buffer_load_dword v76, off, s[0:3], 0 offset:536
	buffer_load_dword v73, off, s[0:3], 0 offset:556
	buffer_load_dword v78, off, s[0:3], 0 offset:448
	buffer_load_dword v79, off, s[0:3], 0 offset:452
	buffer_load_dword v81, off, s[0:3], 0 offset:468
	buffer_load_dword v80, off, s[0:3], 0 offset:464
	buffer_load_dword v83, off, s[0:3], 0 offset:500
	buffer_load_dword v82, off, s[0:3], 0 offset:496
	buffer_load_dword v85, off, s[0:3], 0 offset:532
	buffer_load_dword v84, off, s[0:3], 0 offset:528
	buffer_load_dword v75, off, s[0:3], 0 offset:548
	buffer_load_dword v86, off, s[0:3], 0 offset:584
	buffer_load_dword v88, off, s[0:3], 0 offset:576
	buffer_load_dword v91, off, s[0:3], 0 offset:572
	buffer_load_dword v90, off, s[0:3], 0 offset:568
	buffer_load_dword v93, off, s[0:3], 0 offset:564
	buffer_load_dword v92, off, s[0:3], 0 offset:560
	buffer_load_dword v89, off, s[0:3], 0 offset:580
	buffer_load_dword v87, off, s[0:3], 0 offset:588
	buffer_load_dword v95, off, s[0:3], 0 offset:604
	buffer_load_dword v94, off, s[0:3], 0 offset:600
	buffer_load_dword v97, off, s[0:3], 0 offset:596
	buffer_load_dword v96, off, s[0:3], 0 offset:592
	buffer_load_dword v98, off, s[0:3], 0 offset:400
	buffer_load_dword v99, off, s[0:3], 0 offset:404
	buffer_load_dword v100, off, s[0:3], 0 offset:408
	buffer_load_dword v101, off, s[0:3], 0 offset:412
	ds_read_b128 v[12:15], v1 offset:992
	ds_read_b128 v[16:19], v1 offset:1008
	;; [unrolled: 1-line block ×10, first 2 shown]
	v_cmp_lt_u32_e32 vcc, 23, v0
	s_waitcnt vmcnt(48) lgkmcnt(9)
	v_mul_f64 v[52:53], v[12:13], v[6:7]
	v_mul_f64 v[6:7], v[14:15], v[6:7]
	v_fmac_f64_e32 v[52:53], v[14:15], v[2:3]
	v_fma_f64 v[2:3], v[12:13], v[2:3], -v[6:7]
	s_waitcnt vmcnt(44) lgkmcnt(8)
	v_mul_f64 v[54:55], v[16:17], v[8:9]
	v_mul_f64 v[6:7], v[18:19], v[8:9]
	v_fmac_f64_e32 v[54:55], v[18:19], v[4:5]
	v_add_f64 v[2:3], v[2:3], 0
	v_fma_f64 v[4:5], v[16:17], v[4:5], -v[6:7]
	v_add_f64 v[2:3], v[2:3], v[4:5]
	s_waitcnt vmcnt(42) lgkmcnt(7)
	v_mul_f64 v[4:5], v[22:23], v[10:11]
	v_mul_f64 v[56:57], v[20:21], v[10:11]
	v_add_f64 v[52:53], v[52:53], 0
	s_waitcnt vmcnt(36) lgkmcnt(6)
	v_mul_f64 v[58:59], v[24:25], v[64:65]
	v_add_f64 v[52:53], v[52:53], v[54:55]
	s_waitcnt lgkmcnt(5)
	v_mul_f64 v[102:103], v[28:29], v[60:61]
	v_fmac_f64_e32 v[102:103], v[30:31], v[62:63]
	s_waitcnt vmcnt(34) lgkmcnt(3)
	v_mul_f64 v[106:107], v[36:37], v[66:67]
	s_waitcnt vmcnt(30)
	v_mul_f64 v[104:105], v[32:33], v[70:71]
	v_fmac_f64_e32 v[106:107], v[38:39], v[68:69]
	s_waitcnt vmcnt(26) lgkmcnt(2)
	v_mul_f64 v[108:109], v[40:41], v[76:77]
	s_waitcnt vmcnt(25) lgkmcnt(1)
	v_mul_f64 v[110:111], v[44:45], v[72:73]
	s_waitcnt vmcnt(23)
	v_fma_f64 v[4:5], v[20:21], v[78:79], -v[4:5]
	v_add_f64 v[2:3], v[2:3], v[4:5]
	v_mul_f64 v[4:5], v[26:27], v[64:65]
	s_waitcnt vmcnt(21)
	v_fma_f64 v[4:5], v[24:25], v[80:81], -v[4:5]
	v_fmac_f64_e32 v[56:57], v[22:23], v[78:79]
	v_add_f64 v[2:3], v[2:3], v[4:5]
	v_mul_f64 v[4:5], v[30:31], v[60:61]
	v_fmac_f64_e32 v[58:59], v[26:27], v[80:81]
	v_add_f64 v[52:53], v[52:53], v[56:57]
	v_fma_f64 v[4:5], v[28:29], v[62:63], -v[4:5]
	v_add_f64 v[52:53], v[52:53], v[58:59]
	v_add_f64 v[2:3], v[2:3], v[4:5]
	v_mul_f64 v[4:5], v[34:35], v[70:71]
	s_waitcnt vmcnt(19)
	v_fmac_f64_e32 v[104:105], v[34:35], v[82:83]
	v_add_f64 v[52:53], v[52:53], v[102:103]
	v_fma_f64 v[4:5], v[32:33], v[82:83], -v[4:5]
	v_add_f64 v[52:53], v[52:53], v[104:105]
	v_add_f64 v[2:3], v[2:3], v[4:5]
	v_mul_f64 v[4:5], v[38:39], v[66:67]
	s_waitcnt vmcnt(17)
	v_fmac_f64_e32 v[108:109], v[42:43], v[84:85]
	v_add_f64 v[52:53], v[52:53], v[106:107]
	v_fma_f64 v[4:5], v[36:37], v[68:69], -v[4:5]
	s_waitcnt vmcnt(16)
	v_fmac_f64_e32 v[110:111], v[46:47], v[74:75]
	v_add_f64 v[52:53], v[52:53], v[108:109]
	v_add_f64 v[2:3], v[2:3], v[4:5]
	v_mul_f64 v[4:5], v[42:43], v[76:77]
	v_add_f64 v[102:103], v[52:53], v[110:111]
	ds_read_b128 v[52:55], v1 offset:1152
	ds_read_b128 v[56:59], v1 offset:1168
	v_fma_f64 v[4:5], v[40:41], v[84:85], -v[4:5]
	v_add_f64 v[2:3], v[2:3], v[4:5]
	v_mul_f64 v[4:5], v[46:47], v[72:73]
	v_fma_f64 v[4:5], v[44:45], v[74:75], -v[4:5]
	v_add_f64 v[2:3], v[2:3], v[4:5]
	s_waitcnt vmcnt(12) lgkmcnt(2)
	v_mul_f64 v[4:5], v[50:51], v[90:91]
	v_mul_f64 v[104:105], v[48:49], v[90:91]
	s_waitcnt vmcnt(10)
	v_fma_f64 v[4:5], v[48:49], v[92:93], -v[4:5]
	v_fmac_f64_e32 v[104:105], v[50:51], v[92:93]
	v_add_f64 v[2:3], v[2:3], v[4:5]
	s_waitcnt vmcnt(8) lgkmcnt(1)
	v_mul_f64 v[4:5], v[54:55], v[86:87]
	v_add_f64 v[102:103], v[102:103], v[104:105]
	v_mul_f64 v[104:105], v[52:53], v[86:87]
	v_fma_f64 v[4:5], v[52:53], v[88:89], -v[4:5]
	v_fmac_f64_e32 v[104:105], v[54:55], v[88:89]
	v_add_f64 v[2:3], v[2:3], v[4:5]
	s_waitcnt vmcnt(6) lgkmcnt(0)
	v_mul_f64 v[4:5], v[58:59], v[94:95]
	v_add_f64 v[102:103], v[102:103], v[104:105]
	v_mul_f64 v[104:105], v[56:57], v[94:95]
	s_waitcnt vmcnt(4)
	v_fma_f64 v[4:5], v[56:57], v[96:97], -v[4:5]
	v_fmac_f64_e32 v[104:105], v[58:59], v[96:97]
	v_add_f64 v[2:3], v[2:3], v[4:5]
	v_add_f64 v[102:103], v[102:103], v[104:105]
	s_waitcnt vmcnt(2)
	v_add_f64 v[2:3], v[98:99], -v[2:3]
	s_waitcnt vmcnt(0)
	v_add_f64 v[4:5], v[100:101], -v[102:103]
	buffer_store_dword v3, off, s[0:3], 0 offset:404
	buffer_store_dword v2, off, s[0:3], 0 offset:400
	;; [unrolled: 1-line block ×4, first 2 shown]
	s_and_saveexec_b64 s[4:5], vcc
	s_cbranch_execz .LBB100_189
; %bb.188:
	v_accvgpr_read_b32 v1, a85
	buffer_load_dword v2, v1, s[0:3], 0 offen
	buffer_load_dword v3, v1, s[0:3], 0 offen offset:4
	buffer_load_dword v4, v1, s[0:3], 0 offen offset:8
	;; [unrolled: 1-line block ×3, first 2 shown]
	v_mov_b32_e32 v1, 0
	v_accvgpr_read_b32 v6, a108
	buffer_store_dword v1, off, s[0:3], 0 offset:384
	buffer_store_dword v1, off, s[0:3], 0 offset:388
	;; [unrolled: 1-line block ×4, first 2 shown]
	s_waitcnt vmcnt(4)
	ds_write_b128 v6, v[2:5]
.LBB100_189:
	s_or_b64 exec, exec, s[4:5]
	s_waitcnt lgkmcnt(0)
	; wave barrier
	s_waitcnt lgkmcnt(0)
	buffer_load_dword v2, off, s[0:3], 0 offset:400
	buffer_load_dword v3, off, s[0:3], 0 offset:404
	;; [unrolled: 1-line block ×56, first 2 shown]
	v_mov_b32_e32 v1, 0
	ds_read_b128 v[18:21], v1 offset:976
	ds_read_b128 v[22:25], v1 offset:992
	;; [unrolled: 1-line block ×9, first 2 shown]
	v_cmp_lt_u32_e32 vcc, 22, v0
	s_waitcnt vmcnt(52) lgkmcnt(8)
	v_mul_f64 v[50:51], v[18:19], v[6:7]
	v_fmac_f64_e32 v[50:51], v[20:21], v[2:3]
	v_mul_f64 v[6:7], v[20:21], v[6:7]
	v_add_f64 v[50:51], v[50:51], 0
	s_waitcnt vmcnt(48) lgkmcnt(7)
	v_mul_f64 v[52:53], v[22:23], v[8:9]
	v_fmac_f64_e32 v[52:53], v[24:25], v[4:5]
	s_waitcnt vmcnt(46) lgkmcnt(6)
	v_mul_f64 v[54:55], v[26:27], v[10:11]
	v_fma_f64 v[2:3], v[18:19], v[2:3], -v[6:7]
	v_mul_f64 v[6:7], v[24:25], v[8:9]
	v_add_f64 v[50:51], v[50:51], v[52:53]
	v_add_f64 v[2:3], v[2:3], 0
	v_fma_f64 v[4:5], v[22:23], v[4:5], -v[6:7]
	s_waitcnt vmcnt(40) lgkmcnt(5)
	v_mul_f64 v[56:57], v[30:31], v[16:17]
	s_waitcnt lgkmcnt(4)
	v_mul_f64 v[58:59], v[34:35], v[12:13]
	v_add_f64 v[2:3], v[2:3], v[4:5]
	v_mul_f64 v[4:5], v[28:29], v[10:11]
	s_waitcnt vmcnt(36) lgkmcnt(3)
	v_mul_f64 v[60:61], v[38:39], v[74:75]
	v_fmac_f64_e32 v[58:59], v[36:37], v[14:15]
	s_waitcnt vmcnt(35) lgkmcnt(2)
	v_mul_f64 v[62:63], v[42:43], v[70:71]
	s_waitcnt vmcnt(33)
	v_fmac_f64_e32 v[54:55], v[28:29], v[76:77]
	v_add_f64 v[50:51], v[50:51], v[54:55]
	s_waitcnt vmcnt(31)
	v_fmac_f64_e32 v[56:57], v[32:33], v[78:79]
	v_add_f64 v[50:51], v[50:51], v[56:57]
	v_fma_f64 v[4:5], v[26:27], v[76:77], -v[4:5]
	s_waitcnt vmcnt(29)
	v_fmac_f64_e32 v[60:61], v[40:41], v[80:81]
	v_add_f64 v[50:51], v[50:51], v[58:59]
	v_add_f64 v[2:3], v[2:3], v[4:5]
	v_mul_f64 v[4:5], v[32:33], v[16:17]
	s_waitcnt vmcnt(28)
	v_fmac_f64_e32 v[62:63], v[44:45], v[72:73]
	v_add_f64 v[50:51], v[50:51], v[60:61]
	v_fma_f64 v[4:5], v[30:31], v[78:79], -v[4:5]
	v_add_f64 v[54:55], v[50:51], v[62:63]
	ds_read_b128 v[50:53], v1 offset:1104
	s_waitcnt vmcnt(24) lgkmcnt(2)
	v_mul_f64 v[56:57], v[46:47], v[86:87]
	v_add_f64 v[2:3], v[2:3], v[4:5]
	v_mul_f64 v[4:5], v[36:37], v[12:13]
	s_waitcnt vmcnt(22)
	v_fmac_f64_e32 v[56:57], v[48:49], v[88:89]
	v_fma_f64 v[4:5], v[34:35], v[14:15], -v[4:5]
	v_add_f64 v[58:59], v[54:55], v[56:57]
	ds_read_b128 v[54:57], v1 offset:1120
	v_add_f64 v[2:3], v[2:3], v[4:5]
	v_mul_f64 v[4:5], v[40:41], v[74:75]
	v_fma_f64 v[4:5], v[38:39], v[80:81], -v[4:5]
	v_add_f64 v[2:3], v[2:3], v[4:5]
	v_mul_f64 v[4:5], v[44:45], v[70:71]
	s_waitcnt vmcnt(20) lgkmcnt(1)
	v_mul_f64 v[60:61], v[50:51], v[82:83]
	v_fma_f64 v[4:5], v[42:43], v[72:73], -v[4:5]
	v_fmac_f64_e32 v[60:61], v[52:53], v[84:85]
	v_add_f64 v[2:3], v[2:3], v[4:5]
	v_mul_f64 v[4:5], v[48:49], v[86:87]
	v_add_f64 v[62:63], v[58:59], v[60:61]
	ds_read_b128 v[58:61], v1 offset:1136
	s_waitcnt vmcnt(16) lgkmcnt(1)
	v_mul_f64 v[64:65], v[54:55], v[94:95]
	v_fma_f64 v[4:5], v[46:47], v[88:89], -v[4:5]
	s_waitcnt vmcnt(14)
	v_fmac_f64_e32 v[64:65], v[56:57], v[96:97]
	v_add_f64 v[2:3], v[2:3], v[4:5]
	v_mul_f64 v[4:5], v[52:53], v[82:83]
	v_add_f64 v[110:111], v[62:63], v[64:65]
	ds_read_b128 v[62:65], v1 offset:1152
	v_fma_f64 v[4:5], v[50:51], v[84:85], -v[4:5]
	v_add_f64 v[2:3], v[2:3], v[4:5]
	v_mul_f64 v[4:5], v[56:57], v[94:95]
	v_fma_f64 v[4:5], v[54:55], v[96:97], -v[4:5]
	v_add_f64 v[2:3], v[2:3], v[4:5]
	s_waitcnt vmcnt(12) lgkmcnt(1)
	v_mul_f64 v[4:5], v[60:61], v[90:91]
	v_mul_f64 v[112:113], v[58:59], v[90:91]
	v_fma_f64 v[4:5], v[58:59], v[92:93], -v[4:5]
	v_fmac_f64_e32 v[112:113], v[60:61], v[92:93]
	v_add_f64 v[2:3], v[2:3], v[4:5]
	s_waitcnt vmcnt(8) lgkmcnt(0)
	v_mul_f64 v[4:5], v[64:65], v[102:103]
	v_add_f64 v[110:111], v[110:111], v[112:113]
	v_mul_f64 v[112:113], v[62:63], v[102:103]
	s_waitcnt vmcnt(6)
	v_fma_f64 v[4:5], v[62:63], v[104:105], -v[4:5]
	v_fmac_f64_e32 v[112:113], v[64:65], v[104:105]
	v_add_f64 v[2:3], v[2:3], v[4:5]
	s_waitcnt vmcnt(5)
	v_mul_f64 v[4:5], v[68:69], v[98:99]
	v_add_f64 v[110:111], v[110:111], v[112:113]
	v_mul_f64 v[112:113], v[66:67], v[98:99]
	s_waitcnt vmcnt(4)
	v_fma_f64 v[4:5], v[66:67], v[100:101], -v[4:5]
	v_fmac_f64_e32 v[112:113], v[68:69], v[100:101]
	v_add_f64 v[2:3], v[2:3], v[4:5]
	v_add_f64 v[110:111], v[110:111], v[112:113]
	s_waitcnt vmcnt(2)
	v_add_f64 v[2:3], v[106:107], -v[2:3]
	s_waitcnt vmcnt(0)
	v_add_f64 v[4:5], v[108:109], -v[110:111]
	buffer_store_dword v3, off, s[0:3], 0 offset:388
	buffer_store_dword v2, off, s[0:3], 0 offset:384
	;; [unrolled: 1-line block ×4, first 2 shown]
	s_and_saveexec_b64 s[4:5], vcc
	s_cbranch_execz .LBB100_191
; %bb.190:
	v_accvgpr_read_b32 v5, a86
	buffer_load_dword v2, v5, s[0:3], 0 offen
	buffer_load_dword v3, v5, s[0:3], 0 offen offset:4
	buffer_load_dword v4, v5, s[0:3], 0 offen offset:8
	s_nop 0
	buffer_load_dword v5, v5, s[0:3], 0 offen offset:12
	v_accvgpr_read_b32 v6, a108
	buffer_store_dword v1, off, s[0:3], 0 offset:368
	buffer_store_dword v1, off, s[0:3], 0 offset:372
	;; [unrolled: 1-line block ×4, first 2 shown]
	s_waitcnt vmcnt(4)
	ds_write_b128 v6, v[2:5]
.LBB100_191:
	s_or_b64 exec, exec, s[4:5]
	s_waitcnt lgkmcnt(0)
	; wave barrier
	s_waitcnt lgkmcnt(0)
	buffer_load_dword v2, off, s[0:3], 0 offset:384
	buffer_load_dword v3, off, s[0:3], 0 offset:388
	;; [unrolled: 1-line block ×60, first 2 shown]
	ds_read_b128 v[24:27], v1 offset:960
	ds_read_b128 v[28:31], v1 offset:976
	;; [unrolled: 1-line block ×8, first 2 shown]
	v_cmp_lt_u32_e32 vcc, 21, v0
	ds_read_b128 v[76:79], v1 offset:1168
	s_waitcnt vmcnt(56) lgkmcnt(8)
	v_mul_f64 v[56:57], v[24:25], v[6:7]
	v_fmac_f64_e32 v[56:57], v[26:27], v[2:3]
	v_add_f64 v[56:57], v[56:57], 0
	v_mul_f64 v[6:7], v[26:27], v[6:7]
	s_waitcnt vmcnt(52) lgkmcnt(7)
	v_mul_f64 v[58:59], v[28:29], v[8:9]
	v_fmac_f64_e32 v[58:59], v[30:31], v[4:5]
	s_waitcnt vmcnt(50) lgkmcnt(6)
	v_mul_f64 v[60:61], v[32:33], v[10:11]
	v_add_f64 v[56:57], v[56:57], v[58:59]
	s_waitcnt vmcnt(48) lgkmcnt(4)
	v_mul_f64 v[64:65], v[40:41], v[12:13]
	v_fma_f64 v[2:3], v[24:25], v[2:3], -v[6:7]
	s_waitcnt vmcnt(46)
	v_fmac_f64_e32 v[64:65], v[42:43], v[14:15]
	v_mul_f64 v[6:7], v[30:31], v[8:9]
	s_waitcnt vmcnt(44)
	v_mul_f64 v[62:63], v[36:37], v[16:17]
	v_add_f64 v[2:3], v[2:3], 0
	v_fma_f64 v[4:5], v[28:29], v[4:5], -v[6:7]
	v_add_f64 v[2:3], v[2:3], v[4:5]
	s_waitcnt vmcnt(40) lgkmcnt(3)
	v_mul_f64 v[66:67], v[44:45], v[22:23]
	v_mul_f64 v[4:5], v[34:35], v[10:11]
	s_waitcnt vmcnt(38)
	v_fmac_f64_e32 v[60:61], v[34:35], v[80:81]
	v_add_f64 v[56:57], v[56:57], v[60:61]
	s_waitcnt vmcnt(36)
	v_fmac_f64_e32 v[62:63], v[38:39], v[82:83]
	v_add_f64 v[56:57], v[56:57], v[62:63]
	;; [unrolled: 3-line block ×3, first 2 shown]
	s_waitcnt vmcnt(32) lgkmcnt(2)
	v_mul_f64 v[58:59], v[48:49], v[18:19]
	v_add_f64 v[56:57], v[56:57], v[66:67]
	v_fmac_f64_e32 v[58:59], v[50:51], v[20:21]
	v_add_f64 v[60:61], v[56:57], v[58:59]
	ds_read_b128 v[56:59], v1 offset:1088
	v_fma_f64 v[4:5], v[32:33], v[80:81], -v[4:5]
	v_add_f64 v[2:3], v[2:3], v[4:5]
	v_mul_f64 v[4:5], v[38:39], v[16:17]
	v_fma_f64 v[4:5], v[36:37], v[82:83], -v[4:5]
	s_waitcnt vmcnt(28) lgkmcnt(2)
	v_mul_f64 v[62:63], v[52:53], v[90:91]
	v_add_f64 v[2:3], v[2:3], v[4:5]
	v_mul_f64 v[4:5], v[42:43], v[12:13]
	s_waitcnt vmcnt(26)
	v_fmac_f64_e32 v[62:63], v[54:55], v[92:93]
	v_fma_f64 v[4:5], v[40:41], v[14:15], -v[4:5]
	v_add_f64 v[64:65], v[60:61], v[62:63]
	ds_read_b128 v[60:63], v1 offset:1104
	s_waitcnt vmcnt(24) lgkmcnt(1)
	v_mul_f64 v[66:67], v[56:57], v[86:87]
	v_add_f64 v[2:3], v[2:3], v[4:5]
	v_mul_f64 v[4:5], v[46:47], v[22:23]
	v_fmac_f64_e32 v[66:67], v[58:59], v[88:89]
	v_fma_f64 v[4:5], v[44:45], v[84:85], -v[4:5]
	v_add_f64 v[68:69], v[64:65], v[66:67]
	ds_read_b128 v[64:67], v1 offset:1120
	v_add_f64 v[2:3], v[2:3], v[4:5]
	v_mul_f64 v[4:5], v[50:51], v[18:19]
	v_fma_f64 v[4:5], v[48:49], v[20:21], -v[4:5]
	v_add_f64 v[2:3], v[2:3], v[4:5]
	v_mul_f64 v[4:5], v[54:55], v[90:91]
	s_waitcnt vmcnt(20) lgkmcnt(1)
	v_mul_f64 v[70:71], v[60:61], v[98:99]
	v_fma_f64 v[4:5], v[52:53], v[92:93], -v[4:5]
	s_waitcnt vmcnt(18)
	v_fmac_f64_e32 v[70:71], v[62:63], v[100:101]
	v_add_f64 v[2:3], v[2:3], v[4:5]
	v_mul_f64 v[4:5], v[58:59], v[86:87]
	v_add_f64 v[72:73], v[68:69], v[70:71]
	ds_read_b128 v[68:71], v1 offset:1136
	s_waitcnt vmcnt(16) lgkmcnt(1)
	v_mul_f64 v[74:75], v[64:65], v[94:95]
	v_fma_f64 v[4:5], v[56:57], v[88:89], -v[4:5]
	v_fmac_f64_e32 v[74:75], v[66:67], v[96:97]
	v_add_f64 v[2:3], v[2:3], v[4:5]
	v_mul_f64 v[4:5], v[62:63], v[98:99]
	v_add_f64 v[120:121], v[72:73], v[74:75]
	ds_read_b128 v[72:75], v1 offset:1152
	v_fma_f64 v[4:5], v[60:61], v[100:101], -v[4:5]
	v_add_f64 v[2:3], v[2:3], v[4:5]
	v_mul_f64 v[4:5], v[66:67], v[94:95]
	v_fma_f64 v[4:5], v[64:65], v[96:97], -v[4:5]
	v_add_f64 v[2:3], v[2:3], v[4:5]
	s_waitcnt vmcnt(12) lgkmcnt(1)
	v_mul_f64 v[4:5], v[70:71], v[106:107]
	v_mul_f64 v[122:123], v[68:69], v[106:107]
	s_waitcnt vmcnt(10)
	v_fma_f64 v[4:5], v[68:69], v[108:109], -v[4:5]
	v_fmac_f64_e32 v[122:123], v[70:71], v[108:109]
	v_add_f64 v[2:3], v[2:3], v[4:5]
	s_waitcnt vmcnt(8) lgkmcnt(0)
	v_mul_f64 v[4:5], v[74:75], v[102:103]
	v_add_f64 v[120:121], v[120:121], v[122:123]
	v_mul_f64 v[122:123], v[72:73], v[102:103]
	v_fma_f64 v[4:5], v[72:73], v[104:105], -v[4:5]
	v_fmac_f64_e32 v[122:123], v[74:75], v[104:105]
	v_add_f64 v[2:3], v[2:3], v[4:5]
	s_waitcnt vmcnt(6)
	v_mul_f64 v[4:5], v[78:79], v[110:111]
	v_add_f64 v[120:121], v[120:121], v[122:123]
	v_mul_f64 v[122:123], v[76:77], v[110:111]
	s_waitcnt vmcnt(4)
	v_fma_f64 v[4:5], v[76:77], v[112:113], -v[4:5]
	v_fmac_f64_e32 v[122:123], v[78:79], v[112:113]
	v_add_f64 v[2:3], v[2:3], v[4:5]
	v_add_f64 v[120:121], v[120:121], v[122:123]
	s_waitcnt vmcnt(2)
	v_add_f64 v[2:3], v[114:115], -v[2:3]
	s_waitcnt vmcnt(0)
	v_add_f64 v[4:5], v[116:117], -v[120:121]
	buffer_store_dword v3, off, s[0:3], 0 offset:372
	buffer_store_dword v2, off, s[0:3], 0 offset:368
	;; [unrolled: 1-line block ×4, first 2 shown]
	s_and_saveexec_b64 s[4:5], vcc
	s_cbranch_execz .LBB100_193
; %bb.192:
	v_accvgpr_read_b32 v1, a87
	buffer_load_dword v2, v1, s[0:3], 0 offen
	buffer_load_dword v3, v1, s[0:3], 0 offen offset:4
	buffer_load_dword v4, v1, s[0:3], 0 offen offset:8
	;; [unrolled: 1-line block ×3, first 2 shown]
	v_mov_b32_e32 v1, 0
	v_accvgpr_read_b32 v6, a108
	buffer_store_dword v1, off, s[0:3], 0 offset:352
	buffer_store_dword v1, off, s[0:3], 0 offset:356
	;; [unrolled: 1-line block ×4, first 2 shown]
	s_waitcnt vmcnt(4)
	ds_write_b128 v6, v[2:5]
.LBB100_193:
	s_or_b64 exec, exec, s[4:5]
	s_waitcnt lgkmcnt(0)
	; wave barrier
	s_waitcnt lgkmcnt(0)
	buffer_load_dword v2, off, s[0:3], 0 offset:368
	buffer_load_dword v3, off, s[0:3], 0 offset:372
	;; [unrolled: 1-line block ×64, first 2 shown]
	v_mov_b32_e32 v1, 0
	ds_read_b128 v[30:33], v1 offset:944
	ds_read_b128 v[34:37], v1 offset:960
	;; [unrolled: 1-line block ×7, first 2 shown]
	v_cmp_lt_u32_e32 vcc, 20, v0
	s_waitcnt vmcnt(60) lgkmcnt(6)
	v_mul_f64 v[54:55], v[30:31], v[6:7]
	v_fmac_f64_e32 v[54:55], v[32:33], v[2:3]
	v_add_f64 v[54:55], v[54:55], 0
	v_mul_f64 v[6:7], v[32:33], v[6:7]
	s_waitcnt vmcnt(56) lgkmcnt(5)
	v_mul_f64 v[56:57], v[34:35], v[8:9]
	v_fmac_f64_e32 v[56:57], v[36:37], v[4:5]
	s_waitcnt vmcnt(54) lgkmcnt(4)
	v_mul_f64 v[58:59], v[38:39], v[10:11]
	v_add_f64 v[54:55], v[54:55], v[56:57]
	v_fma_f64 v[2:3], v[30:31], v[2:3], -v[6:7]
	v_mul_f64 v[6:7], v[36:37], v[8:9]
	s_waitcnt vmcnt(50) lgkmcnt(3)
	v_mul_f64 v[60:61], v[42:43], v[16:17]
	s_waitcnt vmcnt(49) lgkmcnt(2)
	v_mul_f64 v[62:63], v[46:47], v[12:13]
	v_add_f64 v[2:3], v[2:3], 0
	s_waitcnt vmcnt(47)
	v_fmac_f64_e32 v[58:59], v[40:41], v[20:21]
	v_add_f64 v[54:55], v[54:55], v[58:59]
	s_waitcnt vmcnt(45)
	v_fmac_f64_e32 v[60:61], v[44:45], v[18:19]
	;; [unrolled: 3-line block ×3, first 2 shown]
	v_add_f64 v[58:59], v[54:55], v[62:63]
	ds_read_b128 v[54:57], v1 offset:1040
	s_waitcnt vmcnt(40) lgkmcnt(2)
	v_mul_f64 v[60:61], v[50:51], v[26:27]
	v_fma_f64 v[4:5], v[34:35], v[4:5], -v[6:7]
	s_waitcnt vmcnt(38)
	v_fmac_f64_e32 v[60:61], v[52:53], v[28:29]
	v_add_f64 v[62:63], v[58:59], v[60:61]
	ds_read_b128 v[58:61], v1 offset:1056
	s_waitcnt vmcnt(36) lgkmcnt(1)
	v_mul_f64 v[64:65], v[54:55], v[22:23]
	v_fmac_f64_e32 v[64:65], v[56:57], v[24:25]
	v_add_f64 v[2:3], v[2:3], v[4:5]
	v_mul_f64 v[4:5], v[40:41], v[10:11]
	v_add_f64 v[66:67], v[62:63], v[64:65]
	ds_read_b128 v[62:65], v1 offset:1072
	s_waitcnt vmcnt(32) lgkmcnt(1)
	v_mul_f64 v[68:69], v[58:59], v[94:95]
	v_fma_f64 v[4:5], v[38:39], v[20:21], -v[4:5]
	s_waitcnt vmcnt(30)
	v_fmac_f64_e32 v[68:69], v[60:61], v[96:97]
	v_add_f64 v[2:3], v[2:3], v[4:5]
	v_mul_f64 v[4:5], v[44:45], v[16:17]
	v_add_f64 v[70:71], v[66:67], v[68:69]
	ds_read_b128 v[66:69], v1 offset:1088
	v_fma_f64 v[4:5], v[42:43], v[18:19], -v[4:5]
	v_add_f64 v[2:3], v[2:3], v[4:5]
	v_mul_f64 v[4:5], v[48:49], v[12:13]
	v_fma_f64 v[4:5], v[46:47], v[14:15], -v[4:5]
	s_waitcnt vmcnt(28) lgkmcnt(1)
	v_mul_f64 v[72:73], v[62:63], v[90:91]
	v_add_f64 v[2:3], v[2:3], v[4:5]
	v_mul_f64 v[4:5], v[52:53], v[26:27]
	v_fmac_f64_e32 v[72:73], v[64:65], v[92:93]
	v_fma_f64 v[4:5], v[50:51], v[28:29], -v[4:5]
	v_add_f64 v[74:75], v[70:71], v[72:73]
	ds_read_b128 v[70:73], v1 offset:1104
	s_waitcnt vmcnt(24) lgkmcnt(1)
	v_mul_f64 v[76:77], v[66:67], v[102:103]
	v_add_f64 v[2:3], v[2:3], v[4:5]
	v_mul_f64 v[4:5], v[56:57], v[22:23]
	s_waitcnt vmcnt(22)
	v_fmac_f64_e32 v[76:77], v[68:69], v[104:105]
	v_fma_f64 v[4:5], v[54:55], v[24:25], -v[4:5]
	v_add_f64 v[78:79], v[74:75], v[76:77]
	ds_read_b128 v[74:77], v1 offset:1120
	v_add_f64 v[2:3], v[2:3], v[4:5]
	v_mul_f64 v[4:5], v[60:61], v[94:95]
	v_fma_f64 v[4:5], v[58:59], v[96:97], -v[4:5]
	v_add_f64 v[2:3], v[2:3], v[4:5]
	v_mul_f64 v[4:5], v[64:65], v[90:91]
	s_waitcnt vmcnt(20) lgkmcnt(1)
	v_mul_f64 v[80:81], v[70:71], v[98:99]
	v_fma_f64 v[4:5], v[62:63], v[92:93], -v[4:5]
	v_fmac_f64_e32 v[80:81], v[72:73], v[100:101]
	v_add_f64 v[2:3], v[2:3], v[4:5]
	v_mul_f64 v[4:5], v[68:69], v[102:103]
	v_add_f64 v[82:83], v[78:79], v[80:81]
	ds_read_b128 v[78:81], v1 offset:1136
	s_waitcnt vmcnt(16) lgkmcnt(1)
	v_mul_f64 v[84:85], v[74:75], v[110:111]
	v_fma_f64 v[4:5], v[66:67], v[104:105], -v[4:5]
	s_waitcnt vmcnt(14)
	v_fmac_f64_e32 v[84:85], v[76:77], v[112:113]
	v_add_f64 v[2:3], v[2:3], v[4:5]
	v_mul_f64 v[4:5], v[72:73], v[98:99]
	v_add_f64 v[128:129], v[82:83], v[84:85]
	ds_read_b128 v[82:85], v1 offset:1152
	v_fma_f64 v[4:5], v[70:71], v[100:101], -v[4:5]
	v_add_f64 v[2:3], v[2:3], v[4:5]
	v_mul_f64 v[4:5], v[76:77], v[110:111]
	v_fma_f64 v[4:5], v[74:75], v[112:113], -v[4:5]
	v_add_f64 v[2:3], v[2:3], v[4:5]
	s_waitcnt vmcnt(12) lgkmcnt(1)
	v_mul_f64 v[4:5], v[80:81], v[106:107]
	v_mul_f64 v[130:131], v[78:79], v[106:107]
	v_fma_f64 v[4:5], v[78:79], v[108:109], -v[4:5]
	v_fmac_f64_e32 v[130:131], v[80:81], v[108:109]
	v_add_f64 v[2:3], v[2:3], v[4:5]
	s_waitcnt vmcnt(8) lgkmcnt(0)
	v_mul_f64 v[4:5], v[84:85], v[120:121]
	v_add_f64 v[128:129], v[128:129], v[130:131]
	v_mul_f64 v[130:131], v[82:83], v[120:121]
	s_waitcnt vmcnt(6)
	v_fma_f64 v[4:5], v[82:83], v[122:123], -v[4:5]
	v_fmac_f64_e32 v[130:131], v[84:85], v[122:123]
	v_add_f64 v[2:3], v[2:3], v[4:5]
	s_waitcnt vmcnt(5)
	v_mul_f64 v[4:5], v[88:89], v[114:115]
	v_add_f64 v[128:129], v[128:129], v[130:131]
	v_mul_f64 v[130:131], v[86:87], v[114:115]
	s_waitcnt vmcnt(4)
	v_fma_f64 v[4:5], v[86:87], v[116:117], -v[4:5]
	v_fmac_f64_e32 v[130:131], v[88:89], v[116:117]
	v_add_f64 v[2:3], v[2:3], v[4:5]
	v_add_f64 v[128:129], v[128:129], v[130:131]
	s_waitcnt vmcnt(2)
	v_add_f64 v[2:3], v[124:125], -v[2:3]
	s_waitcnt vmcnt(0)
	v_add_f64 v[4:5], v[126:127], -v[128:129]
	buffer_store_dword v3, off, s[0:3], 0 offset:356
	buffer_store_dword v2, off, s[0:3], 0 offset:352
	;; [unrolled: 1-line block ×4, first 2 shown]
	s_and_saveexec_b64 s[4:5], vcc
	s_cbranch_execz .LBB100_195
; %bb.194:
	v_accvgpr_read_b32 v5, a88
	buffer_load_dword v2, v5, s[0:3], 0 offen
	buffer_load_dword v3, v5, s[0:3], 0 offen offset:4
	buffer_load_dword v4, v5, s[0:3], 0 offen offset:8
	s_nop 0
	buffer_load_dword v5, v5, s[0:3], 0 offen offset:12
	v_accvgpr_read_b32 v6, a108
	buffer_store_dword v1, off, s[0:3], 0 offset:336
	buffer_store_dword v1, off, s[0:3], 0 offset:340
	;; [unrolled: 1-line block ×4, first 2 shown]
	s_waitcnt vmcnt(4)
	ds_write_b128 v6, v[2:5]
.LBB100_195:
	s_or_b64 exec, exec, s[4:5]
	s_waitcnt lgkmcnt(0)
	; wave barrier
	s_waitcnt lgkmcnt(0)
	buffer_load_dword v2, off, s[0:3], 0 offset:352
	buffer_load_dword v3, off, s[0:3], 0 offset:356
	;; [unrolled: 1-line block ×64, first 2 shown]
	ds_read_b128 v[38:41], v1 offset:928
	ds_read_b128 v[42:45], v1 offset:944
	;; [unrolled: 1-line block ×4, first 2 shown]
	buffer_load_dword v132, off, s[0:3], 0 offset:336
	buffer_load_dword v133, off, s[0:3], 0 offset:340
	;; [unrolled: 1-line block ×4, first 2 shown]
	v_cmp_lt_u32_e32 vcc, 19, v0
	ds_read_b128 v[98:101], v1 offset:1168
	s_waitcnt vmcnt(62) lgkmcnt(4)
	v_mul_f64 v[54:55], v[38:39], v[4:5]
	v_fmac_f64_e32 v[54:55], v[40:41], v[2:3]
	s_waitcnt lgkmcnt(3)
	v_mul_f64 v[56:57], v[42:43], v[6:7]
	v_add_f64 v[54:55], v[54:55], 0
	s_waitcnt vmcnt(60) lgkmcnt(2)
	v_mul_f64 v[58:59], v[46:47], v[8:9]
	v_mul_f64 v[4:5], v[40:41], v[4:5]
	v_fma_f64 v[2:3], v[38:39], v[2:3], -v[4:5]
	v_mul_f64 v[4:5], v[44:45], v[6:7]
	s_waitcnt vmcnt(56) lgkmcnt(1)
	v_mul_f64 v[60:61], v[50:51], v[14:15]
	v_add_f64 v[2:3], v[2:3], 0
	s_waitcnt vmcnt(54)
	v_fmac_f64_e32 v[56:57], v[44:45], v[20:21]
	v_add_f64 v[62:63], v[54:55], v[56:57]
	ds_read_b128 v[54:57], v1 offset:992
	s_waitcnt vmcnt(52)
	v_fmac_f64_e32 v[58:59], v[48:49], v[18:19]
	v_add_f64 v[58:59], v[62:63], v[58:59]
	s_waitcnt vmcnt(50)
	v_fmac_f64_e32 v[60:61], v[52:53], v[16:17]
	v_add_f64 v[62:63], v[58:59], v[60:61]
	ds_read_b128 v[58:61], v1 offset:1008
	s_waitcnt vmcnt(48) lgkmcnt(1)
	v_mul_f64 v[64:65], v[54:55], v[10:11]
	v_fmac_f64_e32 v[64:65], v[56:57], v[12:13]
	v_add_f64 v[66:67], v[62:63], v[64:65]
	ds_read_b128 v[62:65], v1 offset:1024
	s_waitcnt vmcnt(44) lgkmcnt(1)
	v_mul_f64 v[68:69], v[58:59], v[26:27]
	s_waitcnt vmcnt(42)
	v_fmac_f64_e32 v[68:69], v[60:61], v[28:29]
	v_add_f64 v[70:71], v[66:67], v[68:69]
	ds_read_b128 v[66:69], v1 offset:1040
	s_waitcnt vmcnt(40) lgkmcnt(1)
	v_mul_f64 v[72:73], v[62:63], v[22:23]
	v_fmac_f64_e32 v[72:73], v[64:65], v[24:25]
	v_add_f64 v[74:75], v[70:71], v[72:73]
	ds_read_b128 v[70:73], v1 offset:1056
	v_fma_f64 v[4:5], v[42:43], v[20:21], -v[4:5]
	v_add_f64 v[2:3], v[2:3], v[4:5]
	v_mul_f64 v[4:5], v[48:49], v[8:9]
	s_waitcnt vmcnt(36) lgkmcnt(1)
	v_mul_f64 v[76:77], v[66:67], v[34:35]
	v_fma_f64 v[4:5], v[46:47], v[18:19], -v[4:5]
	s_waitcnt vmcnt(34)
	v_fmac_f64_e32 v[76:77], v[68:69], v[36:37]
	v_add_f64 v[2:3], v[2:3], v[4:5]
	v_mul_f64 v[4:5], v[52:53], v[14:15]
	v_add_f64 v[78:79], v[74:75], v[76:77]
	ds_read_b128 v[74:77], v1 offset:1072
	s_waitcnt vmcnt(32) lgkmcnt(1)
	v_mul_f64 v[80:81], v[70:71], v[30:31]
	v_fma_f64 v[4:5], v[50:51], v[16:17], -v[4:5]
	v_fmac_f64_e32 v[80:81], v[72:73], v[32:33]
	v_add_f64 v[2:3], v[2:3], v[4:5]
	v_mul_f64 v[4:5], v[56:57], v[10:11]
	v_add_f64 v[82:83], v[78:79], v[80:81]
	ds_read_b128 v[78:81], v1 offset:1088
	v_fma_f64 v[4:5], v[54:55], v[12:13], -v[4:5]
	v_add_f64 v[2:3], v[2:3], v[4:5]
	v_mul_f64 v[4:5], v[60:61], v[26:27]
	v_fma_f64 v[4:5], v[58:59], v[28:29], -v[4:5]
	s_waitcnt vmcnt(28) lgkmcnt(1)
	v_mul_f64 v[84:85], v[74:75], v[106:107]
	v_add_f64 v[2:3], v[2:3], v[4:5]
	v_mul_f64 v[4:5], v[64:65], v[22:23]
	s_waitcnt vmcnt(26)
	v_fmac_f64_e32 v[84:85], v[76:77], v[108:109]
	v_fma_f64 v[4:5], v[62:63], v[24:25], -v[4:5]
	v_add_f64 v[86:87], v[82:83], v[84:85]
	ds_read_b128 v[82:85], v1 offset:1104
	s_waitcnt vmcnt(24) lgkmcnt(1)
	v_mul_f64 v[88:89], v[78:79], v[102:103]
	v_add_f64 v[2:3], v[2:3], v[4:5]
	v_mul_f64 v[4:5], v[68:69], v[34:35]
	v_fmac_f64_e32 v[88:89], v[80:81], v[104:105]
	v_fma_f64 v[4:5], v[66:67], v[36:37], -v[4:5]
	v_add_f64 v[90:91], v[86:87], v[88:89]
	ds_read_b128 v[86:89], v1 offset:1120
	v_add_f64 v[2:3], v[2:3], v[4:5]
	v_mul_f64 v[4:5], v[72:73], v[30:31]
	v_fma_f64 v[4:5], v[70:71], v[32:33], -v[4:5]
	v_add_f64 v[2:3], v[2:3], v[4:5]
	v_mul_f64 v[4:5], v[76:77], v[106:107]
	s_waitcnt vmcnt(20) lgkmcnt(1)
	v_mul_f64 v[92:93], v[82:83], v[114:115]
	v_fma_f64 v[4:5], v[74:75], v[108:109], -v[4:5]
	s_waitcnt vmcnt(18)
	v_fmac_f64_e32 v[92:93], v[84:85], v[116:117]
	v_add_f64 v[2:3], v[2:3], v[4:5]
	v_mul_f64 v[4:5], v[80:81], v[102:103]
	v_add_f64 v[94:95], v[90:91], v[92:93]
	ds_read_b128 v[90:93], v1 offset:1136
	s_waitcnt vmcnt(16) lgkmcnt(1)
	v_mul_f64 v[96:97], v[86:87], v[110:111]
	v_fma_f64 v[4:5], v[78:79], v[104:105], -v[4:5]
	v_fmac_f64_e32 v[96:97], v[88:89], v[112:113]
	v_add_f64 v[2:3], v[2:3], v[4:5]
	v_mul_f64 v[4:5], v[84:85], v[114:115]
	v_add_f64 v[136:137], v[94:95], v[96:97]
	ds_read_b128 v[94:97], v1 offset:1152
	v_fma_f64 v[4:5], v[82:83], v[116:117], -v[4:5]
	v_add_f64 v[2:3], v[2:3], v[4:5]
	v_mul_f64 v[4:5], v[88:89], v[110:111]
	v_fma_f64 v[4:5], v[86:87], v[112:113], -v[4:5]
	v_add_f64 v[2:3], v[2:3], v[4:5]
	s_waitcnt vmcnt(12) lgkmcnt(1)
	v_mul_f64 v[4:5], v[92:93], v[124:125]
	v_mul_f64 v[138:139], v[90:91], v[124:125]
	s_waitcnt vmcnt(10)
	v_fma_f64 v[4:5], v[90:91], v[126:127], -v[4:5]
	v_fmac_f64_e32 v[138:139], v[92:93], v[126:127]
	v_add_f64 v[2:3], v[2:3], v[4:5]
	s_waitcnt vmcnt(8) lgkmcnt(0)
	v_mul_f64 v[4:5], v[96:97], v[120:121]
	v_add_f64 v[136:137], v[136:137], v[138:139]
	v_mul_f64 v[138:139], v[94:95], v[120:121]
	v_fma_f64 v[4:5], v[94:95], v[122:123], -v[4:5]
	v_fmac_f64_e32 v[138:139], v[96:97], v[122:123]
	v_add_f64 v[2:3], v[2:3], v[4:5]
	s_waitcnt vmcnt(6)
	v_mul_f64 v[4:5], v[100:101], v[128:129]
	v_add_f64 v[136:137], v[136:137], v[138:139]
	v_mul_f64 v[138:139], v[98:99], v[128:129]
	s_waitcnt vmcnt(4)
	v_fma_f64 v[4:5], v[98:99], v[130:131], -v[4:5]
	v_fmac_f64_e32 v[138:139], v[100:101], v[130:131]
	v_add_f64 v[2:3], v[2:3], v[4:5]
	v_add_f64 v[136:137], v[136:137], v[138:139]
	s_waitcnt vmcnt(2)
	v_add_f64 v[2:3], v[132:133], -v[2:3]
	s_waitcnt vmcnt(0)
	v_add_f64 v[4:5], v[134:135], -v[136:137]
	buffer_store_dword v3, off, s[0:3], 0 offset:340
	buffer_store_dword v2, off, s[0:3], 0 offset:336
	;; [unrolled: 1-line block ×4, first 2 shown]
	s_and_saveexec_b64 s[4:5], vcc
	s_cbranch_execz .LBB100_197
; %bb.196:
	v_accvgpr_read_b32 v1, a89
	buffer_load_dword v2, v1, s[0:3], 0 offen
	buffer_load_dword v3, v1, s[0:3], 0 offen offset:4
	buffer_load_dword v4, v1, s[0:3], 0 offen offset:8
	buffer_load_dword v5, v1, s[0:3], 0 offen offset:12
	v_mov_b32_e32 v1, 0
	v_accvgpr_read_b32 v6, a108
	buffer_store_dword v1, off, s[0:3], 0 offset:320
	buffer_store_dword v1, off, s[0:3], 0 offset:324
	;; [unrolled: 1-line block ×4, first 2 shown]
	s_waitcnt vmcnt(4)
	ds_write_b128 v6, v[2:5]
.LBB100_197:
	s_or_b64 exec, exec, s[4:5]
	s_waitcnt lgkmcnt(0)
	; wave barrier
	s_waitcnt lgkmcnt(0)
	buffer_load_dword v2, off, s[0:3], 0 offset:336
	buffer_load_dword v3, off, s[0:3], 0 offset:340
	;; [unrolled: 1-line block ×68, first 2 shown]
	v_mov_b32_e32 v1, 0
	buffer_load_dword v140, off, s[0:3], 0 offset:320
	buffer_load_dword v141, off, s[0:3], 0 offset:324
	buffer_load_dword v142, off, s[0:3], 0 offset:328
	ds_read_b128 v[46:49], v1 offset:912
	ds_read_b128 v[50:53], v1 offset:928
	buffer_load_dword v143, off, s[0:3], 0 offset:332
	ds_read_b128 v[54:57], v1 offset:944
	ds_read_b128 v[58:61], v1 offset:960
	;; [unrolled: 1-line block ×3, first 2 shown]
	v_cmp_lt_u32_e32 vcc, 18, v0
	s_waitcnt vmcnt(62) lgkmcnt(4)
	v_mul_f64 v[62:63], v[46:47], v[6:7]
	v_fmac_f64_e32 v[62:63], v[48:49], v[2:3]
	v_add_f64 v[62:63], v[62:63], 0
	v_mul_f64 v[6:7], v[48:49], v[6:7]
	s_waitcnt lgkmcnt(3)
	v_mul_f64 v[64:65], v[50:51], v[10:11]
	v_fmac_f64_e32 v[64:65], v[52:53], v[4:5]
	v_add_f64 v[62:63], v[62:63], v[64:65]
	v_fma_f64 v[2:3], v[46:47], v[2:3], -v[6:7]
	s_waitcnt vmcnt(60) lgkmcnt(2)
	v_mul_f64 v[64:65], v[54:55], v[12:13]
	v_fmac_f64_e32 v[64:65], v[56:57], v[8:9]
	v_add_f64 v[66:67], v[62:63], v[64:65]
	ds_read_b128 v[62:65], v1 offset:976
	s_waitcnt vmcnt(56) lgkmcnt(2)
	v_mul_f64 v[68:69], v[58:59], v[18:19]
	v_mul_f64 v[6:7], v[52:53], v[10:11]
	s_waitcnt vmcnt(54)
	v_fmac_f64_e32 v[68:69], v[60:61], v[20:21]
	v_add_f64 v[70:71], v[66:67], v[68:69]
	ds_read_b128 v[66:69], v1 offset:992
	s_waitcnt vmcnt(53) lgkmcnt(1)
	v_mul_f64 v[72:73], v[62:63], v[14:15]
	s_waitcnt vmcnt(52)
	v_fmac_f64_e32 v[72:73], v[64:65], v[16:17]
	v_add_f64 v[74:75], v[70:71], v[72:73]
	ds_read_b128 v[70:73], v1 offset:1008
	s_waitcnt vmcnt(48) lgkmcnt(1)
	;; [unrolled: 6-line block ×4, first 2 shown]
	v_mul_f64 v[84:85], v[74:75], v[34:35]
	s_waitcnt vmcnt(38)
	v_fmac_f64_e32 v[84:85], v[76:77], v[36:37]
	v_add_f64 v[2:3], v[2:3], 0
	v_fma_f64 v[4:5], v[50:51], v[4:5], -v[6:7]
	v_add_f64 v[86:87], v[82:83], v[84:85]
	ds_read_b128 v[82:85], v1 offset:1056
	v_add_f64 v[2:3], v[2:3], v[4:5]
	v_mul_f64 v[4:5], v[56:57], v[12:13]
	v_fma_f64 v[4:5], v[54:55], v[8:9], -v[4:5]
	v_add_f64 v[2:3], v[2:3], v[4:5]
	v_mul_f64 v[4:5], v[60:61], v[18:19]
	s_waitcnt vmcnt(37) lgkmcnt(1)
	v_mul_f64 v[88:89], v[78:79], v[30:31]
	v_fma_f64 v[4:5], v[58:59], v[20:21], -v[4:5]
	s_waitcnt vmcnt(36)
	v_fmac_f64_e32 v[88:89], v[80:81], v[32:33]
	v_add_f64 v[2:3], v[2:3], v[4:5]
	v_mul_f64 v[4:5], v[64:65], v[14:15]
	v_add_f64 v[90:91], v[86:87], v[88:89]
	ds_read_b128 v[86:89], v1 offset:1072
	s_waitcnt vmcnt(32) lgkmcnt(1)
	v_mul_f64 v[92:93], v[82:83], v[42:43]
	v_fma_f64 v[4:5], v[62:63], v[16:17], -v[4:5]
	s_waitcnt vmcnt(30)
	v_fmac_f64_e32 v[92:93], v[84:85], v[44:45]
	v_add_f64 v[2:3], v[2:3], v[4:5]
	v_mul_f64 v[4:5], v[68:69], v[26:27]
	v_add_f64 v[94:95], v[90:91], v[92:93]
	ds_read_b128 v[90:93], v1 offset:1088
	v_fma_f64 v[4:5], v[66:67], v[28:29], -v[4:5]
	v_add_f64 v[2:3], v[2:3], v[4:5]
	v_mul_f64 v[4:5], v[72:73], v[22:23]
	v_fma_f64 v[4:5], v[70:71], v[24:25], -v[4:5]
	s_waitcnt vmcnt(29) lgkmcnt(1)
	v_mul_f64 v[96:97], v[86:87], v[38:39]
	v_add_f64 v[2:3], v[2:3], v[4:5]
	v_mul_f64 v[4:5], v[76:77], v[34:35]
	s_waitcnt vmcnt(28)
	v_fmac_f64_e32 v[96:97], v[88:89], v[40:41]
	v_fma_f64 v[4:5], v[74:75], v[36:37], -v[4:5]
	v_add_f64 v[98:99], v[94:95], v[96:97]
	ds_read_b128 v[94:97], v1 offset:1104
	s_waitcnt vmcnt(24) lgkmcnt(1)
	v_mul_f64 v[100:101], v[90:91], v[120:121]
	v_add_f64 v[2:3], v[2:3], v[4:5]
	v_mul_f64 v[4:5], v[80:81], v[30:31]
	s_waitcnt vmcnt(22)
	v_fmac_f64_e32 v[100:101], v[92:93], v[122:123]
	v_fma_f64 v[4:5], v[78:79], v[32:33], -v[4:5]
	v_add_f64 v[102:103], v[98:99], v[100:101]
	ds_read_b128 v[98:101], v1 offset:1120
	v_add_f64 v[2:3], v[2:3], v[4:5]
	v_mul_f64 v[4:5], v[84:85], v[42:43]
	v_fma_f64 v[4:5], v[82:83], v[44:45], -v[4:5]
	v_add_f64 v[2:3], v[2:3], v[4:5]
	v_mul_f64 v[4:5], v[88:89], v[38:39]
	s_waitcnt vmcnt(21) lgkmcnt(1)
	v_mul_f64 v[104:105], v[94:95], v[114:115]
	v_fma_f64 v[4:5], v[86:87], v[40:41], -v[4:5]
	s_waitcnt vmcnt(20)
	v_fmac_f64_e32 v[104:105], v[96:97], v[116:117]
	v_add_f64 v[2:3], v[2:3], v[4:5]
	v_mul_f64 v[4:5], v[92:93], v[120:121]
	v_add_f64 v[106:107], v[102:103], v[104:105]
	ds_read_b128 v[102:105], v1 offset:1136
	s_waitcnt vmcnt(16) lgkmcnt(1)
	v_mul_f64 v[108:109], v[98:99], v[128:129]
	v_fma_f64 v[4:5], v[90:91], v[122:123], -v[4:5]
	s_waitcnt vmcnt(14)
	v_fmac_f64_e32 v[108:109], v[100:101], v[130:131]
	v_add_f64 v[2:3], v[2:3], v[4:5]
	v_mul_f64 v[4:5], v[96:97], v[114:115]
	v_add_f64 v[144:145], v[106:107], v[108:109]
	ds_read_b128 v[106:109], v1 offset:1152
	v_fma_f64 v[4:5], v[94:95], v[116:117], -v[4:5]
	v_add_f64 v[2:3], v[2:3], v[4:5]
	v_mul_f64 v[4:5], v[100:101], v[128:129]
	v_fma_f64 v[4:5], v[98:99], v[130:131], -v[4:5]
	v_add_f64 v[2:3], v[2:3], v[4:5]
	s_waitcnt vmcnt(13) lgkmcnt(1)
	v_mul_f64 v[4:5], v[104:105], v[124:125]
	v_mul_f64 v[146:147], v[102:103], v[124:125]
	s_waitcnt vmcnt(12)
	v_fma_f64 v[4:5], v[102:103], v[126:127], -v[4:5]
	v_fmac_f64_e32 v[146:147], v[104:105], v[126:127]
	v_add_f64 v[2:3], v[2:3], v[4:5]
	s_waitcnt vmcnt(8) lgkmcnt(0)
	v_mul_f64 v[4:5], v[108:109], v[136:137]
	v_add_f64 v[144:145], v[144:145], v[146:147]
	v_mul_f64 v[146:147], v[106:107], v[136:137]
	s_waitcnt vmcnt(6)
	v_fma_f64 v[4:5], v[106:107], v[138:139], -v[4:5]
	v_fmac_f64_e32 v[146:147], v[108:109], v[138:139]
	v_add_f64 v[2:3], v[2:3], v[4:5]
	s_waitcnt vmcnt(5)
	v_mul_f64 v[4:5], v[112:113], v[132:133]
	v_add_f64 v[144:145], v[144:145], v[146:147]
	v_mul_f64 v[146:147], v[110:111], v[132:133]
	s_waitcnt vmcnt(4)
	v_fma_f64 v[4:5], v[110:111], v[134:135], -v[4:5]
	v_fmac_f64_e32 v[146:147], v[112:113], v[134:135]
	v_add_f64 v[2:3], v[2:3], v[4:5]
	v_add_f64 v[144:145], v[144:145], v[146:147]
	s_waitcnt vmcnt(2)
	v_add_f64 v[2:3], v[140:141], -v[2:3]
	s_waitcnt vmcnt(0)
	v_add_f64 v[4:5], v[142:143], -v[144:145]
	buffer_store_dword v3, off, s[0:3], 0 offset:324
	buffer_store_dword v2, off, s[0:3], 0 offset:320
	;; [unrolled: 1-line block ×4, first 2 shown]
	s_and_saveexec_b64 s[4:5], vcc
	s_cbranch_execz .LBB100_199
; %bb.198:
	v_accvgpr_read_b32 v5, a90
	buffer_load_dword v2, v5, s[0:3], 0 offen
	buffer_load_dword v3, v5, s[0:3], 0 offen offset:4
	buffer_load_dword v4, v5, s[0:3], 0 offen offset:8
	s_nop 0
	buffer_load_dword v5, v5, s[0:3], 0 offen offset:12
	v_accvgpr_read_b32 v6, a108
	buffer_store_dword v1, off, s[0:3], 0 offset:304
	buffer_store_dword v1, off, s[0:3], 0 offset:308
	;; [unrolled: 1-line block ×4, first 2 shown]
	s_waitcnt vmcnt(4)
	ds_write_b128 v6, v[2:5]
.LBB100_199:
	s_or_b64 exec, exec, s[4:5]
	s_waitcnt lgkmcnt(0)
	; wave barrier
	s_waitcnt lgkmcnt(0)
	buffer_load_dword v2, off, s[0:3], 0 offset:320
	buffer_load_dword v3, off, s[0:3], 0 offset:324
	;; [unrolled: 1-line block ×72, first 2 shown]
	ds_read_b128 v[52:55], v1 offset:896
	buffer_load_dword v148, off, s[0:3], 0 offset:304
	buffer_load_dword v149, off, s[0:3], 0 offset:308
	;; [unrolled: 1-line block ×4, first 2 shown]
	ds_read_b128 v[56:59], v1 offset:912
	ds_read_b128 v[60:63], v1 offset:928
	;; [unrolled: 1-line block ×3, first 2 shown]
	v_cmp_lt_u32_e32 vcc, 17, v0
	ds_read_b128 v[124:127], v1 offset:1168
	s_waitcnt vmcnt(62) lgkmcnt(4)
	v_mul_f64 v[68:69], v[52:53], v[8:9]
	v_fmac_f64_e32 v[68:69], v[54:55], v[2:3]
	v_add_f64 v[68:69], v[68:69], 0
	v_mul_f64 v[8:9], v[54:55], v[8:9]
	s_waitcnt lgkmcnt(3)
	v_mul_f64 v[70:71], v[56:57], v[10:11]
	v_fmac_f64_e32 v[70:71], v[58:59], v[4:5]
	v_add_f64 v[68:69], v[68:69], v[70:71]
	v_fma_f64 v[2:3], v[52:53], v[2:3], -v[8:9]
	s_waitcnt lgkmcnt(2)
	v_mul_f64 v[70:71], v[60:61], v[12:13]
	v_fmac_f64_e32 v[70:71], v[62:63], v[6:7]
	v_add_f64 v[72:73], v[68:69], v[70:71]
	ds_read_b128 v[68:71], v1 offset:960
	s_waitcnt vmcnt(60) lgkmcnt(2)
	v_mul_f64 v[74:75], v[64:65], v[18:19]
	v_mul_f64 v[8:9], v[58:59], v[10:11]
	s_waitcnt vmcnt(58)
	v_fmac_f64_e32 v[74:75], v[66:67], v[20:21]
	v_add_f64 v[76:77], v[72:73], v[74:75]
	ds_read_b128 v[72:75], v1 offset:976
	s_waitcnt vmcnt(57) lgkmcnt(1)
	v_mul_f64 v[78:79], v[68:69], v[14:15]
	s_waitcnt vmcnt(56)
	v_fmac_f64_e32 v[78:79], v[70:71], v[16:17]
	v_add_f64 v[80:81], v[76:77], v[78:79]
	ds_read_b128 v[76:79], v1 offset:992
	s_waitcnt vmcnt(52) lgkmcnt(1)
	;; [unrolled: 6-line block ×4, first 2 shown]
	v_mul_f64 v[90:91], v[80:81], v[34:35]
	s_waitcnt vmcnt(42)
	v_fmac_f64_e32 v[90:91], v[82:83], v[36:37]
	v_add_f64 v[2:3], v[2:3], 0
	v_fma_f64 v[4:5], v[56:57], v[4:5], -v[8:9]
	v_add_f64 v[92:93], v[88:89], v[90:91]
	ds_read_b128 v[88:91], v1 offset:1040
	s_waitcnt vmcnt(41) lgkmcnt(1)
	v_mul_f64 v[94:95], v[84:85], v[30:31]
	v_add_f64 v[2:3], v[2:3], v[4:5]
	v_mul_f64 v[4:5], v[62:63], v[12:13]
	s_waitcnt vmcnt(40)
	v_fmac_f64_e32 v[94:95], v[86:87], v[32:33]
	v_fma_f64 v[4:5], v[60:61], v[6:7], -v[4:5]
	v_add_f64 v[96:97], v[92:93], v[94:95]
	ds_read_b128 v[92:95], v1 offset:1056
	v_add_f64 v[2:3], v[2:3], v[4:5]
	v_mul_f64 v[4:5], v[66:67], v[18:19]
	v_fma_f64 v[4:5], v[64:65], v[20:21], -v[4:5]
	v_add_f64 v[2:3], v[2:3], v[4:5]
	v_mul_f64 v[4:5], v[70:71], v[14:15]
	s_waitcnt vmcnt(36) lgkmcnt(1)
	v_mul_f64 v[98:99], v[88:89], v[42:43]
	v_fma_f64 v[4:5], v[68:69], v[16:17], -v[4:5]
	s_waitcnt vmcnt(34)
	v_fmac_f64_e32 v[98:99], v[90:91], v[44:45]
	v_add_f64 v[2:3], v[2:3], v[4:5]
	v_mul_f64 v[4:5], v[74:75], v[26:27]
	v_add_f64 v[100:101], v[96:97], v[98:99]
	ds_read_b128 v[96:99], v1 offset:1072
	s_waitcnt vmcnt(33) lgkmcnt(1)
	v_mul_f64 v[102:103], v[92:93], v[38:39]
	v_fma_f64 v[4:5], v[72:73], v[28:29], -v[4:5]
	s_waitcnt vmcnt(32)
	v_fmac_f64_e32 v[102:103], v[94:95], v[40:41]
	v_add_f64 v[2:3], v[2:3], v[4:5]
	v_mul_f64 v[4:5], v[78:79], v[22:23]
	v_add_f64 v[104:105], v[100:101], v[102:103]
	ds_read_b128 v[100:103], v1 offset:1088
	v_fma_f64 v[4:5], v[76:77], v[24:25], -v[4:5]
	v_add_f64 v[2:3], v[2:3], v[4:5]
	v_mul_f64 v[4:5], v[82:83], v[34:35]
	v_fma_f64 v[4:5], v[80:81], v[36:37], -v[4:5]
	s_waitcnt vmcnt(28) lgkmcnt(1)
	v_mul_f64 v[106:107], v[96:97], v[50:51]
	v_add_f64 v[2:3], v[2:3], v[4:5]
	v_mul_f64 v[4:5], v[86:87], v[30:31]
	s_waitcnt vmcnt(26)
	v_fmac_f64_e32 v[106:107], v[98:99], v[116:117]
	v_fma_f64 v[4:5], v[84:85], v[32:33], -v[4:5]
	v_add_f64 v[108:109], v[104:105], v[106:107]
	ds_read_b128 v[104:107], v1 offset:1104
	s_waitcnt vmcnt(25) lgkmcnt(1)
	v_mul_f64 v[110:111], v[100:101], v[46:47]
	v_add_f64 v[2:3], v[2:3], v[4:5]
	v_mul_f64 v[4:5], v[90:91], v[42:43]
	s_waitcnt vmcnt(24)
	v_fmac_f64_e32 v[110:111], v[102:103], v[48:49]
	v_fma_f64 v[4:5], v[88:89], v[44:45], -v[4:5]
	v_add_f64 v[112:113], v[108:109], v[110:111]
	ds_read_b128 v[108:111], v1 offset:1120
	v_add_f64 v[2:3], v[2:3], v[4:5]
	v_mul_f64 v[4:5], v[94:95], v[38:39]
	v_fma_f64 v[4:5], v[92:93], v[40:41], -v[4:5]
	v_add_f64 v[2:3], v[2:3], v[4:5]
	v_mul_f64 v[4:5], v[98:99], v[50:51]
	s_waitcnt vmcnt(20) lgkmcnt(1)
	v_mul_f64 v[114:115], v[104:105], v[132:133]
	v_fma_f64 v[4:5], v[96:97], v[116:117], -v[4:5]
	s_waitcnt vmcnt(18)
	v_fmac_f64_e32 v[114:115], v[106:107], v[134:135]
	v_add_f64 v[2:3], v[2:3], v[4:5]
	v_mul_f64 v[4:5], v[102:103], v[46:47]
	v_add_f64 v[120:121], v[112:113], v[114:115]
	ds_read_b128 v[112:115], v1 offset:1136
	s_waitcnt vmcnt(17) lgkmcnt(1)
	v_mul_f64 v[122:123], v[108:109], v[128:129]
	v_fma_f64 v[4:5], v[100:101], v[48:49], -v[4:5]
	s_waitcnt vmcnt(16)
	v_fmac_f64_e32 v[122:123], v[110:111], v[130:131]
	v_add_f64 v[2:3], v[2:3], v[4:5]
	v_mul_f64 v[4:5], v[106:107], v[132:133]
	v_add_f64 v[152:153], v[120:121], v[122:123]
	ds_read_b128 v[120:123], v1 offset:1152
	v_fma_f64 v[4:5], v[104:105], v[134:135], -v[4:5]
	v_add_f64 v[2:3], v[2:3], v[4:5]
	v_mul_f64 v[4:5], v[110:111], v[128:129]
	v_fma_f64 v[4:5], v[108:109], v[130:131], -v[4:5]
	v_add_f64 v[2:3], v[2:3], v[4:5]
	s_waitcnt vmcnt(12) lgkmcnt(1)
	v_mul_f64 v[4:5], v[114:115], v[140:141]
	v_mul_f64 v[154:155], v[112:113], v[140:141]
	s_waitcnt vmcnt(10)
	v_fma_f64 v[4:5], v[112:113], v[142:143], -v[4:5]
	v_fmac_f64_e32 v[154:155], v[114:115], v[142:143]
	v_add_f64 v[2:3], v[2:3], v[4:5]
	s_waitcnt vmcnt(9) lgkmcnt(0)
	v_mul_f64 v[4:5], v[122:123], v[136:137]
	v_add_f64 v[152:153], v[152:153], v[154:155]
	v_mul_f64 v[154:155], v[120:121], v[136:137]
	s_waitcnt vmcnt(8)
	v_fma_f64 v[4:5], v[120:121], v[138:139], -v[4:5]
	v_fmac_f64_e32 v[154:155], v[122:123], v[138:139]
	v_add_f64 v[2:3], v[2:3], v[4:5]
	s_waitcnt vmcnt(6)
	v_mul_f64 v[4:5], v[126:127], v[144:145]
	v_add_f64 v[152:153], v[152:153], v[154:155]
	v_mul_f64 v[154:155], v[124:125], v[144:145]
	s_waitcnt vmcnt(4)
	v_fma_f64 v[4:5], v[124:125], v[146:147], -v[4:5]
	v_fmac_f64_e32 v[154:155], v[126:127], v[146:147]
	v_add_f64 v[2:3], v[2:3], v[4:5]
	v_add_f64 v[152:153], v[152:153], v[154:155]
	s_waitcnt vmcnt(2)
	v_add_f64 v[2:3], v[148:149], -v[2:3]
	s_waitcnt vmcnt(0)
	v_add_f64 v[4:5], v[150:151], -v[152:153]
	buffer_store_dword v3, off, s[0:3], 0 offset:308
	buffer_store_dword v2, off, s[0:3], 0 offset:304
	;; [unrolled: 1-line block ×4, first 2 shown]
	s_and_saveexec_b64 s[4:5], vcc
	s_cbranch_execz .LBB100_201
; %bb.200:
	v_accvgpr_read_b32 v1, a91
	buffer_load_dword v2, v1, s[0:3], 0 offen
	buffer_load_dword v3, v1, s[0:3], 0 offen offset:4
	buffer_load_dword v4, v1, s[0:3], 0 offen offset:8
	;; [unrolled: 1-line block ×3, first 2 shown]
	v_mov_b32_e32 v1, 0
	v_accvgpr_read_b32 v6, a108
	buffer_store_dword v1, off, s[0:3], 0 offset:288
	buffer_store_dword v1, off, s[0:3], 0 offset:292
	;; [unrolled: 1-line block ×4, first 2 shown]
	s_waitcnt vmcnt(4)
	ds_write_b128 v6, v[2:5]
.LBB100_201:
	s_or_b64 exec, exec, s[4:5]
	s_waitcnt lgkmcnt(0)
	; wave barrier
	s_waitcnt lgkmcnt(0)
	buffer_load_dword v2, off, s[0:3], 0 offset:304
	buffer_load_dword v3, off, s[0:3], 0 offset:308
	;; [unrolled: 1-line block ×76, first 2 shown]
	v_mov_b32_e32 v1, 0
	ds_read_b128 v[54:57], v1 offset:880
	buffer_load_dword v156, off, s[0:3], 0 offset:288
	buffer_load_dword v157, off, s[0:3], 0 offset:292
	buffer_load_dword v158, off, s[0:3], 0 offset:296
	buffer_load_dword v159, off, s[0:3], 0 offset:300
	ds_read_b128 v[58:61], v1 offset:896
	ds_read_b128 v[62:65], v1 offset:912
	ds_read_b128 v[66:69], v1 offset:928
	ds_read_b128 v[128:131], v1 offset:1168
	v_cmp_lt_u32_e32 vcc, 16, v0
	s_waitcnt vmcnt(62) lgkmcnt(4)
	v_mul_f64 v[70:71], v[54:55], v[8:9]
	v_fmac_f64_e32 v[70:71], v[56:57], v[2:3]
	v_add_f64 v[70:71], v[70:71], 0
	v_mul_f64 v[8:9], v[56:57], v[8:9]
	s_waitcnt lgkmcnt(3)
	v_mul_f64 v[72:73], v[58:59], v[10:11]
	v_fmac_f64_e32 v[72:73], v[60:61], v[4:5]
	v_add_f64 v[70:71], v[70:71], v[72:73]
	v_fma_f64 v[2:3], v[54:55], v[2:3], -v[8:9]
	s_waitcnt lgkmcnt(2)
	v_mul_f64 v[72:73], v[62:63], v[12:13]
	v_fmac_f64_e32 v[72:73], v[64:65], v[6:7]
	v_add_f64 v[74:75], v[70:71], v[72:73]
	ds_read_b128 v[70:73], v1 offset:944
	s_waitcnt lgkmcnt(2)
	v_mul_f64 v[76:77], v[66:67], v[18:19]
	v_mul_f64 v[8:9], v[60:61], v[10:11]
	v_fmac_f64_e32 v[76:77], v[68:69], v[20:21]
	v_add_f64 v[78:79], v[74:75], v[76:77]
	ds_read_b128 v[74:77], v1 offset:960
	s_waitcnt vmcnt(61) lgkmcnt(1)
	v_mul_f64 v[80:81], v[70:71], v[14:15]
	s_waitcnt vmcnt(60)
	v_fmac_f64_e32 v[80:81], v[72:73], v[16:17]
	v_add_f64 v[82:83], v[78:79], v[80:81]
	ds_read_b128 v[78:81], v1 offset:976
	s_waitcnt vmcnt(56) lgkmcnt(1)
	v_mul_f64 v[84:85], v[74:75], v[26:27]
	s_waitcnt vmcnt(54)
	;; [unrolled: 6-line block ×4, first 2 shown]
	v_fmac_f64_e32 v[92:93], v[84:85], v[36:37]
	v_add_f64 v[94:95], v[90:91], v[92:93]
	ds_read_b128 v[90:93], v1 offset:1024
	v_add_f64 v[2:3], v[2:3], 0
	v_fma_f64 v[4:5], v[58:59], v[4:5], -v[8:9]
	s_waitcnt vmcnt(45) lgkmcnt(1)
	v_mul_f64 v[96:97], v[86:87], v[30:31]
	v_add_f64 v[2:3], v[2:3], v[4:5]
	v_mul_f64 v[4:5], v[64:65], v[12:13]
	s_waitcnt vmcnt(44)
	v_fmac_f64_e32 v[96:97], v[88:89], v[32:33]
	v_fma_f64 v[4:5], v[62:63], v[6:7], -v[4:5]
	v_add_f64 v[98:99], v[94:95], v[96:97]
	ds_read_b128 v[94:97], v1 offset:1040
	s_waitcnt vmcnt(40) lgkmcnt(1)
	v_mul_f64 v[100:101], v[90:91], v[42:43]
	v_add_f64 v[2:3], v[2:3], v[4:5]
	v_mul_f64 v[4:5], v[68:69], v[18:19]
	s_waitcnt vmcnt(38)
	v_fmac_f64_e32 v[100:101], v[92:93], v[44:45]
	v_fma_f64 v[4:5], v[66:67], v[20:21], -v[4:5]
	v_add_f64 v[102:103], v[98:99], v[100:101]
	ds_read_b128 v[98:101], v1 offset:1056
	v_add_f64 v[2:3], v[2:3], v[4:5]
	v_mul_f64 v[4:5], v[72:73], v[14:15]
	v_fma_f64 v[4:5], v[70:71], v[16:17], -v[4:5]
	v_add_f64 v[2:3], v[2:3], v[4:5]
	v_mul_f64 v[4:5], v[76:77], v[26:27]
	s_waitcnt vmcnt(37) lgkmcnt(1)
	v_mul_f64 v[104:105], v[94:95], v[38:39]
	v_fma_f64 v[4:5], v[74:75], v[28:29], -v[4:5]
	s_waitcnt vmcnt(36)
	v_fmac_f64_e32 v[104:105], v[96:97], v[40:41]
	v_add_f64 v[2:3], v[2:3], v[4:5]
	v_mul_f64 v[4:5], v[80:81], v[22:23]
	v_add_f64 v[106:107], v[102:103], v[104:105]
	ds_read_b128 v[102:105], v1 offset:1072
	s_waitcnt vmcnt(32) lgkmcnt(1)
	v_mul_f64 v[108:109], v[98:99], v[50:51]
	v_fma_f64 v[4:5], v[78:79], v[24:25], -v[4:5]
	s_waitcnt vmcnt(30)
	v_fmac_f64_e32 v[108:109], v[100:101], v[52:53]
	v_add_f64 v[2:3], v[2:3], v[4:5]
	v_mul_f64 v[4:5], v[84:85], v[34:35]
	v_add_f64 v[110:111], v[106:107], v[108:109]
	ds_read_b128 v[106:109], v1 offset:1088
	v_fma_f64 v[4:5], v[82:83], v[36:37], -v[4:5]
	v_add_f64 v[2:3], v[2:3], v[4:5]
	v_mul_f64 v[4:5], v[88:89], v[30:31]
	v_fma_f64 v[4:5], v[86:87], v[32:33], -v[4:5]
	s_waitcnt vmcnt(29) lgkmcnt(1)
	v_mul_f64 v[112:113], v[102:103], v[46:47]
	v_add_f64 v[2:3], v[2:3], v[4:5]
	v_mul_f64 v[4:5], v[92:93], v[42:43]
	s_waitcnt vmcnt(28)
	v_fmac_f64_e32 v[112:113], v[104:105], v[48:49]
	v_fma_f64 v[4:5], v[90:91], v[44:45], -v[4:5]
	v_add_f64 v[114:115], v[110:111], v[112:113]
	ds_read_b128 v[110:113], v1 offset:1104
	s_waitcnt vmcnt(24) lgkmcnt(1)
	v_mul_f64 v[116:117], v[106:107], v[136:137]
	v_add_f64 v[2:3], v[2:3], v[4:5]
	v_mul_f64 v[4:5], v[96:97], v[38:39]
	s_waitcnt vmcnt(22)
	v_fmac_f64_e32 v[116:117], v[108:109], v[138:139]
	v_fma_f64 v[4:5], v[94:95], v[40:41], -v[4:5]
	v_add_f64 v[120:121], v[114:115], v[116:117]
	ds_read_b128 v[114:117], v1 offset:1120
	v_add_f64 v[2:3], v[2:3], v[4:5]
	v_mul_f64 v[4:5], v[100:101], v[50:51]
	v_fma_f64 v[4:5], v[98:99], v[52:53], -v[4:5]
	v_add_f64 v[2:3], v[2:3], v[4:5]
	v_mul_f64 v[4:5], v[104:105], v[46:47]
	s_waitcnt vmcnt(21) lgkmcnt(1)
	v_mul_f64 v[122:123], v[110:111], v[132:133]
	v_fma_f64 v[4:5], v[102:103], v[48:49], -v[4:5]
	s_waitcnt vmcnt(20)
	v_fmac_f64_e32 v[122:123], v[112:113], v[134:135]
	v_add_f64 v[2:3], v[2:3], v[4:5]
	v_mul_f64 v[4:5], v[108:109], v[136:137]
	v_add_f64 v[124:125], v[120:121], v[122:123]
	ds_read_b128 v[120:123], v1 offset:1136
	s_waitcnt vmcnt(16) lgkmcnt(1)
	v_mul_f64 v[126:127], v[114:115], v[144:145]
	v_fma_f64 v[4:5], v[106:107], v[138:139], -v[4:5]
	s_waitcnt vmcnt(14)
	v_fmac_f64_e32 v[126:127], v[116:117], v[146:147]
	v_add_f64 v[2:3], v[2:3], v[4:5]
	v_mul_f64 v[4:5], v[112:113], v[132:133]
	v_add_f64 v[160:161], v[124:125], v[126:127]
	ds_read_b128 v[124:127], v1 offset:1152
	v_fma_f64 v[4:5], v[110:111], v[134:135], -v[4:5]
	v_add_f64 v[2:3], v[2:3], v[4:5]
	v_mul_f64 v[4:5], v[116:117], v[144:145]
	v_fma_f64 v[4:5], v[114:115], v[146:147], -v[4:5]
	v_add_f64 v[2:3], v[2:3], v[4:5]
	s_waitcnt vmcnt(13) lgkmcnt(1)
	v_mul_f64 v[4:5], v[122:123], v[140:141]
	v_mul_f64 v[162:163], v[120:121], v[140:141]
	s_waitcnt vmcnt(12)
	v_fma_f64 v[4:5], v[120:121], v[142:143], -v[4:5]
	v_fmac_f64_e32 v[162:163], v[122:123], v[142:143]
	v_add_f64 v[2:3], v[2:3], v[4:5]
	s_waitcnt vmcnt(8) lgkmcnt(0)
	v_mul_f64 v[4:5], v[126:127], v[152:153]
	v_add_f64 v[160:161], v[160:161], v[162:163]
	v_mul_f64 v[162:163], v[124:125], v[152:153]
	s_waitcnt vmcnt(6)
	v_fma_f64 v[4:5], v[124:125], v[154:155], -v[4:5]
	v_fmac_f64_e32 v[162:163], v[126:127], v[154:155]
	v_add_f64 v[2:3], v[2:3], v[4:5]
	s_waitcnt vmcnt(5)
	v_mul_f64 v[4:5], v[130:131], v[148:149]
	v_add_f64 v[160:161], v[160:161], v[162:163]
	v_mul_f64 v[162:163], v[128:129], v[148:149]
	s_waitcnt vmcnt(4)
	v_fma_f64 v[4:5], v[128:129], v[150:151], -v[4:5]
	v_fmac_f64_e32 v[162:163], v[130:131], v[150:151]
	v_add_f64 v[2:3], v[2:3], v[4:5]
	v_add_f64 v[160:161], v[160:161], v[162:163]
	s_waitcnt vmcnt(2)
	v_add_f64 v[2:3], v[156:157], -v[2:3]
	s_waitcnt vmcnt(0)
	v_add_f64 v[4:5], v[158:159], -v[160:161]
	buffer_store_dword v3, off, s[0:3], 0 offset:292
	buffer_store_dword v2, off, s[0:3], 0 offset:288
	;; [unrolled: 1-line block ×4, first 2 shown]
	s_and_saveexec_b64 s[4:5], vcc
	s_cbranch_execz .LBB100_203
; %bb.202:
	v_accvgpr_read_b32 v5, a92
	buffer_load_dword v2, v5, s[0:3], 0 offen
	buffer_load_dword v3, v5, s[0:3], 0 offen offset:4
	buffer_load_dword v4, v5, s[0:3], 0 offen offset:8
	s_nop 0
	buffer_load_dword v5, v5, s[0:3], 0 offen offset:12
	v_accvgpr_read_b32 v6, a108
	buffer_store_dword v1, off, s[0:3], 0 offset:272
	buffer_store_dword v1, off, s[0:3], 0 offset:276
	buffer_store_dword v1, off, s[0:3], 0 offset:280
	buffer_store_dword v1, off, s[0:3], 0 offset:284
	s_waitcnt vmcnt(4)
	ds_write_b128 v6, v[2:5]
.LBB100_203:
	s_or_b64 exec, exec, s[4:5]
	s_waitcnt lgkmcnt(0)
	; wave barrier
	s_waitcnt lgkmcnt(0)
	buffer_load_dword v2, off, s[0:3], 0 offset:288
	buffer_load_dword v3, off, s[0:3], 0 offset:292
	;; [unrolled: 1-line block ×76, first 2 shown]
	ds_read_b128 v[54:57], v1 offset:864
	buffer_load_dword v161, off, s[0:3], 0 offset:604
	buffer_load_dword v160, off, s[0:3], 0 offset:600
	;; [unrolled: 1-line block ×8, first 2 shown]
	ds_read_b128 v[58:61], v1 offset:880
	ds_read_b128 v[62:65], v1 offset:896
	;; [unrolled: 1-line block ×3, first 2 shown]
	v_cmp_lt_u32_e32 vcc, 15, v0
	ds_read_b128 v[132:135], v1 offset:1168
	s_waitcnt vmcnt(62) lgkmcnt(4)
	v_mul_f64 v[70:71], v[54:55], v[8:9]
	v_fmac_f64_e32 v[70:71], v[56:57], v[2:3]
	v_add_f64 v[70:71], v[70:71], 0
	v_mul_f64 v[8:9], v[56:57], v[8:9]
	s_waitcnt lgkmcnt(3)
	v_mul_f64 v[72:73], v[58:59], v[10:11]
	v_fmac_f64_e32 v[72:73], v[60:61], v[4:5]
	v_add_f64 v[70:71], v[70:71], v[72:73]
	v_fma_f64 v[2:3], v[54:55], v[2:3], -v[8:9]
	s_waitcnt lgkmcnt(2)
	v_mul_f64 v[72:73], v[62:63], v[12:13]
	v_fmac_f64_e32 v[72:73], v[64:65], v[6:7]
	v_add_f64 v[74:75], v[70:71], v[72:73]
	ds_read_b128 v[70:73], v1 offset:928
	v_mul_f64 v[8:9], v[60:61], v[10:11]
	v_add_f64 v[2:3], v[2:3], 0
	s_waitcnt lgkmcnt(2)
	v_mul_f64 v[76:77], v[66:67], v[18:19]
	v_fma_f64 v[4:5], v[58:59], v[4:5], -v[8:9]
	v_fmac_f64_e32 v[76:77], v[68:69], v[20:21]
	v_add_f64 v[78:79], v[74:75], v[76:77]
	ds_read_b128 v[74:77], v1 offset:944
	s_waitcnt lgkmcnt(1)
	v_mul_f64 v[80:81], v[70:71], v[14:15]
	v_fmac_f64_e32 v[80:81], v[72:73], v[16:17]
	v_add_f64 v[82:83], v[78:79], v[80:81]
	ds_read_b128 v[78:81], v1 offset:960
	s_waitcnt vmcnt(58) lgkmcnt(1)
	v_mul_f64 v[84:85], v[74:75], v[26:27]
	s_waitcnt vmcnt(56)
	v_fmac_f64_e32 v[84:85], v[76:77], v[28:29]
	v_add_f64 v[86:87], v[82:83], v[84:85]
	ds_read_b128 v[82:85], v1 offset:976
	s_waitcnt lgkmcnt(1)
	v_mul_f64 v[88:89], v[78:79], v[22:23]
	v_fmac_f64_e32 v[88:89], v[80:81], v[24:25]
	v_add_f64 v[90:91], v[86:87], v[88:89]
	ds_read_b128 v[86:89], v1 offset:992
	s_waitcnt vmcnt(50) lgkmcnt(1)
	v_mul_f64 v[92:93], v[82:83], v[34:35]
	s_waitcnt vmcnt(48)
	v_fmac_f64_e32 v[92:93], v[84:85], v[36:37]
	v_add_f64 v[94:95], v[90:91], v[92:93]
	ds_read_b128 v[90:93], v1 offset:1008
	s_waitcnt lgkmcnt(1)
	v_mul_f64 v[96:97], v[86:87], v[30:31]
	v_fmac_f64_e32 v[96:97], v[88:89], v[32:33]
	v_add_f64 v[98:99], v[94:95], v[96:97]
	ds_read_b128 v[94:97], v1 offset:1024
	v_add_f64 v[2:3], v[2:3], v[4:5]
	v_mul_f64 v[4:5], v[64:65], v[12:13]
	v_fma_f64 v[4:5], v[62:63], v[6:7], -v[4:5]
	s_waitcnt vmcnt(42) lgkmcnt(1)
	v_mul_f64 v[100:101], v[90:91], v[42:43]
	v_add_f64 v[2:3], v[2:3], v[4:5]
	v_mul_f64 v[4:5], v[68:69], v[18:19]
	s_waitcnt vmcnt(40)
	v_fmac_f64_e32 v[100:101], v[92:93], v[44:45]
	v_fma_f64 v[4:5], v[66:67], v[20:21], -v[4:5]
	v_add_f64 v[102:103], v[98:99], v[100:101]
	ds_read_b128 v[98:101], v1 offset:1040
	s_waitcnt lgkmcnt(1)
	v_mul_f64 v[104:105], v[94:95], v[38:39]
	v_add_f64 v[2:3], v[2:3], v[4:5]
	v_mul_f64 v[4:5], v[72:73], v[14:15]
	v_fmac_f64_e32 v[104:105], v[96:97], v[40:41]
	v_fma_f64 v[4:5], v[70:71], v[16:17], -v[4:5]
	v_add_f64 v[106:107], v[102:103], v[104:105]
	ds_read_b128 v[102:105], v1 offset:1056
	v_add_f64 v[2:3], v[2:3], v[4:5]
	v_mul_f64 v[4:5], v[76:77], v[26:27]
	v_fma_f64 v[4:5], v[74:75], v[28:29], -v[4:5]
	v_add_f64 v[2:3], v[2:3], v[4:5]
	v_mul_f64 v[4:5], v[80:81], v[22:23]
	s_waitcnt vmcnt(34) lgkmcnt(1)
	v_mul_f64 v[108:109], v[98:99], v[50:51]
	v_fma_f64 v[4:5], v[78:79], v[24:25], -v[4:5]
	s_waitcnt vmcnt(32)
	v_fmac_f64_e32 v[108:109], v[100:101], v[52:53]
	v_add_f64 v[2:3], v[2:3], v[4:5]
	v_mul_f64 v[4:5], v[84:85], v[34:35]
	v_add_f64 v[110:111], v[106:107], v[108:109]
	ds_read_b128 v[106:109], v1 offset:1072
	s_waitcnt lgkmcnt(1)
	v_mul_f64 v[112:113], v[102:103], v[46:47]
	v_fma_f64 v[4:5], v[82:83], v[36:37], -v[4:5]
	v_fmac_f64_e32 v[112:113], v[104:105], v[48:49]
	v_add_f64 v[2:3], v[2:3], v[4:5]
	v_mul_f64 v[4:5], v[88:89], v[30:31]
	v_add_f64 v[114:115], v[110:111], v[112:113]
	ds_read_b128 v[110:113], v1 offset:1088
	v_fma_f64 v[4:5], v[86:87], v[32:33], -v[4:5]
	v_add_f64 v[2:3], v[2:3], v[4:5]
	v_mul_f64 v[4:5], v[92:93], v[42:43]
	v_fma_f64 v[4:5], v[90:91], v[44:45], -v[4:5]
	s_waitcnt vmcnt(26) lgkmcnt(1)
	v_mul_f64 v[116:117], v[106:107], v[140:141]
	v_add_f64 v[2:3], v[2:3], v[4:5]
	v_mul_f64 v[4:5], v[96:97], v[38:39]
	s_waitcnt vmcnt(24)
	v_fmac_f64_e32 v[116:117], v[108:109], v[142:143]
	v_fma_f64 v[4:5], v[94:95], v[40:41], -v[4:5]
	v_add_f64 v[120:121], v[114:115], v[116:117]
	ds_read_b128 v[114:117], v1 offset:1104
	s_waitcnt lgkmcnt(1)
	v_mul_f64 v[122:123], v[110:111], v[136:137]
	v_add_f64 v[2:3], v[2:3], v[4:5]
	v_mul_f64 v[4:5], v[100:101], v[50:51]
	v_fmac_f64_e32 v[122:123], v[112:113], v[138:139]
	v_fma_f64 v[4:5], v[98:99], v[52:53], -v[4:5]
	v_add_f64 v[124:125], v[120:121], v[122:123]
	ds_read_b128 v[120:123], v1 offset:1120
	v_add_f64 v[2:3], v[2:3], v[4:5]
	v_mul_f64 v[4:5], v[104:105], v[46:47]
	v_fma_f64 v[4:5], v[102:103], v[48:49], -v[4:5]
	v_add_f64 v[2:3], v[2:3], v[4:5]
	v_mul_f64 v[4:5], v[108:109], v[140:141]
	s_waitcnt vmcnt(18) lgkmcnt(1)
	v_mul_f64 v[126:127], v[114:115], v[148:149]
	v_fma_f64 v[4:5], v[106:107], v[142:143], -v[4:5]
	s_waitcnt vmcnt(16)
	v_fmac_f64_e32 v[126:127], v[116:117], v[150:151]
	v_add_f64 v[2:3], v[2:3], v[4:5]
	v_mul_f64 v[4:5], v[112:113], v[136:137]
	v_add_f64 v[128:129], v[124:125], v[126:127]
	ds_read_b128 v[124:127], v1 offset:1136
	s_waitcnt lgkmcnt(1)
	v_mul_f64 v[130:131], v[120:121], v[144:145]
	v_fma_f64 v[4:5], v[110:111], v[138:139], -v[4:5]
	v_fmac_f64_e32 v[130:131], v[122:123], v[146:147]
	v_add_f64 v[2:3], v[2:3], v[4:5]
	v_mul_f64 v[4:5], v[116:117], v[148:149]
	v_add_f64 v[168:169], v[128:129], v[130:131]
	ds_read_b128 v[128:131], v1 offset:1152
	v_fma_f64 v[4:5], v[114:115], v[150:151], -v[4:5]
	v_add_f64 v[2:3], v[2:3], v[4:5]
	v_mul_f64 v[4:5], v[122:123], v[144:145]
	v_fma_f64 v[4:5], v[120:121], v[146:147], -v[4:5]
	v_add_f64 v[2:3], v[2:3], v[4:5]
	s_waitcnt vmcnt(10) lgkmcnt(1)
	v_mul_f64 v[4:5], v[126:127], v[156:157]
	v_mul_f64 v[170:171], v[124:125], v[156:157]
	s_waitcnt vmcnt(8)
	v_fma_f64 v[4:5], v[124:125], v[158:159], -v[4:5]
	v_fmac_f64_e32 v[170:171], v[126:127], v[158:159]
	v_add_f64 v[2:3], v[2:3], v[4:5]
	s_waitcnt lgkmcnt(0)
	v_mul_f64 v[4:5], v[130:131], v[152:153]
	v_add_f64 v[168:169], v[168:169], v[170:171]
	v_mul_f64 v[170:171], v[128:129], v[152:153]
	v_fma_f64 v[4:5], v[128:129], v[154:155], -v[4:5]
	v_fmac_f64_e32 v[170:171], v[130:131], v[154:155]
	v_add_f64 v[2:3], v[2:3], v[4:5]
	s_waitcnt vmcnt(6)
	v_mul_f64 v[4:5], v[134:135], v[160:161]
	v_add_f64 v[168:169], v[168:169], v[170:171]
	v_mul_f64 v[170:171], v[132:133], v[160:161]
	s_waitcnt vmcnt(4)
	v_fma_f64 v[4:5], v[132:133], v[162:163], -v[4:5]
	v_fmac_f64_e32 v[170:171], v[134:135], v[162:163]
	v_add_f64 v[2:3], v[2:3], v[4:5]
	v_add_f64 v[168:169], v[168:169], v[170:171]
	s_waitcnt vmcnt(2)
	v_add_f64 v[2:3], v[164:165], -v[2:3]
	s_waitcnt vmcnt(0)
	v_add_f64 v[4:5], v[166:167], -v[168:169]
	buffer_store_dword v3, off, s[0:3], 0 offset:276
	buffer_store_dword v2, off, s[0:3], 0 offset:272
	;; [unrolled: 1-line block ×4, first 2 shown]
	s_and_saveexec_b64 s[4:5], vcc
	s_cbranch_execz .LBB100_205
; %bb.204:
	v_accvgpr_read_b32 v1, a93
	buffer_load_dword v2, v1, s[0:3], 0 offen
	buffer_load_dword v3, v1, s[0:3], 0 offen offset:4
	buffer_load_dword v4, v1, s[0:3], 0 offen offset:8
	buffer_load_dword v5, v1, s[0:3], 0 offen offset:12
	v_mov_b32_e32 v1, 0
	v_accvgpr_read_b32 v6, a108
	buffer_store_dword v1, off, s[0:3], 0 offset:256
	buffer_store_dword v1, off, s[0:3], 0 offset:260
	;; [unrolled: 1-line block ×4, first 2 shown]
	s_waitcnt vmcnt(4)
	ds_write_b128 v6, v[2:5]
.LBB100_205:
	s_or_b64 exec, exec, s[4:5]
	s_waitcnt lgkmcnt(0)
	; wave barrier
	s_waitcnt lgkmcnt(0)
	buffer_load_dword v4, off, s[0:3], 0 offset:256
	buffer_load_dword v5, off, s[0:3], 0 offset:260
	;; [unrolled: 1-line block ×84, first 2 shown]
	v_mov_b32_e32 v1, 0
	ds_read_b128 v[66:69], v1 offset:848
	buffer_load_dword v173, off, s[0:3], 0 offset:604
	buffer_load_dword v172, off, s[0:3], 0 offset:600
	;; [unrolled: 1-line block ×4, first 2 shown]
	ds_read_b128 v[70:73], v1 offset:864
	ds_read_b128 v[74:77], v1 offset:880
	ds_read_b128 v[78:81], v1 offset:896
	ds_read_b128 v[148:151], v1 offset:1168
	v_cmp_lt_u32_e32 vcc, 14, v0
	s_waitcnt vmcnt(62) lgkmcnt(4)
	v_mul_f64 v[82:83], v[66:67], v[12:13]
	v_fmac_f64_e32 v[82:83], v[68:69], v[6:7]
	s_waitcnt lgkmcnt(3)
	v_mul_f64 v[84:85], v[70:71], v[14:15]
	v_add_f64 v[82:83], v[82:83], 0
	v_fmac_f64_e32 v[84:85], v[72:73], v[8:9]
	v_add_f64 v[82:83], v[82:83], v[84:85]
	s_waitcnt lgkmcnt(2)
	v_mul_f64 v[84:85], v[74:75], v[16:17]
	v_fmac_f64_e32 v[84:85], v[76:77], v[10:11]
	v_add_f64 v[86:87], v[82:83], v[84:85]
	ds_read_b128 v[82:85], v1 offset:912
	v_mul_f64 v[12:13], v[68:69], v[12:13]
	s_waitcnt lgkmcnt(2)
	v_mul_f64 v[88:89], v[78:79], v[22:23]
	v_fma_f64 v[6:7], v[66:67], v[6:7], -v[12:13]
	v_fmac_f64_e32 v[88:89], v[80:81], v[24:25]
	v_add_f64 v[90:91], v[86:87], v[88:89]
	ds_read_b128 v[86:89], v1 offset:928
	s_waitcnt lgkmcnt(1)
	v_mul_f64 v[92:93], v[82:83], v[18:19]
	v_fmac_f64_e32 v[92:93], v[84:85], v[20:21]
	v_add_f64 v[94:95], v[90:91], v[92:93]
	ds_read_b128 v[90:93], v1 offset:944
	s_waitcnt vmcnt(58) lgkmcnt(1)
	v_mul_f64 v[96:97], v[86:87], v[30:31]
	s_waitcnt vmcnt(56)
	v_fmac_f64_e32 v[96:97], v[88:89], v[32:33]
	v_add_f64 v[98:99], v[94:95], v[96:97]
	ds_read_b128 v[94:97], v1 offset:960
	s_waitcnt lgkmcnt(1)
	v_mul_f64 v[100:101], v[90:91], v[26:27]
	v_fmac_f64_e32 v[100:101], v[92:93], v[28:29]
	v_add_f64 v[102:103], v[98:99], v[100:101]
	ds_read_b128 v[98:101], v1 offset:976
	s_waitcnt vmcnt(50) lgkmcnt(1)
	v_mul_f64 v[104:105], v[94:95], v[38:39]
	s_waitcnt vmcnt(48)
	v_fmac_f64_e32 v[104:105], v[96:97], v[40:41]
	v_add_f64 v[106:107], v[102:103], v[104:105]
	ds_read_b128 v[102:105], v1 offset:992
	s_waitcnt lgkmcnt(1)
	v_mul_f64 v[108:109], v[98:99], v[34:35]
	v_fmac_f64_e32 v[108:109], v[100:101], v[36:37]
	v_mul_f64 v[12:13], v[72:73], v[14:15]
	v_add_f64 v[110:111], v[106:107], v[108:109]
	ds_read_b128 v[106:109], v1 offset:1008
	s_waitcnt vmcnt(42) lgkmcnt(1)
	v_mul_f64 v[112:113], v[102:103], v[46:47]
	v_add_f64 v[6:7], v[6:7], 0
	v_fma_f64 v[8:9], v[70:71], v[8:9], -v[12:13]
	s_waitcnt vmcnt(40)
	v_fmac_f64_e32 v[112:113], v[104:105], v[48:49]
	v_add_f64 v[6:7], v[6:7], v[8:9]
	v_mul_f64 v[8:9], v[76:77], v[16:17]
	v_add_f64 v[114:115], v[110:111], v[112:113]
	ds_read_b128 v[110:113], v1 offset:1024
	v_fma_f64 v[8:9], v[74:75], v[10:11], -v[8:9]
	v_add_f64 v[6:7], v[6:7], v[8:9]
	v_mul_f64 v[8:9], v[80:81], v[22:23]
	v_fma_f64 v[8:9], v[78:79], v[24:25], -v[8:9]
	s_waitcnt lgkmcnt(1)
	v_mul_f64 v[116:117], v[106:107], v[42:43]
	v_add_f64 v[6:7], v[6:7], v[8:9]
	v_mul_f64 v[8:9], v[84:85], v[18:19]
	v_fmac_f64_e32 v[116:117], v[108:109], v[44:45]
	v_fma_f64 v[8:9], v[82:83], v[20:21], -v[8:9]
	v_add_f64 v[120:121], v[114:115], v[116:117]
	ds_read_b128 v[114:117], v1 offset:1040
	s_waitcnt vmcnt(34) lgkmcnt(1)
	v_mul_f64 v[122:123], v[110:111], v[54:55]
	v_add_f64 v[6:7], v[6:7], v[8:9]
	v_mul_f64 v[8:9], v[88:89], v[30:31]
	s_waitcnt vmcnt(32)
	v_fmac_f64_e32 v[122:123], v[112:113], v[56:57]
	v_fma_f64 v[8:9], v[86:87], v[32:33], -v[8:9]
	v_add_f64 v[124:125], v[120:121], v[122:123]
	ds_read_b128 v[120:123], v1 offset:1056
	v_add_f64 v[6:7], v[6:7], v[8:9]
	v_mul_f64 v[8:9], v[92:93], v[26:27]
	v_fma_f64 v[8:9], v[90:91], v[28:29], -v[8:9]
	v_add_f64 v[6:7], v[6:7], v[8:9]
	v_mul_f64 v[8:9], v[96:97], v[38:39]
	s_waitcnt lgkmcnt(1)
	v_mul_f64 v[126:127], v[114:115], v[50:51]
	v_fma_f64 v[8:9], v[94:95], v[40:41], -v[8:9]
	v_fmac_f64_e32 v[126:127], v[116:117], v[52:53]
	v_add_f64 v[6:7], v[6:7], v[8:9]
	v_mul_f64 v[8:9], v[100:101], v[34:35]
	v_add_f64 v[128:129], v[124:125], v[126:127]
	ds_read_b128 v[124:127], v1 offset:1072
	s_waitcnt vmcnt(26) lgkmcnt(1)
	v_mul_f64 v[130:131], v[120:121], v[62:63]
	v_fma_f64 v[8:9], v[98:99], v[36:37], -v[8:9]
	s_waitcnt vmcnt(24)
	v_fmac_f64_e32 v[130:131], v[122:123], v[64:65]
	v_add_f64 v[6:7], v[6:7], v[8:9]
	v_mul_f64 v[8:9], v[104:105], v[46:47]
	v_add_f64 v[132:133], v[128:129], v[130:131]
	ds_read_b128 v[128:131], v1 offset:1088
	v_fma_f64 v[8:9], v[102:103], v[48:49], -v[8:9]
	v_add_f64 v[6:7], v[6:7], v[8:9]
	v_mul_f64 v[8:9], v[108:109], v[42:43]
	v_fma_f64 v[8:9], v[106:107], v[44:45], -v[8:9]
	s_waitcnt lgkmcnt(1)
	v_mul_f64 v[134:135], v[124:125], v[58:59]
	v_add_f64 v[6:7], v[6:7], v[8:9]
	v_mul_f64 v[8:9], v[112:113], v[54:55]
	v_fmac_f64_e32 v[134:135], v[126:127], v[60:61]
	v_fma_f64 v[8:9], v[110:111], v[56:57], -v[8:9]
	v_add_f64 v[136:137], v[132:133], v[134:135]
	ds_read_b128 v[132:135], v1 offset:1104
	s_waitcnt vmcnt(18) lgkmcnt(1)
	v_mul_f64 v[138:139], v[128:129], v[156:157]
	v_add_f64 v[6:7], v[6:7], v[8:9]
	v_mul_f64 v[8:9], v[116:117], v[50:51]
	s_waitcnt vmcnt(16)
	v_fmac_f64_e32 v[138:139], v[130:131], v[158:159]
	v_fma_f64 v[8:9], v[114:115], v[52:53], -v[8:9]
	v_add_f64 v[140:141], v[136:137], v[138:139]
	ds_read_b128 v[136:139], v1 offset:1120
	v_add_f64 v[6:7], v[6:7], v[8:9]
	v_mul_f64 v[8:9], v[122:123], v[62:63]
	v_fma_f64 v[8:9], v[120:121], v[64:65], -v[8:9]
	v_add_f64 v[6:7], v[6:7], v[8:9]
	v_mul_f64 v[8:9], v[126:127], v[58:59]
	s_waitcnt lgkmcnt(1)
	v_mul_f64 v[142:143], v[132:133], v[152:153]
	v_fma_f64 v[8:9], v[124:125], v[60:61], -v[8:9]
	v_fmac_f64_e32 v[142:143], v[134:135], v[154:155]
	v_add_f64 v[6:7], v[6:7], v[8:9]
	v_mul_f64 v[8:9], v[130:131], v[156:157]
	v_add_f64 v[144:145], v[140:141], v[142:143]
	ds_read_b128 v[140:143], v1 offset:1136
	s_waitcnt vmcnt(10) lgkmcnt(1)
	v_mul_f64 v[146:147], v[136:137], v[164:165]
	v_fma_f64 v[8:9], v[128:129], v[158:159], -v[8:9]
	s_waitcnt vmcnt(8)
	v_fmac_f64_e32 v[146:147], v[138:139], v[166:167]
	v_add_f64 v[6:7], v[6:7], v[8:9]
	v_mul_f64 v[8:9], v[134:135], v[152:153]
	v_add_f64 v[176:177], v[144:145], v[146:147]
	ds_read_b128 v[144:147], v1 offset:1152
	v_fma_f64 v[8:9], v[132:133], v[154:155], -v[8:9]
	v_add_f64 v[6:7], v[6:7], v[8:9]
	v_mul_f64 v[8:9], v[138:139], v[164:165]
	v_fma_f64 v[8:9], v[136:137], v[166:167], -v[8:9]
	v_add_f64 v[6:7], v[6:7], v[8:9]
	s_waitcnt lgkmcnt(1)
	v_mul_f64 v[8:9], v[142:143], v[160:161]
	v_mul_f64 v[178:179], v[140:141], v[160:161]
	v_fma_f64 v[8:9], v[140:141], v[162:163], -v[8:9]
	v_fmac_f64_e32 v[178:179], v[142:143], v[162:163]
	v_add_f64 v[6:7], v[6:7], v[8:9]
	s_waitcnt vmcnt(6) lgkmcnt(0)
	v_mul_f64 v[8:9], v[146:147], v[168:169]
	v_add_f64 v[176:177], v[176:177], v[178:179]
	v_mul_f64 v[178:179], v[144:145], v[168:169]
	s_waitcnt vmcnt(4)
	v_fma_f64 v[8:9], v[144:145], v[170:171], -v[8:9]
	v_fmac_f64_e32 v[178:179], v[146:147], v[170:171]
	v_add_f64 v[6:7], v[6:7], v[8:9]
	s_waitcnt vmcnt(2)
	v_mul_f64 v[8:9], v[150:151], v[172:173]
	v_add_f64 v[176:177], v[176:177], v[178:179]
	v_mul_f64 v[178:179], v[148:149], v[172:173]
	s_waitcnt vmcnt(0)
	v_fma_f64 v[8:9], v[148:149], v[174:175], -v[8:9]
	v_fmac_f64_e32 v[178:179], v[150:151], v[174:175]
	v_add_f64 v[6:7], v[6:7], v[8:9]
	v_add_f64 v[176:177], v[176:177], v[178:179]
	v_add_f64 v[4:5], v[4:5], -v[6:7]
	v_add_f64 v[2:3], v[2:3], -v[176:177]
	buffer_store_dword v5, off, s[0:3], 0 offset:260
	buffer_store_dword v4, off, s[0:3], 0 offset:256
	;; [unrolled: 1-line block ×4, first 2 shown]
	s_and_saveexec_b64 s[4:5], vcc
	s_cbranch_execz .LBB100_207
; %bb.206:
	v_accvgpr_read_b32 v5, a94
	buffer_load_dword v2, v5, s[0:3], 0 offen
	buffer_load_dword v3, v5, s[0:3], 0 offen offset:4
	buffer_load_dword v4, v5, s[0:3], 0 offen offset:8
	s_nop 0
	buffer_load_dword v5, v5, s[0:3], 0 offen offset:12
	v_accvgpr_read_b32 v6, a108
	buffer_store_dword v1, off, s[0:3], 0 offset:240
	buffer_store_dword v1, off, s[0:3], 0 offset:244
	;; [unrolled: 1-line block ×4, first 2 shown]
	s_waitcnt vmcnt(4)
	ds_write_b128 v6, v[2:5]
.LBB100_207:
	s_or_b64 exec, exec, s[4:5]
	s_waitcnt lgkmcnt(0)
	; wave barrier
	s_waitcnt lgkmcnt(0)
	ds_read_b128 v[14:17], v1 offset:832
	ds_read_b128 v[10:13], v1 offset:848
	;; [unrolled: 1-line block ×4, first 2 shown]
	buffer_load_dword v20, off, s[0:3], 0 offset:240
	buffer_load_dword v21, off, s[0:3], 0 offset:244
	;; [unrolled: 1-line block ×92, first 2 shown]
	s_waitcnt vmcnt(62) lgkmcnt(3)
	v_mul_f64 v[86:87], v[14:15], v[28:29]
	v_fmac_f64_e32 v[86:87], v[16:17], v[22:23]
	s_waitcnt lgkmcnt(2)
	v_mul_f64 v[88:89], v[10:11], v[30:31]
	v_add_f64 v[86:87], v[86:87], 0
	v_fmac_f64_e32 v[88:89], v[12:13], v[24:25]
	v_add_f64 v[86:87], v[86:87], v[88:89]
	s_waitcnt lgkmcnt(1)
	v_mul_f64 v[88:89], v[6:7], v[32:33]
	v_fmac_f64_e32 v[88:89], v[8:9], v[26:27]
	v_add_f64 v[90:91], v[86:87], v[88:89]
	ds_read_b128 v[86:89], v1 offset:896
	v_mul_f64 v[16:17], v[16:17], v[28:29]
	v_fma_f64 v[14:15], v[14:15], v[22:23], -v[16:17]
	s_waitcnt lgkmcnt(1)
	v_mul_f64 v[92:93], v[2:3], v[38:39]
	v_mul_f64 v[12:13], v[12:13], v[30:31]
	v_fmac_f64_e32 v[92:93], v[4:5], v[40:41]
	v_add_f64 v[94:95], v[90:91], v[92:93]
	ds_read_b128 v[90:93], v1 offset:912
	s_waitcnt lgkmcnt(1)
	v_mul_f64 v[96:97], v[86:87], v[34:35]
	v_fmac_f64_e32 v[96:97], v[88:89], v[36:37]
	v_add_f64 v[98:99], v[94:95], v[96:97]
	ds_read_b128 v[94:97], v1 offset:928
	s_waitcnt lgkmcnt(1)
	v_mul_f64 v[100:101], v[90:91], v[46:47]
	s_waitcnt vmcnt(60)
	v_fmac_f64_e32 v[100:101], v[92:93], v[48:49]
	v_add_f64 v[102:103], v[98:99], v[100:101]
	ds_read_b128 v[98:101], v1 offset:944
	s_waitcnt lgkmcnt(1)
	v_mul_f64 v[104:105], v[94:95], v[42:43]
	v_fmac_f64_e32 v[104:105], v[96:97], v[44:45]
	v_add_f64 v[106:107], v[102:103], v[104:105]
	ds_read_b128 v[102:105], v1 offset:960
	s_waitcnt vmcnt(54) lgkmcnt(1)
	v_mul_f64 v[108:109], v[98:99], v[54:55]
	s_waitcnt vmcnt(52)
	v_fmac_f64_e32 v[108:109], v[100:101], v[56:57]
	v_add_f64 v[110:111], v[106:107], v[108:109]
	ds_read_b128 v[106:109], v1 offset:976
	s_waitcnt lgkmcnt(1)
	v_mul_f64 v[112:113], v[102:103], v[50:51]
	v_fmac_f64_e32 v[112:113], v[104:105], v[52:53]
	v_add_f64 v[114:115], v[110:111], v[112:113]
	ds_read_b128 v[110:113], v1 offset:992
	s_waitcnt vmcnt(46) lgkmcnt(1)
	v_mul_f64 v[116:117], v[106:107], v[62:63]
	s_waitcnt vmcnt(44)
	v_fmac_f64_e32 v[116:117], v[108:109], v[64:65]
	v_add_f64 v[120:121], v[114:115], v[116:117]
	ds_read_b128 v[114:117], v1 offset:1008
	s_waitcnt lgkmcnt(1)
	v_mul_f64 v[122:123], v[110:111], v[58:59]
	v_fmac_f64_e32 v[122:123], v[112:113], v[60:61]
	v_add_f64 v[14:15], v[14:15], 0
	v_fma_f64 v[10:11], v[10:11], v[24:25], -v[12:13]
	v_mul_f64 v[8:9], v[8:9], v[32:33]
	v_add_f64 v[124:125], v[120:121], v[122:123]
	ds_read_b128 v[120:123], v1 offset:1024
	v_add_f64 v[10:11], v[14:15], v[10:11]
	v_fma_f64 v[6:7], v[6:7], v[26:27], -v[8:9]
	v_mul_f64 v[4:5], v[4:5], v[38:39]
	v_add_f64 v[6:7], v[10:11], v[6:7]
	v_fma_f64 v[2:3], v[2:3], v[40:41], -v[4:5]
	v_mul_f64 v[4:5], v[88:89], v[34:35]
	v_add_f64 v[2:3], v[6:7], v[2:3]
	v_fma_f64 v[4:5], v[86:87], v[36:37], -v[4:5]
	s_waitcnt vmcnt(38) lgkmcnt(1)
	v_mul_f64 v[126:127], v[114:115], v[70:71]
	v_add_f64 v[2:3], v[2:3], v[4:5]
	v_mul_f64 v[4:5], v[92:93], v[46:47]
	s_waitcnt vmcnt(36)
	v_fmac_f64_e32 v[126:127], v[116:117], v[72:73]
	v_fma_f64 v[4:5], v[90:91], v[48:49], -v[4:5]
	v_add_f64 v[128:129], v[124:125], v[126:127]
	ds_read_b128 v[124:127], v1 offset:1040
	s_waitcnt lgkmcnt(1)
	v_mul_f64 v[130:131], v[120:121], v[66:67]
	v_add_f64 v[2:3], v[2:3], v[4:5]
	v_mul_f64 v[4:5], v[96:97], v[42:43]
	v_fmac_f64_e32 v[130:131], v[122:123], v[68:69]
	v_fma_f64 v[4:5], v[94:95], v[44:45], -v[4:5]
	v_add_f64 v[132:133], v[128:129], v[130:131]
	ds_read_b128 v[128:131], v1 offset:1056
	v_add_f64 v[2:3], v[2:3], v[4:5]
	v_mul_f64 v[4:5], v[100:101], v[54:55]
	v_fma_f64 v[4:5], v[98:99], v[56:57], -v[4:5]
	v_add_f64 v[2:3], v[2:3], v[4:5]
	v_mul_f64 v[4:5], v[104:105], v[50:51]
	s_waitcnt vmcnt(30) lgkmcnt(1)
	v_mul_f64 v[134:135], v[124:125], v[78:79]
	v_fma_f64 v[4:5], v[102:103], v[52:53], -v[4:5]
	s_waitcnt vmcnt(28)
	v_fmac_f64_e32 v[134:135], v[126:127], v[80:81]
	v_add_f64 v[2:3], v[2:3], v[4:5]
	v_mul_f64 v[4:5], v[108:109], v[62:63]
	v_add_f64 v[136:137], v[132:133], v[134:135]
	ds_read_b128 v[132:135], v1 offset:1072
	s_waitcnt lgkmcnt(1)
	v_mul_f64 v[138:139], v[128:129], v[74:75]
	v_fma_f64 v[4:5], v[106:107], v[64:65], -v[4:5]
	v_fmac_f64_e32 v[138:139], v[130:131], v[76:77]
	v_add_f64 v[2:3], v[2:3], v[4:5]
	v_mul_f64 v[4:5], v[112:113], v[58:59]
	v_add_f64 v[140:141], v[136:137], v[138:139]
	ds_read_b128 v[136:139], v1 offset:1088
	v_fma_f64 v[4:5], v[110:111], v[60:61], -v[4:5]
	v_add_f64 v[2:3], v[2:3], v[4:5]
	v_mul_f64 v[4:5], v[116:117], v[70:71]
	v_fma_f64 v[4:5], v[114:115], v[72:73], -v[4:5]
	s_waitcnt vmcnt(22) lgkmcnt(1)
	v_mul_f64 v[142:143], v[132:133], v[160:161]
	v_add_f64 v[2:3], v[2:3], v[4:5]
	v_mul_f64 v[4:5], v[122:123], v[66:67]
	s_waitcnt vmcnt(20)
	v_fmac_f64_e32 v[142:143], v[134:135], v[162:163]
	v_fma_f64 v[4:5], v[120:121], v[68:69], -v[4:5]
	v_add_f64 v[144:145], v[140:141], v[142:143]
	ds_read_b128 v[140:143], v1 offset:1104
	s_waitcnt lgkmcnt(1)
	v_mul_f64 v[146:147], v[136:137], v[82:83]
	v_add_f64 v[2:3], v[2:3], v[4:5]
	v_mul_f64 v[4:5], v[126:127], v[78:79]
	v_fmac_f64_e32 v[146:147], v[138:139], v[84:85]
	v_fma_f64 v[4:5], v[124:125], v[80:81], -v[4:5]
	v_add_f64 v[148:149], v[144:145], v[146:147]
	ds_read_b128 v[144:147], v1 offset:1120
	v_add_f64 v[2:3], v[2:3], v[4:5]
	v_mul_f64 v[4:5], v[130:131], v[74:75]
	v_fma_f64 v[4:5], v[128:129], v[76:77], -v[4:5]
	v_add_f64 v[2:3], v[2:3], v[4:5]
	v_mul_f64 v[4:5], v[134:135], v[160:161]
	s_waitcnt vmcnt(14) lgkmcnt(1)
	v_mul_f64 v[150:151], v[140:141], v[168:169]
	v_fma_f64 v[4:5], v[132:133], v[162:163], -v[4:5]
	s_waitcnt vmcnt(12)
	v_fmac_f64_e32 v[150:151], v[142:143], v[170:171]
	v_add_f64 v[2:3], v[2:3], v[4:5]
	v_mul_f64 v[4:5], v[138:139], v[82:83]
	v_add_f64 v[152:153], v[148:149], v[150:151]
	ds_read_b128 v[148:151], v1 offset:1136
	s_waitcnt lgkmcnt(1)
	v_mul_f64 v[154:155], v[144:145], v[164:165]
	v_fma_f64 v[4:5], v[136:137], v[84:85], -v[4:5]
	v_fmac_f64_e32 v[154:155], v[146:147], v[166:167]
	v_add_f64 v[2:3], v[2:3], v[4:5]
	v_mul_f64 v[4:5], v[142:143], v[168:169]
	v_add_f64 v[192:193], v[152:153], v[154:155]
	ds_read_b128 v[152:155], v1 offset:1152
	ds_read_b128 v[156:159], v1 offset:1168
	v_fma_f64 v[4:5], v[140:141], v[170:171], -v[4:5]
	v_add_f64 v[2:3], v[2:3], v[4:5]
	v_mul_f64 v[4:5], v[146:147], v[164:165]
	v_fma_f64 v[4:5], v[144:145], v[166:167], -v[4:5]
	v_add_f64 v[2:3], v[2:3], v[4:5]
	s_waitcnt vmcnt(6) lgkmcnt(2)
	v_mul_f64 v[4:5], v[150:151], v[176:177]
	v_mul_f64 v[194:195], v[148:149], v[176:177]
	s_waitcnt vmcnt(4)
	v_fma_f64 v[4:5], v[148:149], v[178:179], -v[4:5]
	v_fmac_f64_e32 v[194:195], v[150:151], v[178:179]
	v_add_f64 v[2:3], v[2:3], v[4:5]
	s_waitcnt lgkmcnt(1)
	v_mul_f64 v[4:5], v[154:155], v[172:173]
	v_add_f64 v[192:193], v[192:193], v[194:195]
	v_mul_f64 v[194:195], v[152:153], v[172:173]
	v_fma_f64 v[4:5], v[152:153], v[174:175], -v[4:5]
	v_fmac_f64_e32 v[194:195], v[154:155], v[174:175]
	v_add_f64 v[2:3], v[2:3], v[4:5]
	s_waitcnt vmcnt(2) lgkmcnt(0)
	v_mul_f64 v[4:5], v[158:159], v[180:181]
	v_add_f64 v[192:193], v[192:193], v[194:195]
	v_mul_f64 v[194:195], v[156:157], v[180:181]
	s_waitcnt vmcnt(0)
	v_fma_f64 v[4:5], v[156:157], v[182:183], -v[4:5]
	v_fmac_f64_e32 v[194:195], v[158:159], v[182:183]
	v_add_f64 v[2:3], v[2:3], v[4:5]
	v_add_f64 v[192:193], v[192:193], v[194:195]
	v_add_f64 v[2:3], v[20:21], -v[2:3]
	v_cmp_lt_u32_e32 vcc, 13, v0
	v_add_f64 v[4:5], v[18:19], -v[192:193]
	buffer_store_dword v3, off, s[0:3], 0 offset:244
	buffer_store_dword v2, off, s[0:3], 0 offset:240
	;; [unrolled: 1-line block ×4, first 2 shown]
	s_and_saveexec_b64 s[4:5], vcc
	s_cbranch_execz .LBB100_209
; %bb.208:
	v_accvgpr_read_b32 v1, a95
	buffer_load_dword v2, v1, s[0:3], 0 offen
	buffer_load_dword v3, v1, s[0:3], 0 offen offset:4
	buffer_load_dword v4, v1, s[0:3], 0 offen offset:8
	buffer_load_dword v5, v1, s[0:3], 0 offen offset:12
	v_mov_b32_e32 v1, 0
	v_accvgpr_read_b32 v6, a108
	buffer_store_dword v1, off, s[0:3], 0 offset:224
	buffer_store_dword v1, off, s[0:3], 0 offset:228
	;; [unrolled: 1-line block ×4, first 2 shown]
	s_waitcnt vmcnt(4)
	ds_write_b128 v6, v[2:5]
.LBB100_209:
	s_or_b64 exec, exec, s[4:5]
	s_waitcnt lgkmcnt(0)
	; wave barrier
	s_waitcnt lgkmcnt(0)
	buffer_load_dword v9, off, s[0:3], 0 offset:252
	buffer_load_dword v6, off, s[0:3], 0 offset:264
	;; [unrolled: 1-line block ×64, first 2 shown]
	v_mov_b32_e32 v1, 0
	ds_read_b128 v[74:77], v1 offset:816
	ds_read_b128 v[78:81], v1 offset:832
	buffer_load_dword v67, off, s[0:3], 0 offset:508
	buffer_load_dword v66, off, s[0:3], 0 offset:504
	;; [unrolled: 1-line block ×8, first 2 shown]
	ds_read_b128 v[82:85], v1 offset:848
	ds_read_b128 v[86:89], v1 offset:864
	buffer_load_dword v169, off, s[0:3], 0 offset:540
	buffer_load_dword v168, off, s[0:3], 0 offset:536
	;; [unrolled: 1-line block ×24, first 2 shown]
	ds_read_b128 v[164:167], v1 offset:1168
	v_cmp_lt_u32_e32 vcc, 12, v0
	s_waitcnt vmcnt(62) lgkmcnt(1)
	v_mul_f64 v[96:97], v[86:87], v[22:23]
	v_fmac_f64_e32 v[96:97], v[88:89], v[24:25]
	v_mul_f64 v[92:93], v[78:79], v[6:7]
	v_mul_f64 v[90:91], v[74:75], v[8:9]
	;; [unrolled: 1-line block ×3, first 2 shown]
	v_fmac_f64_e32 v[90:91], v[76:77], v[10:11]
	v_add_f64 v[90:91], v[90:91], 0
	v_fma_f64 v[8:9], v[74:75], v[10:11], -v[8:9]
	v_mul_f64 v[6:7], v[80:81], v[6:7]
	v_add_f64 v[8:9], v[8:9], 0
	v_fmac_f64_e32 v[92:93], v[80:81], v[14:15]
	v_add_f64 v[90:91], v[90:91], v[92:93]
	v_mul_f64 v[92:93], v[82:83], v[16:17]
	v_fmac_f64_e32 v[92:93], v[84:85], v[12:13]
	v_add_f64 v[94:95], v[90:91], v[92:93]
	ds_read_b128 v[90:93], v1 offset:880
	v_add_f64 v[98:99], v[94:95], v[96:97]
	ds_read_b128 v[94:97], v1 offset:896
	v_fma_f64 v[6:7], v[78:79], v[14:15], -v[6:7]
	v_add_f64 v[6:7], v[8:9], v[6:7]
	s_waitcnt lgkmcnt(1)
	v_mul_f64 v[100:101], v[90:91], v[18:19]
	v_fmac_f64_e32 v[100:101], v[92:93], v[20:21]
	v_add_f64 v[102:103], v[98:99], v[100:101]
	ds_read_b128 v[98:101], v1 offset:912
	s_waitcnt lgkmcnt(1)
	v_mul_f64 v[104:105], v[94:95], v[30:31]
	v_fmac_f64_e32 v[104:105], v[96:97], v[32:33]
	v_add_f64 v[106:107], v[102:103], v[104:105]
	ds_read_b128 v[102:105], v1 offset:928
	;; [unrolled: 5-line block ×3, first 2 shown]
	s_waitcnt vmcnt(58) lgkmcnt(1)
	v_mul_f64 v[112:113], v[102:103], v[38:39]
	s_waitcnt vmcnt(56)
	v_fmac_f64_e32 v[112:113], v[104:105], v[40:41]
	v_add_f64 v[114:115], v[110:111], v[112:113]
	ds_read_b128 v[110:113], v1 offset:960
	s_waitcnt lgkmcnt(1)
	v_mul_f64 v[116:117], v[106:107], v[34:35]
	v_fmac_f64_e32 v[116:117], v[108:109], v[36:37]
	v_add_f64 v[120:121], v[114:115], v[116:117]
	ds_read_b128 v[114:117], v1 offset:976
	s_waitcnt vmcnt(50) lgkmcnt(1)
	v_mul_f64 v[122:123], v[110:111], v[46:47]
	s_waitcnt vmcnt(48)
	v_fmac_f64_e32 v[122:123], v[112:113], v[48:49]
	v_add_f64 v[124:125], v[120:121], v[122:123]
	ds_read_b128 v[120:123], v1 offset:992
	v_mul_f64 v[8:9], v[84:85], v[16:17]
	s_waitcnt lgkmcnt(1)
	v_mul_f64 v[126:127], v[114:115], v[42:43]
	v_fma_f64 v[8:9], v[82:83], v[12:13], -v[8:9]
	v_fmac_f64_e32 v[126:127], v[116:117], v[44:45]
	v_add_f64 v[6:7], v[6:7], v[8:9]
	v_mul_f64 v[8:9], v[88:89], v[22:23]
	v_add_f64 v[128:129], v[124:125], v[126:127]
	ds_read_b128 v[124:127], v1 offset:1008
	s_waitcnt vmcnt(42) lgkmcnt(1)
	v_mul_f64 v[130:131], v[120:121], v[54:55]
	v_fma_f64 v[8:9], v[86:87], v[24:25], -v[8:9]
	s_waitcnt vmcnt(40)
	v_fmac_f64_e32 v[130:131], v[122:123], v[56:57]
	v_add_f64 v[6:7], v[6:7], v[8:9]
	v_mul_f64 v[8:9], v[92:93], v[18:19]
	v_add_f64 v[132:133], v[128:129], v[130:131]
	ds_read_b128 v[128:131], v1 offset:1024
	v_fma_f64 v[8:9], v[90:91], v[20:21], -v[8:9]
	v_add_f64 v[6:7], v[6:7], v[8:9]
	v_mul_f64 v[8:9], v[96:97], v[30:31]
	v_fma_f64 v[8:9], v[94:95], v[32:33], -v[8:9]
	s_waitcnt lgkmcnt(1)
	v_mul_f64 v[134:135], v[124:125], v[50:51]
	v_add_f64 v[6:7], v[6:7], v[8:9]
	v_mul_f64 v[8:9], v[100:101], v[26:27]
	v_fmac_f64_e32 v[134:135], v[126:127], v[52:53]
	v_fma_f64 v[8:9], v[98:99], v[28:29], -v[8:9]
	v_add_f64 v[136:137], v[132:133], v[134:135]
	ds_read_b128 v[132:135], v1 offset:1040
	s_waitcnt vmcnt(34) lgkmcnt(1)
	v_mul_f64 v[138:139], v[128:129], v[62:63]
	v_add_f64 v[6:7], v[6:7], v[8:9]
	v_mul_f64 v[8:9], v[104:105], v[38:39]
	s_waitcnt vmcnt(32)
	v_fmac_f64_e32 v[138:139], v[130:131], v[64:65]
	v_fma_f64 v[8:9], v[102:103], v[40:41], -v[8:9]
	v_add_f64 v[140:141], v[136:137], v[138:139]
	ds_read_b128 v[136:139], v1 offset:1056
	v_add_f64 v[6:7], v[6:7], v[8:9]
	v_mul_f64 v[8:9], v[108:109], v[34:35]
	v_fma_f64 v[8:9], v[106:107], v[36:37], -v[8:9]
	v_add_f64 v[6:7], v[6:7], v[8:9]
	v_mul_f64 v[8:9], v[112:113], v[46:47]
	s_waitcnt lgkmcnt(1)
	v_mul_f64 v[142:143], v[132:133], v[58:59]
	v_fma_f64 v[8:9], v[110:111], v[48:49], -v[8:9]
	v_fmac_f64_e32 v[142:143], v[134:135], v[60:61]
	v_add_f64 v[6:7], v[6:7], v[8:9]
	v_mul_f64 v[8:9], v[116:117], v[42:43]
	v_add_f64 v[144:145], v[140:141], v[142:143]
	ds_read_b128 v[140:143], v1 offset:1072
	s_waitcnt vmcnt(26) lgkmcnt(1)
	v_mul_f64 v[146:147], v[136:137], v[70:71]
	v_fma_f64 v[8:9], v[114:115], v[44:45], -v[8:9]
	s_waitcnt vmcnt(24)
	v_fmac_f64_e32 v[146:147], v[138:139], v[72:73]
	v_add_f64 v[6:7], v[6:7], v[8:9]
	v_mul_f64 v[8:9], v[122:123], v[54:55]
	v_add_f64 v[148:149], v[144:145], v[146:147]
	ds_read_b128 v[144:147], v1 offset:1088
	v_fma_f64 v[8:9], v[120:121], v[56:57], -v[8:9]
	v_add_f64 v[6:7], v[6:7], v[8:9]
	v_mul_f64 v[8:9], v[126:127], v[50:51]
	v_fma_f64 v[8:9], v[124:125], v[52:53], -v[8:9]
	s_waitcnt lgkmcnt(1)
	v_mul_f64 v[150:151], v[140:141], v[66:67]
	v_add_f64 v[6:7], v[6:7], v[8:9]
	v_mul_f64 v[8:9], v[130:131], v[62:63]
	v_fmac_f64_e32 v[150:151], v[142:143], v[68:69]
	v_fma_f64 v[8:9], v[128:129], v[64:65], -v[8:9]
	v_add_f64 v[152:153], v[148:149], v[150:151]
	ds_read_b128 v[148:151], v1 offset:1104
	s_waitcnt vmcnt(18) lgkmcnt(1)
	v_mul_f64 v[154:155], v[144:145], v[172:173]
	v_add_f64 v[6:7], v[6:7], v[8:9]
	v_mul_f64 v[8:9], v[134:135], v[58:59]
	s_waitcnt vmcnt(16)
	v_fmac_f64_e32 v[154:155], v[146:147], v[174:175]
	v_fma_f64 v[8:9], v[132:133], v[60:61], -v[8:9]
	v_add_f64 v[156:157], v[152:153], v[154:155]
	ds_read_b128 v[152:155], v1 offset:1120
	v_add_f64 v[6:7], v[6:7], v[8:9]
	v_mul_f64 v[8:9], v[138:139], v[70:71]
	v_fma_f64 v[8:9], v[136:137], v[72:73], -v[8:9]
	v_add_f64 v[6:7], v[6:7], v[8:9]
	v_mul_f64 v[8:9], v[142:143], v[66:67]
	s_waitcnt lgkmcnt(1)
	v_mul_f64 v[158:159], v[148:149], v[168:169]
	v_fma_f64 v[8:9], v[140:141], v[68:69], -v[8:9]
	v_fmac_f64_e32 v[158:159], v[150:151], v[170:171]
	v_add_f64 v[6:7], v[6:7], v[8:9]
	v_mul_f64 v[8:9], v[146:147], v[172:173]
	v_add_f64 v[160:161], v[156:157], v[158:159]
	ds_read_b128 v[156:159], v1 offset:1136
	s_waitcnt vmcnt(10) lgkmcnt(1)
	v_mul_f64 v[162:163], v[152:153], v[180:181]
	v_fma_f64 v[8:9], v[144:145], v[174:175], -v[8:9]
	s_waitcnt vmcnt(8)
	v_fmac_f64_e32 v[162:163], v[154:155], v[182:183]
	v_add_f64 v[6:7], v[6:7], v[8:9]
	v_mul_f64 v[8:9], v[150:151], v[168:169]
	v_add_f64 v[200:201], v[160:161], v[162:163]
	ds_read_b128 v[160:163], v1 offset:1152
	v_fma_f64 v[8:9], v[148:149], v[170:171], -v[8:9]
	v_add_f64 v[6:7], v[6:7], v[8:9]
	v_mul_f64 v[8:9], v[154:155], v[180:181]
	v_fma_f64 v[8:9], v[152:153], v[182:183], -v[8:9]
	v_add_f64 v[6:7], v[6:7], v[8:9]
	s_waitcnt lgkmcnt(1)
	v_mul_f64 v[8:9], v[158:159], v[176:177]
	v_mul_f64 v[202:203], v[156:157], v[176:177]
	v_fma_f64 v[8:9], v[156:157], v[178:179], -v[8:9]
	v_fmac_f64_e32 v[202:203], v[158:159], v[178:179]
	v_add_f64 v[6:7], v[6:7], v[8:9]
	s_waitcnt vmcnt(2) lgkmcnt(0)
	v_mul_f64 v[8:9], v[162:163], v[196:197]
	v_add_f64 v[200:201], v[200:201], v[202:203]
	v_mul_f64 v[202:203], v[160:161], v[196:197]
	s_waitcnt vmcnt(0)
	v_fma_f64 v[8:9], v[160:161], v[198:199], -v[8:9]
	v_fmac_f64_e32 v[202:203], v[162:163], v[198:199]
	v_add_f64 v[6:7], v[6:7], v[8:9]
	v_mul_f64 v[8:9], v[166:167], v[192:193]
	v_add_f64 v[200:201], v[200:201], v[202:203]
	v_mul_f64 v[202:203], v[164:165], v[192:193]
	v_fma_f64 v[8:9], v[164:165], v[194:195], -v[8:9]
	v_fmac_f64_e32 v[202:203], v[166:167], v[194:195]
	v_add_f64 v[6:7], v[6:7], v[8:9]
	v_add_f64 v[200:201], v[200:201], v[202:203]
	v_add_f64 v[4:5], v[4:5], -v[6:7]
	v_add_f64 v[2:3], v[2:3], -v[200:201]
	buffer_store_dword v5, off, s[0:3], 0 offset:228
	buffer_store_dword v4, off, s[0:3], 0 offset:224
	;; [unrolled: 1-line block ×4, first 2 shown]
	s_and_saveexec_b64 s[4:5], vcc
	s_cbranch_execz .LBB100_211
; %bb.210:
	v_accvgpr_read_b32 v5, a96
	buffer_load_dword v2, v5, s[0:3], 0 offen
	buffer_load_dword v3, v5, s[0:3], 0 offen offset:4
	buffer_load_dword v4, v5, s[0:3], 0 offen offset:8
	s_nop 0
	buffer_load_dword v5, v5, s[0:3], 0 offen offset:12
	v_accvgpr_read_b32 v6, a108
	buffer_store_dword v1, off, s[0:3], 0 offset:208
	buffer_store_dword v1, off, s[0:3], 0 offset:212
	;; [unrolled: 1-line block ×4, first 2 shown]
	s_waitcnt vmcnt(4)
	ds_write_b128 v6, v[2:5]
.LBB100_211:
	s_or_b64 exec, exec, s[4:5]
	s_waitcnt lgkmcnt(0)
	; wave barrier
	s_waitcnt lgkmcnt(0)
	buffer_load_dword v22, off, s[0:3], 0 offset:224
	buffer_load_dword v23, off, s[0:3], 0 offset:228
	;; [unrolled: 1-line block ×16, first 2 shown]
	ds_read_b128 v[2:5], v1 offset:800
	ds_read_b128 v[6:9], v1 offset:816
	;; [unrolled: 1-line block ×4, first 2 shown]
	buffer_load_dword v35, off, s[0:3], 0 offset:300
	buffer_load_dword v34, off, s[0:3], 0 offset:296
	;; [unrolled: 1-line block ×48, first 2 shown]
	v_cmp_lt_u32_e32 vcc, 11, v0
	s_waitcnt vmcnt(42) lgkmcnt(0)
	v_mul_f64 v[104:105], v[14:15], v[38:39]
	s_waitcnt vmcnt(40)
	v_fmac_f64_e32 v[104:105], v[16:17], v[40:41]
	v_mul_f64 v[82:83], v[2:3], v[24:25]
	v_fmac_f64_e32 v[82:83], v[4:5], v[22:23]
	v_add_f64 v[82:83], v[82:83], 0
	v_mul_f64 v[4:5], v[4:5], v[24:25]
	v_mul_f64 v[84:85], v[6:7], v[32:33]
	v_fma_f64 v[2:3], v[2:3], v[22:23], -v[4:5]
	v_mul_f64 v[98:99], v[10:11], v[26:27]
	v_fmac_f64_e32 v[98:99], v[12:13], v[30:31]
	v_fmac_f64_e32 v[84:85], v[8:9], v[28:29]
	v_add_f64 v[100:101], v[82:83], v[84:85]
	buffer_load_dword v83, off, s[0:3], 0 offset:492
	buffer_load_dword v82, off, s[0:3], 0 offset:488
	;; [unrolled: 1-line block ×32, first 2 shown]
	v_add_f64 v[102:103], v[100:101], v[98:99]
	ds_read_b128 v[98:101], v1 offset:864
	buffer_load_dword v205, off, s[0:3], 0 offset:604
	buffer_load_dword v204, off, s[0:3], 0 offset:600
	;; [unrolled: 1-line block ×4, first 2 shown]
	v_add_f64 v[106:107], v[102:103], v[104:105]
	ds_read_b128 v[102:105], v1 offset:880
	v_mul_f64 v[4:5], v[8:9], v[32:33]
	s_waitcnt lgkmcnt(1)
	v_mul_f64 v[108:109], v[98:99], v[34:35]
	v_fmac_f64_e32 v[108:109], v[100:101], v[36:37]
	v_add_f64 v[110:111], v[106:107], v[108:109]
	ds_read_b128 v[106:109], v1 offset:896
	s_waitcnt vmcnt(62) lgkmcnt(1)
	v_mul_f64 v[112:113], v[102:103], v[46:47]
	v_fmac_f64_e32 v[112:113], v[104:105], v[48:49]
	v_add_f64 v[114:115], v[110:111], v[112:113]
	ds_read_b128 v[110:113], v1 offset:912
	s_waitcnt lgkmcnt(1)
	v_mul_f64 v[116:117], v[106:107], v[42:43]
	v_fmac_f64_e32 v[116:117], v[108:109], v[44:45]
	v_add_f64 v[120:121], v[114:115], v[116:117]
	ds_read_b128 v[114:117], v1 offset:928
	s_waitcnt lgkmcnt(1)
	v_mul_f64 v[122:123], v[110:111], v[54:55]
	s_waitcnt vmcnt(60)
	v_fmac_f64_e32 v[122:123], v[112:113], v[56:57]
	v_add_f64 v[124:125], v[120:121], v[122:123]
	ds_read_b128 v[120:123], v1 offset:944
	s_waitcnt lgkmcnt(1)
	v_mul_f64 v[126:127], v[114:115], v[50:51]
	v_fmac_f64_e32 v[126:127], v[116:117], v[52:53]
	v_add_f64 v[128:129], v[124:125], v[126:127]
	ds_read_b128 v[124:127], v1 offset:960
	s_waitcnt vmcnt(54) lgkmcnt(1)
	v_mul_f64 v[130:131], v[120:121], v[62:63]
	s_waitcnt vmcnt(52)
	v_fmac_f64_e32 v[130:131], v[122:123], v[64:65]
	v_add_f64 v[132:133], v[128:129], v[130:131]
	ds_read_b128 v[128:131], v1 offset:976
	s_waitcnt lgkmcnt(1)
	v_mul_f64 v[134:135], v[124:125], v[58:59]
	v_fmac_f64_e32 v[134:135], v[126:127], v[60:61]
	v_add_f64 v[2:3], v[2:3], 0
	v_fma_f64 v[4:5], v[6:7], v[28:29], -v[4:5]
	v_add_f64 v[136:137], v[132:133], v[134:135]
	ds_read_b128 v[132:135], v1 offset:992
	v_add_f64 v[2:3], v[2:3], v[4:5]
	v_mul_f64 v[4:5], v[12:13], v[26:27]
	v_fma_f64 v[4:5], v[10:11], v[30:31], -v[4:5]
	v_add_f64 v[2:3], v[2:3], v[4:5]
	v_mul_f64 v[4:5], v[16:17], v[38:39]
	s_waitcnt vmcnt(46) lgkmcnt(1)
	v_mul_f64 v[138:139], v[128:129], v[70:71]
	v_fma_f64 v[4:5], v[14:15], v[40:41], -v[4:5]
	s_waitcnt vmcnt(44)
	v_fmac_f64_e32 v[138:139], v[130:131], v[72:73]
	v_add_f64 v[2:3], v[2:3], v[4:5]
	v_mul_f64 v[4:5], v[100:101], v[34:35]
	v_add_f64 v[140:141], v[136:137], v[138:139]
	ds_read_b128 v[136:139], v1 offset:1008
	s_waitcnt lgkmcnt(1)
	v_mul_f64 v[142:143], v[132:133], v[66:67]
	v_fma_f64 v[4:5], v[98:99], v[36:37], -v[4:5]
	v_fmac_f64_e32 v[142:143], v[134:135], v[68:69]
	v_add_f64 v[2:3], v[2:3], v[4:5]
	v_mul_f64 v[4:5], v[104:105], v[46:47]
	v_add_f64 v[144:145], v[140:141], v[142:143]
	ds_read_b128 v[140:143], v1 offset:1024
	v_fma_f64 v[4:5], v[102:103], v[48:49], -v[4:5]
	v_add_f64 v[2:3], v[2:3], v[4:5]
	v_mul_f64 v[4:5], v[108:109], v[42:43]
	v_fma_f64 v[4:5], v[106:107], v[44:45], -v[4:5]
	s_waitcnt vmcnt(38) lgkmcnt(1)
	v_mul_f64 v[146:147], v[136:137], v[78:79]
	v_add_f64 v[2:3], v[2:3], v[4:5]
	v_mul_f64 v[4:5], v[112:113], v[54:55]
	s_waitcnt vmcnt(36)
	v_fmac_f64_e32 v[146:147], v[138:139], v[80:81]
	v_fma_f64 v[4:5], v[110:111], v[56:57], -v[4:5]
	v_add_f64 v[148:149], v[144:145], v[146:147]
	ds_read_b128 v[144:147], v1 offset:1040
	s_waitcnt lgkmcnt(1)
	v_mul_f64 v[150:151], v[140:141], v[74:75]
	v_add_f64 v[2:3], v[2:3], v[4:5]
	v_mul_f64 v[4:5], v[116:117], v[50:51]
	v_fmac_f64_e32 v[150:151], v[142:143], v[76:77]
	v_fma_f64 v[4:5], v[114:115], v[52:53], -v[4:5]
	v_add_f64 v[152:153], v[148:149], v[150:151]
	ds_read_b128 v[148:151], v1 offset:1056
	v_add_f64 v[2:3], v[2:3], v[4:5]
	v_mul_f64 v[4:5], v[122:123], v[62:63]
	v_fma_f64 v[4:5], v[120:121], v[64:65], -v[4:5]
	v_add_f64 v[2:3], v[2:3], v[4:5]
	v_mul_f64 v[4:5], v[126:127], v[58:59]
	s_waitcnt vmcnt(30) lgkmcnt(1)
	v_mul_f64 v[154:155], v[144:145], v[86:87]
	v_fma_f64 v[4:5], v[124:125], v[60:61], -v[4:5]
	s_waitcnt vmcnt(28)
	v_fmac_f64_e32 v[154:155], v[146:147], v[88:89]
	v_add_f64 v[2:3], v[2:3], v[4:5]
	v_mul_f64 v[4:5], v[130:131], v[70:71]
	v_add_f64 v[156:157], v[152:153], v[154:155]
	ds_read_b128 v[152:155], v1 offset:1072
	s_waitcnt lgkmcnt(1)
	v_mul_f64 v[158:159], v[148:149], v[82:83]
	v_fma_f64 v[4:5], v[128:129], v[72:73], -v[4:5]
	v_fmac_f64_e32 v[158:159], v[150:151], v[84:85]
	v_add_f64 v[2:3], v[2:3], v[4:5]
	v_mul_f64 v[4:5], v[134:135], v[66:67]
	v_add_f64 v[160:161], v[156:157], v[158:159]
	ds_read_b128 v[156:159], v1 offset:1088
	v_fma_f64 v[4:5], v[132:133], v[68:69], -v[4:5]
	v_add_f64 v[2:3], v[2:3], v[4:5]
	v_mul_f64 v[4:5], v[138:139], v[78:79]
	v_fma_f64 v[4:5], v[136:137], v[80:81], -v[4:5]
	s_waitcnt vmcnt(22) lgkmcnt(1)
	v_mul_f64 v[162:163], v[152:153], v[94:95]
	v_add_f64 v[2:3], v[2:3], v[4:5]
	v_mul_f64 v[4:5], v[142:143], v[74:75]
	s_waitcnt vmcnt(20)
	v_fmac_f64_e32 v[162:163], v[154:155], v[96:97]
	v_fma_f64 v[4:5], v[140:141], v[76:77], -v[4:5]
	v_add_f64 v[164:165], v[160:161], v[162:163]
	ds_read_b128 v[160:163], v1 offset:1104
	s_waitcnt lgkmcnt(1)
	v_mul_f64 v[166:167], v[156:157], v[90:91]
	v_add_f64 v[2:3], v[2:3], v[4:5]
	v_mul_f64 v[4:5], v[146:147], v[86:87]
	v_fmac_f64_e32 v[166:167], v[158:159], v[92:93]
	v_fma_f64 v[4:5], v[144:145], v[88:89], -v[4:5]
	v_add_f64 v[168:169], v[164:165], v[166:167]
	ds_read_b128 v[164:167], v1 offset:1120
	v_add_f64 v[2:3], v[2:3], v[4:5]
	v_mul_f64 v[4:5], v[150:151], v[82:83]
	v_fma_f64 v[4:5], v[148:149], v[84:85], -v[4:5]
	v_add_f64 v[2:3], v[2:3], v[4:5]
	v_mul_f64 v[4:5], v[154:155], v[94:95]
	s_waitcnt vmcnt(14) lgkmcnt(1)
	v_mul_f64 v[170:171], v[160:161], v[192:193]
	v_fma_f64 v[4:5], v[152:153], v[96:97], -v[4:5]
	s_waitcnt vmcnt(12)
	v_fmac_f64_e32 v[170:171], v[162:163], v[194:195]
	v_add_f64 v[2:3], v[2:3], v[4:5]
	v_mul_f64 v[4:5], v[158:159], v[90:91]
	v_add_f64 v[172:173], v[168:169], v[170:171]
	ds_read_b128 v[168:171], v1 offset:1136
	s_waitcnt lgkmcnt(1)
	v_mul_f64 v[174:175], v[164:165], v[180:181]
	v_fma_f64 v[4:5], v[156:157], v[92:93], -v[4:5]
	v_fmac_f64_e32 v[174:175], v[166:167], v[182:183]
	v_add_f64 v[2:3], v[2:3], v[4:5]
	v_mul_f64 v[4:5], v[162:163], v[192:193]
	v_add_f64 v[208:209], v[172:173], v[174:175]
	ds_read_b128 v[172:175], v1 offset:1152
	v_fma_f64 v[4:5], v[160:161], v[194:195], -v[4:5]
	v_add_f64 v[2:3], v[2:3], v[4:5]
	v_mul_f64 v[4:5], v[166:167], v[180:181]
	ds_read_b128 v[176:179], v1 offset:1168
	v_fma_f64 v[4:5], v[164:165], v[182:183], -v[4:5]
	v_add_f64 v[2:3], v[2:3], v[4:5]
	s_waitcnt vmcnt(6) lgkmcnt(2)
	v_mul_f64 v[4:5], v[170:171], v[200:201]
	v_mul_f64 v[210:211], v[168:169], v[200:201]
	s_waitcnt vmcnt(4)
	v_fma_f64 v[4:5], v[168:169], v[202:203], -v[4:5]
	v_fmac_f64_e32 v[210:211], v[170:171], v[202:203]
	v_add_f64 v[2:3], v[2:3], v[4:5]
	s_waitcnt lgkmcnt(1)
	v_mul_f64 v[4:5], v[174:175], v[196:197]
	v_add_f64 v[208:209], v[208:209], v[210:211]
	v_mul_f64 v[210:211], v[172:173], v[196:197]
	v_fma_f64 v[4:5], v[172:173], v[198:199], -v[4:5]
	v_fmac_f64_e32 v[210:211], v[174:175], v[198:199]
	v_add_f64 v[2:3], v[2:3], v[4:5]
	s_waitcnt vmcnt(2) lgkmcnt(0)
	v_mul_f64 v[4:5], v[178:179], v[204:205]
	v_add_f64 v[208:209], v[208:209], v[210:211]
	v_mul_f64 v[210:211], v[176:177], v[204:205]
	s_waitcnt vmcnt(0)
	v_fma_f64 v[4:5], v[176:177], v[206:207], -v[4:5]
	v_fmac_f64_e32 v[210:211], v[178:179], v[206:207]
	v_add_f64 v[2:3], v[2:3], v[4:5]
	v_add_f64 v[208:209], v[208:209], v[210:211]
	v_add_f64 v[2:3], v[20:21], -v[2:3]
	v_add_f64 v[4:5], v[18:19], -v[208:209]
	buffer_store_dword v3, off, s[0:3], 0 offset:212
	buffer_store_dword v2, off, s[0:3], 0 offset:208
	;; [unrolled: 1-line block ×4, first 2 shown]
	s_and_saveexec_b64 s[4:5], vcc
	s_cbranch_execz .LBB100_213
; %bb.212:
	v_accvgpr_read_b32 v1, a97
	buffer_load_dword v2, v1, s[0:3], 0 offen
	buffer_load_dword v3, v1, s[0:3], 0 offen offset:4
	buffer_load_dword v4, v1, s[0:3], 0 offen offset:8
	;; [unrolled: 1-line block ×3, first 2 shown]
	v_mov_b32_e32 v1, 0
	v_accvgpr_read_b32 v6, a108
	buffer_store_dword v1, off, s[0:3], 0 offset:192
	buffer_store_dword v1, off, s[0:3], 0 offset:196
	;; [unrolled: 1-line block ×4, first 2 shown]
	s_waitcnt vmcnt(4)
	ds_write_b128 v6, v[2:5]
.LBB100_213:
	s_or_b64 exec, exec, s[4:5]
	s_waitcnt lgkmcnt(0)
	; wave barrier
	s_waitcnt lgkmcnt(0)
	buffer_load_dword v22, off, s[0:3], 0 offset:208
	buffer_load_dword v23, off, s[0:3], 0 offset:212
	;; [unrolled: 1-line block ×64, first 2 shown]
	v_mov_b32_e32 v1, 0
	ds_read_b128 v[18:21], v1 offset:784
	ds_read_b128 v[14:17], v1 offset:800
	ds_read_b128 v[10:13], v1 offset:816
	ds_read_b128 v[6:9], v1 offset:832
	ds_read_b128 v[2:5], v1 offset:848
	v_cmp_lt_u32_e32 vcc, 10, v0
	s_waitcnt vmcnt(60) lgkmcnt(4)
	v_mul_f64 v[86:87], v[18:19], v[26:27]
	v_fmac_f64_e32 v[86:87], v[20:21], v[22:23]
	v_add_f64 v[86:87], v[86:87], 0
	v_mul_f64 v[20:21], v[20:21], v[26:27]
	s_waitcnt vmcnt(56) lgkmcnt(3)
	v_mul_f64 v[88:89], v[14:15], v[28:29]
	v_fmac_f64_e32 v[88:89], v[16:17], v[24:25]
	s_waitcnt vmcnt(54) lgkmcnt(2)
	v_mul_f64 v[90:91], v[10:11], v[30:31]
	v_add_f64 v[86:87], v[86:87], v[88:89]
	v_fma_f64 v[18:19], v[18:19], v[22:23], -v[20:21]
	v_mul_f64 v[16:17], v[16:17], v[28:29]
	s_waitcnt vmcnt(50) lgkmcnt(1)
	v_mul_f64 v[102:103], v[6:7], v[40:41]
	v_add_f64 v[18:19], v[18:19], 0
	s_waitcnt vmcnt(48)
	v_fmac_f64_e32 v[90:91], v[12:13], v[44:45]
	v_add_f64 v[104:105], v[86:87], v[90:91]
	buffer_load_dword v87, off, s[0:3], 0 offset:476
	buffer_load_dword v86, off, s[0:3], 0 offset:472
	;; [unrolled: 1-line block ×40, first 2 shown]
	s_waitcnt vmcnt(62)
	v_fmac_f64_e32 v[102:103], v[8:9], v[42:43]
	v_add_f64 v[106:107], v[104:105], v[102:103]
	ds_read_b128 v[102:105], v1 offset:864
	s_waitcnt lgkmcnt(1)
	v_mul_f64 v[108:109], v[2:3], v[36:37]
	v_fmac_f64_e32 v[108:109], v[4:5], v[38:39]
	v_add_f64 v[110:111], v[106:107], v[108:109]
	ds_read_b128 v[106:109], v1 offset:880
	s_waitcnt lgkmcnt(1)
	v_mul_f64 v[112:113], v[102:103], v[50:51]
	v_fmac_f64_e32 v[112:113], v[104:105], v[52:53]
	v_add_f64 v[114:115], v[110:111], v[112:113]
	ds_read_b128 v[110:113], v1 offset:896
	s_waitcnt lgkmcnt(1)
	v_mul_f64 v[116:117], v[106:107], v[46:47]
	v_fmac_f64_e32 v[116:117], v[108:109], v[48:49]
	v_add_f64 v[120:121], v[114:115], v[116:117]
	ds_read_b128 v[114:117], v1 offset:912
	s_waitcnt lgkmcnt(1)
	v_mul_f64 v[122:123], v[110:111], v[58:59]
	v_fmac_f64_e32 v[122:123], v[112:113], v[60:61]
	v_add_f64 v[124:125], v[120:121], v[122:123]
	ds_read_b128 v[120:123], v1 offset:928
	s_waitcnt lgkmcnt(1)
	v_mul_f64 v[126:127], v[114:115], v[54:55]
	v_fmac_f64_e32 v[126:127], v[116:117], v[56:57]
	v_add_f64 v[128:129], v[124:125], v[126:127]
	ds_read_b128 v[124:127], v1 offset:944
	s_waitcnt vmcnt(58) lgkmcnt(1)
	v_mul_f64 v[130:131], v[120:121], v[66:67]
	s_waitcnt vmcnt(56)
	v_fmac_f64_e32 v[130:131], v[122:123], v[68:69]
	v_add_f64 v[132:133], v[128:129], v[130:131]
	ds_read_b128 v[128:131], v1 offset:960
	s_waitcnt lgkmcnt(1)
	v_mul_f64 v[134:135], v[124:125], v[62:63]
	v_fmac_f64_e32 v[134:135], v[126:127], v[64:65]
	v_add_f64 v[136:137], v[132:133], v[134:135]
	ds_read_b128 v[132:135], v1 offset:976
	s_waitcnt vmcnt(50) lgkmcnt(1)
	v_mul_f64 v[138:139], v[128:129], v[74:75]
	s_waitcnt vmcnt(48)
	v_fmac_f64_e32 v[138:139], v[130:131], v[76:77]
	v_add_f64 v[140:141], v[136:137], v[138:139]
	ds_read_b128 v[136:139], v1 offset:992
	v_fma_f64 v[14:15], v[14:15], v[24:25], -v[16:17]
	v_mul_f64 v[12:13], v[12:13], v[30:31]
	v_add_f64 v[14:15], v[18:19], v[14:15]
	v_fma_f64 v[10:11], v[10:11], v[44:45], -v[12:13]
	v_mul_f64 v[8:9], v[8:9], v[40:41]
	s_waitcnt lgkmcnt(1)
	v_mul_f64 v[142:143], v[132:133], v[70:71]
	v_add_f64 v[10:11], v[14:15], v[10:11]
	v_fma_f64 v[6:7], v[6:7], v[42:43], -v[8:9]
	v_mul_f64 v[4:5], v[4:5], v[36:37]
	v_fmac_f64_e32 v[142:143], v[134:135], v[72:73]
	v_add_f64 v[6:7], v[10:11], v[6:7]
	v_fma_f64 v[2:3], v[2:3], v[38:39], -v[4:5]
	v_mul_f64 v[4:5], v[104:105], v[50:51]
	v_add_f64 v[144:145], v[140:141], v[142:143]
	ds_read_b128 v[140:143], v1 offset:1008
	s_waitcnt vmcnt(42) lgkmcnt(1)
	v_mul_f64 v[146:147], v[136:137], v[82:83]
	v_add_f64 v[2:3], v[6:7], v[2:3]
	v_fma_f64 v[4:5], v[102:103], v[52:53], -v[4:5]
	s_waitcnt vmcnt(40)
	v_fmac_f64_e32 v[146:147], v[138:139], v[84:85]
	v_add_f64 v[2:3], v[2:3], v[4:5]
	v_mul_f64 v[4:5], v[108:109], v[46:47]
	v_add_f64 v[148:149], v[144:145], v[146:147]
	ds_read_b128 v[144:147], v1 offset:1024
	v_fma_f64 v[4:5], v[106:107], v[48:49], -v[4:5]
	v_add_f64 v[2:3], v[2:3], v[4:5]
	v_mul_f64 v[4:5], v[112:113], v[58:59]
	v_fma_f64 v[4:5], v[110:111], v[60:61], -v[4:5]
	s_waitcnt lgkmcnt(1)
	v_mul_f64 v[150:151], v[140:141], v[78:79]
	v_add_f64 v[2:3], v[2:3], v[4:5]
	v_mul_f64 v[4:5], v[116:117], v[54:55]
	v_fmac_f64_e32 v[150:151], v[142:143], v[80:81]
	v_fma_f64 v[4:5], v[114:115], v[56:57], -v[4:5]
	v_add_f64 v[152:153], v[148:149], v[150:151]
	ds_read_b128 v[148:151], v1 offset:1040
	s_waitcnt vmcnt(34) lgkmcnt(1)
	v_mul_f64 v[154:155], v[144:145], v[90:91]
	v_add_f64 v[2:3], v[2:3], v[4:5]
	v_mul_f64 v[4:5], v[122:123], v[66:67]
	s_waitcnt vmcnt(32)
	v_fmac_f64_e32 v[154:155], v[146:147], v[92:93]
	v_fma_f64 v[4:5], v[120:121], v[68:69], -v[4:5]
	v_add_f64 v[156:157], v[152:153], v[154:155]
	ds_read_b128 v[152:155], v1 offset:1056
	v_add_f64 v[2:3], v[2:3], v[4:5]
	v_mul_f64 v[4:5], v[126:127], v[62:63]
	v_fma_f64 v[4:5], v[124:125], v[64:65], -v[4:5]
	v_add_f64 v[2:3], v[2:3], v[4:5]
	v_mul_f64 v[4:5], v[130:131], v[74:75]
	s_waitcnt lgkmcnt(1)
	v_mul_f64 v[158:159], v[148:149], v[86:87]
	v_fma_f64 v[4:5], v[128:129], v[76:77], -v[4:5]
	v_fmac_f64_e32 v[158:159], v[150:151], v[88:89]
	v_add_f64 v[2:3], v[2:3], v[4:5]
	v_mul_f64 v[4:5], v[134:135], v[70:71]
	v_add_f64 v[160:161], v[156:157], v[158:159]
	ds_read_b128 v[156:159], v1 offset:1072
	s_waitcnt vmcnt(26) lgkmcnt(1)
	v_mul_f64 v[162:163], v[152:153], v[98:99]
	v_fma_f64 v[4:5], v[132:133], v[72:73], -v[4:5]
	s_waitcnt vmcnt(24)
	v_fmac_f64_e32 v[162:163], v[154:155], v[100:101]
	v_add_f64 v[2:3], v[2:3], v[4:5]
	v_mul_f64 v[4:5], v[138:139], v[82:83]
	v_add_f64 v[164:165], v[160:161], v[162:163]
	ds_read_b128 v[160:163], v1 offset:1088
	v_fma_f64 v[4:5], v[136:137], v[84:85], -v[4:5]
	v_add_f64 v[2:3], v[2:3], v[4:5]
	v_mul_f64 v[4:5], v[142:143], v[78:79]
	v_fma_f64 v[4:5], v[140:141], v[80:81], -v[4:5]
	s_waitcnt lgkmcnt(1)
	v_mul_f64 v[166:167], v[156:157], v[94:95]
	v_add_f64 v[2:3], v[2:3], v[4:5]
	v_mul_f64 v[4:5], v[146:147], v[90:91]
	v_fmac_f64_e32 v[166:167], v[158:159], v[96:97]
	v_fma_f64 v[4:5], v[144:145], v[92:93], -v[4:5]
	v_add_f64 v[168:169], v[164:165], v[166:167]
	ds_read_b128 v[164:167], v1 offset:1104
	s_waitcnt vmcnt(18) lgkmcnt(1)
	v_mul_f64 v[170:171], v[160:161], v[196:197]
	v_add_f64 v[2:3], v[2:3], v[4:5]
	v_mul_f64 v[4:5], v[150:151], v[86:87]
	s_waitcnt vmcnt(16)
	v_fmac_f64_e32 v[170:171], v[162:163], v[198:199]
	v_fma_f64 v[4:5], v[148:149], v[88:89], -v[4:5]
	v_add_f64 v[172:173], v[168:169], v[170:171]
	ds_read_b128 v[168:171], v1 offset:1120
	v_add_f64 v[2:3], v[2:3], v[4:5]
	v_mul_f64 v[4:5], v[154:155], v[98:99]
	v_fma_f64 v[4:5], v[152:153], v[100:101], -v[4:5]
	v_add_f64 v[2:3], v[2:3], v[4:5]
	v_mul_f64 v[4:5], v[158:159], v[94:95]
	s_waitcnt lgkmcnt(1)
	v_mul_f64 v[174:175], v[164:165], v[192:193]
	v_fma_f64 v[4:5], v[156:157], v[96:97], -v[4:5]
	v_fmac_f64_e32 v[174:175], v[166:167], v[194:195]
	v_add_f64 v[2:3], v[2:3], v[4:5]
	v_mul_f64 v[4:5], v[162:163], v[196:197]
	v_add_f64 v[176:177], v[172:173], v[174:175]
	ds_read_b128 v[172:175], v1 offset:1136
	s_waitcnt vmcnt(10) lgkmcnt(1)
	v_mul_f64 v[178:179], v[168:169], v[204:205]
	v_fma_f64 v[4:5], v[160:161], v[198:199], -v[4:5]
	s_waitcnt vmcnt(8)
	v_fmac_f64_e32 v[178:179], v[170:171], v[206:207]
	v_add_f64 v[2:3], v[2:3], v[4:5]
	v_mul_f64 v[4:5], v[166:167], v[192:193]
	v_add_f64 v[216:217], v[176:177], v[178:179]
	ds_read_b128 v[176:179], v1 offset:1152
	ds_read_b128 v[180:183], v1 offset:1168
	v_fma_f64 v[4:5], v[164:165], v[194:195], -v[4:5]
	v_add_f64 v[2:3], v[2:3], v[4:5]
	v_mul_f64 v[4:5], v[170:171], v[204:205]
	v_fma_f64 v[4:5], v[168:169], v[206:207], -v[4:5]
	v_add_f64 v[2:3], v[2:3], v[4:5]
	s_waitcnt lgkmcnt(2)
	v_mul_f64 v[4:5], v[174:175], v[200:201]
	v_mul_f64 v[218:219], v[172:173], v[200:201]
	v_fma_f64 v[4:5], v[172:173], v[202:203], -v[4:5]
	v_fmac_f64_e32 v[218:219], v[174:175], v[202:203]
	v_add_f64 v[2:3], v[2:3], v[4:5]
	s_waitcnt vmcnt(2) lgkmcnt(1)
	v_mul_f64 v[4:5], v[178:179], v[212:213]
	v_add_f64 v[216:217], v[216:217], v[218:219]
	v_mul_f64 v[218:219], v[176:177], v[212:213]
	s_waitcnt vmcnt(0)
	v_fma_f64 v[4:5], v[176:177], v[214:215], -v[4:5]
	v_fmac_f64_e32 v[218:219], v[178:179], v[214:215]
	v_add_f64 v[2:3], v[2:3], v[4:5]
	s_waitcnt lgkmcnt(0)
	v_mul_f64 v[4:5], v[182:183], v[208:209]
	v_add_f64 v[216:217], v[216:217], v[218:219]
	v_mul_f64 v[218:219], v[180:181], v[208:209]
	v_fma_f64 v[4:5], v[180:181], v[210:211], -v[4:5]
	v_fmac_f64_e32 v[218:219], v[182:183], v[210:211]
	v_add_f64 v[2:3], v[2:3], v[4:5]
	v_add_f64 v[216:217], v[216:217], v[218:219]
	v_add_f64 v[2:3], v[34:35], -v[2:3]
	v_add_f64 v[4:5], v[32:33], -v[216:217]
	buffer_store_dword v3, off, s[0:3], 0 offset:196
	buffer_store_dword v2, off, s[0:3], 0 offset:192
	;; [unrolled: 1-line block ×4, first 2 shown]
	s_and_saveexec_b64 s[4:5], vcc
	s_cbranch_execz .LBB100_215
; %bb.214:
	v_accvgpr_read_b32 v5, a98
	buffer_load_dword v2, v5, s[0:3], 0 offen
	buffer_load_dword v3, v5, s[0:3], 0 offen offset:4
	buffer_load_dword v4, v5, s[0:3], 0 offen offset:8
	s_nop 0
	buffer_load_dword v5, v5, s[0:3], 0 offen offset:12
	v_accvgpr_read_b32 v6, a108
	buffer_store_dword v1, off, s[0:3], 0 offset:176
	buffer_store_dword v1, off, s[0:3], 0 offset:180
	;; [unrolled: 1-line block ×4, first 2 shown]
	s_waitcnt vmcnt(4)
	ds_write_b128 v6, v[2:5]
.LBB100_215:
	s_or_b64 exec, exec, s[4:5]
	s_waitcnt lgkmcnt(0)
	; wave barrier
	s_waitcnt lgkmcnt(0)
	buffer_load_dword v26, off, s[0:3], 0 offset:192
	buffer_load_dword v27, off, s[0:3], 0 offset:196
	buffer_load_dword v28, off, s[0:3], 0 offset:200
	buffer_load_dword v29, off, s[0:3], 0 offset:204
	buffer_load_dword v30, off, s[0:3], 0 offset:216
	buffer_load_dword v31, off, s[0:3], 0 offset:220
	buffer_load_dword v32, off, s[0:3], 0 offset:232
	buffer_load_dword v33, off, s[0:3], 0 offset:236
	buffer_load_dword v39, off, s[0:3], 0 offset:268
	buffer_load_dword v38, off, s[0:3], 0 offset:264
	buffer_load_dword v41, off, s[0:3], 0 offset:260
	buffer_load_dword v43, off, s[0:3], 0 offset:252
	buffer_load_dword v42, off, s[0:3], 0 offset:248
	buffer_load_dword v48, off, s[0:3], 0 offset:208
	buffer_load_dword v49, off, s[0:3], 0 offset:212
	buffer_load_dword v46, off, s[0:3], 0 offset:224
	buffer_load_dword v47, off, s[0:3], 0 offset:228
	buffer_load_dword v45, off, s[0:3], 0 offset:244
	buffer_load_dword v44, off, s[0:3], 0 offset:240
	buffer_load_dword v40, off, s[0:3], 0 offset:256
	buffer_load_dword v36, off, s[0:3], 0 offset:176
	buffer_load_dword v37, off, s[0:3], 0 offset:180
	buffer_load_dword v34, off, s[0:3], 0 offset:184
	buffer_load_dword v35, off, s[0:3], 0 offset:188
	ds_read_b128 v[22:25], v1 offset:768
	ds_read_b128 v[18:21], v1 offset:784
	;; [unrolled: 1-line block ×6, first 2 shown]
	buffer_load_dword v51, off, s[0:3], 0 offset:300
	buffer_load_dword v50, off, s[0:3], 0 offset:296
	;; [unrolled: 1-line block ×40, first 2 shown]
	v_cmp_lt_u32_e32 vcc, 9, v0
	s_waitcnt vmcnt(34) lgkmcnt(0)
	v_mul_f64 v[122:123], v[14:15], v[54:55]
	s_waitcnt vmcnt(32)
	v_fmac_f64_e32 v[122:123], v[16:17], v[56:57]
	v_mul_f64 v[90:91], v[22:23], v[28:29]
	v_fmac_f64_e32 v[90:91], v[24:25], v[26:27]
	v_mul_f64 v[92:93], v[18:19], v[30:31]
	v_add_f64 v[90:91], v[90:91], 0
	v_mul_f64 v[94:95], v[10:11], v[32:33]
	v_mul_f64 v[24:25], v[24:25], v[28:29]
	;; [unrolled: 1-line block ×3, first 2 shown]
	v_fma_f64 v[22:23], v[22:23], v[26:27], -v[24:25]
	v_add_f64 v[22:23], v[22:23], 0
	v_mul_f64 v[96:97], v[6:7], v[42:43]
	v_fmac_f64_e32 v[92:93], v[20:21], v[48:49]
	v_add_f64 v[90:91], v[90:91], v[92:93]
	v_fmac_f64_e32 v[94:95], v[12:13], v[46:47]
	v_add_f64 v[90:91], v[90:91], v[94:95]
	;; [unrolled: 2-line block ×3, first 2 shown]
	buffer_load_dword v91, off, s[0:3], 0 offset:460
	buffer_load_dword v90, off, s[0:3], 0 offset:456
	buffer_load_dword v93, off, s[0:3], 0 offset:452
	buffer_load_dword v92, off, s[0:3], 0 offset:448
	buffer_load_dword v95, off, s[0:3], 0 offset:444
	buffer_load_dword v94, off, s[0:3], 0 offset:440
	buffer_load_dword v97, off, s[0:3], 0 offset:436
	buffer_load_dword v96, off, s[0:3], 0 offset:432
	buffer_load_dword v99, off, s[0:3], 0 offset:492
	buffer_load_dword v98, off, s[0:3], 0 offset:488
	buffer_load_dword v101, off, s[0:3], 0 offset:484
	buffer_load_dword v100, off, s[0:3], 0 offset:480
	buffer_load_dword v103, off, s[0:3], 0 offset:476
	buffer_load_dword v102, off, s[0:3], 0 offset:472
	buffer_load_dword v105, off, s[0:3], 0 offset:468
	buffer_load_dword v104, off, s[0:3], 0 offset:464
	buffer_load_dword v107, off, s[0:3], 0 offset:524
	buffer_load_dword v106, off, s[0:3], 0 offset:520
	buffer_load_dword v109, off, s[0:3], 0 offset:516
	buffer_load_dword v108, off, s[0:3], 0 offset:512
	buffer_load_dword v111, off, s[0:3], 0 offset:508
	buffer_load_dword v110, off, s[0:3], 0 offset:504
	buffer_load_dword v113, off, s[0:3], 0 offset:500
	buffer_load_dword v112, off, s[0:3], 0 offset:496
	buffer_load_dword v205, off, s[0:3], 0 offset:556
	buffer_load_dword v204, off, s[0:3], 0 offset:552
	buffer_load_dword v207, off, s[0:3], 0 offset:548
	buffer_load_dword v206, off, s[0:3], 0 offset:544
	buffer_load_dword v209, off, s[0:3], 0 offset:540
	buffer_load_dword v208, off, s[0:3], 0 offset:536
	buffer_load_dword v211, off, s[0:3], 0 offset:532
	buffer_load_dword v210, off, s[0:3], 0 offset:528
	buffer_load_dword v213, off, s[0:3], 0 offset:588
	buffer_load_dword v212, off, s[0:3], 0 offset:584
	buffer_load_dword v215, off, s[0:3], 0 offset:580
	buffer_load_dword v214, off, s[0:3], 0 offset:576
	buffer_load_dword v217, off, s[0:3], 0 offset:572
	buffer_load_dword v216, off, s[0:3], 0 offset:568
	buffer_load_dword v219, off, s[0:3], 0 offset:564
	buffer_load_dword v218, off, s[0:3], 0 offset:560
	v_fmac_f64_e32 v[114:115], v[4:5], v[40:41]
	v_add_f64 v[120:121], v[116:117], v[114:115]
	ds_read_b128 v[114:117], v1 offset:864
	buffer_load_dword v221, off, s[0:3], 0 offset:604
	buffer_load_dword v220, off, s[0:3], 0 offset:600
	;; [unrolled: 1-line block ×4, first 2 shown]
	v_add_f64 v[124:125], v[120:121], v[122:123]
	ds_read_b128 v[120:123], v1 offset:880
	v_mul_f64 v[20:21], v[20:21], v[30:31]
	s_waitcnt lgkmcnt(1)
	v_mul_f64 v[126:127], v[114:115], v[50:51]
	v_fmac_f64_e32 v[126:127], v[116:117], v[52:53]
	v_add_f64 v[128:129], v[124:125], v[126:127]
	ds_read_b128 v[124:127], v1 offset:896
	s_waitcnt vmcnt(62) lgkmcnt(1)
	v_mul_f64 v[130:131], v[120:121], v[62:63]
	v_fmac_f64_e32 v[130:131], v[122:123], v[64:65]
	v_add_f64 v[132:133], v[128:129], v[130:131]
	ds_read_b128 v[128:131], v1 offset:912
	s_waitcnt lgkmcnt(1)
	v_mul_f64 v[134:135], v[124:125], v[58:59]
	v_fmac_f64_e32 v[134:135], v[126:127], v[60:61]
	v_add_f64 v[136:137], v[132:133], v[134:135]
	ds_read_b128 v[132:135], v1 offset:928
	s_waitcnt lgkmcnt(1)
	v_mul_f64 v[138:139], v[128:129], v[70:71]
	s_waitcnt vmcnt(60)
	v_fmac_f64_e32 v[138:139], v[130:131], v[72:73]
	v_add_f64 v[140:141], v[136:137], v[138:139]
	ds_read_b128 v[136:139], v1 offset:944
	s_waitcnt lgkmcnt(1)
	v_mul_f64 v[142:143], v[132:133], v[66:67]
	v_fmac_f64_e32 v[142:143], v[134:135], v[68:69]
	v_add_f64 v[144:145], v[140:141], v[142:143]
	ds_read_b128 v[140:143], v1 offset:960
	s_waitcnt vmcnt(54) lgkmcnt(1)
	v_mul_f64 v[146:147], v[136:137], v[78:79]
	s_waitcnt vmcnt(52)
	v_fmac_f64_e32 v[146:147], v[138:139], v[80:81]
	v_add_f64 v[148:149], v[144:145], v[146:147]
	ds_read_b128 v[144:147], v1 offset:976
	s_waitcnt lgkmcnt(1)
	v_mul_f64 v[150:151], v[140:141], v[74:75]
	v_fmac_f64_e32 v[150:151], v[142:143], v[76:77]
	v_fma_f64 v[18:19], v[18:19], v[48:49], -v[20:21]
	v_mul_f64 v[12:13], v[12:13], v[32:33]
	v_add_f64 v[152:153], v[148:149], v[150:151]
	ds_read_b128 v[148:151], v1 offset:992
	v_add_f64 v[18:19], v[22:23], v[18:19]
	v_fma_f64 v[10:11], v[10:11], v[46:47], -v[12:13]
	v_mul_f64 v[8:9], v[8:9], v[42:43]
	v_add_f64 v[10:11], v[18:19], v[10:11]
	v_fma_f64 v[6:7], v[6:7], v[44:45], -v[8:9]
	v_mul_f64 v[4:5], v[4:5], v[38:39]
	;; [unrolled: 3-line block ×3, first 2 shown]
	s_waitcnt vmcnt(46) lgkmcnt(1)
	v_mul_f64 v[154:155], v[144:145], v[86:87]
	v_add_f64 v[2:3], v[6:7], v[2:3]
	v_fma_f64 v[4:5], v[14:15], v[56:57], -v[4:5]
	s_waitcnt vmcnt(44)
	v_fmac_f64_e32 v[154:155], v[146:147], v[88:89]
	v_add_f64 v[2:3], v[2:3], v[4:5]
	v_mul_f64 v[4:5], v[116:117], v[50:51]
	v_add_f64 v[156:157], v[152:153], v[154:155]
	ds_read_b128 v[152:155], v1 offset:1008
	s_waitcnt lgkmcnt(1)
	v_mul_f64 v[158:159], v[148:149], v[82:83]
	v_fma_f64 v[4:5], v[114:115], v[52:53], -v[4:5]
	v_fmac_f64_e32 v[158:159], v[150:151], v[84:85]
	v_add_f64 v[2:3], v[2:3], v[4:5]
	v_mul_f64 v[4:5], v[122:123], v[62:63]
	v_add_f64 v[160:161], v[156:157], v[158:159]
	ds_read_b128 v[156:159], v1 offset:1024
	v_fma_f64 v[4:5], v[120:121], v[64:65], -v[4:5]
	v_add_f64 v[2:3], v[2:3], v[4:5]
	v_mul_f64 v[4:5], v[126:127], v[58:59]
	v_fma_f64 v[4:5], v[124:125], v[60:61], -v[4:5]
	s_waitcnt vmcnt(38) lgkmcnt(1)
	v_mul_f64 v[162:163], v[152:153], v[94:95]
	v_add_f64 v[2:3], v[2:3], v[4:5]
	v_mul_f64 v[4:5], v[130:131], v[70:71]
	s_waitcnt vmcnt(36)
	v_fmac_f64_e32 v[162:163], v[154:155], v[96:97]
	v_fma_f64 v[4:5], v[128:129], v[72:73], -v[4:5]
	v_add_f64 v[164:165], v[160:161], v[162:163]
	ds_read_b128 v[160:163], v1 offset:1040
	s_waitcnt lgkmcnt(1)
	v_mul_f64 v[166:167], v[156:157], v[90:91]
	v_add_f64 v[2:3], v[2:3], v[4:5]
	v_mul_f64 v[4:5], v[134:135], v[66:67]
	v_fmac_f64_e32 v[166:167], v[158:159], v[92:93]
	v_fma_f64 v[4:5], v[132:133], v[68:69], -v[4:5]
	v_add_f64 v[168:169], v[164:165], v[166:167]
	ds_read_b128 v[164:167], v1 offset:1056
	v_add_f64 v[2:3], v[2:3], v[4:5]
	v_mul_f64 v[4:5], v[138:139], v[78:79]
	v_fma_f64 v[4:5], v[136:137], v[80:81], -v[4:5]
	v_add_f64 v[2:3], v[2:3], v[4:5]
	v_mul_f64 v[4:5], v[142:143], v[74:75]
	s_waitcnt vmcnt(30) lgkmcnt(1)
	v_mul_f64 v[170:171], v[160:161], v[102:103]
	v_fma_f64 v[4:5], v[140:141], v[76:77], -v[4:5]
	s_waitcnt vmcnt(28)
	v_fmac_f64_e32 v[170:171], v[162:163], v[104:105]
	v_add_f64 v[2:3], v[2:3], v[4:5]
	v_mul_f64 v[4:5], v[146:147], v[86:87]
	v_add_f64 v[172:173], v[168:169], v[170:171]
	ds_read_b128 v[168:171], v1 offset:1072
	s_waitcnt lgkmcnt(1)
	v_mul_f64 v[174:175], v[164:165], v[98:99]
	v_fma_f64 v[4:5], v[144:145], v[88:89], -v[4:5]
	v_fmac_f64_e32 v[174:175], v[166:167], v[100:101]
	v_add_f64 v[2:3], v[2:3], v[4:5]
	v_mul_f64 v[4:5], v[150:151], v[82:83]
	v_add_f64 v[176:177], v[172:173], v[174:175]
	ds_read_b128 v[172:175], v1 offset:1088
	v_fma_f64 v[4:5], v[148:149], v[84:85], -v[4:5]
	v_add_f64 v[2:3], v[2:3], v[4:5]
	v_mul_f64 v[4:5], v[154:155], v[94:95]
	v_fma_f64 v[4:5], v[152:153], v[96:97], -v[4:5]
	s_waitcnt vmcnt(22) lgkmcnt(1)
	v_mul_f64 v[178:179], v[168:169], v[110:111]
	v_add_f64 v[2:3], v[2:3], v[4:5]
	v_mul_f64 v[4:5], v[158:159], v[90:91]
	s_waitcnt vmcnt(20)
	v_fmac_f64_e32 v[178:179], v[170:171], v[112:113]
	v_fma_f64 v[4:5], v[156:157], v[92:93], -v[4:5]
	v_add_f64 v[180:181], v[176:177], v[178:179]
	ds_read_b128 v[176:179], v1 offset:1104
	s_waitcnt lgkmcnt(1)
	v_mul_f64 v[182:183], v[172:173], v[106:107]
	v_add_f64 v[2:3], v[2:3], v[4:5]
	v_mul_f64 v[4:5], v[162:163], v[102:103]
	v_fmac_f64_e32 v[182:183], v[174:175], v[108:109]
	v_fma_f64 v[4:5], v[160:161], v[104:105], -v[4:5]
	v_add_f64 v[192:193], v[180:181], v[182:183]
	ds_read_b128 v[180:183], v1 offset:1120
	v_add_f64 v[2:3], v[2:3], v[4:5]
	v_mul_f64 v[4:5], v[166:167], v[98:99]
	v_fma_f64 v[4:5], v[164:165], v[100:101], -v[4:5]
	v_add_f64 v[2:3], v[2:3], v[4:5]
	v_mul_f64 v[4:5], v[170:171], v[110:111]
	s_waitcnt vmcnt(14) lgkmcnt(1)
	v_mul_f64 v[194:195], v[176:177], v[208:209]
	v_fma_f64 v[4:5], v[168:169], v[112:113], -v[4:5]
	s_waitcnt vmcnt(12)
	v_fmac_f64_e32 v[194:195], v[178:179], v[210:211]
	v_add_f64 v[2:3], v[2:3], v[4:5]
	v_mul_f64 v[4:5], v[174:175], v[106:107]
	v_add_f64 v[196:197], v[192:193], v[194:195]
	ds_read_b128 v[192:195], v1 offset:1136
	s_waitcnt lgkmcnt(1)
	v_mul_f64 v[198:199], v[180:181], v[204:205]
	v_fma_f64 v[4:5], v[172:173], v[108:109], -v[4:5]
	v_fmac_f64_e32 v[198:199], v[182:183], v[206:207]
	v_add_f64 v[2:3], v[2:3], v[4:5]
	v_mul_f64 v[4:5], v[178:179], v[208:209]
	v_add_f64 v[224:225], v[196:197], v[198:199]
	ds_read_b128 v[196:199], v1 offset:1152
	v_fma_f64 v[4:5], v[176:177], v[210:211], -v[4:5]
	v_add_f64 v[2:3], v[2:3], v[4:5]
	v_mul_f64 v[4:5], v[182:183], v[204:205]
	ds_read_b128 v[200:203], v1 offset:1168
	v_fma_f64 v[4:5], v[180:181], v[206:207], -v[4:5]
	v_add_f64 v[2:3], v[2:3], v[4:5]
	s_waitcnt vmcnt(6) lgkmcnt(2)
	v_mul_f64 v[4:5], v[194:195], v[216:217]
	v_mul_f64 v[226:227], v[192:193], v[216:217]
	s_waitcnt vmcnt(4)
	v_fma_f64 v[4:5], v[192:193], v[218:219], -v[4:5]
	v_fmac_f64_e32 v[226:227], v[194:195], v[218:219]
	v_add_f64 v[2:3], v[2:3], v[4:5]
	s_waitcnt lgkmcnt(1)
	v_mul_f64 v[4:5], v[198:199], v[212:213]
	v_add_f64 v[224:225], v[224:225], v[226:227]
	v_mul_f64 v[226:227], v[196:197], v[212:213]
	v_fma_f64 v[4:5], v[196:197], v[214:215], -v[4:5]
	v_fmac_f64_e32 v[226:227], v[198:199], v[214:215]
	v_add_f64 v[2:3], v[2:3], v[4:5]
	s_waitcnt vmcnt(2) lgkmcnt(0)
	v_mul_f64 v[4:5], v[202:203], v[220:221]
	v_add_f64 v[224:225], v[224:225], v[226:227]
	v_mul_f64 v[226:227], v[200:201], v[220:221]
	s_waitcnt vmcnt(0)
	v_fma_f64 v[4:5], v[200:201], v[222:223], -v[4:5]
	v_fmac_f64_e32 v[226:227], v[202:203], v[222:223]
	v_add_f64 v[2:3], v[2:3], v[4:5]
	v_add_f64 v[224:225], v[224:225], v[226:227]
	v_add_f64 v[2:3], v[36:37], -v[2:3]
	v_add_f64 v[4:5], v[34:35], -v[224:225]
	buffer_store_dword v3, off, s[0:3], 0 offset:180
	buffer_store_dword v2, off, s[0:3], 0 offset:176
	;; [unrolled: 1-line block ×4, first 2 shown]
	s_and_saveexec_b64 s[4:5], vcc
	s_cbranch_execz .LBB100_217
; %bb.216:
	v_accvgpr_read_b32 v1, a99
	buffer_load_dword v2, v1, s[0:3], 0 offen
	buffer_load_dword v3, v1, s[0:3], 0 offen offset:4
	buffer_load_dword v4, v1, s[0:3], 0 offen offset:8
	;; [unrolled: 1-line block ×3, first 2 shown]
	v_mov_b32_e32 v1, 0
	v_accvgpr_read_b32 v6, a108
	buffer_store_dword v1, off, s[0:3], 0 offset:160
	buffer_store_dword v1, off, s[0:3], 0 offset:164
	;; [unrolled: 1-line block ×4, first 2 shown]
	s_waitcnt vmcnt(4)
	ds_write_b128 v6, v[2:5]
.LBB100_217:
	s_or_b64 exec, exec, s[4:5]
	s_waitcnt lgkmcnt(0)
	; wave barrier
	s_waitcnt lgkmcnt(0)
	buffer_load_dword v30, off, s[0:3], 0 offset:176
	buffer_load_dword v31, off, s[0:3], 0 offset:180
	;; [unrolled: 1-line block ×56, first 2 shown]
	v_mov_b32_e32 v1, 0
	ds_read_b128 v[26:29], v1 offset:752
	ds_read_b128 v[22:25], v1 offset:768
	;; [unrolled: 1-line block ×7, first 2 shown]
	v_cmp_lt_u32_e32 vcc, 8, v0
	s_waitcnt vmcnt(52) lgkmcnt(6)
	v_mul_f64 v[86:87], v[26:27], v[34:35]
	v_fmac_f64_e32 v[86:87], v[28:29], v[30:31]
	v_add_f64 v[86:87], v[86:87], 0
	v_mul_f64 v[28:29], v[28:29], v[34:35]
	s_waitcnt vmcnt(48) lgkmcnt(5)
	v_mul_f64 v[88:89], v[22:23], v[36:37]
	v_fmac_f64_e32 v[88:89], v[24:25], v[32:33]
	s_waitcnt vmcnt(46) lgkmcnt(4)
	v_mul_f64 v[90:91], v[18:19], v[38:39]
	v_add_f64 v[86:87], v[86:87], v[88:89]
	s_waitcnt vmcnt(44) lgkmcnt(2)
	v_mul_f64 v[94:95], v[10:11], v[40:41]
	v_fma_f64 v[26:27], v[26:27], v[30:31], -v[28:29]
	s_waitcnt vmcnt(42)
	v_fmac_f64_e32 v[94:95], v[12:13], v[42:43]
	v_mul_f64 v[24:25], v[24:25], v[36:37]
	s_waitcnt vmcnt(40)
	v_mul_f64 v[92:93], v[14:15], v[48:49]
	v_add_f64 v[26:27], v[26:27], 0
	v_fma_f64 v[22:23], v[22:23], v[32:33], -v[24:25]
	v_add_f64 v[22:23], v[26:27], v[22:23]
	s_waitcnt vmcnt(36) lgkmcnt(1)
	v_mul_f64 v[110:111], v[6:7], v[54:55]
	v_mul_f64 v[12:13], v[12:13], v[40:41]
	s_waitcnt vmcnt(34)
	v_fmac_f64_e32 v[90:91], v[20:21], v[60:61]
	v_add_f64 v[86:87], v[86:87], v[90:91]
	s_waitcnt vmcnt(32)
	v_fmac_f64_e32 v[92:93], v[16:17], v[58:59]
	v_add_f64 v[86:87], v[86:87], v[92:93]
	v_add_f64 v[116:117], v[86:87], v[94:95]
	buffer_load_dword v87, off, s[0:3], 0 offset:412
	buffer_load_dword v86, off, s[0:3], 0 offset:408
	;; [unrolled: 1-line block ×56, first 2 shown]
	ds_read_b128 v[126:129], v1 offset:864
	ds_read_b128 v[130:133], v1 offset:880
	v_mul_f64 v[20:21], v[20:21], v[38:39]
	v_fma_f64 v[18:19], v[18:19], v[60:61], -v[20:21]
	v_mul_f64 v[16:17], v[16:17], v[48:49]
	s_waitcnt vmcnt(62)
	v_fmac_f64_e32 v[110:111], v[8:9], v[56:57]
	v_add_f64 v[18:19], v[22:23], v[18:19]
	v_fma_f64 v[14:15], v[14:15], v[58:59], -v[16:17]
	v_add_f64 v[110:111], v[116:117], v[110:111]
	s_waitcnt lgkmcnt(2)
	v_mul_f64 v[116:117], v[2:3], v[50:51]
	v_add_f64 v[14:15], v[18:19], v[14:15]
	v_fma_f64 v[10:11], v[10:11], v[42:43], -v[12:13]
	v_mul_f64 v[8:9], v[8:9], v[54:55]
	v_fmac_f64_e32 v[116:117], v[4:5], v[52:53]
	ds_read_b128 v[134:137], v1 offset:896
	ds_read_b128 v[138:141], v1 offset:912
	v_add_f64 v[10:11], v[14:15], v[10:11]
	v_fma_f64 v[6:7], v[6:7], v[56:57], -v[8:9]
	v_mul_f64 v[4:5], v[4:5], v[50:51]
	v_add_f64 v[6:7], v[10:11], v[6:7]
	v_fma_f64 v[2:3], v[2:3], v[52:53], -v[4:5]
	s_waitcnt lgkmcnt(3)
	v_mul_f64 v[4:5], v[128:129], v[66:67]
	v_add_f64 v[110:111], v[110:111], v[116:117]
	v_mul_f64 v[116:117], v[126:127], v[66:67]
	v_add_f64 v[2:3], v[6:7], v[2:3]
	v_fma_f64 v[4:5], v[126:127], v[68:69], -v[4:5]
	v_fmac_f64_e32 v[116:117], v[128:129], v[68:69]
	v_add_f64 v[2:3], v[2:3], v[4:5]
	s_waitcnt lgkmcnt(2)
	v_mul_f64 v[4:5], v[132:133], v[62:63]
	v_add_f64 v[110:111], v[110:111], v[116:117]
	v_mul_f64 v[116:117], v[130:131], v[62:63]
	ds_read_b128 v[142:145], v1 offset:928
	ds_read_b128 v[146:149], v1 offset:944
	v_fma_f64 v[4:5], v[130:131], v[64:65], -v[4:5]
	v_fmac_f64_e32 v[116:117], v[132:133], v[64:65]
	v_add_f64 v[2:3], v[2:3], v[4:5]
	s_waitcnt lgkmcnt(3)
	v_mul_f64 v[4:5], v[136:137], v[74:75]
	v_add_f64 v[110:111], v[110:111], v[116:117]
	v_mul_f64 v[116:117], v[134:135], v[74:75]
	v_fma_f64 v[4:5], v[134:135], v[76:77], -v[4:5]
	v_fmac_f64_e32 v[116:117], v[136:137], v[76:77]
	v_add_f64 v[2:3], v[2:3], v[4:5]
	s_waitcnt lgkmcnt(2)
	v_mul_f64 v[4:5], v[140:141], v[70:71]
	v_add_f64 v[110:111], v[110:111], v[116:117]
	v_mul_f64 v[116:117], v[138:139], v[70:71]
	ds_read_b128 v[150:153], v1 offset:960
	ds_read_b128 v[154:157], v1 offset:976
	v_fma_f64 v[4:5], v[138:139], v[72:73], -v[4:5]
	v_fmac_f64_e32 v[116:117], v[140:141], v[72:73]
	v_add_f64 v[2:3], v[2:3], v[4:5]
	s_waitcnt vmcnt(58) lgkmcnt(3)
	v_mul_f64 v[4:5], v[144:145], v[82:83]
	v_add_f64 v[110:111], v[110:111], v[116:117]
	v_mul_f64 v[116:117], v[142:143], v[82:83]
	s_waitcnt vmcnt(56)
	v_fma_f64 v[4:5], v[142:143], v[84:85], -v[4:5]
	v_fmac_f64_e32 v[116:117], v[144:145], v[84:85]
	v_add_f64 v[2:3], v[2:3], v[4:5]
	s_waitcnt lgkmcnt(2)
	v_mul_f64 v[4:5], v[148:149], v[78:79]
	v_add_f64 v[110:111], v[110:111], v[116:117]
	v_mul_f64 v[116:117], v[146:147], v[78:79]
	ds_read_b128 v[158:161], v1 offset:992
	ds_read_b128 v[162:165], v1 offset:1008
	v_fma_f64 v[4:5], v[146:147], v[80:81], -v[4:5]
	v_fmac_f64_e32 v[116:117], v[148:149], v[80:81]
	v_add_f64 v[2:3], v[2:3], v[4:5]
	s_waitcnt vmcnt(50) lgkmcnt(3)
	v_mul_f64 v[4:5], v[152:153], v[90:91]
	v_add_f64 v[110:111], v[110:111], v[116:117]
	v_mul_f64 v[116:117], v[150:151], v[90:91]
	s_waitcnt vmcnt(48)
	;; [unrolled: 17-line block ×7, first 2 shown]
	v_fma_f64 v[4:5], v[200:201], v[226:227], -v[4:5]
	v_fmac_f64_e32 v[116:117], v[202:203], v[226:227]
	v_add_f64 v[2:3], v[2:3], v[4:5]
	s_waitcnt lgkmcnt(2)
	v_mul_f64 v[4:5], v[206:207], v[220:221]
	v_add_f64 v[110:111], v[110:111], v[116:117]
	v_mul_f64 v[116:117], v[204:205], v[220:221]
	v_fma_f64 v[4:5], v[204:205], v[222:223], -v[4:5]
	v_fmac_f64_e32 v[116:117], v[206:207], v[222:223]
	v_add_f64 v[2:3], v[2:3], v[4:5]
	s_waitcnt vmcnt(2) lgkmcnt(1)
	v_mul_f64 v[4:5], v[210:211], v[232:233]
	v_add_f64 v[110:111], v[110:111], v[116:117]
	v_mul_f64 v[116:117], v[208:209], v[232:233]
	s_waitcnt vmcnt(0)
	v_fma_f64 v[4:5], v[208:209], v[234:235], -v[4:5]
	v_fmac_f64_e32 v[116:117], v[210:211], v[234:235]
	v_add_f64 v[2:3], v[2:3], v[4:5]
	s_waitcnt lgkmcnt(0)
	v_mul_f64 v[4:5], v[214:215], v[228:229]
	v_add_f64 v[110:111], v[110:111], v[116:117]
	v_mul_f64 v[116:117], v[212:213], v[228:229]
	v_fma_f64 v[4:5], v[212:213], v[230:231], -v[4:5]
	v_fmac_f64_e32 v[116:117], v[214:215], v[230:231]
	v_add_f64 v[2:3], v[2:3], v[4:5]
	v_add_f64 v[110:111], v[110:111], v[116:117]
	v_add_f64 v[2:3], v[46:47], -v[2:3]
	v_add_f64 v[4:5], v[44:45], -v[110:111]
	buffer_store_dword v3, off, s[0:3], 0 offset:164
	buffer_store_dword v2, off, s[0:3], 0 offset:160
	;; [unrolled: 1-line block ×4, first 2 shown]
	s_and_saveexec_b64 s[4:5], vcc
	s_cbranch_execz .LBB100_219
; %bb.218:
	v_accvgpr_read_b32 v5, a100
	buffer_load_dword v2, v5, s[0:3], 0 offen
	buffer_load_dword v3, v5, s[0:3], 0 offen offset:4
	buffer_load_dword v4, v5, s[0:3], 0 offen offset:8
	s_nop 0
	buffer_load_dword v5, v5, s[0:3], 0 offen offset:12
	v_accvgpr_read_b32 v6, a108
	buffer_store_dword v1, off, s[0:3], 0 offset:144
	buffer_store_dword v1, off, s[0:3], 0 offset:148
	;; [unrolled: 1-line block ×4, first 2 shown]
	s_waitcnt vmcnt(4)
	ds_write_b128 v6, v[2:5]
.LBB100_219:
	s_or_b64 exec, exec, s[4:5]
	s_waitcnt lgkmcnt(0)
	; wave barrier
	s_waitcnt lgkmcnt(0)
	buffer_load_dword v34, off, s[0:3], 0 offset:160
	buffer_load_dword v35, off, s[0:3], 0 offset:164
	;; [unrolled: 1-line block ×32, first 2 shown]
	ds_read_b128 v[30:33], v1 offset:736
	ds_read_b128 v[26:29], v1 offset:752
	;; [unrolled: 1-line block ×8, first 2 shown]
	buffer_load_dword v67, off, s[0:3], 0 offset:300
	buffer_load_dword v66, off, s[0:3], 0 offset:296
	;; [unrolled: 1-line block ×24, first 2 shown]
	v_cmp_lt_u32_e32 vcc, 7, v0
	s_waitcnt vmcnt(52) lgkmcnt(7)
	v_mul_f64 v[90:91], v[30:31], v[38:39]
	v_fmac_f64_e32 v[90:91], v[32:33], v[34:35]
	v_add_f64 v[90:91], v[90:91], 0
	v_mul_f64 v[32:33], v[32:33], v[38:39]
	s_waitcnt vmcnt(48) lgkmcnt(6)
	v_mul_f64 v[92:93], v[26:27], v[40:41]
	v_fmac_f64_e32 v[92:93], v[28:29], v[36:37]
	s_waitcnt vmcnt(46) lgkmcnt(5)
	v_mul_f64 v[94:95], v[22:23], v[42:43]
	v_add_f64 v[90:91], v[90:91], v[92:93]
	s_waitcnt vmcnt(44) lgkmcnt(4)
	v_mul_f64 v[96:97], v[18:19], v[48:49]
	v_fma_f64 v[30:31], v[30:31], v[34:35], -v[32:33]
	s_waitcnt vmcnt(42) lgkmcnt(1)
	v_mul_f64 v[124:125], v[2:3], v[50:51]
	v_mul_f64 v[28:29], v[28:29], v[40:41]
	s_waitcnt vmcnt(18) lgkmcnt(0)
	v_mul_f64 v[138:139], v[14:15], v[70:71]
	v_mul_f64 v[100:101], v[6:7], v[54:55]
	s_waitcnt vmcnt(16)
	v_fmac_f64_e32 v[138:139], v[16:17], v[72:73]
	v_mul_f64 v[98:99], v[10:11], v[56:57]
	v_add_f64 v[30:31], v[30:31], 0
	v_fmac_f64_e32 v[98:99], v[12:13], v[58:59]
	v_fma_f64 v[26:27], v[26:27], v[36:37], -v[28:29]
	v_fmac_f64_e32 v[94:95], v[24:25], v[64:65]
	v_add_f64 v[90:91], v[90:91], v[94:95]
	v_fmac_f64_e32 v[96:97], v[20:21], v[62:63]
	v_add_f64 v[90:91], v[90:91], v[96:97]
	;; [unrolled: 2-line block ×3, first 2 shown]
	v_add_f64 v[126:127], v[90:91], v[100:101]
	buffer_load_dword v91, off, s[0:3], 0 offset:396
	buffer_load_dword v90, off, s[0:3], 0 offset:392
	;; [unrolled: 1-line block ×56, first 2 shown]
	v_fmac_f64_e32 v[124:125], v[4:5], v[52:53]
	v_add_f64 v[136:137], v[126:127], v[124:125]
	ds_read_b128 v[124:127], v1 offset:864
	buffer_load_dword v237, off, s[0:3], 0 offset:604
	buffer_load_dword v236, off, s[0:3], 0 offset:600
	;; [unrolled: 1-line block ×4, first 2 shown]
	v_add_f64 v[140:141], v[136:137], v[138:139]
	ds_read_b128 v[136:139], v1 offset:880
	v_mul_f64 v[24:25], v[24:25], v[42:43]
	s_waitcnt lgkmcnt(1)
	v_mul_f64 v[142:143], v[124:125], v[66:67]
	v_fmac_f64_e32 v[142:143], v[126:127], v[68:69]
	v_add_f64 v[144:145], v[140:141], v[142:143]
	ds_read_b128 v[140:143], v1 offset:896
	s_waitcnt vmcnt(62) lgkmcnt(1)
	v_mul_f64 v[146:147], v[136:137], v[78:79]
	v_fmac_f64_e32 v[146:147], v[138:139], v[80:81]
	v_add_f64 v[148:149], v[144:145], v[146:147]
	ds_read_b128 v[144:147], v1 offset:912
	s_waitcnt lgkmcnt(1)
	v_mul_f64 v[150:151], v[140:141], v[74:75]
	v_fmac_f64_e32 v[150:151], v[142:143], v[76:77]
	v_add_f64 v[152:153], v[148:149], v[150:151]
	ds_read_b128 v[148:151], v1 offset:928
	s_waitcnt lgkmcnt(1)
	v_mul_f64 v[154:155], v[144:145], v[86:87]
	s_waitcnt vmcnt(60)
	v_fmac_f64_e32 v[154:155], v[146:147], v[88:89]
	v_add_f64 v[156:157], v[152:153], v[154:155]
	ds_read_b128 v[152:155], v1 offset:944
	s_waitcnt lgkmcnt(1)
	v_mul_f64 v[158:159], v[148:149], v[82:83]
	v_fmac_f64_e32 v[158:159], v[150:151], v[84:85]
	v_add_f64 v[160:161], v[156:157], v[158:159]
	ds_read_b128 v[156:159], v1 offset:960
	v_add_f64 v[26:27], v[30:31], v[26:27]
	v_fma_f64 v[22:23], v[22:23], v[64:65], -v[24:25]
	s_waitcnt vmcnt(54) lgkmcnt(1)
	v_mul_f64 v[162:163], v[152:153], v[94:95]
	v_mul_f64 v[20:21], v[20:21], v[48:49]
	s_waitcnt vmcnt(52)
	v_fmac_f64_e32 v[162:163], v[154:155], v[96:97]
	v_add_f64 v[164:165], v[160:161], v[162:163]
	ds_read_b128 v[160:163], v1 offset:976
	s_waitcnt lgkmcnt(1)
	v_mul_f64 v[166:167], v[156:157], v[90:91]
	v_fmac_f64_e32 v[166:167], v[158:159], v[92:93]
	v_add_f64 v[22:23], v[26:27], v[22:23]
	v_fma_f64 v[18:19], v[18:19], v[62:63], -v[20:21]
	v_mul_f64 v[12:13], v[12:13], v[56:57]
	v_add_f64 v[168:169], v[164:165], v[166:167]
	ds_read_b128 v[164:167], v1 offset:992
	v_add_f64 v[18:19], v[22:23], v[18:19]
	v_fma_f64 v[10:11], v[10:11], v[58:59], -v[12:13]
	v_mul_f64 v[8:9], v[8:9], v[54:55]
	v_add_f64 v[10:11], v[18:19], v[10:11]
	v_fma_f64 v[6:7], v[6:7], v[60:61], -v[8:9]
	v_mul_f64 v[4:5], v[4:5], v[50:51]
	;; [unrolled: 3-line block ×3, first 2 shown]
	s_waitcnt vmcnt(46) lgkmcnt(1)
	v_mul_f64 v[170:171], v[160:161], v[102:103]
	v_add_f64 v[2:3], v[6:7], v[2:3]
	v_fma_f64 v[4:5], v[14:15], v[72:73], -v[4:5]
	s_waitcnt vmcnt(44)
	v_fmac_f64_e32 v[170:171], v[162:163], v[104:105]
	v_add_f64 v[2:3], v[2:3], v[4:5]
	v_mul_f64 v[4:5], v[126:127], v[66:67]
	v_add_f64 v[172:173], v[168:169], v[170:171]
	ds_read_b128 v[168:171], v1 offset:1008
	s_waitcnt lgkmcnt(1)
	v_mul_f64 v[174:175], v[164:165], v[98:99]
	v_fma_f64 v[4:5], v[124:125], v[68:69], -v[4:5]
	v_fmac_f64_e32 v[174:175], v[166:167], v[100:101]
	v_add_f64 v[2:3], v[2:3], v[4:5]
	v_mul_f64 v[4:5], v[138:139], v[78:79]
	v_add_f64 v[176:177], v[172:173], v[174:175]
	ds_read_b128 v[172:175], v1 offset:1024
	v_fma_f64 v[4:5], v[136:137], v[80:81], -v[4:5]
	v_add_f64 v[2:3], v[2:3], v[4:5]
	v_mul_f64 v[4:5], v[142:143], v[74:75]
	v_fma_f64 v[4:5], v[140:141], v[76:77], -v[4:5]
	s_waitcnt vmcnt(38) lgkmcnt(1)
	v_mul_f64 v[178:179], v[168:169], v[110:111]
	v_add_f64 v[2:3], v[2:3], v[4:5]
	v_mul_f64 v[4:5], v[146:147], v[86:87]
	s_waitcnt vmcnt(36)
	v_fmac_f64_e32 v[178:179], v[170:171], v[112:113]
	v_fma_f64 v[4:5], v[144:145], v[88:89], -v[4:5]
	v_add_f64 v[180:181], v[176:177], v[178:179]
	ds_read_b128 v[176:179], v1 offset:1040
	s_waitcnt lgkmcnt(1)
	v_mul_f64 v[182:183], v[172:173], v[106:107]
	v_add_f64 v[2:3], v[2:3], v[4:5]
	v_mul_f64 v[4:5], v[150:151], v[82:83]
	v_fmac_f64_e32 v[182:183], v[174:175], v[108:109]
	v_fma_f64 v[4:5], v[148:149], v[84:85], -v[4:5]
	v_add_f64 v[192:193], v[180:181], v[182:183]
	ds_read_b128 v[180:183], v1 offset:1056
	v_add_f64 v[2:3], v[2:3], v[4:5]
	v_mul_f64 v[4:5], v[154:155], v[94:95]
	v_fma_f64 v[4:5], v[152:153], v[96:97], -v[4:5]
	v_add_f64 v[2:3], v[2:3], v[4:5]
	v_mul_f64 v[4:5], v[158:159], v[90:91]
	s_waitcnt vmcnt(30) lgkmcnt(1)
	v_mul_f64 v[194:195], v[176:177], v[120:121]
	v_fma_f64 v[4:5], v[156:157], v[92:93], -v[4:5]
	s_waitcnt vmcnt(28)
	v_fmac_f64_e32 v[194:195], v[178:179], v[122:123]
	v_add_f64 v[2:3], v[2:3], v[4:5]
	v_mul_f64 v[4:5], v[162:163], v[102:103]
	v_add_f64 v[196:197], v[192:193], v[194:195]
	ds_read_b128 v[192:195], v1 offset:1072
	s_waitcnt lgkmcnt(1)
	v_mul_f64 v[198:199], v[180:181], v[114:115]
	v_fma_f64 v[4:5], v[160:161], v[104:105], -v[4:5]
	v_fmac_f64_e32 v[198:199], v[182:183], v[116:117]
	v_add_f64 v[2:3], v[2:3], v[4:5]
	v_mul_f64 v[4:5], v[166:167], v[98:99]
	v_add_f64 v[200:201], v[196:197], v[198:199]
	ds_read_b128 v[196:199], v1 offset:1088
	v_fma_f64 v[4:5], v[164:165], v[100:101], -v[4:5]
	v_add_f64 v[2:3], v[2:3], v[4:5]
	v_mul_f64 v[4:5], v[170:171], v[110:111]
	v_fma_f64 v[4:5], v[168:169], v[112:113], -v[4:5]
	s_waitcnt vmcnt(22) lgkmcnt(1)
	v_mul_f64 v[202:203], v[192:193], v[132:133]
	v_add_f64 v[2:3], v[2:3], v[4:5]
	v_mul_f64 v[4:5], v[174:175], v[106:107]
	s_waitcnt vmcnt(20)
	v_fmac_f64_e32 v[202:203], v[194:195], v[134:135]
	v_fma_f64 v[4:5], v[172:173], v[108:109], -v[4:5]
	v_add_f64 v[204:205], v[200:201], v[202:203]
	ds_read_b128 v[200:203], v1 offset:1104
	s_waitcnt lgkmcnt(1)
	v_mul_f64 v[206:207], v[196:197], v[128:129]
	v_add_f64 v[2:3], v[2:3], v[4:5]
	v_mul_f64 v[4:5], v[178:179], v[120:121]
	v_fmac_f64_e32 v[206:207], v[198:199], v[130:131]
	v_fma_f64 v[4:5], v[176:177], v[122:123], -v[4:5]
	v_add_f64 v[208:209], v[204:205], v[206:207]
	ds_read_b128 v[204:207], v1 offset:1120
	v_add_f64 v[2:3], v[2:3], v[4:5]
	v_mul_f64 v[4:5], v[182:183], v[114:115]
	v_fma_f64 v[4:5], v[180:181], v[116:117], -v[4:5]
	v_add_f64 v[2:3], v[2:3], v[4:5]
	v_mul_f64 v[4:5], v[194:195], v[132:133]
	s_waitcnt vmcnt(14) lgkmcnt(1)
	v_mul_f64 v[210:211], v[200:201], v[224:225]
	v_fma_f64 v[4:5], v[192:193], v[134:135], -v[4:5]
	s_waitcnt vmcnt(12)
	v_fmac_f64_e32 v[210:211], v[202:203], v[226:227]
	v_add_f64 v[2:3], v[2:3], v[4:5]
	v_mul_f64 v[4:5], v[198:199], v[128:129]
	v_add_f64 v[212:213], v[208:209], v[210:211]
	ds_read_b128 v[208:211], v1 offset:1136
	s_waitcnt lgkmcnt(1)
	v_mul_f64 v[214:215], v[204:205], v[220:221]
	v_fma_f64 v[4:5], v[196:197], v[130:131], -v[4:5]
	v_fmac_f64_e32 v[214:215], v[206:207], v[222:223]
	v_add_f64 v[2:3], v[2:3], v[4:5]
	v_mul_f64 v[4:5], v[202:203], v[224:225]
	v_add_f64 v[240:241], v[212:213], v[214:215]
	ds_read_b128 v[212:215], v1 offset:1152
	v_fma_f64 v[4:5], v[200:201], v[226:227], -v[4:5]
	v_add_f64 v[2:3], v[2:3], v[4:5]
	v_mul_f64 v[4:5], v[206:207], v[220:221]
	ds_read_b128 v[216:219], v1 offset:1168
	v_fma_f64 v[4:5], v[204:205], v[222:223], -v[4:5]
	v_add_f64 v[2:3], v[2:3], v[4:5]
	s_waitcnt vmcnt(6) lgkmcnt(2)
	v_mul_f64 v[4:5], v[210:211], v[232:233]
	v_mul_f64 v[242:243], v[208:209], v[232:233]
	s_waitcnt vmcnt(4)
	v_fma_f64 v[4:5], v[208:209], v[234:235], -v[4:5]
	v_fmac_f64_e32 v[242:243], v[210:211], v[234:235]
	v_add_f64 v[2:3], v[2:3], v[4:5]
	s_waitcnt lgkmcnt(1)
	v_mul_f64 v[4:5], v[214:215], v[228:229]
	v_add_f64 v[240:241], v[240:241], v[242:243]
	v_mul_f64 v[242:243], v[212:213], v[228:229]
	v_fma_f64 v[4:5], v[212:213], v[230:231], -v[4:5]
	v_fmac_f64_e32 v[242:243], v[214:215], v[230:231]
	v_add_f64 v[2:3], v[2:3], v[4:5]
	s_waitcnt vmcnt(2) lgkmcnt(0)
	v_mul_f64 v[4:5], v[218:219], v[236:237]
	v_add_f64 v[240:241], v[240:241], v[242:243]
	v_mul_f64 v[242:243], v[216:217], v[236:237]
	s_waitcnt vmcnt(0)
	v_fma_f64 v[4:5], v[216:217], v[238:239], -v[4:5]
	v_fmac_f64_e32 v[242:243], v[218:219], v[238:239]
	v_add_f64 v[2:3], v[2:3], v[4:5]
	v_add_f64 v[240:241], v[240:241], v[242:243]
	v_add_f64 v[2:3], v[46:47], -v[2:3]
	v_add_f64 v[4:5], v[44:45], -v[240:241]
	buffer_store_dword v3, off, s[0:3], 0 offset:148
	buffer_store_dword v2, off, s[0:3], 0 offset:144
	buffer_store_dword v5, off, s[0:3], 0 offset:156
	buffer_store_dword v4, off, s[0:3], 0 offset:152
	s_and_saveexec_b64 s[4:5], vcc
	s_cbranch_execz .LBB100_221
; %bb.220:
	v_accvgpr_read_b32 v1, a101
	buffer_load_dword v2, v1, s[0:3], 0 offen
	buffer_load_dword v3, v1, s[0:3], 0 offen offset:4
	buffer_load_dword v4, v1, s[0:3], 0 offen offset:8
	;; [unrolled: 1-line block ×3, first 2 shown]
	v_mov_b32_e32 v1, 0
	v_accvgpr_read_b32 v6, a108
	buffer_store_dword v1, off, s[0:3], 0 offset:128
	buffer_store_dword v1, off, s[0:3], 0 offset:132
	;; [unrolled: 1-line block ×4, first 2 shown]
	s_waitcnt vmcnt(4)
	ds_write_b128 v6, v[2:5]
.LBB100_221:
	s_or_b64 exec, exec, s[4:5]
	s_waitcnt lgkmcnt(0)
	; wave barrier
	s_waitcnt lgkmcnt(0)
	buffer_load_dword v38, off, s[0:3], 0 offset:144
	buffer_load_dword v39, off, s[0:3], 0 offset:148
	;; [unrolled: 1-line block ×48, first 2 shown]
	v_mov_b32_e32 v1, 0
	ds_read_b128 v[34:37], v1 offset:720
	ds_read_b128 v[30:33], v1 offset:736
	;; [unrolled: 1-line block ×9, first 2 shown]
	v_cmp_lt_u32_e32 vcc, 6, v0
	s_waitcnt vmcnt(44) lgkmcnt(8)
	v_mul_f64 v[86:87], v[34:35], v[42:43]
	v_fmac_f64_e32 v[86:87], v[36:37], v[38:39]
	v_add_f64 v[86:87], v[86:87], 0
	v_mul_f64 v[36:37], v[36:37], v[42:43]
	s_waitcnt vmcnt(40) lgkmcnt(7)
	v_mul_f64 v[88:89], v[30:31], v[44:45]
	v_fmac_f64_e32 v[88:89], v[32:33], v[40:41]
	s_waitcnt vmcnt(38) lgkmcnt(6)
	v_mul_f64 v[90:91], v[26:27], v[46:47]
	v_add_f64 v[86:87], v[86:87], v[88:89]
	s_waitcnt vmcnt(36) lgkmcnt(4)
	v_mul_f64 v[94:95], v[18:19], v[48:49]
	v_fma_f64 v[34:35], v[34:35], v[38:39], -v[36:37]
	s_waitcnt vmcnt(34)
	v_fmac_f64_e32 v[94:95], v[20:21], v[50:51]
	v_mul_f64 v[32:33], v[32:33], v[44:45]
	s_waitcnt vmcnt(32)
	v_mul_f64 v[92:93], v[22:23], v[52:53]
	v_add_f64 v[34:35], v[34:35], 0
	s_waitcnt vmcnt(30) lgkmcnt(2)
	v_mul_f64 v[98:99], v[10:11], v[54:55]
	v_fma_f64 v[30:31], v[30:31], v[40:41], -v[32:33]
	s_waitcnt vmcnt(28)
	v_fmac_f64_e32 v[98:99], v[12:13], v[56:57]
	v_add_f64 v[30:31], v[34:35], v[30:31]
	s_waitcnt vmcnt(26)
	v_mul_f64 v[96:97], v[14:15], v[58:59]
	v_mul_f64 v[20:21], v[20:21], v[48:49]
	v_fma_f64 v[18:19], v[18:19], v[50:51], -v[20:21]
	v_mul_f64 v[12:13], v[12:13], v[54:55]
	s_waitcnt vmcnt(22) lgkmcnt(1)
	v_mul_f64 v[110:111], v[6:7], v[68:69]
	v_fma_f64 v[10:11], v[10:11], v[56:57], -v[12:13]
	s_waitcnt vmcnt(20)
	v_fmac_f64_e32 v[90:91], v[28:29], v[76:77]
	v_add_f64 v[86:87], v[86:87], v[90:91]
	s_waitcnt vmcnt(18)
	v_fmac_f64_e32 v[92:93], v[24:25], v[74:75]
	v_add_f64 v[86:87], v[86:87], v[92:93]
	;; [unrolled: 3-line block ×3, first 2 shown]
	v_add_f64 v[86:87], v[86:87], v[96:97]
	v_add_f64 v[112:113], v[86:87], v[98:99]
	buffer_load_dword v87, off, s[0:3], 0 offset:348
	buffer_load_dword v86, off, s[0:3], 0 offset:344
	;; [unrolled: 1-line block ×72, first 2 shown]
	s_waitcnt vmcnt(62)
	v_fmac_f64_e32 v[110:111], v[8:9], v[70:71]
	v_add_f64 v[144:145], v[112:113], v[110:111]
	ds_read_b128 v[110:113], v1 offset:864
	s_waitcnt lgkmcnt(1)
	v_mul_f64 v[146:147], v[2:3], v[64:65]
	v_fmac_f64_e32 v[146:147], v[4:5], v[66:67]
	v_add_f64 v[148:149], v[144:145], v[146:147]
	ds_read_b128 v[144:147], v1 offset:880
	s_waitcnt lgkmcnt(1)
	v_mul_f64 v[150:151], v[110:111], v[82:83]
	;; [unrolled: 5-line block ×5, first 2 shown]
	v_fmac_f64_e32 v[162:163], v[154:155], v[88:89]
	v_add_f64 v[164:165], v[160:161], v[162:163]
	ds_read_b128 v[160:163], v1 offset:944
	s_waitcnt vmcnt(58) lgkmcnt(1)
	v_mul_f64 v[166:167], v[156:157], v[98:99]
	s_waitcnt vmcnt(56)
	v_fmac_f64_e32 v[166:167], v[158:159], v[100:101]
	v_add_f64 v[168:169], v[164:165], v[166:167]
	ds_read_b128 v[164:167], v1 offset:960
	s_waitcnt lgkmcnt(1)
	v_mul_f64 v[170:171], v[160:161], v[94:95]
	v_fmac_f64_e32 v[170:171], v[162:163], v[96:97]
	v_mul_f64 v[28:29], v[28:29], v[46:47]
	v_add_f64 v[172:173], v[168:169], v[170:171]
	ds_read_b128 v[168:171], v1 offset:976
	s_waitcnt vmcnt(50) lgkmcnt(1)
	v_mul_f64 v[174:175], v[164:165], v[106:107]
	v_fma_f64 v[26:27], v[26:27], v[76:77], -v[28:29]
	v_mul_f64 v[24:25], v[24:25], v[52:53]
	s_waitcnt vmcnt(48)
	v_fmac_f64_e32 v[174:175], v[166:167], v[108:109]
	v_add_f64 v[26:27], v[30:31], v[26:27]
	v_fma_f64 v[22:23], v[22:23], v[74:75], -v[24:25]
	v_add_f64 v[176:177], v[172:173], v[174:175]
	ds_read_b128 v[172:175], v1 offset:992
	v_add_f64 v[22:23], v[26:27], v[22:23]
	v_mul_f64 v[16:17], v[16:17], v[58:59]
	v_add_f64 v[18:19], v[22:23], v[18:19]
	v_fma_f64 v[14:15], v[14:15], v[72:73], -v[16:17]
	v_add_f64 v[14:15], v[18:19], v[14:15]
	v_mul_f64 v[8:9], v[8:9], v[68:69]
	s_waitcnt lgkmcnt(1)
	v_mul_f64 v[178:179], v[168:169], v[102:103]
	v_add_f64 v[10:11], v[14:15], v[10:11]
	v_fma_f64 v[6:7], v[6:7], v[70:71], -v[8:9]
	v_mul_f64 v[4:5], v[4:5], v[64:65]
	v_fmac_f64_e32 v[178:179], v[170:171], v[104:105]
	v_add_f64 v[6:7], v[10:11], v[6:7]
	v_fma_f64 v[2:3], v[2:3], v[66:67], -v[4:5]
	v_mul_f64 v[4:5], v[112:113], v[82:83]
	v_add_f64 v[180:181], v[176:177], v[178:179]
	ds_read_b128 v[176:179], v1 offset:1008
	s_waitcnt vmcnt(42) lgkmcnt(1)
	v_mul_f64 v[182:183], v[172:173], v[120:121]
	v_add_f64 v[2:3], v[6:7], v[2:3]
	v_fma_f64 v[4:5], v[110:111], v[84:85], -v[4:5]
	s_waitcnt vmcnt(40)
	v_fmac_f64_e32 v[182:183], v[174:175], v[122:123]
	v_add_f64 v[2:3], v[2:3], v[4:5]
	v_mul_f64 v[4:5], v[146:147], v[78:79]
	v_add_f64 v[192:193], v[180:181], v[182:183]
	ds_read_b128 v[180:183], v1 offset:1024
	v_fma_f64 v[4:5], v[144:145], v[80:81], -v[4:5]
	v_add_f64 v[2:3], v[2:3], v[4:5]
	v_mul_f64 v[4:5], v[150:151], v[90:91]
	v_fma_f64 v[4:5], v[148:149], v[92:93], -v[4:5]
	s_waitcnt lgkmcnt(1)
	v_mul_f64 v[194:195], v[176:177], v[114:115]
	v_add_f64 v[2:3], v[2:3], v[4:5]
	v_mul_f64 v[4:5], v[154:155], v[86:87]
	v_fmac_f64_e32 v[194:195], v[178:179], v[116:117]
	v_fma_f64 v[4:5], v[152:153], v[88:89], -v[4:5]
	v_add_f64 v[196:197], v[192:193], v[194:195]
	ds_read_b128 v[192:195], v1 offset:1040
	s_waitcnt vmcnt(34) lgkmcnt(1)
	v_mul_f64 v[198:199], v[180:181], v[128:129]
	v_add_f64 v[2:3], v[2:3], v[4:5]
	v_mul_f64 v[4:5], v[158:159], v[98:99]
	s_waitcnt vmcnt(32)
	v_fmac_f64_e32 v[198:199], v[182:183], v[130:131]
	v_fma_f64 v[4:5], v[156:157], v[100:101], -v[4:5]
	v_add_f64 v[200:201], v[196:197], v[198:199]
	ds_read_b128 v[196:199], v1 offset:1056
	v_add_f64 v[2:3], v[2:3], v[4:5]
	v_mul_f64 v[4:5], v[162:163], v[94:95]
	v_fma_f64 v[4:5], v[160:161], v[96:97], -v[4:5]
	v_add_f64 v[2:3], v[2:3], v[4:5]
	v_mul_f64 v[4:5], v[166:167], v[106:107]
	s_waitcnt lgkmcnt(1)
	v_mul_f64 v[202:203], v[192:193], v[124:125]
	v_fma_f64 v[4:5], v[164:165], v[108:109], -v[4:5]
	v_fmac_f64_e32 v[202:203], v[194:195], v[126:127]
	v_add_f64 v[2:3], v[2:3], v[4:5]
	v_mul_f64 v[4:5], v[170:171], v[102:103]
	v_add_f64 v[204:205], v[200:201], v[202:203]
	ds_read_b128 v[200:203], v1 offset:1072
	s_waitcnt vmcnt(26) lgkmcnt(1)
	v_mul_f64 v[206:207], v[196:197], v[136:137]
	v_fma_f64 v[4:5], v[168:169], v[104:105], -v[4:5]
	s_waitcnt vmcnt(24)
	v_fmac_f64_e32 v[206:207], v[198:199], v[138:139]
	v_add_f64 v[2:3], v[2:3], v[4:5]
	v_mul_f64 v[4:5], v[174:175], v[120:121]
	v_add_f64 v[208:209], v[204:205], v[206:207]
	ds_read_b128 v[204:207], v1 offset:1088
	v_fma_f64 v[4:5], v[172:173], v[122:123], -v[4:5]
	v_add_f64 v[2:3], v[2:3], v[4:5]
	v_mul_f64 v[4:5], v[178:179], v[114:115]
	v_fma_f64 v[4:5], v[176:177], v[116:117], -v[4:5]
	s_waitcnt lgkmcnt(1)
	v_mul_f64 v[210:211], v[200:201], v[132:133]
	v_add_f64 v[2:3], v[2:3], v[4:5]
	v_mul_f64 v[4:5], v[182:183], v[128:129]
	v_fmac_f64_e32 v[210:211], v[202:203], v[134:135]
	v_fma_f64 v[4:5], v[180:181], v[130:131], -v[4:5]
	v_add_f64 v[212:213], v[208:209], v[210:211]
	ds_read_b128 v[208:211], v1 offset:1104
	s_waitcnt vmcnt(18) lgkmcnt(1)
	v_mul_f64 v[214:215], v[204:205], v[228:229]
	v_add_f64 v[2:3], v[2:3], v[4:5]
	v_mul_f64 v[4:5], v[194:195], v[124:125]
	s_waitcnt vmcnt(16)
	v_fmac_f64_e32 v[214:215], v[206:207], v[230:231]
	v_fma_f64 v[4:5], v[192:193], v[126:127], -v[4:5]
	v_add_f64 v[216:217], v[212:213], v[214:215]
	ds_read_b128 v[212:215], v1 offset:1120
	v_add_f64 v[2:3], v[2:3], v[4:5]
	v_mul_f64 v[4:5], v[198:199], v[136:137]
	v_fma_f64 v[4:5], v[196:197], v[138:139], -v[4:5]
	v_add_f64 v[2:3], v[2:3], v[4:5]
	v_mul_f64 v[4:5], v[202:203], v[132:133]
	s_waitcnt lgkmcnt(1)
	v_mul_f64 v[218:219], v[208:209], v[140:141]
	v_fma_f64 v[4:5], v[200:201], v[134:135], -v[4:5]
	v_fmac_f64_e32 v[218:219], v[210:211], v[142:143]
	v_add_f64 v[2:3], v[2:3], v[4:5]
	v_mul_f64 v[4:5], v[206:207], v[228:229]
	v_add_f64 v[220:221], v[216:217], v[218:219]
	ds_read_b128 v[216:219], v1 offset:1136
	s_waitcnt vmcnt(10) lgkmcnt(1)
	v_mul_f64 v[222:223], v[212:213], v[236:237]
	v_fma_f64 v[4:5], v[204:205], v[230:231], -v[4:5]
	s_waitcnt vmcnt(8)
	v_fmac_f64_e32 v[222:223], v[214:215], v[238:239]
	v_add_f64 v[2:3], v[2:3], v[4:5]
	v_mul_f64 v[4:5], v[210:211], v[140:141]
	v_add_f64 v[248:249], v[220:221], v[222:223]
	ds_read_b128 v[220:223], v1 offset:1152
	ds_read_b128 v[224:227], v1 offset:1168
	v_fma_f64 v[4:5], v[208:209], v[142:143], -v[4:5]
	v_add_f64 v[2:3], v[2:3], v[4:5]
	v_mul_f64 v[4:5], v[214:215], v[236:237]
	v_fma_f64 v[4:5], v[212:213], v[238:239], -v[4:5]
	v_add_f64 v[2:3], v[2:3], v[4:5]
	s_waitcnt lgkmcnt(2)
	v_mul_f64 v[4:5], v[218:219], v[232:233]
	v_mul_f64 v[250:251], v[216:217], v[232:233]
	v_fma_f64 v[4:5], v[216:217], v[234:235], -v[4:5]
	v_fmac_f64_e32 v[250:251], v[218:219], v[234:235]
	v_add_f64 v[2:3], v[2:3], v[4:5]
	s_waitcnt vmcnt(2) lgkmcnt(1)
	v_mul_f64 v[4:5], v[222:223], v[244:245]
	v_add_f64 v[248:249], v[248:249], v[250:251]
	v_mul_f64 v[250:251], v[220:221], v[244:245]
	s_waitcnt vmcnt(0)
	v_fma_f64 v[4:5], v[220:221], v[246:247], -v[4:5]
	v_fmac_f64_e32 v[250:251], v[222:223], v[246:247]
	v_add_f64 v[2:3], v[2:3], v[4:5]
	s_waitcnt lgkmcnt(0)
	v_mul_f64 v[4:5], v[226:227], v[240:241]
	v_add_f64 v[248:249], v[248:249], v[250:251]
	v_mul_f64 v[250:251], v[224:225], v[240:241]
	v_fma_f64 v[4:5], v[224:225], v[242:243], -v[4:5]
	v_fmac_f64_e32 v[250:251], v[226:227], v[242:243]
	v_add_f64 v[2:3], v[2:3], v[4:5]
	v_add_f64 v[248:249], v[248:249], v[250:251]
	v_add_f64 v[2:3], v[62:63], -v[2:3]
	v_add_f64 v[4:5], v[60:61], -v[248:249]
	buffer_store_dword v3, off, s[0:3], 0 offset:132
	buffer_store_dword v2, off, s[0:3], 0 offset:128
	;; [unrolled: 1-line block ×4, first 2 shown]
	s_and_saveexec_b64 s[4:5], vcc
	s_cbranch_execz .LBB100_223
; %bb.222:
	v_accvgpr_read_b32 v5, a102
	buffer_load_dword v2, v5, s[0:3], 0 offen
	buffer_load_dword v3, v5, s[0:3], 0 offen offset:4
	buffer_load_dword v4, v5, s[0:3], 0 offen offset:8
	s_nop 0
	buffer_load_dword v5, v5, s[0:3], 0 offen offset:12
	v_accvgpr_read_b32 v6, a108
	buffer_store_dword v1, off, s[0:3], 0 offset:112
	buffer_store_dword v1, off, s[0:3], 0 offset:116
	;; [unrolled: 1-line block ×4, first 2 shown]
	s_waitcnt vmcnt(4)
	ds_write_b128 v6, v[2:5]
.LBB100_223:
	s_or_b64 exec, exec, s[4:5]
	s_waitcnt lgkmcnt(0)
	; wave barrier
	s_waitcnt lgkmcnt(0)
	buffer_load_dword v48, off, s[0:3], 0 offset:128
	buffer_load_dword v49, off, s[0:3], 0 offset:132
	;; [unrolled: 1-line block ×40, first 2 shown]
	ds_read_b128 v[38:41], v1 offset:704
	ds_read_b128 v[34:37], v1 offset:720
	;; [unrolled: 1-line block ×10, first 2 shown]
	buffer_load_dword v83, off, s[0:3], 0 offset:300
	buffer_load_dword v82, off, s[0:3], 0 offset:296
	;; [unrolled: 1-line block ×8, first 2 shown]
	v_cmp_lt_u32_e32 vcc, 5, v0
	s_waitcnt vmcnt(44) lgkmcnt(9)
	v_mul_f64 v[90:91], v[38:39], v[50:51]
	v_fmac_f64_e32 v[90:91], v[40:41], v[48:49]
	v_add_f64 v[90:91], v[90:91], 0
	v_mul_f64 v[40:41], v[40:41], v[50:51]
	s_waitcnt vmcnt(40) lgkmcnt(8)
	v_mul_f64 v[92:93], v[34:35], v[44:45]
	v_fmac_f64_e32 v[92:93], v[36:37], v[42:43]
	s_waitcnt vmcnt(38) lgkmcnt(7)
	v_mul_f64 v[94:95], v[30:31], v[46:47]
	v_add_f64 v[90:91], v[90:91], v[92:93]
	s_waitcnt vmcnt(36) lgkmcnt(5)
	v_mul_f64 v[98:99], v[22:23], v[52:53]
	v_mul_f64 v[36:37], v[36:37], v[44:45]
	s_waitcnt vmcnt(34)
	v_fmac_f64_e32 v[98:99], v[24:25], v[54:55]
	v_fma_f64 v[34:35], v[34:35], v[42:43], -v[36:37]
	s_waitcnt vmcnt(32)
	v_mul_f64 v[96:97], v[26:27], v[56:57]
	v_mul_f64 v[24:25], v[24:25], v[52:53]
	s_waitcnt vmcnt(30) lgkmcnt(4)
	v_mul_f64 v[100:101], v[18:19], v[62:63]
	v_fma_f64 v[22:23], v[22:23], v[54:55], -v[24:25]
	s_waitcnt vmcnt(28) lgkmcnt(1)
	v_mul_f64 v[124:125], v[2:3], v[64:65]
	s_waitcnt vmcnt(25)
	v_mul_f64 v[104:105], v[6:7], v[68:69]
	s_waitcnt vmcnt(23)
	;; [unrolled: 2-line block ×3, first 2 shown]
	v_fmac_f64_e32 v[102:103], v[12:13], v[72:73]
	v_mul_f64 v[12:13], v[12:13], v[70:71]
	s_waitcnt vmcnt(19)
	v_fmac_f64_e32 v[94:95], v[32:33], v[80:81]
	v_add_f64 v[90:91], v[90:91], v[94:95]
	s_waitcnt vmcnt(17)
	v_fmac_f64_e32 v[96:97], v[28:29], v[78:79]
	v_add_f64 v[90:91], v[90:91], v[96:97]
	;; [unrolled: 3-line block ×3, first 2 shown]
	v_add_f64 v[90:91], v[90:91], v[100:101]
	s_waitcnt vmcnt(13)
	v_fmac_f64_e32 v[104:105], v[8:9], v[74:75]
	v_add_f64 v[90:91], v[90:91], v[102:103]
	v_add_f64 v[126:127], v[90:91], v[104:105]
	buffer_load_dword v91, off, s[0:3], 0 offset:332
	buffer_load_dword v90, off, s[0:3], 0 offset:328
	;; [unrolled: 1-line block ×72, first 2 shown]
	s_waitcnt vmcnt(62)
	v_fmac_f64_e32 v[124:125], v[4:5], v[66:67]
	v_add_f64 v[152:153], v[126:127], v[124:125]
	ds_read_b128 v[124:127], v1 offset:864
	s_waitcnt lgkmcnt(1)
	v_mul_f64 v[154:155], v[14:15], v[86:87]
	v_fmac_f64_e32 v[154:155], v[16:17], v[88:89]
	buffer_load_dword v245, off, s[0:3], 0 offset:604
	buffer_load_dword v244, off, s[0:3], 0 offset:600
	;; [unrolled: 1-line block ×4, first 2 shown]
	v_add_f64 v[156:157], v[152:153], v[154:155]
	s_waitcnt lgkmcnt(0)
	v_mul_f64 v[158:159], v[124:125], v[82:83]
	ds_read_b128 v[152:155], v1 offset:880
	v_fmac_f64_e32 v[158:159], v[126:127], v[84:85]
	v_add_f64 v[160:161], v[156:157], v[158:159]
	ds_read_b128 v[156:159], v1 offset:896
	v_mul_f64 v[32:33], v[32:33], v[46:47]
	s_waitcnt lgkmcnt(1)
	v_mul_f64 v[162:163], v[152:153], v[94:95]
	v_fma_f64 v[30:31], v[30:31], v[80:81], -v[32:33]
	v_fmac_f64_e32 v[162:163], v[154:155], v[96:97]
	s_waitcnt lgkmcnt(0)
	v_mul_f64 v[166:167], v[156:157], v[90:91]
	v_add_f64 v[164:165], v[160:161], v[162:163]
	ds_read_b128 v[160:163], v1 offset:912
	v_fmac_f64_e32 v[166:167], v[158:159], v[92:93]
	v_add_f64 v[168:169], v[164:165], v[166:167]
	ds_read_b128 v[164:167], v1 offset:928
	v_mul_f64 v[28:29], v[28:29], v[56:57]
	s_waitcnt vmcnt(62) lgkmcnt(1)
	v_mul_f64 v[170:171], v[160:161], v[102:103]
	s_waitcnt vmcnt(60)
	v_fmac_f64_e32 v[170:171], v[162:163], v[104:105]
	v_add_f64 v[172:173], v[168:169], v[170:171]
	s_waitcnt lgkmcnt(0)
	v_mul_f64 v[174:175], v[164:165], v[98:99]
	ds_read_b128 v[168:171], v1 offset:944
	v_fmac_f64_e32 v[174:175], v[166:167], v[100:101]
	v_add_f64 v[176:177], v[172:173], v[174:175]
	ds_read_b128 v[172:175], v1 offset:960
	v_fma_f64 v[26:27], v[26:27], v[78:79], -v[28:29]
	s_waitcnt vmcnt(54) lgkmcnt(1)
	v_mul_f64 v[178:179], v[168:169], v[110:111]
	s_waitcnt vmcnt(52)
	v_fmac_f64_e32 v[178:179], v[170:171], v[112:113]
	v_add_f64 v[180:181], v[176:177], v[178:179]
	s_waitcnt lgkmcnt(0)
	v_mul_f64 v[182:183], v[172:173], v[106:107]
	ds_read_b128 v[176:179], v1 offset:976
	v_fmac_f64_e32 v[182:183], v[174:175], v[108:109]
	v_add_f64 v[192:193], v[180:181], v[182:183]
	ds_read_b128 v[180:183], v1 offset:992
	v_mul_f64 v[20:21], v[20:21], v[62:63]
	s_waitcnt vmcnt(46) lgkmcnt(1)
	v_mul_f64 v[194:195], v[176:177], v[120:121]
	s_waitcnt vmcnt(44)
	v_fmac_f64_e32 v[194:195], v[178:179], v[122:123]
	v_add_f64 v[196:197], v[192:193], v[194:195]
	s_waitcnt lgkmcnt(0)
	v_mul_f64 v[198:199], v[180:181], v[114:115]
	ds_read_b128 v[192:195], v1 offset:1008
	v_fmac_f64_e32 v[198:199], v[182:183], v[116:117]
	v_add_f64 v[200:201], v[196:197], v[198:199]
	ds_read_b128 v[196:199], v1 offset:1024
	v_fma_f64 v[18:19], v[18:19], v[76:77], -v[20:21]
	s_waitcnt vmcnt(38) lgkmcnt(1)
	v_mul_f64 v[202:203], v[192:193], v[132:133]
	s_waitcnt vmcnt(36)
	v_fmac_f64_e32 v[202:203], v[194:195], v[134:135]
	v_add_f64 v[204:205], v[200:201], v[202:203]
	s_waitcnt lgkmcnt(0)
	v_mul_f64 v[206:207], v[196:197], v[128:129]
	ds_read_b128 v[200:203], v1 offset:1040
	v_fmac_f64_e32 v[206:207], v[198:199], v[130:131]
	v_add_f64 v[208:209], v[204:205], v[206:207]
	ds_read_b128 v[204:207], v1 offset:1056
	v_fma_f64 v[10:11], v[10:11], v[72:73], -v[12:13]
	s_waitcnt vmcnt(30) lgkmcnt(1)
	v_mul_f64 v[210:211], v[200:201], v[140:141]
	s_waitcnt vmcnt(28)
	v_fmac_f64_e32 v[210:211], v[202:203], v[142:143]
	v_add_f64 v[212:213], v[208:209], v[210:211]
	s_waitcnt lgkmcnt(0)
	v_mul_f64 v[214:215], v[204:205], v[136:137]
	ds_read_b128 v[208:211], v1 offset:1072
	v_fmac_f64_e32 v[214:215], v[206:207], v[138:139]
	v_add_f64 v[216:217], v[212:213], v[214:215]
	ds_read_b128 v[212:215], v1 offset:1088
	v_mul_f64 v[8:9], v[8:9], v[68:69]
	s_waitcnt vmcnt(22) lgkmcnt(1)
	v_mul_f64 v[218:219], v[208:209], v[148:149]
	s_waitcnt vmcnt(20)
	v_fmac_f64_e32 v[218:219], v[210:211], v[150:151]
	v_add_f64 v[220:221], v[216:217], v[218:219]
	s_waitcnt lgkmcnt(0)
	v_mul_f64 v[222:223], v[212:213], v[144:145]
	ds_read_b128 v[216:219], v1 offset:1104
	v_fmac_f64_e32 v[222:223], v[214:215], v[146:147]
	v_add_f64 v[224:225], v[220:221], v[222:223]
	ds_read_b128 v[220:223], v1 offset:1120
	v_fma_f64 v[6:7], v[6:7], v[74:75], -v[8:9]
	s_waitcnt vmcnt(14) lgkmcnt(1)
	v_mul_f64 v[226:227], v[216:217], v[232:233]
	s_waitcnt vmcnt(12)
	v_fmac_f64_e32 v[226:227], v[218:219], v[234:235]
	v_add_f64 v[248:249], v[224:225], v[226:227]
	s_waitcnt lgkmcnt(0)
	v_mul_f64 v[250:251], v[220:221], v[228:229]
	v_fmac_f64_e32 v[250:251], v[222:223], v[230:231]
	v_add_f64 v[248:249], v[248:249], v[250:251]
	v_fma_f64 v[250:251], v[38:39], v[48:49], -v[40:41]
	v_add_f64 v[250:251], v[250:251], 0
	v_add_f64 v[34:35], v[250:251], v[34:35]
	;; [unrolled: 1-line block ×7, first 2 shown]
	v_mul_f64 v[4:5], v[4:5], v[64:65]
	v_add_f64 v[6:7], v[10:11], v[6:7]
	v_fma_f64 v[2:3], v[2:3], v[66:67], -v[4:5]
	v_mul_f64 v[4:5], v[16:17], v[86:87]
	v_add_f64 v[2:3], v[6:7], v[2:3]
	v_fma_f64 v[4:5], v[14:15], v[88:89], -v[4:5]
	v_add_f64 v[2:3], v[2:3], v[4:5]
	v_mul_f64 v[4:5], v[126:127], v[82:83]
	v_fma_f64 v[4:5], v[124:125], v[84:85], -v[4:5]
	v_add_f64 v[2:3], v[2:3], v[4:5]
	v_mul_f64 v[4:5], v[154:155], v[94:95]
	;; [unrolled: 3-line block ×15, first 2 shown]
	ds_read_b128 v[224:227], v1 offset:1136
	ds_read_b128 v[38:41], v1 offset:1152
	v_fma_f64 v[4:5], v[212:213], v[146:147], -v[4:5]
	v_add_f64 v[2:3], v[2:3], v[4:5]
	v_mul_f64 v[4:5], v[218:219], v[232:233]
	v_fma_f64 v[4:5], v[216:217], v[234:235], -v[4:5]
	v_add_f64 v[2:3], v[2:3], v[4:5]
	v_mul_f64 v[4:5], v[222:223], v[228:229]
	ds_read_b128 v[48:51], v1 offset:1168
	v_fma_f64 v[4:5], v[220:221], v[230:231], -v[4:5]
	v_add_f64 v[2:3], v[2:3], v[4:5]
	s_waitcnt vmcnt(6) lgkmcnt(2)
	v_mul_f64 v[4:5], v[226:227], v[240:241]
	v_mul_f64 v[252:253], v[224:225], v[240:241]
	s_waitcnt vmcnt(4)
	v_fma_f64 v[4:5], v[224:225], v[242:243], -v[4:5]
	v_fmac_f64_e32 v[252:253], v[226:227], v[242:243]
	v_add_f64 v[2:3], v[2:3], v[4:5]
	s_waitcnt lgkmcnt(1)
	v_mul_f64 v[4:5], v[40:41], v[236:237]
	v_add_f64 v[248:249], v[248:249], v[252:253]
	v_mul_f64 v[252:253], v[38:39], v[236:237]
	v_fma_f64 v[4:5], v[38:39], v[238:239], -v[4:5]
	v_fmac_f64_e32 v[252:253], v[40:41], v[238:239]
	v_add_f64 v[2:3], v[2:3], v[4:5]
	s_waitcnt vmcnt(2) lgkmcnt(0)
	v_mul_f64 v[4:5], v[50:51], v[244:245]
	v_add_f64 v[248:249], v[248:249], v[252:253]
	v_mul_f64 v[252:253], v[48:49], v[244:245]
	s_waitcnt vmcnt(0)
	v_fma_f64 v[4:5], v[48:49], v[246:247], -v[4:5]
	v_fmac_f64_e32 v[252:253], v[50:51], v[246:247]
	v_add_f64 v[2:3], v[2:3], v[4:5]
	v_add_f64 v[248:249], v[248:249], v[252:253]
	v_add_f64 v[2:3], v[60:61], -v[2:3]
	v_add_f64 v[4:5], v[58:59], -v[248:249]
	buffer_store_dword v3, off, s[0:3], 0 offset:116
	buffer_store_dword v2, off, s[0:3], 0 offset:112
	;; [unrolled: 1-line block ×4, first 2 shown]
	s_and_saveexec_b64 s[4:5], vcc
	s_cbranch_execz .LBB100_225
; %bb.224:
	v_accvgpr_read_b32 v1, a103
	buffer_load_dword v2, v1, s[0:3], 0 offen
	buffer_load_dword v3, v1, s[0:3], 0 offen offset:4
	buffer_load_dword v4, v1, s[0:3], 0 offen offset:8
	;; [unrolled: 1-line block ×3, first 2 shown]
	v_mov_b32_e32 v1, 0
	v_accvgpr_read_b32 v6, a108
	buffer_store_dword v1, off, s[0:3], 0 offset:96
	buffer_store_dword v1, off, s[0:3], 0 offset:100
	;; [unrolled: 1-line block ×4, first 2 shown]
	s_waitcnt vmcnt(4)
	ds_write_b128 v6, v[2:5]
.LBB100_225:
	s_or_b64 exec, exec, s[4:5]
	s_waitcnt lgkmcnt(0)
	; wave barrier
	s_waitcnt lgkmcnt(0)
	buffer_load_dword v106, off, s[0:3], 0 offset:112
	buffer_load_dword v107, off, s[0:3], 0 offset:116
	;; [unrolled: 1-line block ×49, first 2 shown]
	v_mov_b32_e32 v1, 0
	ds_read_b128 v[110:113], v1 offset:688
	ds_read_b128 v[252:255], v1 offset:704
	;; [unrolled: 1-line block ×10, first 2 shown]
	buffer_load_dword v158, off, s[0:3], 0 offset:304
	buffer_load_dword v173, off, s[0:3], 0 offset:300
	;; [unrolled: 1-line block ×69, first 2 shown]
	v_cmp_lt_u32_e32 vcc, 4, v0
	s_waitcnt vmcnt(62) lgkmcnt(9)
	v_mul_f64 v[34:35], v[110:111], v[108:109]
	v_fmac_f64_e32 v[34:35], v[112:113], v[106:107]
	v_add_f64 v[34:35], v[34:35], 0
	v_mul_f64 v[108:109], v[112:113], v[108:109]
	s_waitcnt lgkmcnt(8)
	v_mul_f64 v[36:37], v[252:253], v[116:117]
	v_fmac_f64_e32 v[36:37], v[254:255], v[114:115]
	s_waitcnt lgkmcnt(7)
	v_mul_f64 v[38:39], v[30:31], v[192:193]
	v_add_f64 v[34:35], v[34:35], v[36:37]
	s_waitcnt lgkmcnt(5)
	v_mul_f64 v[42:43], v[22:23], v[120:121]
	v_fma_f64 v[250:251], v[110:111], v[106:107], -v[108:109]
	v_fmac_f64_e32 v[42:43], v[24:25], v[122:123]
	v_mul_f64 v[116:117], v[254:255], v[116:117]
	v_mul_f64 v[40:41], v[26:27], v[124:125]
	v_fma_f64 v[252:253], v[252:253], v[114:115], -v[116:117]
	s_waitcnt lgkmcnt(3)
	v_mul_f64 v[46:47], v[14:15], v[126:127]
	v_add_f64 v[250:251], v[250:251], 0
	v_fmac_f64_e32 v[46:47], v[16:17], v[128:129]
	v_add_f64 v[250:251], v[250:251], v[252:253]
	v_mul_f64 v[44:45], v[18:19], v[130:131]
	v_mul_f64 v[24:25], v[24:25], v[120:121]
	s_waitcnt lgkmcnt(1)
	v_mul_f64 v[50:51], v[6:7], v[132:133]
	v_fma_f64 v[22:23], v[22:23], v[122:123], -v[24:25]
	v_fmac_f64_e32 v[50:51], v[8:9], v[134:135]
	v_mul_f64 v[16:17], v[16:17], v[126:127]
	v_mul_f64 v[48:49], v[10:11], v[140:141]
	v_fma_f64 v[14:15], v[14:15], v[128:129], -v[16:17]
	s_waitcnt lgkmcnt(0)
	v_mul_f64 v[52:53], v[2:3], v[136:137]
	v_mul_f64 v[8:9], v[8:9], v[132:133]
	v_fmac_f64_e32 v[38:39], v[32:33], v[152:153]
	v_add_f64 v[34:35], v[34:35], v[38:39]
	v_fmac_f64_e32 v[40:41], v[28:29], v[150:151]
	v_add_f64 v[34:35], v[34:35], v[40:41]
	;; [unrolled: 2-line block ×3, first 2 shown]
	v_add_f64 v[34:35], v[34:35], v[44:45]
	v_fmac_f64_e32 v[48:49], v[12:13], v[146:147]
	v_add_f64 v[34:35], v[34:35], v[46:47]
	v_add_f64 v[34:35], v[34:35], v[48:49]
	v_fmac_f64_e32 v[52:53], v[4:5], v[144:145]
	v_add_f64 v[34:35], v[34:35], v[50:51]
	v_add_f64 v[42:43], v[34:35], v[52:53]
	ds_read_b128 v[38:41], v1 offset:848
	ds_read_b128 v[34:37], v1 offset:864
	buffer_load_dword v233, off, s[0:3], 0 offset:604
	buffer_load_dword v232, off, s[0:3], 0 offset:600
	;; [unrolled: 1-line block ×8, first 2 shown]
	ds_read_b128 v[110:113], v1 offset:1136
	ds_read_b128 v[106:109], v1 offset:1152
	s_waitcnt lgkmcnt(3)
	v_mul_f64 v[44:45], v[38:39], v[142:143]
	v_fmac_f64_e32 v[44:45], v[40:41], v[154:155]
	v_add_f64 v[46:47], v[42:43], v[44:45]
	ds_read_b128 v[42:45], v1 offset:880
	s_waitcnt lgkmcnt(3)
	v_mul_f64 v[48:49], v[34:35], v[172:173]
	v_fmac_f64_e32 v[48:49], v[36:37], v[176:177]
	v_add_f64 v[50:51], v[46:47], v[48:49]
	;; [unrolled: 5-line block ×3, first 2 shown]
	ds_read_b128 v[50:53], v1 offset:912
	s_waitcnt vmcnt(62) lgkmcnt(1)
	v_mul_f64 v[56:57], v[46:47], v[180:181]
	v_fmac_f64_e32 v[56:57], v[48:49], v[196:197]
	v_add_f64 v[58:59], v[54:55], v[56:57]
	ds_read_b128 v[54:57], v1 offset:928
	s_waitcnt lgkmcnt(1)
	v_mul_f64 v[60:61], v[50:51], v[160:161]
	v_fmac_f64_e32 v[60:61], v[52:53], v[162:163]
	v_add_f64 v[62:63], v[58:59], v[60:61]
	ds_read_b128 v[58:61], v1 offset:944
	s_waitcnt vmcnt(58) lgkmcnt(1)
	v_mul_f64 v[64:65], v[54:55], v[200:201]
	s_waitcnt vmcnt(56)
	v_fmac_f64_e32 v[64:65], v[56:57], v[204:205]
	v_add_f64 v[66:67], v[62:63], v[64:65]
	ds_read_b128 v[62:65], v1 offset:960
	s_waitcnt lgkmcnt(1)
	v_mul_f64 v[68:69], v[58:59], v[164:165]
	v_fmac_f64_e32 v[68:69], v[60:61], v[166:167]
	v_add_f64 v[70:71], v[66:67], v[68:69]
	ds_read_b128 v[66:69], v1 offset:976
	s_waitcnt vmcnt(50) lgkmcnt(1)
	v_mul_f64 v[72:73], v[62:63], v[208:209]
	s_waitcnt vmcnt(48)
	;; [unrolled: 11-line block ×5, first 2 shown]
	v_fmac_f64_e32 v[96:97], v[88:89], v[230:231]
	v_add_f64 v[98:99], v[94:95], v[96:97]
	ds_read_b128 v[94:97], v1 offset:1088
	s_waitcnt lgkmcnt(1)
	v_mul_f64 v[100:101], v[90:91], v[202:203]
	v_fmac_f64_e32 v[100:101], v[92:93], v[206:207]
	v_add_f64 v[182:183], v[98:99], v[100:101]
	ds_read_b128 v[98:101], v1 offset:1104
	ds_read_b128 v[102:105], v1 offset:1120
	s_waitcnt vmcnt(18) lgkmcnt(2)
	v_mul_f64 v[248:249], v[94:95], v[234:235]
	s_waitcnt vmcnt(16)
	v_fmac_f64_e32 v[248:249], v[96:97], v[238:239]
	v_add_f64 v[182:183], v[182:183], v[248:249]
	s_waitcnt lgkmcnt(1)
	v_mul_f64 v[248:249], v[98:99], v[210:211]
	v_fmac_f64_e32 v[248:249], v[100:101], v[214:215]
	v_add_f64 v[182:183], v[182:183], v[248:249]
	s_waitcnt vmcnt(10) lgkmcnt(0)
	v_mul_f64 v[248:249], v[102:103], v[240:241]
	s_waitcnt vmcnt(8)
	v_fmac_f64_e32 v[248:249], v[104:105], v[242:243]
	ds_read_b128 v[114:117], v1 offset:1168
	v_add_f64 v[182:183], v[182:183], v[248:249]
	v_mul_f64 v[248:249], v[110:111], v[218:219]
	v_fmac_f64_e32 v[248:249], v[112:113], v[222:223]
	v_add_f64 v[182:183], v[182:183], v[248:249]
	v_mul_f64 v[32:33], v[32:33], v[192:193]
	s_waitcnt vmcnt(2)
	v_mul_f64 v[248:249], v[106:107], v[244:245]
	v_fma_f64 v[30:31], v[30:31], v[152:153], -v[32:33]
	s_waitcnt vmcnt(0)
	v_fmac_f64_e32 v[248:249], v[108:109], v[246:247]
	v_add_f64 v[182:183], v[182:183], v[248:249]
	s_waitcnt lgkmcnt(0)
	v_mul_f64 v[248:249], v[114:115], v[232:233]
	v_fmac_f64_e32 v[248:249], v[116:117], v[236:237]
	v_add_f64 v[248:249], v[182:183], v[248:249]
	buffer_load_dword v182, off, s[0:3], 0 offset:104
	buffer_load_dword v183, off, s[0:3], 0 offset:108
	v_mul_f64 v[28:29], v[28:29], v[124:125]
	v_add_f64 v[30:31], v[250:251], v[30:31]
	v_fma_f64 v[26:27], v[26:27], v[150:151], -v[28:29]
	v_add_f64 v[26:27], v[30:31], v[26:27]
	v_mul_f64 v[20:21], v[20:21], v[130:131]
	v_add_f64 v[22:23], v[26:27], v[22:23]
	v_fma_f64 v[18:19], v[18:19], v[148:149], -v[20:21]
	v_add_f64 v[18:19], v[22:23], v[18:19]
	;; [unrolled: 4-line block ×3, first 2 shown]
	v_fma_f64 v[6:7], v[6:7], v[134:135], -v[8:9]
	v_mul_f64 v[4:5], v[4:5], v[136:137]
	v_add_f64 v[6:7], v[10:11], v[6:7]
	v_fma_f64 v[2:3], v[2:3], v[144:145], -v[4:5]
	v_mul_f64 v[4:5], v[40:41], v[142:143]
	v_add_f64 v[2:3], v[6:7], v[2:3]
	v_fma_f64 v[4:5], v[38:39], v[154:155], -v[4:5]
	v_add_f64 v[2:3], v[2:3], v[4:5]
	v_mul_f64 v[4:5], v[36:37], v[172:173]
	v_fma_f64 v[4:5], v[34:35], v[176:177], -v[4:5]
	v_add_f64 v[2:3], v[2:3], v[4:5]
	v_mul_f64 v[4:5], v[44:45], v[156:157]
	;; [unrolled: 3-line block ×20, first 2 shown]
	v_fma_f64 v[4:5], v[114:115], v[236:237], -v[4:5]
	v_add_f64 v[2:3], v[2:3], v[4:5]
	v_add_f64 v[2:3], v[138:139], -v[2:3]
	s_waitcnt vmcnt(0)
	v_add_f64 v[4:5], v[182:183], -v[248:249]
	buffer_store_dword v3, off, s[0:3], 0 offset:100
	buffer_store_dword v2, off, s[0:3], 0 offset:96
	;; [unrolled: 1-line block ×4, first 2 shown]
	s_and_saveexec_b64 s[4:5], vcc
	s_cbranch_execz .LBB100_227
; %bb.226:
	v_accvgpr_read_b32 v5, a104
	buffer_load_dword v2, v5, s[0:3], 0 offen
	buffer_load_dword v3, v5, s[0:3], 0 offen offset:4
	buffer_load_dword v4, v5, s[0:3], 0 offen offset:8
	s_nop 0
	buffer_load_dword v5, v5, s[0:3], 0 offen offset:12
	v_accvgpr_read_b32 v6, a108
	buffer_store_dword v1, off, s[0:3], 0 offset:80
	buffer_store_dword v1, off, s[0:3], 0 offset:84
	;; [unrolled: 1-line block ×4, first 2 shown]
	s_waitcnt vmcnt(4)
	ds_write_b128 v6, v[2:5]
.LBB100_227:
	s_or_b64 exec, exec, s[4:5]
	s_waitcnt lgkmcnt(0)
	; wave barrier
	s_waitcnt lgkmcnt(0)
	buffer_load_dword v112, off, s[0:3], 0 offset:96
	buffer_load_dword v113, off, s[0:3], 0 offset:100
	;; [unrolled: 1-line block ×36, first 2 shown]
	ds_read_b128 v[102:105], v1 offset:672
	ds_read_b128 v[106:109], v1 offset:688
	;; [unrolled: 1-line block ×9, first 2 shown]
	buffer_load_dword v139, off, s[0:3], 0 offset:268
	buffer_load_dword v138, off, s[0:3], 0 offset:264
	;; [unrolled: 1-line block ×78, first 2 shown]
	v_cmp_lt_u32_e32 vcc, 3, v0
	s_waitcnt vmcnt(62) lgkmcnt(8)
	v_mul_f64 v[26:27], v[102:103], v[248:249]
	v_fmac_f64_e32 v[26:27], v[104:105], v[112:113]
	v_add_f64 v[26:27], v[26:27], 0
	v_mul_f64 v[104:105], v[104:105], v[248:249]
	s_waitcnt lgkmcnt(7)
	v_mul_f64 v[28:29], v[106:107], v[250:251]
	v_fmac_f64_e32 v[28:29], v[108:109], v[110:111]
	s_waitcnt lgkmcnt(6)
	v_mul_f64 v[30:31], v[114:115], v[246:247]
	v_add_f64 v[26:27], v[26:27], v[28:29]
	s_waitcnt lgkmcnt(4)
	v_mul_f64 v[34:35], v[18:19], v[192:193]
	v_fma_f64 v[248:249], v[102:103], v[112:113], -v[104:105]
	v_fmac_f64_e32 v[34:35], v[20:21], v[194:195]
	v_mul_f64 v[108:109], v[108:109], v[250:251]
	v_mul_f64 v[32:33], v[22:23], v[196:197]
	v_fma_f64 v[250:251], v[106:107], v[110:111], -v[108:109]
	s_waitcnt lgkmcnt(2)
	v_mul_f64 v[38:39], v[10:11], v[120:121]
	v_add_f64 v[248:249], v[248:249], 0
	v_fmac_f64_e32 v[38:39], v[12:13], v[122:123]
	v_add_f64 v[248:249], v[248:249], v[250:251]
	v_mul_f64 v[36:37], v[14:15], v[126:127]
	v_mul_f64 v[20:21], v[20:21], v[192:193]
	s_waitcnt lgkmcnt(1)
	v_mul_f64 v[40:41], v[6:7], v[124:125]
	v_fma_f64 v[18:19], v[18:19], v[194:195], -v[20:21]
	v_fmac_f64_e32 v[30:31], v[116:117], v[252:253]
	v_add_f64 v[26:27], v[26:27], v[30:31]
	v_fmac_f64_e32 v[32:33], v[24:25], v[134:135]
	v_add_f64 v[26:27], v[26:27], v[32:33]
	;; [unrolled: 2-line block ×3, first 2 shown]
	v_add_f64 v[26:27], v[26:27], v[36:37]
	v_fmac_f64_e32 v[40:41], v[8:9], v[130:131]
	v_add_f64 v[30:31], v[26:27], v[38:39]
	ds_read_b128 v[26:29], v1 offset:816
	s_waitcnt lgkmcnt(1)
	v_mul_f64 v[32:33], v[2:3], v[128:129]
	v_add_f64 v[30:31], v[30:31], v[40:41]
	v_fmac_f64_e32 v[32:33], v[4:5], v[136:137]
	v_add_f64 v[34:35], v[30:31], v[32:33]
	ds_read_b128 v[30:33], v1 offset:832
	s_waitcnt lgkmcnt(1)
	v_mul_f64 v[36:37], v[26:27], v[142:143]
	buffer_load_dword v235, off, s[0:3], 0 offset:532
	buffer_load_dword v234, off, s[0:3], 0 offset:528
	v_fmac_f64_e32 v[36:37], v[28:29], v[144:145]
	v_add_f64 v[38:39], v[34:35], v[36:37]
	s_waitcnt lgkmcnt(0)
	v_mul_f64 v[40:41], v[30:31], v[138:139]
	ds_read_b128 v[34:37], v1 offset:848
	v_fmac_f64_e32 v[40:41], v[32:33], v[140:141]
	v_add_f64 v[42:43], v[38:39], v[40:41]
	ds_read_b128 v[38:41], v1 offset:864
	v_mul_f64 v[116:117], v[116:117], v[246:247]
	s_waitcnt lgkmcnt(1)
	v_mul_f64 v[44:45], v[34:35], v[154:155]
	v_fmac_f64_e32 v[44:45], v[36:37], v[156:157]
	v_add_f64 v[46:47], v[42:43], v[44:45]
	s_waitcnt lgkmcnt(0)
	v_mul_f64 v[48:49], v[38:39], v[146:147]
	v_fmac_f64_e32 v[48:49], v[40:41], v[148:149]
	ds_read_b128 v[42:45], v1 offset:880
	v_add_f64 v[50:51], v[46:47], v[48:49]
	ds_read_b128 v[46:49], v1 offset:896
	buffer_load_dword v181, off, s[0:3], 0 offset:588
	buffer_load_dword v237, off, s[0:3], 0 offset:572
	;; [unrolled: 1-line block ×12, first 2 shown]
	ds_read_b128 v[106:109], v1 offset:1136
	s_waitcnt vmcnt(62) lgkmcnt(2)
	v_mul_f64 v[52:53], v[42:43], v[170:171]
	v_fmac_f64_e32 v[52:53], v[44:45], v[174:175]
	v_add_f64 v[54:55], v[50:51], v[52:53]
	ds_read_b128 v[50:53], v1 offset:912
	s_waitcnt lgkmcnt(2)
	v_mul_f64 v[56:57], v[46:47], v[150:151]
	v_fmac_f64_e32 v[56:57], v[48:49], v[152:153]
	v_add_f64 v[58:59], v[54:55], v[56:57]
	ds_read_b128 v[54:57], v1 offset:928
	s_waitcnt lgkmcnt(1)
	v_mul_f64 v[60:61], v[50:51], v[198:199]
	s_waitcnt vmcnt(60)
	v_fmac_f64_e32 v[60:61], v[52:53], v[200:201]
	v_add_f64 v[62:63], v[58:59], v[60:61]
	ds_read_b128 v[58:61], v1 offset:944
	s_waitcnt lgkmcnt(1)
	v_mul_f64 v[64:65], v[54:55], v[158:159]
	v_fmac_f64_e32 v[64:65], v[56:57], v[160:161]
	v_add_f64 v[66:67], v[62:63], v[64:65]
	ds_read_b128 v[62:65], v1 offset:960
	s_waitcnt vmcnt(54) lgkmcnt(1)
	v_mul_f64 v[68:69], v[58:59], v[204:205]
	s_waitcnt vmcnt(52)
	v_fmac_f64_e32 v[68:69], v[60:61], v[208:209]
	v_add_f64 v[70:71], v[66:67], v[68:69]
	ds_read_b128 v[66:69], v1 offset:976
	s_waitcnt lgkmcnt(1)
	v_mul_f64 v[72:73], v[62:63], v[162:163]
	v_fmac_f64_e32 v[72:73], v[64:65], v[164:165]
	v_add_f64 v[74:75], v[70:71], v[72:73]
	ds_read_b128 v[70:73], v1 offset:992
	s_waitcnt vmcnt(46) lgkmcnt(1)
	;; [unrolled: 11-line block ×4, first 2 shown]
	v_mul_f64 v[92:93], v[82:83], v[224:225]
	s_waitcnt vmcnt(28)
	v_fmac_f64_e32 v[92:93], v[84:85], v[226:227]
	v_add_f64 v[98:99], v[90:91], v[92:93]
	ds_read_b128 v[90:93], v1 offset:1072
	ds_read_b128 v[94:97], v1 offset:1088
	s_waitcnt lgkmcnt(2)
	v_mul_f64 v[100:101], v[86:87], v[178:179]
	v_fmac_f64_e32 v[100:101], v[88:89], v[202:203]
	v_add_f64 v[98:99], v[98:99], v[100:101]
	s_waitcnt vmcnt(22) lgkmcnt(1)
	v_mul_f64 v[100:101], v[90:91], v[228:229]
	s_waitcnt vmcnt(20)
	v_fmac_f64_e32 v[100:101], v[92:93], v[230:231]
	v_add_f64 v[98:99], v[98:99], v[100:101]
	s_waitcnt lgkmcnt(0)
	v_mul_f64 v[100:101], v[94:95], v[206:207]
	v_fmac_f64_e32 v[100:101], v[96:97], v[210:211]
	v_add_f64 v[182:183], v[98:99], v[100:101]
	ds_read_b128 v[98:101], v1 offset:1104
	ds_read_b128 v[102:105], v1 offset:1120
	v_fma_f64 v[252:253], v[114:115], v[252:253], -v[116:117]
	ds_read_b128 v[114:117], v1 offset:1168
	v_mul_f64 v[24:25], v[24:25], v[196:197]
	s_waitcnt vmcnt(14) lgkmcnt(2)
	v_mul_f64 v[112:113], v[98:99], v[232:233]
	s_waitcnt lgkmcnt(1)
	v_mul_f64 v[110:111], v[102:103], v[214:215]
	s_waitcnt vmcnt(12)
	v_fmac_f64_e32 v[112:113], v[100:101], v[234:235]
	v_add_f64 v[112:113], v[182:183], v[112:113]
	v_fmac_f64_e32 v[110:111], v[104:105], v[218:219]
	v_add_f64 v[182:183], v[112:113], v[110:111]
	ds_read_b128 v[110:113], v1 offset:1152
	v_add_f64 v[248:249], v[248:249], v[252:253]
	v_fma_f64 v[22:23], v[22:23], v[134:135], -v[24:25]
	v_add_f64 v[22:23], v[248:249], v[22:23]
	s_waitcnt vmcnt(9)
	v_mul_f64 v[246:247], v[106:107], v[236:237]
	v_mul_f64 v[16:17], v[16:17], v[126:127]
	s_waitcnt vmcnt(7)
	v_fmac_f64_e32 v[246:247], v[108:109], v[242:243]
	v_add_f64 v[182:183], v[182:183], v[246:247]
	s_waitcnt vmcnt(6) lgkmcnt(0)
	v_mul_f64 v[246:247], v[110:111], v[180:181]
	s_waitcnt vmcnt(4)
	v_fmac_f64_e32 v[246:247], v[112:113], v[240:241]
	v_add_f64 v[182:183], v[182:183], v[246:247]
	s_waitcnt vmcnt(2)
	v_mul_f64 v[246:247], v[114:115], v[238:239]
	v_add_f64 v[18:19], v[22:23], v[18:19]
	s_waitcnt vmcnt(0)
	v_fmac_f64_e32 v[246:247], v[116:117], v[244:245]
	v_add_f64 v[246:247], v[182:183], v[246:247]
	buffer_load_dword v254, off, s[0:3], 0 offset:80
	buffer_load_dword v255, off, s[0:3], 0 offset:84
	;; [unrolled: 1-line block ×4, first 2 shown]
	v_fma_f64 v[14:15], v[14:15], v[132:133], -v[16:17]
	v_mul_f64 v[12:13], v[12:13], v[120:121]
	v_add_f64 v[14:15], v[18:19], v[14:15]
	v_fma_f64 v[10:11], v[10:11], v[122:123], -v[12:13]
	v_mul_f64 v[8:9], v[8:9], v[124:125]
	v_add_f64 v[10:11], v[14:15], v[10:11]
	;; [unrolled: 3-line block ×4, first 2 shown]
	v_fma_f64 v[4:5], v[26:27], v[144:145], -v[4:5]
	v_add_f64 v[2:3], v[2:3], v[4:5]
	v_mul_f64 v[4:5], v[32:33], v[138:139]
	v_fma_f64 v[4:5], v[30:31], v[140:141], -v[4:5]
	v_add_f64 v[2:3], v[2:3], v[4:5]
	v_mul_f64 v[4:5], v[36:37], v[154:155]
	;; [unrolled: 3-line block ×22, first 2 shown]
	v_fma_f64 v[4:5], v[114:115], v[244:245], -v[4:5]
	v_add_f64 v[2:3], v[2:3], v[4:5]
	s_waitcnt vmcnt(2)
	v_add_f64 v[2:3], v[254:255], -v[2:3]
	s_waitcnt vmcnt(0)
	v_add_f64 v[4:5], v[182:183], -v[246:247]
	buffer_store_dword v3, off, s[0:3], 0 offset:84
	buffer_store_dword v2, off, s[0:3], 0 offset:80
	;; [unrolled: 1-line block ×4, first 2 shown]
	s_and_saveexec_b64 s[4:5], vcc
	s_cbranch_execz .LBB100_229
; %bb.228:
	v_accvgpr_read_b32 v1, a106
	buffer_load_dword v2, v1, s[0:3], 0 offen
	buffer_load_dword v3, v1, s[0:3], 0 offen offset:4
	buffer_load_dword v4, v1, s[0:3], 0 offen offset:8
	;; [unrolled: 1-line block ×3, first 2 shown]
	v_mov_b32_e32 v1, 0
	v_accvgpr_read_b32 v6, a108
	buffer_store_dword v1, off, s[0:3], 0 offset:64
	buffer_store_dword v1, off, s[0:3], 0 offset:68
	;; [unrolled: 1-line block ×4, first 2 shown]
	s_waitcnt vmcnt(4)
	ds_write_b128 v6, v[2:5]
.LBB100_229:
	s_or_b64 exec, exec, s[4:5]
	s_waitcnt lgkmcnt(0)
	; wave barrier
	s_waitcnt lgkmcnt(0)
	buffer_load_dword v94, off, s[0:3], 0 offset:80
	buffer_load_dword v95, off, s[0:3], 0 offset:84
	;; [unrolled: 1-line block ×52, first 2 shown]
	v_mov_b32_e32 v1, 0
	ds_read_b128 v[102:105], v1 offset:656
	ds_read_b128 v[114:117], v1 offset:672
	;; [unrolled: 1-line block ×10, first 2 shown]
	v_cmp_lt_u32_e32 vcc, 2, v0
	s_waitcnt vmcnt(48) lgkmcnt(9)
	v_mul_f64 v[26:27], v[102:103], v[96:97]
	v_fmac_f64_e32 v[26:27], v[104:105], v[94:95]
	v_add_f64 v[26:27], v[26:27], 0
	v_mul_f64 v[96:97], v[104:105], v[96:97]
	s_waitcnt vmcnt(44) lgkmcnt(8)
	v_mul_f64 v[28:29], v[114:115], v[100:101]
	v_fmac_f64_e32 v[28:29], v[116:117], v[98:99]
	s_waitcnt vmcnt(42) lgkmcnt(7)
	v_mul_f64 v[30:31], v[246:247], v[106:107]
	v_add_f64 v[26:27], v[26:27], v[28:29]
	s_waitcnt vmcnt(40) lgkmcnt(5)
	v_mul_f64 v[34:35], v[22:23], v[194:195]
	v_fma_f64 v[184:185], v[102:103], v[94:95], -v[96:97]
	s_waitcnt vmcnt(38)
	v_fmac_f64_e32 v[34:35], v[24:25], v[198:199]
	v_mul_f64 v[100:101], v[116:117], v[100:101]
	s_waitcnt vmcnt(36)
	v_mul_f64 v[32:33], v[252:253], v[110:111]
	v_fma_f64 v[186:187], v[114:115], v[98:99], -v[100:101]
	s_waitcnt vmcnt(34) lgkmcnt(3)
	v_mul_f64 v[38:39], v[14:15], v[192:193]
	v_mul_f64 v[106:107], v[248:249], v[106:107]
	s_waitcnt vmcnt(32)
	v_fmac_f64_e32 v[38:39], v[16:17], v[196:197]
	v_mul_f64 v[110:111], v[254:255], v[110:111]
	s_waitcnt vmcnt(30)
	v_mul_f64 v[36:37], v[18:19], v[204:205]
	v_mul_f64 v[24:25], v[24:25], v[194:195]
	v_fma_f64 v[22:23], v[22:23], v[198:199], -v[24:25]
	s_waitcnt vmcnt(27) lgkmcnt(2)
	v_mul_f64 v[40:41], v[10:11], v[202:203]
	s_waitcnt vmcnt(26) lgkmcnt(1)
	v_mul_f64 v[42:43], v[6:7], v[200:201]
	v_mul_f64 v[16:17], v[16:17], v[192:193]
	s_waitcnt vmcnt(24)
	v_fmac_f64_e32 v[30:31], v[248:249], v[108:109]
	v_add_f64 v[26:27], v[26:27], v[30:31]
	s_waitcnt vmcnt(22)
	v_fmac_f64_e32 v[32:33], v[254:255], v[112:113]
	v_add_f64 v[26:27], v[26:27], v[32:33]
	;; [unrolled: 3-line block ×3, first 2 shown]
	v_add_f64 v[26:27], v[26:27], v[36:37]
	s_waitcnt vmcnt(18)
	v_fmac_f64_e32 v[40:41], v[12:13], v[120:121]
	v_add_f64 v[26:27], v[26:27], v[38:39]
	v_add_f64 v[26:27], v[26:27], v[40:41]
	s_waitcnt vmcnt(16)
	v_fmac_f64_e32 v[42:43], v[8:9], v[126:127]
	v_add_f64 v[34:35], v[26:27], v[42:43]
	ds_read_b128 v[26:29], v1 offset:816
	ds_read_b128 v[30:33], v1 offset:832
	buffer_load_dword v143, off, s[0:3], 0 offset:316
	buffer_load_dword v142, off, s[0:3], 0 offset:312
	buffer_load_dword v145, off, s[0:3], 0 offset:308
	buffer_load_dword v144, off, s[0:3], 0 offset:304
	buffer_load_dword v159, off, s[0:3], 0 offset:300
	buffer_load_dword v158, off, s[0:3], 0 offset:296
	buffer_load_dword v163, off, s[0:3], 0 offset:292
	buffer_load_dword v162, off, s[0:3], 0 offset:288
	buffer_load_dword v147, off, s[0:3], 0 offset:348
	buffer_load_dword v146, off, s[0:3], 0 offset:344
	buffer_load_dword v149, off, s[0:3], 0 offset:340
	buffer_load_dword v148, off, s[0:3], 0 offset:336
	buffer_load_dword v167, off, s[0:3], 0 offset:332
	buffer_load_dword v166, off, s[0:3], 0 offset:328
	buffer_load_dword v171, off, s[0:3], 0 offset:324
	buffer_load_dword v170, off, s[0:3], 0 offset:320
	buffer_load_dword v151, off, s[0:3], 0 offset:380
	buffer_load_dword v150, off, s[0:3], 0 offset:376
	buffer_load_dword v153, off, s[0:3], 0 offset:372
	buffer_load_dword v152, off, s[0:3], 0 offset:368
	buffer_load_dword v175, off, s[0:3], 0 offset:364
	buffer_load_dword v174, off, s[0:3], 0 offset:360
	buffer_load_dword v179, off, s[0:3], 0 offset:356
	buffer_load_dword v178, off, s[0:3], 0 offset:352
	buffer_load_dword v155, off, s[0:3], 0 offset:412
	buffer_load_dword v154, off, s[0:3], 0 offset:408
	buffer_load_dword v157, off, s[0:3], 0 offset:404
	buffer_load_dword v156, off, s[0:3], 0 offset:400
	buffer_load_dword v209, off, s[0:3], 0 offset:396
	buffer_load_dword v208, off, s[0:3], 0 offset:392
	buffer_load_dword v211, off, s[0:3], 0 offset:388
	buffer_load_dword v210, off, s[0:3], 0 offset:384
	buffer_load_dword v161, off, s[0:3], 0 offset:444
	buffer_load_dword v160, off, s[0:3], 0 offset:440
	buffer_load_dword v165, off, s[0:3], 0 offset:436
	buffer_load_dword v164, off, s[0:3], 0 offset:432
	buffer_load_dword v215, off, s[0:3], 0 offset:428
	buffer_load_dword v214, off, s[0:3], 0 offset:424
	buffer_load_dword v219, off, s[0:3], 0 offset:420
	buffer_load_dword v218, off, s[0:3], 0 offset:416
	buffer_load_dword v169, off, s[0:3], 0 offset:476
	buffer_load_dword v168, off, s[0:3], 0 offset:472
	buffer_load_dword v173, off, s[0:3], 0 offset:468
	buffer_load_dword v172, off, s[0:3], 0 offset:464
	buffer_load_dword v223, off, s[0:3], 0 offset:460
	buffer_load_dword v222, off, s[0:3], 0 offset:456
	buffer_load_dword v229, off, s[0:3], 0 offset:452
	buffer_load_dword v228, off, s[0:3], 0 offset:448
	buffer_load_dword v177, off, s[0:3], 0 offset:508
	buffer_load_dword v176, off, s[0:3], 0 offset:504
	buffer_load_dword v207, off, s[0:3], 0 offset:500
	buffer_load_dword v227, off, s[0:3], 0 offset:492
	buffer_load_dword v226, off, s[0:3], 0 offset:488
	buffer_load_dword v231, off, s[0:3], 0 offset:484
	buffer_load_dword v230, off, s[0:3], 0 offset:480
	buffer_load_dword v206, off, s[0:3], 0 offset:496
	s_waitcnt vmcnt(62) lgkmcnt(2)
	v_mul_f64 v[36:37], v[2:3], v[130:131]
	v_fmac_f64_e32 v[36:37], v[4:5], v[132:133]
	v_add_f64 v[34:35], v[34:35], v[36:37]
	s_waitcnt lgkmcnt(1)
	v_mul_f64 v[36:37], v[26:27], v[124:125]
	v_fmac_f64_e32 v[36:37], v[28:29], v[128:129]
	v_add_f64 v[34:35], v[34:35], v[36:37]
	s_waitcnt lgkmcnt(0)
	v_mul_f64 v[36:37], v[30:31], v[134:135]
	s_waitcnt vmcnt(60)
	v_fmac_f64_e32 v[36:37], v[32:33], v[138:139]
	v_add_f64 v[42:43], v[34:35], v[36:37]
	ds_read_b128 v[34:37], v1 offset:848
	buffer_load_dword v213, off, s[0:3], 0 offset:540
	buffer_load_dword v212, off, s[0:3], 0 offset:536
	;; [unrolled: 1-line block ×16, first 2 shown]
	ds_read_b128 v[38:41], v1 offset:864
	buffer_load_dword v235, off, s[0:3], 0 offset:604
	buffer_load_dword v234, off, s[0:3], 0 offset:600
	;; [unrolled: 1-line block ×8, first 2 shown]
	ds_read_b128 v[98:101], v1 offset:1104
	s_waitcnt vmcnt(62) lgkmcnt(2)
	v_mul_f64 v[44:45], v[34:35], v[136:137]
	v_fmac_f64_e32 v[44:45], v[36:37], v[140:141]
	v_add_f64 v[46:47], v[42:43], v[44:45]
	ds_read_b128 v[42:45], v1 offset:880
	v_fma_f64 v[250:251], v[246:247], v[108:109], -v[106:107]
	ds_read_b128 v[106:109], v1 offset:1136
	v_fma_f64 v[248:249], v[252:253], v[112:113], -v[110:111]
	v_mul_f64 v[20:21], v[20:21], v[204:205]
	v_fma_f64 v[18:19], v[18:19], v[122:123], -v[20:21]
	v_fma_f64 v[14:15], v[14:15], v[196:197], -v[16:17]
	v_mul_f64 v[12:13], v[12:13], v[202:203]
	v_fma_f64 v[10:11], v[10:11], v[120:121], -v[12:13]
	v_mul_f64 v[8:9], v[8:9], v[200:201]
	;; [unrolled: 2-line block ×3, first 2 shown]
	s_waitcnt lgkmcnt(3)
	v_mul_f64 v[48:49], v[38:39], v[158:159]
	v_fma_f64 v[2:3], v[2:3], v[132:133], -v[4:5]
	v_fmac_f64_e32 v[48:49], v[40:41], v[162:163]
	v_add_f64 v[50:51], v[46:47], v[48:49]
	ds_read_b128 v[46:49], v1 offset:896
	s_waitcnt lgkmcnt(2)
	v_mul_f64 v[52:53], v[42:43], v[142:143]
	v_fmac_f64_e32 v[52:53], v[44:45], v[144:145]
	v_add_f64 v[54:55], v[50:51], v[52:53]
	ds_read_b128 v[50:53], v1 offset:912
	s_waitcnt lgkmcnt(1)
	v_mul_f64 v[56:57], v[46:47], v[166:167]
	;; [unrolled: 5-line block ×3, first 2 shown]
	v_fmac_f64_e32 v[60:61], v[52:53], v[148:149]
	v_add_f64 v[62:63], v[58:59], v[60:61]
	ds_read_b128 v[58:61], v1 offset:944
	s_waitcnt vmcnt(58) lgkmcnt(1)
	v_mul_f64 v[64:65], v[54:55], v[174:175]
	s_waitcnt vmcnt(56)
	v_fmac_f64_e32 v[64:65], v[56:57], v[178:179]
	v_add_f64 v[66:67], v[62:63], v[64:65]
	ds_read_b128 v[62:65], v1 offset:960
	s_waitcnt lgkmcnt(1)
	v_mul_f64 v[68:69], v[58:59], v[150:151]
	v_fmac_f64_e32 v[68:69], v[60:61], v[152:153]
	v_add_f64 v[70:71], v[66:67], v[68:69]
	ds_read_b128 v[66:69], v1 offset:976
	s_waitcnt vmcnt(50) lgkmcnt(1)
	v_mul_f64 v[72:73], v[62:63], v[208:209]
	s_waitcnt vmcnt(48)
	v_fmac_f64_e32 v[72:73], v[64:65], v[210:211]
	v_add_f64 v[74:75], v[70:71], v[72:73]
	ds_read_b128 v[70:73], v1 offset:992
	s_waitcnt lgkmcnt(1)
	v_mul_f64 v[76:77], v[66:67], v[154:155]
	;; [unrolled: 11-line block ×3, first 2 shown]
	v_fmac_f64_e32 v[84:85], v[76:77], v[164:165]
	v_add_f64 v[90:91], v[82:83], v[84:85]
	ds_read_b128 v[82:85], v1 offset:1040
	ds_read_b128 v[86:89], v1 offset:1056
	s_waitcnt vmcnt(34) lgkmcnt(2)
	v_mul_f64 v[92:93], v[78:79], v[222:223]
	s_waitcnt vmcnt(32)
	v_fmac_f64_e32 v[92:93], v[80:81], v[228:229]
	v_add_f64 v[90:91], v[90:91], v[92:93]
	s_waitcnt lgkmcnt(1)
	v_mul_f64 v[92:93], v[82:83], v[168:169]
	v_fmac_f64_e32 v[92:93], v[84:85], v[172:173]
	v_add_f64 v[90:91], v[90:91], v[92:93]
	s_waitcnt vmcnt(27) lgkmcnt(0)
	v_mul_f64 v[92:93], v[86:87], v[226:227]
	s_waitcnt vmcnt(25)
	v_fmac_f64_e32 v[92:93], v[88:89], v[230:231]
	v_add_f64 v[182:183], v[90:91], v[92:93]
	ds_read_b128 v[90:93], v1 offset:1072
	ds_read_b128 v[94:97], v1 offset:1088
	;; [unrolled: 1-line block ×3, first 2 shown]
	v_mul_f64 v[4:5], v[28:29], v[124:125]
	v_fma_f64 v[4:5], v[26:27], v[128:129], -v[4:5]
	s_waitcnt lgkmcnt(2)
	v_mul_f64 v[102:103], v[90:91], v[176:177]
	s_waitcnt vmcnt(24)
	v_fmac_f64_e32 v[102:103], v[92:93], v[206:207]
	s_waitcnt vmcnt(18) lgkmcnt(1)
	v_mul_f64 v[104:105], v[94:95], v[232:233]
	v_add_f64 v[102:103], v[182:183], v[102:103]
	s_waitcnt vmcnt(16)
	v_fmac_f64_e32 v[104:105], v[96:97], v[236:237]
	v_add_f64 v[102:103], v[102:103], v[104:105]
	v_mul_f64 v[104:105], v[98:99], v[212:213]
	v_fmac_f64_e32 v[104:105], v[100:101], v[216:217]
	v_add_f64 v[114:115], v[102:103], v[104:105]
	ds_read_b128 v[102:105], v1 offset:1120
	s_waitcnt vmcnt(10) lgkmcnt(0)
	v_mul_f64 v[116:117], v[102:103], v[238:239]
	s_waitcnt vmcnt(8)
	v_fmac_f64_e32 v[116:117], v[104:105], v[240:241]
	v_add_f64 v[114:115], v[114:115], v[116:117]
	v_mul_f64 v[116:117], v[106:107], v[220:221]
	v_fmac_f64_e32 v[116:117], v[108:109], v[224:225]
	v_add_f64 v[114:115], v[114:115], v[116:117]
	s_waitcnt vmcnt(2)
	v_mul_f64 v[116:117], v[110:111], v[242:243]
	s_waitcnt vmcnt(0)
	v_fmac_f64_e32 v[116:117], v[112:113], v[244:245]
	v_add_f64 v[182:183], v[114:115], v[116:117]
	ds_read_b128 v[114:117], v1 offset:1168
	s_waitcnt lgkmcnt(0)
	v_mul_f64 v[246:247], v[114:115], v[234:235]
	v_fmac_f64_e32 v[246:247], v[116:117], v[180:181]
	v_add_f64 v[246:247], v[182:183], v[246:247]
	v_add_f64 v[182:183], v[184:185], 0
	;; [unrolled: 1-line block ×3, first 2 shown]
	buffer_load_dword v182, off, s[0:3], 0 offset:64
	buffer_load_dword v183, off, s[0:3], 0 offset:68
	v_add_f64 v[184:185], v[252:253], v[250:251]
	buffer_load_dword v250, off, s[0:3], 0 offset:72
	buffer_load_dword v251, off, s[0:3], 0 offset:76
	v_add_f64 v[184:185], v[184:185], v[248:249]
	v_add_f64 v[22:23], v[184:185], v[22:23]
	;; [unrolled: 1-line block ×8, first 2 shown]
	v_mul_f64 v[4:5], v[32:33], v[134:135]
	v_fma_f64 v[4:5], v[30:31], v[138:139], -v[4:5]
	v_add_f64 v[2:3], v[2:3], v[4:5]
	v_mul_f64 v[4:5], v[36:37], v[136:137]
	v_fma_f64 v[4:5], v[34:35], v[140:141], -v[4:5]
	v_add_f64 v[2:3], v[2:3], v[4:5]
	;; [unrolled: 3-line block ×22, first 2 shown]
	s_waitcnt vmcnt(2)
	v_add_f64 v[2:3], v[182:183], -v[2:3]
	s_waitcnt vmcnt(0)
	v_add_f64 v[4:5], v[250:251], -v[246:247]
	buffer_store_dword v3, off, s[0:3], 0 offset:68
	buffer_store_dword v2, off, s[0:3], 0 offset:64
	;; [unrolled: 1-line block ×4, first 2 shown]
	s_and_saveexec_b64 s[4:5], vcc
	s_cbranch_execz .LBB100_231
; %bb.230:
	v_accvgpr_read_b32 v5, a107
	buffer_load_dword v2, v5, s[0:3], 0 offen
	buffer_load_dword v3, v5, s[0:3], 0 offen offset:4
	buffer_load_dword v4, v5, s[0:3], 0 offen offset:8
	s_nop 0
	buffer_load_dword v5, v5, s[0:3], 0 offen offset:12
	v_accvgpr_read_b32 v6, a108
	buffer_store_dword v1, off, s[0:3], 0 offset:48
	buffer_store_dword v1, off, s[0:3], 0 offset:52
	;; [unrolled: 1-line block ×4, first 2 shown]
	s_waitcnt vmcnt(4)
	ds_write_b128 v6, v[2:5]
.LBB100_231:
	s_or_b64 exec, exec, s[4:5]
	s_waitcnt lgkmcnt(0)
	; wave barrier
	s_waitcnt lgkmcnt(0)
	buffer_load_dword v86, off, s[0:3], 0 offset:64
	buffer_load_dword v87, off, s[0:3], 0 offset:68
	;; [unrolled: 1-line block ×42, first 2 shown]
	ds_read_b128 v[94:97], v1 offset:640
	ds_read_b128 v[106:109], v1 offset:656
	;; [unrolled: 1-line block ×10, first 2 shown]
	buffer_load_dword v129, off, s[0:3], 0 offset:212
	buffer_load_dword v128, off, s[0:3], 0 offset:208
	ds_read_b128 v[6:9], v1 offset:800
	buffer_load_dword v125, off, s[0:3], 0 offset:268
	buffer_load_dword v124, off, s[0:3], 0 offset:264
	buffer_load_dword v127, off, s[0:3], 0 offset:260
	buffer_load_dword v126, off, s[0:3], 0 offset:256
	buffer_load_dword v131, off, s[0:3], 0 offset:252
	buffer_load_dword v130, off, s[0:3], 0 offset:248
	buffer_load_dword v147, off, s[0:3], 0 offset:244
	buffer_load_dword v146, off, s[0:3], 0 offset:240
	buffer_load_dword v133, off, s[0:3], 0 offset:300
	buffer_load_dword v132, off, s[0:3], 0 offset:296
	buffer_load_dword v135, off, s[0:3], 0 offset:292
	buffer_load_dword v134, off, s[0:3], 0 offset:288
	buffer_load_dword v151, off, s[0:3], 0 offset:284
	buffer_load_dword v150, off, s[0:3], 0 offset:280
	buffer_load_dword v155, off, s[0:3], 0 offset:276
	buffer_load_dword v154, off, s[0:3], 0 offset:272
	buffer_load_dword v137, off, s[0:3], 0 offset:332
	buffer_load_dword v136, off, s[0:3], 0 offset:328
	buffer_load_dword v139, off, s[0:3], 0 offset:324
	buffer_load_dword v138, off, s[0:3], 0 offset:320
	buffer_load_dword v159, off, s[0:3], 0 offset:316
	buffer_load_dword v158, off, s[0:3], 0 offset:312
	buffer_load_dword v163, off, s[0:3], 0 offset:308
	buffer_load_dword v162, off, s[0:3], 0 offset:304
	buffer_load_dword v141, off, s[0:3], 0 offset:364
	buffer_load_dword v140, off, s[0:3], 0 offset:360
	buffer_load_dword v143, off, s[0:3], 0 offset:356
	buffer_load_dword v142, off, s[0:3], 0 offset:352
	buffer_load_dword v211, off, s[0:3], 0 offset:348
	buffer_load_dword v210, off, s[0:3], 0 offset:344
	buffer_load_dword v215, off, s[0:3], 0 offset:340
	buffer_load_dword v214, off, s[0:3], 0 offset:336
	buffer_load_dword v145, off, s[0:3], 0 offset:396
	buffer_load_dword v144, off, s[0:3], 0 offset:392
	buffer_load_dword v149, off, s[0:3], 0 offset:388
	buffer_load_dword v148, off, s[0:3], 0 offset:384
	buffer_load_dword v219, off, s[0:3], 0 offset:380
	buffer_load_dword v218, off, s[0:3], 0 offset:376
	buffer_load_dword v223, off, s[0:3], 0 offset:372
	buffer_load_dword v222, off, s[0:3], 0 offset:368
	buffer_load_dword v153, off, s[0:3], 0 offset:428
	buffer_load_dword v152, off, s[0:3], 0 offset:424
	buffer_load_dword v157, off, s[0:3], 0 offset:420
	buffer_load_dword v156, off, s[0:3], 0 offset:416
	buffer_load_dword v227, off, s[0:3], 0 offset:412
	buffer_load_dword v226, off, s[0:3], 0 offset:408
	buffer_load_dword v231, off, s[0:3], 0 offset:404
	buffer_load_dword v230, off, s[0:3], 0 offset:400
	buffer_load_dword v161, off, s[0:3], 0 offset:460
	buffer_load_dword v160, off, s[0:3], 0 offset:456
	buffer_load_dword v165, off, s[0:3], 0 offset:452
	buffer_load_dword v164, off, s[0:3], 0 offset:448
	buffer_load_dword v235, off, s[0:3], 0 offset:444
	buffer_load_dword v234, off, s[0:3], 0 offset:440
	buffer_load_dword v237, off, s[0:3], 0 offset:436
	buffer_load_dword v236, off, s[0:3], 0 offset:432
	buffer_load_dword v213, off, s[0:3], 0 offset:492
	buffer_load_dword v212, off, s[0:3], 0 offset:488
	buffer_load_dword v217, off, s[0:3], 0 offset:484
	buffer_load_dword v216, off, s[0:3], 0 offset:480
	buffer_load_dword v239, off, s[0:3], 0 offset:476
	buffer_load_dword v238, off, s[0:3], 0 offset:472
	buffer_load_dword v241, off, s[0:3], 0 offset:468
	buffer_load_dword v240, off, s[0:3], 0 offset:464
	buffer_load_dword v221, off, s[0:3], 0 offset:524
	buffer_load_dword v220, off, s[0:3], 0 offset:520
	buffer_load_dword v225, off, s[0:3], 0 offset:516
	buffer_load_dword v224, off, s[0:3], 0 offset:512
	buffer_load_dword v243, off, s[0:3], 0 offset:508
	buffer_load_dword v242, off, s[0:3], 0 offset:504
	buffer_load_dword v167, off, s[0:3], 0 offset:500
	buffer_load_dword v166, off, s[0:3], 0 offset:496
	buffer_load_dword v229, off, s[0:3], 0 offset:556
	buffer_load_dword v228, off, s[0:3], 0 offset:552
	buffer_load_dword v233, off, s[0:3], 0 offset:548
	buffer_load_dword v232, off, s[0:3], 0 offset:544
	buffer_load_dword v245, off, s[0:3], 0 offset:540
	buffer_load_dword v244, off, s[0:3], 0 offset:536
	buffer_load_dword v247, off, s[0:3], 0 offset:532
	buffer_load_dword v246, off, s[0:3], 0 offset:528
	v_cmp_lt_u32_e32 vcc, 1, v0
	s_waitcnt vmcnt(62) lgkmcnt(10)
	v_mul_f64 v[26:27], v[94:95], v[88:89]
	v_fmac_f64_e32 v[26:27], v[96:97], v[86:87]
	v_add_f64 v[26:27], v[26:27], 0
	v_mul_f64 v[88:89], v[96:97], v[88:89]
	s_waitcnt lgkmcnt(9)
	v_mul_f64 v[28:29], v[106:107], v[92:93]
	v_fmac_f64_e32 v[28:29], v[108:109], v[90:91]
	s_waitcnt lgkmcnt(8)
	v_mul_f64 v[30:31], v[114:115], v[98:99]
	v_add_f64 v[26:27], v[26:27], v[28:29]
	s_waitcnt lgkmcnt(6)
	v_mul_f64 v[34:35], v[176:177], v[110:111]
	v_fma_f64 v[182:183], v[94:95], v[86:87], -v[88:89]
	v_fmac_f64_e32 v[34:35], v[178:179], v[112:113]
	v_mul_f64 v[92:93], v[108:109], v[92:93]
	v_mul_f64 v[32:33], v[172:173], v[102:103]
	;; [unrolled: 1-line block ×3, first 2 shown]
	s_waitcnt lgkmcnt(4)
	v_mul_f64 v[38:39], v[18:19], v[192:193]
	v_mul_f64 v[102:103], v[174:175], v[102:103]
	v_fmac_f64_e32 v[38:39], v[20:21], v[194:195]
	v_mul_f64 v[110:111], v[178:179], v[110:111]
	v_mul_f64 v[36:37], v[22:23], v[196:197]
	v_fma_f64 v[176:177], v[176:177], v[112:113], -v[110:111]
	s_waitcnt lgkmcnt(2)
	v_mul_f64 v[42:43], v[10:11], v[198:199]
	v_mul_f64 v[20:21], v[20:21], v[192:193]
	v_fma_f64 v[18:19], v[18:19], v[194:195], -v[20:21]
	v_mul_f64 v[40:41], v[14:15], v[204:205]
	s_waitcnt lgkmcnt(1)
	v_mul_f64 v[44:45], v[2:3], v[202:203]
	v_fmac_f64_e32 v[30:31], v[116:117], v[100:101]
	v_add_f64 v[26:27], v[26:27], v[30:31]
	v_fmac_f64_e32 v[32:33], v[174:175], v[104:105]
	v_add_f64 v[26:27], v[26:27], v[32:33]
	v_fmac_f64_e32 v[36:37], v[24:25], v[208:209]
	v_add_f64 v[26:27], v[26:27], v[34:35]
	v_add_f64 v[26:27], v[26:27], v[36:37]
	v_fmac_f64_e32 v[40:41], v[16:17], v[206:207]
	v_add_f64 v[26:27], v[26:27], v[38:39]
	v_fmac_f64_e32 v[42:43], v[12:13], v[200:201]
	v_add_f64 v[26:27], v[26:27], v[40:41]
	v_add_f64 v[26:27], v[26:27], v[42:43]
	s_waitcnt lgkmcnt(0)
	v_mul_f64 v[32:33], v[6:7], v[120:121]
	v_fmac_f64_e32 v[44:45], v[4:5], v[128:129]
	v_add_f64 v[30:31], v[26:27], v[44:45]
	ds_read_b128 v[26:29], v1 offset:816
	v_fmac_f64_e32 v[32:33], v[8:9], v[122:123]
	v_add_f64 v[34:35], v[30:31], v[32:33]
	ds_read_b128 v[30:33], v1 offset:832
	v_fma_f64 v[184:185], v[114:115], v[100:101], -v[98:99]
	s_waitcnt lgkmcnt(1)
	v_mul_f64 v[36:37], v[26:27], v[130:131]
	v_fmac_f64_e32 v[36:37], v[28:29], v[146:147]
	v_add_f64 v[38:39], v[34:35], v[36:37]
	ds_read_b128 v[34:37], v1 offset:848
	s_waitcnt lgkmcnt(1)
	v_mul_f64 v[40:41], v[30:31], v[124:125]
	v_fmac_f64_e32 v[40:41], v[32:33], v[126:127]
	v_add_f64 v[42:43], v[38:39], v[40:41]
	ds_read_b128 v[38:41], v1 offset:864
	;; [unrolled: 5-line block ×4, first 2 shown]
	s_waitcnt vmcnt(58) lgkmcnt(1)
	v_mul_f64 v[52:53], v[42:43], v[158:159]
	s_waitcnt vmcnt(56)
	v_fmac_f64_e32 v[52:53], v[44:45], v[162:163]
	v_add_f64 v[54:55], v[50:51], v[52:53]
	ds_read_b128 v[50:53], v1 offset:912
	buffer_load_dword v248, off, s[0:3], 0 offset:584
	buffer_load_dword v253, off, s[0:3], 0 offset:572
	;; [unrolled: 1-line block ×8, first 2 shown]
	s_waitcnt lgkmcnt(1)
	v_mul_f64 v[56:57], v[46:47], v[136:137]
	v_fmac_f64_e32 v[56:57], v[48:49], v[138:139]
	v_add_f64 v[58:59], v[54:55], v[56:57]
	ds_read_b128 v[54:57], v1 offset:928
	buffer_load_dword v169, off, s[0:3], 0 offset:604
	buffer_load_dword v168, off, s[0:3], 0 offset:600
	;; [unrolled: 1-line block ×4, first 2 shown]
	s_waitcnt vmcnt(62) lgkmcnt(1)
	v_mul_f64 v[60:61], v[50:51], v[210:211]
	s_waitcnt vmcnt(60)
	v_fmac_f64_e32 v[60:61], v[52:53], v[214:215]
	v_add_f64 v[62:63], v[58:59], v[60:61]
	ds_read_b128 v[58:61], v1 offset:944
	s_waitcnt lgkmcnt(1)
	v_mul_f64 v[64:65], v[54:55], v[140:141]
	v_fmac_f64_e32 v[64:65], v[56:57], v[142:143]
	v_add_f64 v[66:67], v[62:63], v[64:65]
	ds_read_b128 v[62:65], v1 offset:960
	s_waitcnt vmcnt(54) lgkmcnt(1)
	v_mul_f64 v[68:69], v[58:59], v[218:219]
	s_waitcnt vmcnt(52)
	v_fmac_f64_e32 v[68:69], v[60:61], v[222:223]
	v_add_f64 v[70:71], v[66:67], v[68:69]
	ds_read_b128 v[66:69], v1 offset:976
	s_waitcnt lgkmcnt(1)
	v_mul_f64 v[72:73], v[62:63], v[144:145]
	v_fmac_f64_e32 v[72:73], v[64:65], v[148:149]
	v_add_f64 v[74:75], v[70:71], v[72:73]
	ds_read_b128 v[70:73], v1 offset:992
	s_waitcnt vmcnt(46) lgkmcnt(1)
	v_mul_f64 v[76:77], v[66:67], v[226:227]
	s_waitcnt vmcnt(44)
	v_fmac_f64_e32 v[76:77], v[68:69], v[230:231]
	v_add_f64 v[82:83], v[74:75], v[76:77]
	ds_read_b128 v[74:77], v1 offset:1008
	ds_read_b128 v[78:81], v1 offset:1024
	s_waitcnt lgkmcnt(2)
	v_mul_f64 v[84:85], v[70:71], v[152:153]
	v_fmac_f64_e32 v[84:85], v[72:73], v[156:157]
	v_add_f64 v[82:83], v[82:83], v[84:85]
	s_waitcnt vmcnt(38) lgkmcnt(1)
	v_mul_f64 v[84:85], v[74:75], v[234:235]
	s_waitcnt vmcnt(36)
	v_fmac_f64_e32 v[84:85], v[76:77], v[236:237]
	v_add_f64 v[82:83], v[82:83], v[84:85]
	s_waitcnt lgkmcnt(0)
	v_mul_f64 v[84:85], v[78:79], v[160:161]
	v_fmac_f64_e32 v[84:85], v[80:81], v[164:165]
	v_add_f64 v[180:181], v[82:83], v[84:85]
	ds_read_b128 v[82:85], v1 offset:1040
	ds_read_b128 v[86:89], v1 offset:1056
	;; [unrolled: 1-line block ×3, first 2 shown]
	v_fma_f64 v[174:175], v[172:173], v[104:105], -v[102:103]
	ds_read_b128 v[102:105], v1 offset:1136
	ds_read_b128 v[110:113], v1 offset:1152
	s_waitcnt vmcnt(30) lgkmcnt(4)
	v_mul_f64 v[94:95], v[82:83], v[238:239]
	s_waitcnt vmcnt(28)
	v_fmac_f64_e32 v[94:95], v[84:85], v[240:241]
	v_add_f64 v[94:95], v[180:181], v[94:95]
	v_fma_f64 v[180:181], v[106:107], v[90:91], -v[92:93]
	ds_read_b128 v[90:93], v1 offset:1072
	s_waitcnt lgkmcnt(4)
	v_mul_f64 v[96:97], v[86:87], v[212:213]
	v_fmac_f64_e32 v[96:97], v[88:89], v[216:217]
	v_add_f64 v[106:107], v[94:95], v[96:97]
	ds_read_b128 v[94:97], v1 offset:1088
	s_waitcnt vmcnt(22) lgkmcnt(1)
	v_mul_f64 v[108:109], v[90:91], v[242:243]
	s_waitcnt vmcnt(20)
	v_fmac_f64_e32 v[108:109], v[92:93], v[166:167]
	v_add_f64 v[106:107], v[106:107], v[108:109]
	v_mul_f64 v[24:25], v[24:25], v[196:197]
	s_waitcnt lgkmcnt(0)
	v_mul_f64 v[108:109], v[94:95], v[220:221]
	v_fmac_f64_e32 v[108:109], v[96:97], v[224:225]
	v_add_f64 v[114:115], v[106:107], v[108:109]
	ds_read_b128 v[106:109], v1 offset:1120
	s_waitcnt vmcnt(14)
	v_mul_f64 v[116:117], v[98:99], v[244:245]
	s_waitcnt vmcnt(12)
	v_fmac_f64_e32 v[116:117], v[100:101], v[246:247]
	v_add_f64 v[114:115], v[114:115], v[116:117]
	v_fma_f64 v[22:23], v[22:23], v[208:209], -v[24:25]
	s_waitcnt lgkmcnt(0)
	v_mul_f64 v[116:117], v[106:107], v[228:229]
	v_fmac_f64_e32 v[116:117], v[108:109], v[232:233]
	v_add_f64 v[114:115], v[114:115], v[116:117]
	v_mul_f64 v[16:17], v[16:17], v[204:205]
	v_fma_f64 v[14:15], v[14:15], v[206:207], -v[16:17]
	v_mul_f64 v[12:13], v[12:13], v[198:199]
	v_fma_f64 v[10:11], v[10:11], v[200:201], -v[12:13]
	v_mul_f64 v[4:5], v[4:5], v[202:203]
	v_fma_f64 v[2:3], v[2:3], v[128:129], -v[4:5]
	v_mul_f64 v[4:5], v[8:9], v[120:121]
	v_fma_f64 v[4:5], v[6:7], v[122:123], -v[4:5]
	s_waitcnt vmcnt(9)
	v_mul_f64 v[116:117], v[102:103], v[252:253]
	s_waitcnt vmcnt(7)
	v_fmac_f64_e32 v[116:117], v[104:105], v[254:255]
	v_add_f64 v[114:115], v[114:115], v[116:117]
	s_waitcnt vmcnt(5)
	v_mul_f64 v[116:117], v[110:111], v[248:249]
	s_waitcnt vmcnt(4)
	v_fmac_f64_e32 v[116:117], v[112:113], v[250:251]
	v_add_f64 v[172:173], v[114:115], v[116:117]
	ds_read_b128 v[114:117], v1 offset:1168
	s_waitcnt vmcnt(2) lgkmcnt(0)
	v_mul_f64 v[178:179], v[114:115], v[168:169]
	s_waitcnt vmcnt(0)
	v_fmac_f64_e32 v[178:179], v[116:117], v[170:171]
	v_add_f64 v[172:173], v[172:173], v[178:179]
	v_add_f64 v[178:179], v[182:183], 0
	;; [unrolled: 1-line block ×3, first 2 shown]
	buffer_load_dword v182, off, s[0:3], 0 offset:48
	buffer_load_dword v183, off, s[0:3], 0 offset:52
	;; [unrolled: 1-line block ×4, first 2 shown]
	v_add_f64 v[178:179], v[178:179], v[184:185]
	v_add_f64 v[174:175], v[178:179], v[174:175]
	;; [unrolled: 1-line block ×9, first 2 shown]
	v_mul_f64 v[4:5], v[28:29], v[130:131]
	v_fma_f64 v[4:5], v[26:27], v[146:147], -v[4:5]
	v_add_f64 v[2:3], v[2:3], v[4:5]
	v_mul_f64 v[4:5], v[32:33], v[124:125]
	v_fma_f64 v[4:5], v[30:31], v[126:127], -v[4:5]
	v_add_f64 v[2:3], v[2:3], v[4:5]
	;; [unrolled: 3-line block ×23, first 2 shown]
	s_waitcnt vmcnt(2)
	v_add_f64 v[2:3], v[182:183], -v[2:3]
	s_waitcnt vmcnt(0)
	v_add_f64 v[4:5], v[180:181], -v[172:173]
	buffer_store_dword v3, off, s[0:3], 0 offset:52
	buffer_store_dword v2, off, s[0:3], 0 offset:48
	;; [unrolled: 1-line block ×4, first 2 shown]
	s_and_saveexec_b64 s[4:5], vcc
	s_cbranch_execz .LBB100_233
; %bb.232:
	v_accvgpr_read_b32 v1, a105
	buffer_load_dword v2, v1, s[0:3], 0 offen
	buffer_load_dword v3, v1, s[0:3], 0 offen offset:4
	buffer_load_dword v4, v1, s[0:3], 0 offen offset:8
	;; [unrolled: 1-line block ×3, first 2 shown]
	v_mov_b32_e32 v1, 0
	v_accvgpr_read_b32 v6, a108
	buffer_store_dword v1, off, s[0:3], 0 offset:32
	buffer_store_dword v1, off, s[0:3], 0 offset:36
	;; [unrolled: 1-line block ×4, first 2 shown]
	s_waitcnt vmcnt(4)
	ds_write_b128 v6, v[2:5]
.LBB100_233:
	s_or_b64 exec, exec, s[4:5]
	s_waitcnt lgkmcnt(0)
	; wave barrier
	s_waitcnt lgkmcnt(0)
	buffer_load_dword v82, off, s[0:3], 0 offset:48
	buffer_load_dword v83, off, s[0:3], 0 offset:52
	;; [unrolled: 1-line block ×54, first 2 shown]
	v_mov_b32_e32 v182, 0
	ds_read_b128 v[90:93], v182 offset:624
	ds_read_b128 v[106:109], v182 offset:640
	;; [unrolled: 1-line block ×9, first 2 shown]
	buffer_load_dword v121, off, s[0:3], 0 offset:276
	buffer_load_dword v120, off, s[0:3], 0 offset:272
	;; [unrolled: 1-line block ×62, first 2 shown]
	v_cmp_ne_u32_e32 vcc, 0, v0
	s_waitcnt vmcnt(62) lgkmcnt(8)
	v_mul_f64 v[14:15], v[90:91], v[84:85]
	v_fmac_f64_e32 v[14:15], v[92:93], v[82:83]
	v_add_f64 v[14:15], v[14:15], 0
	v_mul_f64 v[84:85], v[92:93], v[84:85]
	s_waitcnt lgkmcnt(7)
	v_mul_f64 v[16:17], v[106:107], v[88:89]
	v_fmac_f64_e32 v[16:17], v[108:109], v[86:87]
	s_waitcnt lgkmcnt(6)
	v_mul_f64 v[18:19], v[114:115], v[94:95]
	v_add_f64 v[14:15], v[14:15], v[16:17]
	s_waitcnt lgkmcnt(4)
	v_mul_f64 v[22:23], v[174:175], v[102:103]
	v_fma_f64 v[184:185], v[90:91], v[82:83], -v[84:85]
	v_fmac_f64_e32 v[22:23], v[176:177], v[104:105]
	v_mul_f64 v[88:89], v[108:109], v[88:89]
	v_mul_f64 v[20:21], v[170:171], v[98:99]
	v_fma_f64 v[186:187], v[106:107], v[86:87], -v[88:89]
	s_waitcnt lgkmcnt(2)
	v_mul_f64 v[26:27], v[10:11], v[192:193]
	v_mul_f64 v[94:95], v[116:117], v[94:95]
	v_fmac_f64_e32 v[26:27], v[12:13], v[194:195]
	v_mul_f64 v[98:99], v[172:173], v[98:99]
	v_mul_f64 v[24:25], v[178:179], v[110:111]
	;; [unrolled: 1-line block ×3, first 2 shown]
	s_waitcnt lgkmcnt(1)
	v_mul_f64 v[28:29], v[6:7], v[196:197]
	v_mul_f64 v[110:111], v[180:181], v[110:111]
	v_fmac_f64_e32 v[18:19], v[116:117], v[96:97]
	v_add_f64 v[14:15], v[14:15], v[18:19]
	v_fmac_f64_e32 v[20:21], v[172:173], v[100:101]
	v_add_f64 v[14:15], v[14:15], v[20:21]
	;; [unrolled: 2-line block ×3, first 2 shown]
	v_add_f64 v[14:15], v[14:15], v[24:25]
	v_fmac_f64_e32 v[28:29], v[8:9], v[200:201]
	v_add_f64 v[14:15], v[14:15], v[26:27]
	v_add_f64 v[18:19], v[14:15], v[28:29]
	ds_read_b128 v[14:17], v182 offset:768
	s_waitcnt lgkmcnt(1)
	v_mul_f64 v[20:21], v[2:3], v[198:199]
	v_fmac_f64_e32 v[20:21], v[4:5], v[202:203]
	v_add_f64 v[22:23], v[18:19], v[20:21]
	ds_read_b128 v[18:21], v182 offset:784
	s_waitcnt lgkmcnt(1)
	v_mul_f64 v[24:25], v[14:15], v[208:209]
	v_fmac_f64_e32 v[24:25], v[16:17], v[210:211]
	;; [unrolled: 5-line block ×5, first 2 shown]
	v_add_f64 v[38:39], v[34:35], v[36:37]
	ds_read_b128 v[34:37], v182 offset:848
	s_waitcnt vmcnt(58) lgkmcnt(1)
	v_mul_f64 v[40:41], v[30:31], v[134:135]
	s_waitcnt vmcnt(56)
	v_fmac_f64_e32 v[40:41], v[32:33], v[138:139]
	v_add_f64 v[42:43], v[38:39], v[40:41]
	ds_read_b128 v[38:41], v182 offset:864
	s_waitcnt lgkmcnt(1)
	v_mul_f64 v[44:45], v[34:35], v[216:217]
	v_fmac_f64_e32 v[44:45], v[36:37], v[120:121]
	v_add_f64 v[46:47], v[42:43], v[44:45]
	ds_read_b128 v[42:45], v182 offset:880
	s_waitcnt vmcnt(50) lgkmcnt(1)
	v_mul_f64 v[48:49], v[38:39], v[222:223]
	s_waitcnt vmcnt(48)
	v_fmac_f64_e32 v[48:49], v[40:41], v[226:227]
	v_add_f64 v[50:51], v[46:47], v[48:49]
	ds_read_b128 v[46:49], v182 offset:896
	buffer_load_dword v151, off, s[0:3], 0 offset:524
	buffer_load_dword v150, off, s[0:3], 0 offset:520
	;; [unrolled: 1-line block ×8, first 2 shown]
	s_waitcnt lgkmcnt(1)
	v_mul_f64 v[52:53], v[42:43], v[122:123]
	v_fmac_f64_e32 v[52:53], v[44:45], v[124:125]
	v_add_f64 v[54:55], v[50:51], v[52:53]
	ds_read_b128 v[50:53], v182 offset:912
	s_waitcnt vmcnt(50) lgkmcnt(1)
	v_mul_f64 v[56:57], v[46:47], v[230:231]
	s_waitcnt vmcnt(48)
	v_fmac_f64_e32 v[56:57], v[48:49], v[234:235]
	buffer_load_dword v155, off, s[0:3], 0 offset:572
	buffer_load_dword v161, off, s[0:3], 0 offset:556
	;; [unrolled: 1-line block ×12, first 2 shown]
	v_add_f64 v[58:59], v[54:55], v[56:57]
	ds_read_b128 v[54:57], v182 offset:928
	s_waitcnt lgkmcnt(1)
	v_mul_f64 v[60:61], v[50:51], v[126:127]
	v_fmac_f64_e32 v[60:61], v[52:53], v[128:129]
	v_add_f64 v[62:63], v[58:59], v[60:61]
	ds_read_b128 v[58:61], v182 offset:944
	s_waitcnt vmcnt(54) lgkmcnt(1)
	v_mul_f64 v[64:65], v[54:55], v[238:239]
	s_waitcnt vmcnt(52)
	v_fmac_f64_e32 v[64:65], v[56:57], v[242:243]
	v_add_f64 v[66:67], v[62:63], v[64:65]
	ds_read_b128 v[62:65], v182 offset:960
	s_waitcnt lgkmcnt(1)
	v_mul_f64 v[68:69], v[58:59], v[130:131]
	v_fmac_f64_e32 v[68:69], v[60:61], v[132:133]
	v_add_f64 v[70:71], v[66:67], v[68:69]
	ds_read_b128 v[66:69], v182 offset:976
	s_waitcnt vmcnt(46) lgkmcnt(1)
	v_mul_f64 v[72:73], v[62:63], v[246:247]
	s_waitcnt vmcnt(44)
	v_fmac_f64_e32 v[72:73], v[64:65], v[248:249]
	v_add_f64 v[78:79], v[70:71], v[72:73]
	ds_read_b128 v[70:73], v182 offset:992
	ds_read_b128 v[74:77], v182 offset:1008
	s_waitcnt lgkmcnt(2)
	v_mul_f64 v[80:81], v[66:67], v[136:137]
	v_fmac_f64_e32 v[80:81], v[68:69], v[140:141]
	v_add_f64 v[78:79], v[78:79], v[80:81]
	s_waitcnt vmcnt(38) lgkmcnt(1)
	v_mul_f64 v[80:81], v[70:71], v[250:251]
	s_waitcnt vmcnt(36)
	v_fmac_f64_e32 v[80:81], v[72:73], v[142:143]
	v_add_f64 v[78:79], v[78:79], v[80:81]
	s_waitcnt lgkmcnt(0)
	v_mul_f64 v[80:81], v[74:75], v[224:225]
	v_fmac_f64_e32 v[80:81], v[76:77], v[228:229]
	v_add_f64 v[168:169], v[78:79], v[80:81]
	ds_read_b128 v[78:81], v182 offset:1024
	ds_read_b128 v[82:85], v182 offset:1040
	;; [unrolled: 1-line block ×3, first 2 shown]
	v_fma_f64 v[188:189], v[114:115], v[96:97], -v[94:95]
	ds_read_b128 v[94:97], v182 offset:1088
	s_waitcnt vmcnt(30) lgkmcnt(3)
	v_mul_f64 v[90:91], v[78:79], v[144:145]
	s_waitcnt vmcnt(28)
	v_fmac_f64_e32 v[90:91], v[80:81], v[252:253]
	s_waitcnt lgkmcnt(2)
	v_mul_f64 v[92:93], v[82:83], v[232:233]
	v_add_f64 v[90:91], v[168:169], v[90:91]
	v_fmac_f64_e32 v[92:93], v[84:85], v[236:237]
	v_add_f64 v[90:91], v[90:91], v[92:93]
	s_waitcnt vmcnt(22) lgkmcnt(1)
	v_mul_f64 v[92:93], v[86:87], v[146:147]
	s_waitcnt vmcnt(20)
	v_fmac_f64_e32 v[92:93], v[88:89], v[148:149]
	v_add_f64 v[106:107], v[90:91], v[92:93]
	ds_read_b128 v[90:93], v182 offset:1072
	v_fma_f64 v[190:191], v[170:171], v[100:101], -v[98:99]
	ds_read_b128 v[98:101], v182 offset:1104
	buffer_load_dword v168, off, s[0:3], 0 offset:600
	v_fma_f64 v[174:175], v[174:175], v[104:105], -v[102:103]
	s_waitcnt lgkmcnt(1)
	v_mul_f64 v[108:109], v[90:91], v[240:241]
	v_fmac_f64_e32 v[108:109], v[92:93], v[244:245]
	v_add_f64 v[106:107], v[106:107], v[108:109]
	ds_read_b128 v[102:105], v182 offset:1120
	v_fma_f64 v[178:179], v[178:179], v[112:113], -v[110:111]
	ds_read_b128 v[110:113], v182 offset:1152
	v_mul_f64 v[12:13], v[12:13], v[192:193]
	v_fma_f64 v[10:11], v[10:11], v[194:195], -v[12:13]
	v_mul_f64 v[8:9], v[8:9], v[196:197]
	v_fma_f64 v[6:7], v[6:7], v[200:201], -v[8:9]
	v_mul_f64 v[4:5], v[4:5], v[198:199]
	v_fma_f64 v[2:3], v[2:3], v[202:203], -v[4:5]
	v_mul_f64 v[4:5], v[16:17], v[208:209]
	v_fma_f64 v[4:5], v[14:15], v[210:211], -v[4:5]
	s_waitcnt vmcnt(19)
	v_mul_f64 v[108:109], v[94:95], v[150:151]
	s_waitcnt vmcnt(17)
	v_fmac_f64_e32 v[108:109], v[96:97], v[152:153]
	v_add_f64 v[106:107], v[106:107], v[108:109]
	s_waitcnt vmcnt(15) lgkmcnt(2)
	v_mul_f64 v[108:109], v[98:99], v[156:157]
	s_waitcnt vmcnt(13)
	v_fmac_f64_e32 v[108:109], v[100:101], v[158:159]
	v_add_f64 v[114:115], v[106:107], v[108:109]
	ds_read_b128 v[106:109], v182 offset:1136
	buffer_load_dword v172, off, s[0:3], 0 offset:592
	buffer_load_dword v169, off, s[0:3], 0 offset:604
	;; [unrolled: 1-line block ×3, first 2 shown]
	s_waitcnt vmcnt(13) lgkmcnt(2)
	v_mul_f64 v[116:117], v[102:103], v[160:161]
	s_waitcnt vmcnt(11)
	v_fmac_f64_e32 v[116:117], v[104:105], v[254:255]
	v_add_f64 v[114:115], v[114:115], v[116:117]
	s_waitcnt vmcnt(10) lgkmcnt(0)
	v_mul_f64 v[116:117], v[106:107], v[154:155]
	s_waitcnt vmcnt(8)
	v_fmac_f64_e32 v[116:117], v[108:109], v[164:165]
	v_add_f64 v[114:115], v[114:115], v[116:117]
	s_waitcnt vmcnt(6)
	v_mul_f64 v[116:117], v[110:111], v[162:163]
	s_waitcnt vmcnt(4)
	v_fmac_f64_e32 v[116:117], v[112:113], v[166:167]
	v_add_f64 v[170:171], v[114:115], v[116:117]
	ds_read_b128 v[114:117], v182 offset:1168
	s_waitcnt vmcnt(1) lgkmcnt(0)
	v_mul_f64 v[176:177], v[114:115], v[168:169]
	s_waitcnt vmcnt(0)
	v_fmac_f64_e32 v[176:177], v[116:117], v[172:173]
	v_add_f64 v[170:171], v[170:171], v[176:177]
	v_add_f64 v[176:177], v[184:185], 0
	;; [unrolled: 1-line block ×5, first 2 shown]
	buffer_load_dword v176, off, s[0:3], 0 offset:32
	buffer_load_dword v177, off, s[0:3], 0 offset:36
	v_add_f64 v[180:181], v[180:181], v[174:175]
	buffer_load_dword v174, off, s[0:3], 0 offset:40
	buffer_load_dword v175, off, s[0:3], 0 offset:44
	v_add_f64 v[178:179], v[180:181], v[178:179]
	v_add_f64 v[10:11], v[178:179], v[10:11]
	;; [unrolled: 1-line block ×5, first 2 shown]
	v_mul_f64 v[4:5], v[20:21], v[204:205]
	v_fma_f64 v[4:5], v[18:19], v[206:207], -v[4:5]
	v_add_f64 v[2:3], v[2:3], v[4:5]
	v_mul_f64 v[4:5], v[24:25], v[218:219]
	v_fma_f64 v[4:5], v[22:23], v[220:221], -v[4:5]
	v_add_f64 v[2:3], v[2:3], v[4:5]
	;; [unrolled: 3-line block ×25, first 2 shown]
	s_waitcnt vmcnt(2)
	v_add_f64 v[2:3], v[176:177], -v[2:3]
	s_waitcnt vmcnt(0)
	v_add_f64 v[4:5], v[174:175], -v[170:171]
	buffer_store_dword v3, off, s[0:3], 0 offset:36
	buffer_store_dword v2, off, s[0:3], 0 offset:32
	;; [unrolled: 1-line block ×4, first 2 shown]
	s_and_saveexec_b64 s[4:5], vcc
	s_cbranch_execz .LBB100_235
; %bb.234:
	buffer_load_dword v0, off, s[0:3], 0 offset:16
	buffer_load_dword v1, off, s[0:3], 0 offset:20
	;; [unrolled: 1-line block ×4, first 2 shown]
	v_accvgpr_read_b32 v4, a108
	buffer_store_dword v182, off, s[0:3], 0 offset:16
	buffer_store_dword v182, off, s[0:3], 0 offset:20
	;; [unrolled: 1-line block ×4, first 2 shown]
	s_waitcnt vmcnt(4)
	ds_write_b128 v4, v[0:3]
.LBB100_235:
	s_or_b64 exec, exec, s[4:5]
	s_waitcnt lgkmcnt(0)
	; wave barrier
	s_waitcnt lgkmcnt(0)
	buffer_load_dword v76, off, s[0:3], 0 offset:32
	buffer_load_dword v77, off, s[0:3], 0 offset:36
	;; [unrolled: 1-line block ×34, first 2 shown]
	ds_read_b128 v[72:75], v182 offset:608
	ds_read_b128 v[80:83], v182 offset:624
	;; [unrolled: 1-line block ×8, first 2 shown]
	buffer_load_dword v197, off, s[0:3], 0 offset:148
	buffer_load_dword v196, off, s[0:3], 0 offset:144
	ds_read_b128 v[4:7], v182 offset:736
	buffer_load_dword v199, off, s[0:3], 0 offset:204
	buffer_load_dword v198, off, s[0:3], 0 offset:200
	;; [unrolled: 1-line block ×80, first 2 shown]
	s_and_b64 vcc, exec, s[16:17]
	s_waitcnt vmcnt(62) lgkmcnt(8)
	v_mul_f64 v[8:9], v[72:73], v[78:79]
	v_fmac_f64_e32 v[8:9], v[74:75], v[76:77]
	v_add_f64 v[8:9], v[8:9], 0
	v_mul_f64 v[74:75], v[74:75], v[78:79]
	s_waitcnt lgkmcnt(7)
	v_mul_f64 v[10:11], v[80:81], v[100:101]
	v_fmac_f64_e32 v[10:11], v[82:83], v[90:91]
	s_waitcnt lgkmcnt(6)
	v_mul_f64 v[12:13], v[84:85], v[88:89]
	v_add_f64 v[8:9], v[8:9], v[10:11]
	s_waitcnt lgkmcnt(4)
	v_mul_f64 v[16:17], v[96:97], v[102:103]
	v_mul_f64 v[82:83], v[82:83], v[100:101]
	v_fmac_f64_e32 v[16:17], v[98:99], v[112:113]
	v_fma_f64 v[184:185], v[80:81], v[90:91], -v[82:83]
	v_mul_f64 v[14:15], v[92:93], v[114:115]
	v_mul_f64 v[98:99], v[98:99], v[102:103]
	s_waitcnt lgkmcnt(2)
	v_mul_f64 v[20:21], v[108:109], v[166:167]
	v_fma_f64 v[188:189], v[96:97], v[112:113], -v[98:99]
	v_mul_f64 v[18:19], v[104:105], v[170:171]
	s_waitcnt lgkmcnt(1)
	v_mul_f64 v[22:23], v[0:1], v[116:117]
	v_fmac_f64_e32 v[12:13], v[86:87], v[176:177]
	v_add_f64 v[8:9], v[8:9], v[12:13]
	v_fmac_f64_e32 v[14:15], v[94:95], v[174:175]
	v_add_f64 v[8:9], v[8:9], v[14:15]
	;; [unrolled: 2-line block ×4, first 2 shown]
	v_add_f64 v[8:9], v[8:9], v[20:21]
	s_waitcnt lgkmcnt(0)
	v_mul_f64 v[14:15], v[4:5], v[192:193]
	v_fmac_f64_e32 v[14:15], v[6:7], v[194:195]
	v_fmac_f64_e32 v[22:23], v[2:3], v[196:197]
	v_add_f64 v[12:13], v[8:9], v[22:23]
	ds_read_b128 v[8:11], v182 offset:752
	v_add_f64 v[16:17], v[12:13], v[14:15]
	ds_read_b128 v[12:15], v182 offset:768
	v_mul_f64 v[86:87], v[86:87], v[88:89]
	v_fma_f64 v[186:187], v[84:85], v[176:177], -v[86:87]
	s_waitcnt lgkmcnt(1)
	v_mul_f64 v[18:19], v[8:9], v[202:203]
	v_fmac_f64_e32 v[18:19], v[10:11], v[204:205]
	v_add_f64 v[20:21], v[16:17], v[18:19]
	ds_read_b128 v[16:19], v182 offset:784
	s_waitcnt lgkmcnt(1)
	v_mul_f64 v[22:23], v[12:13], v[198:199]
	v_fmac_f64_e32 v[22:23], v[14:15], v[200:201]
	v_add_f64 v[24:25], v[20:21], v[22:23]
	ds_read_b128 v[20:23], v182 offset:800
	;; [unrolled: 5-line block ×4, first 2 shown]
	s_waitcnt vmcnt(58) lgkmcnt(1)
	v_mul_f64 v[34:35], v[24:25], v[230:231]
	s_waitcnt vmcnt(56)
	v_fmac_f64_e32 v[34:35], v[26:27], v[234:235]
	v_add_f64 v[36:37], v[32:33], v[34:35]
	ds_read_b128 v[32:35], v182 offset:848
	s_waitcnt lgkmcnt(1)
	v_mul_f64 v[38:39], v[28:29], v[210:211]
	v_fmac_f64_e32 v[38:39], v[30:31], v[212:213]
	v_add_f64 v[40:41], v[36:37], v[38:39]
	ds_read_b128 v[36:39], v182 offset:864
	s_waitcnt vmcnt(50) lgkmcnt(1)
	v_mul_f64 v[42:43], v[32:33], v[238:239]
	s_waitcnt vmcnt(48)
	v_fmac_f64_e32 v[42:43], v[34:35], v[242:243]
	v_add_f64 v[44:45], v[40:41], v[42:43]
	ds_read_b128 v[40:43], v182 offset:880
	buffer_load_dword v143, off, s[0:3], 0 offset:508
	buffer_load_dword v142, off, s[0:3], 0 offset:504
	;; [unrolled: 1-line block ×4, first 2 shown]
	s_waitcnt lgkmcnt(1)
	v_mul_f64 v[46:47], v[36:37], v[218:219]
	v_fmac_f64_e32 v[46:47], v[38:39], v[220:221]
	v_add_f64 v[48:49], v[44:45], v[46:47]
	ds_read_b128 v[44:47], v182 offset:896
	buffer_load_dword v147, off, s[0:3], 0 offset:524
	buffer_load_dword v146, off, s[0:3], 0 offset:520
	;; [unrolled: 1-line block ×8, first 2 shown]
	s_waitcnt vmcnt(54) lgkmcnt(1)
	v_mul_f64 v[50:51], v[40:41], v[246:247]
	s_waitcnt vmcnt(52)
	v_fmac_f64_e32 v[50:51], v[42:43], v[250:251]
	v_add_f64 v[52:53], v[48:49], v[50:51]
	ds_read_b128 v[48:51], v182 offset:912
	s_waitcnt lgkmcnt(1)
	v_mul_f64 v[54:55], v[44:45], v[222:223]
	v_fmac_f64_e32 v[54:55], v[46:47], v[224:225]
	buffer_load_dword v157, off, s[0:3], 0 offset:556
	buffer_load_dword v156, off, s[0:3], 0 offset:552
	;; [unrolled: 1-line block ×12, first 2 shown]
	v_add_f64 v[56:57], v[52:53], v[54:55]
	ds_read_b128 v[52:55], v182 offset:928
	s_waitcnt vmcnt(58) lgkmcnt(1)
	v_mul_f64 v[58:59], v[48:49], v[254:255]
	s_waitcnt vmcnt(56)
	v_fmac_f64_e32 v[58:59], v[50:51], v[122:123]
	v_add_f64 v[60:61], v[56:57], v[58:59]
	ds_read_b128 v[56:59], v182 offset:944
	s_waitcnt lgkmcnt(1)
	v_mul_f64 v[62:63], v[52:53], v[226:227]
	v_fmac_f64_e32 v[62:63], v[54:55], v[228:229]
	v_add_f64 v[64:65], v[60:61], v[62:63]
	ds_read_b128 v[60:63], v182 offset:960
	s_waitcnt vmcnt(50) lgkmcnt(1)
	v_mul_f64 v[66:67], v[56:57], v[126:127]
	s_waitcnt vmcnt(48)
	v_fmac_f64_e32 v[66:67], v[58:59], v[128:129]
	v_add_f64 v[68:69], v[64:65], v[66:67]
	ds_read_b128 v[64:67], v182 offset:976
	s_waitcnt lgkmcnt(1)
	v_mul_f64 v[70:71], v[60:61], v[232:233]
	v_fmac_f64_e32 v[70:71], v[62:63], v[236:237]
	v_add_f64 v[178:179], v[68:69], v[70:71]
	ds_read_b128 v[68:71], v182 offset:992
	s_waitcnt vmcnt(42) lgkmcnt(1)
	v_mul_f64 v[180:181], v[64:65], v[130:131]
	s_waitcnt vmcnt(40)
	v_fmac_f64_e32 v[180:181], v[66:67], v[132:133]
	v_add_f64 v[178:179], v[178:179], v[180:181]
	v_fma_f64 v[180:181], v[72:73], v[76:77], -v[74:75]
	ds_read_b128 v[72:75], v182 offset:1008
	s_waitcnt lgkmcnt(1)
	v_mul_f64 v[76:77], v[68:69], v[240:241]
	v_fmac_f64_e32 v[76:77], v[70:71], v[244:245]
	v_add_f64 v[178:179], v[178:179], v[76:77]
	ds_read_b128 v[76:79], v182 offset:1024
	ds_read_b128 v[80:83], v182 offset:1040
	s_waitcnt vmcnt(34) lgkmcnt(2)
	v_mul_f64 v[90:91], v[72:73], v[134:135]
	ds_read_b128 v[84:87], v182 offset:1056
	s_waitcnt vmcnt(32)
	v_fmac_f64_e32 v[90:91], v[74:75], v[136:137]
	s_waitcnt lgkmcnt(2)
	v_mul_f64 v[100:101], v[76:77], v[248:249]
	v_add_f64 v[90:91], v[178:179], v[90:91]
	v_fmac_f64_e32 v[100:101], v[78:79], v[252:253]
	v_add_f64 v[88:89], v[90:91], v[100:101]
	s_waitcnt vmcnt(26) lgkmcnt(1)
	v_mul_f64 v[90:91], v[80:81], v[138:139]
	s_waitcnt vmcnt(24)
	v_fmac_f64_e32 v[90:91], v[82:83], v[140:141]
	v_mul_f64 v[94:95], v[94:95], v[114:115]
	v_add_f64 v[88:89], v[88:89], v[90:91]
	v_fma_f64 v[174:175], v[92:93], v[174:175], -v[94:95]
	ds_read_b128 v[92:95], v182 offset:1088
	s_waitcnt lgkmcnt(1)
	v_mul_f64 v[90:91], v[84:85], v[120:121]
	v_fmac_f64_e32 v[90:91], v[86:87], v[124:125]
	v_add_f64 v[100:101], v[88:89], v[90:91]
	ds_read_b128 v[88:91], v182 offset:1072
	ds_read_b128 v[96:99], v182 offset:1104
	v_mul_f64 v[106:107], v[106:107], v[170:171]
	v_mul_f64 v[110:111], v[110:111], v[166:167]
	v_fma_f64 v[176:177], v[104:105], v[172:173], -v[106:107]
	v_fma_f64 v[178:179], v[108:109], v[168:169], -v[110:111]
	ds_read_b128 v[108:111], v182 offset:1152
	v_mul_f64 v[2:3], v[2:3], v[116:117]
	v_fma_f64 v[0:1], v[0:1], v[196:197], -v[2:3]
	v_mul_f64 v[2:3], v[6:7], v[192:193]
	v_fma_f64 v[2:3], v[4:5], v[194:195], -v[2:3]
	ds_read_b128 v[104:107], v182 offset:1136
	s_waitcnt vmcnt(22) lgkmcnt(3)
	v_mul_f64 v[114:115], v[88:89], v[142:143]
	s_waitcnt vmcnt(18)
	v_mul_f64 v[102:103], v[92:93], v[146:147]
	v_fmac_f64_e32 v[114:115], v[90:91], v[144:145]
	v_add_f64 v[100:101], v[100:101], v[114:115]
	s_waitcnt vmcnt(16)
	v_fmac_f64_e32 v[102:103], v[94:95], v[150:151]
	v_add_f64 v[100:101], v[100:101], v[102:103]
	s_waitcnt vmcnt(14) lgkmcnt(2)
	v_mul_f64 v[102:103], v[96:97], v[148:149]
	s_waitcnt vmcnt(12)
	v_fmac_f64_e32 v[102:103], v[98:99], v[152:153]
	v_add_f64 v[112:113], v[100:101], v[102:103]
	ds_read_b128 v[100:103], v182 offset:1120
	buffer_load_dword v169, off, s[0:3], 0 offset:604
	buffer_load_dword v168, off, s[0:3], 0 offset:600
	;; [unrolled: 1-line block ×4, first 2 shown]
	s_waitcnt vmcnt(14) lgkmcnt(0)
	v_mul_f64 v[114:115], v[100:101], v[156:157]
	s_waitcnt vmcnt(12)
	v_fmac_f64_e32 v[114:115], v[102:103], v[158:159]
	v_add_f64 v[112:113], v[112:113], v[114:115]
	s_waitcnt vmcnt(9)
	v_mul_f64 v[114:115], v[104:105], v[162:163]
	s_waitcnt vmcnt(7)
	v_fmac_f64_e32 v[114:115], v[106:107], v[164:165]
	v_add_f64 v[112:113], v[112:113], v[114:115]
	s_waitcnt vmcnt(5)
	v_mul_f64 v[114:115], v[108:109], v[154:155]
	s_waitcnt vmcnt(4)
	v_fmac_f64_e32 v[114:115], v[110:111], v[160:161]
	v_add_f64 v[166:167], v[112:113], v[114:115]
	ds_read_b128 v[112:115], v182 offset:1168
	s_waitcnt vmcnt(2) lgkmcnt(0)
	v_mul_f64 v[172:173], v[112:113], v[168:169]
	s_waitcnt vmcnt(0)
	v_fmac_f64_e32 v[172:173], v[114:115], v[170:171]
	v_add_f64 v[166:167], v[166:167], v[172:173]
	v_add_f64 v[172:173], v[180:181], 0
	;; [unrolled: 1-line block ×5, first 2 shown]
	buffer_load_dword v174, off, s[0:3], 0 offset:16
	buffer_load_dword v175, off, s[0:3], 0 offset:20
	v_add_f64 v[180:181], v[172:173], v[188:189]
	buffer_load_dword v172, off, s[0:3], 0 offset:24
	buffer_load_dword v173, off, s[0:3], 0 offset:28
	v_add_f64 v[176:177], v[180:181], v[176:177]
	v_add_f64 v[176:177], v[176:177], v[178:179]
	;; [unrolled: 1-line block ×4, first 2 shown]
	v_mul_f64 v[2:3], v[10:11], v[202:203]
	v_fma_f64 v[2:3], v[8:9], v[204:205], -v[2:3]
	v_add_f64 v[0:1], v[0:1], v[2:3]
	v_mul_f64 v[2:3], v[14:15], v[198:199]
	v_fma_f64 v[2:3], v[12:13], v[200:201], -v[2:3]
	v_add_f64 v[0:1], v[0:1], v[2:3]
	;; [unrolled: 3-line block ×27, first 2 shown]
	s_waitcnt vmcnt(2)
	v_add_f64 v[0:1], v[174:175], -v[0:1]
	s_waitcnt vmcnt(0)
	v_add_f64 v[2:3], v[172:173], -v[166:167]
	buffer_store_dword v1, off, s[0:3], 0 offset:20
	buffer_store_dword v0, off, s[0:3], 0 offset:16
	;; [unrolled: 1-line block ×4, first 2 shown]
	s_cbranch_vccz .LBB100_309
; %bb.236:
	v_pk_mov_b32 v[0:1], s[10:11], s[10:11] op_sel:[0,1]
	flat_load_dword v0, v[0:1] offset:140
	s_waitcnt vmcnt(0) lgkmcnt(0)
	v_add_u32_e32 v0, -1, v0
	v_cmp_ne_u32_e32 vcc, 35, v0
	s_and_saveexec_b64 s[4:5], vcc
	s_cbranch_execz .LBB100_238
; %bb.237:
	v_mov_b32_e32 v1, 16
	v_accvgpr_read_b32 v9, a73
	v_lshl_add_u32 v0, v0, 4, v1
	buffer_load_dword v1, v9, s[0:3], 0 offen offset:4
	buffer_load_dword v2, v9, s[0:3], 0 offen offset:8
	buffer_load_dword v3, v9, s[0:3], 0 offen offset:12
	buffer_load_dword v4, v0, s[0:3], 0 offen
	buffer_load_dword v5, v0, s[0:3], 0 offen offset:4
	buffer_load_dword v6, v0, s[0:3], 0 offen offset:8
	buffer_load_dword v7, v0, s[0:3], 0 offen offset:12
	buffer_load_dword v8, v9, s[0:3], 0 offen
	s_waitcnt vmcnt(4)
	buffer_store_dword v4, v9, s[0:3], 0 offen
	s_waitcnt vmcnt(4)
	buffer_store_dword v5, v9, s[0:3], 0 offen offset:4
	s_waitcnt vmcnt(4)
	buffer_store_dword v6, v9, s[0:3], 0 offen offset:8
	s_waitcnt vmcnt(4)
	buffer_store_dword v7, v9, s[0:3], 0 offen offset:12
	buffer_store_dword v3, v0, s[0:3], 0 offen offset:12
	buffer_store_dword v2, v0, s[0:3], 0 offen offset:8
	buffer_store_dword v1, v0, s[0:3], 0 offen offset:4
	s_waitcnt vmcnt(7)
	buffer_store_dword v8, v0, s[0:3], 0 offen
.LBB100_238:
	s_or_b64 exec, exec, s[4:5]
	v_pk_mov_b32 v[0:1], s[10:11], s[10:11] op_sel:[0,1]
	flat_load_dword v0, v[0:1] offset:136
	s_waitcnt vmcnt(0) lgkmcnt(0)
	v_add_u32_e32 v0, -1, v0
	v_cmp_ne_u32_e32 vcc, 34, v0
	s_and_saveexec_b64 s[4:5], vcc
	s_cbranch_execz .LBB100_240
; %bb.239:
	v_mov_b32_e32 v1, 16
	v_accvgpr_read_b32 v9, a74
	v_lshl_add_u32 v0, v0, 4, v1
	buffer_load_dword v1, v9, s[0:3], 0 offen offset:4
	buffer_load_dword v2, v9, s[0:3], 0 offen offset:8
	buffer_load_dword v3, v9, s[0:3], 0 offen offset:12
	buffer_load_dword v4, v0, s[0:3], 0 offen
	buffer_load_dword v5, v0, s[0:3], 0 offen offset:4
	buffer_load_dword v6, v0, s[0:3], 0 offen offset:8
	buffer_load_dword v7, v0, s[0:3], 0 offen offset:12
	buffer_load_dword v8, v9, s[0:3], 0 offen
	s_waitcnt vmcnt(4)
	buffer_store_dword v4, v9, s[0:3], 0 offen
	s_waitcnt vmcnt(4)
	buffer_store_dword v5, v9, s[0:3], 0 offen offset:4
	s_waitcnt vmcnt(4)
	buffer_store_dword v6, v9, s[0:3], 0 offen offset:8
	s_waitcnt vmcnt(4)
	buffer_store_dword v7, v9, s[0:3], 0 offen offset:12
	buffer_store_dword v3, v0, s[0:3], 0 offen offset:12
	buffer_store_dword v2, v0, s[0:3], 0 offen offset:8
	buffer_store_dword v1, v0, s[0:3], 0 offen offset:4
	s_waitcnt vmcnt(7)
	buffer_store_dword v8, v0, s[0:3], 0 offen
.LBB100_240:
	s_or_b64 exec, exec, s[4:5]
	;; [unrolled: 34-line block ×35, first 2 shown]
	v_pk_mov_b32 v[0:1], s[10:11], s[10:11] op_sel:[0,1]
	flat_load_dword v0, v[0:1]
	s_waitcnt vmcnt(0) lgkmcnt(0)
	v_add_u32_e32 v0, -1, v0
	v_cmp_ne_u32_e32 vcc, 0, v0
	s_and_saveexec_b64 s[4:5], vcc
	s_cbranch_execz .LBB100_308
; %bb.307:
	v_mov_b32_e32 v1, 16
	v_lshl_add_u32 v0, v0, 4, v1
	buffer_load_dword v1, v0, s[0:3], 0 offen
	buffer_load_dword v2, v0, s[0:3], 0 offen offset:4
	buffer_load_dword v3, v0, s[0:3], 0 offen offset:8
	;; [unrolled: 1-line block ×3, first 2 shown]
	buffer_load_dword v5, off, s[0:3], 0 offset:28
	buffer_load_dword v6, off, s[0:3], 0 offset:24
	;; [unrolled: 1-line block ×4, first 2 shown]
	s_waitcnt vmcnt(7)
	buffer_store_dword v1, off, s[0:3], 0 offset:16
	s_waitcnt vmcnt(7)
	buffer_store_dword v2, off, s[0:3], 0 offset:20
	s_waitcnt vmcnt(7)
	buffer_store_dword v3, off, s[0:3], 0 offset:24
	s_waitcnt vmcnt(7)
	buffer_store_dword v4, off, s[0:3], 0 offset:28
	s_waitcnt vmcnt(7)
	buffer_store_dword v5, v0, s[0:3], 0 offen offset:12
	s_waitcnt vmcnt(7)
	buffer_store_dword v6, v0, s[0:3], 0 offen offset:8
	;; [unrolled: 2-line block ×3, first 2 shown]
	s_waitcnt vmcnt(7)
	buffer_store_dword v8, v0, s[0:3], 0 offen
.LBB100_308:
	s_or_b64 exec, exec, s[4:5]
.LBB100_309:
	buffer_load_dword v0, off, s[0:3], 0 offset:16
	buffer_load_dword v1, off, s[0:3], 0 offset:20
	;; [unrolled: 1-line block ×4, first 2 shown]
	v_accvgpr_read_b32 v19, a105
	buffer_load_dword v4, v19, s[0:3], 0 offen
	buffer_load_dword v5, v19, s[0:3], 0 offen offset:4
	buffer_load_dword v6, v19, s[0:3], 0 offen offset:8
	;; [unrolled: 1-line block ×3, first 2 shown]
	v_accvgpr_read_b32 v21, a107
	buffer_load_dword v9, v21, s[0:3], 0 offen offset:4
	buffer_load_dword v10, v21, s[0:3], 0 offen offset:8
	;; [unrolled: 1-line block ×3, first 2 shown]
	v_accvgpr_read_b32 v20, a106
	buffer_load_dword v12, v20, s[0:3], 0 offen
	buffer_load_dword v13, v20, s[0:3], 0 offen offset:4
	buffer_load_dword v14, v20, s[0:3], 0 offen offset:8
	buffer_load_dword v8, v21, s[0:3], 0 offen
	buffer_load_dword v15, v20, s[0:3], 0 offen offset:12
	v_accvgpr_read_b32 v16, a104
	buffer_load_dword v17, v16, s[0:3], 0 offen offset:4
	buffer_load_dword v18, v16, s[0:3], 0 offen offset:8
                                        ; kill: killed $vgpr21
                                        ; kill: killed $vgpr19
                                        ; kill: killed $vgpr20
	buffer_load_dword v19, v16, s[0:3], 0 offen offset:12
	v_accvgpr_read_b32 v23, a103
	buffer_load_dword v20, v23, s[0:3], 0 offen
	buffer_load_dword v21, v23, s[0:3], 0 offen offset:4
	buffer_load_dword v22, v23, s[0:3], 0 offen offset:8
	s_nop 0
	buffer_load_dword v16, v16, s[0:3], 0 offen
	s_nop 0
	buffer_load_dword v23, v23, s[0:3], 0 offen offset:12
	v_accvgpr_read_b32 v24, a102
	buffer_load_dword v25, v24, s[0:3], 0 offen offset:4
	buffer_load_dword v26, v24, s[0:3], 0 offen offset:8
	buffer_load_dword v27, v24, s[0:3], 0 offen offset:12
	v_accvgpr_read_b32 v31, a101
	buffer_load_dword v28, v31, s[0:3], 0 offen
	buffer_load_dword v29, v31, s[0:3], 0 offen offset:4
	buffer_load_dword v30, v31, s[0:3], 0 offen offset:8
	s_nop 0
	buffer_load_dword v24, v24, s[0:3], 0 offen
	s_nop 0
	buffer_load_dword v31, v31, s[0:3], 0 offen offset:12
	v_accvgpr_read_b32 v32, a100
	buffer_load_dword v33, v32, s[0:3], 0 offen offset:4
	buffer_load_dword v34, v32, s[0:3], 0 offen offset:8
	;; [unrolled: 12-line block ×13, first 2 shown]
	buffer_load_dword v127, v117, s[0:3], 0 offen offset:12
	v_accvgpr_read_b32 v116, a77
	buffer_load_dword v128, v116, s[0:3], 0 offen
	buffer_load_dword v129, v116, s[0:3], 0 offen offset:4
	buffer_load_dword v130, v116, s[0:3], 0 offen offset:8
	buffer_load_dword v124, v117, s[0:3], 0 offen
	buffer_load_dword v131, v116, s[0:3], 0 offen offset:12
	v_accvgpr_read_b32 v117, a76
	buffer_load_dword v133, v117, s[0:3], 0 offen offset:4
	buffer_load_dword v134, v117, s[0:3], 0 offen offset:8
	;; [unrolled: 1-line block ×3, first 2 shown]
	v_accvgpr_read_b32 v116, a75
	buffer_load_dword v136, v116, s[0:3], 0 offen
	buffer_load_dword v137, v116, s[0:3], 0 offen offset:4
	buffer_load_dword v138, v116, s[0:3], 0 offen offset:8
	buffer_load_dword v132, v117, s[0:3], 0 offen
	buffer_load_dword v139, v116, s[0:3], 0 offen offset:12
	v_accvgpr_read_b32 v117, a74
	buffer_load_dword v141, v117, s[0:3], 0 offen offset:4
	buffer_load_dword v142, v117, s[0:3], 0 offen offset:8
	;; [unrolled: 1-line block ×3, first 2 shown]
	v_accvgpr_read_b32 v116, a73
	buffer_load_dword v144, v116, s[0:3], 0 offen
	buffer_load_dword v145, v116, s[0:3], 0 offen offset:4
	buffer_load_dword v146, v116, s[0:3], 0 offen offset:8
	buffer_load_dword v140, v117, s[0:3], 0 offen
	buffer_load_dword v147, v116, s[0:3], 0 offen offset:12
	v_accvgpr_read_b32 v116, a72
	buffer_load_dword v148, v116, s[0:3], 0 offen
	buffer_load_dword v149, v116, s[0:3], 0 offen offset:4
	buffer_load_dword v150, v116, s[0:3], 0 offen offset:8
	buffer_load_dword v151, v116, s[0:3], 0 offen offset:12
	s_waitcnt vmcnt(62)
	global_store_dwordx4 v[118:119], v[0:3], off
	s_nop 0
	v_accvgpr_read_b32 v0, a0
	v_accvgpr_read_b32 v1, a1
	global_store_dwordx4 v[0:1], v[4:7], off
	v_accvgpr_read_b32 v0, a2
	v_accvgpr_read_b32 v1, a3
	global_store_dwordx4 v[0:1], v[8:11], off
	;; [unrolled: 3-line block ×19, first 2 shown]
	v_accvgpr_read_b32 v0, a38
	v_accvgpr_read_b32 v1, a39
	s_waitcnt vmcnt(62)
	global_store_dwordx4 v[0:1], v[80:83], off
	v_accvgpr_read_b32 v0, a40
	v_accvgpr_read_b32 v1, a41
	global_store_dwordx4 v[0:1], v[84:87], off
	v_accvgpr_read_b32 v0, a42
	v_accvgpr_read_b32 v1, a43
	;; [unrolled: 3-line block ×6, first 2 shown]
	s_waitcnt vmcnt(62)
	global_store_dwordx4 v[0:1], v[104:107], off
	v_accvgpr_read_b32 v0, a52
	v_accvgpr_read_b32 v1, a53
	global_store_dwordx4 v[0:1], v[108:111], off
	v_accvgpr_read_b32 v0, a54
	v_accvgpr_read_b32 v1, a55
	s_waitcnt vmcnt(57)
	global_store_dwordx4 v[0:1], v[112:115], off
	v_accvgpr_read_b32 v0, a56
	v_accvgpr_read_b32 v1, a57
	s_waitcnt vmcnt(57)
	global_store_dwordx4 v[0:1], v[120:123], off
	v_accvgpr_read_b32 v0, a58
	v_accvgpr_read_b32 v1, a59
	s_waitcnt vmcnt(51)
	global_store_dwordx4 v[0:1], v[124:127], off
	v_accvgpr_read_b32 v0, a60
	v_accvgpr_read_b32 v1, a61
	s_waitcnt vmcnt(51)
	global_store_dwordx4 v[0:1], v[128:131], off
	v_accvgpr_read_b32 v0, a62
	v_accvgpr_read_b32 v1, a63
	s_waitcnt vmcnt(45)
	global_store_dwordx4 v[0:1], v[132:135], off
	v_accvgpr_read_b32 v0, a64
	v_accvgpr_read_b32 v1, a65
	s_waitcnt vmcnt(45)
	global_store_dwordx4 v[0:1], v[136:139], off
	v_accvgpr_read_b32 v0, a66
	v_accvgpr_read_b32 v1, a67
	s_waitcnt vmcnt(39)
	global_store_dwordx4 v[0:1], v[140:143], off
	v_accvgpr_read_b32 v0, a68
	v_accvgpr_read_b32 v1, a69
	s_waitcnt vmcnt(39)
	global_store_dwordx4 v[0:1], v[144:147], off
	v_accvgpr_read_b32 v0, a70
	v_accvgpr_read_b32 v1, a71
	s_waitcnt vmcnt(36)
	global_store_dwordx4 v[0:1], v[148:151], off
	s_endpgm
	.section	.rodata,"a",@progbits
	.p2align	6, 0x0
	.amdhsa_kernel _ZN9rocsolver6v33100L18getri_kernel_smallILi37E19rocblas_complex_numIdEPKPS3_EEvT1_iilPiilS8_bb
		.amdhsa_group_segment_fixed_size 1192
		.amdhsa_private_segment_fixed_size 624
		.amdhsa_kernarg_size 60
		.amdhsa_user_sgpr_count 8
		.amdhsa_user_sgpr_private_segment_buffer 1
		.amdhsa_user_sgpr_dispatch_ptr 0
		.amdhsa_user_sgpr_queue_ptr 0
		.amdhsa_user_sgpr_kernarg_segment_ptr 1
		.amdhsa_user_sgpr_dispatch_id 0
		.amdhsa_user_sgpr_flat_scratch_init 1
		.amdhsa_user_sgpr_kernarg_preload_length 0
		.amdhsa_user_sgpr_kernarg_preload_offset 0
		.amdhsa_user_sgpr_private_segment_size 0
		.amdhsa_uses_dynamic_stack 0
		.amdhsa_system_sgpr_private_segment_wavefront_offset 1
		.amdhsa_system_sgpr_workgroup_id_x 1
		.amdhsa_system_sgpr_workgroup_id_y 0
		.amdhsa_system_sgpr_workgroup_id_z 0
		.amdhsa_system_sgpr_workgroup_info 0
		.amdhsa_system_vgpr_workitem_id 0
		.amdhsa_next_free_vgpr 365
		.amdhsa_next_free_sgpr 22
		.amdhsa_accum_offset 256
		.amdhsa_reserve_vcc 1
		.amdhsa_reserve_flat_scratch 1
		.amdhsa_float_round_mode_32 0
		.amdhsa_float_round_mode_16_64 0
		.amdhsa_float_denorm_mode_32 3
		.amdhsa_float_denorm_mode_16_64 3
		.amdhsa_dx10_clamp 1
		.amdhsa_ieee_mode 1
		.amdhsa_fp16_overflow 0
		.amdhsa_tg_split 0
		.amdhsa_exception_fp_ieee_invalid_op 0
		.amdhsa_exception_fp_denorm_src 0
		.amdhsa_exception_fp_ieee_div_zero 0
		.amdhsa_exception_fp_ieee_overflow 0
		.amdhsa_exception_fp_ieee_underflow 0
		.amdhsa_exception_fp_ieee_inexact 0
		.amdhsa_exception_int_div_zero 0
	.end_amdhsa_kernel
	.section	.text._ZN9rocsolver6v33100L18getri_kernel_smallILi37E19rocblas_complex_numIdEPKPS3_EEvT1_iilPiilS8_bb,"axG",@progbits,_ZN9rocsolver6v33100L18getri_kernel_smallILi37E19rocblas_complex_numIdEPKPS3_EEvT1_iilPiilS8_bb,comdat
.Lfunc_end100:
	.size	_ZN9rocsolver6v33100L18getri_kernel_smallILi37E19rocblas_complex_numIdEPKPS3_EEvT1_iilPiilS8_bb, .Lfunc_end100-_ZN9rocsolver6v33100L18getri_kernel_smallILi37E19rocblas_complex_numIdEPKPS3_EEvT1_iilPiilS8_bb
                                        ; -- End function
	.section	.AMDGPU.csdata,"",@progbits
; Kernel info:
; codeLenInByte = 93532
; NumSgprs: 28
; NumVgprs: 256
; NumAgprs: 109
; TotalNumVgprs: 365
; ScratchSize: 624
; MemoryBound: 0
; FloatMode: 240
; IeeeMode: 1
; LDSByteSize: 1192 bytes/workgroup (compile time only)
; SGPRBlocks: 3
; VGPRBlocks: 45
; NumSGPRsForWavesPerEU: 28
; NumVGPRsForWavesPerEU: 365
; AccumOffset: 256
; Occupancy: 1
; WaveLimiterHint : 1
; COMPUTE_PGM_RSRC2:SCRATCH_EN: 1
; COMPUTE_PGM_RSRC2:USER_SGPR: 8
; COMPUTE_PGM_RSRC2:TRAP_HANDLER: 0
; COMPUTE_PGM_RSRC2:TGID_X_EN: 1
; COMPUTE_PGM_RSRC2:TGID_Y_EN: 0
; COMPUTE_PGM_RSRC2:TGID_Z_EN: 0
; COMPUTE_PGM_RSRC2:TIDIG_COMP_CNT: 0
; COMPUTE_PGM_RSRC3_GFX90A:ACCUM_OFFSET: 63
; COMPUTE_PGM_RSRC3_GFX90A:TG_SPLIT: 0
	.section	.text._ZN9rocsolver6v33100L18getri_kernel_smallILi38E19rocblas_complex_numIdEPKPS3_EEvT1_iilPiilS8_bb,"axG",@progbits,_ZN9rocsolver6v33100L18getri_kernel_smallILi38E19rocblas_complex_numIdEPKPS3_EEvT1_iilPiilS8_bb,comdat
	.globl	_ZN9rocsolver6v33100L18getri_kernel_smallILi38E19rocblas_complex_numIdEPKPS3_EEvT1_iilPiilS8_bb ; -- Begin function _ZN9rocsolver6v33100L18getri_kernel_smallILi38E19rocblas_complex_numIdEPKPS3_EEvT1_iilPiilS8_bb
	.p2align	8
	.type	_ZN9rocsolver6v33100L18getri_kernel_smallILi38E19rocblas_complex_numIdEPKPS3_EEvT1_iilPiilS8_bb,@function
_ZN9rocsolver6v33100L18getri_kernel_smallILi38E19rocblas_complex_numIdEPKPS3_EEvT1_iilPiilS8_bb: ; @_ZN9rocsolver6v33100L18getri_kernel_smallILi38E19rocblas_complex_numIdEPKPS3_EEvT1_iilPiilS8_bb
; %bb.0:
	s_add_u32 flat_scratch_lo, s6, s9
	s_addc_u32 flat_scratch_hi, s7, 0
	s_add_u32 s0, s0, s9
	s_addc_u32 s1, s1, 0
	v_cmp_gt_u32_e32 vcc, 38, v0
	s_and_saveexec_b64 s[6:7], vcc
	s_cbranch_execz .LBB101_166
; %bb.1:
	s_load_dword s18, s[4:5], 0x38
	s_load_dwordx2 s[6:7], s[4:5], 0x0
	s_load_dwordx4 s[12:15], s[4:5], 0x28
	s_waitcnt lgkmcnt(0)
	s_bitcmp1_b32 s18, 8
	s_cselect_b64 s[16:17], -1, 0
	s_ashr_i32 s9, s8, 31
	s_lshl_b64 s[10:11], s[8:9], 3
	s_add_u32 s6, s6, s10
	s_addc_u32 s7, s7, s11
	s_load_dwordx2 s[6:7], s[6:7], 0x0
	s_bfe_u32 s10, s18, 0x10008
	s_cmp_eq_u32 s10, 0
                                        ; implicit-def: $sgpr10_sgpr11
	s_cbranch_scc1 .LBB101_3
; %bb.2:
	s_load_dword s10, s[4:5], 0x20
	s_load_dwordx2 s[20:21], s[4:5], 0x18
	s_mul_i32 s11, s8, s13
	s_mul_hi_u32 s13, s8, s12
	s_add_i32 s13, s13, s11
	s_mul_i32 s19, s9, s12
	s_add_i32 s13, s13, s19
	s_mul_i32 s12, s8, s12
	s_waitcnt lgkmcnt(0)
	s_ashr_i32 s11, s10, 31
	s_lshl_b64 s[12:13], s[12:13], 2
	s_add_u32 s12, s20, s12
	s_addc_u32 s13, s21, s13
	s_lshl_b64 s[10:11], s[10:11], 2
	s_add_u32 s10, s12, s10
	s_addc_u32 s11, s13, s11
.LBB101_3:
	s_load_dwordx2 s[4:5], s[4:5], 0x8
	v_lshlrev_b32_e32 v1, 4, v0
	s_waitcnt lgkmcnt(0)
	s_ashr_i32 s13, s4, 31
	s_mov_b32 s12, s4
	s_lshl_b64 s[12:13], s[12:13], 4
	s_add_u32 s6, s6, s12
	s_addc_u32 s7, s7, s13
	s_add_i32 s4, s5, s5
	v_add_u32_e32 v2, s4, v0
	v_ashrrev_i32_e32 v3, 31, v2
	v_add_u32_e32 v4, s5, v2
	v_lshlrev_b64 v[2:3], 4, v[2:3]
	v_mov_b32_e32 v5, s7
	v_add_co_u32_e32 v50, vcc, s6, v2
	v_addc_co_u32_e32 v51, vcc, v5, v3, vcc
	global_load_dwordx4 v[42:45], v1, s[6:7]
	v_mov_b32_e32 v2, s7
	v_add_co_u32_e32 v46, vcc, s6, v1
	s_mov_b32 s12, s5
	s_ashr_i32 s13, s5, 31
	v_addc_co_u32_e32 v47, vcc, 0, v2, vcc
	s_lshl_b64 s[12:13], s[12:13], 4
	v_mov_b32_e32 v2, s13
	v_add_co_u32_e32 v48, vcc, s12, v46
	v_accvgpr_write_b32 a2, v46
	v_addc_co_u32_e32 v49, vcc, v47, v2, vcc
	v_accvgpr_write_b32 a4, v48
	v_accvgpr_write_b32 a3, v47
	;; [unrolled: 1-line block ×3, first 2 shown]
	global_load_dwordx4 v[46:49], v[48:49], off
	v_accvgpr_write_b32 a0, v50
	v_accvgpr_write_b32 a1, v51
	global_load_dwordx4 v[50:53], v[50:51], off
	v_ashrrev_i32_e32 v5, 31, v4
	v_lshlrev_b64 v[2:3], 4, v[4:5]
	v_add_u32_e32 v6, s5, v4
	v_mov_b32_e32 v4, s7
	v_add_co_u32_e32 v54, vcc, s6, v2
	v_addc_co_u32_e32 v55, vcc, v4, v3, vcc
	v_accvgpr_write_b32 a6, v54
	v_ashrrev_i32_e32 v7, 31, v6
	v_accvgpr_write_b32 a7, v55
	global_load_dwordx4 v[54:57], v[54:55], off
	v_lshlrev_b64 v[2:3], 4, v[6:7]
	v_add_co_u32_e32 v2, vcc, s6, v2
	v_add_u32_e32 v8, s5, v6
	v_addc_co_u32_e32 v3, vcc, v4, v3, vcc
	v_accvgpr_write_b32 a9, v3
	global_load_dwordx4 v[58:61], v[2:3], off
	v_ashrrev_i32_e32 v9, 31, v8
	v_accvgpr_write_b32 a8, v2
	v_lshlrev_b64 v[2:3], 4, v[8:9]
	v_add_co_u32_e32 v6, vcc, s6, v2
	v_add_u32_e32 v38, s5, v8
	v_addc_co_u32_e32 v7, vcc, v4, v3, vcc
	v_ashrrev_i32_e32 v39, 31, v38
	global_load_dwordx4 v[62:65], v[6:7], off
	v_lshlrev_b64 v[2:3], 4, v[38:39]
	v_add_co_u32_e32 v2, vcc, s6, v2
	v_add_u32_e32 v40, s5, v38
	v_addc_co_u32_e32 v3, vcc, v4, v3, vcc
	global_load_dwordx4 v[66:69], v[2:3], off
	v_accvgpr_write_b32 a13, v3
	v_ashrrev_i32_e32 v41, 31, v40
	v_accvgpr_write_b32 a11, v7
	v_accvgpr_write_b32 a12, v2
	v_lshlrev_b64 v[2:3], 4, v[40:41]
	v_add_u32_e32 v70, s5, v40
	v_accvgpr_write_b32 a10, v6
	v_add_co_u32_e32 v6, vcc, s6, v2
	v_addc_co_u32_e32 v7, vcc, v4, v3, vcc
	v_ashrrev_i32_e32 v71, 31, v70
	v_add_u32_e32 v78, s5, v70
	v_lshlrev_b64 v[2:3], 4, v[70:71]
	global_load_dwordx4 v[70:73], v[6:7], off
	v_add_co_u32_e32 v2, vcc, s6, v2
	v_addc_co_u32_e32 v3, vcc, v4, v3, vcc
	global_load_dwordx4 v[74:77], v[2:3], off
	v_accvgpr_write_b32 a17, v3
	v_ashrrev_i32_e32 v79, 31, v78
	v_accvgpr_write_b32 a15, v7
	v_accvgpr_write_b32 a16, v2
	v_lshlrev_b64 v[2:3], 4, v[78:79]
	v_add_u32_e32 v80, s5, v78
	v_accvgpr_write_b32 a14, v6
	v_add_co_u32_e32 v6, vcc, s6, v2
	v_addc_co_u32_e32 v7, vcc, v4, v3, vcc
	v_ashrrev_i32_e32 v81, 31, v80
	v_add_u32_e32 v86, s5, v80
	v_lshlrev_b64 v[2:3], 4, v[80:81]
	global_load_dwordx4 v[78:81], v[6:7], off
	v_add_co_u32_e32 v2, vcc, s6, v2
	;; [unrolled: 16-line block ×3, first 2 shown]
	v_addc_co_u32_e32 v3, vcc, v4, v3, vcc
	global_load_dwordx4 v[90:93], v[2:3], off
	v_accvgpr_write_b32 a25, v3
	v_ashrrev_i32_e32 v95, 31, v94
	v_accvgpr_write_b32 a23, v7
	v_accvgpr_write_b32 a24, v2
	v_lshlrev_b64 v[2:3], 4, v[94:95]
	v_add_u32_e32 v96, s5, v94
	v_accvgpr_write_b32 a22, v6
	v_add_co_u32_e32 v6, vcc, s6, v2
	v_addc_co_u32_e32 v7, vcc, v4, v3, vcc
	v_ashrrev_i32_e32 v97, 31, v96
	v_add_u32_e32 v102, s5, v96
	v_lshlrev_b64 v[2:3], 4, v[96:97]
	global_load_dwordx4 v[94:97], v[6:7], off
	v_add_u32_e32 v104, s5, v102
	v_add_u32_e32 v36, s5, v104
	v_add_co_u32_e32 v2, vcc, s6, v2
	v_add_u32_e32 v34, s5, v36
	v_addc_co_u32_e32 v3, vcc, v4, v3, vcc
	global_load_dwordx4 v[98:101], v[2:3], off
	v_add_u32_e32 v32, s5, v34
	v_accvgpr_write_b32 a29, v3
	v_ashrrev_i32_e32 v103, 31, v102
	v_add_u32_e32 v30, s5, v32
	v_accvgpr_write_b32 a27, v7
	v_accvgpr_write_b32 a28, v2
	v_lshlrev_b64 v[2:3], 4, v[102:103]
	v_add_u32_e32 v28, s5, v30
	v_accvgpr_write_b32 a26, v6
	v_add_co_u32_e32 v6, vcc, s6, v2
	v_add_u32_e32 v26, s5, v28
	v_addc_co_u32_e32 v7, vcc, v4, v3, vcc
	v_ashrrev_i32_e32 v105, 31, v104
	v_add_u32_e32 v24, s5, v26
	v_lshlrev_b64 v[2:3], 4, v[104:105]
	global_load_dwordx4 v[102:105], v[6:7], off
	v_add_u32_e32 v22, s5, v24
	v_add_u32_e32 v20, s5, v22
	v_add_co_u32_e32 v2, vcc, s6, v2
	v_add_u32_e32 v18, s5, v20
	v_accvgpr_write_b32 a33, v7
	v_addc_co_u32_e32 v3, vcc, v4, v3, vcc
	v_add_u32_e32 v16, s5, v18
	v_accvgpr_write_b32 a32, v6
	global_load_dwordx4 v[6:9], v[2:3], off
	v_add_u32_e32 v14, s5, v16
	v_add_u32_e32 v12, s5, v14
	;; [unrolled: 1-line block ×8, first 2 shown]
	v_accvgpr_write_b32 a35, v3
	v_add_u32_e32 v38, s5, v40
	v_accvgpr_write_b32 a34, v2
	v_add_u32_e32 v2, s5, v38
	v_ashrrev_i32_e32 v3, 31, v2
	v_lshlrev_b64 v[2:3], 4, v[2:3]
	v_add_co_u32_e32 v2, vcc, s6, v2
	v_addc_co_u32_e32 v3, vcc, v4, v3, vcc
	v_ashrrev_i32_e32 v37, 31, v36
	v_accvgpr_write_b32 a31, v3
	v_lshlrev_b64 v[36:37], 4, v[36:37]
	v_accvgpr_write_b32 a30, v2
	global_load_dwordx4 v[2:5], v[2:3], off
	s_waitcnt vmcnt(17)
	buffer_store_dword v45, off, s[0:3], 0 offset:28
	buffer_store_dword v44, off, s[0:3], 0 offset:24
	buffer_store_dword v43, off, s[0:3], 0 offset:20
	buffer_store_dword v42, off, s[0:3], 0 offset:16
	s_waitcnt vmcnt(20)
	buffer_store_dword v49, off, s[0:3], 0 offset:44
	buffer_store_dword v48, off, s[0:3], 0 offset:40
	buffer_store_dword v47, off, s[0:3], 0 offset:36
	buffer_store_dword v46, off, s[0:3], 0 offset:32
	;; [unrolled: 5-line block ×16, first 2 shown]
	s_waitcnt vmcnt(62)
	buffer_store_dword v9, off, s[0:3], 0 offset:284
	v_mov_b32_e32 v9, s7
	v_add_co_u32_e32 v36, vcc, s6, v36
	v_ashrrev_i32_e32 v35, 31, v34
	v_addc_co_u32_e32 v37, vcc, v9, v37, vcc
	v_lshlrev_b64 v[34:35], 4, v[34:35]
	v_add_co_u32_e32 v42, vcc, s6, v34
	v_accvgpr_write_b32 a36, v36
	v_addc_co_u32_e32 v43, vcc, v9, v35, vcc
	v_accvgpr_write_b32 a37, v37
	global_load_dwordx4 v[34:37], v[36:37], off
	v_accvgpr_write_b32 a38, v42
	v_ashrrev_i32_e32 v33, 31, v32
	v_accvgpr_write_b32 a39, v43
	global_load_dwordx4 v[42:45], v[42:43], off
	v_lshlrev_b64 v[32:33], 4, v[32:33]
	v_add_co_u32_e32 v32, vcc, s6, v32
	v_ashrrev_i32_e32 v31, 31, v30
	v_addc_co_u32_e32 v33, vcc, v9, v33, vcc
	v_lshlrev_b64 v[30:31], 4, v[30:31]
	v_add_co_u32_e32 v46, vcc, s6, v30
	v_accvgpr_write_b32 a41, v33
	v_addc_co_u32_e32 v47, vcc, v9, v31, vcc
	v_accvgpr_write_b32 a40, v32
	global_load_dwordx4 v[30:33], v[32:33], off
	v_accvgpr_write_b32 a42, v46
	v_ashrrev_i32_e32 v29, 31, v28
	v_accvgpr_write_b32 a43, v47
	global_load_dwordx4 v[46:49], v[46:47], off
	v_lshlrev_b64 v[28:29], 4, v[28:29]
	;; [unrolled: 14-line block ×9, first 2 shown]
	v_add_co_u32_e32 v40, vcc, s6, v40
	v_addc_co_u32_e32 v41, vcc, v9, v41, vcc
	v_ashrrev_i32_e32 v39, 31, v38
	v_accvgpr_write_b32 a73, v41
	v_lshlrev_b64 v[86:87], 4, v[38:39]
	v_accvgpr_write_b32 a72, v40
	global_load_dwordx4 v[38:41], v[40:41], off
	v_add_co_u32_e32 v86, vcc, s6, v86
	v_addc_co_u32_e32 v87, vcc, v9, v87, vcc
	v_accvgpr_write_b32 a74, v86
	v_accvgpr_write_b32 a75, v87
	global_load_dwordx4 v[86:89], v[86:87], off
	s_nop 0
	buffer_store_dword v8, off, s[0:3], 0 offset:280
	buffer_store_dword v7, off, s[0:3], 0 offset:276
	buffer_store_dword v6, off, s[0:3], 0 offset:272
	s_waitcnt vmcnt(22)
	buffer_store_dword v37, off, s[0:3], 0 offset:300
	buffer_store_dword v36, off, s[0:3], 0 offset:296
	buffer_store_dword v35, off, s[0:3], 0 offset:292
	buffer_store_dword v34, off, s[0:3], 0 offset:288
	s_waitcnt vmcnt(25)
	buffer_store_dword v45, off, s[0:3], 0 offset:316
	;; [unrolled: 5-line block ×15, first 2 shown]
	buffer_store_dword v72, off, s[0:3], 0 offset:520
	buffer_store_dword v71, off, s[0:3], 0 offset:516
	;; [unrolled: 1-line block ×11, first 2 shown]
	s_waitcnt vmcnt(62)
	buffer_store_dword v85, off, s[0:3], 0 offset:572
	buffer_store_dword v84, off, s[0:3], 0 offset:568
	buffer_store_dword v83, off, s[0:3], 0 offset:564
	buffer_store_dword v82, off, s[0:3], 0 offset:560
	buffer_store_dword v41, off, s[0:3], 0 offset:588
	buffer_store_dword v40, off, s[0:3], 0 offset:584
	buffer_store_dword v39, off, s[0:3], 0 offset:580
	buffer_store_dword v38, off, s[0:3], 0 offset:576
	buffer_store_dword v89, off, s[0:3], 0 offset:604
	buffer_store_dword v88, off, s[0:3], 0 offset:600
	buffer_store_dword v87, off, s[0:3], 0 offset:596
	buffer_store_dword v86, off, s[0:3], 0 offset:592
	buffer_store_dword v5, off, s[0:3], 0 offset:620
	buffer_store_dword v4, off, s[0:3], 0 offset:616
	buffer_store_dword v3, off, s[0:3], 0 offset:612
	buffer_store_dword v2, off, s[0:3], 0 offset:608
	v_mov_b32_e32 v2, 16
	v_add_u32_e32 v3, 16, v2
	v_accvgpr_write_b32 a111, v3
	v_add_u32_e32 v3, 32, v2
	v_accvgpr_write_b32 a110, v3
	;; [unrolled: 2-line block ×36, first 2 shown]
	v_add_u32_e32 v121, 0x250, v2
	s_bitcmp0_b32 s18, 0
	s_mov_b64 s[6:7], -1
	s_cbranch_scc1 .LBB101_164
; %bb.4:
	v_cmp_eq_u32_e64 s[4:5], 0, v0
	s_and_saveexec_b64 s[6:7], s[4:5]
	s_cbranch_execz .LBB101_6
; %bb.5:
	v_mov_b32_e32 v2, 0
	ds_write_b32 v2, v2 offset:1216
.LBB101_6:
	s_or_b64 exec, exec, s[6:7]
	v_mov_b32_e32 v2, 16
	v_lshl_add_u32 v12, v0, 4, v2
	s_waitcnt lgkmcnt(0)
	; wave barrier
	s_waitcnt lgkmcnt(0)
	buffer_load_dword v2, v12, s[0:3], 0 offen
	buffer_load_dword v3, v12, s[0:3], 0 offen offset:4
	buffer_load_dword v4, v12, s[0:3], 0 offen offset:8
	;; [unrolled: 1-line block ×3, first 2 shown]
	s_waitcnt vmcnt(2)
	v_cmp_eq_f64_e32 vcc, 0, v[2:3]
	s_waitcnt vmcnt(0)
	v_cmp_eq_f64_e64 s[6:7], 0, v[4:5]
	s_and_b64 s[6:7], vcc, s[6:7]
	s_and_saveexec_b64 s[12:13], s[6:7]
	s_cbranch_execz .LBB101_10
; %bb.7:
	v_mov_b32_e32 v2, 0
	ds_read_b32 v4, v2 offset:1216
	v_add_u32_e32 v3, 1, v0
	s_waitcnt lgkmcnt(0)
	v_readfirstlane_b32 s6, v4
	s_cmp_eq_u32 s6, 0
	s_cselect_b64 s[18:19], -1, 0
	v_cmp_gt_i32_e32 vcc, s6, v3
	s_or_b64 s[18:19], s[18:19], vcc
	s_and_b64 exec, exec, s[18:19]
	s_cbranch_execz .LBB101_10
; %bb.8:
	s_mov_b64 s[18:19], 0
	v_mov_b32_e32 v4, s6
.LBB101_9:                              ; =>This Inner Loop Header: Depth=1
	ds_cmpst_rtn_b32 v4, v2, v4, v3 offset:1216
	s_waitcnt lgkmcnt(0)
	v_cmp_ne_u32_e32 vcc, 0, v4
	v_cmp_le_i32_e64 s[6:7], v4, v3
	s_and_b64 s[6:7], vcc, s[6:7]
	s_and_b64 s[6:7], exec, s[6:7]
	s_or_b64 s[18:19], s[6:7], s[18:19]
	s_andn2_b64 exec, exec, s[18:19]
	s_cbranch_execnz .LBB101_9
.LBB101_10:
	s_or_b64 exec, exec, s[12:13]
	v_mov_b32_e32 v3, 0
	s_waitcnt lgkmcnt(0)
	; wave barrier
	ds_read_b32 v2, v3 offset:1216
	s_and_saveexec_b64 s[6:7], s[4:5]
	s_cbranch_execz .LBB101_12
; %bb.11:
	s_lshl_b64 s[12:13], s[8:9], 2
	s_add_u32 s12, s14, s12
	s_addc_u32 s13, s15, s13
	s_waitcnt lgkmcnt(0)
	global_store_dword v3, v2, s[12:13]
.LBB101_12:
	s_or_b64 exec, exec, s[6:7]
	s_waitcnt lgkmcnt(0)
	v_cmp_ne_u32_e32 vcc, 0, v2
	s_mov_b64 s[6:7], 0
	s_cbranch_vccnz .LBB101_164
; %bb.13:
	buffer_load_dword v7, v12, s[0:3], 0 offen offset:4
	buffer_load_dword v6, v12, s[0:3], 0 offen
	buffer_load_dword v9, v12, s[0:3], 0 offen offset:12
	buffer_load_dword v8, v12, s[0:3], 0 offen offset:8
                                        ; implicit-def: $vgpr10_vgpr11
	s_waitcnt vmcnt(3)
	v_xor_b32_e32 v3, 0x80000000, v7
	s_waitcnt vmcnt(2)
	v_cmp_gt_f64_e32 vcc, 0, v[6:7]
	s_waitcnt vmcnt(1)
	v_xor_b32_e32 v4, 0x80000000, v9
	v_cndmask_b32_e32 v3, v7, v3, vcc
	s_waitcnt vmcnt(0)
	v_cmp_gt_f64_e32 vcc, 0, v[8:9]
	v_mov_b32_e32 v2, v6
	v_cndmask_b32_e32 v5, v9, v4, vcc
	v_mov_b32_e32 v4, v8
	v_cmp_ngt_f64_e32 vcc, v[2:3], v[4:5]
                                        ; implicit-def: $vgpr4_vgpr5
	s_and_saveexec_b64 s[6:7], vcc
	s_xor_b64 s[6:7], exec, s[6:7]
	s_cbranch_execz .LBB101_15
; %bb.14:
	v_div_scale_f64 v[2:3], s[12:13], v[8:9], v[8:9], v[6:7]
	v_rcp_f64_e32 v[4:5], v[2:3]
	v_div_scale_f64 v[10:11], vcc, v[6:7], v[8:9], v[6:7]
	v_fma_f64 v[14:15], -v[2:3], v[4:5], 1.0
	v_fmac_f64_e32 v[4:5], v[4:5], v[14:15]
	v_fma_f64 v[14:15], -v[2:3], v[4:5], 1.0
	v_fmac_f64_e32 v[4:5], v[4:5], v[14:15]
	v_mul_f64 v[14:15], v[10:11], v[4:5]
	v_fma_f64 v[2:3], -v[2:3], v[14:15], v[10:11]
	v_div_fmas_f64 v[2:3], v[2:3], v[4:5], v[14:15]
	v_div_fixup_f64 v[2:3], v[2:3], v[8:9], v[6:7]
	v_fmac_f64_e32 v[8:9], v[6:7], v[2:3]
	v_div_scale_f64 v[4:5], s[12:13], v[8:9], v[8:9], 1.0
	v_rcp_f64_e32 v[6:7], v[4:5]
	v_fma_f64 v[10:11], -v[4:5], v[6:7], 1.0
	v_fmac_f64_e32 v[6:7], v[6:7], v[10:11]
	v_fma_f64 v[10:11], -v[4:5], v[6:7], 1.0
	v_fmac_f64_e32 v[6:7], v[6:7], v[10:11]
	v_div_scale_f64 v[10:11], vcc, 1.0, v[8:9], 1.0
	v_mul_f64 v[14:15], v[10:11], v[6:7]
	v_fma_f64 v[4:5], -v[4:5], v[14:15], v[10:11]
	s_nop 1
	v_div_fmas_f64 v[4:5], v[4:5], v[6:7], v[14:15]
	v_div_fixup_f64 v[4:5], v[4:5], v[8:9], 1.0
	v_mul_f64 v[10:11], v[2:3], v[4:5]
	v_xor_b32_e32 v5, 0x80000000, v5
	v_xor_b32_e32 v3, 0x80000000, v11
	v_mov_b32_e32 v2, v10
                                        ; implicit-def: $vgpr6_vgpr7
                                        ; implicit-def: $vgpr8_vgpr9
.LBB101_15:
	s_andn2_saveexec_b64 s[6:7], s[6:7]
	s_cbranch_execz .LBB101_17
; %bb.16:
	v_div_scale_f64 v[2:3], s[12:13], v[6:7], v[6:7], v[8:9]
	v_rcp_f64_e32 v[4:5], v[2:3]
	v_div_scale_f64 v[10:11], vcc, v[8:9], v[6:7], v[8:9]
	v_fma_f64 v[14:15], -v[2:3], v[4:5], 1.0
	v_fmac_f64_e32 v[4:5], v[4:5], v[14:15]
	v_fma_f64 v[14:15], -v[2:3], v[4:5], 1.0
	v_fmac_f64_e32 v[4:5], v[4:5], v[14:15]
	v_mul_f64 v[14:15], v[10:11], v[4:5]
	v_fma_f64 v[2:3], -v[2:3], v[14:15], v[10:11]
	v_div_fmas_f64 v[2:3], v[2:3], v[4:5], v[14:15]
	v_div_fixup_f64 v[4:5], v[2:3], v[6:7], v[8:9]
	v_fmac_f64_e32 v[6:7], v[8:9], v[4:5]
	v_div_scale_f64 v[2:3], s[12:13], v[6:7], v[6:7], 1.0
	v_rcp_f64_e32 v[8:9], v[2:3]
	v_fma_f64 v[10:11], -v[2:3], v[8:9], 1.0
	v_fmac_f64_e32 v[8:9], v[8:9], v[10:11]
	v_fma_f64 v[10:11], -v[2:3], v[8:9], 1.0
	v_fmac_f64_e32 v[8:9], v[8:9], v[10:11]
	v_div_scale_f64 v[10:11], vcc, 1.0, v[6:7], 1.0
	v_mul_f64 v[14:15], v[10:11], v[8:9]
	v_fma_f64 v[2:3], -v[2:3], v[14:15], v[10:11]
	s_nop 1
	v_div_fmas_f64 v[2:3], v[2:3], v[8:9], v[14:15]
	v_div_fixup_f64 v[10:11], v[2:3], v[6:7], 1.0
	v_xor_b32_e32 v3, 0x80000000, v11
	v_mov_b32_e32 v2, v10
	v_mul_f64 v[4:5], v[4:5], -v[10:11]
.LBB101_17:
	s_or_b64 exec, exec, s[6:7]
	buffer_store_dword v11, v12, s[0:3], 0 offen offset:4
	buffer_store_dword v10, v12, s[0:3], 0 offen
	buffer_store_dword v5, v12, s[0:3], 0 offen offset:12
	buffer_store_dword v4, v12, s[0:3], 0 offen offset:8
	v_accvgpr_read_b32 v6, a111
	buffer_load_dword v11, v6, s[0:3], 0 offen offset:12
	buffer_load_dword v10, v6, s[0:3], 0 offen offset:8
	;; [unrolled: 1-line block ×3, first 2 shown]
	buffer_load_dword v8, v6, s[0:3], 0 offen
	v_xor_b32_e32 v5, 0x80000000, v5
	v_add_u32_e32 v6, 0x260, v1
	ds_write_b128 v1, v[2:5]
	s_waitcnt vmcnt(0)
	ds_write_b128 v1, v[8:11] offset:608
	s_waitcnt lgkmcnt(0)
	; wave barrier
	s_waitcnt lgkmcnt(0)
	s_and_saveexec_b64 s[6:7], s[4:5]
	s_cbranch_execz .LBB101_19
; %bb.18:
	buffer_load_dword v14, v12, s[0:3], 0 offen offset:8
	buffer_load_dword v15, v12, s[0:3], 0 offen offset:12
	buffer_load_dword v16, v12, s[0:3], 0 offen
	buffer_load_dword v17, v12, s[0:3], 0 offen offset:4
	ds_read_b128 v[2:5], v6
	v_mov_b32_e32 v7, 0
	ds_read_b128 v[8:11], v7 offset:16
	s_waitcnt vmcnt(2) lgkmcnt(1)
	v_mul_f64 v[18:19], v[4:5], v[14:15]
	v_mul_f64 v[14:15], v[2:3], v[14:15]
	s_waitcnt vmcnt(0)
	v_fmac_f64_e32 v[14:15], v[4:5], v[16:17]
	v_fma_f64 v[2:3], v[2:3], v[16:17], -v[18:19]
	v_add_f64 v[4:5], v[14:15], 0
	v_add_f64 v[2:3], v[2:3], 0
	s_waitcnt lgkmcnt(0)
	v_mul_f64 v[14:15], v[4:5], v[10:11]
	v_mul_f64 v[10:11], v[2:3], v[10:11]
	v_fma_f64 v[2:3], v[2:3], v[8:9], -v[14:15]
	v_fmac_f64_e32 v[10:11], v[4:5], v[8:9]
	buffer_store_dword v2, off, s[0:3], 0 offset:32
	buffer_store_dword v3, off, s[0:3], 0 offset:36
	;; [unrolled: 1-line block ×4, first 2 shown]
.LBB101_19:
	s_or_b64 exec, exec, s[6:7]
	v_accvgpr_read_b32 v5, a110
	s_waitcnt lgkmcnt(0)
	; wave barrier
	buffer_load_dword v2, v5, s[0:3], 0 offen
	buffer_load_dword v3, v5, s[0:3], 0 offen offset:4
	buffer_load_dword v4, v5, s[0:3], 0 offen offset:8
	s_nop 0
	buffer_load_dword v5, v5, s[0:3], 0 offen offset:12
	v_cmp_gt_u32_e32 vcc, 2, v0
	s_waitcnt vmcnt(0)
	ds_write_b128 v6, v[2:5]
	s_waitcnt lgkmcnt(0)
	; wave barrier
	s_waitcnt lgkmcnt(0)
	s_and_saveexec_b64 s[6:7], vcc
	s_cbranch_execz .LBB101_23
; %bb.20:
	buffer_load_dword v8, v12, s[0:3], 0 offen offset:8
	buffer_load_dword v9, v12, s[0:3], 0 offen offset:12
	buffer_load_dword v10, v12, s[0:3], 0 offen
	buffer_load_dword v11, v12, s[0:3], 0 offen offset:4
	ds_read_b128 v[2:5], v6
	s_waitcnt vmcnt(2) lgkmcnt(0)
	v_mul_f64 v[12:13], v[4:5], v[8:9]
	v_mul_f64 v[8:9], v[2:3], v[8:9]
	s_waitcnt vmcnt(0)
	v_fma_f64 v[2:3], v[2:3], v[10:11], -v[12:13]
	v_fmac_f64_e32 v[8:9], v[4:5], v[10:11]
	v_add_f64 v[4:5], v[2:3], 0
	v_add_f64 v[2:3], v[8:9], 0
	s_and_saveexec_b64 s[12:13], s[4:5]
	s_cbranch_execz .LBB101_22
; %bb.21:
	buffer_load_dword v12, off, s[0:3], 0 offset:40
	buffer_load_dword v13, off, s[0:3], 0 offset:44
	;; [unrolled: 1-line block ×4, first 2 shown]
	v_mov_b32_e32 v7, 0
	ds_read_b128 v[8:11], v7 offset:624
	s_waitcnt vmcnt(2) lgkmcnt(0)
	v_mul_f64 v[16:17], v[8:9], v[12:13]
	v_mul_f64 v[12:13], v[10:11], v[12:13]
	s_waitcnt vmcnt(0)
	v_fmac_f64_e32 v[16:17], v[10:11], v[14:15]
	v_fma_f64 v[8:9], v[8:9], v[14:15], -v[12:13]
	v_add_f64 v[2:3], v[2:3], v[16:17]
	v_add_f64 v[4:5], v[4:5], v[8:9]
.LBB101_22:
	s_or_b64 exec, exec, s[12:13]
	v_mov_b32_e32 v7, 0
	ds_read_b128 v[8:11], v7 offset:32
	s_waitcnt lgkmcnt(0)
	v_mul_f64 v[12:13], v[2:3], v[10:11]
	v_mul_f64 v[10:11], v[4:5], v[10:11]
	v_fma_f64 v[4:5], v[4:5], v[8:9], -v[12:13]
	v_fmac_f64_e32 v[10:11], v[2:3], v[8:9]
	buffer_store_dword v5, off, s[0:3], 0 offset:52
	buffer_store_dword v4, off, s[0:3], 0 offset:48
	;; [unrolled: 1-line block ×4, first 2 shown]
.LBB101_23:
	s_or_b64 exec, exec, s[6:7]
	v_accvgpr_read_b32 v5, a109
	s_waitcnt lgkmcnt(0)
	; wave barrier
	buffer_load_dword v2, v5, s[0:3], 0 offen
	buffer_load_dword v3, v5, s[0:3], 0 offen offset:4
	buffer_load_dword v4, v5, s[0:3], 0 offen offset:8
	s_nop 0
	buffer_load_dword v5, v5, s[0:3], 0 offen offset:12
	v_cmp_gt_u32_e32 vcc, 3, v0
	v_add_u32_e32 v7, -1, v0
	s_waitcnt vmcnt(0)
	ds_write_b128 v6, v[2:5]
	s_waitcnt lgkmcnt(0)
	; wave barrier
	s_waitcnt lgkmcnt(0)
	s_and_saveexec_b64 s[4:5], vcc
	s_cbranch_execz .LBB101_27
; %bb.24:
	v_pk_mov_b32 v[2:3], 0, 0
	v_add_u32_e32 v8, -1, v0
	v_add_u32_e32 v9, 0x260, v1
	v_add_u32_e32 v10, 16, v1
	s_mov_b64 s[6:7], 0
	v_pk_mov_b32 v[4:5], v[2:3], v[2:3] op_sel:[0,1]
.LBB101_25:                             ; =>This Inner Loop Header: Depth=1
	buffer_load_dword v16, v10, s[0:3], 0 offen offset:8
	buffer_load_dword v17, v10, s[0:3], 0 offen offset:12
	buffer_load_dword v18, v10, s[0:3], 0 offen
	buffer_load_dword v19, v10, s[0:3], 0 offen offset:4
	ds_read_b128 v[12:15], v9
	v_add_u32_e32 v8, 1, v8
	v_cmp_lt_u32_e32 vcc, 1, v8
	v_add_u32_e32 v9, 16, v9
	v_add_u32_e32 v10, 16, v10
	s_or_b64 s[6:7], vcc, s[6:7]
	s_waitcnt vmcnt(2) lgkmcnt(0)
	v_mul_f64 v[20:21], v[14:15], v[16:17]
	v_mul_f64 v[16:17], v[12:13], v[16:17]
	s_waitcnt vmcnt(0)
	v_fma_f64 v[12:13], v[12:13], v[18:19], -v[20:21]
	v_fmac_f64_e32 v[16:17], v[14:15], v[18:19]
	v_add_f64 v[4:5], v[4:5], v[12:13]
	v_add_f64 v[2:3], v[2:3], v[16:17]
	s_andn2_b64 exec, exec, s[6:7]
	s_cbranch_execnz .LBB101_25
; %bb.26:
	s_or_b64 exec, exec, s[6:7]
	v_mov_b32_e32 v8, 0
	ds_read_b128 v[8:11], v8 offset:48
	s_waitcnt lgkmcnt(0)
	v_mul_f64 v[12:13], v[2:3], v[10:11]
	v_mul_f64 v[10:11], v[4:5], v[10:11]
	v_fma_f64 v[4:5], v[4:5], v[8:9], -v[12:13]
	v_fmac_f64_e32 v[10:11], v[2:3], v[8:9]
	buffer_store_dword v5, off, s[0:3], 0 offset:68
	buffer_store_dword v4, off, s[0:3], 0 offset:64
	buffer_store_dword v11, off, s[0:3], 0 offset:76
	buffer_store_dword v10, off, s[0:3], 0 offset:72
.LBB101_27:
	s_or_b64 exec, exec, s[4:5]
	v_accvgpr_read_b32 v5, a108
	s_waitcnt lgkmcnt(0)
	; wave barrier
	buffer_load_dword v2, v5, s[0:3], 0 offen
	buffer_load_dword v3, v5, s[0:3], 0 offen offset:4
	buffer_load_dword v4, v5, s[0:3], 0 offen offset:8
	s_nop 0
	buffer_load_dword v5, v5, s[0:3], 0 offen offset:12
	v_cmp_gt_u32_e32 vcc, 4, v0
	s_waitcnt vmcnt(0)
	ds_write_b128 v6, v[2:5]
	s_waitcnt lgkmcnt(0)
	; wave barrier
	s_waitcnt lgkmcnt(0)
	s_and_saveexec_b64 s[4:5], vcc
	s_cbranch_execz .LBB101_31
; %bb.28:
	v_pk_mov_b32 v[2:3], 0, 0
	v_add_u32_e32 v8, -1, v0
	v_add_u32_e32 v9, 0x260, v1
	v_add_u32_e32 v10, 16, v1
	s_mov_b64 s[6:7], 0
	v_pk_mov_b32 v[4:5], v[2:3], v[2:3] op_sel:[0,1]
.LBB101_29:                             ; =>This Inner Loop Header: Depth=1
	buffer_load_dword v16, v10, s[0:3], 0 offen offset:8
	buffer_load_dword v17, v10, s[0:3], 0 offen offset:12
	buffer_load_dword v18, v10, s[0:3], 0 offen
	buffer_load_dword v19, v10, s[0:3], 0 offen offset:4
	ds_read_b128 v[12:15], v9
	v_add_u32_e32 v8, 1, v8
	v_cmp_lt_u32_e32 vcc, 2, v8
	v_add_u32_e32 v9, 16, v9
	v_add_u32_e32 v10, 16, v10
	s_or_b64 s[6:7], vcc, s[6:7]
	s_waitcnt vmcnt(2) lgkmcnt(0)
	v_mul_f64 v[20:21], v[14:15], v[16:17]
	v_mul_f64 v[16:17], v[12:13], v[16:17]
	s_waitcnt vmcnt(0)
	v_fma_f64 v[12:13], v[12:13], v[18:19], -v[20:21]
	v_fmac_f64_e32 v[16:17], v[14:15], v[18:19]
	v_add_f64 v[4:5], v[4:5], v[12:13]
	v_add_f64 v[2:3], v[2:3], v[16:17]
	s_andn2_b64 exec, exec, s[6:7]
	s_cbranch_execnz .LBB101_29
; %bb.30:
	s_or_b64 exec, exec, s[6:7]
	v_mov_b32_e32 v8, 0
	ds_read_b128 v[8:11], v8 offset:64
	s_waitcnt lgkmcnt(0)
	v_mul_f64 v[12:13], v[2:3], v[10:11]
	v_mul_f64 v[10:11], v[4:5], v[10:11]
	v_fma_f64 v[4:5], v[4:5], v[8:9], -v[12:13]
	v_fmac_f64_e32 v[10:11], v[2:3], v[8:9]
	buffer_store_dword v5, off, s[0:3], 0 offset:84
	buffer_store_dword v4, off, s[0:3], 0 offset:80
	buffer_store_dword v11, off, s[0:3], 0 offset:92
	buffer_store_dword v10, off, s[0:3], 0 offset:88
.LBB101_31:
	s_or_b64 exec, exec, s[4:5]
	v_accvgpr_read_b32 v5, a107
	s_waitcnt lgkmcnt(0)
	; wave barrier
	buffer_load_dword v2, v5, s[0:3], 0 offen
	buffer_load_dword v3, v5, s[0:3], 0 offen offset:4
	buffer_load_dword v4, v5, s[0:3], 0 offen offset:8
	s_nop 0
	buffer_load_dword v5, v5, s[0:3], 0 offen offset:12
	v_cmp_gt_u32_e32 vcc, 5, v0
	;; [unrolled: 59-line block ×19, first 2 shown]
	s_waitcnt vmcnt(0)
	ds_write_b128 v6, v[2:5]
	s_waitcnt lgkmcnt(0)
	; wave barrier
	s_waitcnt lgkmcnt(0)
	s_and_saveexec_b64 s[4:5], vcc
	s_cbranch_execz .LBB101_103
; %bb.100:
	v_pk_mov_b32 v[2:3], 0, 0
	v_add_u32_e32 v8, -1, v0
	v_add_u32_e32 v9, 0x260, v1
	v_add_u32_e32 v10, 16, v1
	s_mov_b64 s[6:7], 0
	v_pk_mov_b32 v[4:5], v[2:3], v[2:3] op_sel:[0,1]
.LBB101_101:                            ; =>This Inner Loop Header: Depth=1
	buffer_load_dword v16, v10, s[0:3], 0 offen offset:8
	buffer_load_dword v17, v10, s[0:3], 0 offen offset:12
	buffer_load_dword v18, v10, s[0:3], 0 offen
	buffer_load_dword v19, v10, s[0:3], 0 offen offset:4
	ds_read_b128 v[12:15], v9
	v_add_u32_e32 v8, 1, v8
	v_cmp_lt_u32_e32 vcc, 20, v8
	v_add_u32_e32 v9, 16, v9
	v_add_u32_e32 v10, 16, v10
	s_or_b64 s[6:7], vcc, s[6:7]
	s_waitcnt vmcnt(2) lgkmcnt(0)
	v_mul_f64 v[20:21], v[14:15], v[16:17]
	v_mul_f64 v[16:17], v[12:13], v[16:17]
	s_waitcnt vmcnt(0)
	v_fma_f64 v[12:13], v[12:13], v[18:19], -v[20:21]
	v_fmac_f64_e32 v[16:17], v[14:15], v[18:19]
	v_add_f64 v[4:5], v[4:5], v[12:13]
	v_add_f64 v[2:3], v[2:3], v[16:17]
	s_andn2_b64 exec, exec, s[6:7]
	s_cbranch_execnz .LBB101_101
; %bb.102:
	s_or_b64 exec, exec, s[6:7]
	v_mov_b32_e32 v8, 0
	ds_read_b128 v[8:11], v8 offset:352
	s_waitcnt lgkmcnt(0)
	v_mul_f64 v[12:13], v[2:3], v[10:11]
	v_mul_f64 v[10:11], v[4:5], v[10:11]
	v_fma_f64 v[4:5], v[4:5], v[8:9], -v[12:13]
	v_fmac_f64_e32 v[10:11], v[2:3], v[8:9]
	buffer_store_dword v5, off, s[0:3], 0 offset:372
	buffer_store_dword v4, off, s[0:3], 0 offset:368
	buffer_store_dword v11, off, s[0:3], 0 offset:380
	buffer_store_dword v10, off, s[0:3], 0 offset:376
.LBB101_103:
	s_or_b64 exec, exec, s[4:5]
	v_accvgpr_read_b32 v5, a89
	s_waitcnt lgkmcnt(0)
	; wave barrier
	buffer_load_dword v2, v5, s[0:3], 0 offen
	buffer_load_dword v3, v5, s[0:3], 0 offen offset:4
	buffer_load_dword v4, v5, s[0:3], 0 offen offset:8
	s_nop 0
	buffer_load_dword v5, v5, s[0:3], 0 offen offset:12
	v_cmp_gt_u32_e32 vcc, 23, v0
	s_waitcnt vmcnt(0)
	ds_write_b128 v6, v[2:5]
	s_waitcnt lgkmcnt(0)
	; wave barrier
	s_waitcnt lgkmcnt(0)
	s_and_saveexec_b64 s[4:5], vcc
	s_cbranch_execz .LBB101_107
; %bb.104:
	v_pk_mov_b32 v[2:3], 0, 0
	v_add_u32_e32 v8, -1, v0
	v_add_u32_e32 v9, 0x260, v1
	v_add_u32_e32 v10, 16, v1
	s_mov_b64 s[6:7], 0
	v_pk_mov_b32 v[4:5], v[2:3], v[2:3] op_sel:[0,1]
.LBB101_105:                            ; =>This Inner Loop Header: Depth=1
	buffer_load_dword v16, v10, s[0:3], 0 offen offset:8
	buffer_load_dword v17, v10, s[0:3], 0 offen offset:12
	buffer_load_dword v18, v10, s[0:3], 0 offen
	buffer_load_dword v19, v10, s[0:3], 0 offen offset:4
	ds_read_b128 v[12:15], v9
	v_add_u32_e32 v8, 1, v8
	v_cmp_lt_u32_e32 vcc, 21, v8
	v_add_u32_e32 v9, 16, v9
	v_add_u32_e32 v10, 16, v10
	s_or_b64 s[6:7], vcc, s[6:7]
	s_waitcnt vmcnt(2) lgkmcnt(0)
	v_mul_f64 v[20:21], v[14:15], v[16:17]
	v_mul_f64 v[16:17], v[12:13], v[16:17]
	s_waitcnt vmcnt(0)
	v_fma_f64 v[12:13], v[12:13], v[18:19], -v[20:21]
	v_fmac_f64_e32 v[16:17], v[14:15], v[18:19]
	v_add_f64 v[4:5], v[4:5], v[12:13]
	v_add_f64 v[2:3], v[2:3], v[16:17]
	s_andn2_b64 exec, exec, s[6:7]
	s_cbranch_execnz .LBB101_105
; %bb.106:
	s_or_b64 exec, exec, s[6:7]
	v_mov_b32_e32 v8, 0
	ds_read_b128 v[8:11], v8 offset:368
	s_waitcnt lgkmcnt(0)
	v_mul_f64 v[12:13], v[2:3], v[10:11]
	v_mul_f64 v[10:11], v[4:5], v[10:11]
	v_fma_f64 v[4:5], v[4:5], v[8:9], -v[12:13]
	v_fmac_f64_e32 v[10:11], v[2:3], v[8:9]
	buffer_store_dword v5, off, s[0:3], 0 offset:388
	buffer_store_dword v4, off, s[0:3], 0 offset:384
	buffer_store_dword v11, off, s[0:3], 0 offset:396
	buffer_store_dword v10, off, s[0:3], 0 offset:392
.LBB101_107:
	s_or_b64 exec, exec, s[4:5]
	v_accvgpr_read_b32 v5, a88
	s_waitcnt lgkmcnt(0)
	; wave barrier
	buffer_load_dword v2, v5, s[0:3], 0 offen
	buffer_load_dword v3, v5, s[0:3], 0 offen offset:4
	buffer_load_dword v4, v5, s[0:3], 0 offen offset:8
	s_nop 0
	buffer_load_dword v5, v5, s[0:3], 0 offen offset:12
	v_cmp_gt_u32_e32 vcc, 24, v0
	;; [unrolled: 59-line block ×14, first 2 shown]
	s_waitcnt vmcnt(0)
	ds_write_b128 v6, v[2:5]
	s_waitcnt lgkmcnt(0)
	; wave barrier
	s_waitcnt lgkmcnt(0)
	s_and_saveexec_b64 s[4:5], vcc
	s_cbranch_execz .LBB101_159
; %bb.156:
	v_pk_mov_b32 v[2:3], 0, 0
	v_add_u32_e32 v8, -1, v0
	v_add_u32_e32 v9, 0x260, v1
	v_add_u32_e32 v10, 16, v1
	s_mov_b64 s[6:7], 0
	v_pk_mov_b32 v[4:5], v[2:3], v[2:3] op_sel:[0,1]
.LBB101_157:                            ; =>This Inner Loop Header: Depth=1
	buffer_load_dword v16, v10, s[0:3], 0 offen offset:8
	buffer_load_dword v17, v10, s[0:3], 0 offen offset:12
	buffer_load_dword v18, v10, s[0:3], 0 offen
	buffer_load_dword v19, v10, s[0:3], 0 offen offset:4
	ds_read_b128 v[12:15], v9
	v_add_u32_e32 v8, 1, v8
	v_cmp_lt_u32_e32 vcc, 34, v8
	v_add_u32_e32 v9, 16, v9
	v_add_u32_e32 v10, 16, v10
	s_or_b64 s[6:7], vcc, s[6:7]
	s_waitcnt vmcnt(2) lgkmcnt(0)
	v_mul_f64 v[20:21], v[14:15], v[16:17]
	v_mul_f64 v[16:17], v[12:13], v[16:17]
	s_waitcnt vmcnt(0)
	v_fma_f64 v[12:13], v[12:13], v[18:19], -v[20:21]
	v_fmac_f64_e32 v[16:17], v[14:15], v[18:19]
	v_add_f64 v[4:5], v[4:5], v[12:13]
	v_add_f64 v[2:3], v[2:3], v[16:17]
	s_andn2_b64 exec, exec, s[6:7]
	s_cbranch_execnz .LBB101_157
; %bb.158:
	s_or_b64 exec, exec, s[6:7]
	v_mov_b32_e32 v8, 0
	ds_read_b128 v[8:11], v8 offset:576
	s_waitcnt lgkmcnt(0)
	v_mul_f64 v[12:13], v[2:3], v[10:11]
	v_mul_f64 v[10:11], v[4:5], v[10:11]
	v_fma_f64 v[4:5], v[4:5], v[8:9], -v[12:13]
	v_fmac_f64_e32 v[10:11], v[2:3], v[8:9]
	buffer_store_dword v5, off, s[0:3], 0 offset:596
	buffer_store_dword v4, off, s[0:3], 0 offset:592
	;; [unrolled: 1-line block ×4, first 2 shown]
.LBB101_159:
	s_or_b64 exec, exec, s[4:5]
	s_waitcnt lgkmcnt(0)
	; wave barrier
	buffer_load_dword v2, v121, s[0:3], 0 offen
	buffer_load_dword v3, v121, s[0:3], 0 offen offset:4
	buffer_load_dword v4, v121, s[0:3], 0 offen offset:8
	;; [unrolled: 1-line block ×3, first 2 shown]
	v_cmp_ne_u32_e32 vcc, 37, v0
	s_waitcnt vmcnt(0)
	ds_write_b128 v6, v[2:5]
	s_waitcnt lgkmcnt(0)
	; wave barrier
	s_waitcnt lgkmcnt(0)
	s_and_saveexec_b64 s[4:5], vcc
	s_cbranch_execz .LBB101_163
; %bb.160:
	v_pk_mov_b32 v[2:3], 0, 0
	v_add_u32_e32 v6, 0x260, v1
	v_add_u32_e32 v1, 16, v1
	s_mov_b64 s[6:7], 0
	v_pk_mov_b32 v[4:5], v[2:3], v[2:3] op_sel:[0,1]
.LBB101_161:                            ; =>This Inner Loop Header: Depth=1
	buffer_load_dword v12, v1, s[0:3], 0 offen offset:8
	buffer_load_dword v13, v1, s[0:3], 0 offen offset:12
	buffer_load_dword v14, v1, s[0:3], 0 offen
	buffer_load_dword v15, v1, s[0:3], 0 offen offset:4
	ds_read_b128 v[8:11], v6
	v_add_u32_e32 v7, 1, v7
	v_cmp_lt_u32_e32 vcc, 35, v7
	v_add_u32_e32 v6, 16, v6
	v_add_u32_e32 v1, 16, v1
	s_or_b64 s[6:7], vcc, s[6:7]
	s_waitcnt vmcnt(2) lgkmcnt(0)
	v_mul_f64 v[16:17], v[10:11], v[12:13]
	v_mul_f64 v[12:13], v[8:9], v[12:13]
	s_waitcnt vmcnt(0)
	v_fma_f64 v[8:9], v[8:9], v[14:15], -v[16:17]
	v_fmac_f64_e32 v[12:13], v[10:11], v[14:15]
	v_add_f64 v[4:5], v[4:5], v[8:9]
	v_add_f64 v[2:3], v[2:3], v[12:13]
	s_andn2_b64 exec, exec, s[6:7]
	s_cbranch_execnz .LBB101_161
; %bb.162:
	s_or_b64 exec, exec, s[6:7]
	v_mov_b32_e32 v1, 0
	ds_read_b128 v[6:9], v1 offset:592
	s_waitcnt lgkmcnt(0)
	v_mul_f64 v[10:11], v[2:3], v[8:9]
	v_mul_f64 v[8:9], v[4:5], v[8:9]
	v_fma_f64 v[4:5], v[4:5], v[6:7], -v[10:11]
	v_fmac_f64_e32 v[8:9], v[2:3], v[6:7]
	buffer_store_dword v5, off, s[0:3], 0 offset:612
	buffer_store_dword v4, off, s[0:3], 0 offset:608
	buffer_store_dword v9, off, s[0:3], 0 offset:620
	buffer_store_dword v8, off, s[0:3], 0 offset:616
.LBB101_163:
	s_or_b64 exec, exec, s[4:5]
	s_mov_b64 s[6:7], -1
	s_waitcnt lgkmcnt(0)
	; wave barrier
.LBB101_164:
	s_and_b64 vcc, exec, s[6:7]
	s_cbranch_vccz .LBB101_166
; %bb.165:
	s_lshl_b64 s[4:5], s[8:9], 2
	s_add_u32 s4, s14, s4
	s_addc_u32 s5, s15, s5
	v_mov_b32_e32 v1, 0
	global_load_dword v1, v1, s[4:5]
	s_waitcnt vmcnt(0)
	v_cmp_ne_u32_e32 vcc, 0, v1
	s_cbranch_vccz .LBB101_167
.LBB101_166:
	s_endpgm
.LBB101_167:
	v_mov_b32_e32 v1, 0x260
	v_lshl_add_u32 v120, v0, 4, v1
	v_cmp_eq_u32_e32 vcc, 37, v0
	s_and_saveexec_b64 s[4:5], vcc
	s_cbranch_execz .LBB101_169
; %bb.168:
	v_accvgpr_read_b32 v1, a76
	buffer_load_dword v2, v1, s[0:3], 0 offen
	buffer_load_dword v3, v1, s[0:3], 0 offen offset:4
	buffer_load_dword v4, v1, s[0:3], 0 offen offset:8
	;; [unrolled: 1-line block ×3, first 2 shown]
	v_mov_b32_e32 v1, 0
	buffer_store_dword v1, off, s[0:3], 0 offset:592
	buffer_store_dword v1, off, s[0:3], 0 offset:596
	;; [unrolled: 1-line block ×4, first 2 shown]
	s_waitcnt vmcnt(4)
	ds_write_b128 v120, v[2:5]
.LBB101_169:
	s_or_b64 exec, exec, s[4:5]
	s_waitcnt lgkmcnt(0)
	; wave barrier
	s_waitcnt lgkmcnt(0)
	buffer_load_dword v6, off, s[0:3], 0 offset:616
	buffer_load_dword v7, off, s[0:3], 0 offset:620
	;; [unrolled: 1-line block ×8, first 2 shown]
	v_mov_b32_e32 v1, 0
	ds_read_b128 v[2:5], v1 offset:1200
	v_cmp_lt_u32_e32 vcc, 35, v0
	s_waitcnt vmcnt(6) lgkmcnt(0)
	v_mul_f64 v[14:15], v[2:3], v[6:7]
	v_mul_f64 v[6:7], v[4:5], v[6:7]
	s_waitcnt vmcnt(4)
	v_fma_f64 v[2:3], v[2:3], v[8:9], -v[6:7]
	v_fmac_f64_e32 v[14:15], v[4:5], v[8:9]
	v_add_f64 v[2:3], v[2:3], 0
	v_add_f64 v[4:5], v[14:15], 0
	s_waitcnt vmcnt(2)
	v_add_f64 v[2:3], v[10:11], -v[2:3]
	s_waitcnt vmcnt(0)
	v_add_f64 v[4:5], v[12:13], -v[4:5]
	buffer_store_dword v2, off, s[0:3], 0 offset:592
	buffer_store_dword v3, off, s[0:3], 0 offset:596
	;; [unrolled: 1-line block ×4, first 2 shown]
	s_and_saveexec_b64 s[4:5], vcc
	s_cbranch_execz .LBB101_171
; %bb.170:
	v_accvgpr_read_b32 v5, a77
	buffer_load_dword v2, v5, s[0:3], 0 offen
	buffer_load_dword v3, v5, s[0:3], 0 offen offset:4
	buffer_load_dword v4, v5, s[0:3], 0 offen offset:8
	s_nop 0
	buffer_load_dword v5, v5, s[0:3], 0 offen offset:12
	s_nop 0
	buffer_store_dword v1, off, s[0:3], 0 offset:576
	buffer_store_dword v1, off, s[0:3], 0 offset:580
	;; [unrolled: 1-line block ×4, first 2 shown]
	s_waitcnt vmcnt(4)
	ds_write_b128 v120, v[2:5]
.LBB101_171:
	s_or_b64 exec, exec, s[4:5]
	s_waitcnt lgkmcnt(0)
	; wave barrier
	s_waitcnt lgkmcnt(0)
	buffer_load_dword v10, off, s[0:3], 0 offset:600
	buffer_load_dword v11, off, s[0:3], 0 offset:604
	buffer_load_dword v12, off, s[0:3], 0 offset:616
	buffer_load_dword v13, off, s[0:3], 0 offset:620
	buffer_load_dword v14, off, s[0:3], 0 offset:592
	buffer_load_dword v15, off, s[0:3], 0 offset:596
	buffer_load_dword v16, off, s[0:3], 0 offset:608
	buffer_load_dword v17, off, s[0:3], 0 offset:612
	buffer_load_dword v18, off, s[0:3], 0 offset:576
	buffer_load_dword v19, off, s[0:3], 0 offset:580
	buffer_load_dword v20, off, s[0:3], 0 offset:584
	buffer_load_dword v21, off, s[0:3], 0 offset:588
	ds_read_b128 v[2:5], v1 offset:1184
	ds_read_b128 v[6:9], v1 offset:1200
	v_cmp_lt_u32_e32 vcc, 34, v0
	s_waitcnt vmcnt(10) lgkmcnt(1)
	v_mul_f64 v[22:23], v[2:3], v[10:11]
	v_mul_f64 v[10:11], v[4:5], v[10:11]
	s_waitcnt vmcnt(8) lgkmcnt(0)
	v_mul_f64 v[24:25], v[6:7], v[12:13]
	v_mul_f64 v[12:13], v[8:9], v[12:13]
	s_waitcnt vmcnt(6)
	v_fma_f64 v[2:3], v[2:3], v[14:15], -v[10:11]
	v_fmac_f64_e32 v[22:23], v[4:5], v[14:15]
	s_waitcnt vmcnt(4)
	v_fma_f64 v[4:5], v[6:7], v[16:17], -v[12:13]
	v_add_f64 v[2:3], v[2:3], 0
	v_fmac_f64_e32 v[24:25], v[8:9], v[16:17]
	v_add_f64 v[6:7], v[22:23], 0
	v_add_f64 v[2:3], v[2:3], v[4:5]
	;; [unrolled: 1-line block ×3, first 2 shown]
	s_waitcnt vmcnt(2)
	v_add_f64 v[2:3], v[18:19], -v[2:3]
	s_waitcnt vmcnt(0)
	v_add_f64 v[4:5], v[20:21], -v[6:7]
	buffer_store_dword v2, off, s[0:3], 0 offset:576
	buffer_store_dword v3, off, s[0:3], 0 offset:580
	;; [unrolled: 1-line block ×4, first 2 shown]
	s_and_saveexec_b64 s[4:5], vcc
	s_cbranch_execz .LBB101_173
; %bb.172:
	v_accvgpr_read_b32 v1, a78
	buffer_load_dword v2, v1, s[0:3], 0 offen
	buffer_load_dword v3, v1, s[0:3], 0 offen offset:4
	buffer_load_dword v4, v1, s[0:3], 0 offen offset:8
	;; [unrolled: 1-line block ×3, first 2 shown]
	v_mov_b32_e32 v1, 0
	buffer_store_dword v1, off, s[0:3], 0 offset:560
	buffer_store_dword v1, off, s[0:3], 0 offset:564
	buffer_store_dword v1, off, s[0:3], 0 offset:568
	buffer_store_dword v1, off, s[0:3], 0 offset:572
	s_waitcnt vmcnt(4)
	ds_write_b128 v120, v[2:5]
.LBB101_173:
	s_or_b64 exec, exec, s[4:5]
	s_waitcnt lgkmcnt(0)
	; wave barrier
	s_waitcnt lgkmcnt(0)
	buffer_load_dword v14, off, s[0:3], 0 offset:584
	buffer_load_dword v15, off, s[0:3], 0 offset:588
	;; [unrolled: 1-line block ×16, first 2 shown]
	v_mov_b32_e32 v1, 0
	ds_read_b128 v[2:5], v1 offset:1168
	ds_read_b128 v[6:9], v1 offset:1184
	;; [unrolled: 1-line block ×3, first 2 shown]
	v_cmp_lt_u32_e32 vcc, 33, v0
	s_waitcnt vmcnt(14) lgkmcnt(2)
	v_mul_f64 v[30:31], v[2:3], v[14:15]
	v_mul_f64 v[14:15], v[4:5], v[14:15]
	s_waitcnt vmcnt(12) lgkmcnt(1)
	v_mul_f64 v[32:33], v[6:7], v[16:17]
	v_mul_f64 v[16:17], v[8:9], v[16:17]
	;; [unrolled: 3-line block ×3, first 2 shown]
	s_waitcnt vmcnt(8)
	v_fma_f64 v[2:3], v[2:3], v[20:21], -v[14:15]
	v_fmac_f64_e32 v[30:31], v[4:5], v[20:21]
	s_waitcnt vmcnt(6)
	v_fma_f64 v[4:5], v[6:7], v[22:23], -v[16:17]
	v_add_f64 v[2:3], v[2:3], 0
	v_fmac_f64_e32 v[32:33], v[8:9], v[22:23]
	s_waitcnt vmcnt(4)
	v_fma_f64 v[6:7], v[10:11], v[24:25], -v[18:19]
	v_add_f64 v[8:9], v[30:31], 0
	v_add_f64 v[2:3], v[2:3], v[4:5]
	v_fmac_f64_e32 v[34:35], v[12:13], v[24:25]
	v_add_f64 v[8:9], v[8:9], v[32:33]
	v_add_f64 v[2:3], v[2:3], v[6:7]
	;; [unrolled: 1-line block ×3, first 2 shown]
	s_waitcnt vmcnt(2)
	v_add_f64 v[2:3], v[26:27], -v[2:3]
	s_waitcnt vmcnt(0)
	v_add_f64 v[4:5], v[28:29], -v[4:5]
	buffer_store_dword v2, off, s[0:3], 0 offset:560
	buffer_store_dword v3, off, s[0:3], 0 offset:564
	buffer_store_dword v4, off, s[0:3], 0 offset:568
	buffer_store_dword v5, off, s[0:3], 0 offset:572
	s_and_saveexec_b64 s[4:5], vcc
	s_cbranch_execz .LBB101_175
; %bb.174:
	v_accvgpr_read_b32 v5, a79
	buffer_load_dword v2, v5, s[0:3], 0 offen
	buffer_load_dword v3, v5, s[0:3], 0 offen offset:4
	buffer_load_dword v4, v5, s[0:3], 0 offen offset:8
	s_nop 0
	buffer_load_dword v5, v5, s[0:3], 0 offen offset:12
	s_nop 0
	buffer_store_dword v1, off, s[0:3], 0 offset:544
	buffer_store_dword v1, off, s[0:3], 0 offset:548
	;; [unrolled: 1-line block ×4, first 2 shown]
	s_waitcnt vmcnt(4)
	ds_write_b128 v120, v[2:5]
.LBB101_175:
	s_or_b64 exec, exec, s[4:5]
	s_waitcnt lgkmcnt(0)
	; wave barrier
	s_waitcnt lgkmcnt(0)
	buffer_load_dword v18, off, s[0:3], 0 offset:568
	buffer_load_dword v19, off, s[0:3], 0 offset:572
	;; [unrolled: 1-line block ×20, first 2 shown]
	ds_read_b128 v[2:5], v1 offset:1152
	ds_read_b128 v[6:9], v1 offset:1168
	ds_read_b128 v[10:13], v1 offset:1184
	ds_read_b128 v[14:17], v1 offset:1200
	v_cmp_lt_u32_e32 vcc, 32, v0
	s_waitcnt vmcnt(18) lgkmcnt(3)
	v_mul_f64 v[38:39], v[2:3], v[18:19]
	v_mul_f64 v[18:19], v[4:5], v[18:19]
	s_waitcnt vmcnt(16) lgkmcnt(2)
	v_mul_f64 v[40:41], v[6:7], v[20:21]
	v_mul_f64 v[20:21], v[8:9], v[20:21]
	;; [unrolled: 3-line block ×4, first 2 shown]
	s_waitcnt vmcnt(10)
	v_fma_f64 v[2:3], v[2:3], v[26:27], -v[18:19]
	v_fmac_f64_e32 v[38:39], v[4:5], v[26:27]
	s_waitcnt vmcnt(8)
	v_fma_f64 v[4:5], v[6:7], v[28:29], -v[20:21]
	v_add_f64 v[2:3], v[2:3], 0
	v_fmac_f64_e32 v[40:41], v[8:9], v[28:29]
	s_waitcnt vmcnt(6)
	v_fma_f64 v[6:7], v[10:11], v[30:31], -v[22:23]
	v_add_f64 v[10:11], v[38:39], 0
	v_add_f64 v[2:3], v[2:3], v[4:5]
	v_fmac_f64_e32 v[42:43], v[12:13], v[30:31]
	s_waitcnt vmcnt(4)
	v_fma_f64 v[8:9], v[14:15], v[32:33], -v[24:25]
	v_add_f64 v[10:11], v[10:11], v[40:41]
	v_add_f64 v[2:3], v[2:3], v[6:7]
	v_fmac_f64_e32 v[44:45], v[16:17], v[32:33]
	v_add_f64 v[4:5], v[10:11], v[42:43]
	v_add_f64 v[2:3], v[2:3], v[8:9]
	;; [unrolled: 1-line block ×3, first 2 shown]
	s_waitcnt vmcnt(2)
	v_add_f64 v[2:3], v[34:35], -v[2:3]
	s_waitcnt vmcnt(0)
	v_add_f64 v[4:5], v[36:37], -v[4:5]
	buffer_store_dword v2, off, s[0:3], 0 offset:544
	buffer_store_dword v3, off, s[0:3], 0 offset:548
	;; [unrolled: 1-line block ×4, first 2 shown]
	s_and_saveexec_b64 s[4:5], vcc
	s_cbranch_execz .LBB101_177
; %bb.176:
	v_accvgpr_read_b32 v1, a80
	buffer_load_dword v2, v1, s[0:3], 0 offen
	buffer_load_dword v3, v1, s[0:3], 0 offen offset:4
	buffer_load_dword v4, v1, s[0:3], 0 offen offset:8
	;; [unrolled: 1-line block ×3, first 2 shown]
	v_mov_b32_e32 v1, 0
	buffer_store_dword v1, off, s[0:3], 0 offset:528
	buffer_store_dword v1, off, s[0:3], 0 offset:532
	;; [unrolled: 1-line block ×4, first 2 shown]
	s_waitcnt vmcnt(4)
	ds_write_b128 v120, v[2:5]
.LBB101_177:
	s_or_b64 exec, exec, s[4:5]
	v_mov_b32_e32 v1, 0
	s_waitcnt lgkmcnt(0)
	; wave barrier
	s_waitcnt lgkmcnt(0)
	ds_read_b128 v[2:5], v1 offset:1136
	ds_read_b128 v[6:9], v1 offset:1152
	;; [unrolled: 1-line block ×4, first 2 shown]
	buffer_load_dword v22, off, s[0:3], 0 offset:528
	buffer_load_dword v23, off, s[0:3], 0 offset:532
	;; [unrolled: 1-line block ×20, first 2 shown]
	v_cmp_lt_u32_e32 vcc, 31, v0
	s_waitcnt vmcnt(12) lgkmcnt(3)
	v_mul_f64 v[18:19], v[2:3], v[28:29]
	v_fmac_f64_e32 v[18:19], v[4:5], v[26:27]
	v_add_f64 v[18:19], v[18:19], 0
	v_mul_f64 v[4:5], v[4:5], v[28:29]
	s_waitcnt vmcnt(8) lgkmcnt(2)
	v_mul_f64 v[20:21], v[6:7], v[32:33]
	v_fmac_f64_e32 v[20:21], v[8:9], v[30:31]
	v_add_f64 v[18:19], v[18:19], v[20:21]
	v_fma_f64 v[2:3], v[2:3], v[26:27], -v[4:5]
	s_waitcnt vmcnt(4) lgkmcnt(1)
	v_mul_f64 v[20:21], v[10:11], v[36:37]
	v_fmac_f64_e32 v[20:21], v[12:13], v[34:35]
	v_add_f64 v[18:19], v[18:19], v[20:21]
	s_waitcnt vmcnt(0) lgkmcnt(0)
	v_mul_f64 v[20:21], v[14:15], v[40:41]
	v_fmac_f64_e32 v[20:21], v[16:17], v[38:39]
	v_add_f64 v[42:43], v[18:19], v[20:21]
	ds_read_b128 v[18:21], v1 offset:1200
	buffer_load_dword v45, off, s[0:3], 0 offset:612
	buffer_load_dword v44, off, s[0:3], 0 offset:608
	;; [unrolled: 1-line block ×4, first 2 shown]
	v_mul_f64 v[4:5], v[8:9], v[32:33]
	v_add_f64 v[2:3], v[2:3], 0
	v_fma_f64 v[4:5], v[6:7], v[30:31], -v[4:5]
	v_add_f64 v[2:3], v[2:3], v[4:5]
	v_mul_f64 v[4:5], v[12:13], v[36:37]
	v_fma_f64 v[4:5], v[10:11], v[34:35], -v[4:5]
	v_add_f64 v[2:3], v[2:3], v[4:5]
	v_mul_f64 v[4:5], v[16:17], v[40:41]
	v_fma_f64 v[4:5], v[14:15], v[38:39], -v[4:5]
	v_add_f64 v[2:3], v[2:3], v[4:5]
	s_waitcnt vmcnt(0) lgkmcnt(0)
	v_mul_f64 v[4:5], v[20:21], v[46:47]
	v_mul_f64 v[48:49], v[18:19], v[46:47]
	v_fma_f64 v[4:5], v[18:19], v[44:45], -v[4:5]
	v_fmac_f64_e32 v[48:49], v[20:21], v[44:45]
	v_add_f64 v[2:3], v[2:3], v[4:5]
	v_add_f64 v[42:43], v[42:43], v[48:49]
	v_add_f64 v[2:3], v[22:23], -v[2:3]
	v_add_f64 v[4:5], v[24:25], -v[42:43]
	buffer_store_dword v3, off, s[0:3], 0 offset:532
	buffer_store_dword v2, off, s[0:3], 0 offset:528
	;; [unrolled: 1-line block ×4, first 2 shown]
	s_and_saveexec_b64 s[4:5], vcc
	s_cbranch_execz .LBB101_179
; %bb.178:
	v_accvgpr_read_b32 v5, a81
	buffer_load_dword v2, v5, s[0:3], 0 offen
	buffer_load_dword v3, v5, s[0:3], 0 offen offset:4
	buffer_load_dword v4, v5, s[0:3], 0 offen offset:8
	s_nop 0
	buffer_load_dword v5, v5, s[0:3], 0 offen offset:12
	s_nop 0
	buffer_store_dword v1, off, s[0:3], 0 offset:512
	buffer_store_dword v1, off, s[0:3], 0 offset:516
	;; [unrolled: 1-line block ×4, first 2 shown]
	s_waitcnt vmcnt(4)
	ds_write_b128 v120, v[2:5]
.LBB101_179:
	s_or_b64 exec, exec, s[4:5]
	s_waitcnt lgkmcnt(0)
	; wave barrier
	s_waitcnt lgkmcnt(0)
	buffer_load_dword v26, off, s[0:3], 0 offset:536
	buffer_load_dword v27, off, s[0:3], 0 offset:540
	;; [unrolled: 1-line block ×28, first 2 shown]
	ds_read_b128 v[2:5], v1 offset:1120
	ds_read_b128 v[6:9], v1 offset:1136
	;; [unrolled: 1-line block ×6, first 2 shown]
	v_cmp_lt_u32_e32 vcc, 30, v0
	s_waitcnt vmcnt(26) lgkmcnt(5)
	v_mul_f64 v[54:55], v[2:3], v[26:27]
	v_mul_f64 v[26:27], v[4:5], v[26:27]
	s_waitcnt vmcnt(24) lgkmcnt(4)
	v_mul_f64 v[56:57], v[6:7], v[28:29]
	v_mul_f64 v[28:29], v[8:9], v[28:29]
	;; [unrolled: 3-line block ×4, first 2 shown]
	s_waitcnt vmcnt(17)
	v_mul_f64 v[60:61], v[14:15], v[36:37]
	v_mul_f64 v[36:37], v[16:17], v[36:37]
	s_waitcnt vmcnt(15) lgkmcnt(0)
	v_mul_f64 v[64:65], v[22:23], v[38:39]
	v_mul_f64 v[38:39], v[24:25], v[38:39]
	s_waitcnt vmcnt(14)
	v_fmac_f64_e32 v[62:63], v[20:21], v[34:35]
	s_waitcnt vmcnt(12)
	v_fma_f64 v[2:3], v[2:3], v[40:41], -v[26:27]
	v_fmac_f64_e32 v[54:55], v[4:5], v[40:41]
	s_waitcnt vmcnt(10)
	v_fma_f64 v[4:5], v[6:7], v[42:43], -v[28:29]
	v_add_f64 v[2:3], v[2:3], 0
	v_fmac_f64_e32 v[56:57], v[8:9], v[42:43]
	s_waitcnt vmcnt(8)
	v_fma_f64 v[6:7], v[10:11], v[44:45], -v[30:31]
	s_waitcnt vmcnt(6)
	v_fma_f64 v[8:9], v[14:15], v[46:47], -v[36:37]
	v_add_f64 v[14:15], v[54:55], 0
	v_add_f64 v[2:3], v[2:3], v[4:5]
	v_fmac_f64_e32 v[58:59], v[12:13], v[44:45]
	v_add_f64 v[14:15], v[14:15], v[56:57]
	v_add_f64 v[2:3], v[2:3], v[6:7]
	v_fmac_f64_e32 v[60:61], v[16:17], v[46:47]
	v_fma_f64 v[10:11], v[18:19], v[34:35], -v[32:33]
	v_add_f64 v[4:5], v[14:15], v[58:59]
	v_add_f64 v[2:3], v[2:3], v[8:9]
	s_waitcnt vmcnt(4)
	v_fma_f64 v[12:13], v[22:23], v[48:49], -v[38:39]
	v_add_f64 v[4:5], v[4:5], v[60:61]
	v_add_f64 v[2:3], v[2:3], v[10:11]
	v_fmac_f64_e32 v[64:65], v[24:25], v[48:49]
	v_add_f64 v[4:5], v[4:5], v[62:63]
	v_add_f64 v[2:3], v[2:3], v[12:13]
	;; [unrolled: 1-line block ×3, first 2 shown]
	s_waitcnt vmcnt(2)
	v_add_f64 v[2:3], v[50:51], -v[2:3]
	s_waitcnt vmcnt(0)
	v_add_f64 v[4:5], v[52:53], -v[4:5]
	buffer_store_dword v3, off, s[0:3], 0 offset:516
	buffer_store_dword v2, off, s[0:3], 0 offset:512
	;; [unrolled: 1-line block ×4, first 2 shown]
	s_and_saveexec_b64 s[4:5], vcc
	s_cbranch_execz .LBB101_181
; %bb.180:
	v_accvgpr_read_b32 v1, a82
	buffer_load_dword v2, v1, s[0:3], 0 offen
	buffer_load_dword v3, v1, s[0:3], 0 offen offset:4
	buffer_load_dword v4, v1, s[0:3], 0 offen offset:8
	;; [unrolled: 1-line block ×3, first 2 shown]
	v_mov_b32_e32 v1, 0
	buffer_store_dword v1, off, s[0:3], 0 offset:496
	buffer_store_dword v1, off, s[0:3], 0 offset:500
	;; [unrolled: 1-line block ×4, first 2 shown]
	s_waitcnt vmcnt(4)
	ds_write_b128 v120, v[2:5]
.LBB101_181:
	s_or_b64 exec, exec, s[4:5]
	s_waitcnt lgkmcnt(0)
	; wave barrier
	s_waitcnt lgkmcnt(0)
	buffer_load_dword v30, off, s[0:3], 0 offset:520
	buffer_load_dword v31, off, s[0:3], 0 offset:524
	;; [unrolled: 1-line block ×32, first 2 shown]
	v_mov_b32_e32 v1, 0
	ds_read_b128 v[2:5], v1 offset:1104
	ds_read_b128 v[6:9], v1 offset:1120
	;; [unrolled: 1-line block ×7, first 2 shown]
	v_cmp_lt_u32_e32 vcc, 29, v0
	s_waitcnt vmcnt(30) lgkmcnt(6)
	v_mul_f64 v[62:63], v[2:3], v[30:31]
	v_mul_f64 v[30:31], v[4:5], v[30:31]
	s_waitcnt vmcnt(28) lgkmcnt(5)
	v_mul_f64 v[64:65], v[6:7], v[32:33]
	v_mul_f64 v[32:33], v[8:9], v[32:33]
	;; [unrolled: 3-line block ×4, first 2 shown]
	s_waitcnt vmcnt(21)
	v_mul_f64 v[68:69], v[14:15], v[40:41]
	v_mul_f64 v[40:41], v[16:17], v[40:41]
	s_waitcnt vmcnt(17) lgkmcnt(1)
	v_mul_f64 v[72:73], v[22:23], v[46:47]
	v_mul_f64 v[46:47], v[24:25], v[46:47]
	s_waitcnt vmcnt(16) lgkmcnt(0)
	v_mul_f64 v[74:75], v[26:27], v[42:43]
	v_mul_f64 v[42:43], v[28:29], v[42:43]
	s_waitcnt vmcnt(13)
	v_fma_f64 v[2:3], v[2:3], v[48:49], -v[30:31]
	v_fmac_f64_e32 v[62:63], v[4:5], v[48:49]
	s_waitcnt vmcnt(11)
	v_fma_f64 v[4:5], v[6:7], v[50:51], -v[32:33]
	v_add_f64 v[2:3], v[2:3], 0
	v_fmac_f64_e32 v[64:65], v[8:9], v[50:51]
	s_waitcnt vmcnt(9)
	v_fma_f64 v[6:7], v[10:11], v[52:53], -v[34:35]
	s_waitcnt vmcnt(7)
	v_fmac_f64_e32 v[68:69], v[16:17], v[54:55]
	v_add_f64 v[16:17], v[62:63], 0
	v_add_f64 v[2:3], v[2:3], v[4:5]
	v_fmac_f64_e32 v[66:67], v[12:13], v[52:53]
	v_fma_f64 v[8:9], v[14:15], v[54:55], -v[40:41]
	v_add_f64 v[16:17], v[16:17], v[64:65]
	v_add_f64 v[2:3], v[2:3], v[6:7]
	v_fma_f64 v[10:11], v[18:19], v[38:39], -v[36:37]
	v_add_f64 v[4:5], v[16:17], v[66:67]
	v_add_f64 v[2:3], v[2:3], v[8:9]
	v_fmac_f64_e32 v[70:71], v[20:21], v[38:39]
	s_waitcnt vmcnt(5)
	v_fma_f64 v[12:13], v[22:23], v[56:57], -v[46:47]
	v_add_f64 v[4:5], v[4:5], v[68:69]
	v_add_f64 v[2:3], v[2:3], v[10:11]
	v_fmac_f64_e32 v[72:73], v[24:25], v[56:57]
	s_waitcnt vmcnt(4)
	v_fma_f64 v[14:15], v[26:27], v[44:45], -v[42:43]
	v_add_f64 v[4:5], v[4:5], v[70:71]
	v_add_f64 v[2:3], v[2:3], v[12:13]
	v_fmac_f64_e32 v[74:75], v[28:29], v[44:45]
	v_add_f64 v[4:5], v[4:5], v[72:73]
	v_add_f64 v[2:3], v[2:3], v[14:15]
	;; [unrolled: 1-line block ×3, first 2 shown]
	s_waitcnt vmcnt(2)
	v_add_f64 v[2:3], v[58:59], -v[2:3]
	s_waitcnt vmcnt(0)
	v_add_f64 v[4:5], v[60:61], -v[4:5]
	buffer_store_dword v3, off, s[0:3], 0 offset:500
	buffer_store_dword v2, off, s[0:3], 0 offset:496
	;; [unrolled: 1-line block ×4, first 2 shown]
	s_and_saveexec_b64 s[4:5], vcc
	s_cbranch_execz .LBB101_183
; %bb.182:
	v_accvgpr_read_b32 v5, a83
	buffer_load_dword v2, v5, s[0:3], 0 offen
	buffer_load_dword v3, v5, s[0:3], 0 offen offset:4
	buffer_load_dword v4, v5, s[0:3], 0 offen offset:8
	s_nop 0
	buffer_load_dword v5, v5, s[0:3], 0 offen offset:12
	s_nop 0
	buffer_store_dword v1, off, s[0:3], 0 offset:480
	buffer_store_dword v1, off, s[0:3], 0 offset:484
	;; [unrolled: 1-line block ×4, first 2 shown]
	s_waitcnt vmcnt(4)
	ds_write_b128 v120, v[2:5]
.LBB101_183:
	s_or_b64 exec, exec, s[4:5]
	s_waitcnt lgkmcnt(0)
	; wave barrier
	s_waitcnt lgkmcnt(0)
	buffer_load_dword v34, off, s[0:3], 0 offset:504
	buffer_load_dword v35, off, s[0:3], 0 offset:508
	;; [unrolled: 1-line block ×36, first 2 shown]
	ds_read_b128 v[2:5], v1 offset:1088
	ds_read_b128 v[6:9], v1 offset:1104
	;; [unrolled: 1-line block ×8, first 2 shown]
	v_cmp_lt_u32_e32 vcc, 28, v0
	s_waitcnt vmcnt(34) lgkmcnt(7)
	v_mul_f64 v[70:71], v[2:3], v[34:35]
	v_mul_f64 v[34:35], v[4:5], v[34:35]
	s_waitcnt vmcnt(32) lgkmcnt(6)
	v_mul_f64 v[72:73], v[6:7], v[36:37]
	v_mul_f64 v[36:37], v[8:9], v[36:37]
	;; [unrolled: 3-line block ×4, first 2 shown]
	s_waitcnt vmcnt(25)
	v_mul_f64 v[76:77], v[14:15], v[44:45]
	v_mul_f64 v[44:45], v[16:17], v[44:45]
	s_waitcnt vmcnt(23) lgkmcnt(1)
	v_mul_f64 v[82:83], v[26:27], v[46:47]
	v_mul_f64 v[46:47], v[28:29], v[46:47]
	s_waitcnt vmcnt(20)
	v_mul_f64 v[80:81], v[22:23], v[50:51]
	v_mul_f64 v[50:51], v[24:25], v[50:51]
	s_waitcnt vmcnt(18) lgkmcnt(0)
	v_mul_f64 v[84:85], v[30:31], v[52:53]
	s_waitcnt vmcnt(17)
	v_fmac_f64_e32 v[78:79], v[20:21], v[42:43]
	s_waitcnt vmcnt(16)
	v_fmac_f64_e32 v[82:83], v[28:29], v[48:49]
	s_waitcnt vmcnt(14)
	v_fma_f64 v[2:3], v[2:3], v[54:55], -v[34:35]
	v_fmac_f64_e32 v[70:71], v[4:5], v[54:55]
	s_waitcnt vmcnt(12)
	v_fma_f64 v[4:5], v[6:7], v[56:57], -v[36:37]
	v_add_f64 v[2:3], v[2:3], 0
	v_fmac_f64_e32 v[72:73], v[8:9], v[56:57]
	s_waitcnt vmcnt(10)
	v_fma_f64 v[6:7], v[10:11], v[58:59], -v[38:39]
	s_waitcnt vmcnt(8)
	v_fmac_f64_e32 v[76:77], v[16:17], v[60:61]
	v_add_f64 v[16:17], v[70:71], 0
	v_add_f64 v[2:3], v[2:3], v[4:5]
	v_fmac_f64_e32 v[74:75], v[12:13], v[58:59]
	v_fma_f64 v[8:9], v[14:15], v[60:61], -v[44:45]
	v_add_f64 v[16:17], v[16:17], v[72:73]
	v_add_f64 v[2:3], v[2:3], v[6:7]
	v_fma_f64 v[10:11], v[18:19], v[42:43], -v[40:41]
	v_add_f64 v[4:5], v[16:17], v[74:75]
	v_add_f64 v[2:3], v[2:3], v[8:9]
	s_waitcnt vmcnt(6)
	v_fma_f64 v[12:13], v[22:23], v[62:63], -v[50:51]
	v_add_f64 v[4:5], v[4:5], v[76:77]
	v_add_f64 v[2:3], v[2:3], v[10:11]
	v_fmac_f64_e32 v[80:81], v[24:25], v[62:63]
	v_fma_f64 v[14:15], v[26:27], v[48:49], -v[46:47]
	v_add_f64 v[4:5], v[4:5], v[78:79]
	v_add_f64 v[2:3], v[2:3], v[12:13]
	v_mul_f64 v[6:7], v[32:33], v[52:53]
	v_add_f64 v[4:5], v[4:5], v[80:81]
	v_add_f64 v[2:3], v[2:3], v[14:15]
	s_waitcnt vmcnt(4)
	v_fma_f64 v[6:7], v[30:31], v[64:65], -v[6:7]
	v_fmac_f64_e32 v[84:85], v[32:33], v[64:65]
	v_add_f64 v[4:5], v[4:5], v[82:83]
	v_add_f64 v[2:3], v[2:3], v[6:7]
	;; [unrolled: 1-line block ×3, first 2 shown]
	s_waitcnt vmcnt(2)
	v_add_f64 v[2:3], v[66:67], -v[2:3]
	s_waitcnt vmcnt(0)
	v_add_f64 v[4:5], v[68:69], -v[4:5]
	buffer_store_dword v3, off, s[0:3], 0 offset:484
	buffer_store_dword v2, off, s[0:3], 0 offset:480
	;; [unrolled: 1-line block ×4, first 2 shown]
	s_and_saveexec_b64 s[4:5], vcc
	s_cbranch_execz .LBB101_185
; %bb.184:
	v_accvgpr_read_b32 v1, a84
	buffer_load_dword v2, v1, s[0:3], 0 offen
	buffer_load_dword v3, v1, s[0:3], 0 offen offset:4
	buffer_load_dword v4, v1, s[0:3], 0 offen offset:8
	;; [unrolled: 1-line block ×3, first 2 shown]
	v_mov_b32_e32 v1, 0
	buffer_store_dword v1, off, s[0:3], 0 offset:464
	buffer_store_dword v1, off, s[0:3], 0 offset:468
	;; [unrolled: 1-line block ×4, first 2 shown]
	s_waitcnt vmcnt(4)
	ds_write_b128 v120, v[2:5]
.LBB101_185:
	s_or_b64 exec, exec, s[4:5]
	s_waitcnt lgkmcnt(0)
	; wave barrier
	s_waitcnt lgkmcnt(0)
	buffer_load_dword v38, off, s[0:3], 0 offset:488
	buffer_load_dword v39, off, s[0:3], 0 offset:492
	;; [unrolled: 1-line block ×40, first 2 shown]
	v_mov_b32_e32 v1, 0
	ds_read_b128 v[2:5], v1 offset:1072
	ds_read_b128 v[6:9], v1 offset:1088
	ds_read_b128 v[10:13], v1 offset:1104
	ds_read_b128 v[14:17], v1 offset:1120
	ds_read_b128 v[18:21], v1 offset:1136
	ds_read_b128 v[22:25], v1 offset:1152
	ds_read_b128 v[26:29], v1 offset:1168
	ds_read_b128 v[30:33], v1 offset:1184
	ds_read_b128 v[34:37], v1 offset:1200
	v_cmp_lt_u32_e32 vcc, 27, v0
	s_waitcnt vmcnt(38) lgkmcnt(8)
	v_mul_f64 v[78:79], v[2:3], v[38:39]
	v_mul_f64 v[38:39], v[4:5], v[38:39]
	s_waitcnt vmcnt(36) lgkmcnt(7)
	v_mul_f64 v[80:81], v[6:7], v[40:41]
	v_mul_f64 v[40:41], v[8:9], v[40:41]
	;; [unrolled: 3-line block ×3, first 2 shown]
	s_waitcnt vmcnt(32) lgkmcnt(4)
	v_mul_f64 v[86:87], v[18:19], v[44:45]
	s_waitcnt vmcnt(30)
	v_fmac_f64_e32 v[86:87], v[20:21], v[46:47]
	s_waitcnt vmcnt(28)
	v_mul_f64 v[84:85], v[14:15], v[48:49]
	v_mul_f64 v[48:49], v[16:17], v[48:49]
	s_waitcnt vmcnt(26) lgkmcnt(2)
	v_mul_f64 v[90:91], v[26:27], v[50:51]
	s_waitcnt vmcnt(24)
	v_fmac_f64_e32 v[90:91], v[28:29], v[52:53]
	s_waitcnt vmcnt(22)
	v_mul_f64 v[88:89], v[22:23], v[54:55]
	s_waitcnt vmcnt(18) lgkmcnt(1)
	v_mul_f64 v[92:93], v[30:31], v[60:61]
	s_waitcnt vmcnt(17) lgkmcnt(0)
	v_mul_f64 v[94:95], v[34:35], v[56:57]
	s_waitcnt vmcnt(15)
	v_fma_f64 v[2:3], v[2:3], v[62:63], -v[38:39]
	v_fmac_f64_e32 v[78:79], v[4:5], v[62:63]
	s_waitcnt vmcnt(13)
	v_fma_f64 v[4:5], v[6:7], v[64:65], -v[40:41]
	v_add_f64 v[2:3], v[2:3], 0
	s_waitcnt vmcnt(11)
	v_fma_f64 v[6:7], v[10:11], v[66:67], -v[42:43]
	v_add_f64 v[2:3], v[2:3], v[4:5]
	v_fmac_f64_e32 v[80:81], v[8:9], v[64:65]
	s_waitcnt vmcnt(9)
	v_fma_f64 v[8:9], v[14:15], v[68:69], -v[48:49]
	v_add_f64 v[2:3], v[2:3], v[6:7]
	v_mul_f64 v[6:7], v[20:21], v[44:45]
	v_add_f64 v[2:3], v[2:3], v[8:9]
	v_fma_f64 v[6:7], v[18:19], v[46:47], -v[6:7]
	v_add_f64 v[2:3], v[2:3], v[6:7]
	v_mul_f64 v[6:7], v[24:25], v[54:55]
	v_add_f64 v[10:11], v[78:79], 0
	s_waitcnt vmcnt(7)
	v_fma_f64 v[6:7], v[22:23], v[70:71], -v[6:7]
	v_fmac_f64_e32 v[82:83], v[12:13], v[66:67]
	v_add_f64 v[10:11], v[10:11], v[80:81]
	v_add_f64 v[2:3], v[2:3], v[6:7]
	v_mul_f64 v[6:7], v[28:29], v[50:51]
	v_fmac_f64_e32 v[84:85], v[16:17], v[68:69]
	v_add_f64 v[4:5], v[10:11], v[82:83]
	v_fma_f64 v[6:7], v[26:27], v[52:53], -v[6:7]
	v_add_f64 v[4:5], v[4:5], v[84:85]
	v_add_f64 v[2:3], v[2:3], v[6:7]
	v_mul_f64 v[6:7], v[32:33], v[60:61]
	v_fmac_f64_e32 v[88:89], v[24:25], v[70:71]
	v_add_f64 v[4:5], v[4:5], v[86:87]
	s_waitcnt vmcnt(5)
	v_fma_f64 v[6:7], v[30:31], v[72:73], -v[6:7]
	v_add_f64 v[4:5], v[4:5], v[88:89]
	v_add_f64 v[2:3], v[2:3], v[6:7]
	v_mul_f64 v[6:7], v[36:37], v[56:57]
	v_fmac_f64_e32 v[92:93], v[32:33], v[72:73]
	v_add_f64 v[4:5], v[4:5], v[90:91]
	s_waitcnt vmcnt(4)
	v_fma_f64 v[6:7], v[34:35], v[58:59], -v[6:7]
	v_fmac_f64_e32 v[94:95], v[36:37], v[58:59]
	v_add_f64 v[4:5], v[4:5], v[92:93]
	v_add_f64 v[2:3], v[2:3], v[6:7]
	;; [unrolled: 1-line block ×3, first 2 shown]
	s_waitcnt vmcnt(2)
	v_add_f64 v[2:3], v[74:75], -v[2:3]
	s_waitcnt vmcnt(0)
	v_add_f64 v[4:5], v[76:77], -v[4:5]
	buffer_store_dword v3, off, s[0:3], 0 offset:468
	buffer_store_dword v2, off, s[0:3], 0 offset:464
	;; [unrolled: 1-line block ×4, first 2 shown]
	s_and_saveexec_b64 s[4:5], vcc
	s_cbranch_execz .LBB101_187
; %bb.186:
	v_accvgpr_read_b32 v5, a85
	buffer_load_dword v2, v5, s[0:3], 0 offen
	buffer_load_dword v3, v5, s[0:3], 0 offen offset:4
	buffer_load_dword v4, v5, s[0:3], 0 offen offset:8
	s_nop 0
	buffer_load_dword v5, v5, s[0:3], 0 offen offset:12
	s_nop 0
	buffer_store_dword v1, off, s[0:3], 0 offset:448
	buffer_store_dword v1, off, s[0:3], 0 offset:452
	;; [unrolled: 1-line block ×4, first 2 shown]
	s_waitcnt vmcnt(4)
	ds_write_b128 v120, v[2:5]
.LBB101_187:
	s_or_b64 exec, exec, s[4:5]
	s_waitcnt lgkmcnt(0)
	; wave barrier
	s_waitcnt lgkmcnt(0)
	buffer_load_dword v4, off, s[0:3], 0 offset:464
	buffer_load_dword v5, off, s[0:3], 0 offset:468
	;; [unrolled: 1-line block ×44, first 2 shown]
	ds_read_b128 v[6:9], v1 offset:1056
	ds_read_b128 v[10:13], v1 offset:1072
	;; [unrolled: 1-line block ×10, first 2 shown]
	v_cmp_lt_u32_e32 vcc, 26, v0
	s_waitcnt vmcnt(40) lgkmcnt(9)
	v_mul_f64 v[86:87], v[6:7], v[46:47]
	v_mul_f64 v[46:47], v[8:9], v[46:47]
	s_waitcnt vmcnt(38) lgkmcnt(8)
	v_mul_f64 v[88:89], v[10:11], v[48:49]
	v_mul_f64 v[48:49], v[12:13], v[48:49]
	v_fmac_f64_e32 v[86:87], v[8:9], v[4:5]
	v_fma_f64 v[4:5], v[6:7], v[4:5], -v[46:47]
	s_waitcnt vmcnt(36) lgkmcnt(7)
	v_mul_f64 v[90:91], v[14:15], v[2:3]
	v_add_f64 v[4:5], v[4:5], 0
	v_mul_f64 v[2:3], v[16:17], v[2:3]
	v_add_f64 v[8:9], v[86:87], 0
	s_waitcnt vmcnt(30) lgkmcnt(6)
	v_mul_f64 v[92:93], v[18:19], v[54:55]
	s_waitcnt lgkmcnt(5)
	v_mul_f64 v[94:95], v[22:23], v[50:51]
	v_fmac_f64_e32 v[94:95], v[24:25], v[52:53]
	s_waitcnt vmcnt(28) lgkmcnt(3)
	v_mul_f64 v[98:99], v[30:31], v[56:57]
	s_waitcnt vmcnt(26)
	v_fmac_f64_e32 v[98:99], v[32:33], v[58:59]
	s_waitcnt vmcnt(24)
	v_mul_f64 v[96:97], v[26:27], v[60:61]
	s_waitcnt vmcnt(22) lgkmcnt(1)
	v_mul_f64 v[102:103], v[38:39], v[62:63]
	s_waitcnt vmcnt(20)
	v_fmac_f64_e32 v[102:103], v[40:41], v[64:65]
	s_waitcnt vmcnt(18)
	v_mul_f64 v[100:101], v[34:35], v[66:67]
	s_waitcnt vmcnt(16) lgkmcnt(0)
	v_mul_f64 v[104:105], v[42:43], v[68:69]
	s_waitcnt vmcnt(14)
	v_fma_f64 v[6:7], v[10:11], v[70:71], -v[48:49]
	v_add_f64 v[4:5], v[4:5], v[6:7]
	s_waitcnt vmcnt(12)
	v_fma_f64 v[2:3], v[14:15], v[72:73], -v[2:3]
	v_add_f64 v[2:3], v[4:5], v[2:3]
	v_mul_f64 v[4:5], v[20:21], v[54:55]
	s_waitcnt vmcnt(10)
	v_fma_f64 v[4:5], v[18:19], v[74:75], -v[4:5]
	v_add_f64 v[2:3], v[2:3], v[4:5]
	v_mul_f64 v[4:5], v[24:25], v[50:51]
	v_fma_f64 v[4:5], v[22:23], v[52:53], -v[4:5]
	v_add_f64 v[2:3], v[2:3], v[4:5]
	v_mul_f64 v[4:5], v[28:29], v[60:61]
	s_waitcnt vmcnt(8)
	v_fma_f64 v[4:5], v[26:27], v[76:77], -v[4:5]
	v_fmac_f64_e32 v[88:89], v[12:13], v[70:71]
	v_add_f64 v[2:3], v[2:3], v[4:5]
	v_mul_f64 v[4:5], v[32:33], v[56:57]
	v_fmac_f64_e32 v[90:91], v[16:17], v[72:73]
	v_add_f64 v[8:9], v[8:9], v[88:89]
	v_fma_f64 v[4:5], v[30:31], v[58:59], -v[4:5]
	v_fmac_f64_e32 v[92:93], v[20:21], v[74:75]
	v_add_f64 v[6:7], v[8:9], v[90:91]
	v_add_f64 v[2:3], v[2:3], v[4:5]
	v_mul_f64 v[4:5], v[36:37], v[66:67]
	v_add_f64 v[6:7], v[6:7], v[92:93]
	s_waitcnt vmcnt(6)
	v_fma_f64 v[4:5], v[34:35], v[78:79], -v[4:5]
	v_fmac_f64_e32 v[96:97], v[28:29], v[76:77]
	v_add_f64 v[6:7], v[6:7], v[94:95]
	v_add_f64 v[2:3], v[2:3], v[4:5]
	v_mul_f64 v[4:5], v[40:41], v[62:63]
	v_add_f64 v[6:7], v[6:7], v[96:97]
	v_fma_f64 v[4:5], v[38:39], v[64:65], -v[4:5]
	v_fmac_f64_e32 v[100:101], v[36:37], v[78:79]
	v_add_f64 v[6:7], v[6:7], v[98:99]
	v_add_f64 v[2:3], v[2:3], v[4:5]
	v_mul_f64 v[4:5], v[44:45], v[68:69]
	v_add_f64 v[6:7], v[6:7], v[100:101]
	s_waitcnt vmcnt(4)
	v_fma_f64 v[4:5], v[42:43], v[80:81], -v[4:5]
	v_fmac_f64_e32 v[104:105], v[44:45], v[80:81]
	v_add_f64 v[6:7], v[6:7], v[102:103]
	v_add_f64 v[2:3], v[2:3], v[4:5]
	;; [unrolled: 1-line block ×3, first 2 shown]
	s_waitcnt vmcnt(2)
	v_add_f64 v[2:3], v[82:83], -v[2:3]
	s_waitcnt vmcnt(0)
	v_add_f64 v[4:5], v[84:85], -v[6:7]
	buffer_store_dword v3, off, s[0:3], 0 offset:452
	buffer_store_dword v2, off, s[0:3], 0 offset:448
	;; [unrolled: 1-line block ×4, first 2 shown]
	s_and_saveexec_b64 s[4:5], vcc
	s_cbranch_execz .LBB101_189
; %bb.188:
	v_accvgpr_read_b32 v1, a86
	buffer_load_dword v2, v1, s[0:3], 0 offen
	buffer_load_dword v3, v1, s[0:3], 0 offen offset:4
	buffer_load_dword v4, v1, s[0:3], 0 offen offset:8
	;; [unrolled: 1-line block ×3, first 2 shown]
	v_mov_b32_e32 v1, 0
	buffer_store_dword v1, off, s[0:3], 0 offset:432
	buffer_store_dword v1, off, s[0:3], 0 offset:436
	;; [unrolled: 1-line block ×4, first 2 shown]
	s_waitcnt vmcnt(4)
	ds_write_b128 v120, v[2:5]
.LBB101_189:
	s_or_b64 exec, exec, s[4:5]
	s_waitcnt lgkmcnt(0)
	; wave barrier
	s_waitcnt lgkmcnt(0)
	buffer_load_dword v2, off, s[0:3], 0 offset:448
	buffer_load_dword v3, off, s[0:3], 0 offset:452
	;; [unrolled: 1-line block ×48, first 2 shown]
	v_mov_b32_e32 v1, 0
	ds_read_b128 v[12:15], v1 offset:1040
	ds_read_b128 v[16:19], v1 offset:1056
	;; [unrolled: 1-line block ×11, first 2 shown]
	v_cmp_lt_u32_e32 vcc, 25, v0
	s_waitcnt vmcnt(44) lgkmcnt(10)
	v_mul_f64 v[94:95], v[12:13], v[6:7]
	v_mul_f64 v[6:7], v[14:15], v[6:7]
	v_fmac_f64_e32 v[94:95], v[14:15], v[2:3]
	v_fma_f64 v[2:3], v[12:13], v[2:3], -v[6:7]
	s_waitcnt vmcnt(40) lgkmcnt(9)
	v_mul_f64 v[96:97], v[16:17], v[8:9]
	v_mul_f64 v[6:7], v[18:19], v[8:9]
	v_fmac_f64_e32 v[96:97], v[18:19], v[4:5]
	v_add_f64 v[2:3], v[2:3], 0
	v_fma_f64 v[4:5], v[16:17], v[4:5], -v[6:7]
	v_add_f64 v[2:3], v[2:3], v[4:5]
	s_waitcnt vmcnt(38) lgkmcnt(8)
	v_mul_f64 v[4:5], v[22:23], v[10:11]
	v_mul_f64 v[98:99], v[20:21], v[10:11]
	v_add_f64 v[94:95], v[94:95], 0
	s_waitcnt vmcnt(32) lgkmcnt(7)
	v_mul_f64 v[100:101], v[24:25], v[60:61]
	v_add_f64 v[94:95], v[94:95], v[96:97]
	s_waitcnt lgkmcnt(6)
	v_mul_f64 v[102:103], v[28:29], v[56:57]
	v_fmac_f64_e32 v[102:103], v[30:31], v[58:59]
	s_waitcnt vmcnt(30) lgkmcnt(4)
	v_mul_f64 v[106:107], v[36:37], v[62:63]
	s_waitcnt vmcnt(26)
	v_mul_f64 v[104:105], v[32:33], v[66:67]
	v_fmac_f64_e32 v[106:107], v[38:39], v[64:65]
	s_waitcnt vmcnt(24) lgkmcnt(2)
	v_mul_f64 v[110:111], v[44:45], v[68:69]
	s_waitcnt vmcnt(22)
	v_fmac_f64_e32 v[110:111], v[46:47], v[70:71]
	s_waitcnt vmcnt(20)
	v_mul_f64 v[108:109], v[40:41], v[72:73]
	s_waitcnt vmcnt(16) lgkmcnt(1)
	v_mul_f64 v[112:113], v[48:49], v[78:79]
	s_waitcnt vmcnt(14)
	v_fma_f64 v[4:5], v[20:21], v[80:81], -v[4:5]
	v_add_f64 v[2:3], v[2:3], v[4:5]
	v_mul_f64 v[4:5], v[26:27], v[60:61]
	s_waitcnt vmcnt(12)
	v_fma_f64 v[4:5], v[24:25], v[82:83], -v[4:5]
	v_add_f64 v[2:3], v[2:3], v[4:5]
	v_mul_f64 v[4:5], v[30:31], v[56:57]
	v_fma_f64 v[4:5], v[28:29], v[58:59], -v[4:5]
	v_add_f64 v[2:3], v[2:3], v[4:5]
	v_mul_f64 v[4:5], v[34:35], v[66:67]
	s_waitcnt vmcnt(10)
	v_fma_f64 v[4:5], v[32:33], v[84:85], -v[4:5]
	v_add_f64 v[2:3], v[2:3], v[4:5]
	v_mul_f64 v[4:5], v[38:39], v[62:63]
	v_fma_f64 v[4:5], v[36:37], v[64:65], -v[4:5]
	v_fmac_f64_e32 v[98:99], v[22:23], v[80:81]
	v_add_f64 v[2:3], v[2:3], v[4:5]
	v_mul_f64 v[4:5], v[42:43], v[72:73]
	v_fmac_f64_e32 v[100:101], v[26:27], v[82:83]
	v_add_f64 v[94:95], v[94:95], v[98:99]
	s_waitcnt vmcnt(8)
	v_fma_f64 v[4:5], v[40:41], v[86:87], -v[4:5]
	v_add_f64 v[94:95], v[94:95], v[100:101]
	v_add_f64 v[2:3], v[2:3], v[4:5]
	v_mul_f64 v[4:5], v[46:47], v[68:69]
	v_fmac_f64_e32 v[104:105], v[34:35], v[84:85]
	v_add_f64 v[94:95], v[94:95], v[102:103]
	v_fma_f64 v[4:5], v[44:45], v[70:71], -v[4:5]
	v_add_f64 v[94:95], v[94:95], v[104:105]
	v_add_f64 v[2:3], v[2:3], v[4:5]
	v_mul_f64 v[4:5], v[50:51], v[78:79]
	v_fmac_f64_e32 v[108:109], v[42:43], v[86:87]
	v_add_f64 v[94:95], v[94:95], v[106:107]
	s_waitcnt vmcnt(6)
	v_fma_f64 v[4:5], v[48:49], v[88:89], -v[4:5]
	v_add_f64 v[94:95], v[94:95], v[108:109]
	v_add_f64 v[2:3], v[2:3], v[4:5]
	s_waitcnt vmcnt(5) lgkmcnt(0)
	v_mul_f64 v[4:5], v[54:55], v[74:75]
	v_fmac_f64_e32 v[112:113], v[50:51], v[88:89]
	v_add_f64 v[94:95], v[94:95], v[110:111]
	v_mul_f64 v[96:97], v[52:53], v[74:75]
	s_waitcnt vmcnt(4)
	v_fma_f64 v[4:5], v[52:53], v[76:77], -v[4:5]
	v_add_f64 v[94:95], v[94:95], v[112:113]
	v_fmac_f64_e32 v[96:97], v[54:55], v[76:77]
	v_add_f64 v[2:3], v[2:3], v[4:5]
	v_add_f64 v[94:95], v[94:95], v[96:97]
	s_waitcnt vmcnt(2)
	v_add_f64 v[2:3], v[90:91], -v[2:3]
	s_waitcnt vmcnt(0)
	v_add_f64 v[4:5], v[92:93], -v[94:95]
	buffer_store_dword v3, off, s[0:3], 0 offset:436
	buffer_store_dword v2, off, s[0:3], 0 offset:432
	;; [unrolled: 1-line block ×4, first 2 shown]
	s_and_saveexec_b64 s[4:5], vcc
	s_cbranch_execz .LBB101_191
; %bb.190:
	v_accvgpr_read_b32 v5, a87
	buffer_load_dword v2, v5, s[0:3], 0 offen
	buffer_load_dword v3, v5, s[0:3], 0 offen offset:4
	buffer_load_dword v4, v5, s[0:3], 0 offen offset:8
	s_nop 0
	buffer_load_dword v5, v5, s[0:3], 0 offen offset:12
	s_nop 0
	buffer_store_dword v1, off, s[0:3], 0 offset:416
	buffer_store_dword v1, off, s[0:3], 0 offset:420
	;; [unrolled: 1-line block ×4, first 2 shown]
	s_waitcnt vmcnt(4)
	ds_write_b128 v120, v[2:5]
.LBB101_191:
	s_or_b64 exec, exec, s[4:5]
	s_waitcnt lgkmcnt(0)
	; wave barrier
	s_waitcnt lgkmcnt(0)
	buffer_load_dword v2, off, s[0:3], 0 offset:432
	buffer_load_dword v3, off, s[0:3], 0 offset:436
	;; [unrolled: 1-line block ×52, first 2 shown]
	ds_read_b128 v[12:15], v1 offset:1024
	ds_read_b128 v[16:19], v1 offset:1040
	;; [unrolled: 1-line block ×10, first 2 shown]
	v_cmp_lt_u32_e32 vcc, 24, v0
	s_waitcnt vmcnt(48) lgkmcnt(9)
	v_mul_f64 v[52:53], v[12:13], v[6:7]
	v_mul_f64 v[6:7], v[14:15], v[6:7]
	v_fmac_f64_e32 v[52:53], v[14:15], v[2:3]
	v_fma_f64 v[2:3], v[12:13], v[2:3], -v[6:7]
	s_waitcnt vmcnt(44) lgkmcnt(8)
	v_mul_f64 v[54:55], v[16:17], v[8:9]
	v_mul_f64 v[6:7], v[18:19], v[8:9]
	v_fmac_f64_e32 v[54:55], v[18:19], v[4:5]
	v_add_f64 v[2:3], v[2:3], 0
	v_fma_f64 v[4:5], v[16:17], v[4:5], -v[6:7]
	v_add_f64 v[2:3], v[2:3], v[4:5]
	s_waitcnt vmcnt(42) lgkmcnt(7)
	v_mul_f64 v[4:5], v[22:23], v[10:11]
	v_mul_f64 v[56:57], v[20:21], v[10:11]
	v_add_f64 v[52:53], v[52:53], 0
	s_waitcnt vmcnt(36) lgkmcnt(6)
	v_mul_f64 v[58:59], v[24:25], v[64:65]
	v_add_f64 v[52:53], v[52:53], v[54:55]
	s_waitcnt lgkmcnt(5)
	v_mul_f64 v[102:103], v[28:29], v[60:61]
	v_fmac_f64_e32 v[102:103], v[30:31], v[62:63]
	s_waitcnt vmcnt(34) lgkmcnt(3)
	v_mul_f64 v[106:107], v[36:37], v[66:67]
	s_waitcnt vmcnt(30)
	v_mul_f64 v[104:105], v[32:33], v[70:71]
	v_fmac_f64_e32 v[106:107], v[38:39], v[68:69]
	s_waitcnt vmcnt(26) lgkmcnt(2)
	v_mul_f64 v[108:109], v[40:41], v[76:77]
	s_waitcnt vmcnt(25) lgkmcnt(1)
	v_mul_f64 v[110:111], v[44:45], v[72:73]
	s_waitcnt vmcnt(23)
	v_fma_f64 v[4:5], v[20:21], v[78:79], -v[4:5]
	v_add_f64 v[2:3], v[2:3], v[4:5]
	v_mul_f64 v[4:5], v[26:27], v[64:65]
	s_waitcnt vmcnt(21)
	v_fma_f64 v[4:5], v[24:25], v[80:81], -v[4:5]
	v_fmac_f64_e32 v[56:57], v[22:23], v[78:79]
	v_add_f64 v[2:3], v[2:3], v[4:5]
	v_mul_f64 v[4:5], v[30:31], v[60:61]
	v_fmac_f64_e32 v[58:59], v[26:27], v[80:81]
	v_add_f64 v[52:53], v[52:53], v[56:57]
	v_fma_f64 v[4:5], v[28:29], v[62:63], -v[4:5]
	v_add_f64 v[52:53], v[52:53], v[58:59]
	v_add_f64 v[2:3], v[2:3], v[4:5]
	v_mul_f64 v[4:5], v[34:35], v[70:71]
	s_waitcnt vmcnt(19)
	v_fmac_f64_e32 v[104:105], v[34:35], v[82:83]
	v_add_f64 v[52:53], v[52:53], v[102:103]
	v_fma_f64 v[4:5], v[32:33], v[82:83], -v[4:5]
	v_add_f64 v[52:53], v[52:53], v[104:105]
	v_add_f64 v[2:3], v[2:3], v[4:5]
	v_mul_f64 v[4:5], v[38:39], v[66:67]
	s_waitcnt vmcnt(17)
	v_fmac_f64_e32 v[108:109], v[42:43], v[84:85]
	v_add_f64 v[52:53], v[52:53], v[106:107]
	v_fma_f64 v[4:5], v[36:37], v[68:69], -v[4:5]
	s_waitcnt vmcnt(16)
	v_fmac_f64_e32 v[110:111], v[46:47], v[74:75]
	v_add_f64 v[52:53], v[52:53], v[108:109]
	v_add_f64 v[2:3], v[2:3], v[4:5]
	v_mul_f64 v[4:5], v[42:43], v[76:77]
	v_add_f64 v[102:103], v[52:53], v[110:111]
	ds_read_b128 v[52:55], v1 offset:1184
	ds_read_b128 v[56:59], v1 offset:1200
	v_fma_f64 v[4:5], v[40:41], v[84:85], -v[4:5]
	v_add_f64 v[2:3], v[2:3], v[4:5]
	v_mul_f64 v[4:5], v[46:47], v[72:73]
	v_fma_f64 v[4:5], v[44:45], v[74:75], -v[4:5]
	v_add_f64 v[2:3], v[2:3], v[4:5]
	s_waitcnt vmcnt(12) lgkmcnt(2)
	v_mul_f64 v[4:5], v[50:51], v[90:91]
	v_mul_f64 v[104:105], v[48:49], v[90:91]
	s_waitcnt vmcnt(10)
	v_fma_f64 v[4:5], v[48:49], v[92:93], -v[4:5]
	v_fmac_f64_e32 v[104:105], v[50:51], v[92:93]
	v_add_f64 v[2:3], v[2:3], v[4:5]
	s_waitcnt vmcnt(8) lgkmcnt(1)
	v_mul_f64 v[4:5], v[54:55], v[86:87]
	v_add_f64 v[102:103], v[102:103], v[104:105]
	v_mul_f64 v[104:105], v[52:53], v[86:87]
	v_fma_f64 v[4:5], v[52:53], v[88:89], -v[4:5]
	v_fmac_f64_e32 v[104:105], v[54:55], v[88:89]
	v_add_f64 v[2:3], v[2:3], v[4:5]
	s_waitcnt vmcnt(6) lgkmcnt(0)
	v_mul_f64 v[4:5], v[58:59], v[94:95]
	v_add_f64 v[102:103], v[102:103], v[104:105]
	v_mul_f64 v[104:105], v[56:57], v[94:95]
	s_waitcnt vmcnt(4)
	v_fma_f64 v[4:5], v[56:57], v[96:97], -v[4:5]
	v_fmac_f64_e32 v[104:105], v[58:59], v[96:97]
	v_add_f64 v[2:3], v[2:3], v[4:5]
	v_add_f64 v[102:103], v[102:103], v[104:105]
	s_waitcnt vmcnt(2)
	v_add_f64 v[2:3], v[98:99], -v[2:3]
	s_waitcnt vmcnt(0)
	v_add_f64 v[4:5], v[100:101], -v[102:103]
	buffer_store_dword v3, off, s[0:3], 0 offset:420
	buffer_store_dword v2, off, s[0:3], 0 offset:416
	;; [unrolled: 1-line block ×4, first 2 shown]
	s_and_saveexec_b64 s[4:5], vcc
	s_cbranch_execz .LBB101_193
; %bb.192:
	v_accvgpr_read_b32 v1, a88
	buffer_load_dword v2, v1, s[0:3], 0 offen
	buffer_load_dword v3, v1, s[0:3], 0 offen offset:4
	buffer_load_dword v4, v1, s[0:3], 0 offen offset:8
	;; [unrolled: 1-line block ×3, first 2 shown]
	v_mov_b32_e32 v1, 0
	buffer_store_dword v1, off, s[0:3], 0 offset:400
	buffer_store_dword v1, off, s[0:3], 0 offset:404
	;; [unrolled: 1-line block ×4, first 2 shown]
	s_waitcnt vmcnt(4)
	ds_write_b128 v120, v[2:5]
.LBB101_193:
	s_or_b64 exec, exec, s[4:5]
	s_waitcnt lgkmcnt(0)
	; wave barrier
	s_waitcnt lgkmcnt(0)
	buffer_load_dword v2, off, s[0:3], 0 offset:416
	buffer_load_dword v3, off, s[0:3], 0 offset:420
	;; [unrolled: 1-line block ×56, first 2 shown]
	v_mov_b32_e32 v1, 0
	ds_read_b128 v[18:21], v1 offset:1008
	ds_read_b128 v[22:25], v1 offset:1024
	;; [unrolled: 1-line block ×9, first 2 shown]
	v_cmp_lt_u32_e32 vcc, 23, v0
	s_waitcnt vmcnt(52) lgkmcnt(8)
	v_mul_f64 v[50:51], v[18:19], v[6:7]
	v_fmac_f64_e32 v[50:51], v[20:21], v[2:3]
	v_mul_f64 v[6:7], v[20:21], v[6:7]
	v_add_f64 v[50:51], v[50:51], 0
	s_waitcnt vmcnt(48) lgkmcnt(7)
	v_mul_f64 v[52:53], v[22:23], v[8:9]
	v_fmac_f64_e32 v[52:53], v[24:25], v[4:5]
	s_waitcnt vmcnt(46) lgkmcnt(6)
	v_mul_f64 v[54:55], v[26:27], v[10:11]
	v_fma_f64 v[2:3], v[18:19], v[2:3], -v[6:7]
	v_mul_f64 v[6:7], v[24:25], v[8:9]
	v_add_f64 v[50:51], v[50:51], v[52:53]
	v_add_f64 v[2:3], v[2:3], 0
	v_fma_f64 v[4:5], v[22:23], v[4:5], -v[6:7]
	s_waitcnt vmcnt(40) lgkmcnt(5)
	v_mul_f64 v[56:57], v[30:31], v[16:17]
	s_waitcnt lgkmcnt(4)
	v_mul_f64 v[58:59], v[34:35], v[12:13]
	v_add_f64 v[2:3], v[2:3], v[4:5]
	v_mul_f64 v[4:5], v[28:29], v[10:11]
	s_waitcnt vmcnt(36) lgkmcnt(3)
	v_mul_f64 v[60:61], v[38:39], v[74:75]
	v_fmac_f64_e32 v[58:59], v[36:37], v[14:15]
	s_waitcnt vmcnt(35) lgkmcnt(2)
	v_mul_f64 v[62:63], v[42:43], v[70:71]
	s_waitcnt vmcnt(33)
	v_fmac_f64_e32 v[54:55], v[28:29], v[76:77]
	v_add_f64 v[50:51], v[50:51], v[54:55]
	s_waitcnt vmcnt(31)
	v_fmac_f64_e32 v[56:57], v[32:33], v[78:79]
	v_add_f64 v[50:51], v[50:51], v[56:57]
	v_fma_f64 v[4:5], v[26:27], v[76:77], -v[4:5]
	s_waitcnt vmcnt(29)
	v_fmac_f64_e32 v[60:61], v[40:41], v[80:81]
	v_add_f64 v[50:51], v[50:51], v[58:59]
	v_add_f64 v[2:3], v[2:3], v[4:5]
	v_mul_f64 v[4:5], v[32:33], v[16:17]
	s_waitcnt vmcnt(28)
	v_fmac_f64_e32 v[62:63], v[44:45], v[72:73]
	v_add_f64 v[50:51], v[50:51], v[60:61]
	v_fma_f64 v[4:5], v[30:31], v[78:79], -v[4:5]
	v_add_f64 v[54:55], v[50:51], v[62:63]
	ds_read_b128 v[50:53], v1 offset:1136
	s_waitcnt vmcnt(24) lgkmcnt(2)
	v_mul_f64 v[56:57], v[46:47], v[86:87]
	v_add_f64 v[2:3], v[2:3], v[4:5]
	v_mul_f64 v[4:5], v[36:37], v[12:13]
	s_waitcnt vmcnt(22)
	v_fmac_f64_e32 v[56:57], v[48:49], v[88:89]
	v_fma_f64 v[4:5], v[34:35], v[14:15], -v[4:5]
	v_add_f64 v[58:59], v[54:55], v[56:57]
	ds_read_b128 v[54:57], v1 offset:1152
	v_add_f64 v[2:3], v[2:3], v[4:5]
	v_mul_f64 v[4:5], v[40:41], v[74:75]
	v_fma_f64 v[4:5], v[38:39], v[80:81], -v[4:5]
	v_add_f64 v[2:3], v[2:3], v[4:5]
	v_mul_f64 v[4:5], v[44:45], v[70:71]
	s_waitcnt vmcnt(20) lgkmcnt(1)
	v_mul_f64 v[60:61], v[50:51], v[82:83]
	v_fma_f64 v[4:5], v[42:43], v[72:73], -v[4:5]
	v_fmac_f64_e32 v[60:61], v[52:53], v[84:85]
	v_add_f64 v[2:3], v[2:3], v[4:5]
	v_mul_f64 v[4:5], v[48:49], v[86:87]
	v_add_f64 v[62:63], v[58:59], v[60:61]
	ds_read_b128 v[58:61], v1 offset:1168
	s_waitcnt vmcnt(16) lgkmcnt(1)
	v_mul_f64 v[64:65], v[54:55], v[94:95]
	v_fma_f64 v[4:5], v[46:47], v[88:89], -v[4:5]
	s_waitcnt vmcnt(14)
	v_fmac_f64_e32 v[64:65], v[56:57], v[96:97]
	v_add_f64 v[2:3], v[2:3], v[4:5]
	v_mul_f64 v[4:5], v[52:53], v[82:83]
	v_add_f64 v[110:111], v[62:63], v[64:65]
	ds_read_b128 v[62:65], v1 offset:1184
	v_fma_f64 v[4:5], v[50:51], v[84:85], -v[4:5]
	v_add_f64 v[2:3], v[2:3], v[4:5]
	v_mul_f64 v[4:5], v[56:57], v[94:95]
	v_fma_f64 v[4:5], v[54:55], v[96:97], -v[4:5]
	v_add_f64 v[2:3], v[2:3], v[4:5]
	s_waitcnt vmcnt(12) lgkmcnt(1)
	v_mul_f64 v[4:5], v[60:61], v[90:91]
	v_mul_f64 v[112:113], v[58:59], v[90:91]
	v_fma_f64 v[4:5], v[58:59], v[92:93], -v[4:5]
	v_fmac_f64_e32 v[112:113], v[60:61], v[92:93]
	v_add_f64 v[2:3], v[2:3], v[4:5]
	s_waitcnt vmcnt(8) lgkmcnt(0)
	v_mul_f64 v[4:5], v[64:65], v[102:103]
	v_add_f64 v[110:111], v[110:111], v[112:113]
	v_mul_f64 v[112:113], v[62:63], v[102:103]
	s_waitcnt vmcnt(6)
	v_fma_f64 v[4:5], v[62:63], v[104:105], -v[4:5]
	v_fmac_f64_e32 v[112:113], v[64:65], v[104:105]
	v_add_f64 v[2:3], v[2:3], v[4:5]
	s_waitcnt vmcnt(5)
	v_mul_f64 v[4:5], v[68:69], v[98:99]
	v_add_f64 v[110:111], v[110:111], v[112:113]
	v_mul_f64 v[112:113], v[66:67], v[98:99]
	s_waitcnt vmcnt(4)
	v_fma_f64 v[4:5], v[66:67], v[100:101], -v[4:5]
	v_fmac_f64_e32 v[112:113], v[68:69], v[100:101]
	v_add_f64 v[2:3], v[2:3], v[4:5]
	v_add_f64 v[110:111], v[110:111], v[112:113]
	s_waitcnt vmcnt(2)
	v_add_f64 v[2:3], v[106:107], -v[2:3]
	s_waitcnt vmcnt(0)
	v_add_f64 v[4:5], v[108:109], -v[110:111]
	buffer_store_dword v3, off, s[0:3], 0 offset:404
	buffer_store_dword v2, off, s[0:3], 0 offset:400
	;; [unrolled: 1-line block ×4, first 2 shown]
	s_and_saveexec_b64 s[4:5], vcc
	s_cbranch_execz .LBB101_195
; %bb.194:
	v_accvgpr_read_b32 v5, a89
	buffer_load_dword v2, v5, s[0:3], 0 offen
	buffer_load_dword v3, v5, s[0:3], 0 offen offset:4
	buffer_load_dword v4, v5, s[0:3], 0 offen offset:8
	s_nop 0
	buffer_load_dword v5, v5, s[0:3], 0 offen offset:12
	s_nop 0
	buffer_store_dword v1, off, s[0:3], 0 offset:384
	buffer_store_dword v1, off, s[0:3], 0 offset:388
	;; [unrolled: 1-line block ×4, first 2 shown]
	s_waitcnt vmcnt(4)
	ds_write_b128 v120, v[2:5]
.LBB101_195:
	s_or_b64 exec, exec, s[4:5]
	s_waitcnt lgkmcnt(0)
	; wave barrier
	s_waitcnt lgkmcnt(0)
	buffer_load_dword v2, off, s[0:3], 0 offset:400
	buffer_load_dword v3, off, s[0:3], 0 offset:404
	;; [unrolled: 1-line block ×60, first 2 shown]
	ds_read_b128 v[24:27], v1 offset:992
	ds_read_b128 v[28:31], v1 offset:1008
	;; [unrolled: 1-line block ×8, first 2 shown]
	v_cmp_lt_u32_e32 vcc, 22, v0
	ds_read_b128 v[76:79], v1 offset:1200
	s_waitcnt vmcnt(56) lgkmcnt(8)
	v_mul_f64 v[56:57], v[24:25], v[6:7]
	v_fmac_f64_e32 v[56:57], v[26:27], v[2:3]
	v_add_f64 v[56:57], v[56:57], 0
	v_mul_f64 v[6:7], v[26:27], v[6:7]
	s_waitcnt vmcnt(52) lgkmcnt(7)
	v_mul_f64 v[58:59], v[28:29], v[8:9]
	v_fmac_f64_e32 v[58:59], v[30:31], v[4:5]
	s_waitcnt vmcnt(50) lgkmcnt(6)
	v_mul_f64 v[60:61], v[32:33], v[10:11]
	v_add_f64 v[56:57], v[56:57], v[58:59]
	s_waitcnt vmcnt(48) lgkmcnt(4)
	v_mul_f64 v[64:65], v[40:41], v[12:13]
	v_fma_f64 v[2:3], v[24:25], v[2:3], -v[6:7]
	s_waitcnt vmcnt(46)
	v_fmac_f64_e32 v[64:65], v[42:43], v[14:15]
	v_mul_f64 v[6:7], v[30:31], v[8:9]
	s_waitcnt vmcnt(44)
	v_mul_f64 v[62:63], v[36:37], v[16:17]
	v_add_f64 v[2:3], v[2:3], 0
	v_fma_f64 v[4:5], v[28:29], v[4:5], -v[6:7]
	v_add_f64 v[2:3], v[2:3], v[4:5]
	s_waitcnt vmcnt(40) lgkmcnt(3)
	v_mul_f64 v[66:67], v[44:45], v[22:23]
	v_mul_f64 v[4:5], v[34:35], v[10:11]
	s_waitcnt vmcnt(38)
	v_fmac_f64_e32 v[60:61], v[34:35], v[80:81]
	v_add_f64 v[56:57], v[56:57], v[60:61]
	s_waitcnt vmcnt(36)
	v_fmac_f64_e32 v[62:63], v[38:39], v[82:83]
	v_add_f64 v[56:57], v[56:57], v[62:63]
	;; [unrolled: 3-line block ×3, first 2 shown]
	s_waitcnt vmcnt(32) lgkmcnt(2)
	v_mul_f64 v[58:59], v[48:49], v[18:19]
	v_add_f64 v[56:57], v[56:57], v[66:67]
	v_fmac_f64_e32 v[58:59], v[50:51], v[20:21]
	v_add_f64 v[60:61], v[56:57], v[58:59]
	ds_read_b128 v[56:59], v1 offset:1120
	v_fma_f64 v[4:5], v[32:33], v[80:81], -v[4:5]
	v_add_f64 v[2:3], v[2:3], v[4:5]
	v_mul_f64 v[4:5], v[38:39], v[16:17]
	v_fma_f64 v[4:5], v[36:37], v[82:83], -v[4:5]
	s_waitcnt vmcnt(28) lgkmcnt(2)
	v_mul_f64 v[62:63], v[52:53], v[90:91]
	v_add_f64 v[2:3], v[2:3], v[4:5]
	v_mul_f64 v[4:5], v[42:43], v[12:13]
	s_waitcnt vmcnt(26)
	v_fmac_f64_e32 v[62:63], v[54:55], v[92:93]
	v_fma_f64 v[4:5], v[40:41], v[14:15], -v[4:5]
	v_add_f64 v[64:65], v[60:61], v[62:63]
	ds_read_b128 v[60:63], v1 offset:1136
	s_waitcnt vmcnt(24) lgkmcnt(1)
	v_mul_f64 v[66:67], v[56:57], v[86:87]
	v_add_f64 v[2:3], v[2:3], v[4:5]
	v_mul_f64 v[4:5], v[46:47], v[22:23]
	v_fmac_f64_e32 v[66:67], v[58:59], v[88:89]
	v_fma_f64 v[4:5], v[44:45], v[84:85], -v[4:5]
	v_add_f64 v[68:69], v[64:65], v[66:67]
	ds_read_b128 v[64:67], v1 offset:1152
	v_add_f64 v[2:3], v[2:3], v[4:5]
	v_mul_f64 v[4:5], v[50:51], v[18:19]
	v_fma_f64 v[4:5], v[48:49], v[20:21], -v[4:5]
	v_add_f64 v[2:3], v[2:3], v[4:5]
	v_mul_f64 v[4:5], v[54:55], v[90:91]
	s_waitcnt vmcnt(20) lgkmcnt(1)
	v_mul_f64 v[70:71], v[60:61], v[98:99]
	v_fma_f64 v[4:5], v[52:53], v[92:93], -v[4:5]
	s_waitcnt vmcnt(18)
	v_fmac_f64_e32 v[70:71], v[62:63], v[100:101]
	v_add_f64 v[2:3], v[2:3], v[4:5]
	v_mul_f64 v[4:5], v[58:59], v[86:87]
	v_add_f64 v[72:73], v[68:69], v[70:71]
	ds_read_b128 v[68:71], v1 offset:1168
	s_waitcnt vmcnt(16) lgkmcnt(1)
	v_mul_f64 v[74:75], v[64:65], v[94:95]
	v_fma_f64 v[4:5], v[56:57], v[88:89], -v[4:5]
	v_fmac_f64_e32 v[74:75], v[66:67], v[96:97]
	v_add_f64 v[2:3], v[2:3], v[4:5]
	v_mul_f64 v[4:5], v[62:63], v[98:99]
	v_add_f64 v[118:119], v[72:73], v[74:75]
	ds_read_b128 v[72:75], v1 offset:1184
	v_fma_f64 v[4:5], v[60:61], v[100:101], -v[4:5]
	v_add_f64 v[2:3], v[2:3], v[4:5]
	v_mul_f64 v[4:5], v[66:67], v[94:95]
	v_fma_f64 v[4:5], v[64:65], v[96:97], -v[4:5]
	v_add_f64 v[2:3], v[2:3], v[4:5]
	s_waitcnt vmcnt(12) lgkmcnt(1)
	v_mul_f64 v[4:5], v[70:71], v[106:107]
	v_mul_f64 v[122:123], v[68:69], v[106:107]
	s_waitcnt vmcnt(10)
	v_fma_f64 v[4:5], v[68:69], v[108:109], -v[4:5]
	v_fmac_f64_e32 v[122:123], v[70:71], v[108:109]
	v_add_f64 v[2:3], v[2:3], v[4:5]
	s_waitcnt vmcnt(8) lgkmcnt(0)
	v_mul_f64 v[4:5], v[74:75], v[102:103]
	v_add_f64 v[118:119], v[118:119], v[122:123]
	v_mul_f64 v[122:123], v[72:73], v[102:103]
	v_fma_f64 v[4:5], v[72:73], v[104:105], -v[4:5]
	v_fmac_f64_e32 v[122:123], v[74:75], v[104:105]
	v_add_f64 v[2:3], v[2:3], v[4:5]
	s_waitcnt vmcnt(6)
	v_mul_f64 v[4:5], v[78:79], v[110:111]
	v_add_f64 v[118:119], v[118:119], v[122:123]
	v_mul_f64 v[122:123], v[76:77], v[110:111]
	s_waitcnt vmcnt(4)
	v_fma_f64 v[4:5], v[76:77], v[112:113], -v[4:5]
	v_fmac_f64_e32 v[122:123], v[78:79], v[112:113]
	v_add_f64 v[2:3], v[2:3], v[4:5]
	v_add_f64 v[118:119], v[118:119], v[122:123]
	s_waitcnt vmcnt(2)
	v_add_f64 v[2:3], v[114:115], -v[2:3]
	s_waitcnt vmcnt(0)
	v_add_f64 v[4:5], v[116:117], -v[118:119]
	buffer_store_dword v3, off, s[0:3], 0 offset:388
	buffer_store_dword v2, off, s[0:3], 0 offset:384
	;; [unrolled: 1-line block ×4, first 2 shown]
	s_and_saveexec_b64 s[4:5], vcc
	s_cbranch_execz .LBB101_197
; %bb.196:
	v_accvgpr_read_b32 v1, a90
	buffer_load_dword v2, v1, s[0:3], 0 offen
	buffer_load_dword v3, v1, s[0:3], 0 offen offset:4
	buffer_load_dword v4, v1, s[0:3], 0 offen offset:8
	;; [unrolled: 1-line block ×3, first 2 shown]
	v_mov_b32_e32 v1, 0
	buffer_store_dword v1, off, s[0:3], 0 offset:368
	buffer_store_dword v1, off, s[0:3], 0 offset:372
	;; [unrolled: 1-line block ×4, first 2 shown]
	s_waitcnt vmcnt(4)
	ds_write_b128 v120, v[2:5]
.LBB101_197:
	s_or_b64 exec, exec, s[4:5]
	s_waitcnt lgkmcnt(0)
	; wave barrier
	s_waitcnt lgkmcnt(0)
	buffer_load_dword v2, off, s[0:3], 0 offset:384
	buffer_load_dword v3, off, s[0:3], 0 offset:388
	;; [unrolled: 1-line block ×64, first 2 shown]
	v_mov_b32_e32 v1, 0
	ds_read_b128 v[30:33], v1 offset:976
	ds_read_b128 v[34:37], v1 offset:992
	;; [unrolled: 1-line block ×7, first 2 shown]
	v_cmp_lt_u32_e32 vcc, 21, v0
	s_waitcnt vmcnt(60) lgkmcnt(6)
	v_mul_f64 v[54:55], v[30:31], v[6:7]
	v_fmac_f64_e32 v[54:55], v[32:33], v[2:3]
	v_add_f64 v[54:55], v[54:55], 0
	v_mul_f64 v[6:7], v[32:33], v[6:7]
	s_waitcnt vmcnt(56) lgkmcnt(5)
	v_mul_f64 v[56:57], v[34:35], v[8:9]
	v_fmac_f64_e32 v[56:57], v[36:37], v[4:5]
	s_waitcnt vmcnt(54) lgkmcnt(4)
	v_mul_f64 v[58:59], v[38:39], v[10:11]
	v_add_f64 v[54:55], v[54:55], v[56:57]
	v_fma_f64 v[2:3], v[30:31], v[2:3], -v[6:7]
	v_mul_f64 v[6:7], v[36:37], v[8:9]
	s_waitcnt vmcnt(50) lgkmcnt(3)
	v_mul_f64 v[60:61], v[42:43], v[16:17]
	s_waitcnt vmcnt(49) lgkmcnt(2)
	v_mul_f64 v[62:63], v[46:47], v[12:13]
	v_add_f64 v[2:3], v[2:3], 0
	s_waitcnt vmcnt(47)
	v_fmac_f64_e32 v[58:59], v[40:41], v[20:21]
	v_add_f64 v[54:55], v[54:55], v[58:59]
	s_waitcnt vmcnt(45)
	v_fmac_f64_e32 v[60:61], v[44:45], v[18:19]
	;; [unrolled: 3-line block ×3, first 2 shown]
	v_add_f64 v[58:59], v[54:55], v[62:63]
	ds_read_b128 v[54:57], v1 offset:1072
	s_waitcnt vmcnt(40) lgkmcnt(2)
	v_mul_f64 v[60:61], v[50:51], v[26:27]
	v_fma_f64 v[4:5], v[34:35], v[4:5], -v[6:7]
	s_waitcnt vmcnt(38)
	v_fmac_f64_e32 v[60:61], v[52:53], v[28:29]
	v_add_f64 v[62:63], v[58:59], v[60:61]
	ds_read_b128 v[58:61], v1 offset:1088
	s_waitcnt vmcnt(36) lgkmcnt(1)
	v_mul_f64 v[64:65], v[54:55], v[22:23]
	v_fmac_f64_e32 v[64:65], v[56:57], v[24:25]
	v_add_f64 v[2:3], v[2:3], v[4:5]
	v_mul_f64 v[4:5], v[40:41], v[10:11]
	v_add_f64 v[66:67], v[62:63], v[64:65]
	ds_read_b128 v[62:65], v1 offset:1104
	s_waitcnt vmcnt(32) lgkmcnt(1)
	v_mul_f64 v[68:69], v[58:59], v[94:95]
	v_fma_f64 v[4:5], v[38:39], v[20:21], -v[4:5]
	s_waitcnt vmcnt(30)
	v_fmac_f64_e32 v[68:69], v[60:61], v[96:97]
	v_add_f64 v[2:3], v[2:3], v[4:5]
	v_mul_f64 v[4:5], v[44:45], v[16:17]
	v_add_f64 v[70:71], v[66:67], v[68:69]
	ds_read_b128 v[66:69], v1 offset:1120
	v_fma_f64 v[4:5], v[42:43], v[18:19], -v[4:5]
	v_add_f64 v[2:3], v[2:3], v[4:5]
	v_mul_f64 v[4:5], v[48:49], v[12:13]
	v_fma_f64 v[4:5], v[46:47], v[14:15], -v[4:5]
	s_waitcnt vmcnt(28) lgkmcnt(1)
	v_mul_f64 v[72:73], v[62:63], v[90:91]
	v_add_f64 v[2:3], v[2:3], v[4:5]
	v_mul_f64 v[4:5], v[52:53], v[26:27]
	v_fmac_f64_e32 v[72:73], v[64:65], v[92:93]
	v_fma_f64 v[4:5], v[50:51], v[28:29], -v[4:5]
	v_add_f64 v[74:75], v[70:71], v[72:73]
	ds_read_b128 v[70:73], v1 offset:1136
	s_waitcnt vmcnt(24) lgkmcnt(1)
	v_mul_f64 v[76:77], v[66:67], v[102:103]
	v_add_f64 v[2:3], v[2:3], v[4:5]
	v_mul_f64 v[4:5], v[56:57], v[22:23]
	s_waitcnt vmcnt(22)
	v_fmac_f64_e32 v[76:77], v[68:69], v[104:105]
	v_fma_f64 v[4:5], v[54:55], v[24:25], -v[4:5]
	v_add_f64 v[78:79], v[74:75], v[76:77]
	ds_read_b128 v[74:77], v1 offset:1152
	v_add_f64 v[2:3], v[2:3], v[4:5]
	v_mul_f64 v[4:5], v[60:61], v[94:95]
	v_fma_f64 v[4:5], v[58:59], v[96:97], -v[4:5]
	v_add_f64 v[2:3], v[2:3], v[4:5]
	v_mul_f64 v[4:5], v[64:65], v[90:91]
	s_waitcnt vmcnt(20) lgkmcnt(1)
	v_mul_f64 v[80:81], v[70:71], v[98:99]
	v_fma_f64 v[4:5], v[62:63], v[92:93], -v[4:5]
	v_fmac_f64_e32 v[80:81], v[72:73], v[100:101]
	v_add_f64 v[2:3], v[2:3], v[4:5]
	v_mul_f64 v[4:5], v[68:69], v[102:103]
	v_add_f64 v[82:83], v[78:79], v[80:81]
	ds_read_b128 v[78:81], v1 offset:1168
	s_waitcnt vmcnt(16) lgkmcnt(1)
	v_mul_f64 v[84:85], v[74:75], v[110:111]
	v_fma_f64 v[4:5], v[66:67], v[104:105], -v[4:5]
	s_waitcnt vmcnt(14)
	v_fmac_f64_e32 v[84:85], v[76:77], v[112:113]
	v_add_f64 v[2:3], v[2:3], v[4:5]
	v_mul_f64 v[4:5], v[72:73], v[98:99]
	v_add_f64 v[128:129], v[82:83], v[84:85]
	ds_read_b128 v[82:85], v1 offset:1184
	v_fma_f64 v[4:5], v[70:71], v[100:101], -v[4:5]
	v_add_f64 v[2:3], v[2:3], v[4:5]
	v_mul_f64 v[4:5], v[76:77], v[110:111]
	v_fma_f64 v[4:5], v[74:75], v[112:113], -v[4:5]
	v_add_f64 v[2:3], v[2:3], v[4:5]
	s_waitcnt vmcnt(12) lgkmcnt(1)
	v_mul_f64 v[4:5], v[80:81], v[106:107]
	v_mul_f64 v[130:131], v[78:79], v[106:107]
	v_fma_f64 v[4:5], v[78:79], v[108:109], -v[4:5]
	v_fmac_f64_e32 v[130:131], v[80:81], v[108:109]
	v_add_f64 v[2:3], v[2:3], v[4:5]
	s_waitcnt vmcnt(8) lgkmcnt(0)
	v_mul_f64 v[4:5], v[84:85], v[118:119]
	v_add_f64 v[128:129], v[128:129], v[130:131]
	v_mul_f64 v[130:131], v[82:83], v[118:119]
	s_waitcnt vmcnt(6)
	v_fma_f64 v[4:5], v[82:83], v[122:123], -v[4:5]
	v_fmac_f64_e32 v[130:131], v[84:85], v[122:123]
	v_add_f64 v[2:3], v[2:3], v[4:5]
	s_waitcnt vmcnt(5)
	v_mul_f64 v[4:5], v[88:89], v[114:115]
	v_add_f64 v[128:129], v[128:129], v[130:131]
	v_mul_f64 v[130:131], v[86:87], v[114:115]
	s_waitcnt vmcnt(4)
	v_fma_f64 v[4:5], v[86:87], v[116:117], -v[4:5]
	v_fmac_f64_e32 v[130:131], v[88:89], v[116:117]
	v_add_f64 v[2:3], v[2:3], v[4:5]
	v_add_f64 v[128:129], v[128:129], v[130:131]
	s_waitcnt vmcnt(2)
	v_add_f64 v[2:3], v[124:125], -v[2:3]
	s_waitcnt vmcnt(0)
	v_add_f64 v[4:5], v[126:127], -v[128:129]
	buffer_store_dword v3, off, s[0:3], 0 offset:372
	buffer_store_dword v2, off, s[0:3], 0 offset:368
	;; [unrolled: 1-line block ×4, first 2 shown]
	s_and_saveexec_b64 s[4:5], vcc
	s_cbranch_execz .LBB101_199
; %bb.198:
	v_accvgpr_read_b32 v5, a91
	buffer_load_dword v2, v5, s[0:3], 0 offen
	buffer_load_dword v3, v5, s[0:3], 0 offen offset:4
	buffer_load_dword v4, v5, s[0:3], 0 offen offset:8
	s_nop 0
	buffer_load_dword v5, v5, s[0:3], 0 offen offset:12
	s_nop 0
	buffer_store_dword v1, off, s[0:3], 0 offset:352
	buffer_store_dword v1, off, s[0:3], 0 offset:356
	;; [unrolled: 1-line block ×4, first 2 shown]
	s_waitcnt vmcnt(4)
	ds_write_b128 v120, v[2:5]
.LBB101_199:
	s_or_b64 exec, exec, s[4:5]
	s_waitcnt lgkmcnt(0)
	; wave barrier
	s_waitcnt lgkmcnt(0)
	buffer_load_dword v2, off, s[0:3], 0 offset:368
	buffer_load_dword v3, off, s[0:3], 0 offset:372
	;; [unrolled: 1-line block ×64, first 2 shown]
	ds_read_b128 v[38:41], v1 offset:960
	ds_read_b128 v[42:45], v1 offset:976
	;; [unrolled: 1-line block ×4, first 2 shown]
	buffer_load_dword v132, off, s[0:3], 0 offset:352
	buffer_load_dword v133, off, s[0:3], 0 offset:356
	buffer_load_dword v134, off, s[0:3], 0 offset:360
	buffer_load_dword v135, off, s[0:3], 0 offset:364
	v_cmp_lt_u32_e32 vcc, 20, v0
	ds_read_b128 v[98:101], v1 offset:1200
	s_waitcnt vmcnt(62) lgkmcnt(4)
	v_mul_f64 v[54:55], v[38:39], v[4:5]
	v_fmac_f64_e32 v[54:55], v[40:41], v[2:3]
	s_waitcnt lgkmcnt(3)
	v_mul_f64 v[56:57], v[42:43], v[6:7]
	v_add_f64 v[54:55], v[54:55], 0
	s_waitcnt vmcnt(60) lgkmcnt(2)
	v_mul_f64 v[58:59], v[46:47], v[8:9]
	v_mul_f64 v[4:5], v[40:41], v[4:5]
	v_fma_f64 v[2:3], v[38:39], v[2:3], -v[4:5]
	v_mul_f64 v[4:5], v[44:45], v[6:7]
	s_waitcnt vmcnt(56) lgkmcnt(1)
	v_mul_f64 v[60:61], v[50:51], v[14:15]
	v_add_f64 v[2:3], v[2:3], 0
	s_waitcnt vmcnt(54)
	v_fmac_f64_e32 v[56:57], v[44:45], v[20:21]
	v_add_f64 v[62:63], v[54:55], v[56:57]
	ds_read_b128 v[54:57], v1 offset:1024
	s_waitcnt vmcnt(52)
	v_fmac_f64_e32 v[58:59], v[48:49], v[18:19]
	v_add_f64 v[58:59], v[62:63], v[58:59]
	s_waitcnt vmcnt(50)
	v_fmac_f64_e32 v[60:61], v[52:53], v[16:17]
	v_add_f64 v[62:63], v[58:59], v[60:61]
	ds_read_b128 v[58:61], v1 offset:1040
	s_waitcnt vmcnt(48) lgkmcnt(1)
	v_mul_f64 v[64:65], v[54:55], v[10:11]
	v_fmac_f64_e32 v[64:65], v[56:57], v[12:13]
	v_add_f64 v[66:67], v[62:63], v[64:65]
	ds_read_b128 v[62:65], v1 offset:1056
	s_waitcnt vmcnt(44) lgkmcnt(1)
	v_mul_f64 v[68:69], v[58:59], v[26:27]
	s_waitcnt vmcnt(42)
	v_fmac_f64_e32 v[68:69], v[60:61], v[28:29]
	v_add_f64 v[70:71], v[66:67], v[68:69]
	ds_read_b128 v[66:69], v1 offset:1072
	s_waitcnt vmcnt(40) lgkmcnt(1)
	v_mul_f64 v[72:73], v[62:63], v[22:23]
	v_fmac_f64_e32 v[72:73], v[64:65], v[24:25]
	v_add_f64 v[74:75], v[70:71], v[72:73]
	ds_read_b128 v[70:73], v1 offset:1088
	v_fma_f64 v[4:5], v[42:43], v[20:21], -v[4:5]
	v_add_f64 v[2:3], v[2:3], v[4:5]
	v_mul_f64 v[4:5], v[48:49], v[8:9]
	s_waitcnt vmcnt(36) lgkmcnt(1)
	v_mul_f64 v[76:77], v[66:67], v[34:35]
	v_fma_f64 v[4:5], v[46:47], v[18:19], -v[4:5]
	s_waitcnt vmcnt(34)
	v_fmac_f64_e32 v[76:77], v[68:69], v[36:37]
	v_add_f64 v[2:3], v[2:3], v[4:5]
	v_mul_f64 v[4:5], v[52:53], v[14:15]
	v_add_f64 v[78:79], v[74:75], v[76:77]
	ds_read_b128 v[74:77], v1 offset:1104
	s_waitcnt vmcnt(32) lgkmcnt(1)
	v_mul_f64 v[80:81], v[70:71], v[30:31]
	v_fma_f64 v[4:5], v[50:51], v[16:17], -v[4:5]
	v_fmac_f64_e32 v[80:81], v[72:73], v[32:33]
	v_add_f64 v[2:3], v[2:3], v[4:5]
	v_mul_f64 v[4:5], v[56:57], v[10:11]
	v_add_f64 v[82:83], v[78:79], v[80:81]
	ds_read_b128 v[78:81], v1 offset:1120
	v_fma_f64 v[4:5], v[54:55], v[12:13], -v[4:5]
	v_add_f64 v[2:3], v[2:3], v[4:5]
	v_mul_f64 v[4:5], v[60:61], v[26:27]
	v_fma_f64 v[4:5], v[58:59], v[28:29], -v[4:5]
	s_waitcnt vmcnt(28) lgkmcnt(1)
	v_mul_f64 v[84:85], v[74:75], v[106:107]
	v_add_f64 v[2:3], v[2:3], v[4:5]
	v_mul_f64 v[4:5], v[64:65], v[22:23]
	s_waitcnt vmcnt(26)
	v_fmac_f64_e32 v[84:85], v[76:77], v[108:109]
	v_fma_f64 v[4:5], v[62:63], v[24:25], -v[4:5]
	v_add_f64 v[86:87], v[82:83], v[84:85]
	ds_read_b128 v[82:85], v1 offset:1136
	s_waitcnt vmcnt(24) lgkmcnt(1)
	v_mul_f64 v[88:89], v[78:79], v[102:103]
	v_add_f64 v[2:3], v[2:3], v[4:5]
	v_mul_f64 v[4:5], v[68:69], v[34:35]
	v_fmac_f64_e32 v[88:89], v[80:81], v[104:105]
	v_fma_f64 v[4:5], v[66:67], v[36:37], -v[4:5]
	v_add_f64 v[90:91], v[86:87], v[88:89]
	ds_read_b128 v[86:89], v1 offset:1152
	v_add_f64 v[2:3], v[2:3], v[4:5]
	v_mul_f64 v[4:5], v[72:73], v[30:31]
	v_fma_f64 v[4:5], v[70:71], v[32:33], -v[4:5]
	v_add_f64 v[2:3], v[2:3], v[4:5]
	v_mul_f64 v[4:5], v[76:77], v[106:107]
	s_waitcnt vmcnt(20) lgkmcnt(1)
	v_mul_f64 v[92:93], v[82:83], v[114:115]
	v_fma_f64 v[4:5], v[74:75], v[108:109], -v[4:5]
	s_waitcnt vmcnt(18)
	v_fmac_f64_e32 v[92:93], v[84:85], v[116:117]
	v_add_f64 v[2:3], v[2:3], v[4:5]
	v_mul_f64 v[4:5], v[80:81], v[102:103]
	v_add_f64 v[94:95], v[90:91], v[92:93]
	ds_read_b128 v[90:93], v1 offset:1168
	s_waitcnt vmcnt(16) lgkmcnt(1)
	v_mul_f64 v[96:97], v[86:87], v[110:111]
	v_fma_f64 v[4:5], v[78:79], v[104:105], -v[4:5]
	v_fmac_f64_e32 v[96:97], v[88:89], v[112:113]
	v_add_f64 v[2:3], v[2:3], v[4:5]
	v_mul_f64 v[4:5], v[84:85], v[114:115]
	v_add_f64 v[136:137], v[94:95], v[96:97]
	ds_read_b128 v[94:97], v1 offset:1184
	v_fma_f64 v[4:5], v[82:83], v[116:117], -v[4:5]
	v_add_f64 v[2:3], v[2:3], v[4:5]
	v_mul_f64 v[4:5], v[88:89], v[110:111]
	v_fma_f64 v[4:5], v[86:87], v[112:113], -v[4:5]
	v_add_f64 v[2:3], v[2:3], v[4:5]
	s_waitcnt vmcnt(12) lgkmcnt(1)
	v_mul_f64 v[4:5], v[92:93], v[124:125]
	v_mul_f64 v[138:139], v[90:91], v[124:125]
	s_waitcnt vmcnt(10)
	v_fma_f64 v[4:5], v[90:91], v[126:127], -v[4:5]
	v_fmac_f64_e32 v[138:139], v[92:93], v[126:127]
	v_add_f64 v[2:3], v[2:3], v[4:5]
	s_waitcnt vmcnt(8) lgkmcnt(0)
	v_mul_f64 v[4:5], v[96:97], v[118:119]
	v_add_f64 v[136:137], v[136:137], v[138:139]
	v_mul_f64 v[138:139], v[94:95], v[118:119]
	v_fma_f64 v[4:5], v[94:95], v[122:123], -v[4:5]
	v_fmac_f64_e32 v[138:139], v[96:97], v[122:123]
	v_add_f64 v[2:3], v[2:3], v[4:5]
	s_waitcnt vmcnt(6)
	v_mul_f64 v[4:5], v[100:101], v[128:129]
	v_add_f64 v[136:137], v[136:137], v[138:139]
	v_mul_f64 v[138:139], v[98:99], v[128:129]
	s_waitcnt vmcnt(4)
	v_fma_f64 v[4:5], v[98:99], v[130:131], -v[4:5]
	v_fmac_f64_e32 v[138:139], v[100:101], v[130:131]
	v_add_f64 v[2:3], v[2:3], v[4:5]
	v_add_f64 v[136:137], v[136:137], v[138:139]
	s_waitcnt vmcnt(2)
	v_add_f64 v[2:3], v[132:133], -v[2:3]
	s_waitcnt vmcnt(0)
	v_add_f64 v[4:5], v[134:135], -v[136:137]
	buffer_store_dword v3, off, s[0:3], 0 offset:356
	buffer_store_dword v2, off, s[0:3], 0 offset:352
	;; [unrolled: 1-line block ×4, first 2 shown]
	s_and_saveexec_b64 s[4:5], vcc
	s_cbranch_execz .LBB101_201
; %bb.200:
	v_accvgpr_read_b32 v1, a92
	buffer_load_dword v2, v1, s[0:3], 0 offen
	buffer_load_dword v3, v1, s[0:3], 0 offen offset:4
	buffer_load_dword v4, v1, s[0:3], 0 offen offset:8
	;; [unrolled: 1-line block ×3, first 2 shown]
	v_mov_b32_e32 v1, 0
	buffer_store_dword v1, off, s[0:3], 0 offset:336
	buffer_store_dword v1, off, s[0:3], 0 offset:340
	buffer_store_dword v1, off, s[0:3], 0 offset:344
	buffer_store_dword v1, off, s[0:3], 0 offset:348
	s_waitcnt vmcnt(4)
	ds_write_b128 v120, v[2:5]
.LBB101_201:
	s_or_b64 exec, exec, s[4:5]
	s_waitcnt lgkmcnt(0)
	; wave barrier
	s_waitcnt lgkmcnt(0)
	buffer_load_dword v2, off, s[0:3], 0 offset:352
	buffer_load_dword v3, off, s[0:3], 0 offset:356
	;; [unrolled: 1-line block ×68, first 2 shown]
	v_mov_b32_e32 v1, 0
	buffer_load_dword v140, off, s[0:3], 0 offset:336
	buffer_load_dword v141, off, s[0:3], 0 offset:340
	;; [unrolled: 1-line block ×3, first 2 shown]
	ds_read_b128 v[46:49], v1 offset:944
	ds_read_b128 v[50:53], v1 offset:960
	buffer_load_dword v143, off, s[0:3], 0 offset:348
	ds_read_b128 v[54:57], v1 offset:976
	ds_read_b128 v[58:61], v1 offset:992
	;; [unrolled: 1-line block ×3, first 2 shown]
	v_cmp_lt_u32_e32 vcc, 19, v0
	s_waitcnt vmcnt(62) lgkmcnt(4)
	v_mul_f64 v[62:63], v[46:47], v[6:7]
	v_fmac_f64_e32 v[62:63], v[48:49], v[2:3]
	v_add_f64 v[62:63], v[62:63], 0
	v_mul_f64 v[6:7], v[48:49], v[6:7]
	s_waitcnt lgkmcnt(3)
	v_mul_f64 v[64:65], v[50:51], v[10:11]
	v_fmac_f64_e32 v[64:65], v[52:53], v[4:5]
	v_add_f64 v[62:63], v[62:63], v[64:65]
	v_fma_f64 v[2:3], v[46:47], v[2:3], -v[6:7]
	s_waitcnt vmcnt(60) lgkmcnt(2)
	v_mul_f64 v[64:65], v[54:55], v[12:13]
	v_fmac_f64_e32 v[64:65], v[56:57], v[8:9]
	v_add_f64 v[66:67], v[62:63], v[64:65]
	ds_read_b128 v[62:65], v1 offset:1008
	s_waitcnt vmcnt(56) lgkmcnt(2)
	v_mul_f64 v[68:69], v[58:59], v[18:19]
	v_mul_f64 v[6:7], v[52:53], v[10:11]
	s_waitcnt vmcnt(54)
	v_fmac_f64_e32 v[68:69], v[60:61], v[20:21]
	v_add_f64 v[70:71], v[66:67], v[68:69]
	ds_read_b128 v[66:69], v1 offset:1024
	s_waitcnt vmcnt(53) lgkmcnt(1)
	v_mul_f64 v[72:73], v[62:63], v[14:15]
	s_waitcnt vmcnt(52)
	v_fmac_f64_e32 v[72:73], v[64:65], v[16:17]
	v_add_f64 v[74:75], v[70:71], v[72:73]
	ds_read_b128 v[70:73], v1 offset:1040
	s_waitcnt vmcnt(48) lgkmcnt(1)
	;; [unrolled: 6-line block ×4, first 2 shown]
	v_mul_f64 v[84:85], v[74:75], v[34:35]
	s_waitcnt vmcnt(38)
	v_fmac_f64_e32 v[84:85], v[76:77], v[36:37]
	v_add_f64 v[2:3], v[2:3], 0
	v_fma_f64 v[4:5], v[50:51], v[4:5], -v[6:7]
	v_add_f64 v[86:87], v[82:83], v[84:85]
	ds_read_b128 v[82:85], v1 offset:1088
	v_add_f64 v[2:3], v[2:3], v[4:5]
	v_mul_f64 v[4:5], v[56:57], v[12:13]
	v_fma_f64 v[4:5], v[54:55], v[8:9], -v[4:5]
	v_add_f64 v[2:3], v[2:3], v[4:5]
	v_mul_f64 v[4:5], v[60:61], v[18:19]
	s_waitcnt vmcnt(37) lgkmcnt(1)
	v_mul_f64 v[88:89], v[78:79], v[30:31]
	v_fma_f64 v[4:5], v[58:59], v[20:21], -v[4:5]
	s_waitcnt vmcnt(36)
	v_fmac_f64_e32 v[88:89], v[80:81], v[32:33]
	v_add_f64 v[2:3], v[2:3], v[4:5]
	v_mul_f64 v[4:5], v[64:65], v[14:15]
	v_add_f64 v[90:91], v[86:87], v[88:89]
	ds_read_b128 v[86:89], v1 offset:1104
	s_waitcnt vmcnt(32) lgkmcnt(1)
	v_mul_f64 v[92:93], v[82:83], v[42:43]
	v_fma_f64 v[4:5], v[62:63], v[16:17], -v[4:5]
	s_waitcnt vmcnt(30)
	v_fmac_f64_e32 v[92:93], v[84:85], v[44:45]
	v_add_f64 v[2:3], v[2:3], v[4:5]
	v_mul_f64 v[4:5], v[68:69], v[26:27]
	v_add_f64 v[94:95], v[90:91], v[92:93]
	ds_read_b128 v[90:93], v1 offset:1120
	v_fma_f64 v[4:5], v[66:67], v[28:29], -v[4:5]
	v_add_f64 v[2:3], v[2:3], v[4:5]
	v_mul_f64 v[4:5], v[72:73], v[22:23]
	v_fma_f64 v[4:5], v[70:71], v[24:25], -v[4:5]
	s_waitcnt vmcnt(29) lgkmcnt(1)
	v_mul_f64 v[96:97], v[86:87], v[38:39]
	v_add_f64 v[2:3], v[2:3], v[4:5]
	v_mul_f64 v[4:5], v[76:77], v[34:35]
	s_waitcnt vmcnt(28)
	v_fmac_f64_e32 v[96:97], v[88:89], v[40:41]
	v_fma_f64 v[4:5], v[74:75], v[36:37], -v[4:5]
	v_add_f64 v[98:99], v[94:95], v[96:97]
	ds_read_b128 v[94:97], v1 offset:1136
	s_waitcnt vmcnt(24) lgkmcnt(1)
	v_mul_f64 v[100:101], v[90:91], v[118:119]
	v_add_f64 v[2:3], v[2:3], v[4:5]
	v_mul_f64 v[4:5], v[80:81], v[30:31]
	s_waitcnt vmcnt(22)
	v_fmac_f64_e32 v[100:101], v[92:93], v[122:123]
	v_fma_f64 v[4:5], v[78:79], v[32:33], -v[4:5]
	v_add_f64 v[102:103], v[98:99], v[100:101]
	ds_read_b128 v[98:101], v1 offset:1152
	v_add_f64 v[2:3], v[2:3], v[4:5]
	v_mul_f64 v[4:5], v[84:85], v[42:43]
	v_fma_f64 v[4:5], v[82:83], v[44:45], -v[4:5]
	v_add_f64 v[2:3], v[2:3], v[4:5]
	v_mul_f64 v[4:5], v[88:89], v[38:39]
	s_waitcnt vmcnt(21) lgkmcnt(1)
	v_mul_f64 v[104:105], v[94:95], v[114:115]
	v_fma_f64 v[4:5], v[86:87], v[40:41], -v[4:5]
	s_waitcnt vmcnt(20)
	v_fmac_f64_e32 v[104:105], v[96:97], v[116:117]
	v_add_f64 v[2:3], v[2:3], v[4:5]
	v_mul_f64 v[4:5], v[92:93], v[118:119]
	v_add_f64 v[106:107], v[102:103], v[104:105]
	ds_read_b128 v[102:105], v1 offset:1168
	s_waitcnt vmcnt(16) lgkmcnt(1)
	v_mul_f64 v[108:109], v[98:99], v[128:129]
	v_fma_f64 v[4:5], v[90:91], v[122:123], -v[4:5]
	s_waitcnt vmcnt(14)
	v_fmac_f64_e32 v[108:109], v[100:101], v[130:131]
	v_add_f64 v[2:3], v[2:3], v[4:5]
	v_mul_f64 v[4:5], v[96:97], v[114:115]
	v_add_f64 v[144:145], v[106:107], v[108:109]
	ds_read_b128 v[106:109], v1 offset:1184
	v_fma_f64 v[4:5], v[94:95], v[116:117], -v[4:5]
	v_add_f64 v[2:3], v[2:3], v[4:5]
	v_mul_f64 v[4:5], v[100:101], v[128:129]
	v_fma_f64 v[4:5], v[98:99], v[130:131], -v[4:5]
	v_add_f64 v[2:3], v[2:3], v[4:5]
	s_waitcnt vmcnt(13) lgkmcnt(1)
	v_mul_f64 v[4:5], v[104:105], v[124:125]
	v_mul_f64 v[146:147], v[102:103], v[124:125]
	s_waitcnt vmcnt(12)
	v_fma_f64 v[4:5], v[102:103], v[126:127], -v[4:5]
	v_fmac_f64_e32 v[146:147], v[104:105], v[126:127]
	v_add_f64 v[2:3], v[2:3], v[4:5]
	s_waitcnt vmcnt(8) lgkmcnt(0)
	v_mul_f64 v[4:5], v[108:109], v[136:137]
	v_add_f64 v[144:145], v[144:145], v[146:147]
	v_mul_f64 v[146:147], v[106:107], v[136:137]
	s_waitcnt vmcnt(6)
	v_fma_f64 v[4:5], v[106:107], v[138:139], -v[4:5]
	v_fmac_f64_e32 v[146:147], v[108:109], v[138:139]
	v_add_f64 v[2:3], v[2:3], v[4:5]
	s_waitcnt vmcnt(5)
	v_mul_f64 v[4:5], v[112:113], v[132:133]
	v_add_f64 v[144:145], v[144:145], v[146:147]
	v_mul_f64 v[146:147], v[110:111], v[132:133]
	s_waitcnt vmcnt(4)
	v_fma_f64 v[4:5], v[110:111], v[134:135], -v[4:5]
	v_fmac_f64_e32 v[146:147], v[112:113], v[134:135]
	v_add_f64 v[2:3], v[2:3], v[4:5]
	v_add_f64 v[144:145], v[144:145], v[146:147]
	s_waitcnt vmcnt(2)
	v_add_f64 v[2:3], v[140:141], -v[2:3]
	s_waitcnt vmcnt(0)
	v_add_f64 v[4:5], v[142:143], -v[144:145]
	buffer_store_dword v3, off, s[0:3], 0 offset:340
	buffer_store_dword v2, off, s[0:3], 0 offset:336
	;; [unrolled: 1-line block ×4, first 2 shown]
	s_and_saveexec_b64 s[4:5], vcc
	s_cbranch_execz .LBB101_203
; %bb.202:
	v_accvgpr_read_b32 v5, a93
	buffer_load_dword v2, v5, s[0:3], 0 offen
	buffer_load_dword v3, v5, s[0:3], 0 offen offset:4
	buffer_load_dword v4, v5, s[0:3], 0 offen offset:8
	s_nop 0
	buffer_load_dword v5, v5, s[0:3], 0 offen offset:12
	s_nop 0
	buffer_store_dword v1, off, s[0:3], 0 offset:320
	buffer_store_dword v1, off, s[0:3], 0 offset:324
	;; [unrolled: 1-line block ×4, first 2 shown]
	s_waitcnt vmcnt(4)
	ds_write_b128 v120, v[2:5]
.LBB101_203:
	s_or_b64 exec, exec, s[4:5]
	s_waitcnt lgkmcnt(0)
	; wave barrier
	s_waitcnt lgkmcnt(0)
	buffer_load_dword v2, off, s[0:3], 0 offset:336
	buffer_load_dword v3, off, s[0:3], 0 offset:340
	;; [unrolled: 1-line block ×72, first 2 shown]
	ds_read_b128 v[52:55], v1 offset:928
	buffer_load_dword v148, off, s[0:3], 0 offset:320
	buffer_load_dword v149, off, s[0:3], 0 offset:324
	;; [unrolled: 1-line block ×4, first 2 shown]
	ds_read_b128 v[56:59], v1 offset:944
	ds_read_b128 v[60:63], v1 offset:960
	;; [unrolled: 1-line block ×3, first 2 shown]
	v_cmp_lt_u32_e32 vcc, 18, v0
	ds_read_b128 v[122:125], v1 offset:1200
	s_waitcnt vmcnt(62) lgkmcnt(4)
	v_mul_f64 v[68:69], v[52:53], v[8:9]
	v_fmac_f64_e32 v[68:69], v[54:55], v[2:3]
	v_add_f64 v[68:69], v[68:69], 0
	v_mul_f64 v[8:9], v[54:55], v[8:9]
	s_waitcnt lgkmcnt(3)
	v_mul_f64 v[70:71], v[56:57], v[10:11]
	v_fmac_f64_e32 v[70:71], v[58:59], v[4:5]
	v_add_f64 v[68:69], v[68:69], v[70:71]
	v_fma_f64 v[2:3], v[52:53], v[2:3], -v[8:9]
	s_waitcnt lgkmcnt(2)
	v_mul_f64 v[70:71], v[60:61], v[12:13]
	v_fmac_f64_e32 v[70:71], v[62:63], v[6:7]
	v_add_f64 v[72:73], v[68:69], v[70:71]
	ds_read_b128 v[68:71], v1 offset:992
	s_waitcnt vmcnt(60) lgkmcnt(2)
	v_mul_f64 v[74:75], v[64:65], v[18:19]
	v_mul_f64 v[8:9], v[58:59], v[10:11]
	s_waitcnt vmcnt(58)
	v_fmac_f64_e32 v[74:75], v[66:67], v[20:21]
	v_add_f64 v[76:77], v[72:73], v[74:75]
	ds_read_b128 v[72:75], v1 offset:1008
	s_waitcnt vmcnt(57) lgkmcnt(1)
	v_mul_f64 v[78:79], v[68:69], v[14:15]
	s_waitcnt vmcnt(56)
	v_fmac_f64_e32 v[78:79], v[70:71], v[16:17]
	v_add_f64 v[80:81], v[76:77], v[78:79]
	ds_read_b128 v[76:79], v1 offset:1024
	s_waitcnt vmcnt(52) lgkmcnt(1)
	;; [unrolled: 6-line block ×4, first 2 shown]
	v_mul_f64 v[90:91], v[80:81], v[34:35]
	s_waitcnt vmcnt(42)
	v_fmac_f64_e32 v[90:91], v[82:83], v[36:37]
	v_add_f64 v[2:3], v[2:3], 0
	v_fma_f64 v[4:5], v[56:57], v[4:5], -v[8:9]
	v_add_f64 v[92:93], v[88:89], v[90:91]
	ds_read_b128 v[88:91], v1 offset:1072
	s_waitcnt vmcnt(41) lgkmcnt(1)
	v_mul_f64 v[94:95], v[84:85], v[30:31]
	v_add_f64 v[2:3], v[2:3], v[4:5]
	v_mul_f64 v[4:5], v[62:63], v[12:13]
	s_waitcnt vmcnt(40)
	v_fmac_f64_e32 v[94:95], v[86:87], v[32:33]
	v_fma_f64 v[4:5], v[60:61], v[6:7], -v[4:5]
	v_add_f64 v[96:97], v[92:93], v[94:95]
	ds_read_b128 v[92:95], v1 offset:1088
	v_add_f64 v[2:3], v[2:3], v[4:5]
	v_mul_f64 v[4:5], v[66:67], v[18:19]
	v_fma_f64 v[4:5], v[64:65], v[20:21], -v[4:5]
	v_add_f64 v[2:3], v[2:3], v[4:5]
	v_mul_f64 v[4:5], v[70:71], v[14:15]
	s_waitcnt vmcnt(36) lgkmcnt(1)
	v_mul_f64 v[98:99], v[88:89], v[42:43]
	v_fma_f64 v[4:5], v[68:69], v[16:17], -v[4:5]
	s_waitcnt vmcnt(34)
	v_fmac_f64_e32 v[98:99], v[90:91], v[44:45]
	v_add_f64 v[2:3], v[2:3], v[4:5]
	v_mul_f64 v[4:5], v[74:75], v[26:27]
	v_add_f64 v[100:101], v[96:97], v[98:99]
	ds_read_b128 v[96:99], v1 offset:1104
	s_waitcnt vmcnt(33) lgkmcnt(1)
	v_mul_f64 v[102:103], v[92:93], v[38:39]
	v_fma_f64 v[4:5], v[72:73], v[28:29], -v[4:5]
	s_waitcnt vmcnt(32)
	v_fmac_f64_e32 v[102:103], v[94:95], v[40:41]
	v_add_f64 v[2:3], v[2:3], v[4:5]
	v_mul_f64 v[4:5], v[78:79], v[22:23]
	v_add_f64 v[104:105], v[100:101], v[102:103]
	ds_read_b128 v[100:103], v1 offset:1120
	v_fma_f64 v[4:5], v[76:77], v[24:25], -v[4:5]
	v_add_f64 v[2:3], v[2:3], v[4:5]
	v_mul_f64 v[4:5], v[82:83], v[34:35]
	v_fma_f64 v[4:5], v[80:81], v[36:37], -v[4:5]
	s_waitcnt vmcnt(28) lgkmcnt(1)
	v_mul_f64 v[106:107], v[96:97], v[50:51]
	v_add_f64 v[2:3], v[2:3], v[4:5]
	v_mul_f64 v[4:5], v[86:87], v[30:31]
	s_waitcnt vmcnt(26)
	v_fmac_f64_e32 v[106:107], v[98:99], v[126:127]
	v_fma_f64 v[4:5], v[84:85], v[32:33], -v[4:5]
	v_add_f64 v[108:109], v[104:105], v[106:107]
	ds_read_b128 v[104:107], v1 offset:1136
	s_waitcnt vmcnt(25) lgkmcnt(1)
	v_mul_f64 v[110:111], v[100:101], v[46:47]
	v_add_f64 v[2:3], v[2:3], v[4:5]
	v_mul_f64 v[4:5], v[90:91], v[42:43]
	s_waitcnt vmcnt(24)
	v_fmac_f64_e32 v[110:111], v[102:103], v[48:49]
	v_fma_f64 v[4:5], v[88:89], v[44:45], -v[4:5]
	v_add_f64 v[112:113], v[108:109], v[110:111]
	ds_read_b128 v[108:111], v1 offset:1152
	v_add_f64 v[2:3], v[2:3], v[4:5]
	v_mul_f64 v[4:5], v[94:95], v[38:39]
	v_fma_f64 v[4:5], v[92:93], v[40:41], -v[4:5]
	v_add_f64 v[2:3], v[2:3], v[4:5]
	v_mul_f64 v[4:5], v[98:99], v[50:51]
	s_waitcnt vmcnt(20) lgkmcnt(1)
	v_mul_f64 v[114:115], v[104:105], v[132:133]
	v_fma_f64 v[4:5], v[96:97], v[126:127], -v[4:5]
	s_waitcnt vmcnt(18)
	v_fmac_f64_e32 v[114:115], v[106:107], v[134:135]
	v_add_f64 v[2:3], v[2:3], v[4:5]
	v_mul_f64 v[4:5], v[102:103], v[46:47]
	v_add_f64 v[116:117], v[112:113], v[114:115]
	ds_read_b128 v[112:115], v1 offset:1168
	s_waitcnt vmcnt(17) lgkmcnt(1)
	v_mul_f64 v[118:119], v[108:109], v[128:129]
	v_fma_f64 v[4:5], v[100:101], v[48:49], -v[4:5]
	s_waitcnt vmcnt(16)
	v_fmac_f64_e32 v[118:119], v[110:111], v[130:131]
	v_add_f64 v[2:3], v[2:3], v[4:5]
	v_mul_f64 v[4:5], v[106:107], v[132:133]
	v_add_f64 v[152:153], v[116:117], v[118:119]
	ds_read_b128 v[116:119], v1 offset:1184
	v_fma_f64 v[4:5], v[104:105], v[134:135], -v[4:5]
	v_add_f64 v[2:3], v[2:3], v[4:5]
	v_mul_f64 v[4:5], v[110:111], v[128:129]
	v_fma_f64 v[4:5], v[108:109], v[130:131], -v[4:5]
	v_add_f64 v[2:3], v[2:3], v[4:5]
	s_waitcnt vmcnt(12) lgkmcnt(1)
	v_mul_f64 v[4:5], v[114:115], v[140:141]
	v_mul_f64 v[154:155], v[112:113], v[140:141]
	s_waitcnt vmcnt(10)
	v_fma_f64 v[4:5], v[112:113], v[142:143], -v[4:5]
	v_fmac_f64_e32 v[154:155], v[114:115], v[142:143]
	v_add_f64 v[2:3], v[2:3], v[4:5]
	s_waitcnt vmcnt(9) lgkmcnt(0)
	v_mul_f64 v[4:5], v[118:119], v[136:137]
	v_add_f64 v[152:153], v[152:153], v[154:155]
	v_mul_f64 v[154:155], v[116:117], v[136:137]
	s_waitcnt vmcnt(8)
	v_fma_f64 v[4:5], v[116:117], v[138:139], -v[4:5]
	v_fmac_f64_e32 v[154:155], v[118:119], v[138:139]
	v_add_f64 v[2:3], v[2:3], v[4:5]
	s_waitcnt vmcnt(6)
	v_mul_f64 v[4:5], v[124:125], v[144:145]
	v_add_f64 v[152:153], v[152:153], v[154:155]
	v_mul_f64 v[154:155], v[122:123], v[144:145]
	s_waitcnt vmcnt(4)
	v_fma_f64 v[4:5], v[122:123], v[146:147], -v[4:5]
	v_fmac_f64_e32 v[154:155], v[124:125], v[146:147]
	v_add_f64 v[2:3], v[2:3], v[4:5]
	v_add_f64 v[152:153], v[152:153], v[154:155]
	s_waitcnt vmcnt(2)
	v_add_f64 v[2:3], v[148:149], -v[2:3]
	s_waitcnt vmcnt(0)
	v_add_f64 v[4:5], v[150:151], -v[152:153]
	buffer_store_dword v3, off, s[0:3], 0 offset:324
	buffer_store_dword v2, off, s[0:3], 0 offset:320
	;; [unrolled: 1-line block ×4, first 2 shown]
	s_and_saveexec_b64 s[4:5], vcc
	s_cbranch_execz .LBB101_205
; %bb.204:
	v_accvgpr_read_b32 v1, a94
	buffer_load_dword v2, v1, s[0:3], 0 offen
	buffer_load_dword v3, v1, s[0:3], 0 offen offset:4
	buffer_load_dword v4, v1, s[0:3], 0 offen offset:8
	buffer_load_dword v5, v1, s[0:3], 0 offen offset:12
	v_mov_b32_e32 v1, 0
	buffer_store_dword v1, off, s[0:3], 0 offset:304
	buffer_store_dword v1, off, s[0:3], 0 offset:308
	;; [unrolled: 1-line block ×4, first 2 shown]
	s_waitcnt vmcnt(4)
	ds_write_b128 v120, v[2:5]
.LBB101_205:
	s_or_b64 exec, exec, s[4:5]
	s_waitcnt lgkmcnt(0)
	; wave barrier
	s_waitcnt lgkmcnt(0)
	buffer_load_dword v2, off, s[0:3], 0 offset:320
	buffer_load_dword v3, off, s[0:3], 0 offset:324
	;; [unrolled: 1-line block ×76, first 2 shown]
	v_mov_b32_e32 v1, 0
	ds_read_b128 v[54:57], v1 offset:912
	buffer_load_dword v156, off, s[0:3], 0 offset:304
	buffer_load_dword v157, off, s[0:3], 0 offset:308
	;; [unrolled: 1-line block ×4, first 2 shown]
	ds_read_b128 v[58:61], v1 offset:928
	ds_read_b128 v[62:65], v1 offset:944
	;; [unrolled: 1-line block ×4, first 2 shown]
	v_cmp_lt_u32_e32 vcc, 17, v0
	s_waitcnt vmcnt(62) lgkmcnt(4)
	v_mul_f64 v[70:71], v[54:55], v[8:9]
	v_fmac_f64_e32 v[70:71], v[56:57], v[2:3]
	v_add_f64 v[70:71], v[70:71], 0
	v_mul_f64 v[8:9], v[56:57], v[8:9]
	s_waitcnt lgkmcnt(3)
	v_mul_f64 v[72:73], v[58:59], v[10:11]
	v_fmac_f64_e32 v[72:73], v[60:61], v[4:5]
	v_add_f64 v[70:71], v[70:71], v[72:73]
	v_fma_f64 v[2:3], v[54:55], v[2:3], -v[8:9]
	s_waitcnt lgkmcnt(2)
	v_mul_f64 v[72:73], v[62:63], v[12:13]
	v_fmac_f64_e32 v[72:73], v[64:65], v[6:7]
	v_add_f64 v[74:75], v[70:71], v[72:73]
	ds_read_b128 v[70:73], v1 offset:976
	s_waitcnt lgkmcnt(2)
	v_mul_f64 v[76:77], v[66:67], v[18:19]
	v_mul_f64 v[8:9], v[60:61], v[10:11]
	v_fmac_f64_e32 v[76:77], v[68:69], v[20:21]
	v_add_f64 v[78:79], v[74:75], v[76:77]
	ds_read_b128 v[74:77], v1 offset:992
	s_waitcnt vmcnt(61) lgkmcnt(1)
	v_mul_f64 v[80:81], v[70:71], v[14:15]
	s_waitcnt vmcnt(60)
	v_fmac_f64_e32 v[80:81], v[72:73], v[16:17]
	v_add_f64 v[82:83], v[78:79], v[80:81]
	ds_read_b128 v[78:81], v1 offset:1008
	s_waitcnt vmcnt(56) lgkmcnt(1)
	v_mul_f64 v[84:85], v[74:75], v[26:27]
	s_waitcnt vmcnt(54)
	;; [unrolled: 6-line block ×4, first 2 shown]
	v_fmac_f64_e32 v[92:93], v[84:85], v[36:37]
	v_add_f64 v[94:95], v[90:91], v[92:93]
	ds_read_b128 v[90:93], v1 offset:1056
	v_add_f64 v[2:3], v[2:3], 0
	v_fma_f64 v[4:5], v[58:59], v[4:5], -v[8:9]
	s_waitcnt vmcnt(45) lgkmcnt(1)
	v_mul_f64 v[96:97], v[86:87], v[30:31]
	v_add_f64 v[2:3], v[2:3], v[4:5]
	v_mul_f64 v[4:5], v[64:65], v[12:13]
	s_waitcnt vmcnt(44)
	v_fmac_f64_e32 v[96:97], v[88:89], v[32:33]
	v_fma_f64 v[4:5], v[62:63], v[6:7], -v[4:5]
	v_add_f64 v[98:99], v[94:95], v[96:97]
	ds_read_b128 v[94:97], v1 offset:1072
	s_waitcnt vmcnt(40) lgkmcnt(1)
	v_mul_f64 v[100:101], v[90:91], v[42:43]
	v_add_f64 v[2:3], v[2:3], v[4:5]
	v_mul_f64 v[4:5], v[68:69], v[18:19]
	s_waitcnt vmcnt(38)
	v_fmac_f64_e32 v[100:101], v[92:93], v[44:45]
	v_fma_f64 v[4:5], v[66:67], v[20:21], -v[4:5]
	v_add_f64 v[102:103], v[98:99], v[100:101]
	ds_read_b128 v[98:101], v1 offset:1088
	v_add_f64 v[2:3], v[2:3], v[4:5]
	v_mul_f64 v[4:5], v[72:73], v[14:15]
	v_fma_f64 v[4:5], v[70:71], v[16:17], -v[4:5]
	v_add_f64 v[2:3], v[2:3], v[4:5]
	v_mul_f64 v[4:5], v[76:77], v[26:27]
	s_waitcnt vmcnt(37) lgkmcnt(1)
	v_mul_f64 v[104:105], v[94:95], v[38:39]
	v_fma_f64 v[4:5], v[74:75], v[28:29], -v[4:5]
	s_waitcnt vmcnt(36)
	v_fmac_f64_e32 v[104:105], v[96:97], v[40:41]
	v_add_f64 v[2:3], v[2:3], v[4:5]
	v_mul_f64 v[4:5], v[80:81], v[22:23]
	v_add_f64 v[106:107], v[102:103], v[104:105]
	ds_read_b128 v[102:105], v1 offset:1104
	s_waitcnt vmcnt(32) lgkmcnt(1)
	v_mul_f64 v[108:109], v[98:99], v[50:51]
	v_fma_f64 v[4:5], v[78:79], v[24:25], -v[4:5]
	s_waitcnt vmcnt(30)
	v_fmac_f64_e32 v[108:109], v[100:101], v[52:53]
	v_add_f64 v[2:3], v[2:3], v[4:5]
	v_mul_f64 v[4:5], v[84:85], v[34:35]
	v_add_f64 v[110:111], v[106:107], v[108:109]
	ds_read_b128 v[106:109], v1 offset:1120
	v_fma_f64 v[4:5], v[82:83], v[36:37], -v[4:5]
	v_add_f64 v[2:3], v[2:3], v[4:5]
	v_mul_f64 v[4:5], v[88:89], v[30:31]
	v_fma_f64 v[4:5], v[86:87], v[32:33], -v[4:5]
	s_waitcnt vmcnt(29) lgkmcnt(1)
	v_mul_f64 v[112:113], v[102:103], v[46:47]
	v_add_f64 v[2:3], v[2:3], v[4:5]
	v_mul_f64 v[4:5], v[92:93], v[42:43]
	s_waitcnt vmcnt(28)
	v_fmac_f64_e32 v[112:113], v[104:105], v[48:49]
	v_fma_f64 v[4:5], v[90:91], v[44:45], -v[4:5]
	v_add_f64 v[114:115], v[110:111], v[112:113]
	ds_read_b128 v[110:113], v1 offset:1136
	s_waitcnt vmcnt(24) lgkmcnt(1)
	v_mul_f64 v[116:117], v[106:107], v[136:137]
	v_add_f64 v[2:3], v[2:3], v[4:5]
	v_mul_f64 v[4:5], v[96:97], v[38:39]
	s_waitcnt vmcnt(22)
	v_fmac_f64_e32 v[116:117], v[108:109], v[138:139]
	v_fma_f64 v[4:5], v[94:95], v[40:41], -v[4:5]
	v_add_f64 v[122:123], v[114:115], v[116:117]
	ds_read_b128 v[114:117], v1 offset:1152
	v_add_f64 v[2:3], v[2:3], v[4:5]
	v_mul_f64 v[4:5], v[100:101], v[50:51]
	v_fma_f64 v[4:5], v[98:99], v[52:53], -v[4:5]
	v_add_f64 v[2:3], v[2:3], v[4:5]
	v_mul_f64 v[4:5], v[104:105], v[46:47]
	s_waitcnt vmcnt(21) lgkmcnt(1)
	v_mul_f64 v[124:125], v[110:111], v[118:119]
	v_fma_f64 v[4:5], v[102:103], v[48:49], -v[4:5]
	s_waitcnt vmcnt(20)
	v_fmac_f64_e32 v[124:125], v[112:113], v[134:135]
	v_add_f64 v[2:3], v[2:3], v[4:5]
	v_mul_f64 v[4:5], v[108:109], v[136:137]
	v_add_f64 v[126:127], v[122:123], v[124:125]
	ds_read_b128 v[122:125], v1 offset:1168
	s_waitcnt vmcnt(16) lgkmcnt(1)
	v_mul_f64 v[128:129], v[114:115], v[144:145]
	v_fma_f64 v[4:5], v[106:107], v[138:139], -v[4:5]
	s_waitcnt vmcnt(14)
	v_fmac_f64_e32 v[128:129], v[116:117], v[146:147]
	v_add_f64 v[2:3], v[2:3], v[4:5]
	v_mul_f64 v[4:5], v[112:113], v[118:119]
	v_add_f64 v[160:161], v[126:127], v[128:129]
	ds_read_b128 v[126:129], v1 offset:1184
	v_fma_f64 v[4:5], v[110:111], v[134:135], -v[4:5]
	v_add_f64 v[2:3], v[2:3], v[4:5]
	v_mul_f64 v[4:5], v[116:117], v[144:145]
	v_fma_f64 v[4:5], v[114:115], v[146:147], -v[4:5]
	v_add_f64 v[2:3], v[2:3], v[4:5]
	s_waitcnt vmcnt(13) lgkmcnt(1)
	v_mul_f64 v[4:5], v[124:125], v[140:141]
	v_mul_f64 v[162:163], v[122:123], v[140:141]
	s_waitcnt vmcnt(12)
	v_fma_f64 v[4:5], v[122:123], v[142:143], -v[4:5]
	v_fmac_f64_e32 v[162:163], v[124:125], v[142:143]
	v_add_f64 v[2:3], v[2:3], v[4:5]
	s_waitcnt vmcnt(8) lgkmcnt(0)
	v_mul_f64 v[4:5], v[128:129], v[152:153]
	v_add_f64 v[160:161], v[160:161], v[162:163]
	v_mul_f64 v[162:163], v[126:127], v[152:153]
	s_waitcnt vmcnt(6)
	v_fma_f64 v[4:5], v[126:127], v[154:155], -v[4:5]
	v_fmac_f64_e32 v[162:163], v[128:129], v[154:155]
	v_add_f64 v[2:3], v[2:3], v[4:5]
	s_waitcnt vmcnt(5)
	v_mul_f64 v[4:5], v[132:133], v[148:149]
	v_add_f64 v[160:161], v[160:161], v[162:163]
	v_mul_f64 v[162:163], v[130:131], v[148:149]
	s_waitcnt vmcnt(4)
	v_fma_f64 v[4:5], v[130:131], v[150:151], -v[4:5]
	v_fmac_f64_e32 v[162:163], v[132:133], v[150:151]
	v_add_f64 v[2:3], v[2:3], v[4:5]
	v_add_f64 v[160:161], v[160:161], v[162:163]
	s_waitcnt vmcnt(2)
	v_add_f64 v[2:3], v[156:157], -v[2:3]
	s_waitcnt vmcnt(0)
	v_add_f64 v[4:5], v[158:159], -v[160:161]
	buffer_store_dword v3, off, s[0:3], 0 offset:308
	buffer_store_dword v2, off, s[0:3], 0 offset:304
	;; [unrolled: 1-line block ×4, first 2 shown]
	s_and_saveexec_b64 s[4:5], vcc
	s_cbranch_execz .LBB101_207
; %bb.206:
	v_accvgpr_read_b32 v5, a95
	buffer_load_dword v2, v5, s[0:3], 0 offen
	buffer_load_dword v3, v5, s[0:3], 0 offen offset:4
	buffer_load_dword v4, v5, s[0:3], 0 offen offset:8
	s_nop 0
	buffer_load_dword v5, v5, s[0:3], 0 offen offset:12
	s_nop 0
	buffer_store_dword v1, off, s[0:3], 0 offset:288
	buffer_store_dword v1, off, s[0:3], 0 offset:292
	;; [unrolled: 1-line block ×4, first 2 shown]
	s_waitcnt vmcnt(4)
	ds_write_b128 v120, v[2:5]
.LBB101_207:
	s_or_b64 exec, exec, s[4:5]
	s_waitcnt lgkmcnt(0)
	; wave barrier
	s_waitcnt lgkmcnt(0)
	buffer_load_dword v2, off, s[0:3], 0 offset:304
	buffer_load_dword v3, off, s[0:3], 0 offset:308
	;; [unrolled: 1-line block ×76, first 2 shown]
	ds_read_b128 v[54:57], v1 offset:896
	buffer_load_dword v161, off, s[0:3], 0 offset:620
	buffer_load_dword v160, off, s[0:3], 0 offset:616
	;; [unrolled: 1-line block ×8, first 2 shown]
	ds_read_b128 v[58:61], v1 offset:912
	ds_read_b128 v[62:65], v1 offset:928
	;; [unrolled: 1-line block ×3, first 2 shown]
	v_cmp_lt_u32_e32 vcc, 16, v0
	ds_read_b128 v[134:137], v1 offset:1200
	s_waitcnt vmcnt(62) lgkmcnt(4)
	v_mul_f64 v[70:71], v[54:55], v[8:9]
	v_fmac_f64_e32 v[70:71], v[56:57], v[2:3]
	v_add_f64 v[70:71], v[70:71], 0
	v_mul_f64 v[8:9], v[56:57], v[8:9]
	s_waitcnt lgkmcnt(3)
	v_mul_f64 v[72:73], v[58:59], v[10:11]
	v_fmac_f64_e32 v[72:73], v[60:61], v[4:5]
	v_add_f64 v[70:71], v[70:71], v[72:73]
	v_fma_f64 v[2:3], v[54:55], v[2:3], -v[8:9]
	s_waitcnt lgkmcnt(2)
	v_mul_f64 v[72:73], v[62:63], v[12:13]
	v_fmac_f64_e32 v[72:73], v[64:65], v[6:7]
	v_add_f64 v[74:75], v[70:71], v[72:73]
	ds_read_b128 v[70:73], v1 offset:960
	v_mul_f64 v[8:9], v[60:61], v[10:11]
	v_add_f64 v[2:3], v[2:3], 0
	s_waitcnt lgkmcnt(2)
	v_mul_f64 v[76:77], v[66:67], v[18:19]
	v_fma_f64 v[4:5], v[58:59], v[4:5], -v[8:9]
	v_fmac_f64_e32 v[76:77], v[68:69], v[20:21]
	v_add_f64 v[78:79], v[74:75], v[76:77]
	ds_read_b128 v[74:77], v1 offset:976
	s_waitcnt lgkmcnt(1)
	v_mul_f64 v[80:81], v[70:71], v[14:15]
	v_fmac_f64_e32 v[80:81], v[72:73], v[16:17]
	v_add_f64 v[82:83], v[78:79], v[80:81]
	ds_read_b128 v[78:81], v1 offset:992
	s_waitcnt vmcnt(58) lgkmcnt(1)
	v_mul_f64 v[84:85], v[74:75], v[26:27]
	s_waitcnt vmcnt(56)
	v_fmac_f64_e32 v[84:85], v[76:77], v[28:29]
	v_add_f64 v[86:87], v[82:83], v[84:85]
	ds_read_b128 v[82:85], v1 offset:1008
	s_waitcnt lgkmcnt(1)
	v_mul_f64 v[88:89], v[78:79], v[22:23]
	v_fmac_f64_e32 v[88:89], v[80:81], v[24:25]
	v_add_f64 v[90:91], v[86:87], v[88:89]
	ds_read_b128 v[86:89], v1 offset:1024
	s_waitcnt vmcnt(50) lgkmcnt(1)
	v_mul_f64 v[92:93], v[82:83], v[34:35]
	s_waitcnt vmcnt(48)
	v_fmac_f64_e32 v[92:93], v[84:85], v[36:37]
	v_add_f64 v[94:95], v[90:91], v[92:93]
	ds_read_b128 v[90:93], v1 offset:1040
	s_waitcnt lgkmcnt(1)
	v_mul_f64 v[96:97], v[86:87], v[30:31]
	v_fmac_f64_e32 v[96:97], v[88:89], v[32:33]
	v_add_f64 v[98:99], v[94:95], v[96:97]
	ds_read_b128 v[94:97], v1 offset:1056
	v_add_f64 v[2:3], v[2:3], v[4:5]
	v_mul_f64 v[4:5], v[64:65], v[12:13]
	v_fma_f64 v[4:5], v[62:63], v[6:7], -v[4:5]
	s_waitcnt vmcnt(42) lgkmcnt(1)
	v_mul_f64 v[100:101], v[90:91], v[42:43]
	v_add_f64 v[2:3], v[2:3], v[4:5]
	v_mul_f64 v[4:5], v[68:69], v[18:19]
	s_waitcnt vmcnt(40)
	v_fmac_f64_e32 v[100:101], v[92:93], v[44:45]
	v_fma_f64 v[4:5], v[66:67], v[20:21], -v[4:5]
	v_add_f64 v[102:103], v[98:99], v[100:101]
	ds_read_b128 v[98:101], v1 offset:1072
	s_waitcnt lgkmcnt(1)
	v_mul_f64 v[104:105], v[94:95], v[38:39]
	v_add_f64 v[2:3], v[2:3], v[4:5]
	v_mul_f64 v[4:5], v[72:73], v[14:15]
	v_fmac_f64_e32 v[104:105], v[96:97], v[40:41]
	v_fma_f64 v[4:5], v[70:71], v[16:17], -v[4:5]
	v_add_f64 v[106:107], v[102:103], v[104:105]
	ds_read_b128 v[102:105], v1 offset:1088
	v_add_f64 v[2:3], v[2:3], v[4:5]
	v_mul_f64 v[4:5], v[76:77], v[26:27]
	v_fma_f64 v[4:5], v[74:75], v[28:29], -v[4:5]
	v_add_f64 v[2:3], v[2:3], v[4:5]
	v_mul_f64 v[4:5], v[80:81], v[22:23]
	s_waitcnt vmcnt(34) lgkmcnt(1)
	v_mul_f64 v[108:109], v[98:99], v[50:51]
	v_fma_f64 v[4:5], v[78:79], v[24:25], -v[4:5]
	s_waitcnt vmcnt(32)
	v_fmac_f64_e32 v[108:109], v[100:101], v[52:53]
	v_add_f64 v[2:3], v[2:3], v[4:5]
	v_mul_f64 v[4:5], v[84:85], v[34:35]
	v_add_f64 v[110:111], v[106:107], v[108:109]
	ds_read_b128 v[106:109], v1 offset:1104
	s_waitcnt lgkmcnt(1)
	v_mul_f64 v[112:113], v[102:103], v[46:47]
	v_fma_f64 v[4:5], v[82:83], v[36:37], -v[4:5]
	v_fmac_f64_e32 v[112:113], v[104:105], v[48:49]
	v_add_f64 v[2:3], v[2:3], v[4:5]
	v_mul_f64 v[4:5], v[88:89], v[30:31]
	v_add_f64 v[114:115], v[110:111], v[112:113]
	ds_read_b128 v[110:113], v1 offset:1120
	v_fma_f64 v[4:5], v[86:87], v[32:33], -v[4:5]
	v_add_f64 v[2:3], v[2:3], v[4:5]
	v_mul_f64 v[4:5], v[92:93], v[42:43]
	v_fma_f64 v[4:5], v[90:91], v[44:45], -v[4:5]
	s_waitcnt vmcnt(26) lgkmcnt(1)
	v_mul_f64 v[116:117], v[106:107], v[140:141]
	v_add_f64 v[2:3], v[2:3], v[4:5]
	v_mul_f64 v[4:5], v[96:97], v[38:39]
	s_waitcnt vmcnt(24)
	v_fmac_f64_e32 v[116:117], v[108:109], v[142:143]
	v_fma_f64 v[4:5], v[94:95], v[40:41], -v[4:5]
	v_add_f64 v[122:123], v[114:115], v[116:117]
	ds_read_b128 v[114:117], v1 offset:1136
	s_waitcnt lgkmcnt(1)
	v_mul_f64 v[124:125], v[110:111], v[118:119]
	v_add_f64 v[2:3], v[2:3], v[4:5]
	v_mul_f64 v[4:5], v[100:101], v[50:51]
	v_fmac_f64_e32 v[124:125], v[112:113], v[138:139]
	v_fma_f64 v[4:5], v[98:99], v[52:53], -v[4:5]
	v_add_f64 v[126:127], v[122:123], v[124:125]
	ds_read_b128 v[122:125], v1 offset:1152
	v_add_f64 v[2:3], v[2:3], v[4:5]
	v_mul_f64 v[4:5], v[104:105], v[46:47]
	v_fma_f64 v[4:5], v[102:103], v[48:49], -v[4:5]
	v_add_f64 v[2:3], v[2:3], v[4:5]
	v_mul_f64 v[4:5], v[108:109], v[140:141]
	s_waitcnt vmcnt(18) lgkmcnt(1)
	v_mul_f64 v[128:129], v[114:115], v[148:149]
	v_fma_f64 v[4:5], v[106:107], v[142:143], -v[4:5]
	s_waitcnt vmcnt(16)
	v_fmac_f64_e32 v[128:129], v[116:117], v[150:151]
	v_add_f64 v[2:3], v[2:3], v[4:5]
	v_mul_f64 v[4:5], v[112:113], v[118:119]
	v_add_f64 v[130:131], v[126:127], v[128:129]
	ds_read_b128 v[126:129], v1 offset:1168
	s_waitcnt lgkmcnt(1)
	v_mul_f64 v[132:133], v[122:123], v[144:145]
	v_fma_f64 v[4:5], v[110:111], v[138:139], -v[4:5]
	v_fmac_f64_e32 v[132:133], v[124:125], v[146:147]
	v_add_f64 v[2:3], v[2:3], v[4:5]
	v_mul_f64 v[4:5], v[116:117], v[148:149]
	v_add_f64 v[168:169], v[130:131], v[132:133]
	ds_read_b128 v[130:133], v1 offset:1184
	v_fma_f64 v[4:5], v[114:115], v[150:151], -v[4:5]
	v_add_f64 v[2:3], v[2:3], v[4:5]
	v_mul_f64 v[4:5], v[124:125], v[144:145]
	v_fma_f64 v[4:5], v[122:123], v[146:147], -v[4:5]
	v_add_f64 v[2:3], v[2:3], v[4:5]
	s_waitcnt vmcnt(10) lgkmcnt(1)
	v_mul_f64 v[4:5], v[128:129], v[156:157]
	v_mul_f64 v[170:171], v[126:127], v[156:157]
	s_waitcnt vmcnt(8)
	v_fma_f64 v[4:5], v[126:127], v[158:159], -v[4:5]
	v_fmac_f64_e32 v[170:171], v[128:129], v[158:159]
	v_add_f64 v[2:3], v[2:3], v[4:5]
	s_waitcnt lgkmcnt(0)
	v_mul_f64 v[4:5], v[132:133], v[152:153]
	v_add_f64 v[168:169], v[168:169], v[170:171]
	v_mul_f64 v[170:171], v[130:131], v[152:153]
	v_fma_f64 v[4:5], v[130:131], v[154:155], -v[4:5]
	v_fmac_f64_e32 v[170:171], v[132:133], v[154:155]
	v_add_f64 v[2:3], v[2:3], v[4:5]
	s_waitcnt vmcnt(6)
	v_mul_f64 v[4:5], v[136:137], v[160:161]
	v_add_f64 v[168:169], v[168:169], v[170:171]
	v_mul_f64 v[170:171], v[134:135], v[160:161]
	s_waitcnt vmcnt(4)
	v_fma_f64 v[4:5], v[134:135], v[162:163], -v[4:5]
	v_fmac_f64_e32 v[170:171], v[136:137], v[162:163]
	v_add_f64 v[2:3], v[2:3], v[4:5]
	v_add_f64 v[168:169], v[168:169], v[170:171]
	s_waitcnt vmcnt(2)
	v_add_f64 v[2:3], v[164:165], -v[2:3]
	s_waitcnt vmcnt(0)
	v_add_f64 v[4:5], v[166:167], -v[168:169]
	buffer_store_dword v3, off, s[0:3], 0 offset:292
	buffer_store_dword v2, off, s[0:3], 0 offset:288
	;; [unrolled: 1-line block ×4, first 2 shown]
	s_and_saveexec_b64 s[4:5], vcc
	s_cbranch_execz .LBB101_209
; %bb.208:
	v_accvgpr_read_b32 v1, a96
	buffer_load_dword v2, v1, s[0:3], 0 offen
	buffer_load_dword v3, v1, s[0:3], 0 offen offset:4
	buffer_load_dword v4, v1, s[0:3], 0 offen offset:8
	;; [unrolled: 1-line block ×3, first 2 shown]
	v_mov_b32_e32 v1, 0
	buffer_store_dword v1, off, s[0:3], 0 offset:272
	buffer_store_dword v1, off, s[0:3], 0 offset:276
	;; [unrolled: 1-line block ×4, first 2 shown]
	s_waitcnt vmcnt(4)
	ds_write_b128 v120, v[2:5]
.LBB101_209:
	s_or_b64 exec, exec, s[4:5]
	s_waitcnt lgkmcnt(0)
	; wave barrier
	s_waitcnt lgkmcnt(0)
	buffer_load_dword v4, off, s[0:3], 0 offset:272
	buffer_load_dword v5, off, s[0:3], 0 offset:276
	buffer_load_dword v2, off, s[0:3], 0 offset:280
	buffer_load_dword v3, off, s[0:3], 0 offset:284
	buffer_load_dword v6, off, s[0:3], 0 offset:288
	buffer_load_dword v7, off, s[0:3], 0 offset:292
	buffer_load_dword v12, off, s[0:3], 0 offset:296
	buffer_load_dword v13, off, s[0:3], 0 offset:300
	buffer_load_dword v8, off, s[0:3], 0 offset:304
	buffer_load_dword v9, off, s[0:3], 0 offset:308
	buffer_load_dword v14, off, s[0:3], 0 offset:312
	buffer_load_dword v15, off, s[0:3], 0 offset:316
	buffer_load_dword v10, off, s[0:3], 0 offset:320
	buffer_load_dword v11, off, s[0:3], 0 offset:324
	buffer_load_dword v16, off, s[0:3], 0 offset:328
	buffer_load_dword v17, off, s[0:3], 0 offset:332
	buffer_load_dword v19, off, s[0:3], 0 offset:364
	buffer_load_dword v18, off, s[0:3], 0 offset:360
	buffer_load_dword v21, off, s[0:3], 0 offset:356
	buffer_load_dword v20, off, s[0:3], 0 offset:352
	buffer_load_dword v23, off, s[0:3], 0 offset:348
	buffer_load_dword v22, off, s[0:3], 0 offset:344
	buffer_load_dword v25, off, s[0:3], 0 offset:340
	buffer_load_dword v24, off, s[0:3], 0 offset:336
	buffer_load_dword v27, off, s[0:3], 0 offset:396
	buffer_load_dword v26, off, s[0:3], 0 offset:392
	buffer_load_dword v29, off, s[0:3], 0 offset:388
	buffer_load_dword v28, off, s[0:3], 0 offset:384
	buffer_load_dword v31, off, s[0:3], 0 offset:380
	buffer_load_dword v30, off, s[0:3], 0 offset:376
	buffer_load_dword v33, off, s[0:3], 0 offset:372
	buffer_load_dword v32, off, s[0:3], 0 offset:368
	buffer_load_dword v35, off, s[0:3], 0 offset:428
	buffer_load_dword v34, off, s[0:3], 0 offset:424
	buffer_load_dword v37, off, s[0:3], 0 offset:420
	buffer_load_dword v36, off, s[0:3], 0 offset:416
	buffer_load_dword v39, off, s[0:3], 0 offset:412
	buffer_load_dword v38, off, s[0:3], 0 offset:408
	buffer_load_dword v41, off, s[0:3], 0 offset:404
	buffer_load_dword v40, off, s[0:3], 0 offset:400
	buffer_load_dword v43, off, s[0:3], 0 offset:460
	buffer_load_dword v42, off, s[0:3], 0 offset:456
	buffer_load_dword v45, off, s[0:3], 0 offset:452
	buffer_load_dword v44, off, s[0:3], 0 offset:448
	buffer_load_dword v47, off, s[0:3], 0 offset:444
	buffer_load_dword v46, off, s[0:3], 0 offset:440
	buffer_load_dword v49, off, s[0:3], 0 offset:436
	buffer_load_dword v48, off, s[0:3], 0 offset:432
	buffer_load_dword v51, off, s[0:3], 0 offset:492
	buffer_load_dword v50, off, s[0:3], 0 offset:488
	buffer_load_dword v53, off, s[0:3], 0 offset:484
	buffer_load_dword v52, off, s[0:3], 0 offset:480
	buffer_load_dword v55, off, s[0:3], 0 offset:476
	buffer_load_dword v54, off, s[0:3], 0 offset:472
	buffer_load_dword v57, off, s[0:3], 0 offset:468
	buffer_load_dword v56, off, s[0:3], 0 offset:464
	buffer_load_dword v59, off, s[0:3], 0 offset:524
	buffer_load_dword v58, off, s[0:3], 0 offset:520
	buffer_load_dword v61, off, s[0:3], 0 offset:516
	buffer_load_dword v60, off, s[0:3], 0 offset:512
	buffer_load_dword v63, off, s[0:3], 0 offset:508
	buffer_load_dword v62, off, s[0:3], 0 offset:504
	buffer_load_dword v65, off, s[0:3], 0 offset:500
	buffer_load_dword v64, off, s[0:3], 0 offset:496
	buffer_load_dword v119, off, s[0:3], 0 offset:556
	buffer_load_dword v118, off, s[0:3], 0 offset:552
	buffer_load_dword v155, off, s[0:3], 0 offset:548
	buffer_load_dword v154, off, s[0:3], 0 offset:544
	buffer_load_dword v157, off, s[0:3], 0 offset:540
	buffer_load_dword v156, off, s[0:3], 0 offset:536
	buffer_load_dword v159, off, s[0:3], 0 offset:532
	buffer_load_dword v158, off, s[0:3], 0 offset:528
	buffer_load_dword v161, off, s[0:3], 0 offset:588
	buffer_load_dword v160, off, s[0:3], 0 offset:584
	buffer_load_dword v163, off, s[0:3], 0 offset:580
	buffer_load_dword v162, off, s[0:3], 0 offset:576
	buffer_load_dword v165, off, s[0:3], 0 offset:572
	buffer_load_dword v164, off, s[0:3], 0 offset:568
	buffer_load_dword v167, off, s[0:3], 0 offset:564
	buffer_load_dword v166, off, s[0:3], 0 offset:560
	buffer_load_dword v169, off, s[0:3], 0 offset:604
	buffer_load_dword v168, off, s[0:3], 0 offset:600
	buffer_load_dword v171, off, s[0:3], 0 offset:596
	buffer_load_dword v170, off, s[0:3], 0 offset:592
	v_mov_b32_e32 v1, 0
	ds_read_b128 v[66:69], v1 offset:880
	buffer_load_dword v173, off, s[0:3], 0 offset:620
	buffer_load_dword v172, off, s[0:3], 0 offset:616
	;; [unrolled: 1-line block ×4, first 2 shown]
	ds_read_b128 v[70:73], v1 offset:896
	ds_read_b128 v[74:77], v1 offset:912
	;; [unrolled: 1-line block ×4, first 2 shown]
	v_cmp_lt_u32_e32 vcc, 15, v0
	s_waitcnt vmcnt(62) lgkmcnt(4)
	v_mul_f64 v[82:83], v[66:67], v[12:13]
	v_fmac_f64_e32 v[82:83], v[68:69], v[6:7]
	s_waitcnt lgkmcnt(3)
	v_mul_f64 v[84:85], v[70:71], v[14:15]
	v_add_f64 v[82:83], v[82:83], 0
	v_fmac_f64_e32 v[84:85], v[72:73], v[8:9]
	v_add_f64 v[82:83], v[82:83], v[84:85]
	s_waitcnt lgkmcnt(2)
	v_mul_f64 v[84:85], v[74:75], v[16:17]
	v_fmac_f64_e32 v[84:85], v[76:77], v[10:11]
	v_add_f64 v[86:87], v[82:83], v[84:85]
	ds_read_b128 v[82:85], v1 offset:944
	v_mul_f64 v[12:13], v[68:69], v[12:13]
	s_waitcnt lgkmcnt(2)
	v_mul_f64 v[88:89], v[78:79], v[22:23]
	v_fma_f64 v[6:7], v[66:67], v[6:7], -v[12:13]
	v_fmac_f64_e32 v[88:89], v[80:81], v[24:25]
	v_add_f64 v[90:91], v[86:87], v[88:89]
	ds_read_b128 v[86:89], v1 offset:960
	s_waitcnt lgkmcnt(1)
	v_mul_f64 v[92:93], v[82:83], v[18:19]
	v_fmac_f64_e32 v[92:93], v[84:85], v[20:21]
	v_add_f64 v[94:95], v[90:91], v[92:93]
	ds_read_b128 v[90:93], v1 offset:976
	s_waitcnt vmcnt(58) lgkmcnt(1)
	v_mul_f64 v[96:97], v[86:87], v[30:31]
	s_waitcnt vmcnt(56)
	v_fmac_f64_e32 v[96:97], v[88:89], v[32:33]
	v_add_f64 v[98:99], v[94:95], v[96:97]
	ds_read_b128 v[94:97], v1 offset:992
	s_waitcnt lgkmcnt(1)
	v_mul_f64 v[100:101], v[90:91], v[26:27]
	v_fmac_f64_e32 v[100:101], v[92:93], v[28:29]
	v_add_f64 v[102:103], v[98:99], v[100:101]
	ds_read_b128 v[98:101], v1 offset:1008
	s_waitcnt vmcnt(50) lgkmcnt(1)
	v_mul_f64 v[104:105], v[94:95], v[38:39]
	s_waitcnt vmcnt(48)
	v_fmac_f64_e32 v[104:105], v[96:97], v[40:41]
	v_add_f64 v[106:107], v[102:103], v[104:105]
	ds_read_b128 v[102:105], v1 offset:1024
	s_waitcnt lgkmcnt(1)
	v_mul_f64 v[108:109], v[98:99], v[34:35]
	v_fmac_f64_e32 v[108:109], v[100:101], v[36:37]
	v_mul_f64 v[12:13], v[72:73], v[14:15]
	v_add_f64 v[110:111], v[106:107], v[108:109]
	ds_read_b128 v[106:109], v1 offset:1040
	s_waitcnt vmcnt(42) lgkmcnt(1)
	v_mul_f64 v[112:113], v[102:103], v[46:47]
	v_add_f64 v[6:7], v[6:7], 0
	v_fma_f64 v[8:9], v[70:71], v[8:9], -v[12:13]
	s_waitcnt vmcnt(40)
	v_fmac_f64_e32 v[112:113], v[104:105], v[48:49]
	v_add_f64 v[6:7], v[6:7], v[8:9]
	v_mul_f64 v[8:9], v[76:77], v[16:17]
	v_add_f64 v[114:115], v[110:111], v[112:113]
	ds_read_b128 v[110:113], v1 offset:1056
	v_fma_f64 v[8:9], v[74:75], v[10:11], -v[8:9]
	v_add_f64 v[6:7], v[6:7], v[8:9]
	v_mul_f64 v[8:9], v[80:81], v[22:23]
	v_fma_f64 v[8:9], v[78:79], v[24:25], -v[8:9]
	s_waitcnt lgkmcnt(1)
	v_mul_f64 v[116:117], v[106:107], v[42:43]
	v_add_f64 v[6:7], v[6:7], v[8:9]
	v_mul_f64 v[8:9], v[84:85], v[18:19]
	v_fmac_f64_e32 v[116:117], v[108:109], v[44:45]
	v_fma_f64 v[8:9], v[82:83], v[20:21], -v[8:9]
	v_add_f64 v[122:123], v[114:115], v[116:117]
	ds_read_b128 v[114:117], v1 offset:1072
	s_waitcnt vmcnt(34) lgkmcnt(1)
	v_mul_f64 v[124:125], v[110:111], v[54:55]
	v_add_f64 v[6:7], v[6:7], v[8:9]
	v_mul_f64 v[8:9], v[88:89], v[30:31]
	s_waitcnt vmcnt(32)
	v_fmac_f64_e32 v[124:125], v[112:113], v[56:57]
	v_fma_f64 v[8:9], v[86:87], v[32:33], -v[8:9]
	v_add_f64 v[126:127], v[122:123], v[124:125]
	ds_read_b128 v[122:125], v1 offset:1088
	v_add_f64 v[6:7], v[6:7], v[8:9]
	v_mul_f64 v[8:9], v[92:93], v[26:27]
	v_fma_f64 v[8:9], v[90:91], v[28:29], -v[8:9]
	v_add_f64 v[6:7], v[6:7], v[8:9]
	v_mul_f64 v[8:9], v[96:97], v[38:39]
	s_waitcnt lgkmcnt(1)
	v_mul_f64 v[128:129], v[114:115], v[50:51]
	v_fma_f64 v[8:9], v[94:95], v[40:41], -v[8:9]
	v_fmac_f64_e32 v[128:129], v[116:117], v[52:53]
	v_add_f64 v[6:7], v[6:7], v[8:9]
	v_mul_f64 v[8:9], v[100:101], v[34:35]
	v_add_f64 v[130:131], v[126:127], v[128:129]
	ds_read_b128 v[126:129], v1 offset:1104
	s_waitcnt vmcnt(26) lgkmcnt(1)
	v_mul_f64 v[132:133], v[122:123], v[62:63]
	v_fma_f64 v[8:9], v[98:99], v[36:37], -v[8:9]
	s_waitcnt vmcnt(24)
	v_fmac_f64_e32 v[132:133], v[124:125], v[64:65]
	v_add_f64 v[6:7], v[6:7], v[8:9]
	v_mul_f64 v[8:9], v[104:105], v[46:47]
	v_add_f64 v[134:135], v[130:131], v[132:133]
	ds_read_b128 v[130:133], v1 offset:1120
	v_fma_f64 v[8:9], v[102:103], v[48:49], -v[8:9]
	v_add_f64 v[6:7], v[6:7], v[8:9]
	v_mul_f64 v[8:9], v[108:109], v[42:43]
	v_fma_f64 v[8:9], v[106:107], v[44:45], -v[8:9]
	s_waitcnt lgkmcnt(1)
	v_mul_f64 v[136:137], v[126:127], v[58:59]
	v_add_f64 v[6:7], v[6:7], v[8:9]
	v_mul_f64 v[8:9], v[112:113], v[54:55]
	v_fmac_f64_e32 v[136:137], v[128:129], v[60:61]
	v_fma_f64 v[8:9], v[110:111], v[56:57], -v[8:9]
	v_add_f64 v[138:139], v[134:135], v[136:137]
	ds_read_b128 v[134:137], v1 offset:1136
	s_waitcnt vmcnt(18) lgkmcnt(1)
	v_mul_f64 v[140:141], v[130:131], v[156:157]
	v_add_f64 v[6:7], v[6:7], v[8:9]
	v_mul_f64 v[8:9], v[116:117], v[50:51]
	s_waitcnt vmcnt(16)
	v_fmac_f64_e32 v[140:141], v[132:133], v[158:159]
	v_fma_f64 v[8:9], v[114:115], v[52:53], -v[8:9]
	v_add_f64 v[142:143], v[138:139], v[140:141]
	ds_read_b128 v[138:141], v1 offset:1152
	v_add_f64 v[6:7], v[6:7], v[8:9]
	v_mul_f64 v[8:9], v[124:125], v[62:63]
	v_fma_f64 v[8:9], v[122:123], v[64:65], -v[8:9]
	v_add_f64 v[6:7], v[6:7], v[8:9]
	v_mul_f64 v[8:9], v[128:129], v[58:59]
	s_waitcnt lgkmcnt(1)
	v_mul_f64 v[144:145], v[134:135], v[118:119]
	v_fma_f64 v[8:9], v[126:127], v[60:61], -v[8:9]
	v_fmac_f64_e32 v[144:145], v[136:137], v[154:155]
	v_add_f64 v[6:7], v[6:7], v[8:9]
	v_mul_f64 v[8:9], v[132:133], v[156:157]
	v_add_f64 v[146:147], v[142:143], v[144:145]
	ds_read_b128 v[142:145], v1 offset:1168
	s_waitcnt vmcnt(10) lgkmcnt(1)
	v_mul_f64 v[148:149], v[138:139], v[164:165]
	v_fma_f64 v[8:9], v[130:131], v[158:159], -v[8:9]
	s_waitcnt vmcnt(8)
	v_fmac_f64_e32 v[148:149], v[140:141], v[166:167]
	v_add_f64 v[6:7], v[6:7], v[8:9]
	v_mul_f64 v[8:9], v[136:137], v[118:119]
	v_add_f64 v[176:177], v[146:147], v[148:149]
	ds_read_b128 v[146:149], v1 offset:1184
	v_fma_f64 v[8:9], v[134:135], v[154:155], -v[8:9]
	v_add_f64 v[6:7], v[6:7], v[8:9]
	v_mul_f64 v[8:9], v[140:141], v[164:165]
	v_fma_f64 v[8:9], v[138:139], v[166:167], -v[8:9]
	v_add_f64 v[6:7], v[6:7], v[8:9]
	s_waitcnt lgkmcnt(1)
	v_mul_f64 v[8:9], v[144:145], v[160:161]
	v_mul_f64 v[178:179], v[142:143], v[160:161]
	v_fma_f64 v[8:9], v[142:143], v[162:163], -v[8:9]
	v_fmac_f64_e32 v[178:179], v[144:145], v[162:163]
	v_add_f64 v[6:7], v[6:7], v[8:9]
	s_waitcnt vmcnt(6) lgkmcnt(0)
	v_mul_f64 v[8:9], v[148:149], v[168:169]
	v_add_f64 v[176:177], v[176:177], v[178:179]
	v_mul_f64 v[178:179], v[146:147], v[168:169]
	s_waitcnt vmcnt(4)
	v_fma_f64 v[8:9], v[146:147], v[170:171], -v[8:9]
	v_fmac_f64_e32 v[178:179], v[148:149], v[170:171]
	v_add_f64 v[6:7], v[6:7], v[8:9]
	s_waitcnt vmcnt(2)
	v_mul_f64 v[8:9], v[152:153], v[172:173]
	v_add_f64 v[176:177], v[176:177], v[178:179]
	v_mul_f64 v[178:179], v[150:151], v[172:173]
	s_waitcnt vmcnt(0)
	v_fma_f64 v[8:9], v[150:151], v[174:175], -v[8:9]
	v_fmac_f64_e32 v[178:179], v[152:153], v[174:175]
	v_add_f64 v[6:7], v[6:7], v[8:9]
	v_add_f64 v[176:177], v[176:177], v[178:179]
	v_add_f64 v[4:5], v[4:5], -v[6:7]
	v_add_f64 v[2:3], v[2:3], -v[176:177]
	buffer_store_dword v5, off, s[0:3], 0 offset:276
	buffer_store_dword v4, off, s[0:3], 0 offset:272
	;; [unrolled: 1-line block ×4, first 2 shown]
	s_and_saveexec_b64 s[4:5], vcc
	s_cbranch_execz .LBB101_211
; %bb.210:
	v_accvgpr_read_b32 v5, a97
	buffer_load_dword v2, v5, s[0:3], 0 offen
	buffer_load_dword v3, v5, s[0:3], 0 offen offset:4
	buffer_load_dword v4, v5, s[0:3], 0 offen offset:8
	s_nop 0
	buffer_load_dword v5, v5, s[0:3], 0 offen offset:12
	s_nop 0
	buffer_store_dword v1, off, s[0:3], 0 offset:256
	buffer_store_dword v1, off, s[0:3], 0 offset:260
	;; [unrolled: 1-line block ×4, first 2 shown]
	s_waitcnt vmcnt(4)
	ds_write_b128 v120, v[2:5]
.LBB101_211:
	s_or_b64 exec, exec, s[4:5]
	s_waitcnt lgkmcnt(0)
	; wave barrier
	s_waitcnt lgkmcnt(0)
	ds_read_b128 v[14:17], v1 offset:864
	ds_read_b128 v[10:13], v1 offset:880
	;; [unrolled: 1-line block ×4, first 2 shown]
	buffer_load_dword v20, off, s[0:3], 0 offset:256
	buffer_load_dword v21, off, s[0:3], 0 offset:260
	buffer_load_dword v18, off, s[0:3], 0 offset:264
	buffer_load_dword v19, off, s[0:3], 0 offset:268
	buffer_load_dword v22, off, s[0:3], 0 offset:272
	buffer_load_dword v23, off, s[0:3], 0 offset:276
	buffer_load_dword v28, off, s[0:3], 0 offset:280
	buffer_load_dword v29, off, s[0:3], 0 offset:284
	buffer_load_dword v24, off, s[0:3], 0 offset:288
	buffer_load_dword v25, off, s[0:3], 0 offset:292
	buffer_load_dword v30, off, s[0:3], 0 offset:296
	buffer_load_dword v31, off, s[0:3], 0 offset:300
	buffer_load_dword v26, off, s[0:3], 0 offset:304
	buffer_load_dword v27, off, s[0:3], 0 offset:308
	buffer_load_dword v32, off, s[0:3], 0 offset:312
	buffer_load_dword v33, off, s[0:3], 0 offset:316
	buffer_load_dword v35, off, s[0:3], 0 offset:348
	buffer_load_dword v34, off, s[0:3], 0 offset:344
	buffer_load_dword v37, off, s[0:3], 0 offset:340
	buffer_load_dword v36, off, s[0:3], 0 offset:336
	buffer_load_dword v39, off, s[0:3], 0 offset:332
	buffer_load_dword v38, off, s[0:3], 0 offset:328
	buffer_load_dword v41, off, s[0:3], 0 offset:324
	buffer_load_dword v40, off, s[0:3], 0 offset:320
	buffer_load_dword v43, off, s[0:3], 0 offset:380
	buffer_load_dword v42, off, s[0:3], 0 offset:376
	buffer_load_dword v45, off, s[0:3], 0 offset:372
	buffer_load_dword v44, off, s[0:3], 0 offset:368
	buffer_load_dword v47, off, s[0:3], 0 offset:364
	buffer_load_dword v46, off, s[0:3], 0 offset:360
	buffer_load_dword v49, off, s[0:3], 0 offset:356
	buffer_load_dword v48, off, s[0:3], 0 offset:352
	buffer_load_dword v51, off, s[0:3], 0 offset:412
	buffer_load_dword v50, off, s[0:3], 0 offset:408
	buffer_load_dword v53, off, s[0:3], 0 offset:404
	buffer_load_dword v52, off, s[0:3], 0 offset:400
	buffer_load_dword v55, off, s[0:3], 0 offset:396
	buffer_load_dword v54, off, s[0:3], 0 offset:392
	buffer_load_dword v57, off, s[0:3], 0 offset:388
	buffer_load_dword v56, off, s[0:3], 0 offset:384
	buffer_load_dword v59, off, s[0:3], 0 offset:444
	buffer_load_dword v58, off, s[0:3], 0 offset:440
	buffer_load_dword v61, off, s[0:3], 0 offset:436
	buffer_load_dword v60, off, s[0:3], 0 offset:432
	buffer_load_dword v63, off, s[0:3], 0 offset:428
	buffer_load_dword v62, off, s[0:3], 0 offset:424
	buffer_load_dword v65, off, s[0:3], 0 offset:420
	buffer_load_dword v64, off, s[0:3], 0 offset:416
	buffer_load_dword v67, off, s[0:3], 0 offset:476
	buffer_load_dword v66, off, s[0:3], 0 offset:472
	buffer_load_dword v69, off, s[0:3], 0 offset:468
	buffer_load_dword v68, off, s[0:3], 0 offset:464
	buffer_load_dword v71, off, s[0:3], 0 offset:460
	buffer_load_dword v70, off, s[0:3], 0 offset:456
	buffer_load_dword v73, off, s[0:3], 0 offset:452
	buffer_load_dword v72, off, s[0:3], 0 offset:448
	buffer_load_dword v75, off, s[0:3], 0 offset:508
	buffer_load_dword v74, off, s[0:3], 0 offset:504
	buffer_load_dword v77, off, s[0:3], 0 offset:500
	buffer_load_dword v76, off, s[0:3], 0 offset:496
	buffer_load_dword v79, off, s[0:3], 0 offset:492
	buffer_load_dword v78, off, s[0:3], 0 offset:488
	buffer_load_dword v81, off, s[0:3], 0 offset:484
	buffer_load_dword v80, off, s[0:3], 0 offset:480
	buffer_load_dword v83, off, s[0:3], 0 offset:540
	buffer_load_dword v82, off, s[0:3], 0 offset:536
	buffer_load_dword v85, off, s[0:3], 0 offset:532
	buffer_load_dword v84, off, s[0:3], 0 offset:528
	buffer_load_dword v119, off, s[0:3], 0 offset:524
	buffer_load_dword v118, off, s[0:3], 0 offset:520
	buffer_load_dword v163, off, s[0:3], 0 offset:516
	buffer_load_dword v162, off, s[0:3], 0 offset:512
	buffer_load_dword v165, off, s[0:3], 0 offset:572
	buffer_load_dword v164, off, s[0:3], 0 offset:568
	buffer_load_dword v167, off, s[0:3], 0 offset:564
	buffer_load_dword v166, off, s[0:3], 0 offset:560
	buffer_load_dword v169, off, s[0:3], 0 offset:556
	buffer_load_dword v168, off, s[0:3], 0 offset:552
	buffer_load_dword v171, off, s[0:3], 0 offset:548
	buffer_load_dword v170, off, s[0:3], 0 offset:544
	buffer_load_dword v173, off, s[0:3], 0 offset:604
	buffer_load_dword v172, off, s[0:3], 0 offset:600
	buffer_load_dword v175, off, s[0:3], 0 offset:596
	buffer_load_dword v174, off, s[0:3], 0 offset:592
	buffer_load_dword v177, off, s[0:3], 0 offset:588
	buffer_load_dword v176, off, s[0:3], 0 offset:584
	buffer_load_dword v179, off, s[0:3], 0 offset:580
	buffer_load_dword v178, off, s[0:3], 0 offset:576
	buffer_load_dword v181, off, s[0:3], 0 offset:620
	buffer_load_dword v180, off, s[0:3], 0 offset:616
	buffer_load_dword v183, off, s[0:3], 0 offset:612
	buffer_load_dword v182, off, s[0:3], 0 offset:608
	s_waitcnt vmcnt(62) lgkmcnt(3)
	v_mul_f64 v[86:87], v[14:15], v[28:29]
	v_fmac_f64_e32 v[86:87], v[16:17], v[22:23]
	s_waitcnt lgkmcnt(2)
	v_mul_f64 v[88:89], v[10:11], v[30:31]
	v_add_f64 v[86:87], v[86:87], 0
	v_fmac_f64_e32 v[88:89], v[12:13], v[24:25]
	v_add_f64 v[86:87], v[86:87], v[88:89]
	s_waitcnt lgkmcnt(1)
	v_mul_f64 v[88:89], v[6:7], v[32:33]
	v_fmac_f64_e32 v[88:89], v[8:9], v[26:27]
	v_add_f64 v[90:91], v[86:87], v[88:89]
	ds_read_b128 v[86:89], v1 offset:928
	v_mul_f64 v[16:17], v[16:17], v[28:29]
	v_fma_f64 v[14:15], v[14:15], v[22:23], -v[16:17]
	s_waitcnt lgkmcnt(1)
	v_mul_f64 v[92:93], v[2:3], v[38:39]
	v_mul_f64 v[12:13], v[12:13], v[30:31]
	v_fmac_f64_e32 v[92:93], v[4:5], v[40:41]
	v_add_f64 v[94:95], v[90:91], v[92:93]
	ds_read_b128 v[90:93], v1 offset:944
	s_waitcnt lgkmcnt(1)
	v_mul_f64 v[96:97], v[86:87], v[34:35]
	v_fmac_f64_e32 v[96:97], v[88:89], v[36:37]
	v_add_f64 v[98:99], v[94:95], v[96:97]
	ds_read_b128 v[94:97], v1 offset:960
	s_waitcnt lgkmcnt(1)
	v_mul_f64 v[100:101], v[90:91], v[46:47]
	s_waitcnt vmcnt(60)
	v_fmac_f64_e32 v[100:101], v[92:93], v[48:49]
	v_add_f64 v[102:103], v[98:99], v[100:101]
	ds_read_b128 v[98:101], v1 offset:976
	s_waitcnt lgkmcnt(1)
	v_mul_f64 v[104:105], v[94:95], v[42:43]
	v_fmac_f64_e32 v[104:105], v[96:97], v[44:45]
	v_add_f64 v[106:107], v[102:103], v[104:105]
	ds_read_b128 v[102:105], v1 offset:992
	s_waitcnt vmcnt(54) lgkmcnt(1)
	v_mul_f64 v[108:109], v[98:99], v[54:55]
	s_waitcnt vmcnt(52)
	v_fmac_f64_e32 v[108:109], v[100:101], v[56:57]
	v_add_f64 v[110:111], v[106:107], v[108:109]
	ds_read_b128 v[106:109], v1 offset:1008
	s_waitcnt lgkmcnt(1)
	v_mul_f64 v[112:113], v[102:103], v[50:51]
	v_fmac_f64_e32 v[112:113], v[104:105], v[52:53]
	v_add_f64 v[114:115], v[110:111], v[112:113]
	ds_read_b128 v[110:113], v1 offset:1024
	s_waitcnt vmcnt(46) lgkmcnt(1)
	v_mul_f64 v[116:117], v[106:107], v[62:63]
	s_waitcnt vmcnt(44)
	v_fmac_f64_e32 v[116:117], v[108:109], v[64:65]
	v_add_f64 v[122:123], v[114:115], v[116:117]
	ds_read_b128 v[114:117], v1 offset:1040
	s_waitcnt lgkmcnt(1)
	v_mul_f64 v[124:125], v[110:111], v[58:59]
	v_fmac_f64_e32 v[124:125], v[112:113], v[60:61]
	v_add_f64 v[14:15], v[14:15], 0
	v_fma_f64 v[10:11], v[10:11], v[24:25], -v[12:13]
	v_mul_f64 v[8:9], v[8:9], v[32:33]
	v_add_f64 v[126:127], v[122:123], v[124:125]
	ds_read_b128 v[122:125], v1 offset:1056
	v_add_f64 v[10:11], v[14:15], v[10:11]
	v_fma_f64 v[6:7], v[6:7], v[26:27], -v[8:9]
	v_mul_f64 v[4:5], v[4:5], v[38:39]
	v_add_f64 v[6:7], v[10:11], v[6:7]
	v_fma_f64 v[2:3], v[2:3], v[40:41], -v[4:5]
	v_mul_f64 v[4:5], v[88:89], v[34:35]
	v_add_f64 v[2:3], v[6:7], v[2:3]
	v_fma_f64 v[4:5], v[86:87], v[36:37], -v[4:5]
	s_waitcnt vmcnt(38) lgkmcnt(1)
	v_mul_f64 v[128:129], v[114:115], v[70:71]
	v_add_f64 v[2:3], v[2:3], v[4:5]
	v_mul_f64 v[4:5], v[92:93], v[46:47]
	s_waitcnt vmcnt(36)
	v_fmac_f64_e32 v[128:129], v[116:117], v[72:73]
	v_fma_f64 v[4:5], v[90:91], v[48:49], -v[4:5]
	v_add_f64 v[130:131], v[126:127], v[128:129]
	ds_read_b128 v[126:129], v1 offset:1072
	s_waitcnt lgkmcnt(1)
	v_mul_f64 v[132:133], v[122:123], v[66:67]
	v_add_f64 v[2:3], v[2:3], v[4:5]
	v_mul_f64 v[4:5], v[96:97], v[42:43]
	v_fmac_f64_e32 v[132:133], v[124:125], v[68:69]
	v_fma_f64 v[4:5], v[94:95], v[44:45], -v[4:5]
	v_add_f64 v[134:135], v[130:131], v[132:133]
	ds_read_b128 v[130:133], v1 offset:1088
	v_add_f64 v[2:3], v[2:3], v[4:5]
	v_mul_f64 v[4:5], v[100:101], v[54:55]
	v_fma_f64 v[4:5], v[98:99], v[56:57], -v[4:5]
	v_add_f64 v[2:3], v[2:3], v[4:5]
	v_mul_f64 v[4:5], v[104:105], v[50:51]
	s_waitcnt vmcnt(30) lgkmcnt(1)
	v_mul_f64 v[136:137], v[126:127], v[78:79]
	v_fma_f64 v[4:5], v[102:103], v[52:53], -v[4:5]
	s_waitcnt vmcnt(28)
	v_fmac_f64_e32 v[136:137], v[128:129], v[80:81]
	v_add_f64 v[2:3], v[2:3], v[4:5]
	v_mul_f64 v[4:5], v[108:109], v[62:63]
	v_add_f64 v[138:139], v[134:135], v[136:137]
	ds_read_b128 v[134:137], v1 offset:1104
	s_waitcnt lgkmcnt(1)
	v_mul_f64 v[140:141], v[130:131], v[74:75]
	v_fma_f64 v[4:5], v[106:107], v[64:65], -v[4:5]
	v_fmac_f64_e32 v[140:141], v[132:133], v[76:77]
	v_add_f64 v[2:3], v[2:3], v[4:5]
	v_mul_f64 v[4:5], v[112:113], v[58:59]
	v_add_f64 v[142:143], v[138:139], v[140:141]
	ds_read_b128 v[138:141], v1 offset:1120
	v_fma_f64 v[4:5], v[110:111], v[60:61], -v[4:5]
	v_add_f64 v[2:3], v[2:3], v[4:5]
	v_mul_f64 v[4:5], v[116:117], v[70:71]
	v_fma_f64 v[4:5], v[114:115], v[72:73], -v[4:5]
	s_waitcnt vmcnt(22) lgkmcnt(1)
	v_mul_f64 v[144:145], v[134:135], v[118:119]
	v_add_f64 v[2:3], v[2:3], v[4:5]
	v_mul_f64 v[4:5], v[124:125], v[66:67]
	s_waitcnt vmcnt(20)
	v_fmac_f64_e32 v[144:145], v[136:137], v[162:163]
	v_fma_f64 v[4:5], v[122:123], v[68:69], -v[4:5]
	v_add_f64 v[146:147], v[142:143], v[144:145]
	ds_read_b128 v[142:145], v1 offset:1136
	s_waitcnt lgkmcnt(1)
	v_mul_f64 v[148:149], v[138:139], v[82:83]
	v_add_f64 v[2:3], v[2:3], v[4:5]
	v_mul_f64 v[4:5], v[128:129], v[78:79]
	v_fmac_f64_e32 v[148:149], v[140:141], v[84:85]
	v_fma_f64 v[4:5], v[126:127], v[80:81], -v[4:5]
	v_add_f64 v[150:151], v[146:147], v[148:149]
	ds_read_b128 v[146:149], v1 offset:1152
	v_add_f64 v[2:3], v[2:3], v[4:5]
	v_mul_f64 v[4:5], v[132:133], v[74:75]
	v_fma_f64 v[4:5], v[130:131], v[76:77], -v[4:5]
	v_add_f64 v[2:3], v[2:3], v[4:5]
	v_mul_f64 v[4:5], v[136:137], v[118:119]
	s_waitcnt vmcnt(14) lgkmcnt(1)
	v_mul_f64 v[152:153], v[142:143], v[168:169]
	v_fma_f64 v[4:5], v[134:135], v[162:163], -v[4:5]
	s_waitcnt vmcnt(12)
	v_fmac_f64_e32 v[152:153], v[144:145], v[170:171]
	v_add_f64 v[2:3], v[2:3], v[4:5]
	v_mul_f64 v[4:5], v[140:141], v[82:83]
	v_add_f64 v[154:155], v[150:151], v[152:153]
	ds_read_b128 v[150:153], v1 offset:1168
	s_waitcnt lgkmcnt(1)
	v_mul_f64 v[156:157], v[146:147], v[164:165]
	v_fma_f64 v[4:5], v[138:139], v[84:85], -v[4:5]
	v_fmac_f64_e32 v[156:157], v[148:149], v[166:167]
	v_add_f64 v[2:3], v[2:3], v[4:5]
	v_mul_f64 v[4:5], v[144:145], v[168:169]
	v_add_f64 v[184:185], v[154:155], v[156:157]
	ds_read_b128 v[154:157], v1 offset:1184
	ds_read_b128 v[158:161], v1 offset:1200
	v_fma_f64 v[4:5], v[142:143], v[170:171], -v[4:5]
	v_add_f64 v[2:3], v[2:3], v[4:5]
	v_mul_f64 v[4:5], v[148:149], v[164:165]
	v_fma_f64 v[4:5], v[146:147], v[166:167], -v[4:5]
	v_add_f64 v[2:3], v[2:3], v[4:5]
	s_waitcnt vmcnt(6) lgkmcnt(2)
	v_mul_f64 v[4:5], v[152:153], v[176:177]
	v_mul_f64 v[194:195], v[150:151], v[176:177]
	s_waitcnt vmcnt(4)
	v_fma_f64 v[4:5], v[150:151], v[178:179], -v[4:5]
	v_fmac_f64_e32 v[194:195], v[152:153], v[178:179]
	v_add_f64 v[2:3], v[2:3], v[4:5]
	s_waitcnt lgkmcnt(1)
	v_mul_f64 v[4:5], v[156:157], v[172:173]
	v_add_f64 v[184:185], v[184:185], v[194:195]
	v_mul_f64 v[194:195], v[154:155], v[172:173]
	v_fma_f64 v[4:5], v[154:155], v[174:175], -v[4:5]
	v_fmac_f64_e32 v[194:195], v[156:157], v[174:175]
	v_add_f64 v[2:3], v[2:3], v[4:5]
	s_waitcnt vmcnt(2) lgkmcnt(0)
	v_mul_f64 v[4:5], v[160:161], v[180:181]
	v_add_f64 v[184:185], v[184:185], v[194:195]
	v_mul_f64 v[194:195], v[158:159], v[180:181]
	s_waitcnt vmcnt(0)
	v_fma_f64 v[4:5], v[158:159], v[182:183], -v[4:5]
	v_fmac_f64_e32 v[194:195], v[160:161], v[182:183]
	v_add_f64 v[2:3], v[2:3], v[4:5]
	v_add_f64 v[184:185], v[184:185], v[194:195]
	v_add_f64 v[2:3], v[20:21], -v[2:3]
	v_cmp_lt_u32_e32 vcc, 14, v0
	v_add_f64 v[4:5], v[18:19], -v[184:185]
	buffer_store_dword v3, off, s[0:3], 0 offset:260
	buffer_store_dword v2, off, s[0:3], 0 offset:256
	;; [unrolled: 1-line block ×4, first 2 shown]
	s_and_saveexec_b64 s[4:5], vcc
	s_cbranch_execz .LBB101_213
; %bb.212:
	v_accvgpr_read_b32 v1, a98
	buffer_load_dword v2, v1, s[0:3], 0 offen
	buffer_load_dword v3, v1, s[0:3], 0 offen offset:4
	buffer_load_dword v4, v1, s[0:3], 0 offen offset:8
	;; [unrolled: 1-line block ×3, first 2 shown]
	v_mov_b32_e32 v1, 0
	buffer_store_dword v1, off, s[0:3], 0 offset:240
	buffer_store_dword v1, off, s[0:3], 0 offset:244
	;; [unrolled: 1-line block ×4, first 2 shown]
	s_waitcnt vmcnt(4)
	ds_write_b128 v120, v[2:5]
.LBB101_213:
	s_or_b64 exec, exec, s[4:5]
	s_waitcnt lgkmcnt(0)
	; wave barrier
	s_waitcnt lgkmcnt(0)
	buffer_load_dword v9, off, s[0:3], 0 offset:268
	buffer_load_dword v6, off, s[0:3], 0 offset:280
	;; [unrolled: 1-line block ×64, first 2 shown]
	v_mov_b32_e32 v1, 0
	ds_read_b128 v[74:77], v1 offset:848
	ds_read_b128 v[78:81], v1 offset:864
	buffer_load_dword v67, off, s[0:3], 0 offset:524
	buffer_load_dword v66, off, s[0:3], 0 offset:520
	;; [unrolled: 1-line block ×8, first 2 shown]
	ds_read_b128 v[82:85], v1 offset:880
	ds_read_b128 v[86:89], v1 offset:896
	buffer_load_dword v119, off, s[0:3], 0 offset:556
	buffer_load_dword v118, off, s[0:3], 0 offset:552
	;; [unrolled: 1-line block ×24, first 2 shown]
	ds_read_b128 v[166:169], v1 offset:1200
	v_cmp_lt_u32_e32 vcc, 13, v0
	s_waitcnt vmcnt(62) lgkmcnt(1)
	v_mul_f64 v[96:97], v[86:87], v[22:23]
	v_fmac_f64_e32 v[96:97], v[88:89], v[24:25]
	v_mul_f64 v[92:93], v[78:79], v[6:7]
	v_mul_f64 v[90:91], v[74:75], v[8:9]
	;; [unrolled: 1-line block ×3, first 2 shown]
	v_fmac_f64_e32 v[90:91], v[76:77], v[10:11]
	v_add_f64 v[90:91], v[90:91], 0
	v_fma_f64 v[8:9], v[74:75], v[10:11], -v[8:9]
	v_mul_f64 v[6:7], v[80:81], v[6:7]
	v_add_f64 v[8:9], v[8:9], 0
	v_fmac_f64_e32 v[92:93], v[80:81], v[14:15]
	v_add_f64 v[90:91], v[90:91], v[92:93]
	v_mul_f64 v[92:93], v[82:83], v[16:17]
	v_fmac_f64_e32 v[92:93], v[84:85], v[12:13]
	v_add_f64 v[94:95], v[90:91], v[92:93]
	ds_read_b128 v[90:93], v1 offset:912
	v_add_f64 v[98:99], v[94:95], v[96:97]
	ds_read_b128 v[94:97], v1 offset:928
	v_fma_f64 v[6:7], v[78:79], v[14:15], -v[6:7]
	v_add_f64 v[6:7], v[8:9], v[6:7]
	s_waitcnt lgkmcnt(1)
	v_mul_f64 v[100:101], v[90:91], v[18:19]
	v_fmac_f64_e32 v[100:101], v[92:93], v[20:21]
	v_add_f64 v[102:103], v[98:99], v[100:101]
	ds_read_b128 v[98:101], v1 offset:944
	s_waitcnt lgkmcnt(1)
	v_mul_f64 v[104:105], v[94:95], v[30:31]
	v_fmac_f64_e32 v[104:105], v[96:97], v[32:33]
	v_add_f64 v[106:107], v[102:103], v[104:105]
	ds_read_b128 v[102:105], v1 offset:960
	;; [unrolled: 5-line block ×3, first 2 shown]
	s_waitcnt vmcnt(58) lgkmcnt(1)
	v_mul_f64 v[112:113], v[102:103], v[38:39]
	s_waitcnt vmcnt(56)
	v_fmac_f64_e32 v[112:113], v[104:105], v[40:41]
	v_add_f64 v[114:115], v[110:111], v[112:113]
	ds_read_b128 v[110:113], v1 offset:992
	s_waitcnt lgkmcnt(1)
	v_mul_f64 v[116:117], v[106:107], v[34:35]
	v_fmac_f64_e32 v[116:117], v[108:109], v[36:37]
	v_add_f64 v[122:123], v[114:115], v[116:117]
	ds_read_b128 v[114:117], v1 offset:1008
	s_waitcnt vmcnt(50) lgkmcnt(1)
	v_mul_f64 v[124:125], v[110:111], v[46:47]
	s_waitcnt vmcnt(48)
	v_fmac_f64_e32 v[124:125], v[112:113], v[48:49]
	v_add_f64 v[126:127], v[122:123], v[124:125]
	ds_read_b128 v[122:125], v1 offset:1024
	v_mul_f64 v[8:9], v[84:85], v[16:17]
	s_waitcnt lgkmcnt(1)
	v_mul_f64 v[128:129], v[114:115], v[42:43]
	v_fma_f64 v[8:9], v[82:83], v[12:13], -v[8:9]
	v_fmac_f64_e32 v[128:129], v[116:117], v[44:45]
	v_add_f64 v[6:7], v[6:7], v[8:9]
	v_mul_f64 v[8:9], v[88:89], v[22:23]
	v_add_f64 v[130:131], v[126:127], v[128:129]
	ds_read_b128 v[126:129], v1 offset:1040
	s_waitcnt vmcnt(42) lgkmcnt(1)
	v_mul_f64 v[132:133], v[122:123], v[54:55]
	v_fma_f64 v[8:9], v[86:87], v[24:25], -v[8:9]
	s_waitcnt vmcnt(40)
	v_fmac_f64_e32 v[132:133], v[124:125], v[56:57]
	v_add_f64 v[6:7], v[6:7], v[8:9]
	v_mul_f64 v[8:9], v[92:93], v[18:19]
	v_add_f64 v[134:135], v[130:131], v[132:133]
	ds_read_b128 v[130:133], v1 offset:1056
	v_fma_f64 v[8:9], v[90:91], v[20:21], -v[8:9]
	v_add_f64 v[6:7], v[6:7], v[8:9]
	v_mul_f64 v[8:9], v[96:97], v[30:31]
	v_fma_f64 v[8:9], v[94:95], v[32:33], -v[8:9]
	s_waitcnt lgkmcnt(1)
	v_mul_f64 v[136:137], v[126:127], v[50:51]
	v_add_f64 v[6:7], v[6:7], v[8:9]
	v_mul_f64 v[8:9], v[100:101], v[26:27]
	v_fmac_f64_e32 v[136:137], v[128:129], v[52:53]
	v_fma_f64 v[8:9], v[98:99], v[28:29], -v[8:9]
	v_add_f64 v[138:139], v[134:135], v[136:137]
	ds_read_b128 v[134:137], v1 offset:1072
	s_waitcnt vmcnt(34) lgkmcnt(1)
	v_mul_f64 v[140:141], v[130:131], v[62:63]
	v_add_f64 v[6:7], v[6:7], v[8:9]
	v_mul_f64 v[8:9], v[104:105], v[38:39]
	s_waitcnt vmcnt(32)
	v_fmac_f64_e32 v[140:141], v[132:133], v[64:65]
	v_fma_f64 v[8:9], v[102:103], v[40:41], -v[8:9]
	v_add_f64 v[142:143], v[138:139], v[140:141]
	ds_read_b128 v[138:141], v1 offset:1088
	v_add_f64 v[6:7], v[6:7], v[8:9]
	v_mul_f64 v[8:9], v[108:109], v[34:35]
	v_fma_f64 v[8:9], v[106:107], v[36:37], -v[8:9]
	v_add_f64 v[6:7], v[6:7], v[8:9]
	v_mul_f64 v[8:9], v[112:113], v[46:47]
	s_waitcnt lgkmcnt(1)
	v_mul_f64 v[144:145], v[134:135], v[58:59]
	v_fma_f64 v[8:9], v[110:111], v[48:49], -v[8:9]
	v_fmac_f64_e32 v[144:145], v[136:137], v[60:61]
	v_add_f64 v[6:7], v[6:7], v[8:9]
	v_mul_f64 v[8:9], v[116:117], v[42:43]
	v_add_f64 v[146:147], v[142:143], v[144:145]
	ds_read_b128 v[142:145], v1 offset:1104
	s_waitcnt vmcnt(26) lgkmcnt(1)
	v_mul_f64 v[148:149], v[138:139], v[70:71]
	v_fma_f64 v[8:9], v[114:115], v[44:45], -v[8:9]
	s_waitcnt vmcnt(24)
	v_fmac_f64_e32 v[148:149], v[140:141], v[72:73]
	v_add_f64 v[6:7], v[6:7], v[8:9]
	v_mul_f64 v[8:9], v[124:125], v[54:55]
	v_add_f64 v[150:151], v[146:147], v[148:149]
	ds_read_b128 v[146:149], v1 offset:1120
	v_fma_f64 v[8:9], v[122:123], v[56:57], -v[8:9]
	v_add_f64 v[6:7], v[6:7], v[8:9]
	v_mul_f64 v[8:9], v[128:129], v[50:51]
	v_fma_f64 v[8:9], v[126:127], v[52:53], -v[8:9]
	s_waitcnt lgkmcnt(1)
	v_mul_f64 v[152:153], v[142:143], v[66:67]
	v_add_f64 v[6:7], v[6:7], v[8:9]
	v_mul_f64 v[8:9], v[132:133], v[62:63]
	v_fmac_f64_e32 v[152:153], v[144:145], v[68:69]
	v_fma_f64 v[8:9], v[130:131], v[64:65], -v[8:9]
	v_add_f64 v[154:155], v[150:151], v[152:153]
	ds_read_b128 v[150:153], v1 offset:1136
	s_waitcnt vmcnt(18) lgkmcnt(1)
	v_mul_f64 v[156:157], v[146:147], v[172:173]
	v_add_f64 v[6:7], v[6:7], v[8:9]
	v_mul_f64 v[8:9], v[136:137], v[58:59]
	s_waitcnt vmcnt(16)
	v_fmac_f64_e32 v[156:157], v[148:149], v[174:175]
	v_fma_f64 v[8:9], v[134:135], v[60:61], -v[8:9]
	v_add_f64 v[158:159], v[154:155], v[156:157]
	ds_read_b128 v[154:157], v1 offset:1152
	v_add_f64 v[6:7], v[6:7], v[8:9]
	v_mul_f64 v[8:9], v[140:141], v[70:71]
	v_fma_f64 v[8:9], v[138:139], v[72:73], -v[8:9]
	v_add_f64 v[6:7], v[6:7], v[8:9]
	v_mul_f64 v[8:9], v[144:145], v[66:67]
	s_waitcnt lgkmcnt(1)
	v_mul_f64 v[160:161], v[150:151], v[118:119]
	v_fma_f64 v[8:9], v[142:143], v[68:69], -v[8:9]
	v_fmac_f64_e32 v[160:161], v[152:153], v[170:171]
	v_add_f64 v[6:7], v[6:7], v[8:9]
	v_mul_f64 v[8:9], v[148:149], v[172:173]
	v_add_f64 v[162:163], v[158:159], v[160:161]
	ds_read_b128 v[158:161], v1 offset:1168
	s_waitcnt vmcnt(10) lgkmcnt(1)
	v_mul_f64 v[164:165], v[154:155], v[180:181]
	v_fma_f64 v[8:9], v[146:147], v[174:175], -v[8:9]
	s_waitcnt vmcnt(8)
	v_fmac_f64_e32 v[164:165], v[156:157], v[182:183]
	v_add_f64 v[6:7], v[6:7], v[8:9]
	v_mul_f64 v[8:9], v[152:153], v[118:119]
	v_add_f64 v[200:201], v[162:163], v[164:165]
	ds_read_b128 v[162:165], v1 offset:1184
	v_fma_f64 v[8:9], v[150:151], v[170:171], -v[8:9]
	v_add_f64 v[6:7], v[6:7], v[8:9]
	v_mul_f64 v[8:9], v[156:157], v[180:181]
	v_fma_f64 v[8:9], v[154:155], v[182:183], -v[8:9]
	v_add_f64 v[6:7], v[6:7], v[8:9]
	s_waitcnt lgkmcnt(1)
	v_mul_f64 v[8:9], v[160:161], v[176:177]
	v_mul_f64 v[202:203], v[158:159], v[176:177]
	v_fma_f64 v[8:9], v[158:159], v[178:179], -v[8:9]
	v_fmac_f64_e32 v[202:203], v[160:161], v[178:179]
	v_add_f64 v[6:7], v[6:7], v[8:9]
	s_waitcnt vmcnt(2) lgkmcnt(0)
	v_mul_f64 v[8:9], v[164:165], v[196:197]
	v_add_f64 v[200:201], v[200:201], v[202:203]
	v_mul_f64 v[202:203], v[162:163], v[196:197]
	s_waitcnt vmcnt(0)
	v_fma_f64 v[8:9], v[162:163], v[198:199], -v[8:9]
	v_fmac_f64_e32 v[202:203], v[164:165], v[198:199]
	v_add_f64 v[6:7], v[6:7], v[8:9]
	v_mul_f64 v[8:9], v[168:169], v[184:185]
	v_add_f64 v[200:201], v[200:201], v[202:203]
	v_mul_f64 v[202:203], v[166:167], v[184:185]
	v_fma_f64 v[8:9], v[166:167], v[194:195], -v[8:9]
	v_fmac_f64_e32 v[202:203], v[168:169], v[194:195]
	v_add_f64 v[6:7], v[6:7], v[8:9]
	v_add_f64 v[200:201], v[200:201], v[202:203]
	v_add_f64 v[4:5], v[4:5], -v[6:7]
	v_add_f64 v[2:3], v[2:3], -v[200:201]
	buffer_store_dword v5, off, s[0:3], 0 offset:244
	buffer_store_dword v4, off, s[0:3], 0 offset:240
	;; [unrolled: 1-line block ×4, first 2 shown]
	s_and_saveexec_b64 s[4:5], vcc
	s_cbranch_execz .LBB101_215
; %bb.214:
	v_accvgpr_read_b32 v5, a99
	buffer_load_dword v2, v5, s[0:3], 0 offen
	buffer_load_dword v3, v5, s[0:3], 0 offen offset:4
	buffer_load_dword v4, v5, s[0:3], 0 offen offset:8
	s_nop 0
	buffer_load_dword v5, v5, s[0:3], 0 offen offset:12
	s_nop 0
	buffer_store_dword v1, off, s[0:3], 0 offset:224
	buffer_store_dword v1, off, s[0:3], 0 offset:228
	;; [unrolled: 1-line block ×4, first 2 shown]
	s_waitcnt vmcnt(4)
	ds_write_b128 v120, v[2:5]
.LBB101_215:
	s_or_b64 exec, exec, s[4:5]
	s_waitcnt lgkmcnt(0)
	; wave barrier
	s_waitcnt lgkmcnt(0)
	buffer_load_dword v22, off, s[0:3], 0 offset:240
	buffer_load_dword v23, off, s[0:3], 0 offset:244
	;; [unrolled: 1-line block ×16, first 2 shown]
	ds_read_b128 v[2:5], v1 offset:832
	ds_read_b128 v[6:9], v1 offset:848
	;; [unrolled: 1-line block ×4, first 2 shown]
	buffer_load_dword v35, off, s[0:3], 0 offset:316
	buffer_load_dword v34, off, s[0:3], 0 offset:312
	;; [unrolled: 1-line block ×48, first 2 shown]
	v_cmp_lt_u32_e32 vcc, 12, v0
	s_waitcnt vmcnt(42) lgkmcnt(0)
	v_mul_f64 v[104:105], v[14:15], v[38:39]
	s_waitcnt vmcnt(40)
	v_fmac_f64_e32 v[104:105], v[16:17], v[40:41]
	v_mul_f64 v[82:83], v[2:3], v[24:25]
	v_fmac_f64_e32 v[82:83], v[4:5], v[22:23]
	v_add_f64 v[82:83], v[82:83], 0
	v_mul_f64 v[4:5], v[4:5], v[24:25]
	v_mul_f64 v[84:85], v[6:7], v[32:33]
	v_fma_f64 v[2:3], v[2:3], v[22:23], -v[4:5]
	v_mul_f64 v[98:99], v[10:11], v[26:27]
	v_fmac_f64_e32 v[98:99], v[12:13], v[30:31]
	v_fmac_f64_e32 v[84:85], v[8:9], v[28:29]
	v_add_f64 v[100:101], v[82:83], v[84:85]
	buffer_load_dword v83, off, s[0:3], 0 offset:508
	buffer_load_dword v82, off, s[0:3], 0 offset:504
	;; [unrolled: 1-line block ×32, first 2 shown]
	v_add_f64 v[102:103], v[100:101], v[98:99]
	ds_read_b128 v[98:101], v1 offset:896
	buffer_load_dword v205, off, s[0:3], 0 offset:620
	buffer_load_dword v204, off, s[0:3], 0 offset:616
	;; [unrolled: 1-line block ×4, first 2 shown]
	v_add_f64 v[106:107], v[102:103], v[104:105]
	ds_read_b128 v[102:105], v1 offset:912
	v_mul_f64 v[4:5], v[8:9], v[32:33]
	s_waitcnt lgkmcnt(1)
	v_mul_f64 v[108:109], v[98:99], v[34:35]
	v_fmac_f64_e32 v[108:109], v[100:101], v[36:37]
	v_add_f64 v[110:111], v[106:107], v[108:109]
	ds_read_b128 v[106:109], v1 offset:928
	s_waitcnt vmcnt(62) lgkmcnt(1)
	v_mul_f64 v[112:113], v[102:103], v[46:47]
	v_fmac_f64_e32 v[112:113], v[104:105], v[48:49]
	v_add_f64 v[114:115], v[110:111], v[112:113]
	ds_read_b128 v[110:113], v1 offset:944
	s_waitcnt lgkmcnt(1)
	v_mul_f64 v[116:117], v[106:107], v[42:43]
	v_fmac_f64_e32 v[116:117], v[108:109], v[44:45]
	v_add_f64 v[122:123], v[114:115], v[116:117]
	ds_read_b128 v[114:117], v1 offset:960
	s_waitcnt lgkmcnt(1)
	v_mul_f64 v[124:125], v[110:111], v[54:55]
	s_waitcnt vmcnt(60)
	v_fmac_f64_e32 v[124:125], v[112:113], v[56:57]
	v_add_f64 v[126:127], v[122:123], v[124:125]
	ds_read_b128 v[122:125], v1 offset:976
	s_waitcnt lgkmcnt(1)
	v_mul_f64 v[128:129], v[114:115], v[50:51]
	v_fmac_f64_e32 v[128:129], v[116:117], v[52:53]
	v_add_f64 v[130:131], v[126:127], v[128:129]
	ds_read_b128 v[126:129], v1 offset:992
	s_waitcnt vmcnt(54) lgkmcnt(1)
	v_mul_f64 v[132:133], v[122:123], v[62:63]
	s_waitcnt vmcnt(52)
	v_fmac_f64_e32 v[132:133], v[124:125], v[64:65]
	v_add_f64 v[134:135], v[130:131], v[132:133]
	ds_read_b128 v[130:133], v1 offset:1008
	s_waitcnt lgkmcnt(1)
	v_mul_f64 v[136:137], v[126:127], v[58:59]
	v_fmac_f64_e32 v[136:137], v[128:129], v[60:61]
	v_add_f64 v[2:3], v[2:3], 0
	v_fma_f64 v[4:5], v[6:7], v[28:29], -v[4:5]
	v_add_f64 v[138:139], v[134:135], v[136:137]
	ds_read_b128 v[134:137], v1 offset:1024
	v_add_f64 v[2:3], v[2:3], v[4:5]
	v_mul_f64 v[4:5], v[12:13], v[26:27]
	v_fma_f64 v[4:5], v[10:11], v[30:31], -v[4:5]
	v_add_f64 v[2:3], v[2:3], v[4:5]
	v_mul_f64 v[4:5], v[16:17], v[38:39]
	s_waitcnt vmcnt(46) lgkmcnt(1)
	v_mul_f64 v[140:141], v[130:131], v[70:71]
	v_fma_f64 v[4:5], v[14:15], v[40:41], -v[4:5]
	s_waitcnt vmcnt(44)
	v_fmac_f64_e32 v[140:141], v[132:133], v[72:73]
	v_add_f64 v[2:3], v[2:3], v[4:5]
	v_mul_f64 v[4:5], v[100:101], v[34:35]
	v_add_f64 v[142:143], v[138:139], v[140:141]
	ds_read_b128 v[138:141], v1 offset:1040
	s_waitcnt lgkmcnt(1)
	v_mul_f64 v[144:145], v[134:135], v[66:67]
	v_fma_f64 v[4:5], v[98:99], v[36:37], -v[4:5]
	v_fmac_f64_e32 v[144:145], v[136:137], v[68:69]
	v_add_f64 v[2:3], v[2:3], v[4:5]
	v_mul_f64 v[4:5], v[104:105], v[46:47]
	v_add_f64 v[146:147], v[142:143], v[144:145]
	ds_read_b128 v[142:145], v1 offset:1056
	v_fma_f64 v[4:5], v[102:103], v[48:49], -v[4:5]
	v_add_f64 v[2:3], v[2:3], v[4:5]
	v_mul_f64 v[4:5], v[108:109], v[42:43]
	v_fma_f64 v[4:5], v[106:107], v[44:45], -v[4:5]
	s_waitcnt vmcnt(38) lgkmcnt(1)
	v_mul_f64 v[148:149], v[138:139], v[78:79]
	v_add_f64 v[2:3], v[2:3], v[4:5]
	v_mul_f64 v[4:5], v[112:113], v[54:55]
	s_waitcnt vmcnt(36)
	v_fmac_f64_e32 v[148:149], v[140:141], v[80:81]
	v_fma_f64 v[4:5], v[110:111], v[56:57], -v[4:5]
	v_add_f64 v[150:151], v[146:147], v[148:149]
	ds_read_b128 v[146:149], v1 offset:1072
	s_waitcnt lgkmcnt(1)
	v_mul_f64 v[152:153], v[142:143], v[74:75]
	v_add_f64 v[2:3], v[2:3], v[4:5]
	v_mul_f64 v[4:5], v[116:117], v[50:51]
	v_fmac_f64_e32 v[152:153], v[144:145], v[76:77]
	v_fma_f64 v[4:5], v[114:115], v[52:53], -v[4:5]
	v_add_f64 v[154:155], v[150:151], v[152:153]
	ds_read_b128 v[150:153], v1 offset:1088
	v_add_f64 v[2:3], v[2:3], v[4:5]
	v_mul_f64 v[4:5], v[124:125], v[62:63]
	v_fma_f64 v[4:5], v[122:123], v[64:65], -v[4:5]
	v_add_f64 v[2:3], v[2:3], v[4:5]
	v_mul_f64 v[4:5], v[128:129], v[58:59]
	s_waitcnt vmcnt(30) lgkmcnt(1)
	v_mul_f64 v[156:157], v[146:147], v[86:87]
	v_fma_f64 v[4:5], v[126:127], v[60:61], -v[4:5]
	s_waitcnt vmcnt(28)
	v_fmac_f64_e32 v[156:157], v[148:149], v[88:89]
	v_add_f64 v[2:3], v[2:3], v[4:5]
	v_mul_f64 v[4:5], v[132:133], v[70:71]
	v_add_f64 v[158:159], v[154:155], v[156:157]
	ds_read_b128 v[154:157], v1 offset:1104
	s_waitcnt lgkmcnt(1)
	v_mul_f64 v[160:161], v[150:151], v[82:83]
	v_fma_f64 v[4:5], v[130:131], v[72:73], -v[4:5]
	v_fmac_f64_e32 v[160:161], v[152:153], v[84:85]
	v_add_f64 v[2:3], v[2:3], v[4:5]
	v_mul_f64 v[4:5], v[136:137], v[66:67]
	v_add_f64 v[162:163], v[158:159], v[160:161]
	ds_read_b128 v[158:161], v1 offset:1120
	v_fma_f64 v[4:5], v[134:135], v[68:69], -v[4:5]
	v_add_f64 v[2:3], v[2:3], v[4:5]
	v_mul_f64 v[4:5], v[140:141], v[78:79]
	v_fma_f64 v[4:5], v[138:139], v[80:81], -v[4:5]
	s_waitcnt vmcnt(22) lgkmcnt(1)
	v_mul_f64 v[164:165], v[154:155], v[94:95]
	v_add_f64 v[2:3], v[2:3], v[4:5]
	v_mul_f64 v[4:5], v[144:145], v[74:75]
	s_waitcnt vmcnt(20)
	v_fmac_f64_e32 v[164:165], v[156:157], v[96:97]
	v_fma_f64 v[4:5], v[142:143], v[76:77], -v[4:5]
	v_add_f64 v[166:167], v[162:163], v[164:165]
	ds_read_b128 v[162:165], v1 offset:1136
	s_waitcnt lgkmcnt(1)
	v_mul_f64 v[168:169], v[158:159], v[90:91]
	v_add_f64 v[2:3], v[2:3], v[4:5]
	v_mul_f64 v[4:5], v[148:149], v[86:87]
	v_fmac_f64_e32 v[168:169], v[160:161], v[92:93]
	v_fma_f64 v[4:5], v[146:147], v[88:89], -v[4:5]
	v_add_f64 v[170:171], v[166:167], v[168:169]
	ds_read_b128 v[166:169], v1 offset:1152
	v_add_f64 v[2:3], v[2:3], v[4:5]
	v_mul_f64 v[4:5], v[152:153], v[82:83]
	v_fma_f64 v[4:5], v[150:151], v[84:85], -v[4:5]
	v_add_f64 v[2:3], v[2:3], v[4:5]
	v_mul_f64 v[4:5], v[156:157], v[94:95]
	s_waitcnt vmcnt(14) lgkmcnt(1)
	v_mul_f64 v[172:173], v[162:163], v[184:185]
	v_fma_f64 v[4:5], v[154:155], v[96:97], -v[4:5]
	s_waitcnt vmcnt(12)
	v_fmac_f64_e32 v[172:173], v[164:165], v[194:195]
	v_add_f64 v[2:3], v[2:3], v[4:5]
	v_mul_f64 v[4:5], v[160:161], v[90:91]
	v_add_f64 v[174:175], v[170:171], v[172:173]
	ds_read_b128 v[170:173], v1 offset:1168
	s_waitcnt lgkmcnt(1)
	v_mul_f64 v[176:177], v[166:167], v[118:119]
	v_fma_f64 v[4:5], v[158:159], v[92:93], -v[4:5]
	v_fmac_f64_e32 v[176:177], v[168:169], v[182:183]
	v_add_f64 v[2:3], v[2:3], v[4:5]
	v_mul_f64 v[4:5], v[164:165], v[184:185]
	v_add_f64 v[208:209], v[174:175], v[176:177]
	ds_read_b128 v[174:177], v1 offset:1184
	v_fma_f64 v[4:5], v[162:163], v[194:195], -v[4:5]
	v_add_f64 v[2:3], v[2:3], v[4:5]
	v_mul_f64 v[4:5], v[168:169], v[118:119]
	ds_read_b128 v[178:181], v1 offset:1200
	v_fma_f64 v[4:5], v[166:167], v[182:183], -v[4:5]
	v_add_f64 v[2:3], v[2:3], v[4:5]
	s_waitcnt vmcnt(6) lgkmcnt(2)
	v_mul_f64 v[4:5], v[172:173], v[200:201]
	v_mul_f64 v[210:211], v[170:171], v[200:201]
	s_waitcnt vmcnt(4)
	v_fma_f64 v[4:5], v[170:171], v[202:203], -v[4:5]
	v_fmac_f64_e32 v[210:211], v[172:173], v[202:203]
	v_add_f64 v[2:3], v[2:3], v[4:5]
	s_waitcnt lgkmcnt(1)
	v_mul_f64 v[4:5], v[176:177], v[196:197]
	v_add_f64 v[208:209], v[208:209], v[210:211]
	v_mul_f64 v[210:211], v[174:175], v[196:197]
	v_fma_f64 v[4:5], v[174:175], v[198:199], -v[4:5]
	v_fmac_f64_e32 v[210:211], v[176:177], v[198:199]
	v_add_f64 v[2:3], v[2:3], v[4:5]
	s_waitcnt vmcnt(2) lgkmcnt(0)
	v_mul_f64 v[4:5], v[180:181], v[204:205]
	v_add_f64 v[208:209], v[208:209], v[210:211]
	v_mul_f64 v[210:211], v[178:179], v[204:205]
	s_waitcnt vmcnt(0)
	v_fma_f64 v[4:5], v[178:179], v[206:207], -v[4:5]
	v_fmac_f64_e32 v[210:211], v[180:181], v[206:207]
	v_add_f64 v[2:3], v[2:3], v[4:5]
	v_add_f64 v[208:209], v[208:209], v[210:211]
	v_add_f64 v[2:3], v[20:21], -v[2:3]
	v_add_f64 v[4:5], v[18:19], -v[208:209]
	buffer_store_dword v3, off, s[0:3], 0 offset:228
	buffer_store_dword v2, off, s[0:3], 0 offset:224
	;; [unrolled: 1-line block ×4, first 2 shown]
	s_and_saveexec_b64 s[4:5], vcc
	s_cbranch_execz .LBB101_217
; %bb.216:
	v_accvgpr_read_b32 v1, a100
	buffer_load_dword v2, v1, s[0:3], 0 offen
	buffer_load_dword v3, v1, s[0:3], 0 offen offset:4
	buffer_load_dword v4, v1, s[0:3], 0 offen offset:8
	;; [unrolled: 1-line block ×3, first 2 shown]
	v_mov_b32_e32 v1, 0
	buffer_store_dword v1, off, s[0:3], 0 offset:208
	buffer_store_dword v1, off, s[0:3], 0 offset:212
	;; [unrolled: 1-line block ×4, first 2 shown]
	s_waitcnt vmcnt(4)
	ds_write_b128 v120, v[2:5]
.LBB101_217:
	s_or_b64 exec, exec, s[4:5]
	s_waitcnt lgkmcnt(0)
	; wave barrier
	s_waitcnt lgkmcnt(0)
	buffer_load_dword v22, off, s[0:3], 0 offset:224
	buffer_load_dword v23, off, s[0:3], 0 offset:228
	;; [unrolled: 1-line block ×64, first 2 shown]
	v_mov_b32_e32 v1, 0
	ds_read_b128 v[18:21], v1 offset:816
	ds_read_b128 v[14:17], v1 offset:832
	;; [unrolled: 1-line block ×5, first 2 shown]
	v_cmp_lt_u32_e32 vcc, 11, v0
	s_waitcnt vmcnt(60) lgkmcnt(4)
	v_mul_f64 v[86:87], v[18:19], v[26:27]
	v_fmac_f64_e32 v[86:87], v[20:21], v[22:23]
	v_add_f64 v[86:87], v[86:87], 0
	v_mul_f64 v[20:21], v[20:21], v[26:27]
	s_waitcnt vmcnt(56) lgkmcnt(3)
	v_mul_f64 v[88:89], v[14:15], v[28:29]
	v_fmac_f64_e32 v[88:89], v[16:17], v[24:25]
	s_waitcnt vmcnt(54) lgkmcnt(2)
	v_mul_f64 v[90:91], v[10:11], v[30:31]
	v_add_f64 v[86:87], v[86:87], v[88:89]
	v_fma_f64 v[18:19], v[18:19], v[22:23], -v[20:21]
	v_mul_f64 v[16:17], v[16:17], v[28:29]
	s_waitcnt vmcnt(50) lgkmcnt(1)
	v_mul_f64 v[102:103], v[6:7], v[40:41]
	v_add_f64 v[18:19], v[18:19], 0
	s_waitcnt vmcnt(48)
	v_fmac_f64_e32 v[90:91], v[12:13], v[44:45]
	v_add_f64 v[104:105], v[86:87], v[90:91]
	buffer_load_dword v87, off, s[0:3], 0 offset:492
	buffer_load_dword v86, off, s[0:3], 0 offset:488
	;; [unrolled: 1-line block ×40, first 2 shown]
	s_waitcnt vmcnt(62)
	v_fmac_f64_e32 v[102:103], v[8:9], v[42:43]
	v_add_f64 v[106:107], v[104:105], v[102:103]
	ds_read_b128 v[102:105], v1 offset:896
	s_waitcnt lgkmcnt(1)
	v_mul_f64 v[108:109], v[2:3], v[36:37]
	v_fmac_f64_e32 v[108:109], v[4:5], v[38:39]
	v_add_f64 v[110:111], v[106:107], v[108:109]
	ds_read_b128 v[106:109], v1 offset:912
	s_waitcnt lgkmcnt(1)
	v_mul_f64 v[112:113], v[102:103], v[50:51]
	;; [unrolled: 5-line block ×5, first 2 shown]
	v_fmac_f64_e32 v[128:129], v[116:117], v[56:57]
	v_add_f64 v[130:131], v[126:127], v[128:129]
	ds_read_b128 v[126:129], v1 offset:976
	s_waitcnt vmcnt(58) lgkmcnt(1)
	v_mul_f64 v[132:133], v[122:123], v[66:67]
	s_waitcnt vmcnt(56)
	v_fmac_f64_e32 v[132:133], v[124:125], v[68:69]
	v_add_f64 v[134:135], v[130:131], v[132:133]
	ds_read_b128 v[130:133], v1 offset:992
	s_waitcnt lgkmcnt(1)
	v_mul_f64 v[136:137], v[126:127], v[62:63]
	v_fmac_f64_e32 v[136:137], v[128:129], v[64:65]
	v_add_f64 v[138:139], v[134:135], v[136:137]
	ds_read_b128 v[134:137], v1 offset:1008
	s_waitcnt vmcnt(50) lgkmcnt(1)
	v_mul_f64 v[140:141], v[130:131], v[74:75]
	s_waitcnt vmcnt(48)
	v_fmac_f64_e32 v[140:141], v[132:133], v[76:77]
	v_add_f64 v[142:143], v[138:139], v[140:141]
	ds_read_b128 v[138:141], v1 offset:1024
	v_fma_f64 v[14:15], v[14:15], v[24:25], -v[16:17]
	v_mul_f64 v[12:13], v[12:13], v[30:31]
	v_add_f64 v[14:15], v[18:19], v[14:15]
	v_fma_f64 v[10:11], v[10:11], v[44:45], -v[12:13]
	v_mul_f64 v[8:9], v[8:9], v[40:41]
	s_waitcnt lgkmcnt(1)
	v_mul_f64 v[144:145], v[134:135], v[70:71]
	v_add_f64 v[10:11], v[14:15], v[10:11]
	v_fma_f64 v[6:7], v[6:7], v[42:43], -v[8:9]
	v_mul_f64 v[4:5], v[4:5], v[36:37]
	v_fmac_f64_e32 v[144:145], v[136:137], v[72:73]
	v_add_f64 v[6:7], v[10:11], v[6:7]
	v_fma_f64 v[2:3], v[2:3], v[38:39], -v[4:5]
	v_mul_f64 v[4:5], v[104:105], v[50:51]
	v_add_f64 v[146:147], v[142:143], v[144:145]
	ds_read_b128 v[142:145], v1 offset:1040
	s_waitcnt vmcnt(42) lgkmcnt(1)
	v_mul_f64 v[148:149], v[138:139], v[82:83]
	v_add_f64 v[2:3], v[6:7], v[2:3]
	v_fma_f64 v[4:5], v[102:103], v[52:53], -v[4:5]
	s_waitcnt vmcnt(40)
	v_fmac_f64_e32 v[148:149], v[140:141], v[84:85]
	v_add_f64 v[2:3], v[2:3], v[4:5]
	v_mul_f64 v[4:5], v[108:109], v[46:47]
	v_add_f64 v[150:151], v[146:147], v[148:149]
	ds_read_b128 v[146:149], v1 offset:1056
	v_fma_f64 v[4:5], v[106:107], v[48:49], -v[4:5]
	v_add_f64 v[2:3], v[2:3], v[4:5]
	v_mul_f64 v[4:5], v[112:113], v[58:59]
	v_fma_f64 v[4:5], v[110:111], v[60:61], -v[4:5]
	s_waitcnt lgkmcnt(1)
	v_mul_f64 v[152:153], v[142:143], v[78:79]
	v_add_f64 v[2:3], v[2:3], v[4:5]
	v_mul_f64 v[4:5], v[116:117], v[54:55]
	v_fmac_f64_e32 v[152:153], v[144:145], v[80:81]
	v_fma_f64 v[4:5], v[114:115], v[56:57], -v[4:5]
	v_add_f64 v[154:155], v[150:151], v[152:153]
	ds_read_b128 v[150:153], v1 offset:1072
	s_waitcnt vmcnt(34) lgkmcnt(1)
	v_mul_f64 v[156:157], v[146:147], v[90:91]
	v_add_f64 v[2:3], v[2:3], v[4:5]
	v_mul_f64 v[4:5], v[124:125], v[66:67]
	s_waitcnt vmcnt(32)
	v_fmac_f64_e32 v[156:157], v[148:149], v[92:93]
	v_fma_f64 v[4:5], v[122:123], v[68:69], -v[4:5]
	v_add_f64 v[158:159], v[154:155], v[156:157]
	ds_read_b128 v[154:157], v1 offset:1088
	v_add_f64 v[2:3], v[2:3], v[4:5]
	v_mul_f64 v[4:5], v[128:129], v[62:63]
	v_fma_f64 v[4:5], v[126:127], v[64:65], -v[4:5]
	v_add_f64 v[2:3], v[2:3], v[4:5]
	v_mul_f64 v[4:5], v[132:133], v[74:75]
	s_waitcnt lgkmcnt(1)
	v_mul_f64 v[160:161], v[150:151], v[86:87]
	v_fma_f64 v[4:5], v[130:131], v[76:77], -v[4:5]
	v_fmac_f64_e32 v[160:161], v[152:153], v[88:89]
	v_add_f64 v[2:3], v[2:3], v[4:5]
	v_mul_f64 v[4:5], v[136:137], v[70:71]
	v_add_f64 v[162:163], v[158:159], v[160:161]
	ds_read_b128 v[158:161], v1 offset:1104
	s_waitcnt vmcnt(26) lgkmcnt(1)
	v_mul_f64 v[164:165], v[154:155], v[98:99]
	v_fma_f64 v[4:5], v[134:135], v[72:73], -v[4:5]
	s_waitcnt vmcnt(24)
	v_fmac_f64_e32 v[164:165], v[156:157], v[100:101]
	v_add_f64 v[2:3], v[2:3], v[4:5]
	v_mul_f64 v[4:5], v[140:141], v[82:83]
	v_add_f64 v[166:167], v[162:163], v[164:165]
	ds_read_b128 v[162:165], v1 offset:1120
	v_fma_f64 v[4:5], v[138:139], v[84:85], -v[4:5]
	v_add_f64 v[2:3], v[2:3], v[4:5]
	v_mul_f64 v[4:5], v[144:145], v[78:79]
	v_fma_f64 v[4:5], v[142:143], v[80:81], -v[4:5]
	s_waitcnt lgkmcnt(1)
	v_mul_f64 v[168:169], v[158:159], v[94:95]
	v_add_f64 v[2:3], v[2:3], v[4:5]
	v_mul_f64 v[4:5], v[148:149], v[90:91]
	v_fmac_f64_e32 v[168:169], v[160:161], v[96:97]
	v_fma_f64 v[4:5], v[146:147], v[92:93], -v[4:5]
	v_add_f64 v[170:171], v[166:167], v[168:169]
	ds_read_b128 v[166:169], v1 offset:1136
	s_waitcnt vmcnt(18) lgkmcnt(1)
	v_mul_f64 v[172:173], v[162:163], v[196:197]
	v_add_f64 v[2:3], v[2:3], v[4:5]
	v_mul_f64 v[4:5], v[152:153], v[86:87]
	s_waitcnt vmcnt(16)
	v_fmac_f64_e32 v[172:173], v[164:165], v[198:199]
	v_fma_f64 v[4:5], v[150:151], v[88:89], -v[4:5]
	v_add_f64 v[174:175], v[170:171], v[172:173]
	ds_read_b128 v[170:173], v1 offset:1152
	v_add_f64 v[2:3], v[2:3], v[4:5]
	v_mul_f64 v[4:5], v[156:157], v[98:99]
	v_fma_f64 v[4:5], v[154:155], v[100:101], -v[4:5]
	v_add_f64 v[2:3], v[2:3], v[4:5]
	v_mul_f64 v[4:5], v[160:161], v[94:95]
	s_waitcnt lgkmcnt(1)
	v_mul_f64 v[176:177], v[166:167], v[118:119]
	v_fma_f64 v[4:5], v[158:159], v[96:97], -v[4:5]
	v_fmac_f64_e32 v[176:177], v[168:169], v[194:195]
	v_add_f64 v[2:3], v[2:3], v[4:5]
	v_mul_f64 v[4:5], v[164:165], v[196:197]
	v_add_f64 v[178:179], v[174:175], v[176:177]
	ds_read_b128 v[174:177], v1 offset:1168
	s_waitcnt vmcnt(10) lgkmcnt(1)
	v_mul_f64 v[180:181], v[170:171], v[204:205]
	v_fma_f64 v[4:5], v[162:163], v[198:199], -v[4:5]
	s_waitcnt vmcnt(8)
	v_fmac_f64_e32 v[180:181], v[172:173], v[206:207]
	v_add_f64 v[2:3], v[2:3], v[4:5]
	v_mul_f64 v[4:5], v[168:169], v[118:119]
	v_add_f64 v[216:217], v[178:179], v[180:181]
	ds_read_b128 v[178:181], v1 offset:1184
	ds_read_b128 v[182:185], v1 offset:1200
	v_fma_f64 v[4:5], v[166:167], v[194:195], -v[4:5]
	v_add_f64 v[2:3], v[2:3], v[4:5]
	v_mul_f64 v[4:5], v[172:173], v[204:205]
	v_fma_f64 v[4:5], v[170:171], v[206:207], -v[4:5]
	v_add_f64 v[2:3], v[2:3], v[4:5]
	s_waitcnt lgkmcnt(2)
	v_mul_f64 v[4:5], v[176:177], v[200:201]
	v_mul_f64 v[218:219], v[174:175], v[200:201]
	v_fma_f64 v[4:5], v[174:175], v[202:203], -v[4:5]
	v_fmac_f64_e32 v[218:219], v[176:177], v[202:203]
	v_add_f64 v[2:3], v[2:3], v[4:5]
	s_waitcnt vmcnt(2) lgkmcnt(1)
	v_mul_f64 v[4:5], v[180:181], v[212:213]
	v_add_f64 v[216:217], v[216:217], v[218:219]
	v_mul_f64 v[218:219], v[178:179], v[212:213]
	s_waitcnt vmcnt(0)
	v_fma_f64 v[4:5], v[178:179], v[214:215], -v[4:5]
	v_fmac_f64_e32 v[218:219], v[180:181], v[214:215]
	v_add_f64 v[2:3], v[2:3], v[4:5]
	s_waitcnt lgkmcnt(0)
	v_mul_f64 v[4:5], v[184:185], v[208:209]
	v_add_f64 v[216:217], v[216:217], v[218:219]
	v_mul_f64 v[218:219], v[182:183], v[208:209]
	v_fma_f64 v[4:5], v[182:183], v[210:211], -v[4:5]
	v_fmac_f64_e32 v[218:219], v[184:185], v[210:211]
	v_add_f64 v[2:3], v[2:3], v[4:5]
	v_add_f64 v[216:217], v[216:217], v[218:219]
	v_add_f64 v[2:3], v[34:35], -v[2:3]
	v_add_f64 v[4:5], v[32:33], -v[216:217]
	buffer_store_dword v3, off, s[0:3], 0 offset:212
	buffer_store_dword v2, off, s[0:3], 0 offset:208
	buffer_store_dword v5, off, s[0:3], 0 offset:220
	buffer_store_dword v4, off, s[0:3], 0 offset:216
	s_and_saveexec_b64 s[4:5], vcc
	s_cbranch_execz .LBB101_219
; %bb.218:
	v_accvgpr_read_b32 v5, a101
	buffer_load_dword v2, v5, s[0:3], 0 offen
	buffer_load_dword v3, v5, s[0:3], 0 offen offset:4
	buffer_load_dword v4, v5, s[0:3], 0 offen offset:8
	s_nop 0
	buffer_load_dword v5, v5, s[0:3], 0 offen offset:12
	s_nop 0
	buffer_store_dword v1, off, s[0:3], 0 offset:192
	buffer_store_dword v1, off, s[0:3], 0 offset:196
	;; [unrolled: 1-line block ×4, first 2 shown]
	s_waitcnt vmcnt(4)
	ds_write_b128 v120, v[2:5]
.LBB101_219:
	s_or_b64 exec, exec, s[4:5]
	s_waitcnt lgkmcnt(0)
	; wave barrier
	s_waitcnt lgkmcnt(0)
	buffer_load_dword v26, off, s[0:3], 0 offset:208
	buffer_load_dword v27, off, s[0:3], 0 offset:212
	;; [unrolled: 1-line block ×24, first 2 shown]
	ds_read_b128 v[22:25], v1 offset:800
	ds_read_b128 v[18:21], v1 offset:816
	;; [unrolled: 1-line block ×6, first 2 shown]
	buffer_load_dword v51, off, s[0:3], 0 offset:316
	buffer_load_dword v50, off, s[0:3], 0 offset:312
	;; [unrolled: 1-line block ×40, first 2 shown]
	v_cmp_lt_u32_e32 vcc, 10, v0
	s_waitcnt vmcnt(34) lgkmcnt(0)
	v_mul_f64 v[124:125], v[14:15], v[54:55]
	s_waitcnt vmcnt(32)
	v_fmac_f64_e32 v[124:125], v[16:17], v[56:57]
	v_mul_f64 v[90:91], v[22:23], v[28:29]
	v_fmac_f64_e32 v[90:91], v[24:25], v[26:27]
	v_mul_f64 v[92:93], v[18:19], v[30:31]
	v_add_f64 v[90:91], v[90:91], 0
	v_mul_f64 v[94:95], v[10:11], v[32:33]
	v_mul_f64 v[24:25], v[24:25], v[28:29]
	;; [unrolled: 1-line block ×3, first 2 shown]
	v_fma_f64 v[22:23], v[22:23], v[26:27], -v[24:25]
	v_add_f64 v[22:23], v[22:23], 0
	v_mul_f64 v[96:97], v[6:7], v[42:43]
	v_fmac_f64_e32 v[92:93], v[20:21], v[48:49]
	v_add_f64 v[90:91], v[90:91], v[92:93]
	v_fmac_f64_e32 v[94:95], v[12:13], v[46:47]
	v_add_f64 v[90:91], v[90:91], v[94:95]
	;; [unrolled: 2-line block ×3, first 2 shown]
	buffer_load_dword v91, off, s[0:3], 0 offset:476
	buffer_load_dword v90, off, s[0:3], 0 offset:472
	;; [unrolled: 1-line block ×40, first 2 shown]
	v_fmac_f64_e32 v[114:115], v[4:5], v[40:41]
	v_add_f64 v[122:123], v[116:117], v[114:115]
	ds_read_b128 v[114:117], v1 offset:896
	buffer_load_dword v221, off, s[0:3], 0 offset:620
	buffer_load_dword v220, off, s[0:3], 0 offset:616
	;; [unrolled: 1-line block ×4, first 2 shown]
	v_add_f64 v[126:127], v[122:123], v[124:125]
	ds_read_b128 v[122:125], v1 offset:912
	v_mul_f64 v[20:21], v[20:21], v[30:31]
	s_waitcnt lgkmcnt(1)
	v_mul_f64 v[128:129], v[114:115], v[50:51]
	v_fmac_f64_e32 v[128:129], v[116:117], v[52:53]
	v_add_f64 v[130:131], v[126:127], v[128:129]
	ds_read_b128 v[126:129], v1 offset:928
	s_waitcnt vmcnt(62) lgkmcnt(1)
	v_mul_f64 v[132:133], v[122:123], v[62:63]
	v_fmac_f64_e32 v[132:133], v[124:125], v[64:65]
	v_add_f64 v[134:135], v[130:131], v[132:133]
	ds_read_b128 v[130:133], v1 offset:944
	s_waitcnt lgkmcnt(1)
	v_mul_f64 v[136:137], v[126:127], v[58:59]
	v_fmac_f64_e32 v[136:137], v[128:129], v[60:61]
	v_add_f64 v[138:139], v[134:135], v[136:137]
	ds_read_b128 v[134:137], v1 offset:960
	s_waitcnt lgkmcnt(1)
	v_mul_f64 v[140:141], v[130:131], v[70:71]
	s_waitcnt vmcnt(60)
	v_fmac_f64_e32 v[140:141], v[132:133], v[72:73]
	v_add_f64 v[142:143], v[138:139], v[140:141]
	ds_read_b128 v[138:141], v1 offset:976
	s_waitcnt lgkmcnt(1)
	v_mul_f64 v[144:145], v[134:135], v[66:67]
	v_fmac_f64_e32 v[144:145], v[136:137], v[68:69]
	v_add_f64 v[146:147], v[142:143], v[144:145]
	ds_read_b128 v[142:145], v1 offset:992
	s_waitcnt vmcnt(54) lgkmcnt(1)
	v_mul_f64 v[148:149], v[138:139], v[78:79]
	s_waitcnt vmcnt(52)
	v_fmac_f64_e32 v[148:149], v[140:141], v[80:81]
	v_add_f64 v[150:151], v[146:147], v[148:149]
	ds_read_b128 v[146:149], v1 offset:1008
	s_waitcnt lgkmcnt(1)
	v_mul_f64 v[152:153], v[142:143], v[74:75]
	v_fmac_f64_e32 v[152:153], v[144:145], v[76:77]
	v_fma_f64 v[18:19], v[18:19], v[48:49], -v[20:21]
	v_mul_f64 v[12:13], v[12:13], v[32:33]
	v_add_f64 v[154:155], v[150:151], v[152:153]
	ds_read_b128 v[150:153], v1 offset:1024
	v_add_f64 v[18:19], v[22:23], v[18:19]
	v_fma_f64 v[10:11], v[10:11], v[46:47], -v[12:13]
	v_mul_f64 v[8:9], v[8:9], v[42:43]
	v_add_f64 v[10:11], v[18:19], v[10:11]
	v_fma_f64 v[6:7], v[6:7], v[44:45], -v[8:9]
	v_mul_f64 v[4:5], v[4:5], v[38:39]
	v_add_f64 v[6:7], v[10:11], v[6:7]
	v_fma_f64 v[2:3], v[2:3], v[40:41], -v[4:5]
	v_mul_f64 v[4:5], v[16:17], v[54:55]
	s_waitcnt vmcnt(46) lgkmcnt(1)
	v_mul_f64 v[156:157], v[146:147], v[86:87]
	v_add_f64 v[2:3], v[6:7], v[2:3]
	v_fma_f64 v[4:5], v[14:15], v[56:57], -v[4:5]
	s_waitcnt vmcnt(44)
	v_fmac_f64_e32 v[156:157], v[148:149], v[88:89]
	v_add_f64 v[2:3], v[2:3], v[4:5]
	v_mul_f64 v[4:5], v[116:117], v[50:51]
	v_add_f64 v[158:159], v[154:155], v[156:157]
	ds_read_b128 v[154:157], v1 offset:1040
	s_waitcnt lgkmcnt(1)
	v_mul_f64 v[160:161], v[150:151], v[82:83]
	v_fma_f64 v[4:5], v[114:115], v[52:53], -v[4:5]
	v_fmac_f64_e32 v[160:161], v[152:153], v[84:85]
	v_add_f64 v[2:3], v[2:3], v[4:5]
	v_mul_f64 v[4:5], v[124:125], v[62:63]
	v_add_f64 v[162:163], v[158:159], v[160:161]
	ds_read_b128 v[158:161], v1 offset:1056
	v_fma_f64 v[4:5], v[122:123], v[64:65], -v[4:5]
	v_add_f64 v[2:3], v[2:3], v[4:5]
	v_mul_f64 v[4:5], v[128:129], v[58:59]
	v_fma_f64 v[4:5], v[126:127], v[60:61], -v[4:5]
	s_waitcnt vmcnt(38) lgkmcnt(1)
	v_mul_f64 v[164:165], v[154:155], v[94:95]
	v_add_f64 v[2:3], v[2:3], v[4:5]
	v_mul_f64 v[4:5], v[132:133], v[70:71]
	s_waitcnt vmcnt(36)
	v_fmac_f64_e32 v[164:165], v[156:157], v[96:97]
	v_fma_f64 v[4:5], v[130:131], v[72:73], -v[4:5]
	v_add_f64 v[166:167], v[162:163], v[164:165]
	ds_read_b128 v[162:165], v1 offset:1072
	s_waitcnt lgkmcnt(1)
	v_mul_f64 v[168:169], v[158:159], v[90:91]
	v_add_f64 v[2:3], v[2:3], v[4:5]
	v_mul_f64 v[4:5], v[136:137], v[66:67]
	v_fmac_f64_e32 v[168:169], v[160:161], v[92:93]
	v_fma_f64 v[4:5], v[134:135], v[68:69], -v[4:5]
	v_add_f64 v[170:171], v[166:167], v[168:169]
	ds_read_b128 v[166:169], v1 offset:1088
	v_add_f64 v[2:3], v[2:3], v[4:5]
	v_mul_f64 v[4:5], v[140:141], v[78:79]
	v_fma_f64 v[4:5], v[138:139], v[80:81], -v[4:5]
	v_add_f64 v[2:3], v[2:3], v[4:5]
	v_mul_f64 v[4:5], v[144:145], v[74:75]
	s_waitcnt vmcnt(30) lgkmcnt(1)
	v_mul_f64 v[172:173], v[162:163], v[102:103]
	v_fma_f64 v[4:5], v[142:143], v[76:77], -v[4:5]
	s_waitcnt vmcnt(28)
	v_fmac_f64_e32 v[172:173], v[164:165], v[104:105]
	v_add_f64 v[2:3], v[2:3], v[4:5]
	v_mul_f64 v[4:5], v[148:149], v[86:87]
	v_add_f64 v[174:175], v[170:171], v[172:173]
	ds_read_b128 v[170:173], v1 offset:1104
	s_waitcnt lgkmcnt(1)
	v_mul_f64 v[176:177], v[166:167], v[98:99]
	v_fma_f64 v[4:5], v[146:147], v[88:89], -v[4:5]
	v_fmac_f64_e32 v[176:177], v[168:169], v[100:101]
	v_add_f64 v[2:3], v[2:3], v[4:5]
	v_mul_f64 v[4:5], v[152:153], v[82:83]
	v_add_f64 v[178:179], v[174:175], v[176:177]
	ds_read_b128 v[174:177], v1 offset:1120
	v_fma_f64 v[4:5], v[150:151], v[84:85], -v[4:5]
	v_add_f64 v[2:3], v[2:3], v[4:5]
	v_mul_f64 v[4:5], v[156:157], v[94:95]
	v_fma_f64 v[4:5], v[154:155], v[96:97], -v[4:5]
	s_waitcnt vmcnt(22) lgkmcnt(1)
	v_mul_f64 v[180:181], v[170:171], v[110:111]
	v_add_f64 v[2:3], v[2:3], v[4:5]
	v_mul_f64 v[4:5], v[160:161], v[90:91]
	s_waitcnt vmcnt(20)
	v_fmac_f64_e32 v[180:181], v[172:173], v[112:113]
	v_fma_f64 v[4:5], v[158:159], v[92:93], -v[4:5]
	v_add_f64 v[182:183], v[178:179], v[180:181]
	ds_read_b128 v[178:181], v1 offset:1136
	s_waitcnt lgkmcnt(1)
	v_mul_f64 v[184:185], v[174:175], v[106:107]
	v_add_f64 v[2:3], v[2:3], v[4:5]
	v_mul_f64 v[4:5], v[164:165], v[102:103]
	v_fmac_f64_e32 v[184:185], v[176:177], v[108:109]
	v_fma_f64 v[4:5], v[162:163], v[104:105], -v[4:5]
	v_add_f64 v[194:195], v[182:183], v[184:185]
	ds_read_b128 v[182:185], v1 offset:1152
	v_add_f64 v[2:3], v[2:3], v[4:5]
	v_mul_f64 v[4:5], v[168:169], v[98:99]
	v_fma_f64 v[4:5], v[166:167], v[100:101], -v[4:5]
	v_add_f64 v[2:3], v[2:3], v[4:5]
	v_mul_f64 v[4:5], v[172:173], v[110:111]
	s_waitcnt vmcnt(14) lgkmcnt(1)
	v_mul_f64 v[196:197], v[178:179], v[208:209]
	v_fma_f64 v[4:5], v[170:171], v[112:113], -v[4:5]
	s_waitcnt vmcnt(12)
	v_fmac_f64_e32 v[196:197], v[180:181], v[210:211]
	v_add_f64 v[2:3], v[2:3], v[4:5]
	v_mul_f64 v[4:5], v[176:177], v[106:107]
	v_add_f64 v[198:199], v[194:195], v[196:197]
	ds_read_b128 v[194:197], v1 offset:1168
	s_waitcnt lgkmcnt(1)
	v_mul_f64 v[200:201], v[182:183], v[118:119]
	v_fma_f64 v[4:5], v[174:175], v[108:109], -v[4:5]
	v_fmac_f64_e32 v[200:201], v[184:185], v[206:207]
	v_add_f64 v[2:3], v[2:3], v[4:5]
	v_mul_f64 v[4:5], v[180:181], v[208:209]
	v_add_f64 v[224:225], v[198:199], v[200:201]
	ds_read_b128 v[198:201], v1 offset:1184
	v_fma_f64 v[4:5], v[178:179], v[210:211], -v[4:5]
	v_add_f64 v[2:3], v[2:3], v[4:5]
	v_mul_f64 v[4:5], v[184:185], v[118:119]
	ds_read_b128 v[202:205], v1 offset:1200
	v_fma_f64 v[4:5], v[182:183], v[206:207], -v[4:5]
	v_add_f64 v[2:3], v[2:3], v[4:5]
	s_waitcnt vmcnt(6) lgkmcnt(2)
	v_mul_f64 v[4:5], v[196:197], v[216:217]
	v_mul_f64 v[226:227], v[194:195], v[216:217]
	s_waitcnt vmcnt(4)
	v_fma_f64 v[4:5], v[194:195], v[218:219], -v[4:5]
	v_fmac_f64_e32 v[226:227], v[196:197], v[218:219]
	v_add_f64 v[2:3], v[2:3], v[4:5]
	s_waitcnt lgkmcnt(1)
	v_mul_f64 v[4:5], v[200:201], v[212:213]
	v_add_f64 v[224:225], v[224:225], v[226:227]
	v_mul_f64 v[226:227], v[198:199], v[212:213]
	v_fma_f64 v[4:5], v[198:199], v[214:215], -v[4:5]
	v_fmac_f64_e32 v[226:227], v[200:201], v[214:215]
	v_add_f64 v[2:3], v[2:3], v[4:5]
	s_waitcnt vmcnt(2) lgkmcnt(0)
	v_mul_f64 v[4:5], v[204:205], v[220:221]
	v_add_f64 v[224:225], v[224:225], v[226:227]
	v_mul_f64 v[226:227], v[202:203], v[220:221]
	s_waitcnt vmcnt(0)
	v_fma_f64 v[4:5], v[202:203], v[222:223], -v[4:5]
	v_fmac_f64_e32 v[226:227], v[204:205], v[222:223]
	v_add_f64 v[2:3], v[2:3], v[4:5]
	v_add_f64 v[224:225], v[224:225], v[226:227]
	v_add_f64 v[2:3], v[36:37], -v[2:3]
	v_add_f64 v[4:5], v[34:35], -v[224:225]
	buffer_store_dword v3, off, s[0:3], 0 offset:196
	buffer_store_dword v2, off, s[0:3], 0 offset:192
	;; [unrolled: 1-line block ×4, first 2 shown]
	s_and_saveexec_b64 s[4:5], vcc
	s_cbranch_execz .LBB101_221
; %bb.220:
	v_accvgpr_read_b32 v1, a102
	buffer_load_dword v2, v1, s[0:3], 0 offen
	buffer_load_dword v3, v1, s[0:3], 0 offen offset:4
	buffer_load_dword v4, v1, s[0:3], 0 offen offset:8
	;; [unrolled: 1-line block ×3, first 2 shown]
	v_mov_b32_e32 v1, 0
	buffer_store_dword v1, off, s[0:3], 0 offset:176
	buffer_store_dword v1, off, s[0:3], 0 offset:180
	;; [unrolled: 1-line block ×4, first 2 shown]
	s_waitcnt vmcnt(4)
	ds_write_b128 v120, v[2:5]
.LBB101_221:
	s_or_b64 exec, exec, s[4:5]
	s_waitcnt lgkmcnt(0)
	; wave barrier
	s_waitcnt lgkmcnt(0)
	buffer_load_dword v30, off, s[0:3], 0 offset:192
	buffer_load_dword v31, off, s[0:3], 0 offset:196
	;; [unrolled: 1-line block ×56, first 2 shown]
	v_mov_b32_e32 v1, 0
	ds_read_b128 v[26:29], v1 offset:784
	ds_read_b128 v[22:25], v1 offset:800
	;; [unrolled: 1-line block ×7, first 2 shown]
	v_cmp_lt_u32_e32 vcc, 9, v0
	s_waitcnt vmcnt(52) lgkmcnt(6)
	v_mul_f64 v[86:87], v[26:27], v[34:35]
	v_fmac_f64_e32 v[86:87], v[28:29], v[30:31]
	v_add_f64 v[86:87], v[86:87], 0
	v_mul_f64 v[28:29], v[28:29], v[34:35]
	s_waitcnt vmcnt(48) lgkmcnt(5)
	v_mul_f64 v[88:89], v[22:23], v[36:37]
	v_fmac_f64_e32 v[88:89], v[24:25], v[32:33]
	s_waitcnt vmcnt(46) lgkmcnt(4)
	v_mul_f64 v[90:91], v[18:19], v[38:39]
	v_add_f64 v[86:87], v[86:87], v[88:89]
	s_waitcnt vmcnt(44) lgkmcnt(2)
	v_mul_f64 v[94:95], v[10:11], v[40:41]
	v_fma_f64 v[26:27], v[26:27], v[30:31], -v[28:29]
	s_waitcnt vmcnt(42)
	v_fmac_f64_e32 v[94:95], v[12:13], v[42:43]
	v_mul_f64 v[24:25], v[24:25], v[36:37]
	s_waitcnt vmcnt(40)
	v_mul_f64 v[92:93], v[14:15], v[48:49]
	v_add_f64 v[26:27], v[26:27], 0
	v_fma_f64 v[22:23], v[22:23], v[32:33], -v[24:25]
	v_add_f64 v[22:23], v[26:27], v[22:23]
	s_waitcnt vmcnt(36) lgkmcnt(1)
	v_mul_f64 v[110:111], v[6:7], v[54:55]
	v_mul_f64 v[12:13], v[12:13], v[40:41]
	s_waitcnt vmcnt(34)
	v_fmac_f64_e32 v[90:91], v[20:21], v[60:61]
	v_add_f64 v[86:87], v[86:87], v[90:91]
	s_waitcnt vmcnt(32)
	v_fmac_f64_e32 v[92:93], v[16:17], v[58:59]
	v_add_f64 v[86:87], v[86:87], v[92:93]
	v_add_f64 v[116:117], v[86:87], v[94:95]
	buffer_load_dword v87, off, s[0:3], 0 offset:428
	buffer_load_dword v86, off, s[0:3], 0 offset:424
	;; [unrolled: 1-line block ×56, first 2 shown]
	ds_read_b128 v[126:129], v1 offset:896
	ds_read_b128 v[130:133], v1 offset:912
	v_mul_f64 v[20:21], v[20:21], v[38:39]
	v_fma_f64 v[18:19], v[18:19], v[60:61], -v[20:21]
	v_mul_f64 v[16:17], v[16:17], v[48:49]
	s_waitcnt vmcnt(62)
	v_fmac_f64_e32 v[110:111], v[8:9], v[56:57]
	v_add_f64 v[18:19], v[22:23], v[18:19]
	v_fma_f64 v[14:15], v[14:15], v[58:59], -v[16:17]
	v_add_f64 v[110:111], v[116:117], v[110:111]
	s_waitcnt lgkmcnt(2)
	v_mul_f64 v[116:117], v[2:3], v[50:51]
	v_add_f64 v[14:15], v[18:19], v[14:15]
	v_fma_f64 v[10:11], v[10:11], v[42:43], -v[12:13]
	v_mul_f64 v[8:9], v[8:9], v[54:55]
	v_fmac_f64_e32 v[116:117], v[4:5], v[52:53]
	ds_read_b128 v[134:137], v1 offset:928
	ds_read_b128 v[138:141], v1 offset:944
	v_add_f64 v[10:11], v[14:15], v[10:11]
	v_fma_f64 v[6:7], v[6:7], v[56:57], -v[8:9]
	v_mul_f64 v[4:5], v[4:5], v[50:51]
	v_add_f64 v[6:7], v[10:11], v[6:7]
	v_fma_f64 v[2:3], v[2:3], v[52:53], -v[4:5]
	s_waitcnt lgkmcnt(3)
	v_mul_f64 v[4:5], v[128:129], v[66:67]
	v_add_f64 v[110:111], v[110:111], v[116:117]
	v_mul_f64 v[116:117], v[126:127], v[66:67]
	v_add_f64 v[2:3], v[6:7], v[2:3]
	v_fma_f64 v[4:5], v[126:127], v[68:69], -v[4:5]
	v_fmac_f64_e32 v[116:117], v[128:129], v[68:69]
	v_add_f64 v[2:3], v[2:3], v[4:5]
	s_waitcnt lgkmcnt(2)
	v_mul_f64 v[4:5], v[132:133], v[62:63]
	v_add_f64 v[110:111], v[110:111], v[116:117]
	v_mul_f64 v[116:117], v[130:131], v[62:63]
	ds_read_b128 v[142:145], v1 offset:960
	ds_read_b128 v[146:149], v1 offset:976
	v_fma_f64 v[4:5], v[130:131], v[64:65], -v[4:5]
	v_fmac_f64_e32 v[116:117], v[132:133], v[64:65]
	v_add_f64 v[2:3], v[2:3], v[4:5]
	s_waitcnt lgkmcnt(3)
	v_mul_f64 v[4:5], v[136:137], v[74:75]
	v_add_f64 v[110:111], v[110:111], v[116:117]
	v_mul_f64 v[116:117], v[134:135], v[74:75]
	v_fma_f64 v[4:5], v[134:135], v[76:77], -v[4:5]
	v_fmac_f64_e32 v[116:117], v[136:137], v[76:77]
	v_add_f64 v[2:3], v[2:3], v[4:5]
	s_waitcnt lgkmcnt(2)
	v_mul_f64 v[4:5], v[140:141], v[70:71]
	v_add_f64 v[110:111], v[110:111], v[116:117]
	v_mul_f64 v[116:117], v[138:139], v[70:71]
	ds_read_b128 v[150:153], v1 offset:992
	ds_read_b128 v[154:157], v1 offset:1008
	v_fma_f64 v[4:5], v[138:139], v[72:73], -v[4:5]
	v_fmac_f64_e32 v[116:117], v[140:141], v[72:73]
	v_add_f64 v[2:3], v[2:3], v[4:5]
	s_waitcnt vmcnt(58) lgkmcnt(3)
	v_mul_f64 v[4:5], v[144:145], v[82:83]
	v_add_f64 v[110:111], v[110:111], v[116:117]
	v_mul_f64 v[116:117], v[142:143], v[82:83]
	s_waitcnt vmcnt(56)
	v_fma_f64 v[4:5], v[142:143], v[84:85], -v[4:5]
	v_fmac_f64_e32 v[116:117], v[144:145], v[84:85]
	v_add_f64 v[2:3], v[2:3], v[4:5]
	s_waitcnt lgkmcnt(2)
	v_mul_f64 v[4:5], v[148:149], v[78:79]
	v_add_f64 v[110:111], v[110:111], v[116:117]
	v_mul_f64 v[116:117], v[146:147], v[78:79]
	ds_read_b128 v[158:161], v1 offset:1024
	ds_read_b128 v[162:165], v1 offset:1040
	v_fma_f64 v[4:5], v[146:147], v[80:81], -v[4:5]
	v_fmac_f64_e32 v[116:117], v[148:149], v[80:81]
	v_add_f64 v[2:3], v[2:3], v[4:5]
	s_waitcnt vmcnt(50) lgkmcnt(3)
	v_mul_f64 v[4:5], v[152:153], v[90:91]
	v_add_f64 v[110:111], v[110:111], v[116:117]
	v_mul_f64 v[116:117], v[150:151], v[90:91]
	s_waitcnt vmcnt(48)
	;; [unrolled: 17-line block ×7, first 2 shown]
	v_fma_f64 v[4:5], v[198:199], v[226:227], -v[4:5]
	v_fmac_f64_e32 v[116:117], v[200:201], v[226:227]
	v_add_f64 v[2:3], v[2:3], v[4:5]
	s_waitcnt lgkmcnt(2)
	v_mul_f64 v[4:5], v[204:205], v[220:221]
	v_add_f64 v[110:111], v[110:111], v[116:117]
	v_mul_f64 v[116:117], v[202:203], v[220:221]
	v_fma_f64 v[4:5], v[202:203], v[222:223], -v[4:5]
	v_fmac_f64_e32 v[116:117], v[204:205], v[222:223]
	v_add_f64 v[2:3], v[2:3], v[4:5]
	s_waitcnt vmcnt(2) lgkmcnt(1)
	v_mul_f64 v[4:5], v[208:209], v[232:233]
	v_add_f64 v[110:111], v[110:111], v[116:117]
	v_mul_f64 v[116:117], v[206:207], v[232:233]
	s_waitcnt vmcnt(0)
	v_fma_f64 v[4:5], v[206:207], v[234:235], -v[4:5]
	v_fmac_f64_e32 v[116:117], v[208:209], v[234:235]
	v_add_f64 v[2:3], v[2:3], v[4:5]
	s_waitcnt lgkmcnt(0)
	v_mul_f64 v[4:5], v[212:213], v[228:229]
	v_add_f64 v[110:111], v[110:111], v[116:117]
	v_mul_f64 v[116:117], v[210:211], v[228:229]
	v_fma_f64 v[4:5], v[210:211], v[230:231], -v[4:5]
	v_fmac_f64_e32 v[116:117], v[212:213], v[230:231]
	v_add_f64 v[2:3], v[2:3], v[4:5]
	v_add_f64 v[110:111], v[110:111], v[116:117]
	v_add_f64 v[2:3], v[46:47], -v[2:3]
	v_add_f64 v[4:5], v[44:45], -v[110:111]
	buffer_store_dword v3, off, s[0:3], 0 offset:180
	buffer_store_dword v2, off, s[0:3], 0 offset:176
	;; [unrolled: 1-line block ×4, first 2 shown]
	s_and_saveexec_b64 s[4:5], vcc
	s_cbranch_execz .LBB101_223
; %bb.222:
	v_accvgpr_read_b32 v5, a103
	buffer_load_dword v2, v5, s[0:3], 0 offen
	buffer_load_dword v3, v5, s[0:3], 0 offen offset:4
	buffer_load_dword v4, v5, s[0:3], 0 offen offset:8
	s_nop 0
	buffer_load_dword v5, v5, s[0:3], 0 offen offset:12
	s_nop 0
	buffer_store_dword v1, off, s[0:3], 0 offset:160
	buffer_store_dword v1, off, s[0:3], 0 offset:164
	;; [unrolled: 1-line block ×4, first 2 shown]
	s_waitcnt vmcnt(4)
	ds_write_b128 v120, v[2:5]
.LBB101_223:
	s_or_b64 exec, exec, s[4:5]
	s_waitcnt lgkmcnt(0)
	; wave barrier
	s_waitcnt lgkmcnt(0)
	buffer_load_dword v34, off, s[0:3], 0 offset:176
	buffer_load_dword v35, off, s[0:3], 0 offset:180
	;; [unrolled: 1-line block ×32, first 2 shown]
	ds_read_b128 v[30:33], v1 offset:768
	ds_read_b128 v[26:29], v1 offset:784
	;; [unrolled: 1-line block ×8, first 2 shown]
	buffer_load_dword v67, off, s[0:3], 0 offset:316
	buffer_load_dword v66, off, s[0:3], 0 offset:312
	;; [unrolled: 1-line block ×24, first 2 shown]
	v_cmp_lt_u32_e32 vcc, 8, v0
	s_waitcnt vmcnt(52) lgkmcnt(7)
	v_mul_f64 v[90:91], v[30:31], v[38:39]
	v_fmac_f64_e32 v[90:91], v[32:33], v[34:35]
	v_add_f64 v[90:91], v[90:91], 0
	v_mul_f64 v[32:33], v[32:33], v[38:39]
	s_waitcnt vmcnt(48) lgkmcnt(6)
	v_mul_f64 v[92:93], v[26:27], v[40:41]
	v_fmac_f64_e32 v[92:93], v[28:29], v[36:37]
	s_waitcnt vmcnt(46) lgkmcnt(5)
	v_mul_f64 v[94:95], v[22:23], v[42:43]
	v_add_f64 v[90:91], v[90:91], v[92:93]
	s_waitcnt vmcnt(44) lgkmcnt(4)
	v_mul_f64 v[96:97], v[18:19], v[48:49]
	v_fma_f64 v[30:31], v[30:31], v[34:35], -v[32:33]
	s_waitcnt vmcnt(42) lgkmcnt(1)
	v_mul_f64 v[124:125], v[2:3], v[50:51]
	v_mul_f64 v[28:29], v[28:29], v[40:41]
	s_waitcnt vmcnt(18) lgkmcnt(0)
	v_mul_f64 v[138:139], v[14:15], v[70:71]
	v_mul_f64 v[100:101], v[6:7], v[54:55]
	s_waitcnt vmcnt(16)
	v_fmac_f64_e32 v[138:139], v[16:17], v[72:73]
	v_mul_f64 v[98:99], v[10:11], v[56:57]
	v_add_f64 v[30:31], v[30:31], 0
	v_fmac_f64_e32 v[98:99], v[12:13], v[58:59]
	v_fma_f64 v[26:27], v[26:27], v[36:37], -v[28:29]
	v_fmac_f64_e32 v[94:95], v[24:25], v[64:65]
	v_add_f64 v[90:91], v[90:91], v[94:95]
	v_fmac_f64_e32 v[96:97], v[20:21], v[62:63]
	v_add_f64 v[90:91], v[90:91], v[96:97]
	;; [unrolled: 2-line block ×3, first 2 shown]
	v_add_f64 v[126:127], v[90:91], v[100:101]
	buffer_load_dword v91, off, s[0:3], 0 offset:412
	buffer_load_dword v90, off, s[0:3], 0 offset:408
	;; [unrolled: 1-line block ×56, first 2 shown]
	v_fmac_f64_e32 v[124:125], v[4:5], v[52:53]
	v_add_f64 v[136:137], v[126:127], v[124:125]
	ds_read_b128 v[124:127], v1 offset:896
	buffer_load_dword v237, off, s[0:3], 0 offset:620
	buffer_load_dword v236, off, s[0:3], 0 offset:616
	;; [unrolled: 1-line block ×4, first 2 shown]
	v_add_f64 v[140:141], v[136:137], v[138:139]
	ds_read_b128 v[136:139], v1 offset:912
	v_mul_f64 v[24:25], v[24:25], v[42:43]
	s_waitcnt lgkmcnt(1)
	v_mul_f64 v[142:143], v[124:125], v[66:67]
	v_fmac_f64_e32 v[142:143], v[126:127], v[68:69]
	v_add_f64 v[144:145], v[140:141], v[142:143]
	ds_read_b128 v[140:143], v1 offset:928
	s_waitcnt vmcnt(62) lgkmcnt(1)
	v_mul_f64 v[146:147], v[136:137], v[78:79]
	v_fmac_f64_e32 v[146:147], v[138:139], v[80:81]
	v_add_f64 v[148:149], v[144:145], v[146:147]
	ds_read_b128 v[144:147], v1 offset:944
	s_waitcnt lgkmcnt(1)
	v_mul_f64 v[150:151], v[140:141], v[74:75]
	v_fmac_f64_e32 v[150:151], v[142:143], v[76:77]
	v_add_f64 v[152:153], v[148:149], v[150:151]
	ds_read_b128 v[148:151], v1 offset:960
	s_waitcnt lgkmcnt(1)
	v_mul_f64 v[154:155], v[144:145], v[86:87]
	s_waitcnt vmcnt(60)
	v_fmac_f64_e32 v[154:155], v[146:147], v[88:89]
	v_add_f64 v[156:157], v[152:153], v[154:155]
	ds_read_b128 v[152:155], v1 offset:976
	s_waitcnt lgkmcnt(1)
	v_mul_f64 v[158:159], v[148:149], v[82:83]
	v_fmac_f64_e32 v[158:159], v[150:151], v[84:85]
	v_add_f64 v[160:161], v[156:157], v[158:159]
	ds_read_b128 v[156:159], v1 offset:992
	v_add_f64 v[26:27], v[30:31], v[26:27]
	v_fma_f64 v[22:23], v[22:23], v[64:65], -v[24:25]
	s_waitcnt vmcnt(54) lgkmcnt(1)
	v_mul_f64 v[162:163], v[152:153], v[94:95]
	v_mul_f64 v[20:21], v[20:21], v[48:49]
	s_waitcnt vmcnt(52)
	v_fmac_f64_e32 v[162:163], v[154:155], v[96:97]
	v_add_f64 v[164:165], v[160:161], v[162:163]
	ds_read_b128 v[160:163], v1 offset:1008
	s_waitcnt lgkmcnt(1)
	v_mul_f64 v[166:167], v[156:157], v[90:91]
	v_fmac_f64_e32 v[166:167], v[158:159], v[92:93]
	v_add_f64 v[22:23], v[26:27], v[22:23]
	v_fma_f64 v[18:19], v[18:19], v[62:63], -v[20:21]
	v_mul_f64 v[12:13], v[12:13], v[56:57]
	v_add_f64 v[168:169], v[164:165], v[166:167]
	ds_read_b128 v[164:167], v1 offset:1024
	v_add_f64 v[18:19], v[22:23], v[18:19]
	v_fma_f64 v[10:11], v[10:11], v[58:59], -v[12:13]
	v_mul_f64 v[8:9], v[8:9], v[54:55]
	v_add_f64 v[10:11], v[18:19], v[10:11]
	v_fma_f64 v[6:7], v[6:7], v[60:61], -v[8:9]
	v_mul_f64 v[4:5], v[4:5], v[50:51]
	;; [unrolled: 3-line block ×3, first 2 shown]
	s_waitcnt vmcnt(46) lgkmcnt(1)
	v_mul_f64 v[170:171], v[160:161], v[102:103]
	v_add_f64 v[2:3], v[6:7], v[2:3]
	v_fma_f64 v[4:5], v[14:15], v[72:73], -v[4:5]
	s_waitcnt vmcnt(44)
	v_fmac_f64_e32 v[170:171], v[162:163], v[104:105]
	v_add_f64 v[2:3], v[2:3], v[4:5]
	v_mul_f64 v[4:5], v[126:127], v[66:67]
	v_add_f64 v[172:173], v[168:169], v[170:171]
	ds_read_b128 v[168:171], v1 offset:1040
	s_waitcnt lgkmcnt(1)
	v_mul_f64 v[174:175], v[164:165], v[98:99]
	v_fma_f64 v[4:5], v[124:125], v[68:69], -v[4:5]
	v_fmac_f64_e32 v[174:175], v[166:167], v[100:101]
	v_add_f64 v[2:3], v[2:3], v[4:5]
	v_mul_f64 v[4:5], v[138:139], v[78:79]
	v_add_f64 v[176:177], v[172:173], v[174:175]
	ds_read_b128 v[172:175], v1 offset:1056
	v_fma_f64 v[4:5], v[136:137], v[80:81], -v[4:5]
	v_add_f64 v[2:3], v[2:3], v[4:5]
	v_mul_f64 v[4:5], v[142:143], v[74:75]
	v_fma_f64 v[4:5], v[140:141], v[76:77], -v[4:5]
	s_waitcnt vmcnt(38) lgkmcnt(1)
	v_mul_f64 v[178:179], v[168:169], v[110:111]
	v_add_f64 v[2:3], v[2:3], v[4:5]
	v_mul_f64 v[4:5], v[146:147], v[86:87]
	s_waitcnt vmcnt(36)
	v_fmac_f64_e32 v[178:179], v[170:171], v[112:113]
	v_fma_f64 v[4:5], v[144:145], v[88:89], -v[4:5]
	v_add_f64 v[180:181], v[176:177], v[178:179]
	ds_read_b128 v[176:179], v1 offset:1072
	s_waitcnt lgkmcnt(1)
	v_mul_f64 v[182:183], v[172:173], v[106:107]
	v_add_f64 v[2:3], v[2:3], v[4:5]
	v_mul_f64 v[4:5], v[150:151], v[82:83]
	v_fmac_f64_e32 v[182:183], v[174:175], v[108:109]
	v_fma_f64 v[4:5], v[148:149], v[84:85], -v[4:5]
	v_add_f64 v[194:195], v[180:181], v[182:183]
	ds_read_b128 v[180:183], v1 offset:1088
	v_add_f64 v[2:3], v[2:3], v[4:5]
	v_mul_f64 v[4:5], v[154:155], v[94:95]
	v_fma_f64 v[4:5], v[152:153], v[96:97], -v[4:5]
	v_add_f64 v[2:3], v[2:3], v[4:5]
	v_mul_f64 v[4:5], v[158:159], v[90:91]
	s_waitcnt vmcnt(30) lgkmcnt(1)
	v_mul_f64 v[196:197], v[176:177], v[118:119]
	v_fma_f64 v[4:5], v[156:157], v[92:93], -v[4:5]
	s_waitcnt vmcnt(28)
	v_fmac_f64_e32 v[196:197], v[178:179], v[122:123]
	v_add_f64 v[2:3], v[2:3], v[4:5]
	v_mul_f64 v[4:5], v[162:163], v[102:103]
	v_add_f64 v[198:199], v[194:195], v[196:197]
	ds_read_b128 v[194:197], v1 offset:1104
	s_waitcnt lgkmcnt(1)
	v_mul_f64 v[200:201], v[180:181], v[114:115]
	v_fma_f64 v[4:5], v[160:161], v[104:105], -v[4:5]
	v_fmac_f64_e32 v[200:201], v[182:183], v[116:117]
	v_add_f64 v[2:3], v[2:3], v[4:5]
	v_mul_f64 v[4:5], v[166:167], v[98:99]
	v_add_f64 v[202:203], v[198:199], v[200:201]
	ds_read_b128 v[198:201], v1 offset:1120
	v_fma_f64 v[4:5], v[164:165], v[100:101], -v[4:5]
	v_add_f64 v[2:3], v[2:3], v[4:5]
	v_mul_f64 v[4:5], v[170:171], v[110:111]
	v_fma_f64 v[4:5], v[168:169], v[112:113], -v[4:5]
	s_waitcnt vmcnt(22) lgkmcnt(1)
	v_mul_f64 v[204:205], v[194:195], v[132:133]
	v_add_f64 v[2:3], v[2:3], v[4:5]
	v_mul_f64 v[4:5], v[174:175], v[106:107]
	s_waitcnt vmcnt(20)
	v_fmac_f64_e32 v[204:205], v[196:197], v[134:135]
	v_fma_f64 v[4:5], v[172:173], v[108:109], -v[4:5]
	v_add_f64 v[206:207], v[202:203], v[204:205]
	ds_read_b128 v[202:205], v1 offset:1136
	s_waitcnt lgkmcnt(1)
	v_mul_f64 v[208:209], v[198:199], v[128:129]
	v_add_f64 v[2:3], v[2:3], v[4:5]
	v_mul_f64 v[4:5], v[178:179], v[118:119]
	v_fmac_f64_e32 v[208:209], v[200:201], v[130:131]
	v_fma_f64 v[4:5], v[176:177], v[122:123], -v[4:5]
	v_add_f64 v[210:211], v[206:207], v[208:209]
	ds_read_b128 v[206:209], v1 offset:1152
	v_add_f64 v[2:3], v[2:3], v[4:5]
	v_mul_f64 v[4:5], v[182:183], v[114:115]
	v_fma_f64 v[4:5], v[180:181], v[116:117], -v[4:5]
	v_add_f64 v[2:3], v[2:3], v[4:5]
	v_mul_f64 v[4:5], v[196:197], v[132:133]
	s_waitcnt vmcnt(14) lgkmcnt(1)
	v_mul_f64 v[212:213], v[202:203], v[224:225]
	v_fma_f64 v[4:5], v[194:195], v[134:135], -v[4:5]
	s_waitcnt vmcnt(12)
	v_fmac_f64_e32 v[212:213], v[204:205], v[226:227]
	v_add_f64 v[2:3], v[2:3], v[4:5]
	v_mul_f64 v[4:5], v[200:201], v[128:129]
	v_add_f64 v[214:215], v[210:211], v[212:213]
	ds_read_b128 v[210:213], v1 offset:1168
	s_waitcnt lgkmcnt(1)
	v_mul_f64 v[216:217], v[206:207], v[184:185]
	v_fma_f64 v[4:5], v[198:199], v[130:131], -v[4:5]
	v_fmac_f64_e32 v[216:217], v[208:209], v[222:223]
	v_add_f64 v[2:3], v[2:3], v[4:5]
	v_mul_f64 v[4:5], v[204:205], v[224:225]
	v_add_f64 v[240:241], v[214:215], v[216:217]
	ds_read_b128 v[214:217], v1 offset:1184
	v_fma_f64 v[4:5], v[202:203], v[226:227], -v[4:5]
	v_add_f64 v[2:3], v[2:3], v[4:5]
	v_mul_f64 v[4:5], v[208:209], v[184:185]
	ds_read_b128 v[218:221], v1 offset:1200
	v_fma_f64 v[4:5], v[206:207], v[222:223], -v[4:5]
	v_add_f64 v[2:3], v[2:3], v[4:5]
	s_waitcnt vmcnt(6) lgkmcnt(2)
	v_mul_f64 v[4:5], v[212:213], v[232:233]
	v_mul_f64 v[242:243], v[210:211], v[232:233]
	s_waitcnt vmcnt(4)
	v_fma_f64 v[4:5], v[210:211], v[234:235], -v[4:5]
	v_fmac_f64_e32 v[242:243], v[212:213], v[234:235]
	v_add_f64 v[2:3], v[2:3], v[4:5]
	s_waitcnt lgkmcnt(1)
	v_mul_f64 v[4:5], v[216:217], v[228:229]
	v_add_f64 v[240:241], v[240:241], v[242:243]
	v_mul_f64 v[242:243], v[214:215], v[228:229]
	v_fma_f64 v[4:5], v[214:215], v[230:231], -v[4:5]
	v_fmac_f64_e32 v[242:243], v[216:217], v[230:231]
	v_add_f64 v[2:3], v[2:3], v[4:5]
	s_waitcnt vmcnt(2) lgkmcnt(0)
	v_mul_f64 v[4:5], v[220:221], v[236:237]
	v_add_f64 v[240:241], v[240:241], v[242:243]
	v_mul_f64 v[242:243], v[218:219], v[236:237]
	s_waitcnt vmcnt(0)
	v_fma_f64 v[4:5], v[218:219], v[238:239], -v[4:5]
	v_fmac_f64_e32 v[242:243], v[220:221], v[238:239]
	v_add_f64 v[2:3], v[2:3], v[4:5]
	v_add_f64 v[240:241], v[240:241], v[242:243]
	v_add_f64 v[2:3], v[46:47], -v[2:3]
	v_add_f64 v[4:5], v[44:45], -v[240:241]
	buffer_store_dword v3, off, s[0:3], 0 offset:164
	buffer_store_dword v2, off, s[0:3], 0 offset:160
	;; [unrolled: 1-line block ×4, first 2 shown]
	s_and_saveexec_b64 s[4:5], vcc
	s_cbranch_execz .LBB101_225
; %bb.224:
	v_accvgpr_read_b32 v1, a104
	buffer_load_dword v2, v1, s[0:3], 0 offen
	buffer_load_dword v3, v1, s[0:3], 0 offen offset:4
	buffer_load_dword v4, v1, s[0:3], 0 offen offset:8
	;; [unrolled: 1-line block ×3, first 2 shown]
	v_mov_b32_e32 v1, 0
	buffer_store_dword v1, off, s[0:3], 0 offset:144
	buffer_store_dword v1, off, s[0:3], 0 offset:148
	;; [unrolled: 1-line block ×4, first 2 shown]
	s_waitcnt vmcnt(4)
	ds_write_b128 v120, v[2:5]
.LBB101_225:
	s_or_b64 exec, exec, s[4:5]
	s_waitcnt lgkmcnt(0)
	; wave barrier
	s_waitcnt lgkmcnt(0)
	buffer_load_dword v38, off, s[0:3], 0 offset:160
	buffer_load_dword v39, off, s[0:3], 0 offset:164
	;; [unrolled: 1-line block ×48, first 2 shown]
	v_mov_b32_e32 v1, 0
	ds_read_b128 v[34:37], v1 offset:752
	ds_read_b128 v[30:33], v1 offset:768
	;; [unrolled: 1-line block ×9, first 2 shown]
	v_cmp_lt_u32_e32 vcc, 7, v0
	s_waitcnt vmcnt(44) lgkmcnt(8)
	v_mul_f64 v[86:87], v[34:35], v[42:43]
	v_fmac_f64_e32 v[86:87], v[36:37], v[38:39]
	v_add_f64 v[86:87], v[86:87], 0
	v_mul_f64 v[36:37], v[36:37], v[42:43]
	s_waitcnt vmcnt(40) lgkmcnt(7)
	v_mul_f64 v[88:89], v[30:31], v[44:45]
	v_fmac_f64_e32 v[88:89], v[32:33], v[40:41]
	s_waitcnt vmcnt(38) lgkmcnt(6)
	v_mul_f64 v[90:91], v[26:27], v[46:47]
	v_add_f64 v[86:87], v[86:87], v[88:89]
	s_waitcnt vmcnt(36) lgkmcnt(4)
	v_mul_f64 v[94:95], v[18:19], v[48:49]
	v_fma_f64 v[34:35], v[34:35], v[38:39], -v[36:37]
	s_waitcnt vmcnt(34)
	v_fmac_f64_e32 v[94:95], v[20:21], v[50:51]
	v_mul_f64 v[32:33], v[32:33], v[44:45]
	s_waitcnt vmcnt(32)
	v_mul_f64 v[92:93], v[22:23], v[52:53]
	v_add_f64 v[34:35], v[34:35], 0
	s_waitcnt vmcnt(30) lgkmcnt(2)
	v_mul_f64 v[98:99], v[10:11], v[54:55]
	v_fma_f64 v[30:31], v[30:31], v[40:41], -v[32:33]
	s_waitcnt vmcnt(28)
	v_fmac_f64_e32 v[98:99], v[12:13], v[56:57]
	v_add_f64 v[30:31], v[34:35], v[30:31]
	s_waitcnt vmcnt(26)
	v_mul_f64 v[96:97], v[14:15], v[58:59]
	v_mul_f64 v[20:21], v[20:21], v[48:49]
	v_fma_f64 v[18:19], v[18:19], v[50:51], -v[20:21]
	v_mul_f64 v[12:13], v[12:13], v[54:55]
	s_waitcnt vmcnt(22) lgkmcnt(1)
	v_mul_f64 v[110:111], v[6:7], v[68:69]
	v_fma_f64 v[10:11], v[10:11], v[56:57], -v[12:13]
	s_waitcnt vmcnt(20)
	v_fmac_f64_e32 v[90:91], v[28:29], v[76:77]
	v_add_f64 v[86:87], v[86:87], v[90:91]
	s_waitcnt vmcnt(18)
	v_fmac_f64_e32 v[92:93], v[24:25], v[74:75]
	v_add_f64 v[86:87], v[86:87], v[92:93]
	;; [unrolled: 3-line block ×3, first 2 shown]
	v_add_f64 v[86:87], v[86:87], v[96:97]
	v_add_f64 v[112:113], v[86:87], v[98:99]
	buffer_load_dword v87, off, s[0:3], 0 offset:364
	buffer_load_dword v86, off, s[0:3], 0 offset:360
	buffer_load_dword v89, off, s[0:3], 0 offset:356
	buffer_load_dword v88, off, s[0:3], 0 offset:352
	buffer_load_dword v91, off, s[0:3], 0 offset:348
	buffer_load_dword v90, off, s[0:3], 0 offset:344
	buffer_load_dword v93, off, s[0:3], 0 offset:340
	buffer_load_dword v92, off, s[0:3], 0 offset:336
	buffer_load_dword v95, off, s[0:3], 0 offset:396
	buffer_load_dword v94, off, s[0:3], 0 offset:392
	buffer_load_dword v97, off, s[0:3], 0 offset:388
	buffer_load_dword v96, off, s[0:3], 0 offset:384
	buffer_load_dword v99, off, s[0:3], 0 offset:380
	buffer_load_dword v98, off, s[0:3], 0 offset:376
	buffer_load_dword v101, off, s[0:3], 0 offset:372
	buffer_load_dword v100, off, s[0:3], 0 offset:368
	buffer_load_dword v103, off, s[0:3], 0 offset:428
	buffer_load_dword v102, off, s[0:3], 0 offset:424
	buffer_load_dword v105, off, s[0:3], 0 offset:420
	buffer_load_dword v104, off, s[0:3], 0 offset:416
	buffer_load_dword v107, off, s[0:3], 0 offset:412
	buffer_load_dword v106, off, s[0:3], 0 offset:408
	buffer_load_dword v109, off, s[0:3], 0 offset:404
	buffer_load_dword v108, off, s[0:3], 0 offset:400
	buffer_load_dword v115, off, s[0:3], 0 offset:460
	buffer_load_dword v114, off, s[0:3], 0 offset:456
	buffer_load_dword v117, off, s[0:3], 0 offset:452
	buffer_load_dword v116, off, s[0:3], 0 offset:448
	buffer_load_dword v119, off, s[0:3], 0 offset:444
	buffer_load_dword v118, off, s[0:3], 0 offset:440
	buffer_load_dword v123, off, s[0:3], 0 offset:436
	buffer_load_dword v122, off, s[0:3], 0 offset:432
	buffer_load_dword v125, off, s[0:3], 0 offset:492
	buffer_load_dword v124, off, s[0:3], 0 offset:488
	buffer_load_dword v127, off, s[0:3], 0 offset:484
	buffer_load_dword v126, off, s[0:3], 0 offset:480
	buffer_load_dword v129, off, s[0:3], 0 offset:476
	buffer_load_dword v128, off, s[0:3], 0 offset:472
	buffer_load_dword v131, off, s[0:3], 0 offset:468
	buffer_load_dword v130, off, s[0:3], 0 offset:464
	buffer_load_dword v133, off, s[0:3], 0 offset:524
	buffer_load_dword v132, off, s[0:3], 0 offset:520
	buffer_load_dword v135, off, s[0:3], 0 offset:516
	buffer_load_dword v134, off, s[0:3], 0 offset:512
	buffer_load_dword v137, off, s[0:3], 0 offset:508
	buffer_load_dword v136, off, s[0:3], 0 offset:504
	buffer_load_dword v139, off, s[0:3], 0 offset:500
	buffer_load_dword v138, off, s[0:3], 0 offset:496
	buffer_load_dword v141, off, s[0:3], 0 offset:556
	buffer_load_dword v140, off, s[0:3], 0 offset:552
	buffer_load_dword v143, off, s[0:3], 0 offset:548
	buffer_load_dword v142, off, s[0:3], 0 offset:544
	buffer_load_dword v185, off, s[0:3], 0 offset:540
	buffer_load_dword v184, off, s[0:3], 0 offset:536
	buffer_load_dword v231, off, s[0:3], 0 offset:532
	buffer_load_dword v230, off, s[0:3], 0 offset:528
	buffer_load_dword v233, off, s[0:3], 0 offset:588
	buffer_load_dword v232, off, s[0:3], 0 offset:584
	buffer_load_dword v235, off, s[0:3], 0 offset:580
	buffer_load_dword v234, off, s[0:3], 0 offset:576
	buffer_load_dword v237, off, s[0:3], 0 offset:572
	buffer_load_dword v236, off, s[0:3], 0 offset:568
	buffer_load_dword v239, off, s[0:3], 0 offset:564
	buffer_load_dword v238, off, s[0:3], 0 offset:560
	buffer_load_dword v241, off, s[0:3], 0 offset:620
	buffer_load_dword v240, off, s[0:3], 0 offset:616
	buffer_load_dword v243, off, s[0:3], 0 offset:612
	buffer_load_dword v242, off, s[0:3], 0 offset:608
	buffer_load_dword v245, off, s[0:3], 0 offset:604
	buffer_load_dword v244, off, s[0:3], 0 offset:600
	buffer_load_dword v247, off, s[0:3], 0 offset:596
	buffer_load_dword v246, off, s[0:3], 0 offset:592
	s_waitcnt vmcnt(62)
	v_fmac_f64_e32 v[110:111], v[8:9], v[70:71]
	v_add_f64 v[144:145], v[112:113], v[110:111]
	ds_read_b128 v[110:113], v1 offset:896
	s_waitcnt lgkmcnt(1)
	v_mul_f64 v[146:147], v[2:3], v[64:65]
	v_fmac_f64_e32 v[146:147], v[4:5], v[66:67]
	v_add_f64 v[148:149], v[144:145], v[146:147]
	ds_read_b128 v[144:147], v1 offset:912
	s_waitcnt lgkmcnt(1)
	v_mul_f64 v[150:151], v[110:111], v[82:83]
	;; [unrolled: 5-line block ×5, first 2 shown]
	v_fmac_f64_e32 v[162:163], v[154:155], v[88:89]
	v_add_f64 v[164:165], v[160:161], v[162:163]
	ds_read_b128 v[160:163], v1 offset:976
	s_waitcnt vmcnt(58) lgkmcnt(1)
	v_mul_f64 v[166:167], v[156:157], v[98:99]
	s_waitcnt vmcnt(56)
	v_fmac_f64_e32 v[166:167], v[158:159], v[100:101]
	v_add_f64 v[168:169], v[164:165], v[166:167]
	ds_read_b128 v[164:167], v1 offset:992
	s_waitcnt lgkmcnt(1)
	v_mul_f64 v[170:171], v[160:161], v[94:95]
	v_fmac_f64_e32 v[170:171], v[162:163], v[96:97]
	v_mul_f64 v[28:29], v[28:29], v[46:47]
	v_add_f64 v[172:173], v[168:169], v[170:171]
	ds_read_b128 v[168:171], v1 offset:1008
	s_waitcnt vmcnt(50) lgkmcnt(1)
	v_mul_f64 v[174:175], v[164:165], v[106:107]
	v_fma_f64 v[26:27], v[26:27], v[76:77], -v[28:29]
	v_mul_f64 v[24:25], v[24:25], v[52:53]
	s_waitcnt vmcnt(48)
	v_fmac_f64_e32 v[174:175], v[166:167], v[108:109]
	v_add_f64 v[26:27], v[30:31], v[26:27]
	v_fma_f64 v[22:23], v[22:23], v[74:75], -v[24:25]
	v_add_f64 v[176:177], v[172:173], v[174:175]
	ds_read_b128 v[172:175], v1 offset:1024
	v_add_f64 v[22:23], v[26:27], v[22:23]
	v_mul_f64 v[16:17], v[16:17], v[58:59]
	v_add_f64 v[18:19], v[22:23], v[18:19]
	v_fma_f64 v[14:15], v[14:15], v[72:73], -v[16:17]
	v_add_f64 v[14:15], v[18:19], v[14:15]
	v_mul_f64 v[8:9], v[8:9], v[68:69]
	s_waitcnt lgkmcnt(1)
	v_mul_f64 v[178:179], v[168:169], v[102:103]
	v_add_f64 v[10:11], v[14:15], v[10:11]
	v_fma_f64 v[6:7], v[6:7], v[70:71], -v[8:9]
	v_mul_f64 v[4:5], v[4:5], v[64:65]
	v_fmac_f64_e32 v[178:179], v[170:171], v[104:105]
	v_add_f64 v[6:7], v[10:11], v[6:7]
	v_fma_f64 v[2:3], v[2:3], v[66:67], -v[4:5]
	v_mul_f64 v[4:5], v[112:113], v[82:83]
	v_add_f64 v[180:181], v[176:177], v[178:179]
	ds_read_b128 v[176:179], v1 offset:1040
	s_waitcnt vmcnt(42) lgkmcnt(1)
	v_mul_f64 v[182:183], v[172:173], v[118:119]
	v_add_f64 v[2:3], v[6:7], v[2:3]
	v_fma_f64 v[4:5], v[110:111], v[84:85], -v[4:5]
	s_waitcnt vmcnt(40)
	v_fmac_f64_e32 v[182:183], v[174:175], v[122:123]
	v_add_f64 v[2:3], v[2:3], v[4:5]
	v_mul_f64 v[4:5], v[146:147], v[78:79]
	v_add_f64 v[194:195], v[180:181], v[182:183]
	ds_read_b128 v[180:183], v1 offset:1056
	v_fma_f64 v[4:5], v[144:145], v[80:81], -v[4:5]
	v_add_f64 v[2:3], v[2:3], v[4:5]
	v_mul_f64 v[4:5], v[150:151], v[90:91]
	v_fma_f64 v[4:5], v[148:149], v[92:93], -v[4:5]
	s_waitcnt lgkmcnt(1)
	v_mul_f64 v[196:197], v[176:177], v[114:115]
	v_add_f64 v[2:3], v[2:3], v[4:5]
	v_mul_f64 v[4:5], v[154:155], v[86:87]
	v_fmac_f64_e32 v[196:197], v[178:179], v[116:117]
	v_fma_f64 v[4:5], v[152:153], v[88:89], -v[4:5]
	v_add_f64 v[198:199], v[194:195], v[196:197]
	ds_read_b128 v[194:197], v1 offset:1072
	s_waitcnt vmcnt(34) lgkmcnt(1)
	v_mul_f64 v[200:201], v[180:181], v[128:129]
	v_add_f64 v[2:3], v[2:3], v[4:5]
	v_mul_f64 v[4:5], v[158:159], v[98:99]
	s_waitcnt vmcnt(32)
	v_fmac_f64_e32 v[200:201], v[182:183], v[130:131]
	v_fma_f64 v[4:5], v[156:157], v[100:101], -v[4:5]
	v_add_f64 v[202:203], v[198:199], v[200:201]
	ds_read_b128 v[198:201], v1 offset:1088
	v_add_f64 v[2:3], v[2:3], v[4:5]
	v_mul_f64 v[4:5], v[162:163], v[94:95]
	v_fma_f64 v[4:5], v[160:161], v[96:97], -v[4:5]
	v_add_f64 v[2:3], v[2:3], v[4:5]
	v_mul_f64 v[4:5], v[166:167], v[106:107]
	s_waitcnt lgkmcnt(1)
	v_mul_f64 v[204:205], v[194:195], v[124:125]
	v_fma_f64 v[4:5], v[164:165], v[108:109], -v[4:5]
	v_fmac_f64_e32 v[204:205], v[196:197], v[126:127]
	v_add_f64 v[2:3], v[2:3], v[4:5]
	v_mul_f64 v[4:5], v[170:171], v[102:103]
	v_add_f64 v[206:207], v[202:203], v[204:205]
	ds_read_b128 v[202:205], v1 offset:1104
	s_waitcnt vmcnt(26) lgkmcnt(1)
	v_mul_f64 v[208:209], v[198:199], v[136:137]
	v_fma_f64 v[4:5], v[168:169], v[104:105], -v[4:5]
	s_waitcnt vmcnt(24)
	v_fmac_f64_e32 v[208:209], v[200:201], v[138:139]
	v_add_f64 v[2:3], v[2:3], v[4:5]
	v_mul_f64 v[4:5], v[174:175], v[118:119]
	v_add_f64 v[210:211], v[206:207], v[208:209]
	ds_read_b128 v[206:209], v1 offset:1120
	v_fma_f64 v[4:5], v[172:173], v[122:123], -v[4:5]
	v_add_f64 v[2:3], v[2:3], v[4:5]
	v_mul_f64 v[4:5], v[178:179], v[114:115]
	v_fma_f64 v[4:5], v[176:177], v[116:117], -v[4:5]
	s_waitcnt lgkmcnt(1)
	v_mul_f64 v[212:213], v[202:203], v[132:133]
	v_add_f64 v[2:3], v[2:3], v[4:5]
	v_mul_f64 v[4:5], v[182:183], v[128:129]
	v_fmac_f64_e32 v[212:213], v[204:205], v[134:135]
	v_fma_f64 v[4:5], v[180:181], v[130:131], -v[4:5]
	v_add_f64 v[214:215], v[210:211], v[212:213]
	ds_read_b128 v[210:213], v1 offset:1136
	s_waitcnt vmcnt(18) lgkmcnt(1)
	v_mul_f64 v[216:217], v[206:207], v[184:185]
	v_add_f64 v[2:3], v[2:3], v[4:5]
	v_mul_f64 v[4:5], v[196:197], v[124:125]
	s_waitcnt vmcnt(16)
	v_fmac_f64_e32 v[216:217], v[208:209], v[230:231]
	v_fma_f64 v[4:5], v[194:195], v[126:127], -v[4:5]
	v_add_f64 v[218:219], v[214:215], v[216:217]
	ds_read_b128 v[214:217], v1 offset:1152
	v_add_f64 v[2:3], v[2:3], v[4:5]
	v_mul_f64 v[4:5], v[200:201], v[136:137]
	v_fma_f64 v[4:5], v[198:199], v[138:139], -v[4:5]
	v_add_f64 v[2:3], v[2:3], v[4:5]
	v_mul_f64 v[4:5], v[204:205], v[132:133]
	s_waitcnt lgkmcnt(1)
	v_mul_f64 v[220:221], v[210:211], v[140:141]
	v_fma_f64 v[4:5], v[202:203], v[134:135], -v[4:5]
	v_fmac_f64_e32 v[220:221], v[212:213], v[142:143]
	v_add_f64 v[2:3], v[2:3], v[4:5]
	v_mul_f64 v[4:5], v[208:209], v[184:185]
	v_add_f64 v[222:223], v[218:219], v[220:221]
	ds_read_b128 v[218:221], v1 offset:1168
	s_waitcnt vmcnt(10) lgkmcnt(1)
	v_mul_f64 v[224:225], v[214:215], v[236:237]
	v_fma_f64 v[4:5], v[206:207], v[230:231], -v[4:5]
	s_waitcnt vmcnt(8)
	v_fmac_f64_e32 v[224:225], v[216:217], v[238:239]
	v_add_f64 v[2:3], v[2:3], v[4:5]
	v_mul_f64 v[4:5], v[212:213], v[140:141]
	v_add_f64 v[248:249], v[222:223], v[224:225]
	ds_read_b128 v[222:225], v1 offset:1184
	ds_read_b128 v[226:229], v1 offset:1200
	v_fma_f64 v[4:5], v[210:211], v[142:143], -v[4:5]
	v_add_f64 v[2:3], v[2:3], v[4:5]
	v_mul_f64 v[4:5], v[216:217], v[236:237]
	v_fma_f64 v[4:5], v[214:215], v[238:239], -v[4:5]
	v_add_f64 v[2:3], v[2:3], v[4:5]
	s_waitcnt lgkmcnt(2)
	v_mul_f64 v[4:5], v[220:221], v[232:233]
	v_mul_f64 v[250:251], v[218:219], v[232:233]
	v_fma_f64 v[4:5], v[218:219], v[234:235], -v[4:5]
	v_fmac_f64_e32 v[250:251], v[220:221], v[234:235]
	v_add_f64 v[2:3], v[2:3], v[4:5]
	s_waitcnt vmcnt(2) lgkmcnt(1)
	v_mul_f64 v[4:5], v[224:225], v[244:245]
	v_add_f64 v[248:249], v[248:249], v[250:251]
	v_mul_f64 v[250:251], v[222:223], v[244:245]
	s_waitcnt vmcnt(0)
	v_fma_f64 v[4:5], v[222:223], v[246:247], -v[4:5]
	v_fmac_f64_e32 v[250:251], v[224:225], v[246:247]
	v_add_f64 v[2:3], v[2:3], v[4:5]
	s_waitcnt lgkmcnt(0)
	v_mul_f64 v[4:5], v[228:229], v[240:241]
	v_add_f64 v[248:249], v[248:249], v[250:251]
	v_mul_f64 v[250:251], v[226:227], v[240:241]
	v_fma_f64 v[4:5], v[226:227], v[242:243], -v[4:5]
	v_fmac_f64_e32 v[250:251], v[228:229], v[242:243]
	v_add_f64 v[2:3], v[2:3], v[4:5]
	v_add_f64 v[248:249], v[248:249], v[250:251]
	v_add_f64 v[2:3], v[62:63], -v[2:3]
	v_add_f64 v[4:5], v[60:61], -v[248:249]
	buffer_store_dword v3, off, s[0:3], 0 offset:148
	buffer_store_dword v2, off, s[0:3], 0 offset:144
	;; [unrolled: 1-line block ×4, first 2 shown]
	s_and_saveexec_b64 s[4:5], vcc
	s_cbranch_execz .LBB101_227
; %bb.226:
	v_accvgpr_read_b32 v5, a105
	buffer_load_dword v2, v5, s[0:3], 0 offen
	buffer_load_dword v3, v5, s[0:3], 0 offen offset:4
	buffer_load_dword v4, v5, s[0:3], 0 offen offset:8
	s_nop 0
	buffer_load_dword v5, v5, s[0:3], 0 offen offset:12
	s_nop 0
	buffer_store_dword v1, off, s[0:3], 0 offset:128
	buffer_store_dword v1, off, s[0:3], 0 offset:132
	;; [unrolled: 1-line block ×4, first 2 shown]
	s_waitcnt vmcnt(4)
	ds_write_b128 v120, v[2:5]
.LBB101_227:
	s_or_b64 exec, exec, s[4:5]
	s_waitcnt lgkmcnt(0)
	; wave barrier
	s_waitcnt lgkmcnt(0)
	buffer_load_dword v48, off, s[0:3], 0 offset:144
	buffer_load_dword v49, off, s[0:3], 0 offset:148
	;; [unrolled: 1-line block ×40, first 2 shown]
	ds_read_b128 v[38:41], v1 offset:736
	ds_read_b128 v[34:37], v1 offset:752
	;; [unrolled: 1-line block ×10, first 2 shown]
	buffer_load_dword v83, off, s[0:3], 0 offset:316
	buffer_load_dword v82, off, s[0:3], 0 offset:312
	;; [unrolled: 1-line block ×8, first 2 shown]
	v_cmp_lt_u32_e32 vcc, 6, v0
	s_waitcnt vmcnt(44) lgkmcnt(9)
	v_mul_f64 v[90:91], v[38:39], v[50:51]
	v_fmac_f64_e32 v[90:91], v[40:41], v[48:49]
	v_add_f64 v[90:91], v[90:91], 0
	v_mul_f64 v[40:41], v[40:41], v[50:51]
	s_waitcnt vmcnt(40) lgkmcnt(8)
	v_mul_f64 v[92:93], v[34:35], v[44:45]
	v_fmac_f64_e32 v[92:93], v[36:37], v[42:43]
	s_waitcnt vmcnt(38) lgkmcnt(7)
	v_mul_f64 v[94:95], v[30:31], v[46:47]
	v_add_f64 v[90:91], v[90:91], v[92:93]
	s_waitcnt vmcnt(36) lgkmcnt(5)
	v_mul_f64 v[98:99], v[22:23], v[52:53]
	v_mul_f64 v[36:37], v[36:37], v[44:45]
	s_waitcnt vmcnt(34)
	v_fmac_f64_e32 v[98:99], v[24:25], v[54:55]
	v_fma_f64 v[34:35], v[34:35], v[42:43], -v[36:37]
	s_waitcnt vmcnt(32)
	v_mul_f64 v[96:97], v[26:27], v[56:57]
	v_mul_f64 v[24:25], v[24:25], v[52:53]
	s_waitcnt vmcnt(30) lgkmcnt(4)
	v_mul_f64 v[100:101], v[18:19], v[62:63]
	v_fma_f64 v[22:23], v[22:23], v[54:55], -v[24:25]
	s_waitcnt vmcnt(28) lgkmcnt(1)
	v_mul_f64 v[124:125], v[2:3], v[64:65]
	s_waitcnt vmcnt(25)
	v_mul_f64 v[104:105], v[6:7], v[68:69]
	s_waitcnt vmcnt(23)
	;; [unrolled: 2-line block ×3, first 2 shown]
	v_fmac_f64_e32 v[102:103], v[12:13], v[72:73]
	v_mul_f64 v[12:13], v[12:13], v[70:71]
	s_waitcnt vmcnt(19)
	v_fmac_f64_e32 v[94:95], v[32:33], v[80:81]
	v_add_f64 v[90:91], v[90:91], v[94:95]
	s_waitcnt vmcnt(17)
	v_fmac_f64_e32 v[96:97], v[28:29], v[78:79]
	v_add_f64 v[90:91], v[90:91], v[96:97]
	s_waitcnt vmcnt(15)
	v_fmac_f64_e32 v[100:101], v[20:21], v[76:77]
	v_add_f64 v[90:91], v[90:91], v[98:99]
	v_add_f64 v[90:91], v[90:91], v[100:101]
	s_waitcnt vmcnt(13)
	v_fmac_f64_e32 v[104:105], v[8:9], v[74:75]
	v_add_f64 v[90:91], v[90:91], v[102:103]
	v_add_f64 v[126:127], v[90:91], v[104:105]
	buffer_load_dword v91, off, s[0:3], 0 offset:348
	buffer_load_dword v90, off, s[0:3], 0 offset:344
	;; [unrolled: 1-line block ×72, first 2 shown]
	s_waitcnt vmcnt(62)
	v_fmac_f64_e32 v[124:125], v[4:5], v[66:67]
	v_add_f64 v[152:153], v[126:127], v[124:125]
	ds_read_b128 v[124:127], v1 offset:896
	s_waitcnt lgkmcnt(1)
	v_mul_f64 v[154:155], v[14:15], v[86:87]
	v_fmac_f64_e32 v[154:155], v[16:17], v[88:89]
	buffer_load_dword v245, off, s[0:3], 0 offset:620
	buffer_load_dword v244, off, s[0:3], 0 offset:616
	;; [unrolled: 1-line block ×4, first 2 shown]
	v_add_f64 v[156:157], v[152:153], v[154:155]
	s_waitcnt lgkmcnt(0)
	v_mul_f64 v[158:159], v[124:125], v[82:83]
	ds_read_b128 v[152:155], v1 offset:912
	v_fmac_f64_e32 v[158:159], v[126:127], v[84:85]
	v_add_f64 v[160:161], v[156:157], v[158:159]
	ds_read_b128 v[156:159], v1 offset:928
	v_mul_f64 v[32:33], v[32:33], v[46:47]
	s_waitcnt lgkmcnt(1)
	v_mul_f64 v[162:163], v[152:153], v[94:95]
	v_fma_f64 v[30:31], v[30:31], v[80:81], -v[32:33]
	v_fmac_f64_e32 v[162:163], v[154:155], v[96:97]
	s_waitcnt lgkmcnt(0)
	v_mul_f64 v[166:167], v[156:157], v[90:91]
	v_add_f64 v[164:165], v[160:161], v[162:163]
	ds_read_b128 v[160:163], v1 offset:944
	v_fmac_f64_e32 v[166:167], v[158:159], v[92:93]
	v_add_f64 v[168:169], v[164:165], v[166:167]
	ds_read_b128 v[164:167], v1 offset:960
	v_mul_f64 v[28:29], v[28:29], v[56:57]
	s_waitcnt vmcnt(62) lgkmcnt(1)
	v_mul_f64 v[170:171], v[160:161], v[102:103]
	s_waitcnt vmcnt(60)
	v_fmac_f64_e32 v[170:171], v[162:163], v[104:105]
	v_add_f64 v[172:173], v[168:169], v[170:171]
	s_waitcnt lgkmcnt(0)
	v_mul_f64 v[174:175], v[164:165], v[98:99]
	ds_read_b128 v[168:171], v1 offset:976
	v_fmac_f64_e32 v[174:175], v[166:167], v[100:101]
	v_add_f64 v[176:177], v[172:173], v[174:175]
	ds_read_b128 v[172:175], v1 offset:992
	v_fma_f64 v[26:27], v[26:27], v[78:79], -v[28:29]
	s_waitcnt vmcnt(54) lgkmcnt(1)
	v_mul_f64 v[178:179], v[168:169], v[110:111]
	s_waitcnt vmcnt(52)
	v_fmac_f64_e32 v[178:179], v[170:171], v[112:113]
	v_add_f64 v[180:181], v[176:177], v[178:179]
	s_waitcnt lgkmcnt(0)
	v_mul_f64 v[182:183], v[172:173], v[106:107]
	ds_read_b128 v[176:179], v1 offset:1008
	v_fmac_f64_e32 v[182:183], v[174:175], v[108:109]
	v_add_f64 v[194:195], v[180:181], v[182:183]
	ds_read_b128 v[180:183], v1 offset:1024
	v_mul_f64 v[20:21], v[20:21], v[62:63]
	s_waitcnt vmcnt(46) lgkmcnt(1)
	v_mul_f64 v[196:197], v[176:177], v[118:119]
	s_waitcnt vmcnt(44)
	v_fmac_f64_e32 v[196:197], v[178:179], v[122:123]
	v_add_f64 v[198:199], v[194:195], v[196:197]
	s_waitcnt lgkmcnt(0)
	v_mul_f64 v[200:201], v[180:181], v[114:115]
	ds_read_b128 v[194:197], v1 offset:1040
	v_fmac_f64_e32 v[200:201], v[182:183], v[116:117]
	v_add_f64 v[202:203], v[198:199], v[200:201]
	ds_read_b128 v[198:201], v1 offset:1056
	v_fma_f64 v[18:19], v[18:19], v[76:77], -v[20:21]
	s_waitcnt vmcnt(38) lgkmcnt(1)
	v_mul_f64 v[204:205], v[194:195], v[132:133]
	s_waitcnt vmcnt(36)
	v_fmac_f64_e32 v[204:205], v[196:197], v[134:135]
	v_add_f64 v[206:207], v[202:203], v[204:205]
	s_waitcnt lgkmcnt(0)
	v_mul_f64 v[208:209], v[198:199], v[128:129]
	ds_read_b128 v[202:205], v1 offset:1072
	v_fmac_f64_e32 v[208:209], v[200:201], v[130:131]
	v_add_f64 v[210:211], v[206:207], v[208:209]
	ds_read_b128 v[206:209], v1 offset:1088
	v_fma_f64 v[10:11], v[10:11], v[72:73], -v[12:13]
	s_waitcnt vmcnt(30) lgkmcnt(1)
	v_mul_f64 v[212:213], v[202:203], v[140:141]
	s_waitcnt vmcnt(28)
	v_fmac_f64_e32 v[212:213], v[204:205], v[142:143]
	v_add_f64 v[214:215], v[210:211], v[212:213]
	s_waitcnt lgkmcnt(0)
	v_mul_f64 v[216:217], v[206:207], v[136:137]
	ds_read_b128 v[210:213], v1 offset:1104
	v_fmac_f64_e32 v[216:217], v[208:209], v[138:139]
	v_add_f64 v[218:219], v[214:215], v[216:217]
	ds_read_b128 v[214:217], v1 offset:1120
	v_mul_f64 v[8:9], v[8:9], v[68:69]
	s_waitcnt vmcnt(22) lgkmcnt(1)
	v_mul_f64 v[220:221], v[210:211], v[148:149]
	s_waitcnt vmcnt(20)
	v_fmac_f64_e32 v[220:221], v[212:213], v[150:151]
	v_add_f64 v[222:223], v[218:219], v[220:221]
	s_waitcnt lgkmcnt(0)
	v_mul_f64 v[224:225], v[214:215], v[144:145]
	ds_read_b128 v[218:221], v1 offset:1136
	v_fmac_f64_e32 v[224:225], v[216:217], v[146:147]
	v_add_f64 v[226:227], v[222:223], v[224:225]
	ds_read_b128 v[222:225], v1 offset:1152
	v_fma_f64 v[6:7], v[6:7], v[74:75], -v[8:9]
	s_waitcnt vmcnt(14) lgkmcnt(1)
	v_mul_f64 v[228:229], v[218:219], v[232:233]
	s_waitcnt vmcnt(12)
	v_fmac_f64_e32 v[228:229], v[220:221], v[234:235]
	v_add_f64 v[248:249], v[226:227], v[228:229]
	s_waitcnt lgkmcnt(0)
	v_mul_f64 v[250:251], v[222:223], v[184:185]
	v_fmac_f64_e32 v[250:251], v[224:225], v[230:231]
	v_add_f64 v[248:249], v[248:249], v[250:251]
	v_fma_f64 v[250:251], v[38:39], v[48:49], -v[40:41]
	v_add_f64 v[250:251], v[250:251], 0
	v_add_f64 v[34:35], v[250:251], v[34:35]
	;; [unrolled: 1-line block ×7, first 2 shown]
	v_mul_f64 v[4:5], v[4:5], v[64:65]
	v_add_f64 v[6:7], v[10:11], v[6:7]
	v_fma_f64 v[2:3], v[2:3], v[66:67], -v[4:5]
	v_mul_f64 v[4:5], v[16:17], v[86:87]
	v_add_f64 v[2:3], v[6:7], v[2:3]
	v_fma_f64 v[4:5], v[14:15], v[88:89], -v[4:5]
	v_add_f64 v[2:3], v[2:3], v[4:5]
	v_mul_f64 v[4:5], v[126:127], v[82:83]
	v_fma_f64 v[4:5], v[124:125], v[84:85], -v[4:5]
	v_add_f64 v[2:3], v[2:3], v[4:5]
	v_mul_f64 v[4:5], v[154:155], v[94:95]
	;; [unrolled: 3-line block ×15, first 2 shown]
	ds_read_b128 v[226:229], v1 offset:1168
	ds_read_b128 v[38:41], v1 offset:1184
	v_fma_f64 v[4:5], v[214:215], v[146:147], -v[4:5]
	v_add_f64 v[2:3], v[2:3], v[4:5]
	v_mul_f64 v[4:5], v[220:221], v[232:233]
	v_fma_f64 v[4:5], v[218:219], v[234:235], -v[4:5]
	v_add_f64 v[2:3], v[2:3], v[4:5]
	v_mul_f64 v[4:5], v[224:225], v[184:185]
	ds_read_b128 v[48:51], v1 offset:1200
	v_fma_f64 v[4:5], v[222:223], v[230:231], -v[4:5]
	v_add_f64 v[2:3], v[2:3], v[4:5]
	s_waitcnt vmcnt(6) lgkmcnt(2)
	v_mul_f64 v[4:5], v[228:229], v[240:241]
	v_mul_f64 v[252:253], v[226:227], v[240:241]
	s_waitcnt vmcnt(4)
	v_fma_f64 v[4:5], v[226:227], v[242:243], -v[4:5]
	v_fmac_f64_e32 v[252:253], v[228:229], v[242:243]
	v_add_f64 v[2:3], v[2:3], v[4:5]
	s_waitcnt lgkmcnt(1)
	v_mul_f64 v[4:5], v[40:41], v[236:237]
	v_add_f64 v[248:249], v[248:249], v[252:253]
	v_mul_f64 v[252:253], v[38:39], v[236:237]
	v_fma_f64 v[4:5], v[38:39], v[238:239], -v[4:5]
	v_fmac_f64_e32 v[252:253], v[40:41], v[238:239]
	v_add_f64 v[2:3], v[2:3], v[4:5]
	s_waitcnt vmcnt(2) lgkmcnt(0)
	v_mul_f64 v[4:5], v[50:51], v[244:245]
	v_add_f64 v[248:249], v[248:249], v[252:253]
	v_mul_f64 v[252:253], v[48:49], v[244:245]
	s_waitcnt vmcnt(0)
	v_fma_f64 v[4:5], v[48:49], v[246:247], -v[4:5]
	v_fmac_f64_e32 v[252:253], v[50:51], v[246:247]
	v_add_f64 v[2:3], v[2:3], v[4:5]
	v_add_f64 v[248:249], v[248:249], v[252:253]
	v_add_f64 v[2:3], v[60:61], -v[2:3]
	v_add_f64 v[4:5], v[58:59], -v[248:249]
	buffer_store_dword v3, off, s[0:3], 0 offset:132
	buffer_store_dword v2, off, s[0:3], 0 offset:128
	;; [unrolled: 1-line block ×4, first 2 shown]
	s_and_saveexec_b64 s[4:5], vcc
	s_cbranch_execz .LBB101_229
; %bb.228:
	v_accvgpr_read_b32 v1, a106
	buffer_load_dword v2, v1, s[0:3], 0 offen
	buffer_load_dword v3, v1, s[0:3], 0 offen offset:4
	buffer_load_dword v4, v1, s[0:3], 0 offen offset:8
	;; [unrolled: 1-line block ×3, first 2 shown]
	v_mov_b32_e32 v1, 0
	buffer_store_dword v1, off, s[0:3], 0 offset:112
	buffer_store_dword v1, off, s[0:3], 0 offset:116
	;; [unrolled: 1-line block ×4, first 2 shown]
	s_waitcnt vmcnt(4)
	ds_write_b128 v120, v[2:5]
.LBB101_229:
	s_or_b64 exec, exec, s[4:5]
	s_waitcnt lgkmcnt(0)
	; wave barrier
	s_waitcnt lgkmcnt(0)
	buffer_load_dword v106, off, s[0:3], 0 offset:128
	buffer_load_dword v107, off, s[0:3], 0 offset:132
	;; [unrolled: 1-line block ×49, first 2 shown]
	v_mov_b32_e32 v1, 0
	ds_read_b128 v[110:113], v1 offset:720
	ds_read_b128 v[250:253], v1 offset:736
	;; [unrolled: 1-line block ×10, first 2 shown]
	buffer_load_dword v160, off, s[0:3], 0 offset:320
	buffer_load_dword v175, off, s[0:3], 0 offset:316
	buffer_load_dword v174, off, s[0:3], 0 offset:312
	buffer_load_dword v179, off, s[0:3], 0 offset:308
	buffer_load_dword v178, off, s[0:3], 0 offset:304
	buffer_load_dword v163, off, s[0:3], 0 offset:364
	buffer_load_dword v162, off, s[0:3], 0 offset:360
	buffer_load_dword v165, off, s[0:3], 0 offset:356
	buffer_load_dword v164, off, s[0:3], 0 offset:352
	buffer_load_dword v183, off, s[0:3], 0 offset:348
	buffer_load_dword v182, off, s[0:3], 0 offset:344
	buffer_load_dword v195, off, s[0:3], 0 offset:340
	buffer_load_dword v194, off, s[0:3], 0 offset:336
	buffer_load_dword v167, off, s[0:3], 0 offset:396
	buffer_load_dword v166, off, s[0:3], 0 offset:392
	buffer_load_dword v169, off, s[0:3], 0 offset:388
	buffer_load_dword v168, off, s[0:3], 0 offset:384
	buffer_load_dword v199, off, s[0:3], 0 offset:380
	buffer_load_dword v198, off, s[0:3], 0 offset:376
	buffer_load_dword v203, off, s[0:3], 0 offset:372
	buffer_load_dword v202, off, s[0:3], 0 offset:368
	buffer_load_dword v171, off, s[0:3], 0 offset:428
	buffer_load_dword v170, off, s[0:3], 0 offset:424
	buffer_load_dword v173, off, s[0:3], 0 offset:420
	buffer_load_dword v172, off, s[0:3], 0 offset:416
	buffer_load_dword v207, off, s[0:3], 0 offset:412
	buffer_load_dword v206, off, s[0:3], 0 offset:408
	buffer_load_dword v211, off, s[0:3], 0 offset:404
	buffer_load_dword v210, off, s[0:3], 0 offset:400
	buffer_load_dword v177, off, s[0:3], 0 offset:460
	buffer_load_dword v176, off, s[0:3], 0 offset:456
	buffer_load_dword v181, off, s[0:3], 0 offset:452
	buffer_load_dword v180, off, s[0:3], 0 offset:448
	buffer_load_dword v215, off, s[0:3], 0 offset:444
	buffer_load_dword v214, off, s[0:3], 0 offset:440
	buffer_load_dword v219, off, s[0:3], 0 offset:436
	buffer_load_dword v218, off, s[0:3], 0 offset:432
	buffer_load_dword v185, off, s[0:3], 0 offset:492
	buffer_load_dword v184, off, s[0:3], 0 offset:488
	buffer_load_dword v197, off, s[0:3], 0 offset:484
	buffer_load_dword v196, off, s[0:3], 0 offset:480
	buffer_load_dword v223, off, s[0:3], 0 offset:476
	buffer_load_dword v222, off, s[0:3], 0 offset:472
	buffer_load_dword v225, off, s[0:3], 0 offset:468
	buffer_load_dword v224, off, s[0:3], 0 offset:464
	buffer_load_dword v201, off, s[0:3], 0 offset:524
	buffer_load_dword v200, off, s[0:3], 0 offset:520
	buffer_load_dword v205, off, s[0:3], 0 offset:516
	buffer_load_dword v204, off, s[0:3], 0 offset:512
	buffer_load_dword v227, off, s[0:3], 0 offset:508
	buffer_load_dword v226, off, s[0:3], 0 offset:504
	buffer_load_dword v229, off, s[0:3], 0 offset:500
	buffer_load_dword v228, off, s[0:3], 0 offset:496
	buffer_load_dword v209, off, s[0:3], 0 offset:556
	buffer_load_dword v208, off, s[0:3], 0 offset:552
	buffer_load_dword v213, off, s[0:3], 0 offset:548
	buffer_load_dword v212, off, s[0:3], 0 offset:544
	buffer_load_dword v233, off, s[0:3], 0 offset:540
	buffer_load_dword v232, off, s[0:3], 0 offset:536
	buffer_load_dword v237, off, s[0:3], 0 offset:532
	buffer_load_dword v236, off, s[0:3], 0 offset:528
	buffer_load_dword v217, off, s[0:3], 0 offset:588
	buffer_load_dword v216, off, s[0:3], 0 offset:584
	buffer_load_dword v221, off, s[0:3], 0 offset:580
	buffer_load_dword v220, off, s[0:3], 0 offset:576
	buffer_load_dword v239, off, s[0:3], 0 offset:572
	buffer_load_dword v238, off, s[0:3], 0 offset:568
	buffer_load_dword v241, off, s[0:3], 0 offset:564
	buffer_load_dword v240, off, s[0:3], 0 offset:560
	v_cmp_lt_u32_e32 vcc, 5, v0
	s_waitcnt vmcnt(62) lgkmcnt(9)
	v_mul_f64 v[34:35], v[110:111], v[108:109]
	v_fmac_f64_e32 v[34:35], v[112:113], v[106:107]
	v_add_f64 v[34:35], v[34:35], 0
	v_mul_f64 v[108:109], v[112:113], v[108:109]
	s_waitcnt lgkmcnt(8)
	v_mul_f64 v[36:37], v[250:251], v[116:117]
	v_fmac_f64_e32 v[36:37], v[252:253], v[114:115]
	s_waitcnt lgkmcnt(7)
	v_mul_f64 v[38:39], v[30:31], v[118:119]
	v_add_f64 v[34:35], v[34:35], v[36:37]
	s_waitcnt lgkmcnt(5)
	v_mul_f64 v[42:43], v[22:23], v[122:123]
	v_mul_f64 v[116:117], v[252:253], v[116:117]
	v_fmac_f64_e32 v[42:43], v[24:25], v[124:125]
	v_fma_f64 v[250:251], v[250:251], v[114:115], -v[116:117]
	v_mul_f64 v[40:41], v[26:27], v[126:127]
	v_mul_f64 v[24:25], v[24:25], v[122:123]
	s_waitcnt lgkmcnt(3)
	v_mul_f64 v[46:47], v[14:15], v[128:129]
	v_fma_f64 v[22:23], v[22:23], v[124:125], -v[24:25]
	v_fmac_f64_e32 v[46:47], v[16:17], v[130:131]
	v_mul_f64 v[16:17], v[16:17], v[128:129]
	v_mul_f64 v[44:45], v[18:19], v[132:133]
	v_fma_f64 v[14:15], v[14:15], v[130:131], -v[16:17]
	s_waitcnt lgkmcnt(1)
	v_mul_f64 v[50:51], v[6:7], v[134:135]
	v_fmac_f64_e32 v[50:51], v[8:9], v[136:137]
	v_mul_f64 v[8:9], v[8:9], v[134:135]
	v_mul_f64 v[48:49], v[10:11], v[142:143]
	v_fma_f64 v[6:7], v[6:7], v[136:137], -v[8:9]
	s_waitcnt lgkmcnt(0)
	v_mul_f64 v[52:53], v[2:3], v[138:139]
	v_fmac_f64_e32 v[38:39], v[32:33], v[154:155]
	v_add_f64 v[34:35], v[34:35], v[38:39]
	v_fmac_f64_e32 v[40:41], v[28:29], v[152:153]
	v_add_f64 v[34:35], v[34:35], v[40:41]
	;; [unrolled: 2-line block ×3, first 2 shown]
	v_add_f64 v[34:35], v[34:35], v[44:45]
	v_fmac_f64_e32 v[48:49], v[12:13], v[148:149]
	v_add_f64 v[34:35], v[34:35], v[46:47]
	v_add_f64 v[34:35], v[34:35], v[48:49]
	v_fmac_f64_e32 v[52:53], v[4:5], v[146:147]
	v_add_f64 v[34:35], v[34:35], v[50:51]
	v_add_f64 v[42:43], v[34:35], v[52:53]
	ds_read_b128 v[38:41], v1 offset:880
	ds_read_b128 v[34:37], v1 offset:896
	buffer_load_dword v231, off, s[0:3], 0 offset:620
	buffer_load_dword v230, off, s[0:3], 0 offset:616
	;; [unrolled: 1-line block ×8, first 2 shown]
	ds_read_b128 v[114:117], v1 offset:1200
	v_mul_f64 v[32:33], v[32:33], v[118:119]
	s_waitcnt lgkmcnt(2)
	v_mul_f64 v[44:45], v[38:39], v[144:145]
	v_fmac_f64_e32 v[44:45], v[40:41], v[156:157]
	v_add_f64 v[46:47], v[42:43], v[44:45]
	ds_read_b128 v[42:45], v1 offset:912
	s_waitcnt lgkmcnt(2)
	v_mul_f64 v[48:49], v[34:35], v[174:175]
	v_fmac_f64_e32 v[48:49], v[36:37], v[178:179]
	v_add_f64 v[50:51], v[46:47], v[48:49]
	ds_read_b128 v[46:49], v1 offset:928
	;; [unrolled: 5-line block ×3, first 2 shown]
	s_waitcnt vmcnt(62) lgkmcnt(1)
	v_mul_f64 v[56:57], v[46:47], v[182:183]
	v_fmac_f64_e32 v[56:57], v[48:49], v[194:195]
	v_add_f64 v[58:59], v[54:55], v[56:57]
	ds_read_b128 v[54:57], v1 offset:960
	s_waitcnt lgkmcnt(1)
	v_mul_f64 v[60:61], v[50:51], v[162:163]
	v_fmac_f64_e32 v[60:61], v[52:53], v[164:165]
	v_add_f64 v[62:63], v[58:59], v[60:61]
	ds_read_b128 v[58:61], v1 offset:976
	s_waitcnt vmcnt(58) lgkmcnt(1)
	v_mul_f64 v[64:65], v[54:55], v[198:199]
	s_waitcnt vmcnt(56)
	v_fmac_f64_e32 v[64:65], v[56:57], v[202:203]
	v_add_f64 v[66:67], v[62:63], v[64:65]
	ds_read_b128 v[62:65], v1 offset:992
	s_waitcnt lgkmcnt(1)
	v_mul_f64 v[68:69], v[58:59], v[166:167]
	v_fmac_f64_e32 v[68:69], v[60:61], v[168:169]
	v_add_f64 v[70:71], v[66:67], v[68:69]
	ds_read_b128 v[66:69], v1 offset:1008
	s_waitcnt vmcnt(50) lgkmcnt(1)
	v_mul_f64 v[72:73], v[62:63], v[206:207]
	s_waitcnt vmcnt(48)
	;; [unrolled: 11-line block ×5, first 2 shown]
	v_fmac_f64_e32 v[96:97], v[88:89], v[228:229]
	v_add_f64 v[98:99], v[94:95], v[96:97]
	ds_read_b128 v[94:97], v1 offset:1120
	s_waitcnt lgkmcnt(1)
	v_mul_f64 v[100:101], v[90:91], v[200:201]
	v_fmac_f64_e32 v[100:101], v[92:93], v[204:205]
	v_add_f64 v[246:247], v[98:99], v[100:101]
	ds_read_b128 v[98:101], v1 offset:1136
	ds_read_b128 v[102:105], v1 offset:1152
	s_waitcnt vmcnt(18) lgkmcnt(2)
	v_mul_f64 v[248:249], v[94:95], v[232:233]
	s_waitcnt vmcnt(16)
	v_fmac_f64_e32 v[248:249], v[96:97], v[236:237]
	v_add_f64 v[246:247], v[246:247], v[248:249]
	s_waitcnt lgkmcnt(1)
	v_mul_f64 v[248:249], v[98:99], v[208:209]
	v_fmac_f64_e32 v[248:249], v[100:101], v[212:213]
	v_add_f64 v[246:247], v[246:247], v[248:249]
	v_fma_f64 v[248:249], v[110:111], v[106:107], -v[108:109]
	ds_read_b128 v[110:113], v1 offset:1168
	ds_read_b128 v[106:109], v1 offset:1184
	s_waitcnt vmcnt(10) lgkmcnt(2)
	v_mul_f64 v[254:255], v[102:103], v[238:239]
	s_waitcnt vmcnt(8)
	v_fmac_f64_e32 v[254:255], v[104:105], v[240:241]
	v_add_f64 v[246:247], v[246:247], v[254:255]
	s_waitcnt lgkmcnt(1)
	v_mul_f64 v[252:253], v[110:111], v[216:217]
	v_fmac_f64_e32 v[252:253], v[112:113], v[220:221]
	v_add_f64 v[246:247], v[246:247], v[252:253]
	s_waitcnt vmcnt(2) lgkmcnt(0)
	v_mul_f64 v[252:253], v[106:107], v[242:243]
	s_waitcnt vmcnt(0)
	v_fmac_f64_e32 v[252:253], v[108:109], v[244:245]
	v_add_f64 v[246:247], v[246:247], v[252:253]
	v_mul_f64 v[252:253], v[114:115], v[230:231]
	v_fmac_f64_e32 v[252:253], v[116:117], v[234:235]
	v_add_f64 v[246:247], v[246:247], v[252:253]
	buffer_load_dword v252, off, s[0:3], 0 offset:120
	buffer_load_dword v253, off, s[0:3], 0 offset:124
	v_add_f64 v[248:249], v[248:249], 0
	v_add_f64 v[248:249], v[248:249], v[250:251]
	v_fma_f64 v[30:31], v[30:31], v[154:155], -v[32:33]
	v_mul_f64 v[28:29], v[28:29], v[126:127]
	v_add_f64 v[30:31], v[248:249], v[30:31]
	v_fma_f64 v[26:27], v[26:27], v[152:153], -v[28:29]
	v_add_f64 v[26:27], v[30:31], v[26:27]
	v_mul_f64 v[20:21], v[20:21], v[132:133]
	v_add_f64 v[22:23], v[26:27], v[22:23]
	v_fma_f64 v[18:19], v[18:19], v[150:151], -v[20:21]
	v_add_f64 v[18:19], v[22:23], v[18:19]
	;; [unrolled: 4-line block ×3, first 2 shown]
	v_mul_f64 v[4:5], v[4:5], v[138:139]
	v_add_f64 v[6:7], v[10:11], v[6:7]
	v_fma_f64 v[2:3], v[2:3], v[146:147], -v[4:5]
	v_mul_f64 v[4:5], v[40:41], v[144:145]
	v_add_f64 v[2:3], v[6:7], v[2:3]
	v_fma_f64 v[4:5], v[38:39], v[156:157], -v[4:5]
	v_add_f64 v[2:3], v[2:3], v[4:5]
	v_mul_f64 v[4:5], v[36:37], v[174:175]
	v_fma_f64 v[4:5], v[34:35], v[178:179], -v[4:5]
	v_add_f64 v[2:3], v[2:3], v[4:5]
	v_mul_f64 v[4:5], v[44:45], v[158:159]
	;; [unrolled: 3-line block ×20, first 2 shown]
	v_fma_f64 v[4:5], v[114:115], v[234:235], -v[4:5]
	v_add_f64 v[2:3], v[2:3], v[4:5]
	v_add_f64 v[2:3], v[140:141], -v[2:3]
	s_waitcnt vmcnt(0)
	v_add_f64 v[4:5], v[252:253], -v[246:247]
	buffer_store_dword v3, off, s[0:3], 0 offset:116
	buffer_store_dword v2, off, s[0:3], 0 offset:112
	;; [unrolled: 1-line block ×4, first 2 shown]
	s_and_saveexec_b64 s[4:5], vcc
	s_cbranch_execz .LBB101_231
; %bb.230:
	v_accvgpr_read_b32 v5, a107
	buffer_load_dword v2, v5, s[0:3], 0 offen
	buffer_load_dword v3, v5, s[0:3], 0 offen offset:4
	buffer_load_dword v4, v5, s[0:3], 0 offen offset:8
	s_nop 0
	buffer_load_dword v5, v5, s[0:3], 0 offen offset:12
	s_nop 0
	buffer_store_dword v1, off, s[0:3], 0 offset:96
	buffer_store_dword v1, off, s[0:3], 0 offset:100
	;; [unrolled: 1-line block ×4, first 2 shown]
	s_waitcnt vmcnt(4)
	ds_write_b128 v120, v[2:5]
.LBB101_231:
	s_or_b64 exec, exec, s[4:5]
	s_waitcnt lgkmcnt(0)
	; wave barrier
	s_waitcnt lgkmcnt(0)
	buffer_load_dword v112, off, s[0:3], 0 offset:112
	buffer_load_dword v113, off, s[0:3], 0 offset:116
	;; [unrolled: 1-line block ×36, first 2 shown]
	ds_read_b128 v[102:105], v1 offset:704
	ds_read_b128 v[106:109], v1 offset:720
	;; [unrolled: 1-line block ×9, first 2 shown]
	buffer_load_dword v145, off, s[0:3], 0 offset:284
	buffer_load_dword v144, off, s[0:3], 0 offset:280
	;; [unrolled: 1-line block ×78, first 2 shown]
	v_cmp_lt_u32_e32 vcc, 4, v0
	s_waitcnt vmcnt(62) lgkmcnt(8)
	v_mul_f64 v[26:27], v[102:103], v[246:247]
	v_fmac_f64_e32 v[26:27], v[104:105], v[112:113]
	v_add_f64 v[26:27], v[26:27], 0
	v_mul_f64 v[104:105], v[104:105], v[246:247]
	s_waitcnt lgkmcnt(7)
	v_mul_f64 v[28:29], v[106:107], v[248:249]
	v_fmac_f64_e32 v[28:29], v[108:109], v[110:111]
	s_waitcnt lgkmcnt(6)
	v_mul_f64 v[30:31], v[114:115], v[244:245]
	v_add_f64 v[26:27], v[26:27], v[28:29]
	s_waitcnt lgkmcnt(4)
	v_mul_f64 v[34:35], v[18:19], v[118:119]
	v_fma_f64 v[246:247], v[102:103], v[112:113], -v[104:105]
	v_fmac_f64_e32 v[34:35], v[20:21], v[122:123]
	v_mul_f64 v[108:109], v[108:109], v[248:249]
	v_mul_f64 v[32:33], v[22:23], v[124:125]
	v_fma_f64 v[248:249], v[106:107], v[110:111], -v[108:109]
	s_waitcnt lgkmcnt(2)
	v_mul_f64 v[38:39], v[10:11], v[126:127]
	v_add_f64 v[246:247], v[246:247], 0
	v_fmac_f64_e32 v[38:39], v[12:13], v[128:129]
	v_add_f64 v[246:247], v[246:247], v[248:249]
	v_mul_f64 v[36:37], v[14:15], v[132:133]
	v_mul_f64 v[20:21], v[20:21], v[118:119]
	s_waitcnt lgkmcnt(1)
	v_mul_f64 v[40:41], v[6:7], v[130:131]
	v_fma_f64 v[18:19], v[18:19], v[122:123], -v[20:21]
	v_fmac_f64_e32 v[30:31], v[116:117], v[250:251]
	v_add_f64 v[26:27], v[26:27], v[30:31]
	v_fmac_f64_e32 v[32:33], v[24:25], v[140:141]
	v_add_f64 v[26:27], v[26:27], v[32:33]
	;; [unrolled: 2-line block ×3, first 2 shown]
	v_add_f64 v[26:27], v[26:27], v[36:37]
	v_fmac_f64_e32 v[40:41], v[8:9], v[136:137]
	v_add_f64 v[30:31], v[26:27], v[38:39]
	ds_read_b128 v[26:29], v1 offset:848
	s_waitcnt lgkmcnt(1)
	v_mul_f64 v[32:33], v[2:3], v[134:135]
	v_add_f64 v[30:31], v[30:31], v[40:41]
	v_fmac_f64_e32 v[32:33], v[4:5], v[142:143]
	v_add_f64 v[34:35], v[30:31], v[32:33]
	ds_read_b128 v[30:33], v1 offset:864
	s_waitcnt lgkmcnt(1)
	v_mul_f64 v[36:37], v[26:27], v[148:149]
	buffer_load_dword v233, off, s[0:3], 0 offset:548
	buffer_load_dword v232, off, s[0:3], 0 offset:544
	v_fmac_f64_e32 v[36:37], v[28:29], v[150:151]
	v_add_f64 v[38:39], v[34:35], v[36:37]
	s_waitcnt lgkmcnt(0)
	v_mul_f64 v[40:41], v[30:31], v[144:145]
	ds_read_b128 v[34:37], v1 offset:880
	v_fmac_f64_e32 v[40:41], v[32:33], v[146:147]
	v_add_f64 v[42:43], v[38:39], v[40:41]
	ds_read_b128 v[38:41], v1 offset:896
	v_mul_f64 v[116:117], v[116:117], v[244:245]
	s_waitcnt lgkmcnt(1)
	v_mul_f64 v[44:45], v[34:35], v[160:161]
	v_fmac_f64_e32 v[44:45], v[36:37], v[162:163]
	v_add_f64 v[46:47], v[42:43], v[44:45]
	s_waitcnt lgkmcnt(0)
	v_mul_f64 v[48:49], v[38:39], v[152:153]
	v_fmac_f64_e32 v[48:49], v[40:41], v[154:155]
	ds_read_b128 v[42:45], v1 offset:912
	v_add_f64 v[50:51], v[46:47], v[48:49]
	ds_read_b128 v[46:49], v1 offset:928
	buffer_load_dword v185, off, s[0:3], 0 offset:604
	buffer_load_dword v235, off, s[0:3], 0 offset:588
	;; [unrolled: 1-line block ×12, first 2 shown]
	ds_read_b128 v[106:109], v1 offset:1168
	s_waitcnt vmcnt(62) lgkmcnt(2)
	v_mul_f64 v[52:53], v[42:43], v[176:177]
	v_fmac_f64_e32 v[52:53], v[44:45], v[180:181]
	v_add_f64 v[54:55], v[50:51], v[52:53]
	ds_read_b128 v[50:53], v1 offset:944
	s_waitcnt lgkmcnt(2)
	v_mul_f64 v[56:57], v[46:47], v[156:157]
	v_fmac_f64_e32 v[56:57], v[48:49], v[158:159]
	v_add_f64 v[58:59], v[54:55], v[56:57]
	ds_read_b128 v[54:57], v1 offset:960
	s_waitcnt lgkmcnt(1)
	v_mul_f64 v[60:61], v[50:51], v[194:195]
	s_waitcnt vmcnt(60)
	v_fmac_f64_e32 v[60:61], v[52:53], v[198:199]
	v_add_f64 v[62:63], v[58:59], v[60:61]
	ds_read_b128 v[58:61], v1 offset:976
	s_waitcnt lgkmcnt(1)
	v_mul_f64 v[64:65], v[54:55], v[164:165]
	v_fmac_f64_e32 v[64:65], v[56:57], v[166:167]
	v_add_f64 v[66:67], v[62:63], v[64:65]
	ds_read_b128 v[62:65], v1 offset:992
	s_waitcnt vmcnt(54) lgkmcnt(1)
	v_mul_f64 v[68:69], v[58:59], v[202:203]
	s_waitcnt vmcnt(52)
	v_fmac_f64_e32 v[68:69], v[60:61], v[206:207]
	v_add_f64 v[70:71], v[66:67], v[68:69]
	ds_read_b128 v[66:69], v1 offset:1008
	s_waitcnt lgkmcnt(1)
	v_mul_f64 v[72:73], v[62:63], v[168:169]
	v_fmac_f64_e32 v[72:73], v[64:65], v[170:171]
	v_add_f64 v[74:75], v[70:71], v[72:73]
	ds_read_b128 v[70:73], v1 offset:1024
	s_waitcnt vmcnt(46) lgkmcnt(1)
	;; [unrolled: 11-line block ×4, first 2 shown]
	v_mul_f64 v[92:93], v[82:83], v[222:223]
	s_waitcnt vmcnt(28)
	v_fmac_f64_e32 v[92:93], v[84:85], v[224:225]
	v_add_f64 v[98:99], v[90:91], v[92:93]
	ds_read_b128 v[90:93], v1 offset:1104
	ds_read_b128 v[94:97], v1 offset:1120
	s_waitcnt lgkmcnt(2)
	v_mul_f64 v[100:101], v[86:87], v[196:197]
	v_fmac_f64_e32 v[100:101], v[88:89], v[200:201]
	v_add_f64 v[98:99], v[98:99], v[100:101]
	s_waitcnt vmcnt(22) lgkmcnt(1)
	v_mul_f64 v[100:101], v[90:91], v[226:227]
	s_waitcnt vmcnt(20)
	v_fmac_f64_e32 v[100:101], v[92:93], v[228:229]
	v_add_f64 v[98:99], v[98:99], v[100:101]
	s_waitcnt lgkmcnt(0)
	v_mul_f64 v[100:101], v[94:95], v[204:205]
	v_fmac_f64_e32 v[100:101], v[96:97], v[208:209]
	v_add_f64 v[252:253], v[98:99], v[100:101]
	ds_read_b128 v[98:101], v1 offset:1136
	ds_read_b128 v[102:105], v1 offset:1152
	v_fma_f64 v[250:251], v[114:115], v[250:251], -v[116:117]
	ds_read_b128 v[114:117], v1 offset:1200
	v_mul_f64 v[24:25], v[24:25], v[124:125]
	s_waitcnt vmcnt(14) lgkmcnt(2)
	v_mul_f64 v[112:113], v[98:99], v[230:231]
	s_waitcnt lgkmcnt(1)
	v_mul_f64 v[110:111], v[102:103], v[212:213]
	s_waitcnt vmcnt(12)
	v_fmac_f64_e32 v[112:113], v[100:101], v[232:233]
	v_add_f64 v[112:113], v[252:253], v[112:113]
	v_fmac_f64_e32 v[110:111], v[104:105], v[216:217]
	v_add_f64 v[252:253], v[112:113], v[110:111]
	ds_read_b128 v[110:113], v1 offset:1184
	v_add_f64 v[246:247], v[246:247], v[250:251]
	v_fma_f64 v[22:23], v[22:23], v[140:141], -v[24:25]
	v_add_f64 v[22:23], v[246:247], v[22:23]
	s_waitcnt vmcnt(9)
	v_mul_f64 v[244:245], v[106:107], v[234:235]
	v_mul_f64 v[16:17], v[16:17], v[132:133]
	s_waitcnt vmcnt(7)
	v_fmac_f64_e32 v[244:245], v[108:109], v[240:241]
	v_add_f64 v[244:245], v[252:253], v[244:245]
	s_waitcnt vmcnt(6) lgkmcnt(0)
	v_mul_f64 v[252:253], v[110:111], v[184:185]
	s_waitcnt vmcnt(4)
	v_fmac_f64_e32 v[252:253], v[112:113], v[238:239]
	v_add_f64 v[244:245], v[244:245], v[252:253]
	s_waitcnt vmcnt(2)
	v_mul_f64 v[252:253], v[114:115], v[236:237]
	v_add_f64 v[18:19], v[22:23], v[18:19]
	s_waitcnt vmcnt(0)
	v_fmac_f64_e32 v[252:253], v[116:117], v[242:243]
	v_add_f64 v[244:245], v[244:245], v[252:253]
	buffer_load_dword v254, off, s[0:3], 0 offset:96
	buffer_load_dword v255, off, s[0:3], 0 offset:100
	;; [unrolled: 1-line block ×4, first 2 shown]
	v_fma_f64 v[14:15], v[14:15], v[138:139], -v[16:17]
	v_mul_f64 v[12:13], v[12:13], v[126:127]
	v_add_f64 v[14:15], v[18:19], v[14:15]
	v_fma_f64 v[10:11], v[10:11], v[128:129], -v[12:13]
	v_mul_f64 v[8:9], v[8:9], v[130:131]
	v_add_f64 v[10:11], v[14:15], v[10:11]
	;; [unrolled: 3-line block ×4, first 2 shown]
	v_fma_f64 v[4:5], v[26:27], v[150:151], -v[4:5]
	v_add_f64 v[2:3], v[2:3], v[4:5]
	v_mul_f64 v[4:5], v[32:33], v[144:145]
	v_fma_f64 v[4:5], v[30:31], v[146:147], -v[4:5]
	v_add_f64 v[2:3], v[2:3], v[4:5]
	v_mul_f64 v[4:5], v[36:37], v[160:161]
	;; [unrolled: 3-line block ×22, first 2 shown]
	v_fma_f64 v[4:5], v[114:115], v[242:243], -v[4:5]
	v_add_f64 v[2:3], v[2:3], v[4:5]
	s_waitcnt vmcnt(2)
	v_add_f64 v[2:3], v[254:255], -v[2:3]
	s_waitcnt vmcnt(0)
	v_add_f64 v[4:5], v[252:253], -v[244:245]
	buffer_store_dword v3, off, s[0:3], 0 offset:100
	buffer_store_dword v2, off, s[0:3], 0 offset:96
	;; [unrolled: 1-line block ×4, first 2 shown]
	s_and_saveexec_b64 s[4:5], vcc
	s_cbranch_execz .LBB101_233
; %bb.232:
	v_accvgpr_read_b32 v1, a108
	buffer_load_dword v2, v1, s[0:3], 0 offen
	buffer_load_dword v3, v1, s[0:3], 0 offen offset:4
	buffer_load_dword v4, v1, s[0:3], 0 offen offset:8
	;; [unrolled: 1-line block ×3, first 2 shown]
	v_mov_b32_e32 v1, 0
	buffer_store_dword v1, off, s[0:3], 0 offset:80
	buffer_store_dword v1, off, s[0:3], 0 offset:84
	;; [unrolled: 1-line block ×4, first 2 shown]
	s_waitcnt vmcnt(4)
	ds_write_b128 v120, v[2:5]
.LBB101_233:
	s_or_b64 exec, exec, s[4:5]
	s_waitcnt lgkmcnt(0)
	; wave barrier
	s_waitcnt lgkmcnt(0)
	buffer_load_dword v94, off, s[0:3], 0 offset:96
	buffer_load_dword v95, off, s[0:3], 0 offset:100
	buffer_load_dword v96, off, s[0:3], 0 offset:104
	buffer_load_dword v97, off, s[0:3], 0 offset:108
	buffer_load_dword v98, off, s[0:3], 0 offset:112
	buffer_load_dword v99, off, s[0:3], 0 offset:116
	buffer_load_dword v100, off, s[0:3], 0 offset:120
	buffer_load_dword v101, off, s[0:3], 0 offset:124
	buffer_load_dword v106, off, s[0:3], 0 offset:136
	buffer_load_dword v107, off, s[0:3], 0 offset:140
	buffer_load_dword v123, off, s[0:3], 0 offset:172
	buffer_load_dword v122, off, s[0:3], 0 offset:168
	buffer_load_dword v127, off, s[0:3], 0 offset:164
	buffer_load_dword v126, off, s[0:3], 0 offset:160
	buffer_load_dword v111, off, s[0:3], 0 offset:156
	buffer_load_dword v110, off, s[0:3], 0 offset:152
	buffer_load_dword v119, off, s[0:3], 0 offset:204
	buffer_load_dword v118, off, s[0:3], 0 offset:200
	buffer_load_dword v125, off, s[0:3], 0 offset:196
	buffer_load_dword v124, off, s[0:3], 0 offset:192
	buffer_load_dword v133, off, s[0:3], 0 offset:188
	buffer_load_dword v132, off, s[0:3], 0 offset:184
	buffer_load_dword v128, off, s[0:3], 0 offset:232
	buffer_load_dword v131, off, s[0:3], 0 offset:220
	buffer_load_dword v130, off, s[0:3], 0 offset:216
	buffer_load_dword v129, off, s[0:3], 0 offset:236
	buffer_load_dword v108, off, s[0:3], 0 offset:128
	buffer_load_dword v109, off, s[0:3], 0 offset:132
	buffer_load_dword v113, off, s[0:3], 0 offset:148
	buffer_load_dword v112, off, s[0:3], 0 offset:144
	buffer_load_dword v137, off, s[0:3], 0 offset:180
	buffer_load_dword v136, off, s[0:3], 0 offset:176
	buffer_load_dword v135, off, s[0:3], 0 offset:212
	buffer_load_dword v134, off, s[0:3], 0 offset:208
	buffer_load_dword v140, off, s[0:3], 0 offset:224
	buffer_load_dword v141, off, s[0:3], 0 offset:228
	buffer_load_dword v138, off, s[0:3], 0 offset:264
	buffer_load_dword v145, off, s[0:3], 0 offset:252
	buffer_load_dword v144, off, s[0:3], 0 offset:248
	buffer_load_dword v147, off, s[0:3], 0 offset:244
	buffer_load_dword v146, off, s[0:3], 0 offset:240
	buffer_load_dword v143, off, s[0:3], 0 offset:260
	buffer_load_dword v142, off, s[0:3], 0 offset:256
	buffer_load_dword v139, off, s[0:3], 0 offset:268
	buffer_load_dword v149, off, s[0:3], 0 offset:284
	buffer_load_dword v148, off, s[0:3], 0 offset:280
	buffer_load_dword v153, off, s[0:3], 0 offset:276
	buffer_load_dword v152, off, s[0:3], 0 offset:272
	buffer_load_dword v150, off, s[0:3], 0 offset:296
	buffer_load_dword v154, off, s[0:3], 0 offset:288
	buffer_load_dword v155, off, s[0:3], 0 offset:292
	buffer_load_dword v151, off, s[0:3], 0 offset:300
	v_mov_b32_e32 v1, 0
	ds_read_b128 v[102:105], v1 offset:688
	ds_read_b128 v[114:117], v1 offset:704
	;; [unrolled: 1-line block ×10, first 2 shown]
	v_cmp_lt_u32_e32 vcc, 3, v0
	s_waitcnt vmcnt(48) lgkmcnt(9)
	v_mul_f64 v[26:27], v[102:103], v[96:97]
	v_fmac_f64_e32 v[26:27], v[104:105], v[94:95]
	v_add_f64 v[26:27], v[26:27], 0
	v_mul_f64 v[96:97], v[104:105], v[96:97]
	s_waitcnt vmcnt(44) lgkmcnt(8)
	v_mul_f64 v[28:29], v[114:115], v[100:101]
	v_fmac_f64_e32 v[28:29], v[116:117], v[98:99]
	s_waitcnt vmcnt(42) lgkmcnt(7)
	v_mul_f64 v[30:31], v[244:245], v[106:107]
	v_add_f64 v[26:27], v[26:27], v[28:29]
	s_waitcnt vmcnt(40) lgkmcnt(5)
	v_mul_f64 v[34:35], v[22:23], v[122:123]
	v_fma_f64 v[254:255], v[102:103], v[94:95], -v[96:97]
	s_waitcnt vmcnt(38)
	v_fmac_f64_e32 v[34:35], v[24:25], v[126:127]
	v_mul_f64 v[100:101], v[116:117], v[100:101]
	s_waitcnt vmcnt(36)
	v_mul_f64 v[32:33], v[250:251], v[110:111]
	v_fma_f64 v[186:187], v[114:115], v[98:99], -v[100:101]
	s_waitcnt vmcnt(34) lgkmcnt(3)
	v_mul_f64 v[38:39], v[14:15], v[118:119]
	v_mul_f64 v[106:107], v[246:247], v[106:107]
	s_waitcnt vmcnt(32)
	v_fmac_f64_e32 v[38:39], v[16:17], v[124:125]
	v_mul_f64 v[110:111], v[252:253], v[110:111]
	s_waitcnt vmcnt(30)
	v_mul_f64 v[36:37], v[18:19], v[132:133]
	v_mul_f64 v[24:25], v[24:25], v[122:123]
	v_fma_f64 v[22:23], v[22:23], v[126:127], -v[24:25]
	s_waitcnt vmcnt(27) lgkmcnt(2)
	v_mul_f64 v[40:41], v[10:11], v[130:131]
	s_waitcnt vmcnt(26) lgkmcnt(1)
	v_mul_f64 v[42:43], v[6:7], v[128:129]
	v_mul_f64 v[16:17], v[16:17], v[118:119]
	s_waitcnt vmcnt(24)
	v_fmac_f64_e32 v[30:31], v[246:247], v[108:109]
	v_add_f64 v[26:27], v[26:27], v[30:31]
	s_waitcnt vmcnt(22)
	v_fmac_f64_e32 v[32:33], v[252:253], v[112:113]
	v_add_f64 v[26:27], v[26:27], v[32:33]
	s_waitcnt vmcnt(20)
	v_fmac_f64_e32 v[36:37], v[20:21], v[136:137]
	v_add_f64 v[26:27], v[26:27], v[34:35]
	v_add_f64 v[26:27], v[26:27], v[36:37]
	s_waitcnt vmcnt(18)
	v_fmac_f64_e32 v[40:41], v[12:13], v[134:135]
	v_add_f64 v[26:27], v[26:27], v[38:39]
	v_add_f64 v[26:27], v[26:27], v[40:41]
	s_waitcnt vmcnt(16)
	v_fmac_f64_e32 v[42:43], v[8:9], v[140:141]
	v_add_f64 v[34:35], v[26:27], v[42:43]
	ds_read_b128 v[26:29], v1 offset:848
	ds_read_b128 v[30:33], v1 offset:864
	buffer_load_dword v157, off, s[0:3], 0 offset:332
	buffer_load_dword v156, off, s[0:3], 0 offset:328
	;; [unrolled: 1-line block ×56, first 2 shown]
	s_waitcnt vmcnt(62) lgkmcnt(2)
	v_mul_f64 v[36:37], v[2:3], v[144:145]
	v_fmac_f64_e32 v[36:37], v[4:5], v[146:147]
	v_add_f64 v[34:35], v[34:35], v[36:37]
	s_waitcnt lgkmcnt(1)
	v_mul_f64 v[36:37], v[26:27], v[138:139]
	v_fmac_f64_e32 v[36:37], v[28:29], v[142:143]
	v_add_f64 v[34:35], v[34:35], v[36:37]
	s_waitcnt lgkmcnt(0)
	v_mul_f64 v[36:37], v[30:31], v[148:149]
	s_waitcnt vmcnt(60)
	v_fmac_f64_e32 v[36:37], v[32:33], v[152:153]
	v_add_f64 v[42:43], v[34:35], v[36:37]
	ds_read_b128 v[34:37], v1 offset:880
	buffer_load_dword v211, off, s[0:3], 0 offset:556
	buffer_load_dword v210, off, s[0:3], 0 offset:552
	;; [unrolled: 1-line block ×16, first 2 shown]
	ds_read_b128 v[38:41], v1 offset:896
	buffer_load_dword v233, off, s[0:3], 0 offset:620
	buffer_load_dword v232, off, s[0:3], 0 offset:616
	buffer_load_dword v237, off, s[0:3], 0 offset:612
	buffer_load_dword v236, off, s[0:3], 0 offset:608
	buffer_load_dword v185, off, s[0:3], 0 offset:604
	buffer_load_dword v184, off, s[0:3], 0 offset:600
	buffer_load_dword v243, off, s[0:3], 0 offset:596
	buffer_load_dword v242, off, s[0:3], 0 offset:592
	ds_read_b128 v[98:101], v1 offset:1136
	s_waitcnt vmcnt(62) lgkmcnt(2)
	v_mul_f64 v[44:45], v[34:35], v[150:151]
	v_fmac_f64_e32 v[44:45], v[36:37], v[154:155]
	v_add_f64 v[46:47], v[42:43], v[44:45]
	ds_read_b128 v[42:45], v1 offset:912
	v_fma_f64 v[246:247], v[250:251], v[112:113], -v[110:111]
	v_mul_f64 v[20:21], v[20:21], v[132:133]
	v_fma_f64 v[18:19], v[18:19], v[136:137], -v[20:21]
	v_fma_f64 v[14:15], v[14:15], v[124:125], -v[16:17]
	v_mul_f64 v[12:13], v[12:13], v[130:131]
	v_fma_f64 v[10:11], v[10:11], v[134:135], -v[12:13]
	v_mul_f64 v[8:9], v[8:9], v[128:129]
	;; [unrolled: 2-line block ×4, first 2 shown]
	s_waitcnt lgkmcnt(2)
	v_mul_f64 v[48:49], v[38:39], v[172:173]
	v_fma_f64 v[4:5], v[26:27], v[142:143], -v[4:5]
	v_fmac_f64_e32 v[48:49], v[40:41], v[176:177]
	v_add_f64 v[50:51], v[46:47], v[48:49]
	ds_read_b128 v[46:49], v1 offset:928
	s_waitcnt lgkmcnt(1)
	v_mul_f64 v[52:53], v[42:43], v[156:157]
	v_fmac_f64_e32 v[52:53], v[44:45], v[158:159]
	v_add_f64 v[54:55], v[50:51], v[52:53]
	ds_read_b128 v[50:53], v1 offset:944
	s_waitcnt lgkmcnt(1)
	v_mul_f64 v[56:57], v[46:47], v[180:181]
	;; [unrolled: 5-line block ×3, first 2 shown]
	v_fmac_f64_e32 v[60:61], v[52:53], v[162:163]
	v_add_f64 v[62:63], v[58:59], v[60:61]
	ds_read_b128 v[58:61], v1 offset:976
	s_waitcnt vmcnt(58) lgkmcnt(1)
	v_mul_f64 v[64:65], v[54:55], v[198:199]
	s_waitcnt vmcnt(56)
	v_fmac_f64_e32 v[64:65], v[56:57], v[202:203]
	v_add_f64 v[66:67], v[62:63], v[64:65]
	ds_read_b128 v[62:65], v1 offset:992
	s_waitcnt lgkmcnt(1)
	v_mul_f64 v[68:69], v[58:59], v[164:165]
	v_fmac_f64_e32 v[68:69], v[60:61], v[166:167]
	v_add_f64 v[70:71], v[66:67], v[68:69]
	ds_read_b128 v[66:69], v1 offset:1008
	s_waitcnt vmcnt(50) lgkmcnt(1)
	v_mul_f64 v[72:73], v[62:63], v[206:207]
	s_waitcnt vmcnt(48)
	v_fmac_f64_e32 v[72:73], v[64:65], v[208:209]
	v_add_f64 v[74:75], v[70:71], v[72:73]
	ds_read_b128 v[70:73], v1 offset:1024
	s_waitcnt lgkmcnt(1)
	v_mul_f64 v[76:77], v[66:67], v[168:169]
	;; [unrolled: 11-line block ×3, first 2 shown]
	v_fmac_f64_e32 v[84:85], v[76:77], v[178:179]
	v_add_f64 v[90:91], v[82:83], v[84:85]
	ds_read_b128 v[82:85], v1 offset:1072
	ds_read_b128 v[86:89], v1 offset:1088
	s_waitcnt vmcnt(34) lgkmcnt(2)
	v_mul_f64 v[92:93], v[78:79], v[220:221]
	s_waitcnt vmcnt(32)
	v_fmac_f64_e32 v[92:93], v[80:81], v[226:227]
	v_add_f64 v[90:91], v[90:91], v[92:93]
	s_waitcnt lgkmcnt(1)
	v_mul_f64 v[92:93], v[82:83], v[182:183]
	v_fmac_f64_e32 v[92:93], v[84:85], v[196:197]
	v_add_f64 v[90:91], v[90:91], v[92:93]
	s_waitcnt vmcnt(27) lgkmcnt(0)
	v_mul_f64 v[92:93], v[86:87], v[224:225]
	s_waitcnt vmcnt(25)
	v_fmac_f64_e32 v[92:93], v[88:89], v[228:229]
	v_add_f64 v[248:249], v[90:91], v[92:93]
	ds_read_b128 v[90:93], v1 offset:1104
	ds_read_b128 v[94:97], v1 offset:1120
	ds_read_b128 v[110:113], v1 offset:1184
	s_waitcnt lgkmcnt(2)
	v_mul_f64 v[102:103], v[90:91], v[200:201]
	s_waitcnt vmcnt(24)
	v_fmac_f64_e32 v[102:103], v[92:93], v[204:205]
	s_waitcnt vmcnt(18) lgkmcnt(1)
	v_mul_f64 v[104:105], v[94:95], v[230:231]
	v_add_f64 v[102:103], v[248:249], v[102:103]
	s_waitcnt vmcnt(16)
	v_fmac_f64_e32 v[104:105], v[96:97], v[234:235]
	v_add_f64 v[102:103], v[102:103], v[104:105]
	v_fma_f64 v[248:249], v[244:245], v[108:109], -v[106:107]
	ds_read_b128 v[106:109], v1 offset:1168
	v_mul_f64 v[104:105], v[98:99], v[210:211]
	v_fmac_f64_e32 v[104:105], v[100:101], v[214:215]
	v_add_f64 v[114:115], v[102:103], v[104:105]
	ds_read_b128 v[102:105], v1 offset:1152
	s_waitcnt vmcnt(10) lgkmcnt(0)
	v_mul_f64 v[116:117], v[102:103], v[238:239]
	s_waitcnt vmcnt(8)
	v_fmac_f64_e32 v[116:117], v[104:105], v[240:241]
	v_add_f64 v[114:115], v[114:115], v[116:117]
	v_mul_f64 v[116:117], v[106:107], v[218:219]
	v_fmac_f64_e32 v[116:117], v[108:109], v[222:223]
	v_add_f64 v[114:115], v[114:115], v[116:117]
	s_waitcnt vmcnt(2)
	v_mul_f64 v[116:117], v[110:111], v[184:185]
	s_waitcnt vmcnt(0)
	v_fmac_f64_e32 v[116:117], v[112:113], v[242:243]
	v_add_f64 v[244:245], v[114:115], v[116:117]
	ds_read_b128 v[114:117], v1 offset:1200
	buffer_load_dword v252, off, s[0:3], 0 offset:80
	buffer_load_dword v253, off, s[0:3], 0 offset:84
	s_waitcnt lgkmcnt(0)
	v_mul_f64 v[250:251], v[114:115], v[232:233]
	v_fmac_f64_e32 v[250:251], v[116:117], v[236:237]
	v_add_f64 v[244:245], v[244:245], v[250:251]
	v_add_f64 v[250:251], v[254:255], 0
	;; [unrolled: 1-line block ×4, first 2 shown]
	buffer_load_dword v248, off, s[0:3], 0 offset:88
	buffer_load_dword v249, off, s[0:3], 0 offset:92
	v_add_f64 v[186:187], v[186:187], v[246:247]
	v_add_f64 v[22:23], v[186:187], v[22:23]
	;; [unrolled: 1-line block ×8, first 2 shown]
	v_mul_f64 v[4:5], v[32:33], v[148:149]
	v_fma_f64 v[4:5], v[30:31], v[152:153], -v[4:5]
	v_add_f64 v[2:3], v[2:3], v[4:5]
	v_mul_f64 v[4:5], v[36:37], v[150:151]
	v_fma_f64 v[4:5], v[34:35], v[154:155], -v[4:5]
	v_add_f64 v[2:3], v[2:3], v[4:5]
	;; [unrolled: 3-line block ×22, first 2 shown]
	s_waitcnt vmcnt(2)
	v_add_f64 v[2:3], v[252:253], -v[2:3]
	s_waitcnt vmcnt(0)
	v_add_f64 v[4:5], v[248:249], -v[244:245]
	buffer_store_dword v3, off, s[0:3], 0 offset:84
	buffer_store_dword v2, off, s[0:3], 0 offset:80
	buffer_store_dword v5, off, s[0:3], 0 offset:92
	buffer_store_dword v4, off, s[0:3], 0 offset:88
	s_and_saveexec_b64 s[4:5], vcc
	s_cbranch_execz .LBB101_235
; %bb.234:
	v_accvgpr_read_b32 v5, a109
	buffer_load_dword v2, v5, s[0:3], 0 offen
	buffer_load_dword v3, v5, s[0:3], 0 offen offset:4
	buffer_load_dword v4, v5, s[0:3], 0 offen offset:8
	s_nop 0
	buffer_load_dword v5, v5, s[0:3], 0 offen offset:12
	s_nop 0
	buffer_store_dword v1, off, s[0:3], 0 offset:64
	buffer_store_dword v1, off, s[0:3], 0 offset:68
	;; [unrolled: 1-line block ×4, first 2 shown]
	s_waitcnt vmcnt(4)
	ds_write_b128 v120, v[2:5]
.LBB101_235:
	s_or_b64 exec, exec, s[4:5]
	s_waitcnt lgkmcnt(0)
	; wave barrier
	s_waitcnt lgkmcnt(0)
	buffer_load_dword v86, off, s[0:3], 0 offset:80
	buffer_load_dword v87, off, s[0:3], 0 offset:84
	;; [unrolled: 1-line block ×42, first 2 shown]
	ds_read_b128 v[94:97], v1 offset:672
	ds_read_b128 v[106:109], v1 offset:688
	;; [unrolled: 1-line block ×10, first 2 shown]
	buffer_load_dword v147, off, s[0:3], 0 offset:228
	buffer_load_dword v146, off, s[0:3], 0 offset:224
	ds_read_b128 v[6:9], v1 offset:832
	buffer_load_dword v143, off, s[0:3], 0 offset:284
	buffer_load_dword v142, off, s[0:3], 0 offset:280
	;; [unrolled: 1-line block ×80, first 2 shown]
	v_cmp_lt_u32_e32 vcc, 2, v0
	s_waitcnt vmcnt(62) lgkmcnt(10)
	v_mul_f64 v[26:27], v[94:95], v[88:89]
	v_fmac_f64_e32 v[26:27], v[96:97], v[86:87]
	v_add_f64 v[26:27], v[26:27], 0
	v_mul_f64 v[88:89], v[96:97], v[88:89]
	s_waitcnt lgkmcnt(9)
	v_mul_f64 v[28:29], v[106:107], v[92:93]
	v_fmac_f64_e32 v[28:29], v[108:109], v[90:91]
	s_waitcnt lgkmcnt(8)
	v_mul_f64 v[30:31], v[114:115], v[98:99]
	v_add_f64 v[26:27], v[26:27], v[28:29]
	s_waitcnt lgkmcnt(6)
	v_mul_f64 v[34:35], v[248:249], v[110:111]
	v_fma_f64 v[252:253], v[94:95], v[86:87], -v[88:89]
	v_fmac_f64_e32 v[34:35], v[250:251], v[112:113]
	v_mul_f64 v[92:93], v[108:109], v[92:93]
	v_mul_f64 v[32:33], v[182:183], v[102:103]
	v_mul_f64 v[98:99], v[116:117], v[98:99]
	s_waitcnt lgkmcnt(4)
	v_mul_f64 v[38:39], v[18:19], v[118:119]
	v_mul_f64 v[102:103], v[184:185], v[102:103]
	v_fmac_f64_e32 v[38:39], v[20:21], v[122:123]
	v_mul_f64 v[110:111], v[250:251], v[110:111]
	v_mul_f64 v[36:37], v[22:23], v[124:125]
	v_fma_f64 v[248:249], v[248:249], v[112:113], -v[110:111]
	s_waitcnt lgkmcnt(2)
	v_mul_f64 v[42:43], v[10:11], v[126:127]
	v_mul_f64 v[20:21], v[20:21], v[118:119]
	v_fma_f64 v[18:19], v[18:19], v[122:123], -v[20:21]
	v_mul_f64 v[40:41], v[14:15], v[132:133]
	s_waitcnt lgkmcnt(1)
	v_mul_f64 v[44:45], v[2:3], v[130:131]
	v_fmac_f64_e32 v[30:31], v[116:117], v[100:101]
	v_add_f64 v[26:27], v[26:27], v[30:31]
	v_fmac_f64_e32 v[32:33], v[184:185], v[104:105]
	v_add_f64 v[26:27], v[26:27], v[32:33]
	;; [unrolled: 2-line block ×3, first 2 shown]
	v_add_f64 v[26:27], v[26:27], v[36:37]
	v_fmac_f64_e32 v[40:41], v[16:17], v[134:135]
	v_add_f64 v[26:27], v[26:27], v[38:39]
	v_fmac_f64_e32 v[42:43], v[12:13], v[128:129]
	v_add_f64 v[26:27], v[26:27], v[40:41]
	v_add_f64 v[26:27], v[26:27], v[42:43]
	s_waitcnt lgkmcnt(0)
	v_mul_f64 v[32:33], v[6:7], v[138:139]
	v_fmac_f64_e32 v[44:45], v[4:5], v[146:147]
	v_add_f64 v[30:31], v[26:27], v[44:45]
	ds_read_b128 v[26:29], v1 offset:848
	v_fmac_f64_e32 v[32:33], v[8:9], v[140:141]
	v_add_f64 v[34:35], v[30:31], v[32:33]
	ds_read_b128 v[30:33], v1 offset:864
	v_fma_f64 v[254:255], v[114:115], v[100:101], -v[98:99]
	s_waitcnt lgkmcnt(1)
	v_mul_f64 v[36:37], v[26:27], v[148:149]
	v_fmac_f64_e32 v[36:37], v[28:29], v[164:165]
	v_add_f64 v[38:39], v[34:35], v[36:37]
	ds_read_b128 v[34:37], v1 offset:880
	s_waitcnt lgkmcnt(1)
	v_mul_f64 v[40:41], v[30:31], v[142:143]
	v_fmac_f64_e32 v[40:41], v[32:33], v[144:145]
	v_add_f64 v[42:43], v[38:39], v[40:41]
	ds_read_b128 v[38:41], v1 offset:896
	;; [unrolled: 5-line block ×4, first 2 shown]
	s_waitcnt vmcnt(58) lgkmcnt(1)
	v_mul_f64 v[52:53], v[42:43], v[176:177]
	s_waitcnt vmcnt(56)
	v_fmac_f64_e32 v[52:53], v[44:45], v[196:197]
	v_add_f64 v[54:55], v[50:51], v[52:53]
	ds_read_b128 v[50:53], v1 offset:944
	buffer_load_dword v178, off, s[0:3], 0 offset:600
	buffer_load_dword v241, off, s[0:3], 0 offset:588
	;; [unrolled: 1-line block ×8, first 2 shown]
	s_waitcnt lgkmcnt(1)
	v_mul_f64 v[56:57], v[46:47], v[154:155]
	v_fmac_f64_e32 v[56:57], v[48:49], v[156:157]
	v_add_f64 v[58:59], v[54:55], v[56:57]
	ds_read_b128 v[54:57], v1 offset:960
	buffer_load_dword v245, off, s[0:3], 0 offset:620
	buffer_load_dword v244, off, s[0:3], 0 offset:616
	buffer_load_dword v247, off, s[0:3], 0 offset:612
	buffer_load_dword v246, off, s[0:3], 0 offset:608
	s_waitcnt vmcnt(62) lgkmcnt(1)
	v_mul_f64 v[60:61], v[50:51], v[200:201]
	s_waitcnt vmcnt(60)
	v_fmac_f64_e32 v[60:61], v[52:53], v[204:205]
	v_add_f64 v[62:63], v[58:59], v[60:61]
	ds_read_b128 v[58:61], v1 offset:976
	s_waitcnt lgkmcnt(1)
	v_mul_f64 v[64:65], v[54:55], v[158:159]
	v_fmac_f64_e32 v[64:65], v[56:57], v[160:161]
	v_add_f64 v[66:67], v[62:63], v[64:65]
	ds_read_b128 v[62:65], v1 offset:992
	s_waitcnt vmcnt(54) lgkmcnt(1)
	v_mul_f64 v[68:69], v[58:59], v[208:209]
	s_waitcnt vmcnt(52)
	v_fmac_f64_e32 v[68:69], v[60:61], v[212:213]
	v_add_f64 v[70:71], v[66:67], v[68:69]
	ds_read_b128 v[66:69], v1 offset:1008
	s_waitcnt lgkmcnt(1)
	v_mul_f64 v[72:73], v[62:63], v[162:163]
	v_fmac_f64_e32 v[72:73], v[64:65], v[166:167]
	v_add_f64 v[74:75], v[70:71], v[72:73]
	ds_read_b128 v[70:73], v1 offset:1024
	s_waitcnt vmcnt(46) lgkmcnt(1)
	v_mul_f64 v[76:77], v[66:67], v[216:217]
	s_waitcnt vmcnt(44)
	v_fmac_f64_e32 v[76:77], v[68:69], v[220:221]
	v_add_f64 v[82:83], v[74:75], v[76:77]
	ds_read_b128 v[74:77], v1 offset:1040
	ds_read_b128 v[78:81], v1 offset:1056
	s_waitcnt lgkmcnt(2)
	v_mul_f64 v[84:85], v[70:71], v[170:171]
	v_fmac_f64_e32 v[84:85], v[72:73], v[174:175]
	v_add_f64 v[82:83], v[82:83], v[84:85]
	s_waitcnt vmcnt(38) lgkmcnt(1)
	v_mul_f64 v[84:85], v[74:75], v[224:225]
	s_waitcnt vmcnt(36)
	v_fmac_f64_e32 v[84:85], v[76:77], v[226:227]
	v_add_f64 v[82:83], v[82:83], v[84:85]
	s_waitcnt lgkmcnt(0)
	v_mul_f64 v[84:85], v[78:79], v[194:195]
	v_fmac_f64_e32 v[84:85], v[80:81], v[198:199]
	v_add_f64 v[186:187], v[82:83], v[84:85]
	ds_read_b128 v[82:85], v1 offset:1072
	ds_read_b128 v[86:89], v1 offset:1088
	;; [unrolled: 1-line block ×3, first 2 shown]
	v_fma_f64 v[184:185], v[182:183], v[104:105], -v[102:103]
	ds_read_b128 v[102:105], v1 offset:1168
	ds_read_b128 v[110:113], v1 offset:1184
	s_waitcnt vmcnt(30) lgkmcnt(4)
	v_mul_f64 v[94:95], v[82:83], v[228:229]
	s_waitcnt vmcnt(28)
	v_fmac_f64_e32 v[94:95], v[84:85], v[230:231]
	v_add_f64 v[94:95], v[186:187], v[94:95]
	v_fma_f64 v[186:187], v[106:107], v[90:91], -v[92:93]
	ds_read_b128 v[90:93], v1 offset:1104
	s_waitcnt lgkmcnt(4)
	v_mul_f64 v[96:97], v[86:87], v[202:203]
	v_fmac_f64_e32 v[96:97], v[88:89], v[206:207]
	v_add_f64 v[106:107], v[94:95], v[96:97]
	ds_read_b128 v[94:97], v1 offset:1120
	s_waitcnt vmcnt(22) lgkmcnt(1)
	v_mul_f64 v[108:109], v[90:91], v[232:233]
	s_waitcnt vmcnt(20)
	v_fmac_f64_e32 v[108:109], v[92:93], v[234:235]
	v_add_f64 v[106:107], v[106:107], v[108:109]
	v_mul_f64 v[24:25], v[24:25], v[124:125]
	s_waitcnt lgkmcnt(0)
	v_mul_f64 v[108:109], v[94:95], v[210:211]
	v_fmac_f64_e32 v[108:109], v[96:97], v[214:215]
	v_add_f64 v[114:115], v[106:107], v[108:109]
	ds_read_b128 v[106:109], v1 offset:1152
	s_waitcnt vmcnt(14)
	v_mul_f64 v[116:117], v[98:99], v[236:237]
	s_waitcnt vmcnt(12)
	v_fmac_f64_e32 v[116:117], v[100:101], v[238:239]
	v_add_f64 v[114:115], v[114:115], v[116:117]
	v_fma_f64 v[22:23], v[22:23], v[136:137], -v[24:25]
	s_waitcnt lgkmcnt(0)
	v_mul_f64 v[116:117], v[106:107], v[218:219]
	v_fmac_f64_e32 v[116:117], v[108:109], v[222:223]
	v_add_f64 v[114:115], v[114:115], v[116:117]
	v_mul_f64 v[16:17], v[16:17], v[132:133]
	v_fma_f64 v[14:15], v[14:15], v[134:135], -v[16:17]
	v_mul_f64 v[12:13], v[12:13], v[126:127]
	v_fma_f64 v[10:11], v[10:11], v[128:129], -v[12:13]
	;; [unrolled: 2-line block ×4, first 2 shown]
	s_waitcnt vmcnt(9)
	v_mul_f64 v[116:117], v[102:103], v[240:241]
	s_waitcnt vmcnt(7)
	v_fmac_f64_e32 v[116:117], v[104:105], v[242:243]
	v_add_f64 v[114:115], v[114:115], v[116:117]
	s_waitcnt vmcnt(5)
	v_mul_f64 v[116:117], v[110:111], v[178:179]
	s_waitcnt vmcnt(4)
	v_fmac_f64_e32 v[116:117], v[112:113], v[180:181]
	v_add_f64 v[182:183], v[114:115], v[116:117]
	ds_read_b128 v[114:117], v1 offset:1200
	s_waitcnt vmcnt(2) lgkmcnt(0)
	v_mul_f64 v[250:251], v[114:115], v[244:245]
	s_waitcnt vmcnt(0)
	v_fmac_f64_e32 v[250:251], v[116:117], v[246:247]
	v_add_f64 v[182:183], v[182:183], v[250:251]
	v_add_f64 v[250:251], v[252:253], 0
	;; [unrolled: 1-line block ×4, first 2 shown]
	buffer_load_dword v254, off, s[0:3], 0 offset:64
	buffer_load_dword v255, off, s[0:3], 0 offset:68
	;; [unrolled: 1-line block ×4, first 2 shown]
	v_add_f64 v[184:185], v[250:251], v[184:185]
	v_add_f64 v[184:185], v[184:185], v[248:249]
	;; [unrolled: 1-line block ×8, first 2 shown]
	v_mul_f64 v[4:5], v[28:29], v[148:149]
	v_fma_f64 v[4:5], v[26:27], v[164:165], -v[4:5]
	v_add_f64 v[2:3], v[2:3], v[4:5]
	v_mul_f64 v[4:5], v[32:33], v[142:143]
	v_fma_f64 v[4:5], v[30:31], v[144:145], -v[4:5]
	v_add_f64 v[2:3], v[2:3], v[4:5]
	;; [unrolled: 3-line block ×23, first 2 shown]
	s_waitcnt vmcnt(2)
	v_add_f64 v[2:3], v[254:255], -v[2:3]
	s_waitcnt vmcnt(0)
	v_add_f64 v[4:5], v[252:253], -v[182:183]
	buffer_store_dword v3, off, s[0:3], 0 offset:68
	buffer_store_dword v2, off, s[0:3], 0 offset:64
	;; [unrolled: 1-line block ×4, first 2 shown]
	s_and_saveexec_b64 s[4:5], vcc
	s_cbranch_execz .LBB101_237
; %bb.236:
	v_accvgpr_read_b32 v1, a110
	buffer_load_dword v2, v1, s[0:3], 0 offen
	buffer_load_dword v3, v1, s[0:3], 0 offen offset:4
	buffer_load_dword v4, v1, s[0:3], 0 offen offset:8
	;; [unrolled: 1-line block ×3, first 2 shown]
	v_mov_b32_e32 v1, 0
	buffer_store_dword v1, off, s[0:3], 0 offset:48
	buffer_store_dword v1, off, s[0:3], 0 offset:52
	;; [unrolled: 1-line block ×4, first 2 shown]
	s_waitcnt vmcnt(4)
	ds_write_b128 v120, v[2:5]
.LBB101_237:
	s_or_b64 exec, exec, s[4:5]
	s_waitcnt lgkmcnt(0)
	; wave barrier
	s_waitcnt lgkmcnt(0)
	buffer_load_dword v82, off, s[0:3], 0 offset:64
	buffer_load_dword v83, off, s[0:3], 0 offset:68
	;; [unrolled: 1-line block ×54, first 2 shown]
	v_mov_b32_e32 v1, 0
	ds_read_b128 v[90:93], v1 offset:656
	ds_read_b128 v[106:109], v1 offset:672
	;; [unrolled: 1-line block ×9, first 2 shown]
	buffer_load_dword v141, off, s[0:3], 0 offset:292
	buffer_load_dword v140, off, s[0:3], 0 offset:288
	;; [unrolled: 1-line block ×62, first 2 shown]
	v_cmp_lt_u32_e32 vcc, 1, v0
	s_waitcnt vmcnt(62) lgkmcnt(8)
	v_mul_f64 v[14:15], v[90:91], v[84:85]
	v_fmac_f64_e32 v[14:15], v[92:93], v[82:83]
	v_add_f64 v[14:15], v[14:15], 0
	v_mul_f64 v[84:85], v[92:93], v[84:85]
	s_waitcnt lgkmcnt(7)
	v_mul_f64 v[16:17], v[106:107], v[88:89]
	v_fmac_f64_e32 v[16:17], v[108:109], v[86:87]
	s_waitcnt lgkmcnt(6)
	v_mul_f64 v[18:19], v[114:115], v[94:95]
	v_add_f64 v[14:15], v[14:15], v[16:17]
	s_waitcnt lgkmcnt(4)
	v_mul_f64 v[22:23], v[248:249], v[102:103]
	v_fma_f64 v[186:187], v[90:91], v[82:83], -v[84:85]
	v_fmac_f64_e32 v[22:23], v[250:251], v[104:105]
	v_mul_f64 v[88:89], v[108:109], v[88:89]
	v_mul_f64 v[20:21], v[180:181], v[98:99]
	v_fma_f64 v[188:189], v[106:107], v[86:87], -v[88:89]
	s_waitcnt lgkmcnt(2)
	v_mul_f64 v[26:27], v[10:11], v[194:195]
	v_mul_f64 v[94:95], v[116:117], v[94:95]
	v_fmac_f64_e32 v[26:27], v[12:13], v[196:197]
	v_mul_f64 v[98:99], v[182:183], v[98:99]
	v_mul_f64 v[24:25], v[252:253], v[110:111]
	;; [unrolled: 1-line block ×3, first 2 shown]
	s_waitcnt lgkmcnt(1)
	v_mul_f64 v[28:29], v[6:7], v[198:199]
	v_mul_f64 v[110:111], v[254:255], v[110:111]
	v_fmac_f64_e32 v[18:19], v[116:117], v[96:97]
	v_add_f64 v[14:15], v[14:15], v[18:19]
	v_fmac_f64_e32 v[20:21], v[182:183], v[100:101]
	v_add_f64 v[14:15], v[14:15], v[20:21]
	v_fmac_f64_e32 v[24:25], v[254:255], v[112:113]
	v_add_f64 v[14:15], v[14:15], v[22:23]
	v_add_f64 v[14:15], v[14:15], v[24:25]
	v_fmac_f64_e32 v[28:29], v[8:9], v[202:203]
	v_add_f64 v[14:15], v[14:15], v[26:27]
	v_add_f64 v[18:19], v[14:15], v[28:29]
	ds_read_b128 v[14:17], v1 offset:800
	s_waitcnt lgkmcnt(1)
	v_mul_f64 v[20:21], v[2:3], v[200:201]
	v_fmac_f64_e32 v[20:21], v[4:5], v[118:119]
	v_add_f64 v[22:23], v[18:19], v[20:21]
	ds_read_b128 v[18:21], v1 offset:816
	s_waitcnt lgkmcnt(1)
	v_mul_f64 v[24:25], v[14:15], v[126:127]
	v_fmac_f64_e32 v[24:25], v[16:17], v[128:129]
	;; [unrolled: 5-line block ×5, first 2 shown]
	v_add_f64 v[38:39], v[34:35], v[36:37]
	ds_read_b128 v[34:37], v1 offset:880
	s_waitcnt vmcnt(58) lgkmcnt(1)
	v_mul_f64 v[40:41], v[30:31], v[154:155]
	s_waitcnt vmcnt(56)
	v_fmac_f64_e32 v[40:41], v[32:33], v[158:159]
	v_add_f64 v[42:43], v[38:39], v[40:41]
	ds_read_b128 v[38:41], v1 offset:896
	s_waitcnt lgkmcnt(1)
	v_mul_f64 v[44:45], v[34:35], v[134:135]
	v_fmac_f64_e32 v[44:45], v[36:37], v[140:141]
	v_add_f64 v[46:47], v[42:43], v[44:45]
	ds_read_b128 v[42:45], v1 offset:912
	s_waitcnt vmcnt(50) lgkmcnt(1)
	v_mul_f64 v[48:49], v[38:39], v[162:163]
	s_waitcnt vmcnt(48)
	v_fmac_f64_e32 v[48:49], v[40:41], v[166:167]
	v_add_f64 v[50:51], v[46:47], v[48:49]
	ds_read_b128 v[46:49], v1 offset:928
	buffer_load_dword v229, off, s[0:3], 0 offset:540
	buffer_load_dword v228, off, s[0:3], 0 offset:536
	;; [unrolled: 1-line block ×8, first 2 shown]
	s_waitcnt lgkmcnt(1)
	v_mul_f64 v[52:53], v[42:43], v[142:143]
	v_fmac_f64_e32 v[52:53], v[44:45], v[144:145]
	v_add_f64 v[54:55], v[50:51], v[52:53]
	ds_read_b128 v[50:53], v1 offset:944
	s_waitcnt vmcnt(50) lgkmcnt(1)
	v_mul_f64 v[56:57], v[46:47], v[170:171]
	s_waitcnt vmcnt(48)
	v_fmac_f64_e32 v[56:57], v[48:49], v[204:205]
	buffer_load_dword v233, off, s[0:3], 0 offset:588
	buffer_load_dword v239, off, s[0:3], 0 offset:572
	;; [unrolled: 1-line block ×12, first 2 shown]
	v_add_f64 v[58:59], v[54:55], v[56:57]
	ds_read_b128 v[54:57], v1 offset:960
	s_waitcnt lgkmcnt(1)
	v_mul_f64 v[60:61], v[50:51], v[146:147]
	v_fmac_f64_e32 v[60:61], v[52:53], v[148:149]
	v_add_f64 v[62:63], v[58:59], v[60:61]
	ds_read_b128 v[58:61], v1 offset:976
	s_waitcnt vmcnt(54) lgkmcnt(1)
	v_mul_f64 v[64:65], v[54:55], v[208:209]
	s_waitcnt vmcnt(52)
	v_fmac_f64_e32 v[64:65], v[56:57], v[212:213]
	v_add_f64 v[66:67], v[62:63], v[64:65]
	ds_read_b128 v[62:65], v1 offset:992
	s_waitcnt lgkmcnt(1)
	v_mul_f64 v[68:69], v[58:59], v[150:151]
	v_fmac_f64_e32 v[68:69], v[60:61], v[152:153]
	v_add_f64 v[70:71], v[66:67], v[68:69]
	ds_read_b128 v[66:69], v1 offset:1008
	s_waitcnt vmcnt(46) lgkmcnt(1)
	v_mul_f64 v[72:73], v[62:63], v[176:177]
	s_waitcnt vmcnt(44)
	v_fmac_f64_e32 v[72:73], v[64:65], v[214:215]
	v_add_f64 v[78:79], v[70:71], v[72:73]
	ds_read_b128 v[70:73], v1 offset:1024
	ds_read_b128 v[74:77], v1 offset:1040
	s_waitcnt lgkmcnt(2)
	v_mul_f64 v[80:81], v[66:67], v[156:157]
	v_fmac_f64_e32 v[80:81], v[68:69], v[160:161]
	v_add_f64 v[78:79], v[78:79], v[80:81]
	s_waitcnt vmcnt(38) lgkmcnt(1)
	v_mul_f64 v[80:81], v[70:71], v[216:217]
	s_waitcnt vmcnt(36)
	v_fmac_f64_e32 v[80:81], v[72:73], v[218:219]
	v_add_f64 v[78:79], v[78:79], v[80:81]
	s_waitcnt lgkmcnt(0)
	v_mul_f64 v[80:81], v[74:75], v[164:165]
	v_fmac_f64_e32 v[80:81], v[76:77], v[168:169]
	v_add_f64 v[178:179], v[78:79], v[80:81]
	ds_read_b128 v[78:81], v1 offset:1056
	ds_read_b128 v[82:85], v1 offset:1072
	;; [unrolled: 1-line block ×3, first 2 shown]
	v_fma_f64 v[190:191], v[114:115], v[96:97], -v[94:95]
	ds_read_b128 v[94:97], v1 offset:1120
	s_waitcnt vmcnt(30) lgkmcnt(3)
	v_mul_f64 v[90:91], v[78:79], v[220:221]
	s_waitcnt vmcnt(28)
	v_fmac_f64_e32 v[90:91], v[80:81], v[222:223]
	s_waitcnt lgkmcnt(2)
	v_mul_f64 v[92:93], v[82:83], v[172:173]
	v_add_f64 v[90:91], v[178:179], v[90:91]
	v_fmac_f64_e32 v[92:93], v[84:85], v[206:207]
	v_add_f64 v[90:91], v[90:91], v[92:93]
	s_waitcnt vmcnt(22) lgkmcnt(1)
	v_mul_f64 v[92:93], v[86:87], v[224:225]
	s_waitcnt vmcnt(20)
	v_fmac_f64_e32 v[92:93], v[88:89], v[226:227]
	v_add_f64 v[106:107], v[90:91], v[92:93]
	ds_read_b128 v[90:93], v1 offset:1104
	v_fma_f64 v[192:193], v[180:181], v[100:101], -v[98:99]
	ds_read_b128 v[98:101], v1 offset:1136
	buffer_load_dword v178, off, s[0:3], 0 offset:616
	v_fma_f64 v[248:249], v[248:249], v[104:105], -v[102:103]
	s_waitcnt lgkmcnt(1)
	v_mul_f64 v[108:109], v[90:91], v[210:211]
	v_fmac_f64_e32 v[108:109], v[92:93], v[174:175]
	v_add_f64 v[106:107], v[106:107], v[108:109]
	ds_read_b128 v[102:105], v1 offset:1152
	v_fma_f64 v[184:185], v[252:253], v[112:113], -v[110:111]
	ds_read_b128 v[110:113], v1 offset:1184
	v_add_f64 v[186:187], v[186:187], 0
	v_add_f64 v[186:187], v[186:187], v[188:189]
	;; [unrolled: 1-line block ×5, first 2 shown]
	v_mul_f64 v[12:13], v[12:13], v[194:195]
	v_add_f64 v[184:185], v[252:253], v[184:185]
	v_fma_f64 v[10:11], v[10:11], v[196:197], -v[12:13]
	v_mul_f64 v[8:9], v[8:9], v[198:199]
	v_add_f64 v[10:11], v[184:185], v[10:11]
	v_fma_f64 v[6:7], v[6:7], v[202:203], -v[8:9]
	;; [unrolled: 3-line block ×3, first 2 shown]
	v_mul_f64 v[4:5], v[16:17], v[126:127]
	v_add_f64 v[2:3], v[6:7], v[2:3]
	s_waitcnt vmcnt(19)
	v_mul_f64 v[108:109], v[94:95], v[228:229]
	v_fma_f64 v[4:5], v[14:15], v[128:129], -v[4:5]
	s_waitcnt vmcnt(17)
	v_fmac_f64_e32 v[108:109], v[96:97], v[230:231]
	v_add_f64 v[106:107], v[106:107], v[108:109]
	s_waitcnt vmcnt(15) lgkmcnt(2)
	v_mul_f64 v[108:109], v[98:99], v[234:235]
	s_waitcnt vmcnt(13)
	v_fmac_f64_e32 v[108:109], v[100:101], v[236:237]
	v_add_f64 v[114:115], v[106:107], v[108:109]
	ds_read_b128 v[106:109], v1 offset:1168
	buffer_load_dword v182, off, s[0:3], 0 offset:608
	buffer_load_dword v179, off, s[0:3], 0 offset:620
	;; [unrolled: 1-line block ×3, first 2 shown]
	s_waitcnt vmcnt(13) lgkmcnt(2)
	v_mul_f64 v[116:117], v[102:103], v[238:239]
	s_waitcnt vmcnt(11)
	v_fmac_f64_e32 v[116:117], v[104:105], v[244:245]
	v_add_f64 v[114:115], v[114:115], v[116:117]
	s_waitcnt vmcnt(10) lgkmcnt(0)
	v_mul_f64 v[116:117], v[106:107], v[232:233]
	s_waitcnt vmcnt(8)
	v_fmac_f64_e32 v[116:117], v[108:109], v[242:243]
	v_add_f64 v[114:115], v[114:115], v[116:117]
	s_waitcnt vmcnt(6)
	v_mul_f64 v[116:117], v[110:111], v[240:241]
	s_waitcnt vmcnt(4)
	v_fmac_f64_e32 v[116:117], v[112:113], v[246:247]
	v_add_f64 v[180:181], v[114:115], v[116:117]
	ds_read_b128 v[114:117], v1 offset:1200
	v_add_f64 v[2:3], v[2:3], v[4:5]
	v_mul_f64 v[4:5], v[20:21], v[122:123]
	v_fma_f64 v[4:5], v[18:19], v[124:125], -v[4:5]
	v_add_f64 v[2:3], v[2:3], v[4:5]
	v_mul_f64 v[4:5], v[24:25], v[136:137]
	v_fma_f64 v[4:5], v[22:23], v[138:139], -v[4:5]
	;; [unrolled: 3-line block ×22, first 2 shown]
	v_add_f64 v[2:3], v[2:3], v[4:5]
	v_mul_f64 v[4:5], v[108:109], v[232:233]
	s_waitcnt vmcnt(1) lgkmcnt(0)
	v_mul_f64 v[250:251], v[114:115], v[178:179]
	s_waitcnt vmcnt(0)
	v_fmac_f64_e32 v[250:251], v[116:117], v[182:183]
	v_add_f64 v[180:181], v[180:181], v[250:251]
	buffer_load_dword v250, off, s[0:3], 0 offset:48
	buffer_load_dword v251, off, s[0:3], 0 offset:52
	;; [unrolled: 1-line block ×4, first 2 shown]
	v_fma_f64 v[4:5], v[106:107], v[242:243], -v[4:5]
	v_add_f64 v[2:3], v[2:3], v[4:5]
	v_mul_f64 v[4:5], v[112:113], v[240:241]
	v_fma_f64 v[4:5], v[110:111], v[246:247], -v[4:5]
	v_add_f64 v[2:3], v[2:3], v[4:5]
	v_mul_f64 v[4:5], v[116:117], v[178:179]
	v_fma_f64 v[4:5], v[114:115], v[182:183], -v[4:5]
	v_add_f64 v[2:3], v[2:3], v[4:5]
	s_waitcnt vmcnt(2)
	v_add_f64 v[2:3], v[250:251], -v[2:3]
	s_waitcnt vmcnt(0)
	v_add_f64 v[4:5], v[248:249], -v[180:181]
	buffer_store_dword v3, off, s[0:3], 0 offset:52
	buffer_store_dword v2, off, s[0:3], 0 offset:48
	;; [unrolled: 1-line block ×4, first 2 shown]
	s_and_saveexec_b64 s[4:5], vcc
	s_cbranch_execz .LBB101_239
; %bb.238:
	v_accvgpr_read_b32 v5, a111
	buffer_load_dword v2, v5, s[0:3], 0 offen
	buffer_load_dword v3, v5, s[0:3], 0 offen offset:4
	buffer_load_dword v4, v5, s[0:3], 0 offen offset:8
	s_nop 0
	buffer_load_dword v5, v5, s[0:3], 0 offen offset:12
	s_nop 0
	buffer_store_dword v1, off, s[0:3], 0 offset:32
	buffer_store_dword v1, off, s[0:3], 0 offset:36
	;; [unrolled: 1-line block ×4, first 2 shown]
	s_waitcnt vmcnt(4)
	ds_write_b128 v120, v[2:5]
.LBB101_239:
	s_or_b64 exec, exec, s[4:5]
	s_waitcnt lgkmcnt(0)
	; wave barrier
	s_waitcnt lgkmcnt(0)
	buffer_load_dword v84, off, s[0:3], 0 offset:48
	buffer_load_dword v85, off, s[0:3], 0 offset:52
	;; [unrolled: 1-line block ×34, first 2 shown]
	ds_read_b128 v[74:77], v1 offset:640
	ds_read_b128 v[78:81], v1 offset:656
	;; [unrolled: 1-line block ×8, first 2 shown]
	buffer_load_dword v201, off, s[0:3], 0 offset:164
	buffer_load_dword v200, off, s[0:3], 0 offset:160
	ds_read_b128 v[6:9], v1 offset:768
	buffer_load_dword v119, off, s[0:3], 0 offset:220
	buffer_load_dword v118, off, s[0:3], 0 offset:216
	;; [unrolled: 1-line block ×80, first 2 shown]
	v_cmp_ne_u32_e32 vcc, 0, v0
	s_waitcnt vmcnt(62) lgkmcnt(8)
	v_mul_f64 v[10:11], v[74:75], v[106:107]
	v_fmac_f64_e32 v[10:11], v[76:77], v[84:85]
	v_add_f64 v[10:11], v[10:11], 0
	v_mul_f64 v[76:77], v[76:77], v[106:107]
	s_waitcnt lgkmcnt(7)
	v_mul_f64 v[12:13], v[78:79], v[96:97]
	v_fmac_f64_e32 v[12:13], v[80:81], v[82:83]
	s_waitcnt lgkmcnt(6)
	v_mul_f64 v[14:15], v[86:87], v[94:95]
	v_add_f64 v[10:11], v[10:11], v[12:13]
	s_waitcnt lgkmcnt(4)
	v_mul_f64 v[18:19], v[98:99], v[108:109]
	v_fma_f64 v[188:189], v[74:75], v[84:85], -v[76:77]
	v_fmac_f64_e32 v[18:19], v[100:101], v[114:115]
	v_mul_f64 v[80:81], v[80:81], v[96:97]
	v_mul_f64 v[16:17], v[90:91], v[116:117]
	v_fma_f64 v[190:191], v[78:79], v[82:83], -v[80:81]
	s_waitcnt lgkmcnt(2)
	v_mul_f64 v[22:23], v[110:111], v[178:179]
	v_mul_f64 v[100:101], v[100:101], v[108:109]
	;; [unrolled: 1-line block ×3, first 2 shown]
	s_waitcnt lgkmcnt(1)
	v_mul_f64 v[24:25], v[2:3], v[194:195]
	v_fmac_f64_e32 v[14:15], v[88:89], v[250:251]
	v_add_f64 v[10:11], v[10:11], v[14:15]
	v_fmac_f64_e32 v[16:17], v[92:93], v[248:249]
	v_add_f64 v[10:11], v[10:11], v[16:17]
	v_fmac_f64_e32 v[20:21], v[104:105], v[184:185]
	v_add_f64 v[10:11], v[10:11], v[18:19]
	v_fmac_f64_e32 v[22:23], v[112:113], v[180:181]
	v_add_f64 v[10:11], v[10:11], v[20:21]
	v_add_f64 v[10:11], v[10:11], v[22:23]
	s_waitcnt lgkmcnt(0)
	v_mul_f64 v[16:17], v[6:7], v[196:197]
	v_fmac_f64_e32 v[16:17], v[8:9], v[198:199]
	v_fmac_f64_e32 v[24:25], v[4:5], v[200:201]
	v_add_f64 v[14:15], v[10:11], v[24:25]
	ds_read_b128 v[10:13], v1 offset:784
	v_add_f64 v[18:19], v[14:15], v[16:17]
	ds_read_b128 v[14:17], v1 offset:800
	v_mul_f64 v[88:89], v[88:89], v[94:95]
	v_mul_f64 v[92:93], v[92:93], v[116:117]
	s_waitcnt lgkmcnt(1)
	v_mul_f64 v[20:21], v[10:11], v[124:125]
	v_fmac_f64_e32 v[20:21], v[12:13], v[126:127]
	s_waitcnt lgkmcnt(0)
	v_mul_f64 v[24:25], v[14:15], v[118:119]
	v_add_f64 v[22:23], v[18:19], v[20:21]
	ds_read_b128 v[18:21], v1 offset:816
	v_fmac_f64_e32 v[24:25], v[16:17], v[122:123]
	v_add_f64 v[26:27], v[22:23], v[24:25]
	ds_read_b128 v[22:25], v1 offset:832
	v_fma_f64 v[192:193], v[90:91], v[248:249], -v[92:93]
	s_waitcnt lgkmcnt(1)
	v_mul_f64 v[28:29], v[18:19], v[136:137]
	v_fmac_f64_e32 v[28:29], v[20:21], v[138:139]
	v_add_f64 v[30:31], v[26:27], v[28:29]
	s_waitcnt lgkmcnt(0)
	v_mul_f64 v[32:33], v[22:23], v[128:129]
	ds_read_b128 v[26:29], v1 offset:848
	v_fmac_f64_e32 v[32:33], v[24:25], v[130:131]
	v_add_f64 v[34:35], v[30:31], v[32:33]
	ds_read_b128 v[30:33], v1 offset:864
	v_fma_f64 v[248:249], v[98:99], v[114:115], -v[100:101]
	s_waitcnt vmcnt(58) lgkmcnt(1)
	v_mul_f64 v[36:37], v[26:27], v[152:153]
	s_waitcnt vmcnt(56)
	v_fmac_f64_e32 v[36:37], v[28:29], v[156:157]
	v_add_f64 v[38:39], v[34:35], v[36:37]
	s_waitcnt lgkmcnt(0)
	v_mul_f64 v[40:41], v[30:31], v[132:133]
	ds_read_b128 v[34:37], v1 offset:880
	v_fmac_f64_e32 v[40:41], v[32:33], v[134:135]
	v_add_f64 v[42:43], v[38:39], v[40:41]
	ds_read_b128 v[38:41], v1 offset:896
	v_mul_f64 v[104:105], v[104:105], v[182:183]
	s_waitcnt vmcnt(50) lgkmcnt(1)
	v_mul_f64 v[44:45], v[34:35], v[160:161]
	s_waitcnt vmcnt(48)
	v_fmac_f64_e32 v[44:45], v[36:37], v[164:165]
	v_add_f64 v[46:47], v[42:43], v[44:45]
	s_waitcnt lgkmcnt(0)
	v_mul_f64 v[48:49], v[38:39], v[140:141]
	v_fmac_f64_e32 v[48:49], v[40:41], v[142:143]
	ds_read_b128 v[42:45], v1 offset:912
	v_add_f64 v[50:51], v[46:47], v[48:49]
	ds_read_b128 v[46:49], v1 offset:928
	buffer_load_dword v169, off, s[0:3], 0 offset:540
	buffer_load_dword v171, off, s[0:3], 0 offset:524
	;; [unrolled: 1-line block ×12, first 2 shown]
	v_mul_f64 v[112:113], v[112:113], v[178:179]
	s_waitcnt vmcnt(54) lgkmcnt(1)
	v_mul_f64 v[52:53], v[42:43], v[202:203]
	s_waitcnt vmcnt(52)
	v_fmac_f64_e32 v[52:53], v[44:45], v[206:207]
	v_add_f64 v[54:55], v[50:51], v[52:53]
	ds_read_b128 v[50:53], v1 offset:944
	s_waitcnt lgkmcnt(1)
	v_mul_f64 v[56:57], v[46:47], v[144:145]
	v_fmac_f64_e32 v[56:57], v[48:49], v[146:147]
	buffer_load_dword v239, off, s[0:3], 0 offset:572
	buffer_load_dword v238, off, s[0:3], 0 offset:568
	;; [unrolled: 1-line block ×12, first 2 shown]
	v_add_f64 v[58:59], v[54:55], v[56:57]
	ds_read_b128 v[54:57], v1 offset:960
	s_waitcnt vmcnt(58) lgkmcnt(1)
	v_mul_f64 v[60:61], v[50:51], v[210:211]
	s_waitcnt vmcnt(56)
	v_fmac_f64_e32 v[60:61], v[52:53], v[214:215]
	v_add_f64 v[62:63], v[58:59], v[60:61]
	ds_read_b128 v[58:61], v1 offset:976
	s_waitcnt lgkmcnt(1)
	v_mul_f64 v[64:65], v[54:55], v[148:149]
	v_fmac_f64_e32 v[64:65], v[56:57], v[150:151]
	v_add_f64 v[70:71], v[62:63], v[64:65]
	ds_read_b128 v[62:65], v1 offset:992
	ds_read_b128 v[66:69], v1 offset:1008
	s_waitcnt vmcnt(50) lgkmcnt(2)
	v_mul_f64 v[72:73], v[58:59], v[218:219]
	s_waitcnt vmcnt(48)
	v_fmac_f64_e32 v[72:73], v[60:61], v[220:221]
	v_add_f64 v[70:71], v[70:71], v[72:73]
	s_waitcnt lgkmcnt(1)
	v_mul_f64 v[72:73], v[62:63], v[154:155]
	v_fmac_f64_e32 v[72:73], v[64:65], v[158:159]
	v_add_f64 v[70:71], v[70:71], v[72:73]
	s_waitcnt vmcnt(42) lgkmcnt(0)
	v_mul_f64 v[72:73], v[66:67], v[222:223]
	s_waitcnt vmcnt(40)
	v_fmac_f64_e32 v[72:73], v[68:69], v[224:225]
	v_add_f64 v[186:187], v[70:71], v[72:73]
	ds_read_b128 v[70:73], v1 offset:1024
	ds_read_b128 v[74:77], v1 offset:1040
	;; [unrolled: 1-line block ×5, first 2 shown]
	s_waitcnt lgkmcnt(4)
	v_mul_f64 v[84:85], v[70:71], v[162:163]
	v_fmac_f64_e32 v[84:85], v[72:73], v[166:167]
	v_add_f64 v[82:83], v[186:187], v[84:85]
	s_waitcnt vmcnt(34) lgkmcnt(3)
	v_mul_f64 v[84:85], v[74:75], v[226:227]
	s_waitcnt vmcnt(32)
	v_fmac_f64_e32 v[84:85], v[76:77], v[228:229]
	v_add_f64 v[82:83], v[82:83], v[84:85]
	v_fma_f64 v[186:187], v[86:87], v[250:251], -v[88:89]
	ds_read_b128 v[86:89], v1 offset:1088
	s_waitcnt lgkmcnt(3)
	v_mul_f64 v[84:85], v[78:79], v[204:205]
	v_fmac_f64_e32 v[84:85], v[80:81], v[208:209]
	v_add_f64 v[96:97], v[82:83], v[84:85]
	ds_read_b128 v[82:85], v1 offset:1072
	v_fma_f64 v[252:253], v[102:103], v[184:185], -v[104:105]
	v_fma_f64 v[254:255], v[110:111], v[180:181], -v[112:113]
	ds_read_b128 v[110:113], v1 offset:1184
	v_mul_f64 v[4:5], v[4:5], v[194:195]
	s_waitcnt vmcnt(26) lgkmcnt(1)
	v_mul_f64 v[94:95], v[82:83], v[230:231]
	s_waitcnt vmcnt(24)
	v_fmac_f64_e32 v[94:95], v[84:85], v[232:233]
	v_add_f64 v[94:95], v[96:97], v[94:95]
	v_mul_f64 v[96:97], v[86:87], v[212:213]
	v_fmac_f64_e32 v[96:97], v[88:89], v[216:217]
	v_add_f64 v[106:107], v[94:95], v[96:97]
	ds_read_b128 v[94:97], v1 offset:1120
	v_fma_f64 v[2:3], v[2:3], v[200:201], -v[4:5]
	v_mul_f64 v[4:5], v[8:9], v[196:197]
	v_fma_f64 v[4:5], v[6:7], v[198:199], -v[4:5]
	ds_read_b128 v[102:105], v1 offset:1168
	s_waitcnt vmcnt(21)
	v_mul_f64 v[108:109], v[90:91], v[170:171]
	s_waitcnt vmcnt(19)
	v_fmac_f64_e32 v[108:109], v[92:93], v[176:177]
	v_add_f64 v[106:107], v[106:107], v[108:109]
	s_waitcnt vmcnt(18) lgkmcnt(1)
	v_mul_f64 v[108:109], v[94:95], v[168:169]
	s_waitcnt vmcnt(16)
	v_fmac_f64_e32 v[108:109], v[96:97], v[174:175]
	v_add_f64 v[114:115], v[106:107], v[108:109]
	ds_read_b128 v[106:109], v1 offset:1152
	buffer_load_dword v181, off, s[0:3], 0 offset:620
	buffer_load_dword v180, off, s[0:3], 0 offset:616
	;; [unrolled: 1-line block ×4, first 2 shown]
	s_waitcnt vmcnt(18)
	v_mul_f64 v[116:117], v[98:99], v[172:173]
	s_waitcnt vmcnt(16)
	v_fmac_f64_e32 v[116:117], v[100:101], v[234:235]
	v_add_f64 v[114:115], v[114:115], v[116:117]
	s_waitcnt vmcnt(14) lgkmcnt(0)
	v_mul_f64 v[116:117], v[106:107], v[238:239]
	s_waitcnt vmcnt(12)
	v_fmac_f64_e32 v[116:117], v[108:109], v[240:241]
	v_add_f64 v[114:115], v[114:115], v[116:117]
	s_waitcnt vmcnt(9)
	v_mul_f64 v[116:117], v[102:103], v[244:245]
	s_waitcnt vmcnt(7)
	v_fmac_f64_e32 v[116:117], v[104:105], v[246:247]
	v_add_f64 v[114:115], v[114:115], v[116:117]
	s_waitcnt vmcnt(5)
	v_mul_f64 v[116:117], v[110:111], v[236:237]
	s_waitcnt vmcnt(4)
	v_fmac_f64_e32 v[116:117], v[112:113], v[242:243]
	v_add_f64 v[178:179], v[114:115], v[116:117]
	ds_read_b128 v[114:117], v1 offset:1200
	s_waitcnt vmcnt(2) lgkmcnt(0)
	v_mul_f64 v[184:185], v[114:115], v[180:181]
	s_waitcnt vmcnt(0)
	v_fmac_f64_e32 v[184:185], v[116:117], v[182:183]
	v_add_f64 v[178:179], v[178:179], v[184:185]
	v_add_f64 v[184:185], v[188:189], 0
	;; [unrolled: 1-line block ×6, first 2 shown]
	buffer_load_dword v250, off, s[0:3], 0 offset:32
	buffer_load_dword v251, off, s[0:3], 0 offset:36
	;; [unrolled: 1-line block ×4, first 2 shown]
	v_add_f64 v[184:185], v[184:185], v[252:253]
	v_add_f64 v[184:185], v[184:185], v[254:255]
	;; [unrolled: 1-line block ×4, first 2 shown]
	v_mul_f64 v[4:5], v[12:13], v[124:125]
	v_fma_f64 v[4:5], v[10:11], v[126:127], -v[4:5]
	v_add_f64 v[2:3], v[2:3], v[4:5]
	v_mul_f64 v[4:5], v[16:17], v[118:119]
	v_fma_f64 v[4:5], v[14:15], v[122:123], -v[4:5]
	v_add_f64 v[2:3], v[2:3], v[4:5]
	v_mul_f64 v[4:5], v[20:21], v[136:137]
	v_fma_f64 v[4:5], v[18:19], v[138:139], -v[4:5]
	v_add_f64 v[2:3], v[2:3], v[4:5]
	v_mul_f64 v[4:5], v[24:25], v[128:129]
	v_fma_f64 v[4:5], v[22:23], v[130:131], -v[4:5]
	v_add_f64 v[2:3], v[2:3], v[4:5]
	v_mul_f64 v[4:5], v[28:29], v[152:153]
	v_fma_f64 v[4:5], v[26:27], v[156:157], -v[4:5]
	v_add_f64 v[2:3], v[2:3], v[4:5]
	v_mul_f64 v[4:5], v[32:33], v[132:133]
	v_fma_f64 v[4:5], v[30:31], v[134:135], -v[4:5]
	v_add_f64 v[2:3], v[2:3], v[4:5]
	v_mul_f64 v[4:5], v[36:37], v[160:161]
	v_fma_f64 v[4:5], v[34:35], v[164:165], -v[4:5]
	v_add_f64 v[2:3], v[2:3], v[4:5]
	v_mul_f64 v[4:5], v[40:41], v[140:141]
	v_fma_f64 v[4:5], v[38:39], v[142:143], -v[4:5]
	v_add_f64 v[2:3], v[2:3], v[4:5]
	v_mul_f64 v[4:5], v[44:45], v[202:203]
	v_fma_f64 v[4:5], v[42:43], v[206:207], -v[4:5]
	v_add_f64 v[2:3], v[2:3], v[4:5]
	v_mul_f64 v[4:5], v[48:49], v[144:145]
	v_fma_f64 v[4:5], v[46:47], v[146:147], -v[4:5]
	v_add_f64 v[2:3], v[2:3], v[4:5]
	v_mul_f64 v[4:5], v[52:53], v[210:211]
	v_fma_f64 v[4:5], v[50:51], v[214:215], -v[4:5]
	v_add_f64 v[2:3], v[2:3], v[4:5]
	v_mul_f64 v[4:5], v[56:57], v[148:149]
	v_fma_f64 v[4:5], v[54:55], v[150:151], -v[4:5]
	v_add_f64 v[2:3], v[2:3], v[4:5]
	v_mul_f64 v[4:5], v[60:61], v[218:219]
	v_fma_f64 v[4:5], v[58:59], v[220:221], -v[4:5]
	v_add_f64 v[2:3], v[2:3], v[4:5]
	v_mul_f64 v[4:5], v[64:65], v[154:155]
	v_fma_f64 v[4:5], v[62:63], v[158:159], -v[4:5]
	v_add_f64 v[2:3], v[2:3], v[4:5]
	v_mul_f64 v[4:5], v[68:69], v[222:223]
	v_fma_f64 v[4:5], v[66:67], v[224:225], -v[4:5]
	v_add_f64 v[2:3], v[2:3], v[4:5]
	v_mul_f64 v[4:5], v[72:73], v[162:163]
	v_fma_f64 v[4:5], v[70:71], v[166:167], -v[4:5]
	v_add_f64 v[2:3], v[2:3], v[4:5]
	v_mul_f64 v[4:5], v[76:77], v[226:227]
	v_fma_f64 v[4:5], v[74:75], v[228:229], -v[4:5]
	v_add_f64 v[2:3], v[2:3], v[4:5]
	v_mul_f64 v[4:5], v[80:81], v[204:205]
	v_fma_f64 v[4:5], v[78:79], v[208:209], -v[4:5]
	v_add_f64 v[2:3], v[2:3], v[4:5]
	v_mul_f64 v[4:5], v[84:85], v[230:231]
	v_fma_f64 v[4:5], v[82:83], v[232:233], -v[4:5]
	v_add_f64 v[2:3], v[2:3], v[4:5]
	v_mul_f64 v[4:5], v[88:89], v[212:213]
	v_fma_f64 v[4:5], v[86:87], v[216:217], -v[4:5]
	v_add_f64 v[2:3], v[2:3], v[4:5]
	v_mul_f64 v[4:5], v[92:93], v[170:171]
	v_fma_f64 v[4:5], v[90:91], v[176:177], -v[4:5]
	v_add_f64 v[2:3], v[2:3], v[4:5]
	v_mul_f64 v[4:5], v[96:97], v[168:169]
	v_fma_f64 v[4:5], v[94:95], v[174:175], -v[4:5]
	v_add_f64 v[2:3], v[2:3], v[4:5]
	v_mul_f64 v[4:5], v[100:101], v[172:173]
	v_fma_f64 v[4:5], v[98:99], v[234:235], -v[4:5]
	v_add_f64 v[2:3], v[2:3], v[4:5]
	v_mul_f64 v[4:5], v[108:109], v[238:239]
	v_fma_f64 v[4:5], v[106:107], v[240:241], -v[4:5]
	v_add_f64 v[2:3], v[2:3], v[4:5]
	v_mul_f64 v[4:5], v[104:105], v[244:245]
	v_fma_f64 v[4:5], v[102:103], v[246:247], -v[4:5]
	v_add_f64 v[2:3], v[2:3], v[4:5]
	v_mul_f64 v[4:5], v[112:113], v[236:237]
	v_fma_f64 v[4:5], v[110:111], v[242:243], -v[4:5]
	v_add_f64 v[2:3], v[2:3], v[4:5]
	v_mul_f64 v[4:5], v[116:117], v[180:181]
	v_fma_f64 v[4:5], v[114:115], v[182:183], -v[4:5]
	v_add_f64 v[2:3], v[2:3], v[4:5]
	s_waitcnt vmcnt(2)
	v_add_f64 v[2:3], v[250:251], -v[2:3]
	s_waitcnt vmcnt(0)
	v_add_f64 v[4:5], v[248:249], -v[178:179]
	buffer_store_dword v3, off, s[0:3], 0 offset:36
	buffer_store_dword v2, off, s[0:3], 0 offset:32
	;; [unrolled: 1-line block ×4, first 2 shown]
	s_and_saveexec_b64 s[4:5], vcc
	s_cbranch_execz .LBB101_241
; %bb.240:
	buffer_load_dword v0, off, s[0:3], 0 offset:16
	buffer_load_dword v1, off, s[0:3], 0 offset:20
	;; [unrolled: 1-line block ×4, first 2 shown]
	v_mov_b32_e32 v4, 0
	buffer_store_dword v4, off, s[0:3], 0 offset:16
	buffer_store_dword v4, off, s[0:3], 0 offset:20
	;; [unrolled: 1-line block ×4, first 2 shown]
	s_waitcnt vmcnt(4)
	ds_write_b128 v120, v[0:3]
.LBB101_241:
	s_or_b64 exec, exec, s[4:5]
	s_waitcnt lgkmcnt(0)
	; wave barrier
	s_waitcnt lgkmcnt(0)
	buffer_load_dword v64, off, s[0:3], 0 offset:32
	buffer_load_dword v65, off, s[0:3], 0 offset:36
	;; [unrolled: 1-line block ×55, first 2 shown]
	v_mov_b32_e32 v120, 0
	ds_read_b128 v[68:71], v120 offset:624
	ds_read_b128 v[80:83], v120 offset:640
	;; [unrolled: 1-line block ×9, first 2 shown]
	buffer_load_dword v210, off, s[0:3], 0 offset:256
	buffer_load_dword v229, off, s[0:3], 0 offset:252
	;; [unrolled: 1-line block ×61, first 2 shown]
	s_and_b64 vcc, exec, s[16:17]
	s_waitcnt vmcnt(62) lgkmcnt(8)
	v_mul_f64 v[4:5], v[68:69], v[66:67]
	v_fmac_f64_e32 v[4:5], v[70:71], v[64:65]
	v_add_f64 v[4:5], v[4:5], 0
	v_mul_f64 v[66:67], v[70:71], v[66:67]
	s_waitcnt lgkmcnt(7)
	v_mul_f64 v[6:7], v[80:81], v[74:75]
	v_fmac_f64_e32 v[6:7], v[82:83], v[72:73]
	s_waitcnt lgkmcnt(6)
	v_mul_f64 v[8:9], v[92:93], v[76:77]
	v_add_f64 v[4:5], v[4:5], v[6:7]
	s_waitcnt lgkmcnt(4)
	v_mul_f64 v[12:13], v[112:113], v[88:89]
	v_fma_f64 v[184:185], v[68:69], v[64:65], -v[66:67]
	v_fmac_f64_e32 v[12:13], v[114:115], v[90:91]
	v_mul_f64 v[74:75], v[82:83], v[74:75]
	v_mul_f64 v[10:11], v[104:105], v[84:85]
	v_fma_f64 v[186:187], v[80:81], v[72:73], -v[74:75]
	s_waitcnt lgkmcnt(2)
	v_mul_f64 v[16:17], v[172:173], v[100:101]
	v_mul_f64 v[76:77], v[94:95], v[76:77]
	;; [unrolled: 1-line block ×5, first 2 shown]
	s_waitcnt lgkmcnt(1)
	v_mul_f64 v[18:19], v[180:181], v[108:109]
	v_fmac_f64_e32 v[18:19], v[182:183], v[110:111]
	v_fmac_f64_e32 v[8:9], v[94:95], v[78:79]
	v_add_f64 v[4:5], v[4:5], v[8:9]
	v_fmac_f64_e32 v[10:11], v[106:107], v[86:87]
	v_add_f64 v[4:5], v[4:5], v[10:11]
	;; [unrolled: 2-line block ×4, first 2 shown]
	v_add_f64 v[4:5], v[4:5], v[16:17]
	v_add_f64 v[8:9], v[4:5], v[18:19]
	ds_read_b128 v[4:7], v120 offset:768
	s_waitcnt lgkmcnt(1)
	v_mul_f64 v[10:11], v[0:1], v[116:117]
	v_fmac_f64_e32 v[10:11], v[2:3], v[194:195]
	v_add_f64 v[12:13], v[8:9], v[10:11]
	ds_read_b128 v[8:11], v120 offset:784
	s_waitcnt lgkmcnt(1)
	v_mul_f64 v[14:15], v[4:5], v[200:201]
	v_fmac_f64_e32 v[14:15], v[6:7], v[202:203]
	;; [unrolled: 5-line block ×5, first 2 shown]
	v_add_f64 v[28:29], v[24:25], v[26:27]
	ds_read_b128 v[24:27], v120 offset:848
	s_waitcnt vmcnt(58) lgkmcnt(1)
	v_mul_f64 v[30:31], v[20:21], v[228:229]
	s_waitcnt vmcnt(56)
	v_fmac_f64_e32 v[30:31], v[22:23], v[232:233]
	v_add_f64 v[32:33], v[28:29], v[30:31]
	ds_read_b128 v[28:31], v120 offset:864
	s_waitcnt lgkmcnt(1)
	v_mul_f64 v[34:35], v[24:25], v[208:209]
	v_fmac_f64_e32 v[34:35], v[26:27], v[210:211]
	v_add_f64 v[36:37], v[32:33], v[34:35]
	ds_read_b128 v[32:35], v120 offset:880
	s_waitcnt vmcnt(50) lgkmcnt(1)
	v_mul_f64 v[38:39], v[28:29], v[236:237]
	s_waitcnt vmcnt(48)
	v_fmac_f64_e32 v[38:39], v[30:31], v[240:241]
	v_add_f64 v[40:41], v[36:37], v[38:39]
	ds_read_b128 v[36:39], v120 offset:896
	s_waitcnt lgkmcnt(1)
	v_mul_f64 v[42:43], v[32:33], v[216:217]
	v_fmac_f64_e32 v[42:43], v[34:35], v[218:219]
	v_add_f64 v[44:45], v[40:41], v[42:43]
	ds_read_b128 v[40:43], v120 offset:912
	s_waitcnt vmcnt(42) lgkmcnt(1)
	v_mul_f64 v[46:47], v[36:37], v[244:245]
	s_waitcnt vmcnt(40)
	v_fmac_f64_e32 v[46:47], v[38:39], v[248:249]
	v_add_f64 v[48:49], v[44:45], v[46:47]
	ds_read_b128 v[44:47], v120 offset:928
	buffer_load_dword v141, off, s[0:3], 0 offset:524
	buffer_load_dword v143, off, s[0:3], 0 offset:508
	;; [unrolled: 1-line block ×8, first 2 shown]
	s_waitcnt lgkmcnt(1)
	v_mul_f64 v[50:51], v[40:41], v[220:221]
	v_fmac_f64_e32 v[50:51], v[42:43], v[222:223]
	v_add_f64 v[52:53], v[48:49], v[50:51]
	ds_read_b128 v[48:51], v120 offset:944
	s_waitcnt vmcnt(42) lgkmcnt(1)
	v_mul_f64 v[54:55], v[44:45], v[252:253]
	buffer_load_dword v149, off, s[0:3], 0 offset:540
	buffer_load_dword v148, off, s[0:3], 0 offset:536
	;; [unrolled: 1-line block ×4, first 2 shown]
	s_waitcnt vmcnt(44)
	v_fmac_f64_e32 v[54:55], v[46:47], v[118:119]
	v_add_f64 v[56:57], v[52:53], v[54:55]
	ds_read_b128 v[52:55], v120 offset:960
	buffer_load_dword v155, off, s[0:3], 0 offset:556
	buffer_load_dword v154, off, s[0:3], 0 offset:552
	;; [unrolled: 1-line block ×4, first 2 shown]
	s_waitcnt lgkmcnt(1)
	v_mul_f64 v[58:59], v[48:49], v[224:225]
	v_fmac_f64_e32 v[58:59], v[50:51], v[226:227]
	buffer_load_dword v152, off, s[0:3], 0 offset:584
	buffer_load_dword v161, off, s[0:3], 0 offset:572
	;; [unrolled: 1-line block ×12, first 2 shown]
	s_waitcnt vmcnt(54) lgkmcnt(0)
	v_mul_f64 v[62:63], v[52:53], v[124:125]
	v_add_f64 v[60:61], v[56:57], v[58:59]
	ds_read_b128 v[56:59], v120 offset:976
	s_waitcnt vmcnt(52)
	v_fmac_f64_e32 v[62:63], v[54:55], v[126:127]
	v_add_f64 v[176:177], v[60:61], v[62:63]
	ds_read_b128 v[60:63], v120 offset:992
	ds_read_b128 v[64:67], v120 offset:1008
	;; [unrolled: 1-line block ×3, first 2 shown]
	s_waitcnt lgkmcnt(3)
	v_mul_f64 v[178:179], v[56:57], v[230:231]
	v_fmac_f64_e32 v[178:179], v[58:59], v[234:235]
	s_waitcnt vmcnt(46) lgkmcnt(2)
	v_mul_f64 v[70:71], v[60:61], v[128:129]
	v_add_f64 v[68:69], v[176:177], v[178:179]
	s_waitcnt vmcnt(44)
	v_fmac_f64_e32 v[70:71], v[62:63], v[130:131]
	v_add_f64 v[68:69], v[68:69], v[70:71]
	s_waitcnt lgkmcnt(1)
	v_mul_f64 v[70:71], v[64:65], v[238:239]
	v_fmac_f64_e32 v[70:71], v[66:67], v[242:243]
	v_add_f64 v[176:177], v[68:69], v[70:71]
	ds_read_b128 v[68:71], v120 offset:1024
	v_fma_f64 v[188:189], v[92:93], v[78:79], -v[76:77]
	ds_read_b128 v[76:79], v120 offset:1056
	s_waitcnt vmcnt(42) lgkmcnt(2)
	v_mul_f64 v[82:83], v[72:73], v[246:247]
	s_waitcnt vmcnt(40)
	v_fmac_f64_e32 v[82:83], v[74:75], v[250:251]
	s_waitcnt vmcnt(38) lgkmcnt(1)
	v_mul_f64 v[80:81], v[68:69], v[132:133]
	s_waitcnt vmcnt(36)
	v_fmac_f64_e32 v[80:81], v[70:71], v[134:135]
	v_add_f64 v[80:81], v[176:177], v[80:81]
	v_add_f64 v[80:81], v[80:81], v[82:83]
	s_waitcnt vmcnt(30) lgkmcnt(0)
	v_mul_f64 v[82:83], v[76:77], v[136:137]
	s_waitcnt vmcnt(28)
	v_fmac_f64_e32 v[82:83], v[78:79], v[138:139]
	v_add_f64 v[92:93], v[80:81], v[82:83]
	ds_read_b128 v[80:83], v120 offset:1072
	v_fma_f64 v[176:177], v[104:105], v[86:87], -v[84:85]
	ds_read_b128 v[84:87], v120 offset:1088
	v_fma_f64 v[190:191], v[112:113], v[90:91], -v[88:89]
	ds_read_b128 v[88:91], v120 offset:1104
	s_waitcnt lgkmcnt(2)
	v_mul_f64 v[94:95], v[80:81], v[254:255]
	v_fmac_f64_e32 v[94:95], v[82:83], v[122:123]
	v_add_f64 v[92:93], v[92:93], v[94:95]
	v_mul_f64 v[96:97], v[170:171], v[96:97]
	v_fma_f64 v[192:193], v[168:169], v[98:99], -v[96:97]
	ds_read_b128 v[96:99], v120 offset:1136
	v_mul_f64 v[100:101], v[174:175], v[100:101]
	v_fma_f64 v[178:179], v[172:173], v[102:103], -v[100:101]
	v_mul_f64 v[108:109], v[182:183], v[108:109]
	v_fma_f64 v[180:181], v[180:181], v[110:111], -v[108:109]
	;; [unrolled: 2-line block ×4, first 2 shown]
	ds_read_b128 v[100:103], v120 offset:1152
	ds_read_b128 v[108:111], v120 offset:1184
	s_waitcnt vmcnt(25) lgkmcnt(4)
	v_mul_f64 v[94:95], v[84:85], v[142:143]
	s_waitcnt vmcnt(23)
	v_fmac_f64_e32 v[94:95], v[86:87], v[146:147]
	v_add_f64 v[92:93], v[92:93], v[94:95]
	s_waitcnt vmcnt(22) lgkmcnt(3)
	v_mul_f64 v[94:95], v[88:89], v[140:141]
	s_waitcnt vmcnt(20)
	v_fmac_f64_e32 v[94:95], v[90:91], v[144:145]
	v_add_f64 v[104:105], v[92:93], v[94:95]
	ds_read_b128 v[92:95], v120 offset:1120
	s_waitcnt vmcnt(9) lgkmcnt(2)
	v_mul_f64 v[114:115], v[100:101], v[160:161]
	s_waitcnt vmcnt(7)
	v_fmac_f64_e32 v[114:115], v[102:103], v[164:165]
	s_waitcnt lgkmcnt(0)
	v_mul_f64 v[106:107], v[92:93], v[148:149]
	v_fmac_f64_e32 v[106:107], v[94:95], v[150:151]
	v_add_f64 v[104:105], v[104:105], v[106:107]
	v_mul_f64 v[106:107], v[96:97], v[154:155]
	v_fmac_f64_e32 v[106:107], v[98:99], v[156:157]
	v_add_f64 v[112:113], v[104:105], v[106:107]
	ds_read_b128 v[104:107], v120 offset:1168
	buffer_load_dword v170, off, s[0:3], 0 offset:616
	buffer_load_dword v171, off, s[0:3], 0 offset:620
	;; [unrolled: 1-line block ×4, first 2 shown]
	v_add_f64 v[112:113], v[112:113], v[114:115]
	s_waitcnt vmcnt(9) lgkmcnt(0)
	v_mul_f64 v[114:115], v[104:105], v[152:153]
	s_waitcnt vmcnt(8)
	v_fmac_f64_e32 v[114:115], v[106:107], v[158:159]
	v_add_f64 v[112:113], v[112:113], v[114:115]
	s_waitcnt vmcnt(6)
	v_mul_f64 v[114:115], v[108:109], v[162:163]
	s_waitcnt vmcnt(4)
	v_fmac_f64_e32 v[114:115], v[110:111], v[166:167]
	v_add_f64 v[168:169], v[112:113], v[114:115]
	ds_read_b128 v[112:115], v120 offset:1200
	s_waitcnt vmcnt(2) lgkmcnt(0)
	v_mul_f64 v[174:175], v[112:113], v[170:171]
	s_waitcnt vmcnt(0)
	v_fmac_f64_e32 v[174:175], v[114:115], v[172:173]
	v_add_f64 v[168:169], v[168:169], v[174:175]
	v_add_f64 v[174:175], v[184:185], 0
	;; [unrolled: 1-line block ×6, first 2 shown]
	buffer_load_dword v176, off, s[0:3], 0 offset:16
	buffer_load_dword v177, off, s[0:3], 0 offset:20
	v_add_f64 v[182:183], v[174:175], v[192:193]
	buffer_load_dword v174, off, s[0:3], 0 offset:24
	buffer_load_dword v175, off, s[0:3], 0 offset:28
	v_add_f64 v[178:179], v[182:183], v[178:179]
	v_add_f64 v[178:179], v[178:179], v[180:181]
	;; [unrolled: 1-line block ×4, first 2 shown]
	v_mul_f64 v[2:3], v[10:11], v[196:197]
	v_fma_f64 v[2:3], v[8:9], v[198:199], -v[2:3]
	v_add_f64 v[0:1], v[0:1], v[2:3]
	v_mul_f64 v[2:3], v[14:15], v[212:213]
	v_fma_f64 v[2:3], v[12:13], v[214:215], -v[2:3]
	v_add_f64 v[0:1], v[0:1], v[2:3]
	;; [unrolled: 3-line block ×27, first 2 shown]
	s_waitcnt vmcnt(2)
	v_add_f64 v[0:1], v[176:177], -v[0:1]
	s_waitcnt vmcnt(0)
	v_add_f64 v[2:3], v[174:175], -v[168:169]
	buffer_store_dword v1, off, s[0:3], 0 offset:20
	buffer_store_dword v0, off, s[0:3], 0 offset:16
	;; [unrolled: 1-line block ×4, first 2 shown]
	s_cbranch_vccz .LBB101_317
; %bb.242:
	v_pk_mov_b32 v[0:1], s[10:11], s[10:11] op_sel:[0,1]
	flat_load_dword v0, v[0:1] offset:144
	s_waitcnt vmcnt(0) lgkmcnt(0)
	v_add_u32_e32 v0, -1, v0
	v_cmp_ne_u32_e32 vcc, 36, v0
	s_and_saveexec_b64 s[4:5], vcc
	s_cbranch_execz .LBB101_244
; %bb.243:
	v_mov_b32_e32 v1, 16
	v_accvgpr_read_b32 v9, a76
	v_lshl_add_u32 v0, v0, 4, v1
	buffer_load_dword v1, v9, s[0:3], 0 offen offset:4
	buffer_load_dword v2, v9, s[0:3], 0 offen offset:8
	buffer_load_dword v3, v9, s[0:3], 0 offen offset:12
	buffer_load_dword v4, v0, s[0:3], 0 offen
	buffer_load_dword v5, v0, s[0:3], 0 offen offset:4
	buffer_load_dword v6, v0, s[0:3], 0 offen offset:8
	buffer_load_dword v7, v0, s[0:3], 0 offen offset:12
	buffer_load_dword v8, v9, s[0:3], 0 offen
	s_waitcnt vmcnt(4)
	buffer_store_dword v4, v9, s[0:3], 0 offen
	s_waitcnt vmcnt(4)
	buffer_store_dword v5, v9, s[0:3], 0 offen offset:4
	s_waitcnt vmcnt(4)
	buffer_store_dword v6, v9, s[0:3], 0 offen offset:8
	s_waitcnt vmcnt(4)
	buffer_store_dword v7, v9, s[0:3], 0 offen offset:12
	buffer_store_dword v3, v0, s[0:3], 0 offen offset:12
	buffer_store_dword v2, v0, s[0:3], 0 offen offset:8
	buffer_store_dword v1, v0, s[0:3], 0 offen offset:4
	s_waitcnt vmcnt(7)
	buffer_store_dword v8, v0, s[0:3], 0 offen
.LBB101_244:
	s_or_b64 exec, exec, s[4:5]
	v_pk_mov_b32 v[0:1], s[10:11], s[10:11] op_sel:[0,1]
	flat_load_dword v0, v[0:1] offset:140
	s_waitcnt vmcnt(0) lgkmcnt(0)
	v_add_u32_e32 v0, -1, v0
	v_cmp_ne_u32_e32 vcc, 35, v0
	s_and_saveexec_b64 s[4:5], vcc
	s_cbranch_execz .LBB101_246
; %bb.245:
	v_mov_b32_e32 v1, 16
	v_accvgpr_read_b32 v9, a77
	v_lshl_add_u32 v0, v0, 4, v1
	buffer_load_dword v1, v9, s[0:3], 0 offen offset:4
	buffer_load_dword v2, v9, s[0:3], 0 offen offset:8
	buffer_load_dword v3, v9, s[0:3], 0 offen offset:12
	buffer_load_dword v4, v0, s[0:3], 0 offen
	buffer_load_dword v5, v0, s[0:3], 0 offen offset:4
	buffer_load_dword v6, v0, s[0:3], 0 offen offset:8
	buffer_load_dword v7, v0, s[0:3], 0 offen offset:12
	buffer_load_dword v8, v9, s[0:3], 0 offen
	s_waitcnt vmcnt(4)
	buffer_store_dword v4, v9, s[0:3], 0 offen
	s_waitcnt vmcnt(4)
	buffer_store_dword v5, v9, s[0:3], 0 offen offset:4
	s_waitcnt vmcnt(4)
	buffer_store_dword v6, v9, s[0:3], 0 offen offset:8
	s_waitcnt vmcnt(4)
	buffer_store_dword v7, v9, s[0:3], 0 offen offset:12
	buffer_store_dword v3, v0, s[0:3], 0 offen offset:12
	buffer_store_dword v2, v0, s[0:3], 0 offen offset:8
	buffer_store_dword v1, v0, s[0:3], 0 offen offset:4
	s_waitcnt vmcnt(7)
	buffer_store_dword v8, v0, s[0:3], 0 offen
.LBB101_246:
	s_or_b64 exec, exec, s[4:5]
	;; [unrolled: 34-line block ×36, first 2 shown]
	v_pk_mov_b32 v[0:1], s[10:11], s[10:11] op_sel:[0,1]
	flat_load_dword v0, v[0:1]
	s_waitcnt vmcnt(0) lgkmcnt(0)
	v_add_u32_e32 v0, -1, v0
	v_cmp_ne_u32_e32 vcc, 0, v0
	s_and_saveexec_b64 s[4:5], vcc
	s_cbranch_execz .LBB101_316
; %bb.315:
	v_mov_b32_e32 v1, 16
	v_lshl_add_u32 v0, v0, 4, v1
	buffer_load_dword v1, v0, s[0:3], 0 offen
	buffer_load_dword v2, v0, s[0:3], 0 offen offset:4
	buffer_load_dword v3, v0, s[0:3], 0 offen offset:8
	;; [unrolled: 1-line block ×3, first 2 shown]
	buffer_load_dword v5, off, s[0:3], 0 offset:28
	buffer_load_dword v6, off, s[0:3], 0 offset:24
	;; [unrolled: 1-line block ×4, first 2 shown]
	s_waitcnt vmcnt(7)
	buffer_store_dword v1, off, s[0:3], 0 offset:16
	s_waitcnt vmcnt(7)
	buffer_store_dword v2, off, s[0:3], 0 offset:20
	;; [unrolled: 2-line block ×4, first 2 shown]
	s_waitcnt vmcnt(7)
	buffer_store_dword v5, v0, s[0:3], 0 offen offset:12
	s_waitcnt vmcnt(7)
	buffer_store_dword v6, v0, s[0:3], 0 offen offset:8
	;; [unrolled: 2-line block ×3, first 2 shown]
	s_waitcnt vmcnt(7)
	buffer_store_dword v8, v0, s[0:3], 0 offen
.LBB101_316:
	s_or_b64 exec, exec, s[4:5]
.LBB101_317:
	buffer_load_dword v0, off, s[0:3], 0 offset:16
	buffer_load_dword v1, off, s[0:3], 0 offset:20
	buffer_load_dword v2, off, s[0:3], 0 offset:24
	buffer_load_dword v3, off, s[0:3], 0 offset:28
	v_accvgpr_read_b32 v17, a111
	buffer_load_dword v5, v17, s[0:3], 0 offen offset:4
	buffer_load_dword v6, v17, s[0:3], 0 offen offset:8
	;; [unrolled: 1-line block ×3, first 2 shown]
	v_accvgpr_read_b32 v16, a110
	buffer_load_dword v8, v16, s[0:3], 0 offen
	buffer_load_dword v9, v16, s[0:3], 0 offen offset:4
	buffer_load_dword v10, v16, s[0:3], 0 offen offset:8
	buffer_load_dword v4, v17, s[0:3], 0 offen
	buffer_load_dword v11, v16, s[0:3], 0 offen offset:12
	v_accvgpr_read_b32 v12, a109
	buffer_load_dword v13, v12, s[0:3], 0 offen offset:4
	buffer_load_dword v14, v12, s[0:3], 0 offen offset:8
	;; [unrolled: 1-line block ×3, first 2 shown]
	v_accvgpr_read_b32 v19, a108
                                        ; kill: killed $vgpr17
                                        ; kill: killed $vgpr16
	buffer_load_dword v16, v19, s[0:3], 0 offen
	buffer_load_dword v17, v19, s[0:3], 0 offen offset:4
	buffer_load_dword v18, v19, s[0:3], 0 offen offset:8
	s_nop 0
	buffer_load_dword v12, v12, s[0:3], 0 offen
	s_nop 0
	buffer_load_dword v19, v19, s[0:3], 0 offen offset:12
	v_accvgpr_read_b32 v20, a107
	buffer_load_dword v21, v20, s[0:3], 0 offen offset:4
	buffer_load_dword v22, v20, s[0:3], 0 offen offset:8
	buffer_load_dword v23, v20, s[0:3], 0 offen offset:12
	v_accvgpr_read_b32 v27, a106
	buffer_load_dword v24, v27, s[0:3], 0 offen
	buffer_load_dword v25, v27, s[0:3], 0 offen offset:4
	buffer_load_dword v26, v27, s[0:3], 0 offen offset:8
	s_nop 0
	buffer_load_dword v20, v20, s[0:3], 0 offen
	s_nop 0
	buffer_load_dword v27, v27, s[0:3], 0 offen offset:12
	v_accvgpr_read_b32 v28, a105
	buffer_load_dword v29, v28, s[0:3], 0 offen offset:4
	buffer_load_dword v30, v28, s[0:3], 0 offen offset:8
	buffer_load_dword v31, v28, s[0:3], 0 offen offset:12
	v_accvgpr_read_b32 v35, a104
	;; [unrolled: 12-line block ×16, first 2 shown]
	buffer_load_dword v146, v120, s[0:3], 0 offen
	buffer_load_dword v147, v120, s[0:3], 0 offen offset:4
	buffer_load_dword v148, v120, s[0:3], 0 offen offset:8
	s_nop 0
	buffer_load_dword v142, v142, s[0:3], 0 offen
	s_nop 0
	buffer_load_dword v149, v120, s[0:3], 0 offen offset:12
	buffer_load_dword v150, v121, s[0:3], 0 offen
	buffer_load_dword v151, v121, s[0:3], 0 offen offset:4
	buffer_load_dword v152, v121, s[0:3], 0 offen offset:8
	;; [unrolled: 1-line block ×3, first 2 shown]
	v_accvgpr_read_b32 v121, a3
	v_accvgpr_read_b32 v120, a2
	s_waitcnt vmcnt(62)
	global_store_dwordx4 v[120:121], v[0:3], off
	s_nop 0
	v_accvgpr_read_b32 v0, a4
	v_accvgpr_read_b32 v1, a5
	global_store_dwordx4 v[0:1], v[4:7], off
	v_accvgpr_read_b32 v0, a0
	v_accvgpr_read_b32 v1, a1
	global_store_dwordx4 v[0:1], v[8:11], off
	;; [unrolled: 3-line block ×20, first 2 shown]
	v_accvgpr_read_b32 v0, a44
	v_accvgpr_read_b32 v1, a45
	s_waitcnt vmcnt(62)
	global_store_dwordx4 v[0:1], v[84:87], off
	v_accvgpr_read_b32 v0, a46
	v_accvgpr_read_b32 v1, a47
	global_store_dwordx4 v[0:1], v[88:91], off
	v_accvgpr_read_b32 v0, a48
	v_accvgpr_read_b32 v1, a49
	;; [unrolled: 3-line block ×6, first 2 shown]
	s_waitcnt vmcnt(62)
	global_store_dwordx4 v[0:1], v[108:111], off
	v_accvgpr_read_b32 v0, a58
	v_accvgpr_read_b32 v1, a59
	global_store_dwordx4 v[0:1], v[112:115], off
	v_accvgpr_read_b32 v0, a60
	v_accvgpr_read_b32 v1, a61
	s_waitcnt vmcnt(58)
	global_store_dwordx4 v[0:1], v[116:119], off
	v_accvgpr_read_b32 v0, a62
	v_accvgpr_read_b32 v1, a63
	s_waitcnt vmcnt(58)
	;; [unrolled: 4-line block ×9, first 2 shown]
	global_store_dwordx4 v[0:1], v[150:153], off
	s_endpgm
	.section	.rodata,"a",@progbits
	.p2align	6, 0x0
	.amdhsa_kernel _ZN9rocsolver6v33100L18getri_kernel_smallILi38E19rocblas_complex_numIdEPKPS3_EEvT1_iilPiilS8_bb
		.amdhsa_group_segment_fixed_size 1224
		.amdhsa_private_segment_fixed_size 640
		.amdhsa_kernarg_size 60
		.amdhsa_user_sgpr_count 8
		.amdhsa_user_sgpr_private_segment_buffer 1
		.amdhsa_user_sgpr_dispatch_ptr 0
		.amdhsa_user_sgpr_queue_ptr 0
		.amdhsa_user_sgpr_kernarg_segment_ptr 1
		.amdhsa_user_sgpr_dispatch_id 0
		.amdhsa_user_sgpr_flat_scratch_init 1
		.amdhsa_user_sgpr_kernarg_preload_length 0
		.amdhsa_user_sgpr_kernarg_preload_offset 0
		.amdhsa_user_sgpr_private_segment_size 0
		.amdhsa_uses_dynamic_stack 0
		.amdhsa_system_sgpr_private_segment_wavefront_offset 1
		.amdhsa_system_sgpr_workgroup_id_x 1
		.amdhsa_system_sgpr_workgroup_id_y 0
		.amdhsa_system_sgpr_workgroup_id_z 0
		.amdhsa_system_sgpr_workgroup_info 0
		.amdhsa_system_vgpr_workitem_id 0
		.amdhsa_next_free_vgpr 368
		.amdhsa_next_free_sgpr 22
		.amdhsa_accum_offset 256
		.amdhsa_reserve_vcc 1
		.amdhsa_reserve_flat_scratch 1
		.amdhsa_float_round_mode_32 0
		.amdhsa_float_round_mode_16_64 0
		.amdhsa_float_denorm_mode_32 3
		.amdhsa_float_denorm_mode_16_64 3
		.amdhsa_dx10_clamp 1
		.amdhsa_ieee_mode 1
		.amdhsa_fp16_overflow 0
		.amdhsa_tg_split 0
		.amdhsa_exception_fp_ieee_invalid_op 0
		.amdhsa_exception_fp_denorm_src 0
		.amdhsa_exception_fp_ieee_div_zero 0
		.amdhsa_exception_fp_ieee_overflow 0
		.amdhsa_exception_fp_ieee_underflow 0
		.amdhsa_exception_fp_ieee_inexact 0
		.amdhsa_exception_int_div_zero 0
	.end_amdhsa_kernel
	.section	.text._ZN9rocsolver6v33100L18getri_kernel_smallILi38E19rocblas_complex_numIdEPKPS3_EEvT1_iilPiilS8_bb,"axG",@progbits,_ZN9rocsolver6v33100L18getri_kernel_smallILi38E19rocblas_complex_numIdEPKPS3_EEvT1_iilPiilS8_bb,comdat
.Lfunc_end101:
	.size	_ZN9rocsolver6v33100L18getri_kernel_smallILi38E19rocblas_complex_numIdEPKPS3_EEvT1_iilPiilS8_bb, .Lfunc_end101-_ZN9rocsolver6v33100L18getri_kernel_smallILi38E19rocblas_complex_numIdEPKPS3_EEvT1_iilPiilS8_bb
                                        ; -- End function
	.section	.AMDGPU.csdata,"",@progbits
; Kernel info:
; codeLenInByte = 97540
; NumSgprs: 28
; NumVgprs: 256
; NumAgprs: 112
; TotalNumVgprs: 368
; ScratchSize: 640
; MemoryBound: 0
; FloatMode: 240
; IeeeMode: 1
; LDSByteSize: 1224 bytes/workgroup (compile time only)
; SGPRBlocks: 3
; VGPRBlocks: 45
; NumSGPRsForWavesPerEU: 28
; NumVGPRsForWavesPerEU: 368
; AccumOffset: 256
; Occupancy: 1
; WaveLimiterHint : 1
; COMPUTE_PGM_RSRC2:SCRATCH_EN: 1
; COMPUTE_PGM_RSRC2:USER_SGPR: 8
; COMPUTE_PGM_RSRC2:TRAP_HANDLER: 0
; COMPUTE_PGM_RSRC2:TGID_X_EN: 1
; COMPUTE_PGM_RSRC2:TGID_Y_EN: 0
; COMPUTE_PGM_RSRC2:TGID_Z_EN: 0
; COMPUTE_PGM_RSRC2:TIDIG_COMP_CNT: 0
; COMPUTE_PGM_RSRC3_GFX90A:ACCUM_OFFSET: 63
; COMPUTE_PGM_RSRC3_GFX90A:TG_SPLIT: 0
	.section	.text._ZN9rocsolver6v33100L18getri_kernel_smallILi39E19rocblas_complex_numIdEPKPS3_EEvT1_iilPiilS8_bb,"axG",@progbits,_ZN9rocsolver6v33100L18getri_kernel_smallILi39E19rocblas_complex_numIdEPKPS3_EEvT1_iilPiilS8_bb,comdat
	.globl	_ZN9rocsolver6v33100L18getri_kernel_smallILi39E19rocblas_complex_numIdEPKPS3_EEvT1_iilPiilS8_bb ; -- Begin function _ZN9rocsolver6v33100L18getri_kernel_smallILi39E19rocblas_complex_numIdEPKPS3_EEvT1_iilPiilS8_bb
	.p2align	8
	.type	_ZN9rocsolver6v33100L18getri_kernel_smallILi39E19rocblas_complex_numIdEPKPS3_EEvT1_iilPiilS8_bb,@function
_ZN9rocsolver6v33100L18getri_kernel_smallILi39E19rocblas_complex_numIdEPKPS3_EEvT1_iilPiilS8_bb: ; @_ZN9rocsolver6v33100L18getri_kernel_smallILi39E19rocblas_complex_numIdEPKPS3_EEvT1_iilPiilS8_bb
; %bb.0:
	s_add_u32 flat_scratch_lo, s6, s9
	s_addc_u32 flat_scratch_hi, s7, 0
	s_add_u32 s0, s0, s9
	s_addc_u32 s1, s1, 0
	v_cmp_gt_u32_e32 vcc, 39, v0
	s_and_saveexec_b64 s[6:7], vcc
	s_cbranch_execz .LBB102_170
; %bb.1:
	s_load_dword s18, s[4:5], 0x38
	s_load_dwordx2 s[6:7], s[4:5], 0x0
	s_load_dwordx4 s[12:15], s[4:5], 0x28
	s_waitcnt lgkmcnt(0)
	s_bitcmp1_b32 s18, 8
	s_cselect_b64 s[16:17], -1, 0
	s_ashr_i32 s9, s8, 31
	s_lshl_b64 s[10:11], s[8:9], 3
	s_add_u32 s6, s6, s10
	s_addc_u32 s7, s7, s11
	s_load_dwordx2 s[6:7], s[6:7], 0x0
	s_bfe_u32 s10, s18, 0x10008
	s_cmp_eq_u32 s10, 0
                                        ; implicit-def: $sgpr10_sgpr11
	s_cbranch_scc1 .LBB102_3
; %bb.2:
	s_load_dword s10, s[4:5], 0x20
	s_load_dwordx2 s[20:21], s[4:5], 0x18
	s_mul_i32 s11, s8, s13
	s_mul_hi_u32 s13, s8, s12
	s_add_i32 s13, s13, s11
	s_mul_i32 s19, s9, s12
	s_add_i32 s13, s13, s19
	s_mul_i32 s12, s8, s12
	s_waitcnt lgkmcnt(0)
	s_ashr_i32 s11, s10, 31
	s_lshl_b64 s[12:13], s[12:13], 2
	s_add_u32 s12, s20, s12
	s_addc_u32 s13, s21, s13
	s_lshl_b64 s[10:11], s[10:11], 2
	s_add_u32 s10, s12, s10
	s_addc_u32 s11, s13, s11
.LBB102_3:
	s_load_dwordx2 s[4:5], s[4:5], 0x8
	v_lshlrev_b32_e32 v1, 4, v0
	s_waitcnt lgkmcnt(0)
	s_ashr_i32 s13, s4, 31
	s_mov_b32 s12, s4
	s_lshl_b64 s[12:13], s[12:13], 4
	s_add_u32 s6, s6, s12
	s_addc_u32 s7, s7, s13
	v_mov_b32_e32 v2, s7
	v_add_co_u32_e32 v8, vcc, s6, v1
	v_addc_co_u32_e32 v9, vcc, 0, v2, vcc
	global_load_dwordx4 v[2:5], v1, s[6:7]
	s_ashr_i32 s13, s5, 31
	s_mov_b32 s12, s5
	s_lshl_b64 s[12:13], s[12:13], 4
	v_mov_b32_e32 v6, s13
	v_add_co_u32_e32 v10, vcc, s12, v8
	s_add_i32 s4, s5, s5
	v_addc_co_u32_e32 v11, vcc, v9, v6, vcc
	v_add_u32_e32 v14, s4, v0
	v_accvgpr_write_b32 a2, v10
	v_ashrrev_i32_e32 v15, 31, v14
	v_accvgpr_write_b32 a3, v11
	global_load_dwordx4 v[10:13], v[10:11], off
	v_accvgpr_write_b32 a0, v8
	v_lshlrev_b64 v[6:7], 4, v[14:15]
	v_accvgpr_write_b32 a1, v9
	v_mov_b32_e32 v8, s7
	v_add_co_u32_e32 v6, vcc, s6, v6
	v_addc_co_u32_e32 v7, vcc, v8, v7, vcc
	v_accvgpr_write_b32 a4, v6
	v_accvgpr_write_b32 a5, v7
	global_load_dwordx4 v[6:9], v[6:7], off
	v_add_u32_e32 v14, s5, v14
	v_ashrrev_i32_e32 v15, 31, v14
	v_lshlrev_b64 v[16:17], 4, v[14:15]
	v_mov_b32_e32 v15, s7
	v_add_co_u32_e32 v20, vcc, s6, v16
	v_add_u32_e32 v14, s5, v14
	v_addc_co_u32_e32 v21, vcc, v15, v17, vcc
	v_ashrrev_i32_e32 v15, 31, v14
	v_add_u32_e32 v16, s5, v14
	v_lshlrev_b64 v[14:15], 4, v[14:15]
	v_mov_b32_e32 v18, s7
	v_ashrrev_i32_e32 v17, 31, v16
	v_add_co_u32_e32 v14, vcc, s6, v14
	v_add_u32_e32 v22, s5, v16
	v_addc_co_u32_e32 v15, vcc, v18, v15, vcc
	v_lshlrev_b64 v[24:25], 4, v[16:17]
	v_mov_b32_e32 v27, s7
	v_ashrrev_i32_e32 v23, 31, v22
	v_add_co_u32_e32 v24, vcc, s6, v24
	v_add_u32_e32 v26, s5, v22
	v_addc_co_u32_e32 v25, vcc, v27, v25, vcc
	;; [unrolled: 6-line block ×3, first 2 shown]
	v_lshlrev_b64 v[30:31], 4, v[26:27]
	v_mov_b32_e32 v32, s7
	v_ashrrev_i32_e32 v39, 31, v38
	v_add_co_u32_e32 v34, vcc, s6, v30
	v_addc_co_u32_e32 v35, vcc, v32, v31, vcc
	v_lshlrev_b64 v[30:31], 4, v[38:39]
	v_add_u32_e32 v38, s5, v38
	v_add_co_u32_e32 v36, vcc, s6, v30
	v_ashrrev_i32_e32 v39, 31, v38
	v_addc_co_u32_e32 v37, vcc, v32, v31, vcc
	v_lshlrev_b64 v[40:41], 4, v[38:39]
	v_add_u32_e32 v46, s5, v38
	v_mov_b32_e32 v39, s7
	v_add_co_u32_e32 v42, vcc, s6, v40
	v_ashrrev_i32_e32 v47, 31, v46
	v_addc_co_u32_e32 v43, vcc, v39, v41, vcc
	v_lshlrev_b64 v[38:39], 4, v[46:47]
	v_add_u32_e32 v46, s5, v46
	v_mov_b32_e32 v40, s7
	v_add_co_u32_e32 v44, vcc, s6, v38
	v_ashrrev_i32_e32 v47, 31, v46
	v_addc_co_u32_e32 v45, vcc, v40, v39, vcc
	v_lshlrev_b64 v[48:49], 4, v[46:47]
	v_add_u32_e32 v54, s5, v46
	v_mov_b32_e32 v47, s7
	v_add_co_u32_e32 v50, vcc, s6, v48
	v_ashrrev_i32_e32 v55, 31, v54
	v_addc_co_u32_e32 v51, vcc, v47, v49, vcc
	v_lshlrev_b64 v[46:47], 4, v[54:55]
	v_add_u32_e32 v54, s5, v54
	v_mov_b32_e32 v48, s7
	v_add_co_u32_e32 v52, vcc, s6, v46
	v_ashrrev_i32_e32 v55, 31, v54
	v_addc_co_u32_e32 v53, vcc, v48, v47, vcc
	v_lshlrev_b64 v[56:57], 4, v[54:55]
	v_add_u32_e32 v62, s5, v54
	v_mov_b32_e32 v55, s7
	v_add_co_u32_e32 v58, vcc, s6, v56
	v_ashrrev_i32_e32 v63, 31, v62
	v_addc_co_u32_e32 v59, vcc, v55, v57, vcc
	v_lshlrev_b64 v[54:55], 4, v[62:63]
	v_add_u32_e32 v62, s5, v62
	v_mov_b32_e32 v56, s7
	v_add_co_u32_e32 v60, vcc, s6, v54
	v_ashrrev_i32_e32 v63, 31, v62
	v_addc_co_u32_e32 v61, vcc, v56, v55, vcc
	v_lshlrev_b64 v[64:65], 4, v[62:63]
	v_add_u32_e32 v70, s5, v62
	v_mov_b32_e32 v63, s7
	v_add_co_u32_e32 v66, vcc, s6, v64
	v_ashrrev_i32_e32 v71, 31, v70
	v_addc_co_u32_e32 v67, vcc, v63, v65, vcc
	v_lshlrev_b64 v[62:63], 4, v[70:71]
	v_add_u32_e32 v74, s5, v70
	v_mov_b32_e32 v64, s7
	v_add_co_u32_e32 v68, vcc, s6, v62
	v_ashrrev_i32_e32 v75, 31, v74
	v_addc_co_u32_e32 v69, vcc, v64, v63, vcc
	v_lshlrev_b64 v[70:71], 4, v[74:75]
	v_mov_b32_e32 v72, s7
	v_add_co_u32_e32 v70, vcc, s6, v70
	v_accvgpr_write_b32 a6, v20
	v_accvgpr_write_b32 a8, v14
	v_accvgpr_write_b32 a10, v24
	v_accvgpr_write_b32 a12, v22
	v_accvgpr_write_b32 a14, v34
	v_accvgpr_write_b32 a16, v36
	v_accvgpr_write_b32 a18, v42
	v_accvgpr_write_b32 a20, v44
	v_accvgpr_write_b32 a22, v50
	v_accvgpr_write_b32 a24, v52
	v_accvgpr_write_b32 a26, v58
	v_accvgpr_write_b32 a28, v60
	v_accvgpr_write_b32 a30, v66
	v_accvgpr_write_b32 a32, v68
	v_addc_co_u32_e32 v71, vcc, v72, v71, vcc
	v_accvgpr_write_b32 a34, v70
	v_accvgpr_write_b32 a7, v21
	global_load_dwordx4 v[18:21], v[20:21], off
	v_accvgpr_write_b32 a9, v15
	global_load_dwordx4 v[14:17], v[14:15], off
	;; [unrolled: 2-line block ×3, first 2 shown]
	global_load_dwordx4 v[30:33], v[34:35], off
	v_accvgpr_write_b32 a13, v23
	global_load_dwordx4 v[22:25], v[22:23], off
	v_accvgpr_write_b32 a15, v35
	v_accvgpr_write_b32 a17, v37
	global_load_dwordx4 v[34:37], v[36:37], off
	v_accvgpr_write_b32 a19, v43
	global_load_dwordx4 v[38:41], v[42:43], off
	v_accvgpr_write_b32 a21, v45
	global_load_dwordx4 v[42:45], v[44:45], off
	v_accvgpr_write_b32 a23, v51
	global_load_dwordx4 v[46:49], v[50:51], off
	v_accvgpr_write_b32 a25, v53
	global_load_dwordx4 v[50:53], v[52:53], off
	v_accvgpr_write_b32 a27, v59
	global_load_dwordx4 v[54:57], v[58:59], off
	v_accvgpr_write_b32 a29, v61
	global_load_dwordx4 v[58:61], v[60:61], off
	v_accvgpr_write_b32 a31, v67
	global_load_dwordx4 v[62:65], v[66:67], off
	v_accvgpr_write_b32 a33, v69
	global_load_dwordx4 v[66:69], v[68:69], off
	v_accvgpr_write_b32 a35, v71
	global_load_dwordx4 v[70:73], v[70:71], off
	s_waitcnt vmcnt(17)
	buffer_store_dword v5, off, s[0:3], 0 offset:28
	buffer_store_dword v4, off, s[0:3], 0 offset:24
	;; [unrolled: 1-line block ×4, first 2 shown]
	s_waitcnt vmcnt(20)
	buffer_store_dword v13, off, s[0:3], 0 offset:44
	buffer_store_dword v12, off, s[0:3], 0 offset:40
	;; [unrolled: 1-line block ×4, first 2 shown]
	s_waitcnt vmcnt(23)
	buffer_store_dword v9, off, s[0:3], 0 offset:60
	buffer_store_dword v8, off, s[0:3], 0 offset:56
	buffer_store_dword v7, off, s[0:3], 0 offset:52
	v_add_u32_e32 v8, s5, v74
	v_ashrrev_i32_e32 v9, 31, v8
	v_lshlrev_b64 v[2:3], 4, v[8:9]
	v_mov_b32_e32 v4, s7
	v_add_co_u32_e32 v2, vcc, s6, v2
	v_addc_co_u32_e32 v3, vcc, v4, v3, vcc
	v_accvgpr_write_b32 a37, v3
	v_accvgpr_write_b32 a36, v2
	global_load_dwordx4 v[2:5], v[2:3], off
	s_nop 0
	buffer_store_dword v6, off, s[0:3], 0 offset:48
	s_waitcnt vmcnt(27)
	buffer_store_dword v21, off, s[0:3], 0 offset:76
	buffer_store_dword v20, off, s[0:3], 0 offset:72
	buffer_store_dword v19, off, s[0:3], 0 offset:68
	buffer_store_dword v18, off, s[0:3], 0 offset:64
	s_waitcnt vmcnt(30)
	buffer_store_dword v17, off, s[0:3], 0 offset:92
	buffer_store_dword v16, off, s[0:3], 0 offset:88
	buffer_store_dword v15, off, s[0:3], 0 offset:84
	;; [unrolled: 5-line block ×4, first 2 shown]
	buffer_store_dword v22, off, s[0:3], 0 offset:112
	buffer_store_dword v33, off, s[0:3], 0 offset:140
	;; [unrolled: 1-line block ×5, first 2 shown]
	s_waitcnt vmcnt(42)
	buffer_store_dword v37, off, s[0:3], 0 offset:156
	buffer_store_dword v36, off, s[0:3], 0 offset:152
	buffer_store_dword v35, off, s[0:3], 0 offset:148
	buffer_store_dword v34, off, s[0:3], 0 offset:144
	s_waitcnt vmcnt(45)
	buffer_store_dword v38, off, s[0:3], 0 offset:160
	buffer_store_dword v39, off, s[0:3], 0 offset:164
	buffer_store_dword v40, off, s[0:3], 0 offset:168
	buffer_store_dword v41, off, s[0:3], 0 offset:172
	;; [unrolled: 5-line block ×8, first 2 shown]
	buffer_store_dword v69, off, s[0:3], 0 offset:284
	buffer_store_dword v68, off, s[0:3], 0 offset:280
	;; [unrolled: 1-line block ×4, first 2 shown]
	s_waitcnt vmcnt(62)
	buffer_store_dword v73, off, s[0:3], 0 offset:300
	buffer_store_dword v72, off, s[0:3], 0 offset:296
	;; [unrolled: 1-line block ×4, first 2 shown]
	v_add_u32_e32 v6, s5, v8
	v_ashrrev_i32_e32 v7, 31, v6
	v_lshlrev_b64 v[8:9], 4, v[6:7]
	v_add_u32_e32 v14, s5, v6
	v_mov_b32_e32 v7, s7
	v_add_co_u32_e32 v10, vcc, s6, v8
	v_ashrrev_i32_e32 v15, 31, v14
	v_addc_co_u32_e32 v11, vcc, v7, v9, vcc
	v_lshlrev_b64 v[6:7], 4, v[14:15]
	v_add_u32_e32 v14, s5, v14
	v_mov_b32_e32 v8, s7
	v_add_co_u32_e32 v12, vcc, s6, v6
	v_ashrrev_i32_e32 v15, 31, v14
	v_addc_co_u32_e32 v13, vcc, v8, v7, vcc
	global_load_dwordx4 v[6:9], v[10:11], off
	v_lshlrev_b64 v[16:17], 4, v[14:15]
	v_add_u32_e32 v22, s5, v14
	v_add_co_u32_e32 v16, vcc, s6, v16
	v_ashrrev_i32_e32 v23, 31, v22
	v_lshlrev_b64 v[14:15], 4, v[22:23]
	v_accvgpr_write_b32 a39, v11
	v_accvgpr_write_b32 a41, v13
	;; [unrolled: 1-line block ×4, first 2 shown]
	v_add_u32_e32 v22, s5, v22
	v_ashrrev_i32_e32 v23, 31, v22
	v_lshlrev_b64 v[24:25], 4, v[22:23]
	v_add_u32_e32 v30, s5, v22
	v_ashrrev_i32_e32 v31, 31, v30
	v_lshlrev_b64 v[22:23], 4, v[30:31]
	v_add_u32_e32 v30, s5, v30
	v_ashrrev_i32_e32 v31, 31, v30
	v_lshlrev_b64 v[32:33], 4, v[30:31]
	v_add_u32_e32 v38, s5, v30
	v_ashrrev_i32_e32 v39, 31, v38
	s_waitcnt vmcnt(62)
	buffer_store_dword v5, off, s[0:3], 0 offset:316
	v_mov_b32_e32 v5, s7
	v_addc_co_u32_e32 v17, vcc, v5, v17, vcc
	v_add_co_u32_e32 v18, vcc, s6, v14
	v_accvgpr_write_b32 a43, v17
	v_addc_co_u32_e32 v19, vcc, v5, v15, vcc
	v_accvgpr_write_b32 a42, v16
	global_load_dwordx4 v[14:17], v[16:17], off
	v_accvgpr_write_b32 a45, v19
	global_load_dwordx4 v[10:13], v[12:13], off
	;; [unrolled: 2-line block ×3, first 2 shown]
	v_add_co_u32_e32 v24, vcc, s6, v24
	v_addc_co_u32_e32 v25, vcc, v5, v25, vcc
	v_add_co_u32_e32 v26, vcc, s6, v22
	v_accvgpr_write_b32 a47, v25
	v_addc_co_u32_e32 v27, vcc, v5, v23, vcc
	v_accvgpr_write_b32 a46, v24
	global_load_dwordx4 v[22:25], v[24:25], off
	v_accvgpr_write_b32 a49, v27
	v_accvgpr_write_b32 a48, v26
	global_load_dwordx4 v[26:29], v[26:27], off
	v_add_co_u32_e32 v32, vcc, s6, v32
	v_addc_co_u32_e32 v33, vcc, v5, v33, vcc
	v_lshlrev_b64 v[30:31], 4, v[38:39]
	v_add_co_u32_e32 v34, vcc, s6, v30
	v_accvgpr_write_b32 a51, v33
	v_addc_co_u32_e32 v35, vcc, v5, v31, vcc
	v_accvgpr_write_b32 a50, v32
	global_load_dwordx4 v[30:33], v[32:33], off
	v_add_u32_e32 v38, s5, v38
	v_accvgpr_write_b32 a53, v35
	v_ashrrev_i32_e32 v39, 31, v38
	v_accvgpr_write_b32 a52, v34
	global_load_dwordx4 v[34:37], v[34:35], off
	v_lshlrev_b64 v[40:41], 4, v[38:39]
	v_add_u32_e32 v46, s5, v38
	v_add_co_u32_e32 v40, vcc, s6, v40
	v_ashrrev_i32_e32 v47, 31, v46
	v_addc_co_u32_e32 v41, vcc, v5, v41, vcc
	v_lshlrev_b64 v[38:39], 4, v[46:47]
	v_add_co_u32_e32 v42, vcc, s6, v38
	v_accvgpr_write_b32 a55, v41
	v_addc_co_u32_e32 v43, vcc, v5, v39, vcc
	v_accvgpr_write_b32 a54, v40
	global_load_dwordx4 v[38:41], v[40:41], off
	v_add_u32_e32 v46, s5, v46
	v_accvgpr_write_b32 a57, v43
	v_ashrrev_i32_e32 v47, 31, v46
	v_accvgpr_write_b32 a56, v42
	global_load_dwordx4 v[42:45], v[42:43], off
	v_lshlrev_b64 v[48:49], 4, v[46:47]
	v_add_u32_e32 v54, s5, v46
	v_add_co_u32_e32 v48, vcc, s6, v48
	v_ashrrev_i32_e32 v55, 31, v54
	;; [unrolled: 16-line block ×5, first 2 shown]
	v_addc_co_u32_e32 v73, vcc, v5, v73, vcc
	v_lshlrev_b64 v[70:71], 4, v[78:79]
	v_add_co_u32_e32 v74, vcc, s6, v70
	v_accvgpr_write_b32 a70, v72
	v_addc_co_u32_e32 v75, vcc, v5, v71, vcc
	v_accvgpr_write_b32 a71, v73
	global_load_dwordx4 v[70:73], v[72:73], off
	v_accvgpr_write_b32 a72, v74
	v_add_u32_e32 v78, s5, v78
	v_accvgpr_write_b32 a73, v75
	global_load_dwordx4 v[74:77], v[74:75], off
	v_ashrrev_i32_e32 v79, 31, v78
	v_lshlrev_b64 v[80:81], 4, v[78:79]
	v_add_co_u32_e32 v80, vcc, s6, v80
	v_add_u32_e32 v78, s5, v78
	v_addc_co_u32_e32 v81, vcc, v5, v81, vcc
	v_ashrrev_i32_e32 v79, 31, v78
	v_accvgpr_write_b32 a74, v80
	v_lshlrev_b64 v[82:83], 4, v[78:79]
	v_accvgpr_write_b32 a75, v81
	global_load_dwordx4 v[78:81], v[80:81], off
	v_add_co_u32_e32 v82, vcc, s6, v82
	v_addc_co_u32_e32 v83, vcc, v5, v83, vcc
	v_accvgpr_write_b32 a76, v82
	v_accvgpr_write_b32 a77, v83
	global_load_dwordx4 v[82:85], v[82:83], off
	s_nop 0
	buffer_store_dword v4, off, s[0:3], 0 offset:312
	buffer_store_dword v3, off, s[0:3], 0 offset:308
	;; [unrolled: 1-line block ×3, first 2 shown]
	s_waitcnt vmcnt(23)
	buffer_store_dword v9, off, s[0:3], 0 offset:332
	buffer_store_dword v8, off, s[0:3], 0 offset:328
	;; [unrolled: 1-line block ×4, first 2 shown]
	s_waitcnt vmcnt(24)
	buffer_store_dword v13, off, s[0:3], 0 offset:348
	buffer_store_dword v12, off, s[0:3], 0 offset:344
	;; [unrolled: 1-line block ×8, first 2 shown]
	s_waitcnt vmcnt(31)
	buffer_store_dword v21, off, s[0:3], 0 offset:380
	buffer_store_dword v20, off, s[0:3], 0 offset:376
	buffer_store_dword v19, off, s[0:3], 0 offset:372
	buffer_store_dword v18, off, s[0:3], 0 offset:368
	s_waitcnt vmcnt(34)
	buffer_store_dword v25, off, s[0:3], 0 offset:396
	buffer_store_dword v24, off, s[0:3], 0 offset:392
	buffer_store_dword v23, off, s[0:3], 0 offset:388
	buffer_store_dword v22, off, s[0:3], 0 offset:384
	;; [unrolled: 5-line block ×12, first 2 shown]
	buffer_store_dword v69, off, s[0:3], 0 offset:572
	buffer_store_dword v68, off, s[0:3], 0 offset:568
	;; [unrolled: 1-line block ×8, first 2 shown]
	s_waitcnt vmcnt(62)
	buffer_store_dword v77, off, s[0:3], 0 offset:604
	buffer_store_dword v76, off, s[0:3], 0 offset:600
	;; [unrolled: 1-line block ×12, first 2 shown]
	v_mov_b32_e32 v2, 16
	v_add_u32_e32 v3, 16, v2
	v_accvgpr_write_b32 a115, v3
	v_add_u32_e32 v3, 32, v2
	v_accvgpr_write_b32 a114, v3
	;; [unrolled: 2-line block ×36, first 2 shown]
	v_add_u32_e32 v3, 0x250, v2
	v_add_u32_e32 v2, 0x260, v2
	v_accvgpr_write_b32 a79, v3
	v_accvgpr_write_b32 a78, v2
	s_bitcmp0_b32 s18, 0
	s_mov_b64 s[6:7], -1
	s_cbranch_scc1 .LBB102_168
; %bb.4:
	v_cmp_eq_u32_e64 s[4:5], 0, v0
	s_and_saveexec_b64 s[6:7], s[4:5]
	s_cbranch_execz .LBB102_6
; %bb.5:
	v_mov_b32_e32 v2, 0
	ds_write_b32 v2, v2 offset:1248
.LBB102_6:
	s_or_b64 exec, exec, s[6:7]
	v_mov_b32_e32 v2, 16
	v_lshl_add_u32 v12, v0, 4, v2
	s_waitcnt lgkmcnt(0)
	; wave barrier
	s_waitcnt lgkmcnt(0)
	buffer_load_dword v2, v12, s[0:3], 0 offen
	buffer_load_dword v3, v12, s[0:3], 0 offen offset:4
	buffer_load_dword v4, v12, s[0:3], 0 offen offset:8
	;; [unrolled: 1-line block ×3, first 2 shown]
	s_waitcnt vmcnt(2)
	v_cmp_eq_f64_e32 vcc, 0, v[2:3]
	s_waitcnt vmcnt(0)
	v_cmp_eq_f64_e64 s[6:7], 0, v[4:5]
	s_and_b64 s[6:7], vcc, s[6:7]
	s_and_saveexec_b64 s[12:13], s[6:7]
	s_cbranch_execz .LBB102_10
; %bb.7:
	v_mov_b32_e32 v2, 0
	ds_read_b32 v4, v2 offset:1248
	v_add_u32_e32 v3, 1, v0
	s_waitcnt lgkmcnt(0)
	v_readfirstlane_b32 s6, v4
	s_cmp_eq_u32 s6, 0
	s_cselect_b64 s[18:19], -1, 0
	v_cmp_gt_i32_e32 vcc, s6, v3
	s_or_b64 s[18:19], s[18:19], vcc
	s_and_b64 exec, exec, s[18:19]
	s_cbranch_execz .LBB102_10
; %bb.8:
	s_mov_b64 s[18:19], 0
	v_mov_b32_e32 v4, s6
.LBB102_9:                              ; =>This Inner Loop Header: Depth=1
	ds_cmpst_rtn_b32 v4, v2, v4, v3 offset:1248
	s_waitcnt lgkmcnt(0)
	v_cmp_ne_u32_e32 vcc, 0, v4
	v_cmp_le_i32_e64 s[6:7], v4, v3
	s_and_b64 s[6:7], vcc, s[6:7]
	s_and_b64 s[6:7], exec, s[6:7]
	s_or_b64 s[18:19], s[6:7], s[18:19]
	s_andn2_b64 exec, exec, s[18:19]
	s_cbranch_execnz .LBB102_9
.LBB102_10:
	s_or_b64 exec, exec, s[12:13]
	v_mov_b32_e32 v3, 0
	s_waitcnt lgkmcnt(0)
	; wave barrier
	ds_read_b32 v2, v3 offset:1248
	s_and_saveexec_b64 s[6:7], s[4:5]
	s_cbranch_execz .LBB102_12
; %bb.11:
	s_lshl_b64 s[12:13], s[8:9], 2
	s_add_u32 s12, s14, s12
	s_addc_u32 s13, s15, s13
	s_waitcnt lgkmcnt(0)
	global_store_dword v3, v2, s[12:13]
.LBB102_12:
	s_or_b64 exec, exec, s[6:7]
	s_waitcnt lgkmcnt(0)
	v_cmp_ne_u32_e32 vcc, 0, v2
	s_mov_b64 s[6:7], 0
	s_cbranch_vccnz .LBB102_168
; %bb.13:
	buffer_load_dword v7, v12, s[0:3], 0 offen offset:4
	buffer_load_dword v6, v12, s[0:3], 0 offen
	buffer_load_dword v9, v12, s[0:3], 0 offen offset:12
	buffer_load_dword v8, v12, s[0:3], 0 offen offset:8
                                        ; implicit-def: $vgpr10_vgpr11
	s_waitcnt vmcnt(3)
	v_xor_b32_e32 v3, 0x80000000, v7
	s_waitcnt vmcnt(2)
	v_cmp_gt_f64_e32 vcc, 0, v[6:7]
	s_waitcnt vmcnt(1)
	v_xor_b32_e32 v4, 0x80000000, v9
	v_cndmask_b32_e32 v3, v7, v3, vcc
	s_waitcnt vmcnt(0)
	v_cmp_gt_f64_e32 vcc, 0, v[8:9]
	v_mov_b32_e32 v2, v6
	v_cndmask_b32_e32 v5, v9, v4, vcc
	v_mov_b32_e32 v4, v8
	v_cmp_ngt_f64_e32 vcc, v[2:3], v[4:5]
                                        ; implicit-def: $vgpr4_vgpr5
	s_and_saveexec_b64 s[6:7], vcc
	s_xor_b64 s[6:7], exec, s[6:7]
	s_cbranch_execz .LBB102_15
; %bb.14:
	v_div_scale_f64 v[2:3], s[12:13], v[8:9], v[8:9], v[6:7]
	v_rcp_f64_e32 v[4:5], v[2:3]
	v_div_scale_f64 v[10:11], vcc, v[6:7], v[8:9], v[6:7]
	v_fma_f64 v[14:15], -v[2:3], v[4:5], 1.0
	v_fmac_f64_e32 v[4:5], v[4:5], v[14:15]
	v_fma_f64 v[14:15], -v[2:3], v[4:5], 1.0
	v_fmac_f64_e32 v[4:5], v[4:5], v[14:15]
	v_mul_f64 v[14:15], v[10:11], v[4:5]
	v_fma_f64 v[2:3], -v[2:3], v[14:15], v[10:11]
	v_div_fmas_f64 v[2:3], v[2:3], v[4:5], v[14:15]
	v_div_fixup_f64 v[2:3], v[2:3], v[8:9], v[6:7]
	v_fmac_f64_e32 v[8:9], v[6:7], v[2:3]
	v_div_scale_f64 v[4:5], s[12:13], v[8:9], v[8:9], 1.0
	v_rcp_f64_e32 v[6:7], v[4:5]
	v_fma_f64 v[10:11], -v[4:5], v[6:7], 1.0
	v_fmac_f64_e32 v[6:7], v[6:7], v[10:11]
	v_fma_f64 v[10:11], -v[4:5], v[6:7], 1.0
	v_fmac_f64_e32 v[6:7], v[6:7], v[10:11]
	v_div_scale_f64 v[10:11], vcc, 1.0, v[8:9], 1.0
	v_mul_f64 v[14:15], v[10:11], v[6:7]
	v_fma_f64 v[4:5], -v[4:5], v[14:15], v[10:11]
	s_nop 1
	v_div_fmas_f64 v[4:5], v[4:5], v[6:7], v[14:15]
	v_div_fixup_f64 v[4:5], v[4:5], v[8:9], 1.0
	v_mul_f64 v[10:11], v[2:3], v[4:5]
	v_xor_b32_e32 v5, 0x80000000, v5
	v_xor_b32_e32 v3, 0x80000000, v11
	v_mov_b32_e32 v2, v10
                                        ; implicit-def: $vgpr6_vgpr7
                                        ; implicit-def: $vgpr8_vgpr9
.LBB102_15:
	s_andn2_saveexec_b64 s[6:7], s[6:7]
	s_cbranch_execz .LBB102_17
; %bb.16:
	v_div_scale_f64 v[2:3], s[12:13], v[6:7], v[6:7], v[8:9]
	v_rcp_f64_e32 v[4:5], v[2:3]
	v_div_scale_f64 v[10:11], vcc, v[8:9], v[6:7], v[8:9]
	v_fma_f64 v[14:15], -v[2:3], v[4:5], 1.0
	v_fmac_f64_e32 v[4:5], v[4:5], v[14:15]
	v_fma_f64 v[14:15], -v[2:3], v[4:5], 1.0
	v_fmac_f64_e32 v[4:5], v[4:5], v[14:15]
	v_mul_f64 v[14:15], v[10:11], v[4:5]
	v_fma_f64 v[2:3], -v[2:3], v[14:15], v[10:11]
	v_div_fmas_f64 v[2:3], v[2:3], v[4:5], v[14:15]
	v_div_fixup_f64 v[4:5], v[2:3], v[6:7], v[8:9]
	v_fmac_f64_e32 v[6:7], v[8:9], v[4:5]
	v_div_scale_f64 v[2:3], s[12:13], v[6:7], v[6:7], 1.0
	v_rcp_f64_e32 v[8:9], v[2:3]
	v_fma_f64 v[10:11], -v[2:3], v[8:9], 1.0
	v_fmac_f64_e32 v[8:9], v[8:9], v[10:11]
	v_fma_f64 v[10:11], -v[2:3], v[8:9], 1.0
	v_fmac_f64_e32 v[8:9], v[8:9], v[10:11]
	v_div_scale_f64 v[10:11], vcc, 1.0, v[6:7], 1.0
	v_mul_f64 v[14:15], v[10:11], v[8:9]
	v_fma_f64 v[2:3], -v[2:3], v[14:15], v[10:11]
	s_nop 1
	v_div_fmas_f64 v[2:3], v[2:3], v[8:9], v[14:15]
	v_div_fixup_f64 v[10:11], v[2:3], v[6:7], 1.0
	v_xor_b32_e32 v3, 0x80000000, v11
	v_mov_b32_e32 v2, v10
	v_mul_f64 v[4:5], v[4:5], -v[10:11]
.LBB102_17:
	s_or_b64 exec, exec, s[6:7]
	buffer_store_dword v11, v12, s[0:3], 0 offen offset:4
	buffer_store_dword v10, v12, s[0:3], 0 offen
	buffer_store_dword v5, v12, s[0:3], 0 offen offset:12
	buffer_store_dword v4, v12, s[0:3], 0 offen offset:8
	v_accvgpr_read_b32 v6, a115
	buffer_load_dword v11, v6, s[0:3], 0 offen offset:12
	buffer_load_dword v10, v6, s[0:3], 0 offen offset:8
	;; [unrolled: 1-line block ×3, first 2 shown]
	buffer_load_dword v8, v6, s[0:3], 0 offen
	v_xor_b32_e32 v5, 0x80000000, v5
	v_add_u32_e32 v6, 0x270, v1
	ds_write_b128 v1, v[2:5]
	s_waitcnt vmcnt(0)
	ds_write_b128 v1, v[8:11] offset:624
	s_waitcnt lgkmcnt(0)
	; wave barrier
	s_waitcnt lgkmcnt(0)
	s_and_saveexec_b64 s[6:7], s[4:5]
	s_cbranch_execz .LBB102_19
; %bb.18:
	buffer_load_dword v14, v12, s[0:3], 0 offen offset:8
	buffer_load_dword v15, v12, s[0:3], 0 offen offset:12
	buffer_load_dword v16, v12, s[0:3], 0 offen
	buffer_load_dword v17, v12, s[0:3], 0 offen offset:4
	ds_read_b128 v[2:5], v6
	v_mov_b32_e32 v7, 0
	ds_read_b128 v[8:11], v7 offset:16
	s_waitcnt vmcnt(2) lgkmcnt(1)
	v_mul_f64 v[18:19], v[4:5], v[14:15]
	v_mul_f64 v[14:15], v[2:3], v[14:15]
	s_waitcnt vmcnt(0)
	v_fmac_f64_e32 v[14:15], v[4:5], v[16:17]
	v_fma_f64 v[2:3], v[2:3], v[16:17], -v[18:19]
	v_add_f64 v[4:5], v[14:15], 0
	v_add_f64 v[2:3], v[2:3], 0
	s_waitcnt lgkmcnt(0)
	v_mul_f64 v[14:15], v[4:5], v[10:11]
	v_mul_f64 v[10:11], v[2:3], v[10:11]
	v_fma_f64 v[2:3], v[2:3], v[8:9], -v[14:15]
	v_fmac_f64_e32 v[10:11], v[4:5], v[8:9]
	buffer_store_dword v2, off, s[0:3], 0 offset:32
	buffer_store_dword v3, off, s[0:3], 0 offset:36
	;; [unrolled: 1-line block ×4, first 2 shown]
.LBB102_19:
	s_or_b64 exec, exec, s[6:7]
	v_accvgpr_read_b32 v5, a114
	s_waitcnt lgkmcnt(0)
	; wave barrier
	buffer_load_dword v2, v5, s[0:3], 0 offen
	buffer_load_dword v3, v5, s[0:3], 0 offen offset:4
	buffer_load_dword v4, v5, s[0:3], 0 offen offset:8
	s_nop 0
	buffer_load_dword v5, v5, s[0:3], 0 offen offset:12
	v_cmp_gt_u32_e32 vcc, 2, v0
	s_waitcnt vmcnt(0)
	ds_write_b128 v6, v[2:5]
	s_waitcnt lgkmcnt(0)
	; wave barrier
	s_waitcnt lgkmcnt(0)
	s_and_saveexec_b64 s[6:7], vcc
	s_cbranch_execz .LBB102_23
; %bb.20:
	buffer_load_dword v8, v12, s[0:3], 0 offen offset:8
	buffer_load_dword v9, v12, s[0:3], 0 offen offset:12
	buffer_load_dword v10, v12, s[0:3], 0 offen
	buffer_load_dword v11, v12, s[0:3], 0 offen offset:4
	ds_read_b128 v[2:5], v6
	s_waitcnt vmcnt(2) lgkmcnt(0)
	v_mul_f64 v[12:13], v[4:5], v[8:9]
	v_mul_f64 v[8:9], v[2:3], v[8:9]
	s_waitcnt vmcnt(0)
	v_fma_f64 v[2:3], v[2:3], v[10:11], -v[12:13]
	v_fmac_f64_e32 v[8:9], v[4:5], v[10:11]
	v_add_f64 v[4:5], v[2:3], 0
	v_add_f64 v[2:3], v[8:9], 0
	s_and_saveexec_b64 s[12:13], s[4:5]
	s_cbranch_execz .LBB102_22
; %bb.21:
	buffer_load_dword v12, off, s[0:3], 0 offset:40
	buffer_load_dword v13, off, s[0:3], 0 offset:44
	;; [unrolled: 1-line block ×4, first 2 shown]
	v_mov_b32_e32 v7, 0
	ds_read_b128 v[8:11], v7 offset:640
	s_waitcnt vmcnt(2) lgkmcnt(0)
	v_mul_f64 v[16:17], v[8:9], v[12:13]
	v_mul_f64 v[12:13], v[10:11], v[12:13]
	s_waitcnt vmcnt(0)
	v_fmac_f64_e32 v[16:17], v[10:11], v[14:15]
	v_fma_f64 v[8:9], v[8:9], v[14:15], -v[12:13]
	v_add_f64 v[2:3], v[2:3], v[16:17]
	v_add_f64 v[4:5], v[4:5], v[8:9]
.LBB102_22:
	s_or_b64 exec, exec, s[12:13]
	v_mov_b32_e32 v7, 0
	ds_read_b128 v[8:11], v7 offset:32
	s_waitcnt lgkmcnt(0)
	v_mul_f64 v[12:13], v[2:3], v[10:11]
	v_mul_f64 v[10:11], v[4:5], v[10:11]
	v_fma_f64 v[4:5], v[4:5], v[8:9], -v[12:13]
	v_fmac_f64_e32 v[10:11], v[2:3], v[8:9]
	buffer_store_dword v5, off, s[0:3], 0 offset:52
	buffer_store_dword v4, off, s[0:3], 0 offset:48
	;; [unrolled: 1-line block ×4, first 2 shown]
.LBB102_23:
	s_or_b64 exec, exec, s[6:7]
	v_accvgpr_read_b32 v5, a113
	s_waitcnt lgkmcnt(0)
	; wave barrier
	buffer_load_dword v2, v5, s[0:3], 0 offen
	buffer_load_dword v3, v5, s[0:3], 0 offen offset:4
	buffer_load_dword v4, v5, s[0:3], 0 offen offset:8
	s_nop 0
	buffer_load_dword v5, v5, s[0:3], 0 offen offset:12
	v_cmp_gt_u32_e32 vcc, 3, v0
	v_add_u32_e32 v7, -1, v0
	s_waitcnt vmcnt(0)
	ds_write_b128 v6, v[2:5]
	s_waitcnt lgkmcnt(0)
	; wave barrier
	s_waitcnt lgkmcnt(0)
	s_and_saveexec_b64 s[4:5], vcc
	s_cbranch_execz .LBB102_27
; %bb.24:
	v_pk_mov_b32 v[2:3], 0, 0
	v_add_u32_e32 v8, -1, v0
	v_add_u32_e32 v9, 0x270, v1
	v_add_u32_e32 v10, 16, v1
	s_mov_b64 s[6:7], 0
	v_pk_mov_b32 v[4:5], v[2:3], v[2:3] op_sel:[0,1]
.LBB102_25:                             ; =>This Inner Loop Header: Depth=1
	buffer_load_dword v16, v10, s[0:3], 0 offen offset:8
	buffer_load_dword v17, v10, s[0:3], 0 offen offset:12
	buffer_load_dword v18, v10, s[0:3], 0 offen
	buffer_load_dword v19, v10, s[0:3], 0 offen offset:4
	ds_read_b128 v[12:15], v9
	v_add_u32_e32 v8, 1, v8
	v_cmp_lt_u32_e32 vcc, 1, v8
	v_add_u32_e32 v9, 16, v9
	v_add_u32_e32 v10, 16, v10
	s_or_b64 s[6:7], vcc, s[6:7]
	s_waitcnt vmcnt(2) lgkmcnt(0)
	v_mul_f64 v[20:21], v[14:15], v[16:17]
	v_mul_f64 v[16:17], v[12:13], v[16:17]
	s_waitcnt vmcnt(0)
	v_fma_f64 v[12:13], v[12:13], v[18:19], -v[20:21]
	v_fmac_f64_e32 v[16:17], v[14:15], v[18:19]
	v_add_f64 v[4:5], v[4:5], v[12:13]
	v_add_f64 v[2:3], v[2:3], v[16:17]
	s_andn2_b64 exec, exec, s[6:7]
	s_cbranch_execnz .LBB102_25
; %bb.26:
	s_or_b64 exec, exec, s[6:7]
	v_mov_b32_e32 v8, 0
	ds_read_b128 v[8:11], v8 offset:48
	s_waitcnt lgkmcnt(0)
	v_mul_f64 v[12:13], v[2:3], v[10:11]
	v_mul_f64 v[10:11], v[4:5], v[10:11]
	v_fma_f64 v[4:5], v[4:5], v[8:9], -v[12:13]
	v_fmac_f64_e32 v[10:11], v[2:3], v[8:9]
	buffer_store_dword v5, off, s[0:3], 0 offset:68
	buffer_store_dword v4, off, s[0:3], 0 offset:64
	buffer_store_dword v11, off, s[0:3], 0 offset:76
	buffer_store_dword v10, off, s[0:3], 0 offset:72
.LBB102_27:
	s_or_b64 exec, exec, s[4:5]
	v_accvgpr_read_b32 v5, a112
	s_waitcnt lgkmcnt(0)
	; wave barrier
	buffer_load_dword v2, v5, s[0:3], 0 offen
	buffer_load_dword v3, v5, s[0:3], 0 offen offset:4
	buffer_load_dword v4, v5, s[0:3], 0 offen offset:8
	s_nop 0
	buffer_load_dword v5, v5, s[0:3], 0 offen offset:12
	v_cmp_gt_u32_e32 vcc, 4, v0
	s_waitcnt vmcnt(0)
	ds_write_b128 v6, v[2:5]
	s_waitcnt lgkmcnt(0)
	; wave barrier
	s_waitcnt lgkmcnt(0)
	s_and_saveexec_b64 s[4:5], vcc
	s_cbranch_execz .LBB102_31
; %bb.28:
	v_pk_mov_b32 v[2:3], 0, 0
	v_add_u32_e32 v8, -1, v0
	v_add_u32_e32 v9, 0x270, v1
	v_add_u32_e32 v10, 16, v1
	s_mov_b64 s[6:7], 0
	v_pk_mov_b32 v[4:5], v[2:3], v[2:3] op_sel:[0,1]
.LBB102_29:                             ; =>This Inner Loop Header: Depth=1
	buffer_load_dword v16, v10, s[0:3], 0 offen offset:8
	buffer_load_dword v17, v10, s[0:3], 0 offen offset:12
	buffer_load_dword v18, v10, s[0:3], 0 offen
	buffer_load_dword v19, v10, s[0:3], 0 offen offset:4
	ds_read_b128 v[12:15], v9
	v_add_u32_e32 v8, 1, v8
	v_cmp_lt_u32_e32 vcc, 2, v8
	v_add_u32_e32 v9, 16, v9
	v_add_u32_e32 v10, 16, v10
	s_or_b64 s[6:7], vcc, s[6:7]
	s_waitcnt vmcnt(2) lgkmcnt(0)
	v_mul_f64 v[20:21], v[14:15], v[16:17]
	v_mul_f64 v[16:17], v[12:13], v[16:17]
	s_waitcnt vmcnt(0)
	v_fma_f64 v[12:13], v[12:13], v[18:19], -v[20:21]
	v_fmac_f64_e32 v[16:17], v[14:15], v[18:19]
	v_add_f64 v[4:5], v[4:5], v[12:13]
	v_add_f64 v[2:3], v[2:3], v[16:17]
	s_andn2_b64 exec, exec, s[6:7]
	s_cbranch_execnz .LBB102_29
; %bb.30:
	s_or_b64 exec, exec, s[6:7]
	v_mov_b32_e32 v8, 0
	ds_read_b128 v[8:11], v8 offset:64
	s_waitcnt lgkmcnt(0)
	v_mul_f64 v[12:13], v[2:3], v[10:11]
	v_mul_f64 v[10:11], v[4:5], v[10:11]
	v_fma_f64 v[4:5], v[4:5], v[8:9], -v[12:13]
	v_fmac_f64_e32 v[10:11], v[2:3], v[8:9]
	buffer_store_dword v5, off, s[0:3], 0 offset:84
	buffer_store_dword v4, off, s[0:3], 0 offset:80
	buffer_store_dword v11, off, s[0:3], 0 offset:92
	buffer_store_dword v10, off, s[0:3], 0 offset:88
.LBB102_31:
	s_or_b64 exec, exec, s[4:5]
	v_accvgpr_read_b32 v5, a111
	s_waitcnt lgkmcnt(0)
	; wave barrier
	buffer_load_dword v2, v5, s[0:3], 0 offen
	buffer_load_dword v3, v5, s[0:3], 0 offen offset:4
	buffer_load_dword v4, v5, s[0:3], 0 offen offset:8
	s_nop 0
	buffer_load_dword v5, v5, s[0:3], 0 offen offset:12
	v_cmp_gt_u32_e32 vcc, 5, v0
	;; [unrolled: 59-line block ×19, first 2 shown]
	s_waitcnt vmcnt(0)
	ds_write_b128 v6, v[2:5]
	s_waitcnt lgkmcnt(0)
	; wave barrier
	s_waitcnt lgkmcnt(0)
	s_and_saveexec_b64 s[4:5], vcc
	s_cbranch_execz .LBB102_103
; %bb.100:
	v_pk_mov_b32 v[2:3], 0, 0
	v_add_u32_e32 v8, -1, v0
	v_add_u32_e32 v9, 0x270, v1
	v_add_u32_e32 v10, 16, v1
	s_mov_b64 s[6:7], 0
	v_pk_mov_b32 v[4:5], v[2:3], v[2:3] op_sel:[0,1]
.LBB102_101:                            ; =>This Inner Loop Header: Depth=1
	buffer_load_dword v16, v10, s[0:3], 0 offen offset:8
	buffer_load_dword v17, v10, s[0:3], 0 offen offset:12
	buffer_load_dword v18, v10, s[0:3], 0 offen
	buffer_load_dword v19, v10, s[0:3], 0 offen offset:4
	ds_read_b128 v[12:15], v9
	v_add_u32_e32 v8, 1, v8
	v_cmp_lt_u32_e32 vcc, 20, v8
	v_add_u32_e32 v9, 16, v9
	v_add_u32_e32 v10, 16, v10
	s_or_b64 s[6:7], vcc, s[6:7]
	s_waitcnt vmcnt(2) lgkmcnt(0)
	v_mul_f64 v[20:21], v[14:15], v[16:17]
	v_mul_f64 v[16:17], v[12:13], v[16:17]
	s_waitcnt vmcnt(0)
	v_fma_f64 v[12:13], v[12:13], v[18:19], -v[20:21]
	v_fmac_f64_e32 v[16:17], v[14:15], v[18:19]
	v_add_f64 v[4:5], v[4:5], v[12:13]
	v_add_f64 v[2:3], v[2:3], v[16:17]
	s_andn2_b64 exec, exec, s[6:7]
	s_cbranch_execnz .LBB102_101
; %bb.102:
	s_or_b64 exec, exec, s[6:7]
	v_mov_b32_e32 v8, 0
	ds_read_b128 v[8:11], v8 offset:352
	s_waitcnt lgkmcnt(0)
	v_mul_f64 v[12:13], v[2:3], v[10:11]
	v_mul_f64 v[10:11], v[4:5], v[10:11]
	v_fma_f64 v[4:5], v[4:5], v[8:9], -v[12:13]
	v_fmac_f64_e32 v[10:11], v[2:3], v[8:9]
	buffer_store_dword v5, off, s[0:3], 0 offset:372
	buffer_store_dword v4, off, s[0:3], 0 offset:368
	buffer_store_dword v11, off, s[0:3], 0 offset:380
	buffer_store_dword v10, off, s[0:3], 0 offset:376
.LBB102_103:
	s_or_b64 exec, exec, s[4:5]
	v_accvgpr_read_b32 v5, a93
	s_waitcnt lgkmcnt(0)
	; wave barrier
	buffer_load_dword v2, v5, s[0:3], 0 offen
	buffer_load_dword v3, v5, s[0:3], 0 offen offset:4
	buffer_load_dword v4, v5, s[0:3], 0 offen offset:8
	s_nop 0
	buffer_load_dword v5, v5, s[0:3], 0 offen offset:12
	v_cmp_gt_u32_e32 vcc, 23, v0
	s_waitcnt vmcnt(0)
	ds_write_b128 v6, v[2:5]
	s_waitcnt lgkmcnt(0)
	; wave barrier
	s_waitcnt lgkmcnt(0)
	s_and_saveexec_b64 s[4:5], vcc
	s_cbranch_execz .LBB102_107
; %bb.104:
	v_pk_mov_b32 v[2:3], 0, 0
	v_add_u32_e32 v8, -1, v0
	v_add_u32_e32 v9, 0x270, v1
	v_add_u32_e32 v10, 16, v1
	s_mov_b64 s[6:7], 0
	v_pk_mov_b32 v[4:5], v[2:3], v[2:3] op_sel:[0,1]
.LBB102_105:                            ; =>This Inner Loop Header: Depth=1
	buffer_load_dword v16, v10, s[0:3], 0 offen offset:8
	buffer_load_dword v17, v10, s[0:3], 0 offen offset:12
	buffer_load_dword v18, v10, s[0:3], 0 offen
	buffer_load_dword v19, v10, s[0:3], 0 offen offset:4
	ds_read_b128 v[12:15], v9
	v_add_u32_e32 v8, 1, v8
	v_cmp_lt_u32_e32 vcc, 21, v8
	v_add_u32_e32 v9, 16, v9
	v_add_u32_e32 v10, 16, v10
	s_or_b64 s[6:7], vcc, s[6:7]
	s_waitcnt vmcnt(2) lgkmcnt(0)
	v_mul_f64 v[20:21], v[14:15], v[16:17]
	v_mul_f64 v[16:17], v[12:13], v[16:17]
	s_waitcnt vmcnt(0)
	v_fma_f64 v[12:13], v[12:13], v[18:19], -v[20:21]
	v_fmac_f64_e32 v[16:17], v[14:15], v[18:19]
	v_add_f64 v[4:5], v[4:5], v[12:13]
	v_add_f64 v[2:3], v[2:3], v[16:17]
	s_andn2_b64 exec, exec, s[6:7]
	s_cbranch_execnz .LBB102_105
; %bb.106:
	s_or_b64 exec, exec, s[6:7]
	v_mov_b32_e32 v8, 0
	ds_read_b128 v[8:11], v8 offset:368
	s_waitcnt lgkmcnt(0)
	v_mul_f64 v[12:13], v[2:3], v[10:11]
	v_mul_f64 v[10:11], v[4:5], v[10:11]
	v_fma_f64 v[4:5], v[4:5], v[8:9], -v[12:13]
	v_fmac_f64_e32 v[10:11], v[2:3], v[8:9]
	buffer_store_dword v5, off, s[0:3], 0 offset:388
	buffer_store_dword v4, off, s[0:3], 0 offset:384
	buffer_store_dword v11, off, s[0:3], 0 offset:396
	buffer_store_dword v10, off, s[0:3], 0 offset:392
.LBB102_107:
	s_or_b64 exec, exec, s[4:5]
	v_accvgpr_read_b32 v5, a92
	s_waitcnt lgkmcnt(0)
	; wave barrier
	buffer_load_dword v2, v5, s[0:3], 0 offen
	buffer_load_dword v3, v5, s[0:3], 0 offen offset:4
	buffer_load_dword v4, v5, s[0:3], 0 offen offset:8
	s_nop 0
	buffer_load_dword v5, v5, s[0:3], 0 offen offset:12
	v_cmp_gt_u32_e32 vcc, 24, v0
	;; [unrolled: 59-line block ×15, first 2 shown]
	s_waitcnt vmcnt(0)
	ds_write_b128 v6, v[2:5]
	s_waitcnt lgkmcnt(0)
	; wave barrier
	s_waitcnt lgkmcnt(0)
	s_and_saveexec_b64 s[4:5], vcc
	s_cbranch_execz .LBB102_163
; %bb.160:
	v_pk_mov_b32 v[2:3], 0, 0
	v_add_u32_e32 v8, -1, v0
	v_add_u32_e32 v9, 0x270, v1
	v_add_u32_e32 v10, 16, v1
	s_mov_b64 s[6:7], 0
	v_pk_mov_b32 v[4:5], v[2:3], v[2:3] op_sel:[0,1]
.LBB102_161:                            ; =>This Inner Loop Header: Depth=1
	buffer_load_dword v16, v10, s[0:3], 0 offen offset:8
	buffer_load_dword v17, v10, s[0:3], 0 offen offset:12
	buffer_load_dword v18, v10, s[0:3], 0 offen
	buffer_load_dword v19, v10, s[0:3], 0 offen offset:4
	ds_read_b128 v[12:15], v9
	v_add_u32_e32 v8, 1, v8
	v_cmp_lt_u32_e32 vcc, 35, v8
	v_add_u32_e32 v9, 16, v9
	v_add_u32_e32 v10, 16, v10
	s_or_b64 s[6:7], vcc, s[6:7]
	s_waitcnt vmcnt(2) lgkmcnt(0)
	v_mul_f64 v[20:21], v[14:15], v[16:17]
	v_mul_f64 v[16:17], v[12:13], v[16:17]
	s_waitcnt vmcnt(0)
	v_fma_f64 v[12:13], v[12:13], v[18:19], -v[20:21]
	v_fmac_f64_e32 v[16:17], v[14:15], v[18:19]
	v_add_f64 v[4:5], v[4:5], v[12:13]
	v_add_f64 v[2:3], v[2:3], v[16:17]
	s_andn2_b64 exec, exec, s[6:7]
	s_cbranch_execnz .LBB102_161
; %bb.162:
	s_or_b64 exec, exec, s[6:7]
	v_mov_b32_e32 v8, 0
	ds_read_b128 v[8:11], v8 offset:592
	s_waitcnt lgkmcnt(0)
	v_mul_f64 v[12:13], v[2:3], v[10:11]
	v_mul_f64 v[10:11], v[4:5], v[10:11]
	v_fma_f64 v[4:5], v[4:5], v[8:9], -v[12:13]
	v_fmac_f64_e32 v[10:11], v[2:3], v[8:9]
	buffer_store_dword v5, off, s[0:3], 0 offset:612
	buffer_store_dword v4, off, s[0:3], 0 offset:608
	;; [unrolled: 1-line block ×4, first 2 shown]
.LBB102_163:
	s_or_b64 exec, exec, s[4:5]
	v_accvgpr_read_b32 v5, a78
	s_waitcnt lgkmcnt(0)
	; wave barrier
	buffer_load_dword v2, v5, s[0:3], 0 offen
	buffer_load_dword v3, v5, s[0:3], 0 offen offset:4
	buffer_load_dword v4, v5, s[0:3], 0 offen offset:8
	s_nop 0
	buffer_load_dword v5, v5, s[0:3], 0 offen offset:12
	v_cmp_ne_u32_e32 vcc, 38, v0
	s_waitcnt vmcnt(0)
	ds_write_b128 v6, v[2:5]
	s_waitcnt lgkmcnt(0)
	; wave barrier
	s_waitcnt lgkmcnt(0)
	s_and_saveexec_b64 s[4:5], vcc
	s_cbranch_execz .LBB102_167
; %bb.164:
	v_pk_mov_b32 v[2:3], 0, 0
	v_add_u32_e32 v6, 0x270, v1
	v_add_u32_e32 v1, 16, v1
	s_mov_b64 s[6:7], 0
	v_pk_mov_b32 v[4:5], v[2:3], v[2:3] op_sel:[0,1]
.LBB102_165:                            ; =>This Inner Loop Header: Depth=1
	buffer_load_dword v12, v1, s[0:3], 0 offen offset:8
	buffer_load_dword v13, v1, s[0:3], 0 offen offset:12
	buffer_load_dword v14, v1, s[0:3], 0 offen
	buffer_load_dword v15, v1, s[0:3], 0 offen offset:4
	ds_read_b128 v[8:11], v6
	v_add_u32_e32 v7, 1, v7
	v_cmp_lt_u32_e32 vcc, 36, v7
	v_add_u32_e32 v6, 16, v6
	v_add_u32_e32 v1, 16, v1
	s_or_b64 s[6:7], vcc, s[6:7]
	s_waitcnt vmcnt(2) lgkmcnt(0)
	v_mul_f64 v[16:17], v[10:11], v[12:13]
	v_mul_f64 v[12:13], v[8:9], v[12:13]
	s_waitcnt vmcnt(0)
	v_fma_f64 v[8:9], v[8:9], v[14:15], -v[16:17]
	v_fmac_f64_e32 v[12:13], v[10:11], v[14:15]
	v_add_f64 v[4:5], v[4:5], v[8:9]
	v_add_f64 v[2:3], v[2:3], v[12:13]
	s_andn2_b64 exec, exec, s[6:7]
	s_cbranch_execnz .LBB102_165
; %bb.166:
	s_or_b64 exec, exec, s[6:7]
	v_mov_b32_e32 v1, 0
	ds_read_b128 v[6:9], v1 offset:608
	s_waitcnt lgkmcnt(0)
	v_mul_f64 v[10:11], v[2:3], v[8:9]
	v_mul_f64 v[8:9], v[4:5], v[8:9]
	v_fma_f64 v[4:5], v[4:5], v[6:7], -v[10:11]
	v_fmac_f64_e32 v[8:9], v[2:3], v[6:7]
	buffer_store_dword v5, off, s[0:3], 0 offset:628
	buffer_store_dword v4, off, s[0:3], 0 offset:624
	;; [unrolled: 1-line block ×4, first 2 shown]
.LBB102_167:
	s_or_b64 exec, exec, s[4:5]
	s_mov_b64 s[6:7], -1
	s_waitcnt lgkmcnt(0)
	; wave barrier
.LBB102_168:
	s_and_b64 vcc, exec, s[6:7]
	s_cbranch_vccz .LBB102_170
; %bb.169:
	s_lshl_b64 s[4:5], s[8:9], 2
	s_add_u32 s4, s14, s4
	s_addc_u32 s5, s15, s5
	v_mov_b32_e32 v1, 0
	global_load_dword v1, v1, s[4:5]
	s_waitcnt vmcnt(0)
	v_cmp_ne_u32_e32 vcc, 0, v1
	s_cbranch_vccz .LBB102_171
.LBB102_170:
	s_endpgm
.LBB102_171:
	v_mov_b32_e32 v1, 0x270
	v_lshl_add_u32 v1, v0, 4, v1
	v_accvgpr_write_b32 a116, v1
	v_cmp_eq_u32_e32 vcc, 38, v0
	s_and_saveexec_b64 s[4:5], vcc
	s_cbranch_execz .LBB102_173
; %bb.172:
	v_accvgpr_read_b32 v1, a79
	buffer_load_dword v2, v1, s[0:3], 0 offen
	buffer_load_dword v3, v1, s[0:3], 0 offen offset:4
	buffer_load_dword v4, v1, s[0:3], 0 offen offset:8
	;; [unrolled: 1-line block ×3, first 2 shown]
	v_mov_b32_e32 v1, 0
	v_accvgpr_read_b32 v6, a116
	buffer_store_dword v1, off, s[0:3], 0 offset:608
	buffer_store_dword v1, off, s[0:3], 0 offset:612
	;; [unrolled: 1-line block ×4, first 2 shown]
	s_waitcnt vmcnt(4)
	ds_write_b128 v6, v[2:5]
.LBB102_173:
	s_or_b64 exec, exec, s[4:5]
	s_waitcnt lgkmcnt(0)
	; wave barrier
	s_waitcnt lgkmcnt(0)
	buffer_load_dword v6, off, s[0:3], 0 offset:632
	buffer_load_dword v7, off, s[0:3], 0 offset:636
	;; [unrolled: 1-line block ×8, first 2 shown]
	v_mov_b32_e32 v1, 0
	ds_read_b128 v[2:5], v1 offset:1232
	v_cmp_lt_u32_e32 vcc, 36, v0
	s_waitcnt vmcnt(6) lgkmcnt(0)
	v_mul_f64 v[14:15], v[2:3], v[6:7]
	v_mul_f64 v[6:7], v[4:5], v[6:7]
	s_waitcnt vmcnt(4)
	v_fma_f64 v[2:3], v[2:3], v[8:9], -v[6:7]
	v_fmac_f64_e32 v[14:15], v[4:5], v[8:9]
	v_add_f64 v[2:3], v[2:3], 0
	v_add_f64 v[4:5], v[14:15], 0
	s_waitcnt vmcnt(2)
	v_add_f64 v[2:3], v[10:11], -v[2:3]
	s_waitcnt vmcnt(0)
	v_add_f64 v[4:5], v[12:13], -v[4:5]
	buffer_store_dword v2, off, s[0:3], 0 offset:608
	buffer_store_dword v3, off, s[0:3], 0 offset:612
	;; [unrolled: 1-line block ×4, first 2 shown]
	s_and_saveexec_b64 s[4:5], vcc
	s_cbranch_execz .LBB102_175
; %bb.174:
	v_accvgpr_read_b32 v5, a80
	buffer_load_dword v2, v5, s[0:3], 0 offen
	buffer_load_dword v3, v5, s[0:3], 0 offen offset:4
	buffer_load_dword v4, v5, s[0:3], 0 offen offset:8
	s_nop 0
	buffer_load_dword v5, v5, s[0:3], 0 offen offset:12
	v_accvgpr_read_b32 v6, a116
	buffer_store_dword v1, off, s[0:3], 0 offset:592
	buffer_store_dword v1, off, s[0:3], 0 offset:596
	;; [unrolled: 1-line block ×4, first 2 shown]
	s_waitcnt vmcnt(4)
	ds_write_b128 v6, v[2:5]
.LBB102_175:
	s_or_b64 exec, exec, s[4:5]
	s_waitcnt lgkmcnt(0)
	; wave barrier
	s_waitcnt lgkmcnt(0)
	buffer_load_dword v10, off, s[0:3], 0 offset:616
	buffer_load_dword v11, off, s[0:3], 0 offset:620
	;; [unrolled: 1-line block ×12, first 2 shown]
	ds_read_b128 v[2:5], v1 offset:1216
	ds_read_b128 v[6:9], v1 offset:1232
	v_cmp_lt_u32_e32 vcc, 35, v0
	s_waitcnt vmcnt(10) lgkmcnt(1)
	v_mul_f64 v[22:23], v[2:3], v[10:11]
	v_mul_f64 v[10:11], v[4:5], v[10:11]
	s_waitcnt vmcnt(8) lgkmcnt(0)
	v_mul_f64 v[24:25], v[6:7], v[12:13]
	v_mul_f64 v[12:13], v[8:9], v[12:13]
	s_waitcnt vmcnt(6)
	v_fma_f64 v[2:3], v[2:3], v[14:15], -v[10:11]
	v_fmac_f64_e32 v[22:23], v[4:5], v[14:15]
	s_waitcnt vmcnt(4)
	v_fma_f64 v[4:5], v[6:7], v[16:17], -v[12:13]
	v_add_f64 v[2:3], v[2:3], 0
	v_fmac_f64_e32 v[24:25], v[8:9], v[16:17]
	v_add_f64 v[6:7], v[22:23], 0
	v_add_f64 v[2:3], v[2:3], v[4:5]
	;; [unrolled: 1-line block ×3, first 2 shown]
	s_waitcnt vmcnt(2)
	v_add_f64 v[2:3], v[18:19], -v[2:3]
	s_waitcnt vmcnt(0)
	v_add_f64 v[4:5], v[20:21], -v[6:7]
	buffer_store_dword v2, off, s[0:3], 0 offset:592
	buffer_store_dword v3, off, s[0:3], 0 offset:596
	buffer_store_dword v4, off, s[0:3], 0 offset:600
	buffer_store_dword v5, off, s[0:3], 0 offset:604
	s_and_saveexec_b64 s[4:5], vcc
	s_cbranch_execz .LBB102_177
; %bb.176:
	v_accvgpr_read_b32 v1, a81
	buffer_load_dword v2, v1, s[0:3], 0 offen
	buffer_load_dword v3, v1, s[0:3], 0 offen offset:4
	buffer_load_dword v4, v1, s[0:3], 0 offen offset:8
	;; [unrolled: 1-line block ×3, first 2 shown]
	v_mov_b32_e32 v1, 0
	v_accvgpr_read_b32 v6, a116
	buffer_store_dword v1, off, s[0:3], 0 offset:576
	buffer_store_dword v1, off, s[0:3], 0 offset:580
	;; [unrolled: 1-line block ×4, first 2 shown]
	s_waitcnt vmcnt(4)
	ds_write_b128 v6, v[2:5]
.LBB102_177:
	s_or_b64 exec, exec, s[4:5]
	s_waitcnt lgkmcnt(0)
	; wave barrier
	s_waitcnt lgkmcnt(0)
	buffer_load_dword v14, off, s[0:3], 0 offset:600
	buffer_load_dword v15, off, s[0:3], 0 offset:604
	;; [unrolled: 1-line block ×16, first 2 shown]
	v_mov_b32_e32 v1, 0
	ds_read_b128 v[2:5], v1 offset:1200
	ds_read_b128 v[6:9], v1 offset:1216
	;; [unrolled: 1-line block ×3, first 2 shown]
	v_cmp_lt_u32_e32 vcc, 34, v0
	s_waitcnt vmcnt(14) lgkmcnt(2)
	v_mul_f64 v[30:31], v[2:3], v[14:15]
	v_mul_f64 v[14:15], v[4:5], v[14:15]
	s_waitcnt vmcnt(12) lgkmcnt(1)
	v_mul_f64 v[32:33], v[6:7], v[16:17]
	v_mul_f64 v[16:17], v[8:9], v[16:17]
	;; [unrolled: 3-line block ×3, first 2 shown]
	s_waitcnt vmcnt(8)
	v_fma_f64 v[2:3], v[2:3], v[20:21], -v[14:15]
	v_fmac_f64_e32 v[30:31], v[4:5], v[20:21]
	s_waitcnt vmcnt(6)
	v_fma_f64 v[4:5], v[6:7], v[22:23], -v[16:17]
	v_add_f64 v[2:3], v[2:3], 0
	v_fmac_f64_e32 v[32:33], v[8:9], v[22:23]
	s_waitcnt vmcnt(4)
	v_fma_f64 v[6:7], v[10:11], v[24:25], -v[18:19]
	v_add_f64 v[8:9], v[30:31], 0
	v_add_f64 v[2:3], v[2:3], v[4:5]
	v_fmac_f64_e32 v[34:35], v[12:13], v[24:25]
	v_add_f64 v[8:9], v[8:9], v[32:33]
	v_add_f64 v[2:3], v[2:3], v[6:7]
	;; [unrolled: 1-line block ×3, first 2 shown]
	s_waitcnt vmcnt(2)
	v_add_f64 v[2:3], v[26:27], -v[2:3]
	s_waitcnt vmcnt(0)
	v_add_f64 v[4:5], v[28:29], -v[4:5]
	buffer_store_dword v2, off, s[0:3], 0 offset:576
	buffer_store_dword v3, off, s[0:3], 0 offset:580
	;; [unrolled: 1-line block ×4, first 2 shown]
	s_and_saveexec_b64 s[4:5], vcc
	s_cbranch_execz .LBB102_179
; %bb.178:
	v_accvgpr_read_b32 v5, a82
	buffer_load_dword v2, v5, s[0:3], 0 offen
	buffer_load_dword v3, v5, s[0:3], 0 offen offset:4
	buffer_load_dword v4, v5, s[0:3], 0 offen offset:8
	s_nop 0
	buffer_load_dword v5, v5, s[0:3], 0 offen offset:12
	v_accvgpr_read_b32 v6, a116
	buffer_store_dword v1, off, s[0:3], 0 offset:560
	buffer_store_dword v1, off, s[0:3], 0 offset:564
	;; [unrolled: 1-line block ×4, first 2 shown]
	s_waitcnt vmcnt(4)
	ds_write_b128 v6, v[2:5]
.LBB102_179:
	s_or_b64 exec, exec, s[4:5]
	s_waitcnt lgkmcnt(0)
	; wave barrier
	s_waitcnt lgkmcnt(0)
	buffer_load_dword v18, off, s[0:3], 0 offset:584
	buffer_load_dword v19, off, s[0:3], 0 offset:588
	;; [unrolled: 1-line block ×20, first 2 shown]
	ds_read_b128 v[2:5], v1 offset:1184
	ds_read_b128 v[6:9], v1 offset:1200
	;; [unrolled: 1-line block ×4, first 2 shown]
	v_cmp_lt_u32_e32 vcc, 33, v0
	s_waitcnt vmcnt(18) lgkmcnt(3)
	v_mul_f64 v[38:39], v[2:3], v[18:19]
	v_mul_f64 v[18:19], v[4:5], v[18:19]
	s_waitcnt vmcnt(16) lgkmcnt(2)
	v_mul_f64 v[40:41], v[6:7], v[20:21]
	v_mul_f64 v[20:21], v[8:9], v[20:21]
	;; [unrolled: 3-line block ×4, first 2 shown]
	s_waitcnt vmcnt(10)
	v_fma_f64 v[2:3], v[2:3], v[26:27], -v[18:19]
	v_fmac_f64_e32 v[38:39], v[4:5], v[26:27]
	s_waitcnt vmcnt(8)
	v_fma_f64 v[4:5], v[6:7], v[28:29], -v[20:21]
	v_add_f64 v[2:3], v[2:3], 0
	v_fmac_f64_e32 v[40:41], v[8:9], v[28:29]
	s_waitcnt vmcnt(6)
	v_fma_f64 v[6:7], v[10:11], v[30:31], -v[22:23]
	v_add_f64 v[10:11], v[38:39], 0
	v_add_f64 v[2:3], v[2:3], v[4:5]
	v_fmac_f64_e32 v[42:43], v[12:13], v[30:31]
	s_waitcnt vmcnt(4)
	v_fma_f64 v[8:9], v[14:15], v[32:33], -v[24:25]
	v_add_f64 v[10:11], v[10:11], v[40:41]
	v_add_f64 v[2:3], v[2:3], v[6:7]
	v_fmac_f64_e32 v[44:45], v[16:17], v[32:33]
	v_add_f64 v[4:5], v[10:11], v[42:43]
	v_add_f64 v[2:3], v[2:3], v[8:9]
	;; [unrolled: 1-line block ×3, first 2 shown]
	s_waitcnt vmcnt(2)
	v_add_f64 v[2:3], v[34:35], -v[2:3]
	s_waitcnt vmcnt(0)
	v_add_f64 v[4:5], v[36:37], -v[4:5]
	buffer_store_dword v2, off, s[0:3], 0 offset:560
	buffer_store_dword v3, off, s[0:3], 0 offset:564
	;; [unrolled: 1-line block ×4, first 2 shown]
	s_and_saveexec_b64 s[4:5], vcc
	s_cbranch_execz .LBB102_181
; %bb.180:
	v_accvgpr_read_b32 v1, a83
	buffer_load_dword v2, v1, s[0:3], 0 offen
	buffer_load_dword v3, v1, s[0:3], 0 offen offset:4
	buffer_load_dword v4, v1, s[0:3], 0 offen offset:8
	;; [unrolled: 1-line block ×3, first 2 shown]
	v_mov_b32_e32 v1, 0
	v_accvgpr_read_b32 v6, a116
	buffer_store_dword v1, off, s[0:3], 0 offset:544
	buffer_store_dword v1, off, s[0:3], 0 offset:548
	;; [unrolled: 1-line block ×4, first 2 shown]
	s_waitcnt vmcnt(4)
	ds_write_b128 v6, v[2:5]
.LBB102_181:
	s_or_b64 exec, exec, s[4:5]
	s_waitcnt lgkmcnt(0)
	; wave barrier
	s_waitcnt lgkmcnt(0)
	buffer_load_dword v22, off, s[0:3], 0 offset:568
	buffer_load_dword v23, off, s[0:3], 0 offset:572
	;; [unrolled: 1-line block ×24, first 2 shown]
	v_mov_b32_e32 v1, 0
	ds_read_b128 v[2:5], v1 offset:1168
	ds_read_b128 v[6:9], v1 offset:1184
	;; [unrolled: 1-line block ×5, first 2 shown]
	v_cmp_lt_u32_e32 vcc, 32, v0
	s_waitcnt vmcnt(22) lgkmcnt(4)
	v_mul_f64 v[46:47], v[2:3], v[22:23]
	v_mul_f64 v[22:23], v[4:5], v[22:23]
	s_waitcnt vmcnt(20) lgkmcnt(3)
	v_mul_f64 v[48:49], v[6:7], v[24:25]
	v_mul_f64 v[24:25], v[8:9], v[24:25]
	;; [unrolled: 3-line block ×4, first 2 shown]
	s_waitcnt vmcnt(13) lgkmcnt(0)
	v_mul_f64 v[54:55], v[18:19], v[28:29]
	s_waitcnt vmcnt(11)
	v_fma_f64 v[2:3], v[2:3], v[34:35], -v[22:23]
	v_fmac_f64_e32 v[46:47], v[4:5], v[34:35]
	s_waitcnt vmcnt(9)
	v_fma_f64 v[4:5], v[6:7], v[36:37], -v[24:25]
	v_add_f64 v[2:3], v[2:3], 0
	v_fmac_f64_e32 v[48:49], v[8:9], v[36:37]
	s_waitcnt vmcnt(7)
	v_fmac_f64_e32 v[50:51], v[12:13], v[38:39]
	v_fma_f64 v[6:7], v[10:11], v[38:39], -v[26:27]
	v_add_f64 v[12:13], v[46:47], 0
	v_add_f64 v[2:3], v[2:3], v[4:5]
	v_mul_f64 v[28:29], v[20:21], v[28:29]
	s_waitcnt vmcnt(5)
	v_fma_f64 v[8:9], v[14:15], v[40:41], -v[32:33]
	v_add_f64 v[12:13], v[12:13], v[48:49]
	v_add_f64 v[2:3], v[2:3], v[6:7]
	v_fmac_f64_e32 v[52:53], v[16:17], v[40:41]
	s_waitcnt vmcnt(4)
	v_fma_f64 v[10:11], v[18:19], v[30:31], -v[28:29]
	v_add_f64 v[4:5], v[12:13], v[50:51]
	v_add_f64 v[2:3], v[2:3], v[8:9]
	v_fmac_f64_e32 v[54:55], v[20:21], v[30:31]
	v_add_f64 v[4:5], v[4:5], v[52:53]
	v_add_f64 v[2:3], v[2:3], v[10:11]
	;; [unrolled: 1-line block ×3, first 2 shown]
	s_waitcnt vmcnt(2)
	v_add_f64 v[2:3], v[42:43], -v[2:3]
	s_waitcnt vmcnt(0)
	v_add_f64 v[4:5], v[44:45], -v[4:5]
	buffer_store_dword v3, off, s[0:3], 0 offset:548
	buffer_store_dword v2, off, s[0:3], 0 offset:544
	;; [unrolled: 1-line block ×4, first 2 shown]
	s_and_saveexec_b64 s[4:5], vcc
	s_cbranch_execz .LBB102_183
; %bb.182:
	v_accvgpr_read_b32 v5, a84
	buffer_load_dword v2, v5, s[0:3], 0 offen
	buffer_load_dword v3, v5, s[0:3], 0 offen offset:4
	buffer_load_dword v4, v5, s[0:3], 0 offen offset:8
	s_nop 0
	buffer_load_dword v5, v5, s[0:3], 0 offen offset:12
	v_accvgpr_read_b32 v6, a116
	buffer_store_dword v1, off, s[0:3], 0 offset:528
	buffer_store_dword v1, off, s[0:3], 0 offset:532
	;; [unrolled: 1-line block ×4, first 2 shown]
	s_waitcnt vmcnt(4)
	ds_write_b128 v6, v[2:5]
.LBB102_183:
	s_or_b64 exec, exec, s[4:5]
	s_waitcnt lgkmcnt(0)
	; wave barrier
	s_waitcnt lgkmcnt(0)
	buffer_load_dword v26, off, s[0:3], 0 offset:552
	buffer_load_dword v27, off, s[0:3], 0 offset:556
	;; [unrolled: 1-line block ×28, first 2 shown]
	ds_read_b128 v[2:5], v1 offset:1152
	ds_read_b128 v[6:9], v1 offset:1168
	;; [unrolled: 1-line block ×6, first 2 shown]
	v_cmp_lt_u32_e32 vcc, 31, v0
	s_waitcnt vmcnt(26) lgkmcnt(5)
	v_mul_f64 v[54:55], v[2:3], v[26:27]
	v_mul_f64 v[26:27], v[4:5], v[26:27]
	s_waitcnt vmcnt(24) lgkmcnt(4)
	v_mul_f64 v[56:57], v[6:7], v[28:29]
	v_mul_f64 v[28:29], v[8:9], v[28:29]
	;; [unrolled: 3-line block ×4, first 2 shown]
	s_waitcnt vmcnt(17)
	v_mul_f64 v[60:61], v[14:15], v[36:37]
	v_mul_f64 v[36:37], v[16:17], v[36:37]
	s_waitcnt vmcnt(15) lgkmcnt(0)
	v_mul_f64 v[64:65], v[22:23], v[38:39]
	v_mul_f64 v[38:39], v[24:25], v[38:39]
	s_waitcnt vmcnt(14)
	v_fmac_f64_e32 v[62:63], v[20:21], v[34:35]
	s_waitcnt vmcnt(12)
	v_fma_f64 v[2:3], v[2:3], v[40:41], -v[26:27]
	v_fmac_f64_e32 v[54:55], v[4:5], v[40:41]
	s_waitcnt vmcnt(10)
	v_fma_f64 v[4:5], v[6:7], v[42:43], -v[28:29]
	v_add_f64 v[2:3], v[2:3], 0
	v_fmac_f64_e32 v[56:57], v[8:9], v[42:43]
	s_waitcnt vmcnt(8)
	v_fma_f64 v[6:7], v[10:11], v[44:45], -v[30:31]
	s_waitcnt vmcnt(6)
	v_fma_f64 v[8:9], v[14:15], v[46:47], -v[36:37]
	v_add_f64 v[14:15], v[54:55], 0
	v_add_f64 v[2:3], v[2:3], v[4:5]
	v_fmac_f64_e32 v[58:59], v[12:13], v[44:45]
	v_add_f64 v[14:15], v[14:15], v[56:57]
	v_add_f64 v[2:3], v[2:3], v[6:7]
	v_fmac_f64_e32 v[60:61], v[16:17], v[46:47]
	v_fma_f64 v[10:11], v[18:19], v[34:35], -v[32:33]
	v_add_f64 v[4:5], v[14:15], v[58:59]
	v_add_f64 v[2:3], v[2:3], v[8:9]
	s_waitcnt vmcnt(4)
	v_fma_f64 v[12:13], v[22:23], v[48:49], -v[38:39]
	v_add_f64 v[4:5], v[4:5], v[60:61]
	v_add_f64 v[2:3], v[2:3], v[10:11]
	v_fmac_f64_e32 v[64:65], v[24:25], v[48:49]
	v_add_f64 v[4:5], v[4:5], v[62:63]
	v_add_f64 v[2:3], v[2:3], v[12:13]
	v_add_f64 v[4:5], v[4:5], v[64:65]
	s_waitcnt vmcnt(2)
	v_add_f64 v[2:3], v[50:51], -v[2:3]
	s_waitcnt vmcnt(0)
	v_add_f64 v[4:5], v[52:53], -v[4:5]
	buffer_store_dword v3, off, s[0:3], 0 offset:532
	buffer_store_dword v2, off, s[0:3], 0 offset:528
	;; [unrolled: 1-line block ×4, first 2 shown]
	s_and_saveexec_b64 s[4:5], vcc
	s_cbranch_execz .LBB102_185
; %bb.184:
	v_accvgpr_read_b32 v1, a85
	buffer_load_dword v2, v1, s[0:3], 0 offen
	buffer_load_dword v3, v1, s[0:3], 0 offen offset:4
	buffer_load_dword v4, v1, s[0:3], 0 offen offset:8
	;; [unrolled: 1-line block ×3, first 2 shown]
	v_mov_b32_e32 v1, 0
	v_accvgpr_read_b32 v6, a116
	buffer_store_dword v1, off, s[0:3], 0 offset:512
	buffer_store_dword v1, off, s[0:3], 0 offset:516
	;; [unrolled: 1-line block ×4, first 2 shown]
	s_waitcnt vmcnt(4)
	ds_write_b128 v6, v[2:5]
.LBB102_185:
	s_or_b64 exec, exec, s[4:5]
	s_waitcnt lgkmcnt(0)
	; wave barrier
	s_waitcnt lgkmcnt(0)
	buffer_load_dword v30, off, s[0:3], 0 offset:536
	buffer_load_dword v31, off, s[0:3], 0 offset:540
	;; [unrolled: 1-line block ×32, first 2 shown]
	v_mov_b32_e32 v1, 0
	ds_read_b128 v[2:5], v1 offset:1136
	ds_read_b128 v[6:9], v1 offset:1152
	;; [unrolled: 1-line block ×7, first 2 shown]
	v_cmp_lt_u32_e32 vcc, 30, v0
	s_waitcnt vmcnt(30) lgkmcnt(6)
	v_mul_f64 v[62:63], v[2:3], v[30:31]
	v_mul_f64 v[30:31], v[4:5], v[30:31]
	s_waitcnt vmcnt(28) lgkmcnt(5)
	v_mul_f64 v[64:65], v[6:7], v[32:33]
	v_mul_f64 v[32:33], v[8:9], v[32:33]
	;; [unrolled: 3-line block ×4, first 2 shown]
	s_waitcnt vmcnt(21)
	v_mul_f64 v[68:69], v[14:15], v[40:41]
	v_mul_f64 v[40:41], v[16:17], v[40:41]
	s_waitcnt vmcnt(17) lgkmcnt(1)
	v_mul_f64 v[72:73], v[22:23], v[46:47]
	v_mul_f64 v[46:47], v[24:25], v[46:47]
	s_waitcnt vmcnt(16) lgkmcnt(0)
	v_mul_f64 v[74:75], v[26:27], v[42:43]
	v_mul_f64 v[42:43], v[28:29], v[42:43]
	s_waitcnt vmcnt(13)
	v_fma_f64 v[2:3], v[2:3], v[48:49], -v[30:31]
	v_fmac_f64_e32 v[62:63], v[4:5], v[48:49]
	s_waitcnt vmcnt(11)
	v_fma_f64 v[4:5], v[6:7], v[50:51], -v[32:33]
	v_add_f64 v[2:3], v[2:3], 0
	v_fmac_f64_e32 v[64:65], v[8:9], v[50:51]
	s_waitcnt vmcnt(9)
	v_fma_f64 v[6:7], v[10:11], v[52:53], -v[34:35]
	s_waitcnt vmcnt(7)
	v_fmac_f64_e32 v[68:69], v[16:17], v[54:55]
	v_add_f64 v[16:17], v[62:63], 0
	v_add_f64 v[2:3], v[2:3], v[4:5]
	v_fmac_f64_e32 v[66:67], v[12:13], v[52:53]
	v_fma_f64 v[8:9], v[14:15], v[54:55], -v[40:41]
	v_add_f64 v[16:17], v[16:17], v[64:65]
	v_add_f64 v[2:3], v[2:3], v[6:7]
	v_fma_f64 v[10:11], v[18:19], v[38:39], -v[36:37]
	v_add_f64 v[4:5], v[16:17], v[66:67]
	v_add_f64 v[2:3], v[2:3], v[8:9]
	v_fmac_f64_e32 v[70:71], v[20:21], v[38:39]
	s_waitcnt vmcnt(5)
	v_fma_f64 v[12:13], v[22:23], v[56:57], -v[46:47]
	v_add_f64 v[4:5], v[4:5], v[68:69]
	v_add_f64 v[2:3], v[2:3], v[10:11]
	v_fmac_f64_e32 v[72:73], v[24:25], v[56:57]
	s_waitcnt vmcnt(4)
	v_fma_f64 v[14:15], v[26:27], v[44:45], -v[42:43]
	v_add_f64 v[4:5], v[4:5], v[70:71]
	v_add_f64 v[2:3], v[2:3], v[12:13]
	v_fmac_f64_e32 v[74:75], v[28:29], v[44:45]
	v_add_f64 v[4:5], v[4:5], v[72:73]
	v_add_f64 v[2:3], v[2:3], v[14:15]
	v_add_f64 v[4:5], v[4:5], v[74:75]
	s_waitcnt vmcnt(2)
	v_add_f64 v[2:3], v[58:59], -v[2:3]
	s_waitcnt vmcnt(0)
	v_add_f64 v[4:5], v[60:61], -v[4:5]
	buffer_store_dword v3, off, s[0:3], 0 offset:516
	buffer_store_dword v2, off, s[0:3], 0 offset:512
	;; [unrolled: 1-line block ×4, first 2 shown]
	s_and_saveexec_b64 s[4:5], vcc
	s_cbranch_execz .LBB102_187
; %bb.186:
	v_accvgpr_read_b32 v5, a86
	buffer_load_dword v2, v5, s[0:3], 0 offen
	buffer_load_dword v3, v5, s[0:3], 0 offen offset:4
	buffer_load_dword v4, v5, s[0:3], 0 offen offset:8
	s_nop 0
	buffer_load_dword v5, v5, s[0:3], 0 offen offset:12
	v_accvgpr_read_b32 v6, a116
	buffer_store_dword v1, off, s[0:3], 0 offset:496
	buffer_store_dword v1, off, s[0:3], 0 offset:500
	;; [unrolled: 1-line block ×4, first 2 shown]
	s_waitcnt vmcnt(4)
	ds_write_b128 v6, v[2:5]
.LBB102_187:
	s_or_b64 exec, exec, s[4:5]
	s_waitcnt lgkmcnt(0)
	; wave barrier
	s_waitcnt lgkmcnt(0)
	buffer_load_dword v34, off, s[0:3], 0 offset:520
	buffer_load_dword v35, off, s[0:3], 0 offset:524
	;; [unrolled: 1-line block ×36, first 2 shown]
	ds_read_b128 v[2:5], v1 offset:1120
	ds_read_b128 v[6:9], v1 offset:1136
	ds_read_b128 v[10:13], v1 offset:1152
	ds_read_b128 v[14:17], v1 offset:1168
	ds_read_b128 v[18:21], v1 offset:1184
	ds_read_b128 v[22:25], v1 offset:1200
	ds_read_b128 v[26:29], v1 offset:1216
	ds_read_b128 v[30:33], v1 offset:1232
	v_cmp_lt_u32_e32 vcc, 29, v0
	s_waitcnt vmcnt(34) lgkmcnt(7)
	v_mul_f64 v[70:71], v[2:3], v[34:35]
	v_mul_f64 v[34:35], v[4:5], v[34:35]
	s_waitcnt vmcnt(32) lgkmcnt(6)
	v_mul_f64 v[72:73], v[6:7], v[36:37]
	v_mul_f64 v[36:37], v[8:9], v[36:37]
	;; [unrolled: 3-line block ×4, first 2 shown]
	s_waitcnt vmcnt(25)
	v_mul_f64 v[76:77], v[14:15], v[44:45]
	v_mul_f64 v[44:45], v[16:17], v[44:45]
	s_waitcnt vmcnt(23) lgkmcnt(1)
	v_mul_f64 v[82:83], v[26:27], v[46:47]
	v_mul_f64 v[46:47], v[28:29], v[46:47]
	s_waitcnt vmcnt(20)
	v_mul_f64 v[80:81], v[22:23], v[50:51]
	v_mul_f64 v[50:51], v[24:25], v[50:51]
	s_waitcnt vmcnt(18) lgkmcnt(0)
	v_mul_f64 v[84:85], v[30:31], v[52:53]
	s_waitcnt vmcnt(17)
	v_fmac_f64_e32 v[78:79], v[20:21], v[42:43]
	s_waitcnt vmcnt(16)
	v_fmac_f64_e32 v[82:83], v[28:29], v[48:49]
	s_waitcnt vmcnt(14)
	v_fma_f64 v[2:3], v[2:3], v[54:55], -v[34:35]
	v_fmac_f64_e32 v[70:71], v[4:5], v[54:55]
	s_waitcnt vmcnt(12)
	v_fma_f64 v[4:5], v[6:7], v[56:57], -v[36:37]
	v_add_f64 v[2:3], v[2:3], 0
	v_fmac_f64_e32 v[72:73], v[8:9], v[56:57]
	s_waitcnt vmcnt(10)
	v_fma_f64 v[6:7], v[10:11], v[58:59], -v[38:39]
	s_waitcnt vmcnt(8)
	v_fmac_f64_e32 v[76:77], v[16:17], v[60:61]
	v_add_f64 v[16:17], v[70:71], 0
	v_add_f64 v[2:3], v[2:3], v[4:5]
	v_fmac_f64_e32 v[74:75], v[12:13], v[58:59]
	v_fma_f64 v[8:9], v[14:15], v[60:61], -v[44:45]
	v_add_f64 v[16:17], v[16:17], v[72:73]
	v_add_f64 v[2:3], v[2:3], v[6:7]
	v_fma_f64 v[10:11], v[18:19], v[42:43], -v[40:41]
	v_add_f64 v[4:5], v[16:17], v[74:75]
	v_add_f64 v[2:3], v[2:3], v[8:9]
	s_waitcnt vmcnt(6)
	v_fma_f64 v[12:13], v[22:23], v[62:63], -v[50:51]
	v_add_f64 v[4:5], v[4:5], v[76:77]
	v_add_f64 v[2:3], v[2:3], v[10:11]
	v_fmac_f64_e32 v[80:81], v[24:25], v[62:63]
	v_fma_f64 v[14:15], v[26:27], v[48:49], -v[46:47]
	v_add_f64 v[4:5], v[4:5], v[78:79]
	v_add_f64 v[2:3], v[2:3], v[12:13]
	v_mul_f64 v[6:7], v[32:33], v[52:53]
	v_add_f64 v[4:5], v[4:5], v[80:81]
	v_add_f64 v[2:3], v[2:3], v[14:15]
	s_waitcnt vmcnt(4)
	v_fma_f64 v[6:7], v[30:31], v[64:65], -v[6:7]
	v_fmac_f64_e32 v[84:85], v[32:33], v[64:65]
	v_add_f64 v[4:5], v[4:5], v[82:83]
	v_add_f64 v[2:3], v[2:3], v[6:7]
	;; [unrolled: 1-line block ×3, first 2 shown]
	s_waitcnt vmcnt(2)
	v_add_f64 v[2:3], v[66:67], -v[2:3]
	s_waitcnt vmcnt(0)
	v_add_f64 v[4:5], v[68:69], -v[4:5]
	buffer_store_dword v3, off, s[0:3], 0 offset:500
	buffer_store_dword v2, off, s[0:3], 0 offset:496
	;; [unrolled: 1-line block ×4, first 2 shown]
	s_and_saveexec_b64 s[4:5], vcc
	s_cbranch_execz .LBB102_189
; %bb.188:
	v_accvgpr_read_b32 v1, a87
	buffer_load_dword v2, v1, s[0:3], 0 offen
	buffer_load_dword v3, v1, s[0:3], 0 offen offset:4
	buffer_load_dword v4, v1, s[0:3], 0 offen offset:8
	;; [unrolled: 1-line block ×3, first 2 shown]
	v_mov_b32_e32 v1, 0
	v_accvgpr_read_b32 v6, a116
	buffer_store_dword v1, off, s[0:3], 0 offset:480
	buffer_store_dword v1, off, s[0:3], 0 offset:484
	;; [unrolled: 1-line block ×4, first 2 shown]
	s_waitcnt vmcnt(4)
	ds_write_b128 v6, v[2:5]
.LBB102_189:
	s_or_b64 exec, exec, s[4:5]
	s_waitcnt lgkmcnt(0)
	; wave barrier
	s_waitcnt lgkmcnt(0)
	buffer_load_dword v38, off, s[0:3], 0 offset:504
	buffer_load_dword v39, off, s[0:3], 0 offset:508
	buffer_load_dword v40, off, s[0:3], 0 offset:520
	buffer_load_dword v41, off, s[0:3], 0 offset:524
	buffer_load_dword v42, off, s[0:3], 0 offset:536
	buffer_load_dword v43, off, s[0:3], 0 offset:540
	buffer_load_dword v45, off, s[0:3], 0 offset:572
	buffer_load_dword v44, off, s[0:3], 0 offset:568
	buffer_load_dword v47, off, s[0:3], 0 offset:564
	buffer_load_dword v46, off, s[0:3], 0 offset:560
	buffer_load_dword v49, off, s[0:3], 0 offset:556
	buffer_load_dword v48, off, s[0:3], 0 offset:552
	buffer_load_dword v51, off, s[0:3], 0 offset:604
	buffer_load_dword v50, off, s[0:3], 0 offset:600
	buffer_load_dword v53, off, s[0:3], 0 offset:596
	buffer_load_dword v52, off, s[0:3], 0 offset:592
	buffer_load_dword v55, off, s[0:3], 0 offset:588
	buffer_load_dword v54, off, s[0:3], 0 offset:584
	buffer_load_dword v56, off, s[0:3], 0 offset:632
	buffer_load_dword v58, off, s[0:3], 0 offset:624
	buffer_load_dword v61, off, s[0:3], 0 offset:620
	buffer_load_dword v60, off, s[0:3], 0 offset:616
	buffer_load_dword v57, off, s[0:3], 0 offset:636
	buffer_load_dword v62, off, s[0:3], 0 offset:496
	buffer_load_dword v63, off, s[0:3], 0 offset:500
	buffer_load_dword v64, off, s[0:3], 0 offset:512
	buffer_load_dword v65, off, s[0:3], 0 offset:516
	buffer_load_dword v66, off, s[0:3], 0 offset:528
	buffer_load_dword v67, off, s[0:3], 0 offset:532
	buffer_load_dword v69, off, s[0:3], 0 offset:548
	buffer_load_dword v68, off, s[0:3], 0 offset:544
	buffer_load_dword v71, off, s[0:3], 0 offset:580
	buffer_load_dword v70, off, s[0:3], 0 offset:576
	buffer_load_dword v73, off, s[0:3], 0 offset:612
	buffer_load_dword v72, off, s[0:3], 0 offset:608
	buffer_load_dword v59, off, s[0:3], 0 offset:628
	buffer_load_dword v74, off, s[0:3], 0 offset:480
	buffer_load_dword v75, off, s[0:3], 0 offset:484
	buffer_load_dword v76, off, s[0:3], 0 offset:488
	buffer_load_dword v77, off, s[0:3], 0 offset:492
	v_mov_b32_e32 v1, 0
	ds_read_b128 v[2:5], v1 offset:1104
	ds_read_b128 v[6:9], v1 offset:1120
	;; [unrolled: 1-line block ×9, first 2 shown]
	v_cmp_lt_u32_e32 vcc, 28, v0
	s_waitcnt vmcnt(38) lgkmcnt(8)
	v_mul_f64 v[78:79], v[2:3], v[38:39]
	v_mul_f64 v[38:39], v[4:5], v[38:39]
	s_waitcnt vmcnt(36) lgkmcnt(7)
	v_mul_f64 v[80:81], v[6:7], v[40:41]
	v_mul_f64 v[40:41], v[8:9], v[40:41]
	;; [unrolled: 3-line block ×3, first 2 shown]
	s_waitcnt vmcnt(32) lgkmcnt(4)
	v_mul_f64 v[86:87], v[18:19], v[44:45]
	s_waitcnt vmcnt(30)
	v_fmac_f64_e32 v[86:87], v[20:21], v[46:47]
	s_waitcnt vmcnt(28)
	v_mul_f64 v[84:85], v[14:15], v[48:49]
	v_mul_f64 v[48:49], v[16:17], v[48:49]
	s_waitcnt vmcnt(26) lgkmcnt(2)
	v_mul_f64 v[90:91], v[26:27], v[50:51]
	s_waitcnt vmcnt(24)
	v_fmac_f64_e32 v[90:91], v[28:29], v[52:53]
	s_waitcnt vmcnt(22)
	v_mul_f64 v[88:89], v[22:23], v[54:55]
	s_waitcnt vmcnt(18) lgkmcnt(1)
	v_mul_f64 v[92:93], v[30:31], v[60:61]
	s_waitcnt vmcnt(17) lgkmcnt(0)
	v_mul_f64 v[94:95], v[34:35], v[56:57]
	s_waitcnt vmcnt(15)
	v_fma_f64 v[2:3], v[2:3], v[62:63], -v[38:39]
	v_fmac_f64_e32 v[78:79], v[4:5], v[62:63]
	s_waitcnt vmcnt(13)
	v_fma_f64 v[4:5], v[6:7], v[64:65], -v[40:41]
	v_add_f64 v[2:3], v[2:3], 0
	s_waitcnt vmcnt(11)
	v_fma_f64 v[6:7], v[10:11], v[66:67], -v[42:43]
	v_add_f64 v[2:3], v[2:3], v[4:5]
	v_fmac_f64_e32 v[80:81], v[8:9], v[64:65]
	s_waitcnt vmcnt(9)
	v_fma_f64 v[8:9], v[14:15], v[68:69], -v[48:49]
	v_add_f64 v[2:3], v[2:3], v[6:7]
	v_mul_f64 v[6:7], v[20:21], v[44:45]
	v_add_f64 v[2:3], v[2:3], v[8:9]
	v_fma_f64 v[6:7], v[18:19], v[46:47], -v[6:7]
	v_add_f64 v[2:3], v[2:3], v[6:7]
	v_mul_f64 v[6:7], v[24:25], v[54:55]
	v_add_f64 v[10:11], v[78:79], 0
	s_waitcnt vmcnt(7)
	v_fma_f64 v[6:7], v[22:23], v[70:71], -v[6:7]
	v_fmac_f64_e32 v[82:83], v[12:13], v[66:67]
	v_add_f64 v[10:11], v[10:11], v[80:81]
	v_add_f64 v[2:3], v[2:3], v[6:7]
	v_mul_f64 v[6:7], v[28:29], v[50:51]
	v_fmac_f64_e32 v[84:85], v[16:17], v[68:69]
	v_add_f64 v[4:5], v[10:11], v[82:83]
	v_fma_f64 v[6:7], v[26:27], v[52:53], -v[6:7]
	v_add_f64 v[4:5], v[4:5], v[84:85]
	v_add_f64 v[2:3], v[2:3], v[6:7]
	v_mul_f64 v[6:7], v[32:33], v[60:61]
	v_fmac_f64_e32 v[88:89], v[24:25], v[70:71]
	v_add_f64 v[4:5], v[4:5], v[86:87]
	s_waitcnt vmcnt(5)
	v_fma_f64 v[6:7], v[30:31], v[72:73], -v[6:7]
	v_add_f64 v[4:5], v[4:5], v[88:89]
	v_add_f64 v[2:3], v[2:3], v[6:7]
	v_mul_f64 v[6:7], v[36:37], v[56:57]
	v_fmac_f64_e32 v[92:93], v[32:33], v[72:73]
	v_add_f64 v[4:5], v[4:5], v[90:91]
	s_waitcnt vmcnt(4)
	v_fma_f64 v[6:7], v[34:35], v[58:59], -v[6:7]
	v_fmac_f64_e32 v[94:95], v[36:37], v[58:59]
	v_add_f64 v[4:5], v[4:5], v[92:93]
	v_add_f64 v[2:3], v[2:3], v[6:7]
	v_add_f64 v[4:5], v[4:5], v[94:95]
	s_waitcnt vmcnt(2)
	v_add_f64 v[2:3], v[74:75], -v[2:3]
	s_waitcnt vmcnt(0)
	v_add_f64 v[4:5], v[76:77], -v[4:5]
	buffer_store_dword v3, off, s[0:3], 0 offset:484
	buffer_store_dword v2, off, s[0:3], 0 offset:480
	;; [unrolled: 1-line block ×4, first 2 shown]
	s_and_saveexec_b64 s[4:5], vcc
	s_cbranch_execz .LBB102_191
; %bb.190:
	v_accvgpr_read_b32 v5, a88
	buffer_load_dword v2, v5, s[0:3], 0 offen
	buffer_load_dword v3, v5, s[0:3], 0 offen offset:4
	buffer_load_dword v4, v5, s[0:3], 0 offen offset:8
	s_nop 0
	buffer_load_dword v5, v5, s[0:3], 0 offen offset:12
	v_accvgpr_read_b32 v6, a116
	buffer_store_dword v1, off, s[0:3], 0 offset:464
	buffer_store_dword v1, off, s[0:3], 0 offset:468
	;; [unrolled: 1-line block ×4, first 2 shown]
	s_waitcnt vmcnt(4)
	ds_write_b128 v6, v[2:5]
.LBB102_191:
	s_or_b64 exec, exec, s[4:5]
	s_waitcnt lgkmcnt(0)
	; wave barrier
	s_waitcnt lgkmcnt(0)
	buffer_load_dword v4, off, s[0:3], 0 offset:480
	buffer_load_dword v5, off, s[0:3], 0 offset:484
	;; [unrolled: 1-line block ×44, first 2 shown]
	ds_read_b128 v[6:9], v1 offset:1088
	ds_read_b128 v[10:13], v1 offset:1104
	;; [unrolled: 1-line block ×10, first 2 shown]
	v_cmp_lt_u32_e32 vcc, 27, v0
	s_waitcnt vmcnt(40) lgkmcnt(9)
	v_mul_f64 v[86:87], v[6:7], v[46:47]
	v_mul_f64 v[46:47], v[8:9], v[46:47]
	s_waitcnt vmcnt(38) lgkmcnt(8)
	v_mul_f64 v[88:89], v[10:11], v[48:49]
	v_mul_f64 v[48:49], v[12:13], v[48:49]
	v_fmac_f64_e32 v[86:87], v[8:9], v[4:5]
	v_fma_f64 v[4:5], v[6:7], v[4:5], -v[46:47]
	s_waitcnt vmcnt(36) lgkmcnt(7)
	v_mul_f64 v[90:91], v[14:15], v[2:3]
	v_add_f64 v[4:5], v[4:5], 0
	v_mul_f64 v[2:3], v[16:17], v[2:3]
	v_add_f64 v[8:9], v[86:87], 0
	s_waitcnt vmcnt(30) lgkmcnt(6)
	v_mul_f64 v[92:93], v[18:19], v[54:55]
	s_waitcnt lgkmcnt(5)
	v_mul_f64 v[94:95], v[22:23], v[50:51]
	v_fmac_f64_e32 v[94:95], v[24:25], v[52:53]
	s_waitcnt vmcnt(28) lgkmcnt(3)
	v_mul_f64 v[98:99], v[30:31], v[56:57]
	s_waitcnt vmcnt(26)
	v_fmac_f64_e32 v[98:99], v[32:33], v[58:59]
	s_waitcnt vmcnt(24)
	v_mul_f64 v[96:97], v[26:27], v[60:61]
	s_waitcnt vmcnt(22) lgkmcnt(1)
	v_mul_f64 v[102:103], v[38:39], v[62:63]
	s_waitcnt vmcnt(20)
	v_fmac_f64_e32 v[102:103], v[40:41], v[64:65]
	s_waitcnt vmcnt(18)
	v_mul_f64 v[100:101], v[34:35], v[66:67]
	s_waitcnt vmcnt(16) lgkmcnt(0)
	v_mul_f64 v[104:105], v[42:43], v[68:69]
	s_waitcnt vmcnt(14)
	v_fma_f64 v[6:7], v[10:11], v[70:71], -v[48:49]
	v_add_f64 v[4:5], v[4:5], v[6:7]
	s_waitcnt vmcnt(12)
	v_fma_f64 v[2:3], v[14:15], v[72:73], -v[2:3]
	v_add_f64 v[2:3], v[4:5], v[2:3]
	v_mul_f64 v[4:5], v[20:21], v[54:55]
	s_waitcnt vmcnt(10)
	v_fma_f64 v[4:5], v[18:19], v[74:75], -v[4:5]
	v_add_f64 v[2:3], v[2:3], v[4:5]
	v_mul_f64 v[4:5], v[24:25], v[50:51]
	v_fma_f64 v[4:5], v[22:23], v[52:53], -v[4:5]
	v_add_f64 v[2:3], v[2:3], v[4:5]
	v_mul_f64 v[4:5], v[28:29], v[60:61]
	s_waitcnt vmcnt(8)
	v_fma_f64 v[4:5], v[26:27], v[76:77], -v[4:5]
	v_fmac_f64_e32 v[88:89], v[12:13], v[70:71]
	v_add_f64 v[2:3], v[2:3], v[4:5]
	v_mul_f64 v[4:5], v[32:33], v[56:57]
	v_fmac_f64_e32 v[90:91], v[16:17], v[72:73]
	v_add_f64 v[8:9], v[8:9], v[88:89]
	v_fma_f64 v[4:5], v[30:31], v[58:59], -v[4:5]
	v_fmac_f64_e32 v[92:93], v[20:21], v[74:75]
	v_add_f64 v[6:7], v[8:9], v[90:91]
	v_add_f64 v[2:3], v[2:3], v[4:5]
	v_mul_f64 v[4:5], v[36:37], v[66:67]
	v_add_f64 v[6:7], v[6:7], v[92:93]
	s_waitcnt vmcnt(6)
	v_fma_f64 v[4:5], v[34:35], v[78:79], -v[4:5]
	v_fmac_f64_e32 v[96:97], v[28:29], v[76:77]
	v_add_f64 v[6:7], v[6:7], v[94:95]
	v_add_f64 v[2:3], v[2:3], v[4:5]
	v_mul_f64 v[4:5], v[40:41], v[62:63]
	v_add_f64 v[6:7], v[6:7], v[96:97]
	v_fma_f64 v[4:5], v[38:39], v[64:65], -v[4:5]
	v_fmac_f64_e32 v[100:101], v[36:37], v[78:79]
	v_add_f64 v[6:7], v[6:7], v[98:99]
	v_add_f64 v[2:3], v[2:3], v[4:5]
	v_mul_f64 v[4:5], v[44:45], v[68:69]
	v_add_f64 v[6:7], v[6:7], v[100:101]
	s_waitcnt vmcnt(4)
	v_fma_f64 v[4:5], v[42:43], v[80:81], -v[4:5]
	v_fmac_f64_e32 v[104:105], v[44:45], v[80:81]
	v_add_f64 v[6:7], v[6:7], v[102:103]
	v_add_f64 v[2:3], v[2:3], v[4:5]
	;; [unrolled: 1-line block ×3, first 2 shown]
	s_waitcnt vmcnt(2)
	v_add_f64 v[2:3], v[82:83], -v[2:3]
	s_waitcnt vmcnt(0)
	v_add_f64 v[4:5], v[84:85], -v[6:7]
	buffer_store_dword v3, off, s[0:3], 0 offset:468
	buffer_store_dword v2, off, s[0:3], 0 offset:464
	;; [unrolled: 1-line block ×4, first 2 shown]
	s_and_saveexec_b64 s[4:5], vcc
	s_cbranch_execz .LBB102_193
; %bb.192:
	v_accvgpr_read_b32 v1, a89
	buffer_load_dword v2, v1, s[0:3], 0 offen
	buffer_load_dword v3, v1, s[0:3], 0 offen offset:4
	buffer_load_dword v4, v1, s[0:3], 0 offen offset:8
	;; [unrolled: 1-line block ×3, first 2 shown]
	v_mov_b32_e32 v1, 0
	v_accvgpr_read_b32 v6, a116
	buffer_store_dword v1, off, s[0:3], 0 offset:448
	buffer_store_dword v1, off, s[0:3], 0 offset:452
	;; [unrolled: 1-line block ×4, first 2 shown]
	s_waitcnt vmcnt(4)
	ds_write_b128 v6, v[2:5]
.LBB102_193:
	s_or_b64 exec, exec, s[4:5]
	s_waitcnt lgkmcnt(0)
	; wave barrier
	s_waitcnt lgkmcnt(0)
	buffer_load_dword v2, off, s[0:3], 0 offset:464
	buffer_load_dword v3, off, s[0:3], 0 offset:468
	;; [unrolled: 1-line block ×48, first 2 shown]
	v_mov_b32_e32 v1, 0
	ds_read_b128 v[12:15], v1 offset:1072
	ds_read_b128 v[16:19], v1 offset:1088
	;; [unrolled: 1-line block ×11, first 2 shown]
	v_cmp_lt_u32_e32 vcc, 26, v0
	s_waitcnt vmcnt(44) lgkmcnt(10)
	v_mul_f64 v[94:95], v[12:13], v[6:7]
	v_mul_f64 v[6:7], v[14:15], v[6:7]
	v_fmac_f64_e32 v[94:95], v[14:15], v[2:3]
	v_fma_f64 v[2:3], v[12:13], v[2:3], -v[6:7]
	s_waitcnt vmcnt(40) lgkmcnt(9)
	v_mul_f64 v[96:97], v[16:17], v[8:9]
	v_mul_f64 v[6:7], v[18:19], v[8:9]
	v_fmac_f64_e32 v[96:97], v[18:19], v[4:5]
	v_add_f64 v[2:3], v[2:3], 0
	v_fma_f64 v[4:5], v[16:17], v[4:5], -v[6:7]
	v_add_f64 v[2:3], v[2:3], v[4:5]
	s_waitcnt vmcnt(38) lgkmcnt(8)
	v_mul_f64 v[4:5], v[22:23], v[10:11]
	v_mul_f64 v[98:99], v[20:21], v[10:11]
	v_add_f64 v[94:95], v[94:95], 0
	s_waitcnt vmcnt(32) lgkmcnt(7)
	v_mul_f64 v[100:101], v[24:25], v[60:61]
	v_add_f64 v[94:95], v[94:95], v[96:97]
	s_waitcnt lgkmcnt(6)
	v_mul_f64 v[102:103], v[28:29], v[56:57]
	v_fmac_f64_e32 v[102:103], v[30:31], v[58:59]
	s_waitcnt vmcnt(30) lgkmcnt(4)
	v_mul_f64 v[106:107], v[36:37], v[62:63]
	s_waitcnt vmcnt(26)
	v_mul_f64 v[104:105], v[32:33], v[66:67]
	v_fmac_f64_e32 v[106:107], v[38:39], v[64:65]
	s_waitcnt vmcnt(24) lgkmcnt(2)
	v_mul_f64 v[110:111], v[44:45], v[68:69]
	s_waitcnt vmcnt(22)
	v_fmac_f64_e32 v[110:111], v[46:47], v[70:71]
	s_waitcnt vmcnt(20)
	v_mul_f64 v[108:109], v[40:41], v[72:73]
	s_waitcnt vmcnt(16) lgkmcnt(1)
	v_mul_f64 v[112:113], v[48:49], v[78:79]
	s_waitcnt vmcnt(14)
	v_fma_f64 v[4:5], v[20:21], v[80:81], -v[4:5]
	v_add_f64 v[2:3], v[2:3], v[4:5]
	v_mul_f64 v[4:5], v[26:27], v[60:61]
	s_waitcnt vmcnt(12)
	v_fma_f64 v[4:5], v[24:25], v[82:83], -v[4:5]
	v_add_f64 v[2:3], v[2:3], v[4:5]
	v_mul_f64 v[4:5], v[30:31], v[56:57]
	v_fma_f64 v[4:5], v[28:29], v[58:59], -v[4:5]
	v_add_f64 v[2:3], v[2:3], v[4:5]
	v_mul_f64 v[4:5], v[34:35], v[66:67]
	s_waitcnt vmcnt(10)
	v_fma_f64 v[4:5], v[32:33], v[84:85], -v[4:5]
	v_add_f64 v[2:3], v[2:3], v[4:5]
	v_mul_f64 v[4:5], v[38:39], v[62:63]
	v_fma_f64 v[4:5], v[36:37], v[64:65], -v[4:5]
	v_fmac_f64_e32 v[98:99], v[22:23], v[80:81]
	v_add_f64 v[2:3], v[2:3], v[4:5]
	v_mul_f64 v[4:5], v[42:43], v[72:73]
	v_fmac_f64_e32 v[100:101], v[26:27], v[82:83]
	v_add_f64 v[94:95], v[94:95], v[98:99]
	s_waitcnt vmcnt(8)
	v_fma_f64 v[4:5], v[40:41], v[86:87], -v[4:5]
	v_add_f64 v[94:95], v[94:95], v[100:101]
	v_add_f64 v[2:3], v[2:3], v[4:5]
	v_mul_f64 v[4:5], v[46:47], v[68:69]
	v_fmac_f64_e32 v[104:105], v[34:35], v[84:85]
	v_add_f64 v[94:95], v[94:95], v[102:103]
	v_fma_f64 v[4:5], v[44:45], v[70:71], -v[4:5]
	v_add_f64 v[94:95], v[94:95], v[104:105]
	v_add_f64 v[2:3], v[2:3], v[4:5]
	v_mul_f64 v[4:5], v[50:51], v[78:79]
	v_fmac_f64_e32 v[108:109], v[42:43], v[86:87]
	v_add_f64 v[94:95], v[94:95], v[106:107]
	s_waitcnt vmcnt(6)
	v_fma_f64 v[4:5], v[48:49], v[88:89], -v[4:5]
	v_add_f64 v[94:95], v[94:95], v[108:109]
	v_add_f64 v[2:3], v[2:3], v[4:5]
	s_waitcnt vmcnt(5) lgkmcnt(0)
	v_mul_f64 v[4:5], v[54:55], v[74:75]
	v_fmac_f64_e32 v[112:113], v[50:51], v[88:89]
	v_add_f64 v[94:95], v[94:95], v[110:111]
	v_mul_f64 v[96:97], v[52:53], v[74:75]
	s_waitcnt vmcnt(4)
	v_fma_f64 v[4:5], v[52:53], v[76:77], -v[4:5]
	v_add_f64 v[94:95], v[94:95], v[112:113]
	v_fmac_f64_e32 v[96:97], v[54:55], v[76:77]
	v_add_f64 v[2:3], v[2:3], v[4:5]
	v_add_f64 v[94:95], v[94:95], v[96:97]
	s_waitcnt vmcnt(2)
	v_add_f64 v[2:3], v[90:91], -v[2:3]
	s_waitcnt vmcnt(0)
	v_add_f64 v[4:5], v[92:93], -v[94:95]
	buffer_store_dword v3, off, s[0:3], 0 offset:452
	buffer_store_dword v2, off, s[0:3], 0 offset:448
	;; [unrolled: 1-line block ×4, first 2 shown]
	s_and_saveexec_b64 s[4:5], vcc
	s_cbranch_execz .LBB102_195
; %bb.194:
	v_accvgpr_read_b32 v5, a90
	buffer_load_dword v2, v5, s[0:3], 0 offen
	buffer_load_dword v3, v5, s[0:3], 0 offen offset:4
	buffer_load_dword v4, v5, s[0:3], 0 offen offset:8
	s_nop 0
	buffer_load_dword v5, v5, s[0:3], 0 offen offset:12
	v_accvgpr_read_b32 v6, a116
	buffer_store_dword v1, off, s[0:3], 0 offset:432
	buffer_store_dword v1, off, s[0:3], 0 offset:436
	buffer_store_dword v1, off, s[0:3], 0 offset:440
	buffer_store_dword v1, off, s[0:3], 0 offset:444
	s_waitcnt vmcnt(4)
	ds_write_b128 v6, v[2:5]
.LBB102_195:
	s_or_b64 exec, exec, s[4:5]
	s_waitcnt lgkmcnt(0)
	; wave barrier
	s_waitcnt lgkmcnt(0)
	buffer_load_dword v2, off, s[0:3], 0 offset:448
	buffer_load_dword v3, off, s[0:3], 0 offset:452
	;; [unrolled: 1-line block ×52, first 2 shown]
	ds_read_b128 v[12:15], v1 offset:1056
	ds_read_b128 v[16:19], v1 offset:1072
	;; [unrolled: 1-line block ×10, first 2 shown]
	v_cmp_lt_u32_e32 vcc, 25, v0
	s_waitcnt vmcnt(48) lgkmcnt(9)
	v_mul_f64 v[52:53], v[12:13], v[6:7]
	v_mul_f64 v[6:7], v[14:15], v[6:7]
	v_fmac_f64_e32 v[52:53], v[14:15], v[2:3]
	v_fma_f64 v[2:3], v[12:13], v[2:3], -v[6:7]
	s_waitcnt vmcnt(44) lgkmcnt(8)
	v_mul_f64 v[54:55], v[16:17], v[8:9]
	v_mul_f64 v[6:7], v[18:19], v[8:9]
	v_fmac_f64_e32 v[54:55], v[18:19], v[4:5]
	v_add_f64 v[2:3], v[2:3], 0
	v_fma_f64 v[4:5], v[16:17], v[4:5], -v[6:7]
	v_add_f64 v[2:3], v[2:3], v[4:5]
	s_waitcnt vmcnt(42) lgkmcnt(7)
	v_mul_f64 v[4:5], v[22:23], v[10:11]
	v_mul_f64 v[56:57], v[20:21], v[10:11]
	v_add_f64 v[52:53], v[52:53], 0
	s_waitcnt vmcnt(36) lgkmcnt(6)
	v_mul_f64 v[58:59], v[24:25], v[64:65]
	v_add_f64 v[52:53], v[52:53], v[54:55]
	s_waitcnt lgkmcnt(5)
	v_mul_f64 v[102:103], v[28:29], v[60:61]
	v_fmac_f64_e32 v[102:103], v[30:31], v[62:63]
	s_waitcnt vmcnt(34) lgkmcnt(3)
	v_mul_f64 v[106:107], v[36:37], v[66:67]
	s_waitcnt vmcnt(30)
	v_mul_f64 v[104:105], v[32:33], v[70:71]
	v_fmac_f64_e32 v[106:107], v[38:39], v[68:69]
	s_waitcnt vmcnt(26) lgkmcnt(2)
	v_mul_f64 v[108:109], v[40:41], v[76:77]
	s_waitcnt vmcnt(25) lgkmcnt(1)
	v_mul_f64 v[110:111], v[44:45], v[72:73]
	s_waitcnt vmcnt(23)
	v_fma_f64 v[4:5], v[20:21], v[78:79], -v[4:5]
	v_add_f64 v[2:3], v[2:3], v[4:5]
	v_mul_f64 v[4:5], v[26:27], v[64:65]
	s_waitcnt vmcnt(21)
	v_fma_f64 v[4:5], v[24:25], v[80:81], -v[4:5]
	v_fmac_f64_e32 v[56:57], v[22:23], v[78:79]
	v_add_f64 v[2:3], v[2:3], v[4:5]
	v_mul_f64 v[4:5], v[30:31], v[60:61]
	v_fmac_f64_e32 v[58:59], v[26:27], v[80:81]
	v_add_f64 v[52:53], v[52:53], v[56:57]
	v_fma_f64 v[4:5], v[28:29], v[62:63], -v[4:5]
	v_add_f64 v[52:53], v[52:53], v[58:59]
	v_add_f64 v[2:3], v[2:3], v[4:5]
	v_mul_f64 v[4:5], v[34:35], v[70:71]
	s_waitcnt vmcnt(19)
	v_fmac_f64_e32 v[104:105], v[34:35], v[82:83]
	v_add_f64 v[52:53], v[52:53], v[102:103]
	v_fma_f64 v[4:5], v[32:33], v[82:83], -v[4:5]
	v_add_f64 v[52:53], v[52:53], v[104:105]
	v_add_f64 v[2:3], v[2:3], v[4:5]
	v_mul_f64 v[4:5], v[38:39], v[66:67]
	s_waitcnt vmcnt(17)
	v_fmac_f64_e32 v[108:109], v[42:43], v[84:85]
	v_add_f64 v[52:53], v[52:53], v[106:107]
	v_fma_f64 v[4:5], v[36:37], v[68:69], -v[4:5]
	s_waitcnt vmcnt(16)
	v_fmac_f64_e32 v[110:111], v[46:47], v[74:75]
	v_add_f64 v[52:53], v[52:53], v[108:109]
	v_add_f64 v[2:3], v[2:3], v[4:5]
	v_mul_f64 v[4:5], v[42:43], v[76:77]
	v_add_f64 v[102:103], v[52:53], v[110:111]
	ds_read_b128 v[52:55], v1 offset:1216
	ds_read_b128 v[56:59], v1 offset:1232
	v_fma_f64 v[4:5], v[40:41], v[84:85], -v[4:5]
	v_add_f64 v[2:3], v[2:3], v[4:5]
	v_mul_f64 v[4:5], v[46:47], v[72:73]
	v_fma_f64 v[4:5], v[44:45], v[74:75], -v[4:5]
	v_add_f64 v[2:3], v[2:3], v[4:5]
	s_waitcnt vmcnt(12) lgkmcnt(2)
	v_mul_f64 v[4:5], v[50:51], v[90:91]
	v_mul_f64 v[104:105], v[48:49], v[90:91]
	s_waitcnt vmcnt(10)
	v_fma_f64 v[4:5], v[48:49], v[92:93], -v[4:5]
	v_fmac_f64_e32 v[104:105], v[50:51], v[92:93]
	v_add_f64 v[2:3], v[2:3], v[4:5]
	s_waitcnt vmcnt(8) lgkmcnt(1)
	v_mul_f64 v[4:5], v[54:55], v[86:87]
	v_add_f64 v[102:103], v[102:103], v[104:105]
	v_mul_f64 v[104:105], v[52:53], v[86:87]
	v_fma_f64 v[4:5], v[52:53], v[88:89], -v[4:5]
	v_fmac_f64_e32 v[104:105], v[54:55], v[88:89]
	v_add_f64 v[2:3], v[2:3], v[4:5]
	s_waitcnt vmcnt(6) lgkmcnt(0)
	v_mul_f64 v[4:5], v[58:59], v[94:95]
	v_add_f64 v[102:103], v[102:103], v[104:105]
	v_mul_f64 v[104:105], v[56:57], v[94:95]
	s_waitcnt vmcnt(4)
	v_fma_f64 v[4:5], v[56:57], v[96:97], -v[4:5]
	v_fmac_f64_e32 v[104:105], v[58:59], v[96:97]
	v_add_f64 v[2:3], v[2:3], v[4:5]
	v_add_f64 v[102:103], v[102:103], v[104:105]
	s_waitcnt vmcnt(2)
	v_add_f64 v[2:3], v[98:99], -v[2:3]
	s_waitcnt vmcnt(0)
	v_add_f64 v[4:5], v[100:101], -v[102:103]
	buffer_store_dword v3, off, s[0:3], 0 offset:436
	buffer_store_dword v2, off, s[0:3], 0 offset:432
	;; [unrolled: 1-line block ×4, first 2 shown]
	s_and_saveexec_b64 s[4:5], vcc
	s_cbranch_execz .LBB102_197
; %bb.196:
	v_accvgpr_read_b32 v1, a91
	buffer_load_dword v2, v1, s[0:3], 0 offen
	buffer_load_dword v3, v1, s[0:3], 0 offen offset:4
	buffer_load_dword v4, v1, s[0:3], 0 offen offset:8
	;; [unrolled: 1-line block ×3, first 2 shown]
	v_mov_b32_e32 v1, 0
	v_accvgpr_read_b32 v6, a116
	buffer_store_dword v1, off, s[0:3], 0 offset:416
	buffer_store_dword v1, off, s[0:3], 0 offset:420
	;; [unrolled: 1-line block ×4, first 2 shown]
	s_waitcnt vmcnt(4)
	ds_write_b128 v6, v[2:5]
.LBB102_197:
	s_or_b64 exec, exec, s[4:5]
	s_waitcnt lgkmcnt(0)
	; wave barrier
	s_waitcnt lgkmcnt(0)
	buffer_load_dword v2, off, s[0:3], 0 offset:432
	buffer_load_dword v3, off, s[0:3], 0 offset:436
	;; [unrolled: 1-line block ×56, first 2 shown]
	v_mov_b32_e32 v1, 0
	ds_read_b128 v[18:21], v1 offset:1040
	ds_read_b128 v[22:25], v1 offset:1056
	;; [unrolled: 1-line block ×9, first 2 shown]
	v_cmp_lt_u32_e32 vcc, 24, v0
	s_waitcnt vmcnt(52) lgkmcnt(8)
	v_mul_f64 v[50:51], v[18:19], v[6:7]
	v_fmac_f64_e32 v[50:51], v[20:21], v[2:3]
	v_mul_f64 v[6:7], v[20:21], v[6:7]
	v_add_f64 v[50:51], v[50:51], 0
	s_waitcnt vmcnt(48) lgkmcnt(7)
	v_mul_f64 v[52:53], v[22:23], v[8:9]
	v_fmac_f64_e32 v[52:53], v[24:25], v[4:5]
	s_waitcnt vmcnt(46) lgkmcnt(6)
	v_mul_f64 v[54:55], v[26:27], v[10:11]
	v_fma_f64 v[2:3], v[18:19], v[2:3], -v[6:7]
	v_mul_f64 v[6:7], v[24:25], v[8:9]
	v_add_f64 v[50:51], v[50:51], v[52:53]
	v_add_f64 v[2:3], v[2:3], 0
	v_fma_f64 v[4:5], v[22:23], v[4:5], -v[6:7]
	s_waitcnt vmcnt(40) lgkmcnt(5)
	v_mul_f64 v[56:57], v[30:31], v[16:17]
	s_waitcnt lgkmcnt(4)
	v_mul_f64 v[58:59], v[34:35], v[12:13]
	v_add_f64 v[2:3], v[2:3], v[4:5]
	v_mul_f64 v[4:5], v[28:29], v[10:11]
	s_waitcnt vmcnt(36) lgkmcnt(3)
	v_mul_f64 v[60:61], v[38:39], v[74:75]
	v_fmac_f64_e32 v[58:59], v[36:37], v[14:15]
	s_waitcnt vmcnt(35) lgkmcnt(2)
	v_mul_f64 v[62:63], v[42:43], v[70:71]
	s_waitcnt vmcnt(33)
	v_fmac_f64_e32 v[54:55], v[28:29], v[76:77]
	v_add_f64 v[50:51], v[50:51], v[54:55]
	s_waitcnt vmcnt(31)
	v_fmac_f64_e32 v[56:57], v[32:33], v[78:79]
	v_add_f64 v[50:51], v[50:51], v[56:57]
	v_fma_f64 v[4:5], v[26:27], v[76:77], -v[4:5]
	s_waitcnt vmcnt(29)
	v_fmac_f64_e32 v[60:61], v[40:41], v[80:81]
	v_add_f64 v[50:51], v[50:51], v[58:59]
	v_add_f64 v[2:3], v[2:3], v[4:5]
	v_mul_f64 v[4:5], v[32:33], v[16:17]
	s_waitcnt vmcnt(28)
	v_fmac_f64_e32 v[62:63], v[44:45], v[72:73]
	v_add_f64 v[50:51], v[50:51], v[60:61]
	v_fma_f64 v[4:5], v[30:31], v[78:79], -v[4:5]
	v_add_f64 v[54:55], v[50:51], v[62:63]
	ds_read_b128 v[50:53], v1 offset:1168
	s_waitcnt vmcnt(24) lgkmcnt(2)
	v_mul_f64 v[56:57], v[46:47], v[86:87]
	v_add_f64 v[2:3], v[2:3], v[4:5]
	v_mul_f64 v[4:5], v[36:37], v[12:13]
	s_waitcnt vmcnt(22)
	v_fmac_f64_e32 v[56:57], v[48:49], v[88:89]
	v_fma_f64 v[4:5], v[34:35], v[14:15], -v[4:5]
	v_add_f64 v[58:59], v[54:55], v[56:57]
	ds_read_b128 v[54:57], v1 offset:1184
	v_add_f64 v[2:3], v[2:3], v[4:5]
	v_mul_f64 v[4:5], v[40:41], v[74:75]
	v_fma_f64 v[4:5], v[38:39], v[80:81], -v[4:5]
	v_add_f64 v[2:3], v[2:3], v[4:5]
	v_mul_f64 v[4:5], v[44:45], v[70:71]
	s_waitcnt vmcnt(20) lgkmcnt(1)
	v_mul_f64 v[60:61], v[50:51], v[82:83]
	v_fma_f64 v[4:5], v[42:43], v[72:73], -v[4:5]
	v_fmac_f64_e32 v[60:61], v[52:53], v[84:85]
	v_add_f64 v[2:3], v[2:3], v[4:5]
	v_mul_f64 v[4:5], v[48:49], v[86:87]
	v_add_f64 v[62:63], v[58:59], v[60:61]
	ds_read_b128 v[58:61], v1 offset:1200
	s_waitcnt vmcnt(16) lgkmcnt(1)
	v_mul_f64 v[64:65], v[54:55], v[94:95]
	v_fma_f64 v[4:5], v[46:47], v[88:89], -v[4:5]
	s_waitcnt vmcnt(14)
	v_fmac_f64_e32 v[64:65], v[56:57], v[96:97]
	v_add_f64 v[2:3], v[2:3], v[4:5]
	v_mul_f64 v[4:5], v[52:53], v[82:83]
	v_add_f64 v[110:111], v[62:63], v[64:65]
	ds_read_b128 v[62:65], v1 offset:1216
	v_fma_f64 v[4:5], v[50:51], v[84:85], -v[4:5]
	v_add_f64 v[2:3], v[2:3], v[4:5]
	v_mul_f64 v[4:5], v[56:57], v[94:95]
	v_fma_f64 v[4:5], v[54:55], v[96:97], -v[4:5]
	v_add_f64 v[2:3], v[2:3], v[4:5]
	s_waitcnt vmcnt(12) lgkmcnt(1)
	v_mul_f64 v[4:5], v[60:61], v[90:91]
	v_mul_f64 v[112:113], v[58:59], v[90:91]
	v_fma_f64 v[4:5], v[58:59], v[92:93], -v[4:5]
	v_fmac_f64_e32 v[112:113], v[60:61], v[92:93]
	v_add_f64 v[2:3], v[2:3], v[4:5]
	s_waitcnt vmcnt(8) lgkmcnt(0)
	v_mul_f64 v[4:5], v[64:65], v[102:103]
	v_add_f64 v[110:111], v[110:111], v[112:113]
	v_mul_f64 v[112:113], v[62:63], v[102:103]
	s_waitcnt vmcnt(6)
	v_fma_f64 v[4:5], v[62:63], v[104:105], -v[4:5]
	v_fmac_f64_e32 v[112:113], v[64:65], v[104:105]
	v_add_f64 v[2:3], v[2:3], v[4:5]
	s_waitcnt vmcnt(5)
	v_mul_f64 v[4:5], v[68:69], v[98:99]
	v_add_f64 v[110:111], v[110:111], v[112:113]
	v_mul_f64 v[112:113], v[66:67], v[98:99]
	s_waitcnt vmcnt(4)
	v_fma_f64 v[4:5], v[66:67], v[100:101], -v[4:5]
	v_fmac_f64_e32 v[112:113], v[68:69], v[100:101]
	v_add_f64 v[2:3], v[2:3], v[4:5]
	v_add_f64 v[110:111], v[110:111], v[112:113]
	s_waitcnt vmcnt(2)
	v_add_f64 v[2:3], v[106:107], -v[2:3]
	s_waitcnt vmcnt(0)
	v_add_f64 v[4:5], v[108:109], -v[110:111]
	buffer_store_dword v3, off, s[0:3], 0 offset:420
	buffer_store_dword v2, off, s[0:3], 0 offset:416
	;; [unrolled: 1-line block ×4, first 2 shown]
	s_and_saveexec_b64 s[4:5], vcc
	s_cbranch_execz .LBB102_199
; %bb.198:
	v_accvgpr_read_b32 v5, a92
	buffer_load_dword v2, v5, s[0:3], 0 offen
	buffer_load_dword v3, v5, s[0:3], 0 offen offset:4
	buffer_load_dword v4, v5, s[0:3], 0 offen offset:8
	s_nop 0
	buffer_load_dword v5, v5, s[0:3], 0 offen offset:12
	v_accvgpr_read_b32 v6, a116
	buffer_store_dword v1, off, s[0:3], 0 offset:400
	buffer_store_dword v1, off, s[0:3], 0 offset:404
	;; [unrolled: 1-line block ×4, first 2 shown]
	s_waitcnt vmcnt(4)
	ds_write_b128 v6, v[2:5]
.LBB102_199:
	s_or_b64 exec, exec, s[4:5]
	s_waitcnt lgkmcnt(0)
	; wave barrier
	s_waitcnt lgkmcnt(0)
	buffer_load_dword v2, off, s[0:3], 0 offset:416
	buffer_load_dword v3, off, s[0:3], 0 offset:420
	;; [unrolled: 1-line block ×60, first 2 shown]
	ds_read_b128 v[24:27], v1 offset:1024
	ds_read_b128 v[28:31], v1 offset:1040
	;; [unrolled: 1-line block ×8, first 2 shown]
	v_cmp_lt_u32_e32 vcc, 23, v0
	ds_read_b128 v[76:79], v1 offset:1232
	s_waitcnt vmcnt(56) lgkmcnt(8)
	v_mul_f64 v[56:57], v[24:25], v[6:7]
	v_fmac_f64_e32 v[56:57], v[26:27], v[2:3]
	v_add_f64 v[56:57], v[56:57], 0
	v_mul_f64 v[6:7], v[26:27], v[6:7]
	s_waitcnt vmcnt(52) lgkmcnt(7)
	v_mul_f64 v[58:59], v[28:29], v[8:9]
	v_fmac_f64_e32 v[58:59], v[30:31], v[4:5]
	s_waitcnt vmcnt(50) lgkmcnt(6)
	v_mul_f64 v[60:61], v[32:33], v[10:11]
	v_add_f64 v[56:57], v[56:57], v[58:59]
	s_waitcnt vmcnt(48) lgkmcnt(4)
	v_mul_f64 v[64:65], v[40:41], v[12:13]
	v_fma_f64 v[2:3], v[24:25], v[2:3], -v[6:7]
	s_waitcnt vmcnt(46)
	v_fmac_f64_e32 v[64:65], v[42:43], v[14:15]
	v_mul_f64 v[6:7], v[30:31], v[8:9]
	s_waitcnt vmcnt(44)
	v_mul_f64 v[62:63], v[36:37], v[16:17]
	v_add_f64 v[2:3], v[2:3], 0
	v_fma_f64 v[4:5], v[28:29], v[4:5], -v[6:7]
	v_add_f64 v[2:3], v[2:3], v[4:5]
	s_waitcnt vmcnt(40) lgkmcnt(3)
	v_mul_f64 v[66:67], v[44:45], v[22:23]
	v_mul_f64 v[4:5], v[34:35], v[10:11]
	s_waitcnt vmcnt(38)
	v_fmac_f64_e32 v[60:61], v[34:35], v[80:81]
	v_add_f64 v[56:57], v[56:57], v[60:61]
	s_waitcnt vmcnt(36)
	v_fmac_f64_e32 v[62:63], v[38:39], v[82:83]
	v_add_f64 v[56:57], v[56:57], v[62:63]
	;; [unrolled: 3-line block ×3, first 2 shown]
	s_waitcnt vmcnt(32) lgkmcnt(2)
	v_mul_f64 v[58:59], v[48:49], v[18:19]
	v_add_f64 v[56:57], v[56:57], v[66:67]
	v_fmac_f64_e32 v[58:59], v[50:51], v[20:21]
	v_add_f64 v[60:61], v[56:57], v[58:59]
	ds_read_b128 v[56:59], v1 offset:1152
	v_fma_f64 v[4:5], v[32:33], v[80:81], -v[4:5]
	v_add_f64 v[2:3], v[2:3], v[4:5]
	v_mul_f64 v[4:5], v[38:39], v[16:17]
	v_fma_f64 v[4:5], v[36:37], v[82:83], -v[4:5]
	s_waitcnt vmcnt(28) lgkmcnt(2)
	v_mul_f64 v[62:63], v[52:53], v[90:91]
	v_add_f64 v[2:3], v[2:3], v[4:5]
	v_mul_f64 v[4:5], v[42:43], v[12:13]
	s_waitcnt vmcnt(26)
	v_fmac_f64_e32 v[62:63], v[54:55], v[92:93]
	v_fma_f64 v[4:5], v[40:41], v[14:15], -v[4:5]
	v_add_f64 v[64:65], v[60:61], v[62:63]
	ds_read_b128 v[60:63], v1 offset:1168
	s_waitcnt vmcnt(24) lgkmcnt(1)
	v_mul_f64 v[66:67], v[56:57], v[86:87]
	v_add_f64 v[2:3], v[2:3], v[4:5]
	v_mul_f64 v[4:5], v[46:47], v[22:23]
	v_fmac_f64_e32 v[66:67], v[58:59], v[88:89]
	v_fma_f64 v[4:5], v[44:45], v[84:85], -v[4:5]
	v_add_f64 v[68:69], v[64:65], v[66:67]
	ds_read_b128 v[64:67], v1 offset:1184
	v_add_f64 v[2:3], v[2:3], v[4:5]
	v_mul_f64 v[4:5], v[50:51], v[18:19]
	v_fma_f64 v[4:5], v[48:49], v[20:21], -v[4:5]
	v_add_f64 v[2:3], v[2:3], v[4:5]
	v_mul_f64 v[4:5], v[54:55], v[90:91]
	s_waitcnt vmcnt(20) lgkmcnt(1)
	v_mul_f64 v[70:71], v[60:61], v[98:99]
	v_fma_f64 v[4:5], v[52:53], v[92:93], -v[4:5]
	s_waitcnt vmcnt(18)
	v_fmac_f64_e32 v[70:71], v[62:63], v[100:101]
	v_add_f64 v[2:3], v[2:3], v[4:5]
	v_mul_f64 v[4:5], v[58:59], v[86:87]
	v_add_f64 v[72:73], v[68:69], v[70:71]
	ds_read_b128 v[68:71], v1 offset:1200
	s_waitcnt vmcnt(16) lgkmcnt(1)
	v_mul_f64 v[74:75], v[64:65], v[94:95]
	v_fma_f64 v[4:5], v[56:57], v[88:89], -v[4:5]
	v_fmac_f64_e32 v[74:75], v[66:67], v[96:97]
	v_add_f64 v[2:3], v[2:3], v[4:5]
	v_mul_f64 v[4:5], v[62:63], v[98:99]
	v_add_f64 v[120:121], v[72:73], v[74:75]
	ds_read_b128 v[72:75], v1 offset:1216
	v_fma_f64 v[4:5], v[60:61], v[100:101], -v[4:5]
	v_add_f64 v[2:3], v[2:3], v[4:5]
	v_mul_f64 v[4:5], v[66:67], v[94:95]
	v_fma_f64 v[4:5], v[64:65], v[96:97], -v[4:5]
	v_add_f64 v[2:3], v[2:3], v[4:5]
	s_waitcnt vmcnt(12) lgkmcnt(1)
	v_mul_f64 v[4:5], v[70:71], v[106:107]
	v_mul_f64 v[122:123], v[68:69], v[106:107]
	s_waitcnt vmcnt(10)
	v_fma_f64 v[4:5], v[68:69], v[108:109], -v[4:5]
	v_fmac_f64_e32 v[122:123], v[70:71], v[108:109]
	v_add_f64 v[2:3], v[2:3], v[4:5]
	s_waitcnt vmcnt(8) lgkmcnt(0)
	v_mul_f64 v[4:5], v[74:75], v[102:103]
	v_add_f64 v[120:121], v[120:121], v[122:123]
	v_mul_f64 v[122:123], v[72:73], v[102:103]
	v_fma_f64 v[4:5], v[72:73], v[104:105], -v[4:5]
	v_fmac_f64_e32 v[122:123], v[74:75], v[104:105]
	v_add_f64 v[2:3], v[2:3], v[4:5]
	s_waitcnt vmcnt(6)
	v_mul_f64 v[4:5], v[78:79], v[110:111]
	v_add_f64 v[120:121], v[120:121], v[122:123]
	v_mul_f64 v[122:123], v[76:77], v[110:111]
	s_waitcnt vmcnt(4)
	v_fma_f64 v[4:5], v[76:77], v[112:113], -v[4:5]
	v_fmac_f64_e32 v[122:123], v[78:79], v[112:113]
	v_add_f64 v[2:3], v[2:3], v[4:5]
	v_add_f64 v[120:121], v[120:121], v[122:123]
	s_waitcnt vmcnt(2)
	v_add_f64 v[2:3], v[114:115], -v[2:3]
	s_waitcnt vmcnt(0)
	v_add_f64 v[4:5], v[116:117], -v[120:121]
	buffer_store_dword v3, off, s[0:3], 0 offset:404
	buffer_store_dword v2, off, s[0:3], 0 offset:400
	;; [unrolled: 1-line block ×4, first 2 shown]
	s_and_saveexec_b64 s[4:5], vcc
	s_cbranch_execz .LBB102_201
; %bb.200:
	v_accvgpr_read_b32 v1, a93
	buffer_load_dword v2, v1, s[0:3], 0 offen
	buffer_load_dword v3, v1, s[0:3], 0 offen offset:4
	buffer_load_dword v4, v1, s[0:3], 0 offen offset:8
	;; [unrolled: 1-line block ×3, first 2 shown]
	v_mov_b32_e32 v1, 0
	v_accvgpr_read_b32 v6, a116
	buffer_store_dword v1, off, s[0:3], 0 offset:384
	buffer_store_dword v1, off, s[0:3], 0 offset:388
	;; [unrolled: 1-line block ×4, first 2 shown]
	s_waitcnt vmcnt(4)
	ds_write_b128 v6, v[2:5]
.LBB102_201:
	s_or_b64 exec, exec, s[4:5]
	s_waitcnt lgkmcnt(0)
	; wave barrier
	s_waitcnt lgkmcnt(0)
	buffer_load_dword v2, off, s[0:3], 0 offset:400
	buffer_load_dword v3, off, s[0:3], 0 offset:404
	;; [unrolled: 1-line block ×64, first 2 shown]
	v_mov_b32_e32 v1, 0
	ds_read_b128 v[30:33], v1 offset:1008
	ds_read_b128 v[34:37], v1 offset:1024
	;; [unrolled: 1-line block ×7, first 2 shown]
	v_cmp_lt_u32_e32 vcc, 22, v0
	s_waitcnt vmcnt(60) lgkmcnt(6)
	v_mul_f64 v[54:55], v[30:31], v[6:7]
	v_fmac_f64_e32 v[54:55], v[32:33], v[2:3]
	v_add_f64 v[54:55], v[54:55], 0
	v_mul_f64 v[6:7], v[32:33], v[6:7]
	s_waitcnt vmcnt(56) lgkmcnt(5)
	v_mul_f64 v[56:57], v[34:35], v[8:9]
	v_fmac_f64_e32 v[56:57], v[36:37], v[4:5]
	s_waitcnt vmcnt(54) lgkmcnt(4)
	v_mul_f64 v[58:59], v[38:39], v[10:11]
	v_add_f64 v[54:55], v[54:55], v[56:57]
	v_fma_f64 v[2:3], v[30:31], v[2:3], -v[6:7]
	v_mul_f64 v[6:7], v[36:37], v[8:9]
	s_waitcnt vmcnt(50) lgkmcnt(3)
	v_mul_f64 v[60:61], v[42:43], v[16:17]
	s_waitcnt vmcnt(49) lgkmcnt(2)
	v_mul_f64 v[62:63], v[46:47], v[12:13]
	v_add_f64 v[2:3], v[2:3], 0
	s_waitcnt vmcnt(47)
	v_fmac_f64_e32 v[58:59], v[40:41], v[20:21]
	v_add_f64 v[54:55], v[54:55], v[58:59]
	s_waitcnt vmcnt(45)
	v_fmac_f64_e32 v[60:61], v[44:45], v[18:19]
	;; [unrolled: 3-line block ×3, first 2 shown]
	v_add_f64 v[58:59], v[54:55], v[62:63]
	ds_read_b128 v[54:57], v1 offset:1104
	s_waitcnt vmcnt(40) lgkmcnt(2)
	v_mul_f64 v[60:61], v[50:51], v[26:27]
	v_fma_f64 v[4:5], v[34:35], v[4:5], -v[6:7]
	s_waitcnt vmcnt(38)
	v_fmac_f64_e32 v[60:61], v[52:53], v[28:29]
	v_add_f64 v[62:63], v[58:59], v[60:61]
	ds_read_b128 v[58:61], v1 offset:1120
	s_waitcnt vmcnt(36) lgkmcnt(1)
	v_mul_f64 v[64:65], v[54:55], v[22:23]
	v_fmac_f64_e32 v[64:65], v[56:57], v[24:25]
	v_add_f64 v[2:3], v[2:3], v[4:5]
	v_mul_f64 v[4:5], v[40:41], v[10:11]
	v_add_f64 v[66:67], v[62:63], v[64:65]
	ds_read_b128 v[62:65], v1 offset:1136
	s_waitcnt vmcnt(32) lgkmcnt(1)
	v_mul_f64 v[68:69], v[58:59], v[94:95]
	v_fma_f64 v[4:5], v[38:39], v[20:21], -v[4:5]
	s_waitcnt vmcnt(30)
	v_fmac_f64_e32 v[68:69], v[60:61], v[96:97]
	v_add_f64 v[2:3], v[2:3], v[4:5]
	v_mul_f64 v[4:5], v[44:45], v[16:17]
	v_add_f64 v[70:71], v[66:67], v[68:69]
	ds_read_b128 v[66:69], v1 offset:1152
	v_fma_f64 v[4:5], v[42:43], v[18:19], -v[4:5]
	v_add_f64 v[2:3], v[2:3], v[4:5]
	v_mul_f64 v[4:5], v[48:49], v[12:13]
	v_fma_f64 v[4:5], v[46:47], v[14:15], -v[4:5]
	s_waitcnt vmcnt(28) lgkmcnt(1)
	v_mul_f64 v[72:73], v[62:63], v[90:91]
	v_add_f64 v[2:3], v[2:3], v[4:5]
	v_mul_f64 v[4:5], v[52:53], v[26:27]
	v_fmac_f64_e32 v[72:73], v[64:65], v[92:93]
	v_fma_f64 v[4:5], v[50:51], v[28:29], -v[4:5]
	v_add_f64 v[74:75], v[70:71], v[72:73]
	ds_read_b128 v[70:73], v1 offset:1168
	s_waitcnt vmcnt(24) lgkmcnt(1)
	v_mul_f64 v[76:77], v[66:67], v[102:103]
	v_add_f64 v[2:3], v[2:3], v[4:5]
	v_mul_f64 v[4:5], v[56:57], v[22:23]
	s_waitcnt vmcnt(22)
	v_fmac_f64_e32 v[76:77], v[68:69], v[104:105]
	v_fma_f64 v[4:5], v[54:55], v[24:25], -v[4:5]
	v_add_f64 v[78:79], v[74:75], v[76:77]
	ds_read_b128 v[74:77], v1 offset:1184
	v_add_f64 v[2:3], v[2:3], v[4:5]
	v_mul_f64 v[4:5], v[60:61], v[94:95]
	v_fma_f64 v[4:5], v[58:59], v[96:97], -v[4:5]
	v_add_f64 v[2:3], v[2:3], v[4:5]
	v_mul_f64 v[4:5], v[64:65], v[90:91]
	s_waitcnt vmcnt(20) lgkmcnt(1)
	v_mul_f64 v[80:81], v[70:71], v[98:99]
	v_fma_f64 v[4:5], v[62:63], v[92:93], -v[4:5]
	v_fmac_f64_e32 v[80:81], v[72:73], v[100:101]
	v_add_f64 v[2:3], v[2:3], v[4:5]
	v_mul_f64 v[4:5], v[68:69], v[102:103]
	v_add_f64 v[82:83], v[78:79], v[80:81]
	ds_read_b128 v[78:81], v1 offset:1200
	s_waitcnt vmcnt(16) lgkmcnt(1)
	v_mul_f64 v[84:85], v[74:75], v[110:111]
	v_fma_f64 v[4:5], v[66:67], v[104:105], -v[4:5]
	s_waitcnt vmcnt(14)
	v_fmac_f64_e32 v[84:85], v[76:77], v[112:113]
	v_add_f64 v[2:3], v[2:3], v[4:5]
	v_mul_f64 v[4:5], v[72:73], v[98:99]
	v_add_f64 v[128:129], v[82:83], v[84:85]
	ds_read_b128 v[82:85], v1 offset:1216
	v_fma_f64 v[4:5], v[70:71], v[100:101], -v[4:5]
	v_add_f64 v[2:3], v[2:3], v[4:5]
	v_mul_f64 v[4:5], v[76:77], v[110:111]
	v_fma_f64 v[4:5], v[74:75], v[112:113], -v[4:5]
	v_add_f64 v[2:3], v[2:3], v[4:5]
	s_waitcnt vmcnt(12) lgkmcnt(1)
	v_mul_f64 v[4:5], v[80:81], v[106:107]
	v_mul_f64 v[130:131], v[78:79], v[106:107]
	v_fma_f64 v[4:5], v[78:79], v[108:109], -v[4:5]
	v_fmac_f64_e32 v[130:131], v[80:81], v[108:109]
	v_add_f64 v[2:3], v[2:3], v[4:5]
	s_waitcnt vmcnt(8) lgkmcnt(0)
	v_mul_f64 v[4:5], v[84:85], v[120:121]
	v_add_f64 v[128:129], v[128:129], v[130:131]
	v_mul_f64 v[130:131], v[82:83], v[120:121]
	s_waitcnt vmcnt(6)
	v_fma_f64 v[4:5], v[82:83], v[122:123], -v[4:5]
	v_fmac_f64_e32 v[130:131], v[84:85], v[122:123]
	v_add_f64 v[2:3], v[2:3], v[4:5]
	s_waitcnt vmcnt(5)
	v_mul_f64 v[4:5], v[88:89], v[114:115]
	v_add_f64 v[128:129], v[128:129], v[130:131]
	v_mul_f64 v[130:131], v[86:87], v[114:115]
	s_waitcnt vmcnt(4)
	v_fma_f64 v[4:5], v[86:87], v[116:117], -v[4:5]
	v_fmac_f64_e32 v[130:131], v[88:89], v[116:117]
	v_add_f64 v[2:3], v[2:3], v[4:5]
	v_add_f64 v[128:129], v[128:129], v[130:131]
	s_waitcnt vmcnt(2)
	v_add_f64 v[2:3], v[124:125], -v[2:3]
	s_waitcnt vmcnt(0)
	v_add_f64 v[4:5], v[126:127], -v[128:129]
	buffer_store_dword v3, off, s[0:3], 0 offset:388
	buffer_store_dword v2, off, s[0:3], 0 offset:384
	;; [unrolled: 1-line block ×4, first 2 shown]
	s_and_saveexec_b64 s[4:5], vcc
	s_cbranch_execz .LBB102_203
; %bb.202:
	v_accvgpr_read_b32 v5, a94
	buffer_load_dword v2, v5, s[0:3], 0 offen
	buffer_load_dword v3, v5, s[0:3], 0 offen offset:4
	buffer_load_dword v4, v5, s[0:3], 0 offen offset:8
	s_nop 0
	buffer_load_dword v5, v5, s[0:3], 0 offen offset:12
	v_accvgpr_read_b32 v6, a116
	buffer_store_dword v1, off, s[0:3], 0 offset:368
	buffer_store_dword v1, off, s[0:3], 0 offset:372
	;; [unrolled: 1-line block ×4, first 2 shown]
	s_waitcnt vmcnt(4)
	ds_write_b128 v6, v[2:5]
.LBB102_203:
	s_or_b64 exec, exec, s[4:5]
	s_waitcnt lgkmcnt(0)
	; wave barrier
	s_waitcnt lgkmcnt(0)
	buffer_load_dword v2, off, s[0:3], 0 offset:384
	buffer_load_dword v3, off, s[0:3], 0 offset:388
	;; [unrolled: 1-line block ×64, first 2 shown]
	ds_read_b128 v[38:41], v1 offset:992
	ds_read_b128 v[42:45], v1 offset:1008
	;; [unrolled: 1-line block ×4, first 2 shown]
	buffer_load_dword v132, off, s[0:3], 0 offset:368
	buffer_load_dword v133, off, s[0:3], 0 offset:372
	;; [unrolled: 1-line block ×4, first 2 shown]
	v_cmp_lt_u32_e32 vcc, 21, v0
	ds_read_b128 v[98:101], v1 offset:1232
	s_waitcnt vmcnt(62) lgkmcnt(4)
	v_mul_f64 v[54:55], v[38:39], v[4:5]
	v_fmac_f64_e32 v[54:55], v[40:41], v[2:3]
	s_waitcnt lgkmcnt(3)
	v_mul_f64 v[56:57], v[42:43], v[6:7]
	v_add_f64 v[54:55], v[54:55], 0
	s_waitcnt vmcnt(60) lgkmcnt(2)
	v_mul_f64 v[58:59], v[46:47], v[8:9]
	v_mul_f64 v[4:5], v[40:41], v[4:5]
	v_fma_f64 v[2:3], v[38:39], v[2:3], -v[4:5]
	v_mul_f64 v[4:5], v[44:45], v[6:7]
	s_waitcnt vmcnt(56) lgkmcnt(1)
	v_mul_f64 v[60:61], v[50:51], v[14:15]
	v_add_f64 v[2:3], v[2:3], 0
	s_waitcnt vmcnt(54)
	v_fmac_f64_e32 v[56:57], v[44:45], v[20:21]
	v_add_f64 v[62:63], v[54:55], v[56:57]
	ds_read_b128 v[54:57], v1 offset:1056
	s_waitcnt vmcnt(52)
	v_fmac_f64_e32 v[58:59], v[48:49], v[18:19]
	v_add_f64 v[58:59], v[62:63], v[58:59]
	s_waitcnt vmcnt(50)
	v_fmac_f64_e32 v[60:61], v[52:53], v[16:17]
	v_add_f64 v[62:63], v[58:59], v[60:61]
	ds_read_b128 v[58:61], v1 offset:1072
	s_waitcnt vmcnt(48) lgkmcnt(1)
	v_mul_f64 v[64:65], v[54:55], v[10:11]
	v_fmac_f64_e32 v[64:65], v[56:57], v[12:13]
	v_add_f64 v[66:67], v[62:63], v[64:65]
	ds_read_b128 v[62:65], v1 offset:1088
	s_waitcnt vmcnt(44) lgkmcnt(1)
	v_mul_f64 v[68:69], v[58:59], v[26:27]
	s_waitcnt vmcnt(42)
	v_fmac_f64_e32 v[68:69], v[60:61], v[28:29]
	v_add_f64 v[70:71], v[66:67], v[68:69]
	ds_read_b128 v[66:69], v1 offset:1104
	s_waitcnt vmcnt(40) lgkmcnt(1)
	v_mul_f64 v[72:73], v[62:63], v[22:23]
	v_fmac_f64_e32 v[72:73], v[64:65], v[24:25]
	v_add_f64 v[74:75], v[70:71], v[72:73]
	ds_read_b128 v[70:73], v1 offset:1120
	v_fma_f64 v[4:5], v[42:43], v[20:21], -v[4:5]
	v_add_f64 v[2:3], v[2:3], v[4:5]
	v_mul_f64 v[4:5], v[48:49], v[8:9]
	s_waitcnt vmcnt(36) lgkmcnt(1)
	v_mul_f64 v[76:77], v[66:67], v[34:35]
	v_fma_f64 v[4:5], v[46:47], v[18:19], -v[4:5]
	s_waitcnt vmcnt(34)
	v_fmac_f64_e32 v[76:77], v[68:69], v[36:37]
	v_add_f64 v[2:3], v[2:3], v[4:5]
	v_mul_f64 v[4:5], v[52:53], v[14:15]
	v_add_f64 v[78:79], v[74:75], v[76:77]
	ds_read_b128 v[74:77], v1 offset:1136
	s_waitcnt vmcnt(32) lgkmcnt(1)
	v_mul_f64 v[80:81], v[70:71], v[30:31]
	v_fma_f64 v[4:5], v[50:51], v[16:17], -v[4:5]
	v_fmac_f64_e32 v[80:81], v[72:73], v[32:33]
	v_add_f64 v[2:3], v[2:3], v[4:5]
	v_mul_f64 v[4:5], v[56:57], v[10:11]
	v_add_f64 v[82:83], v[78:79], v[80:81]
	ds_read_b128 v[78:81], v1 offset:1152
	v_fma_f64 v[4:5], v[54:55], v[12:13], -v[4:5]
	v_add_f64 v[2:3], v[2:3], v[4:5]
	v_mul_f64 v[4:5], v[60:61], v[26:27]
	v_fma_f64 v[4:5], v[58:59], v[28:29], -v[4:5]
	s_waitcnt vmcnt(28) lgkmcnt(1)
	v_mul_f64 v[84:85], v[74:75], v[106:107]
	v_add_f64 v[2:3], v[2:3], v[4:5]
	v_mul_f64 v[4:5], v[64:65], v[22:23]
	s_waitcnt vmcnt(26)
	v_fmac_f64_e32 v[84:85], v[76:77], v[108:109]
	v_fma_f64 v[4:5], v[62:63], v[24:25], -v[4:5]
	v_add_f64 v[86:87], v[82:83], v[84:85]
	ds_read_b128 v[82:85], v1 offset:1168
	s_waitcnt vmcnt(24) lgkmcnt(1)
	v_mul_f64 v[88:89], v[78:79], v[102:103]
	v_add_f64 v[2:3], v[2:3], v[4:5]
	v_mul_f64 v[4:5], v[68:69], v[34:35]
	v_fmac_f64_e32 v[88:89], v[80:81], v[104:105]
	v_fma_f64 v[4:5], v[66:67], v[36:37], -v[4:5]
	v_add_f64 v[90:91], v[86:87], v[88:89]
	ds_read_b128 v[86:89], v1 offset:1184
	v_add_f64 v[2:3], v[2:3], v[4:5]
	v_mul_f64 v[4:5], v[72:73], v[30:31]
	v_fma_f64 v[4:5], v[70:71], v[32:33], -v[4:5]
	v_add_f64 v[2:3], v[2:3], v[4:5]
	v_mul_f64 v[4:5], v[76:77], v[106:107]
	s_waitcnt vmcnt(20) lgkmcnt(1)
	v_mul_f64 v[92:93], v[82:83], v[114:115]
	v_fma_f64 v[4:5], v[74:75], v[108:109], -v[4:5]
	s_waitcnt vmcnt(18)
	v_fmac_f64_e32 v[92:93], v[84:85], v[116:117]
	v_add_f64 v[2:3], v[2:3], v[4:5]
	v_mul_f64 v[4:5], v[80:81], v[102:103]
	v_add_f64 v[94:95], v[90:91], v[92:93]
	ds_read_b128 v[90:93], v1 offset:1200
	s_waitcnt vmcnt(16) lgkmcnt(1)
	v_mul_f64 v[96:97], v[86:87], v[110:111]
	v_fma_f64 v[4:5], v[78:79], v[104:105], -v[4:5]
	v_fmac_f64_e32 v[96:97], v[88:89], v[112:113]
	v_add_f64 v[2:3], v[2:3], v[4:5]
	v_mul_f64 v[4:5], v[84:85], v[114:115]
	v_add_f64 v[136:137], v[94:95], v[96:97]
	ds_read_b128 v[94:97], v1 offset:1216
	v_fma_f64 v[4:5], v[82:83], v[116:117], -v[4:5]
	v_add_f64 v[2:3], v[2:3], v[4:5]
	v_mul_f64 v[4:5], v[88:89], v[110:111]
	v_fma_f64 v[4:5], v[86:87], v[112:113], -v[4:5]
	v_add_f64 v[2:3], v[2:3], v[4:5]
	s_waitcnt vmcnt(12) lgkmcnt(1)
	v_mul_f64 v[4:5], v[92:93], v[124:125]
	v_mul_f64 v[138:139], v[90:91], v[124:125]
	s_waitcnt vmcnt(10)
	v_fma_f64 v[4:5], v[90:91], v[126:127], -v[4:5]
	v_fmac_f64_e32 v[138:139], v[92:93], v[126:127]
	v_add_f64 v[2:3], v[2:3], v[4:5]
	s_waitcnt vmcnt(8) lgkmcnt(0)
	v_mul_f64 v[4:5], v[96:97], v[120:121]
	v_add_f64 v[136:137], v[136:137], v[138:139]
	v_mul_f64 v[138:139], v[94:95], v[120:121]
	v_fma_f64 v[4:5], v[94:95], v[122:123], -v[4:5]
	v_fmac_f64_e32 v[138:139], v[96:97], v[122:123]
	v_add_f64 v[2:3], v[2:3], v[4:5]
	s_waitcnt vmcnt(6)
	v_mul_f64 v[4:5], v[100:101], v[128:129]
	v_add_f64 v[136:137], v[136:137], v[138:139]
	v_mul_f64 v[138:139], v[98:99], v[128:129]
	s_waitcnt vmcnt(4)
	v_fma_f64 v[4:5], v[98:99], v[130:131], -v[4:5]
	v_fmac_f64_e32 v[138:139], v[100:101], v[130:131]
	v_add_f64 v[2:3], v[2:3], v[4:5]
	v_add_f64 v[136:137], v[136:137], v[138:139]
	s_waitcnt vmcnt(2)
	v_add_f64 v[2:3], v[132:133], -v[2:3]
	s_waitcnt vmcnt(0)
	v_add_f64 v[4:5], v[134:135], -v[136:137]
	buffer_store_dword v3, off, s[0:3], 0 offset:372
	buffer_store_dword v2, off, s[0:3], 0 offset:368
	;; [unrolled: 1-line block ×4, first 2 shown]
	s_and_saveexec_b64 s[4:5], vcc
	s_cbranch_execz .LBB102_205
; %bb.204:
	v_accvgpr_read_b32 v1, a95
	buffer_load_dword v2, v1, s[0:3], 0 offen
	buffer_load_dword v3, v1, s[0:3], 0 offen offset:4
	buffer_load_dword v4, v1, s[0:3], 0 offen offset:8
	;; [unrolled: 1-line block ×3, first 2 shown]
	v_mov_b32_e32 v1, 0
	v_accvgpr_read_b32 v6, a116
	buffer_store_dword v1, off, s[0:3], 0 offset:352
	buffer_store_dword v1, off, s[0:3], 0 offset:356
	;; [unrolled: 1-line block ×4, first 2 shown]
	s_waitcnt vmcnt(4)
	ds_write_b128 v6, v[2:5]
.LBB102_205:
	s_or_b64 exec, exec, s[4:5]
	s_waitcnt lgkmcnt(0)
	; wave barrier
	s_waitcnt lgkmcnt(0)
	buffer_load_dword v2, off, s[0:3], 0 offset:368
	buffer_load_dword v3, off, s[0:3], 0 offset:372
	;; [unrolled: 1-line block ×68, first 2 shown]
	v_mov_b32_e32 v1, 0
	buffer_load_dword v140, off, s[0:3], 0 offset:352
	buffer_load_dword v141, off, s[0:3], 0 offset:356
	;; [unrolled: 1-line block ×3, first 2 shown]
	ds_read_b128 v[46:49], v1 offset:976
	ds_read_b128 v[50:53], v1 offset:992
	buffer_load_dword v143, off, s[0:3], 0 offset:364
	ds_read_b128 v[54:57], v1 offset:1008
	ds_read_b128 v[58:61], v1 offset:1024
	;; [unrolled: 1-line block ×3, first 2 shown]
	v_cmp_lt_u32_e32 vcc, 20, v0
	s_waitcnt vmcnt(62) lgkmcnt(4)
	v_mul_f64 v[62:63], v[46:47], v[6:7]
	v_fmac_f64_e32 v[62:63], v[48:49], v[2:3]
	v_add_f64 v[62:63], v[62:63], 0
	v_mul_f64 v[6:7], v[48:49], v[6:7]
	s_waitcnt lgkmcnt(3)
	v_mul_f64 v[64:65], v[50:51], v[10:11]
	v_fmac_f64_e32 v[64:65], v[52:53], v[4:5]
	v_add_f64 v[62:63], v[62:63], v[64:65]
	v_fma_f64 v[2:3], v[46:47], v[2:3], -v[6:7]
	s_waitcnt vmcnt(60) lgkmcnt(2)
	v_mul_f64 v[64:65], v[54:55], v[12:13]
	v_fmac_f64_e32 v[64:65], v[56:57], v[8:9]
	v_add_f64 v[66:67], v[62:63], v[64:65]
	ds_read_b128 v[62:65], v1 offset:1040
	s_waitcnt vmcnt(56) lgkmcnt(2)
	v_mul_f64 v[68:69], v[58:59], v[18:19]
	v_mul_f64 v[6:7], v[52:53], v[10:11]
	s_waitcnt vmcnt(54)
	v_fmac_f64_e32 v[68:69], v[60:61], v[20:21]
	v_add_f64 v[70:71], v[66:67], v[68:69]
	ds_read_b128 v[66:69], v1 offset:1056
	s_waitcnt vmcnt(53) lgkmcnt(1)
	v_mul_f64 v[72:73], v[62:63], v[14:15]
	s_waitcnt vmcnt(52)
	v_fmac_f64_e32 v[72:73], v[64:65], v[16:17]
	v_add_f64 v[74:75], v[70:71], v[72:73]
	ds_read_b128 v[70:73], v1 offset:1072
	s_waitcnt vmcnt(48) lgkmcnt(1)
	;; [unrolled: 6-line block ×4, first 2 shown]
	v_mul_f64 v[84:85], v[74:75], v[34:35]
	s_waitcnt vmcnt(38)
	v_fmac_f64_e32 v[84:85], v[76:77], v[36:37]
	v_add_f64 v[2:3], v[2:3], 0
	v_fma_f64 v[4:5], v[50:51], v[4:5], -v[6:7]
	v_add_f64 v[86:87], v[82:83], v[84:85]
	ds_read_b128 v[82:85], v1 offset:1120
	v_add_f64 v[2:3], v[2:3], v[4:5]
	v_mul_f64 v[4:5], v[56:57], v[12:13]
	v_fma_f64 v[4:5], v[54:55], v[8:9], -v[4:5]
	v_add_f64 v[2:3], v[2:3], v[4:5]
	v_mul_f64 v[4:5], v[60:61], v[18:19]
	s_waitcnt vmcnt(37) lgkmcnt(1)
	v_mul_f64 v[88:89], v[78:79], v[30:31]
	v_fma_f64 v[4:5], v[58:59], v[20:21], -v[4:5]
	s_waitcnt vmcnt(36)
	v_fmac_f64_e32 v[88:89], v[80:81], v[32:33]
	v_add_f64 v[2:3], v[2:3], v[4:5]
	v_mul_f64 v[4:5], v[64:65], v[14:15]
	v_add_f64 v[90:91], v[86:87], v[88:89]
	ds_read_b128 v[86:89], v1 offset:1136
	s_waitcnt vmcnt(32) lgkmcnt(1)
	v_mul_f64 v[92:93], v[82:83], v[42:43]
	v_fma_f64 v[4:5], v[62:63], v[16:17], -v[4:5]
	s_waitcnt vmcnt(30)
	v_fmac_f64_e32 v[92:93], v[84:85], v[44:45]
	v_add_f64 v[2:3], v[2:3], v[4:5]
	v_mul_f64 v[4:5], v[68:69], v[26:27]
	v_add_f64 v[94:95], v[90:91], v[92:93]
	ds_read_b128 v[90:93], v1 offset:1152
	v_fma_f64 v[4:5], v[66:67], v[28:29], -v[4:5]
	v_add_f64 v[2:3], v[2:3], v[4:5]
	v_mul_f64 v[4:5], v[72:73], v[22:23]
	v_fma_f64 v[4:5], v[70:71], v[24:25], -v[4:5]
	s_waitcnt vmcnt(29) lgkmcnt(1)
	v_mul_f64 v[96:97], v[86:87], v[38:39]
	v_add_f64 v[2:3], v[2:3], v[4:5]
	v_mul_f64 v[4:5], v[76:77], v[34:35]
	s_waitcnt vmcnt(28)
	v_fmac_f64_e32 v[96:97], v[88:89], v[40:41]
	v_fma_f64 v[4:5], v[74:75], v[36:37], -v[4:5]
	v_add_f64 v[98:99], v[94:95], v[96:97]
	ds_read_b128 v[94:97], v1 offset:1168
	s_waitcnt vmcnt(24) lgkmcnt(1)
	v_mul_f64 v[100:101], v[90:91], v[120:121]
	v_add_f64 v[2:3], v[2:3], v[4:5]
	v_mul_f64 v[4:5], v[80:81], v[30:31]
	s_waitcnt vmcnt(22)
	v_fmac_f64_e32 v[100:101], v[92:93], v[122:123]
	v_fma_f64 v[4:5], v[78:79], v[32:33], -v[4:5]
	v_add_f64 v[102:103], v[98:99], v[100:101]
	ds_read_b128 v[98:101], v1 offset:1184
	v_add_f64 v[2:3], v[2:3], v[4:5]
	v_mul_f64 v[4:5], v[84:85], v[42:43]
	v_fma_f64 v[4:5], v[82:83], v[44:45], -v[4:5]
	v_add_f64 v[2:3], v[2:3], v[4:5]
	v_mul_f64 v[4:5], v[88:89], v[38:39]
	s_waitcnt vmcnt(21) lgkmcnt(1)
	v_mul_f64 v[104:105], v[94:95], v[114:115]
	v_fma_f64 v[4:5], v[86:87], v[40:41], -v[4:5]
	s_waitcnt vmcnt(20)
	v_fmac_f64_e32 v[104:105], v[96:97], v[116:117]
	v_add_f64 v[2:3], v[2:3], v[4:5]
	v_mul_f64 v[4:5], v[92:93], v[120:121]
	v_add_f64 v[106:107], v[102:103], v[104:105]
	ds_read_b128 v[102:105], v1 offset:1200
	s_waitcnt vmcnt(16) lgkmcnt(1)
	v_mul_f64 v[108:109], v[98:99], v[128:129]
	v_fma_f64 v[4:5], v[90:91], v[122:123], -v[4:5]
	s_waitcnt vmcnt(14)
	v_fmac_f64_e32 v[108:109], v[100:101], v[130:131]
	v_add_f64 v[2:3], v[2:3], v[4:5]
	v_mul_f64 v[4:5], v[96:97], v[114:115]
	v_add_f64 v[144:145], v[106:107], v[108:109]
	ds_read_b128 v[106:109], v1 offset:1216
	v_fma_f64 v[4:5], v[94:95], v[116:117], -v[4:5]
	v_add_f64 v[2:3], v[2:3], v[4:5]
	v_mul_f64 v[4:5], v[100:101], v[128:129]
	v_fma_f64 v[4:5], v[98:99], v[130:131], -v[4:5]
	v_add_f64 v[2:3], v[2:3], v[4:5]
	s_waitcnt vmcnt(13) lgkmcnt(1)
	v_mul_f64 v[4:5], v[104:105], v[124:125]
	v_mul_f64 v[146:147], v[102:103], v[124:125]
	s_waitcnt vmcnt(12)
	v_fma_f64 v[4:5], v[102:103], v[126:127], -v[4:5]
	v_fmac_f64_e32 v[146:147], v[104:105], v[126:127]
	v_add_f64 v[2:3], v[2:3], v[4:5]
	s_waitcnt vmcnt(8) lgkmcnt(0)
	v_mul_f64 v[4:5], v[108:109], v[136:137]
	v_add_f64 v[144:145], v[144:145], v[146:147]
	v_mul_f64 v[146:147], v[106:107], v[136:137]
	s_waitcnt vmcnt(6)
	v_fma_f64 v[4:5], v[106:107], v[138:139], -v[4:5]
	v_fmac_f64_e32 v[146:147], v[108:109], v[138:139]
	v_add_f64 v[2:3], v[2:3], v[4:5]
	s_waitcnt vmcnt(5)
	v_mul_f64 v[4:5], v[112:113], v[132:133]
	v_add_f64 v[144:145], v[144:145], v[146:147]
	v_mul_f64 v[146:147], v[110:111], v[132:133]
	s_waitcnt vmcnt(4)
	v_fma_f64 v[4:5], v[110:111], v[134:135], -v[4:5]
	v_fmac_f64_e32 v[146:147], v[112:113], v[134:135]
	v_add_f64 v[2:3], v[2:3], v[4:5]
	v_add_f64 v[144:145], v[144:145], v[146:147]
	s_waitcnt vmcnt(2)
	v_add_f64 v[2:3], v[140:141], -v[2:3]
	s_waitcnt vmcnt(0)
	v_add_f64 v[4:5], v[142:143], -v[144:145]
	buffer_store_dword v3, off, s[0:3], 0 offset:356
	buffer_store_dword v2, off, s[0:3], 0 offset:352
	;; [unrolled: 1-line block ×4, first 2 shown]
	s_and_saveexec_b64 s[4:5], vcc
	s_cbranch_execz .LBB102_207
; %bb.206:
	v_accvgpr_read_b32 v5, a96
	buffer_load_dword v2, v5, s[0:3], 0 offen
	buffer_load_dword v3, v5, s[0:3], 0 offen offset:4
	buffer_load_dword v4, v5, s[0:3], 0 offen offset:8
	s_nop 0
	buffer_load_dword v5, v5, s[0:3], 0 offen offset:12
	v_accvgpr_read_b32 v6, a116
	buffer_store_dword v1, off, s[0:3], 0 offset:336
	buffer_store_dword v1, off, s[0:3], 0 offset:340
	buffer_store_dword v1, off, s[0:3], 0 offset:344
	buffer_store_dword v1, off, s[0:3], 0 offset:348
	s_waitcnt vmcnt(4)
	ds_write_b128 v6, v[2:5]
.LBB102_207:
	s_or_b64 exec, exec, s[4:5]
	s_waitcnt lgkmcnt(0)
	; wave barrier
	s_waitcnt lgkmcnt(0)
	buffer_load_dword v2, off, s[0:3], 0 offset:352
	buffer_load_dword v3, off, s[0:3], 0 offset:356
	;; [unrolled: 1-line block ×72, first 2 shown]
	ds_read_b128 v[52:55], v1 offset:960
	buffer_load_dword v148, off, s[0:3], 0 offset:336
	buffer_load_dword v149, off, s[0:3], 0 offset:340
	;; [unrolled: 1-line block ×4, first 2 shown]
	ds_read_b128 v[56:59], v1 offset:976
	ds_read_b128 v[60:63], v1 offset:992
	;; [unrolled: 1-line block ×3, first 2 shown]
	v_cmp_lt_u32_e32 vcc, 19, v0
	ds_read_b128 v[124:127], v1 offset:1232
	s_waitcnt vmcnt(62) lgkmcnt(4)
	v_mul_f64 v[68:69], v[52:53], v[8:9]
	v_fmac_f64_e32 v[68:69], v[54:55], v[2:3]
	v_add_f64 v[68:69], v[68:69], 0
	v_mul_f64 v[8:9], v[54:55], v[8:9]
	s_waitcnt lgkmcnt(3)
	v_mul_f64 v[70:71], v[56:57], v[10:11]
	v_fmac_f64_e32 v[70:71], v[58:59], v[4:5]
	v_add_f64 v[68:69], v[68:69], v[70:71]
	v_fma_f64 v[2:3], v[52:53], v[2:3], -v[8:9]
	s_waitcnt lgkmcnt(2)
	v_mul_f64 v[70:71], v[60:61], v[12:13]
	v_fmac_f64_e32 v[70:71], v[62:63], v[6:7]
	v_add_f64 v[72:73], v[68:69], v[70:71]
	ds_read_b128 v[68:71], v1 offset:1024
	s_waitcnt vmcnt(60) lgkmcnt(2)
	v_mul_f64 v[74:75], v[64:65], v[18:19]
	v_mul_f64 v[8:9], v[58:59], v[10:11]
	s_waitcnt vmcnt(58)
	v_fmac_f64_e32 v[74:75], v[66:67], v[20:21]
	v_add_f64 v[76:77], v[72:73], v[74:75]
	ds_read_b128 v[72:75], v1 offset:1040
	s_waitcnt vmcnt(57) lgkmcnt(1)
	v_mul_f64 v[78:79], v[68:69], v[14:15]
	s_waitcnt vmcnt(56)
	v_fmac_f64_e32 v[78:79], v[70:71], v[16:17]
	v_add_f64 v[80:81], v[76:77], v[78:79]
	ds_read_b128 v[76:79], v1 offset:1056
	s_waitcnt vmcnt(52) lgkmcnt(1)
	;; [unrolled: 6-line block ×4, first 2 shown]
	v_mul_f64 v[90:91], v[80:81], v[34:35]
	s_waitcnt vmcnt(42)
	v_fmac_f64_e32 v[90:91], v[82:83], v[36:37]
	v_add_f64 v[2:3], v[2:3], 0
	v_fma_f64 v[4:5], v[56:57], v[4:5], -v[8:9]
	v_add_f64 v[92:93], v[88:89], v[90:91]
	ds_read_b128 v[88:91], v1 offset:1104
	s_waitcnt vmcnt(41) lgkmcnt(1)
	v_mul_f64 v[94:95], v[84:85], v[30:31]
	v_add_f64 v[2:3], v[2:3], v[4:5]
	v_mul_f64 v[4:5], v[62:63], v[12:13]
	s_waitcnt vmcnt(40)
	v_fmac_f64_e32 v[94:95], v[86:87], v[32:33]
	v_fma_f64 v[4:5], v[60:61], v[6:7], -v[4:5]
	v_add_f64 v[96:97], v[92:93], v[94:95]
	ds_read_b128 v[92:95], v1 offset:1120
	v_add_f64 v[2:3], v[2:3], v[4:5]
	v_mul_f64 v[4:5], v[66:67], v[18:19]
	v_fma_f64 v[4:5], v[64:65], v[20:21], -v[4:5]
	v_add_f64 v[2:3], v[2:3], v[4:5]
	v_mul_f64 v[4:5], v[70:71], v[14:15]
	s_waitcnt vmcnt(36) lgkmcnt(1)
	v_mul_f64 v[98:99], v[88:89], v[42:43]
	v_fma_f64 v[4:5], v[68:69], v[16:17], -v[4:5]
	s_waitcnt vmcnt(34)
	v_fmac_f64_e32 v[98:99], v[90:91], v[44:45]
	v_add_f64 v[2:3], v[2:3], v[4:5]
	v_mul_f64 v[4:5], v[74:75], v[26:27]
	v_add_f64 v[100:101], v[96:97], v[98:99]
	ds_read_b128 v[96:99], v1 offset:1136
	s_waitcnt vmcnt(33) lgkmcnt(1)
	v_mul_f64 v[102:103], v[92:93], v[38:39]
	v_fma_f64 v[4:5], v[72:73], v[28:29], -v[4:5]
	s_waitcnt vmcnt(32)
	v_fmac_f64_e32 v[102:103], v[94:95], v[40:41]
	v_add_f64 v[2:3], v[2:3], v[4:5]
	v_mul_f64 v[4:5], v[78:79], v[22:23]
	v_add_f64 v[104:105], v[100:101], v[102:103]
	ds_read_b128 v[100:103], v1 offset:1152
	v_fma_f64 v[4:5], v[76:77], v[24:25], -v[4:5]
	v_add_f64 v[2:3], v[2:3], v[4:5]
	v_mul_f64 v[4:5], v[82:83], v[34:35]
	v_fma_f64 v[4:5], v[80:81], v[36:37], -v[4:5]
	s_waitcnt vmcnt(28) lgkmcnt(1)
	v_mul_f64 v[106:107], v[96:97], v[50:51]
	v_add_f64 v[2:3], v[2:3], v[4:5]
	v_mul_f64 v[4:5], v[86:87], v[30:31]
	s_waitcnt vmcnt(26)
	v_fmac_f64_e32 v[106:107], v[98:99], v[116:117]
	v_fma_f64 v[4:5], v[84:85], v[32:33], -v[4:5]
	v_add_f64 v[108:109], v[104:105], v[106:107]
	ds_read_b128 v[104:107], v1 offset:1168
	s_waitcnt vmcnt(25) lgkmcnt(1)
	v_mul_f64 v[110:111], v[100:101], v[46:47]
	v_add_f64 v[2:3], v[2:3], v[4:5]
	v_mul_f64 v[4:5], v[90:91], v[42:43]
	s_waitcnt vmcnt(24)
	v_fmac_f64_e32 v[110:111], v[102:103], v[48:49]
	v_fma_f64 v[4:5], v[88:89], v[44:45], -v[4:5]
	v_add_f64 v[112:113], v[108:109], v[110:111]
	ds_read_b128 v[108:111], v1 offset:1184
	v_add_f64 v[2:3], v[2:3], v[4:5]
	v_mul_f64 v[4:5], v[94:95], v[38:39]
	v_fma_f64 v[4:5], v[92:93], v[40:41], -v[4:5]
	v_add_f64 v[2:3], v[2:3], v[4:5]
	v_mul_f64 v[4:5], v[98:99], v[50:51]
	s_waitcnt vmcnt(20) lgkmcnt(1)
	v_mul_f64 v[114:115], v[104:105], v[132:133]
	v_fma_f64 v[4:5], v[96:97], v[116:117], -v[4:5]
	s_waitcnt vmcnt(18)
	v_fmac_f64_e32 v[114:115], v[106:107], v[134:135]
	v_add_f64 v[2:3], v[2:3], v[4:5]
	v_mul_f64 v[4:5], v[102:103], v[46:47]
	v_add_f64 v[120:121], v[112:113], v[114:115]
	ds_read_b128 v[112:115], v1 offset:1200
	s_waitcnt vmcnt(17) lgkmcnt(1)
	v_mul_f64 v[122:123], v[108:109], v[128:129]
	v_fma_f64 v[4:5], v[100:101], v[48:49], -v[4:5]
	s_waitcnt vmcnt(16)
	v_fmac_f64_e32 v[122:123], v[110:111], v[130:131]
	v_add_f64 v[2:3], v[2:3], v[4:5]
	v_mul_f64 v[4:5], v[106:107], v[132:133]
	v_add_f64 v[152:153], v[120:121], v[122:123]
	ds_read_b128 v[120:123], v1 offset:1216
	v_fma_f64 v[4:5], v[104:105], v[134:135], -v[4:5]
	v_add_f64 v[2:3], v[2:3], v[4:5]
	v_mul_f64 v[4:5], v[110:111], v[128:129]
	v_fma_f64 v[4:5], v[108:109], v[130:131], -v[4:5]
	v_add_f64 v[2:3], v[2:3], v[4:5]
	s_waitcnt vmcnt(12) lgkmcnt(1)
	v_mul_f64 v[4:5], v[114:115], v[140:141]
	v_mul_f64 v[154:155], v[112:113], v[140:141]
	s_waitcnt vmcnt(10)
	v_fma_f64 v[4:5], v[112:113], v[142:143], -v[4:5]
	v_fmac_f64_e32 v[154:155], v[114:115], v[142:143]
	v_add_f64 v[2:3], v[2:3], v[4:5]
	s_waitcnt vmcnt(9) lgkmcnt(0)
	v_mul_f64 v[4:5], v[122:123], v[136:137]
	v_add_f64 v[152:153], v[152:153], v[154:155]
	v_mul_f64 v[154:155], v[120:121], v[136:137]
	s_waitcnt vmcnt(8)
	v_fma_f64 v[4:5], v[120:121], v[138:139], -v[4:5]
	v_fmac_f64_e32 v[154:155], v[122:123], v[138:139]
	v_add_f64 v[2:3], v[2:3], v[4:5]
	s_waitcnt vmcnt(6)
	v_mul_f64 v[4:5], v[126:127], v[144:145]
	v_add_f64 v[152:153], v[152:153], v[154:155]
	v_mul_f64 v[154:155], v[124:125], v[144:145]
	s_waitcnt vmcnt(4)
	v_fma_f64 v[4:5], v[124:125], v[146:147], -v[4:5]
	v_fmac_f64_e32 v[154:155], v[126:127], v[146:147]
	v_add_f64 v[2:3], v[2:3], v[4:5]
	v_add_f64 v[152:153], v[152:153], v[154:155]
	s_waitcnt vmcnt(2)
	v_add_f64 v[2:3], v[148:149], -v[2:3]
	s_waitcnt vmcnt(0)
	v_add_f64 v[4:5], v[150:151], -v[152:153]
	buffer_store_dword v3, off, s[0:3], 0 offset:340
	buffer_store_dword v2, off, s[0:3], 0 offset:336
	;; [unrolled: 1-line block ×4, first 2 shown]
	s_and_saveexec_b64 s[4:5], vcc
	s_cbranch_execz .LBB102_209
; %bb.208:
	v_accvgpr_read_b32 v1, a97
	buffer_load_dword v2, v1, s[0:3], 0 offen
	buffer_load_dword v3, v1, s[0:3], 0 offen offset:4
	buffer_load_dword v4, v1, s[0:3], 0 offen offset:8
	buffer_load_dword v5, v1, s[0:3], 0 offen offset:12
	v_mov_b32_e32 v1, 0
	v_accvgpr_read_b32 v6, a116
	buffer_store_dword v1, off, s[0:3], 0 offset:320
	buffer_store_dword v1, off, s[0:3], 0 offset:324
	;; [unrolled: 1-line block ×4, first 2 shown]
	s_waitcnt vmcnt(4)
	ds_write_b128 v6, v[2:5]
.LBB102_209:
	s_or_b64 exec, exec, s[4:5]
	s_waitcnt lgkmcnt(0)
	; wave barrier
	s_waitcnt lgkmcnt(0)
	buffer_load_dword v2, off, s[0:3], 0 offset:336
	buffer_load_dword v3, off, s[0:3], 0 offset:340
	;; [unrolled: 1-line block ×76, first 2 shown]
	v_mov_b32_e32 v1, 0
	ds_read_b128 v[54:57], v1 offset:944
	buffer_load_dword v156, off, s[0:3], 0 offset:320
	buffer_load_dword v157, off, s[0:3], 0 offset:324
	;; [unrolled: 1-line block ×4, first 2 shown]
	ds_read_b128 v[58:61], v1 offset:960
	ds_read_b128 v[62:65], v1 offset:976
	;; [unrolled: 1-line block ×4, first 2 shown]
	v_cmp_lt_u32_e32 vcc, 18, v0
	s_waitcnt vmcnt(62) lgkmcnt(4)
	v_mul_f64 v[70:71], v[54:55], v[8:9]
	v_fmac_f64_e32 v[70:71], v[56:57], v[2:3]
	v_add_f64 v[70:71], v[70:71], 0
	v_mul_f64 v[8:9], v[56:57], v[8:9]
	s_waitcnt lgkmcnt(3)
	v_mul_f64 v[72:73], v[58:59], v[10:11]
	v_fmac_f64_e32 v[72:73], v[60:61], v[4:5]
	v_add_f64 v[70:71], v[70:71], v[72:73]
	v_fma_f64 v[2:3], v[54:55], v[2:3], -v[8:9]
	s_waitcnt lgkmcnt(2)
	v_mul_f64 v[72:73], v[62:63], v[12:13]
	v_fmac_f64_e32 v[72:73], v[64:65], v[6:7]
	v_add_f64 v[74:75], v[70:71], v[72:73]
	ds_read_b128 v[70:73], v1 offset:1008
	s_waitcnt lgkmcnt(2)
	v_mul_f64 v[76:77], v[66:67], v[18:19]
	v_mul_f64 v[8:9], v[60:61], v[10:11]
	v_fmac_f64_e32 v[76:77], v[68:69], v[20:21]
	v_add_f64 v[78:79], v[74:75], v[76:77]
	ds_read_b128 v[74:77], v1 offset:1024
	s_waitcnt vmcnt(61) lgkmcnt(1)
	v_mul_f64 v[80:81], v[70:71], v[14:15]
	s_waitcnt vmcnt(60)
	v_fmac_f64_e32 v[80:81], v[72:73], v[16:17]
	v_add_f64 v[82:83], v[78:79], v[80:81]
	ds_read_b128 v[78:81], v1 offset:1040
	s_waitcnt vmcnt(56) lgkmcnt(1)
	v_mul_f64 v[84:85], v[74:75], v[26:27]
	s_waitcnt vmcnt(54)
	;; [unrolled: 6-line block ×4, first 2 shown]
	v_fmac_f64_e32 v[92:93], v[84:85], v[36:37]
	v_add_f64 v[94:95], v[90:91], v[92:93]
	ds_read_b128 v[90:93], v1 offset:1088
	v_add_f64 v[2:3], v[2:3], 0
	v_fma_f64 v[4:5], v[58:59], v[4:5], -v[8:9]
	s_waitcnt vmcnt(45) lgkmcnt(1)
	v_mul_f64 v[96:97], v[86:87], v[30:31]
	v_add_f64 v[2:3], v[2:3], v[4:5]
	v_mul_f64 v[4:5], v[64:65], v[12:13]
	s_waitcnt vmcnt(44)
	v_fmac_f64_e32 v[96:97], v[88:89], v[32:33]
	v_fma_f64 v[4:5], v[62:63], v[6:7], -v[4:5]
	v_add_f64 v[98:99], v[94:95], v[96:97]
	ds_read_b128 v[94:97], v1 offset:1104
	s_waitcnt vmcnt(40) lgkmcnt(1)
	v_mul_f64 v[100:101], v[90:91], v[42:43]
	v_add_f64 v[2:3], v[2:3], v[4:5]
	v_mul_f64 v[4:5], v[68:69], v[18:19]
	s_waitcnt vmcnt(38)
	v_fmac_f64_e32 v[100:101], v[92:93], v[44:45]
	v_fma_f64 v[4:5], v[66:67], v[20:21], -v[4:5]
	v_add_f64 v[102:103], v[98:99], v[100:101]
	ds_read_b128 v[98:101], v1 offset:1120
	v_add_f64 v[2:3], v[2:3], v[4:5]
	v_mul_f64 v[4:5], v[72:73], v[14:15]
	v_fma_f64 v[4:5], v[70:71], v[16:17], -v[4:5]
	v_add_f64 v[2:3], v[2:3], v[4:5]
	v_mul_f64 v[4:5], v[76:77], v[26:27]
	s_waitcnt vmcnt(37) lgkmcnt(1)
	v_mul_f64 v[104:105], v[94:95], v[38:39]
	v_fma_f64 v[4:5], v[74:75], v[28:29], -v[4:5]
	s_waitcnt vmcnt(36)
	v_fmac_f64_e32 v[104:105], v[96:97], v[40:41]
	v_add_f64 v[2:3], v[2:3], v[4:5]
	v_mul_f64 v[4:5], v[80:81], v[22:23]
	v_add_f64 v[106:107], v[102:103], v[104:105]
	ds_read_b128 v[102:105], v1 offset:1136
	s_waitcnt vmcnt(32) lgkmcnt(1)
	v_mul_f64 v[108:109], v[98:99], v[50:51]
	v_fma_f64 v[4:5], v[78:79], v[24:25], -v[4:5]
	s_waitcnt vmcnt(30)
	v_fmac_f64_e32 v[108:109], v[100:101], v[52:53]
	v_add_f64 v[2:3], v[2:3], v[4:5]
	v_mul_f64 v[4:5], v[84:85], v[34:35]
	v_add_f64 v[110:111], v[106:107], v[108:109]
	ds_read_b128 v[106:109], v1 offset:1152
	v_fma_f64 v[4:5], v[82:83], v[36:37], -v[4:5]
	v_add_f64 v[2:3], v[2:3], v[4:5]
	v_mul_f64 v[4:5], v[88:89], v[30:31]
	v_fma_f64 v[4:5], v[86:87], v[32:33], -v[4:5]
	s_waitcnt vmcnt(29) lgkmcnt(1)
	v_mul_f64 v[112:113], v[102:103], v[46:47]
	v_add_f64 v[2:3], v[2:3], v[4:5]
	v_mul_f64 v[4:5], v[92:93], v[42:43]
	s_waitcnt vmcnt(28)
	v_fmac_f64_e32 v[112:113], v[104:105], v[48:49]
	v_fma_f64 v[4:5], v[90:91], v[44:45], -v[4:5]
	v_add_f64 v[114:115], v[110:111], v[112:113]
	ds_read_b128 v[110:113], v1 offset:1168
	s_waitcnt vmcnt(24) lgkmcnt(1)
	v_mul_f64 v[116:117], v[106:107], v[136:137]
	v_add_f64 v[2:3], v[2:3], v[4:5]
	v_mul_f64 v[4:5], v[96:97], v[38:39]
	s_waitcnt vmcnt(22)
	v_fmac_f64_e32 v[116:117], v[108:109], v[138:139]
	v_fma_f64 v[4:5], v[94:95], v[40:41], -v[4:5]
	v_add_f64 v[120:121], v[114:115], v[116:117]
	ds_read_b128 v[114:117], v1 offset:1184
	v_add_f64 v[2:3], v[2:3], v[4:5]
	v_mul_f64 v[4:5], v[100:101], v[50:51]
	v_fma_f64 v[4:5], v[98:99], v[52:53], -v[4:5]
	v_add_f64 v[2:3], v[2:3], v[4:5]
	v_mul_f64 v[4:5], v[104:105], v[46:47]
	s_waitcnt vmcnt(21) lgkmcnt(1)
	v_mul_f64 v[122:123], v[110:111], v[132:133]
	v_fma_f64 v[4:5], v[102:103], v[48:49], -v[4:5]
	s_waitcnt vmcnt(20)
	v_fmac_f64_e32 v[122:123], v[112:113], v[134:135]
	v_add_f64 v[2:3], v[2:3], v[4:5]
	v_mul_f64 v[4:5], v[108:109], v[136:137]
	v_add_f64 v[124:125], v[120:121], v[122:123]
	ds_read_b128 v[120:123], v1 offset:1200
	s_waitcnt vmcnt(16) lgkmcnt(1)
	v_mul_f64 v[126:127], v[114:115], v[144:145]
	v_fma_f64 v[4:5], v[106:107], v[138:139], -v[4:5]
	s_waitcnt vmcnt(14)
	v_fmac_f64_e32 v[126:127], v[116:117], v[146:147]
	v_add_f64 v[2:3], v[2:3], v[4:5]
	v_mul_f64 v[4:5], v[112:113], v[132:133]
	v_add_f64 v[160:161], v[124:125], v[126:127]
	ds_read_b128 v[124:127], v1 offset:1216
	v_fma_f64 v[4:5], v[110:111], v[134:135], -v[4:5]
	v_add_f64 v[2:3], v[2:3], v[4:5]
	v_mul_f64 v[4:5], v[116:117], v[144:145]
	v_fma_f64 v[4:5], v[114:115], v[146:147], -v[4:5]
	v_add_f64 v[2:3], v[2:3], v[4:5]
	s_waitcnt vmcnt(13) lgkmcnt(1)
	v_mul_f64 v[4:5], v[122:123], v[140:141]
	v_mul_f64 v[162:163], v[120:121], v[140:141]
	s_waitcnt vmcnt(12)
	v_fma_f64 v[4:5], v[120:121], v[142:143], -v[4:5]
	v_fmac_f64_e32 v[162:163], v[122:123], v[142:143]
	v_add_f64 v[2:3], v[2:3], v[4:5]
	s_waitcnt vmcnt(8) lgkmcnt(0)
	v_mul_f64 v[4:5], v[126:127], v[152:153]
	v_add_f64 v[160:161], v[160:161], v[162:163]
	v_mul_f64 v[162:163], v[124:125], v[152:153]
	s_waitcnt vmcnt(6)
	v_fma_f64 v[4:5], v[124:125], v[154:155], -v[4:5]
	v_fmac_f64_e32 v[162:163], v[126:127], v[154:155]
	v_add_f64 v[2:3], v[2:3], v[4:5]
	s_waitcnt vmcnt(5)
	v_mul_f64 v[4:5], v[130:131], v[148:149]
	v_add_f64 v[160:161], v[160:161], v[162:163]
	v_mul_f64 v[162:163], v[128:129], v[148:149]
	s_waitcnt vmcnt(4)
	v_fma_f64 v[4:5], v[128:129], v[150:151], -v[4:5]
	v_fmac_f64_e32 v[162:163], v[130:131], v[150:151]
	v_add_f64 v[2:3], v[2:3], v[4:5]
	v_add_f64 v[160:161], v[160:161], v[162:163]
	s_waitcnt vmcnt(2)
	v_add_f64 v[2:3], v[156:157], -v[2:3]
	s_waitcnt vmcnt(0)
	v_add_f64 v[4:5], v[158:159], -v[160:161]
	buffer_store_dword v3, off, s[0:3], 0 offset:324
	buffer_store_dword v2, off, s[0:3], 0 offset:320
	;; [unrolled: 1-line block ×4, first 2 shown]
	s_and_saveexec_b64 s[4:5], vcc
	s_cbranch_execz .LBB102_211
; %bb.210:
	v_accvgpr_read_b32 v5, a98
	buffer_load_dword v2, v5, s[0:3], 0 offen
	buffer_load_dword v3, v5, s[0:3], 0 offen offset:4
	buffer_load_dword v4, v5, s[0:3], 0 offen offset:8
	s_nop 0
	buffer_load_dword v5, v5, s[0:3], 0 offen offset:12
	v_accvgpr_read_b32 v6, a116
	buffer_store_dword v1, off, s[0:3], 0 offset:304
	buffer_store_dword v1, off, s[0:3], 0 offset:308
	;; [unrolled: 1-line block ×4, first 2 shown]
	s_waitcnt vmcnt(4)
	ds_write_b128 v6, v[2:5]
.LBB102_211:
	s_or_b64 exec, exec, s[4:5]
	s_waitcnt lgkmcnt(0)
	; wave barrier
	s_waitcnt lgkmcnt(0)
	buffer_load_dword v2, off, s[0:3], 0 offset:320
	buffer_load_dword v3, off, s[0:3], 0 offset:324
	;; [unrolled: 1-line block ×76, first 2 shown]
	ds_read_b128 v[54:57], v1 offset:928
	buffer_load_dword v161, off, s[0:3], 0 offset:636
	buffer_load_dword v160, off, s[0:3], 0 offset:632
	;; [unrolled: 1-line block ×8, first 2 shown]
	ds_read_b128 v[58:61], v1 offset:944
	ds_read_b128 v[62:65], v1 offset:960
	ds_read_b128 v[66:69], v1 offset:976
	v_cmp_lt_u32_e32 vcc, 17, v0
	ds_read_b128 v[132:135], v1 offset:1232
	s_waitcnt vmcnt(62) lgkmcnt(4)
	v_mul_f64 v[70:71], v[54:55], v[8:9]
	v_fmac_f64_e32 v[70:71], v[56:57], v[2:3]
	v_add_f64 v[70:71], v[70:71], 0
	v_mul_f64 v[8:9], v[56:57], v[8:9]
	s_waitcnt lgkmcnt(3)
	v_mul_f64 v[72:73], v[58:59], v[10:11]
	v_fmac_f64_e32 v[72:73], v[60:61], v[4:5]
	v_add_f64 v[70:71], v[70:71], v[72:73]
	v_fma_f64 v[2:3], v[54:55], v[2:3], -v[8:9]
	s_waitcnt lgkmcnt(2)
	v_mul_f64 v[72:73], v[62:63], v[12:13]
	v_fmac_f64_e32 v[72:73], v[64:65], v[6:7]
	v_add_f64 v[74:75], v[70:71], v[72:73]
	ds_read_b128 v[70:73], v1 offset:992
	v_mul_f64 v[8:9], v[60:61], v[10:11]
	v_add_f64 v[2:3], v[2:3], 0
	s_waitcnt lgkmcnt(2)
	v_mul_f64 v[76:77], v[66:67], v[18:19]
	v_fma_f64 v[4:5], v[58:59], v[4:5], -v[8:9]
	v_fmac_f64_e32 v[76:77], v[68:69], v[20:21]
	v_add_f64 v[78:79], v[74:75], v[76:77]
	ds_read_b128 v[74:77], v1 offset:1008
	s_waitcnt lgkmcnt(1)
	v_mul_f64 v[80:81], v[70:71], v[14:15]
	v_fmac_f64_e32 v[80:81], v[72:73], v[16:17]
	v_add_f64 v[82:83], v[78:79], v[80:81]
	ds_read_b128 v[78:81], v1 offset:1024
	s_waitcnt vmcnt(58) lgkmcnt(1)
	v_mul_f64 v[84:85], v[74:75], v[26:27]
	s_waitcnt vmcnt(56)
	v_fmac_f64_e32 v[84:85], v[76:77], v[28:29]
	v_add_f64 v[86:87], v[82:83], v[84:85]
	ds_read_b128 v[82:85], v1 offset:1040
	s_waitcnt lgkmcnt(1)
	v_mul_f64 v[88:89], v[78:79], v[22:23]
	v_fmac_f64_e32 v[88:89], v[80:81], v[24:25]
	v_add_f64 v[90:91], v[86:87], v[88:89]
	ds_read_b128 v[86:89], v1 offset:1056
	s_waitcnt vmcnt(50) lgkmcnt(1)
	v_mul_f64 v[92:93], v[82:83], v[34:35]
	s_waitcnt vmcnt(48)
	v_fmac_f64_e32 v[92:93], v[84:85], v[36:37]
	v_add_f64 v[94:95], v[90:91], v[92:93]
	ds_read_b128 v[90:93], v1 offset:1072
	s_waitcnt lgkmcnt(1)
	v_mul_f64 v[96:97], v[86:87], v[30:31]
	v_fmac_f64_e32 v[96:97], v[88:89], v[32:33]
	v_add_f64 v[98:99], v[94:95], v[96:97]
	ds_read_b128 v[94:97], v1 offset:1088
	v_add_f64 v[2:3], v[2:3], v[4:5]
	v_mul_f64 v[4:5], v[64:65], v[12:13]
	v_fma_f64 v[4:5], v[62:63], v[6:7], -v[4:5]
	s_waitcnt vmcnt(42) lgkmcnt(1)
	v_mul_f64 v[100:101], v[90:91], v[42:43]
	v_add_f64 v[2:3], v[2:3], v[4:5]
	v_mul_f64 v[4:5], v[68:69], v[18:19]
	s_waitcnt vmcnt(40)
	v_fmac_f64_e32 v[100:101], v[92:93], v[44:45]
	v_fma_f64 v[4:5], v[66:67], v[20:21], -v[4:5]
	v_add_f64 v[102:103], v[98:99], v[100:101]
	ds_read_b128 v[98:101], v1 offset:1104
	s_waitcnt lgkmcnt(1)
	v_mul_f64 v[104:105], v[94:95], v[38:39]
	v_add_f64 v[2:3], v[2:3], v[4:5]
	v_mul_f64 v[4:5], v[72:73], v[14:15]
	v_fmac_f64_e32 v[104:105], v[96:97], v[40:41]
	v_fma_f64 v[4:5], v[70:71], v[16:17], -v[4:5]
	v_add_f64 v[106:107], v[102:103], v[104:105]
	ds_read_b128 v[102:105], v1 offset:1120
	v_add_f64 v[2:3], v[2:3], v[4:5]
	v_mul_f64 v[4:5], v[76:77], v[26:27]
	v_fma_f64 v[4:5], v[74:75], v[28:29], -v[4:5]
	v_add_f64 v[2:3], v[2:3], v[4:5]
	v_mul_f64 v[4:5], v[80:81], v[22:23]
	s_waitcnt vmcnt(34) lgkmcnt(1)
	v_mul_f64 v[108:109], v[98:99], v[50:51]
	v_fma_f64 v[4:5], v[78:79], v[24:25], -v[4:5]
	s_waitcnt vmcnt(32)
	v_fmac_f64_e32 v[108:109], v[100:101], v[52:53]
	v_add_f64 v[2:3], v[2:3], v[4:5]
	v_mul_f64 v[4:5], v[84:85], v[34:35]
	v_add_f64 v[110:111], v[106:107], v[108:109]
	ds_read_b128 v[106:109], v1 offset:1136
	s_waitcnt lgkmcnt(1)
	v_mul_f64 v[112:113], v[102:103], v[46:47]
	v_fma_f64 v[4:5], v[82:83], v[36:37], -v[4:5]
	v_fmac_f64_e32 v[112:113], v[104:105], v[48:49]
	v_add_f64 v[2:3], v[2:3], v[4:5]
	v_mul_f64 v[4:5], v[88:89], v[30:31]
	v_add_f64 v[114:115], v[110:111], v[112:113]
	ds_read_b128 v[110:113], v1 offset:1152
	v_fma_f64 v[4:5], v[86:87], v[32:33], -v[4:5]
	v_add_f64 v[2:3], v[2:3], v[4:5]
	v_mul_f64 v[4:5], v[92:93], v[42:43]
	v_fma_f64 v[4:5], v[90:91], v[44:45], -v[4:5]
	s_waitcnt vmcnt(26) lgkmcnt(1)
	v_mul_f64 v[116:117], v[106:107], v[140:141]
	v_add_f64 v[2:3], v[2:3], v[4:5]
	v_mul_f64 v[4:5], v[96:97], v[38:39]
	s_waitcnt vmcnt(24)
	v_fmac_f64_e32 v[116:117], v[108:109], v[142:143]
	v_fma_f64 v[4:5], v[94:95], v[40:41], -v[4:5]
	v_add_f64 v[120:121], v[114:115], v[116:117]
	ds_read_b128 v[114:117], v1 offset:1168
	s_waitcnt lgkmcnt(1)
	v_mul_f64 v[122:123], v[110:111], v[136:137]
	v_add_f64 v[2:3], v[2:3], v[4:5]
	v_mul_f64 v[4:5], v[100:101], v[50:51]
	v_fmac_f64_e32 v[122:123], v[112:113], v[138:139]
	v_fma_f64 v[4:5], v[98:99], v[52:53], -v[4:5]
	v_add_f64 v[124:125], v[120:121], v[122:123]
	ds_read_b128 v[120:123], v1 offset:1184
	v_add_f64 v[2:3], v[2:3], v[4:5]
	v_mul_f64 v[4:5], v[104:105], v[46:47]
	v_fma_f64 v[4:5], v[102:103], v[48:49], -v[4:5]
	v_add_f64 v[2:3], v[2:3], v[4:5]
	v_mul_f64 v[4:5], v[108:109], v[140:141]
	s_waitcnt vmcnt(18) lgkmcnt(1)
	v_mul_f64 v[126:127], v[114:115], v[148:149]
	v_fma_f64 v[4:5], v[106:107], v[142:143], -v[4:5]
	s_waitcnt vmcnt(16)
	v_fmac_f64_e32 v[126:127], v[116:117], v[150:151]
	v_add_f64 v[2:3], v[2:3], v[4:5]
	v_mul_f64 v[4:5], v[112:113], v[136:137]
	v_add_f64 v[128:129], v[124:125], v[126:127]
	ds_read_b128 v[124:127], v1 offset:1200
	s_waitcnt lgkmcnt(1)
	v_mul_f64 v[130:131], v[120:121], v[144:145]
	v_fma_f64 v[4:5], v[110:111], v[138:139], -v[4:5]
	v_fmac_f64_e32 v[130:131], v[122:123], v[146:147]
	v_add_f64 v[2:3], v[2:3], v[4:5]
	v_mul_f64 v[4:5], v[116:117], v[148:149]
	v_add_f64 v[168:169], v[128:129], v[130:131]
	ds_read_b128 v[128:131], v1 offset:1216
	v_fma_f64 v[4:5], v[114:115], v[150:151], -v[4:5]
	v_add_f64 v[2:3], v[2:3], v[4:5]
	v_mul_f64 v[4:5], v[122:123], v[144:145]
	v_fma_f64 v[4:5], v[120:121], v[146:147], -v[4:5]
	v_add_f64 v[2:3], v[2:3], v[4:5]
	s_waitcnt vmcnt(10) lgkmcnt(1)
	v_mul_f64 v[4:5], v[126:127], v[156:157]
	v_mul_f64 v[170:171], v[124:125], v[156:157]
	s_waitcnt vmcnt(8)
	v_fma_f64 v[4:5], v[124:125], v[158:159], -v[4:5]
	v_fmac_f64_e32 v[170:171], v[126:127], v[158:159]
	v_add_f64 v[2:3], v[2:3], v[4:5]
	s_waitcnt lgkmcnt(0)
	v_mul_f64 v[4:5], v[130:131], v[152:153]
	v_add_f64 v[168:169], v[168:169], v[170:171]
	v_mul_f64 v[170:171], v[128:129], v[152:153]
	v_fma_f64 v[4:5], v[128:129], v[154:155], -v[4:5]
	v_fmac_f64_e32 v[170:171], v[130:131], v[154:155]
	v_add_f64 v[2:3], v[2:3], v[4:5]
	s_waitcnt vmcnt(6)
	v_mul_f64 v[4:5], v[134:135], v[160:161]
	v_add_f64 v[168:169], v[168:169], v[170:171]
	v_mul_f64 v[170:171], v[132:133], v[160:161]
	s_waitcnt vmcnt(4)
	v_fma_f64 v[4:5], v[132:133], v[162:163], -v[4:5]
	v_fmac_f64_e32 v[170:171], v[134:135], v[162:163]
	v_add_f64 v[2:3], v[2:3], v[4:5]
	v_add_f64 v[168:169], v[168:169], v[170:171]
	s_waitcnt vmcnt(2)
	v_add_f64 v[2:3], v[164:165], -v[2:3]
	s_waitcnt vmcnt(0)
	v_add_f64 v[4:5], v[166:167], -v[168:169]
	buffer_store_dword v3, off, s[0:3], 0 offset:308
	buffer_store_dword v2, off, s[0:3], 0 offset:304
	;; [unrolled: 1-line block ×4, first 2 shown]
	s_and_saveexec_b64 s[4:5], vcc
	s_cbranch_execz .LBB102_213
; %bb.212:
	v_accvgpr_read_b32 v1, a99
	buffer_load_dword v2, v1, s[0:3], 0 offen
	buffer_load_dword v3, v1, s[0:3], 0 offen offset:4
	buffer_load_dword v4, v1, s[0:3], 0 offen offset:8
	buffer_load_dword v5, v1, s[0:3], 0 offen offset:12
	v_mov_b32_e32 v1, 0
	v_accvgpr_read_b32 v6, a116
	buffer_store_dword v1, off, s[0:3], 0 offset:288
	buffer_store_dword v1, off, s[0:3], 0 offset:292
	;; [unrolled: 1-line block ×4, first 2 shown]
	s_waitcnt vmcnt(4)
	ds_write_b128 v6, v[2:5]
.LBB102_213:
	s_or_b64 exec, exec, s[4:5]
	s_waitcnt lgkmcnt(0)
	; wave barrier
	s_waitcnt lgkmcnt(0)
	buffer_load_dword v4, off, s[0:3], 0 offset:288
	buffer_load_dword v5, off, s[0:3], 0 offset:292
	;; [unrolled: 1-line block ×84, first 2 shown]
	v_mov_b32_e32 v1, 0
	ds_read_b128 v[66:69], v1 offset:912
	buffer_load_dword v173, off, s[0:3], 0 offset:636
	buffer_load_dword v172, off, s[0:3], 0 offset:632
	;; [unrolled: 1-line block ×4, first 2 shown]
	ds_read_b128 v[70:73], v1 offset:928
	ds_read_b128 v[74:77], v1 offset:944
	;; [unrolled: 1-line block ×4, first 2 shown]
	v_cmp_lt_u32_e32 vcc, 16, v0
	s_waitcnt vmcnt(62) lgkmcnt(4)
	v_mul_f64 v[82:83], v[66:67], v[12:13]
	v_fmac_f64_e32 v[82:83], v[68:69], v[6:7]
	s_waitcnt lgkmcnt(3)
	v_mul_f64 v[84:85], v[70:71], v[14:15]
	v_add_f64 v[82:83], v[82:83], 0
	v_fmac_f64_e32 v[84:85], v[72:73], v[8:9]
	v_add_f64 v[82:83], v[82:83], v[84:85]
	s_waitcnt lgkmcnt(2)
	v_mul_f64 v[84:85], v[74:75], v[16:17]
	v_fmac_f64_e32 v[84:85], v[76:77], v[10:11]
	v_add_f64 v[86:87], v[82:83], v[84:85]
	ds_read_b128 v[82:85], v1 offset:976
	v_mul_f64 v[12:13], v[68:69], v[12:13]
	s_waitcnt lgkmcnt(2)
	v_mul_f64 v[88:89], v[78:79], v[22:23]
	v_fma_f64 v[6:7], v[66:67], v[6:7], -v[12:13]
	v_fmac_f64_e32 v[88:89], v[80:81], v[24:25]
	v_add_f64 v[90:91], v[86:87], v[88:89]
	ds_read_b128 v[86:89], v1 offset:992
	s_waitcnt lgkmcnt(1)
	v_mul_f64 v[92:93], v[82:83], v[18:19]
	v_fmac_f64_e32 v[92:93], v[84:85], v[20:21]
	v_add_f64 v[94:95], v[90:91], v[92:93]
	ds_read_b128 v[90:93], v1 offset:1008
	s_waitcnt vmcnt(58) lgkmcnt(1)
	v_mul_f64 v[96:97], v[86:87], v[30:31]
	s_waitcnt vmcnt(56)
	v_fmac_f64_e32 v[96:97], v[88:89], v[32:33]
	v_add_f64 v[98:99], v[94:95], v[96:97]
	ds_read_b128 v[94:97], v1 offset:1024
	s_waitcnt lgkmcnt(1)
	v_mul_f64 v[100:101], v[90:91], v[26:27]
	v_fmac_f64_e32 v[100:101], v[92:93], v[28:29]
	v_add_f64 v[102:103], v[98:99], v[100:101]
	ds_read_b128 v[98:101], v1 offset:1040
	s_waitcnt vmcnt(50) lgkmcnt(1)
	v_mul_f64 v[104:105], v[94:95], v[38:39]
	s_waitcnt vmcnt(48)
	v_fmac_f64_e32 v[104:105], v[96:97], v[40:41]
	v_add_f64 v[106:107], v[102:103], v[104:105]
	ds_read_b128 v[102:105], v1 offset:1056
	s_waitcnt lgkmcnt(1)
	v_mul_f64 v[108:109], v[98:99], v[34:35]
	v_fmac_f64_e32 v[108:109], v[100:101], v[36:37]
	v_mul_f64 v[12:13], v[72:73], v[14:15]
	v_add_f64 v[110:111], v[106:107], v[108:109]
	ds_read_b128 v[106:109], v1 offset:1072
	s_waitcnt vmcnt(42) lgkmcnt(1)
	v_mul_f64 v[112:113], v[102:103], v[46:47]
	v_add_f64 v[6:7], v[6:7], 0
	v_fma_f64 v[8:9], v[70:71], v[8:9], -v[12:13]
	s_waitcnt vmcnt(40)
	v_fmac_f64_e32 v[112:113], v[104:105], v[48:49]
	v_add_f64 v[6:7], v[6:7], v[8:9]
	v_mul_f64 v[8:9], v[76:77], v[16:17]
	v_add_f64 v[114:115], v[110:111], v[112:113]
	ds_read_b128 v[110:113], v1 offset:1088
	v_fma_f64 v[8:9], v[74:75], v[10:11], -v[8:9]
	v_add_f64 v[6:7], v[6:7], v[8:9]
	v_mul_f64 v[8:9], v[80:81], v[22:23]
	v_fma_f64 v[8:9], v[78:79], v[24:25], -v[8:9]
	s_waitcnt lgkmcnt(1)
	v_mul_f64 v[116:117], v[106:107], v[42:43]
	v_add_f64 v[6:7], v[6:7], v[8:9]
	v_mul_f64 v[8:9], v[84:85], v[18:19]
	v_fmac_f64_e32 v[116:117], v[108:109], v[44:45]
	v_fma_f64 v[8:9], v[82:83], v[20:21], -v[8:9]
	v_add_f64 v[120:121], v[114:115], v[116:117]
	ds_read_b128 v[114:117], v1 offset:1104
	s_waitcnt vmcnt(34) lgkmcnt(1)
	v_mul_f64 v[122:123], v[110:111], v[54:55]
	v_add_f64 v[6:7], v[6:7], v[8:9]
	v_mul_f64 v[8:9], v[88:89], v[30:31]
	s_waitcnt vmcnt(32)
	v_fmac_f64_e32 v[122:123], v[112:113], v[56:57]
	v_fma_f64 v[8:9], v[86:87], v[32:33], -v[8:9]
	v_add_f64 v[124:125], v[120:121], v[122:123]
	ds_read_b128 v[120:123], v1 offset:1120
	v_add_f64 v[6:7], v[6:7], v[8:9]
	v_mul_f64 v[8:9], v[92:93], v[26:27]
	v_fma_f64 v[8:9], v[90:91], v[28:29], -v[8:9]
	v_add_f64 v[6:7], v[6:7], v[8:9]
	v_mul_f64 v[8:9], v[96:97], v[38:39]
	s_waitcnt lgkmcnt(1)
	v_mul_f64 v[126:127], v[114:115], v[50:51]
	v_fma_f64 v[8:9], v[94:95], v[40:41], -v[8:9]
	v_fmac_f64_e32 v[126:127], v[116:117], v[52:53]
	v_add_f64 v[6:7], v[6:7], v[8:9]
	v_mul_f64 v[8:9], v[100:101], v[34:35]
	v_add_f64 v[128:129], v[124:125], v[126:127]
	ds_read_b128 v[124:127], v1 offset:1136
	s_waitcnt vmcnt(26) lgkmcnt(1)
	v_mul_f64 v[130:131], v[120:121], v[62:63]
	v_fma_f64 v[8:9], v[98:99], v[36:37], -v[8:9]
	s_waitcnt vmcnt(24)
	v_fmac_f64_e32 v[130:131], v[122:123], v[64:65]
	v_add_f64 v[6:7], v[6:7], v[8:9]
	v_mul_f64 v[8:9], v[104:105], v[46:47]
	v_add_f64 v[132:133], v[128:129], v[130:131]
	ds_read_b128 v[128:131], v1 offset:1152
	v_fma_f64 v[8:9], v[102:103], v[48:49], -v[8:9]
	v_add_f64 v[6:7], v[6:7], v[8:9]
	v_mul_f64 v[8:9], v[108:109], v[42:43]
	v_fma_f64 v[8:9], v[106:107], v[44:45], -v[8:9]
	s_waitcnt lgkmcnt(1)
	v_mul_f64 v[134:135], v[124:125], v[58:59]
	v_add_f64 v[6:7], v[6:7], v[8:9]
	v_mul_f64 v[8:9], v[112:113], v[54:55]
	v_fmac_f64_e32 v[134:135], v[126:127], v[60:61]
	v_fma_f64 v[8:9], v[110:111], v[56:57], -v[8:9]
	v_add_f64 v[136:137], v[132:133], v[134:135]
	ds_read_b128 v[132:135], v1 offset:1168
	s_waitcnt vmcnt(18) lgkmcnt(1)
	v_mul_f64 v[138:139], v[128:129], v[156:157]
	v_add_f64 v[6:7], v[6:7], v[8:9]
	v_mul_f64 v[8:9], v[116:117], v[50:51]
	s_waitcnt vmcnt(16)
	v_fmac_f64_e32 v[138:139], v[130:131], v[158:159]
	v_fma_f64 v[8:9], v[114:115], v[52:53], -v[8:9]
	v_add_f64 v[140:141], v[136:137], v[138:139]
	ds_read_b128 v[136:139], v1 offset:1184
	v_add_f64 v[6:7], v[6:7], v[8:9]
	v_mul_f64 v[8:9], v[122:123], v[62:63]
	v_fma_f64 v[8:9], v[120:121], v[64:65], -v[8:9]
	v_add_f64 v[6:7], v[6:7], v[8:9]
	v_mul_f64 v[8:9], v[126:127], v[58:59]
	s_waitcnt lgkmcnt(1)
	v_mul_f64 v[142:143], v[132:133], v[152:153]
	v_fma_f64 v[8:9], v[124:125], v[60:61], -v[8:9]
	v_fmac_f64_e32 v[142:143], v[134:135], v[154:155]
	v_add_f64 v[6:7], v[6:7], v[8:9]
	v_mul_f64 v[8:9], v[130:131], v[156:157]
	v_add_f64 v[144:145], v[140:141], v[142:143]
	ds_read_b128 v[140:143], v1 offset:1200
	s_waitcnt vmcnt(10) lgkmcnt(1)
	v_mul_f64 v[146:147], v[136:137], v[164:165]
	v_fma_f64 v[8:9], v[128:129], v[158:159], -v[8:9]
	s_waitcnt vmcnt(8)
	v_fmac_f64_e32 v[146:147], v[138:139], v[166:167]
	v_add_f64 v[6:7], v[6:7], v[8:9]
	v_mul_f64 v[8:9], v[134:135], v[152:153]
	v_add_f64 v[176:177], v[144:145], v[146:147]
	ds_read_b128 v[144:147], v1 offset:1216
	v_fma_f64 v[8:9], v[132:133], v[154:155], -v[8:9]
	v_add_f64 v[6:7], v[6:7], v[8:9]
	v_mul_f64 v[8:9], v[138:139], v[164:165]
	v_fma_f64 v[8:9], v[136:137], v[166:167], -v[8:9]
	v_add_f64 v[6:7], v[6:7], v[8:9]
	s_waitcnt lgkmcnt(1)
	v_mul_f64 v[8:9], v[142:143], v[160:161]
	v_mul_f64 v[178:179], v[140:141], v[160:161]
	v_fma_f64 v[8:9], v[140:141], v[162:163], -v[8:9]
	v_fmac_f64_e32 v[178:179], v[142:143], v[162:163]
	v_add_f64 v[6:7], v[6:7], v[8:9]
	s_waitcnt vmcnt(6) lgkmcnt(0)
	v_mul_f64 v[8:9], v[146:147], v[168:169]
	v_add_f64 v[176:177], v[176:177], v[178:179]
	v_mul_f64 v[178:179], v[144:145], v[168:169]
	s_waitcnt vmcnt(4)
	v_fma_f64 v[8:9], v[144:145], v[170:171], -v[8:9]
	v_fmac_f64_e32 v[178:179], v[146:147], v[170:171]
	v_add_f64 v[6:7], v[6:7], v[8:9]
	s_waitcnt vmcnt(2)
	v_mul_f64 v[8:9], v[150:151], v[172:173]
	v_add_f64 v[176:177], v[176:177], v[178:179]
	v_mul_f64 v[178:179], v[148:149], v[172:173]
	s_waitcnt vmcnt(0)
	v_fma_f64 v[8:9], v[148:149], v[174:175], -v[8:9]
	v_fmac_f64_e32 v[178:179], v[150:151], v[174:175]
	v_add_f64 v[6:7], v[6:7], v[8:9]
	v_add_f64 v[176:177], v[176:177], v[178:179]
	v_add_f64 v[4:5], v[4:5], -v[6:7]
	v_add_f64 v[2:3], v[2:3], -v[176:177]
	buffer_store_dword v5, off, s[0:3], 0 offset:292
	buffer_store_dword v4, off, s[0:3], 0 offset:288
	;; [unrolled: 1-line block ×4, first 2 shown]
	s_and_saveexec_b64 s[4:5], vcc
	s_cbranch_execz .LBB102_215
; %bb.214:
	v_accvgpr_read_b32 v5, a100
	buffer_load_dword v2, v5, s[0:3], 0 offen
	buffer_load_dword v3, v5, s[0:3], 0 offen offset:4
	buffer_load_dword v4, v5, s[0:3], 0 offen offset:8
	s_nop 0
	buffer_load_dword v5, v5, s[0:3], 0 offen offset:12
	v_accvgpr_read_b32 v6, a116
	buffer_store_dword v1, off, s[0:3], 0 offset:272
	buffer_store_dword v1, off, s[0:3], 0 offset:276
	buffer_store_dword v1, off, s[0:3], 0 offset:280
	buffer_store_dword v1, off, s[0:3], 0 offset:284
	s_waitcnt vmcnt(4)
	ds_write_b128 v6, v[2:5]
.LBB102_215:
	s_or_b64 exec, exec, s[4:5]
	s_waitcnt lgkmcnt(0)
	; wave barrier
	s_waitcnt lgkmcnt(0)
	ds_read_b128 v[14:17], v1 offset:896
	ds_read_b128 v[10:13], v1 offset:912
	;; [unrolled: 1-line block ×4, first 2 shown]
	buffer_load_dword v20, off, s[0:3], 0 offset:272
	buffer_load_dword v21, off, s[0:3], 0 offset:276
	;; [unrolled: 1-line block ×92, first 2 shown]
	s_waitcnt vmcnt(62) lgkmcnt(3)
	v_mul_f64 v[86:87], v[14:15], v[28:29]
	v_fmac_f64_e32 v[86:87], v[16:17], v[22:23]
	s_waitcnt lgkmcnt(2)
	v_mul_f64 v[88:89], v[10:11], v[30:31]
	v_add_f64 v[86:87], v[86:87], 0
	v_fmac_f64_e32 v[88:89], v[12:13], v[24:25]
	v_add_f64 v[86:87], v[86:87], v[88:89]
	s_waitcnt lgkmcnt(1)
	v_mul_f64 v[88:89], v[6:7], v[32:33]
	v_fmac_f64_e32 v[88:89], v[8:9], v[26:27]
	v_add_f64 v[90:91], v[86:87], v[88:89]
	ds_read_b128 v[86:89], v1 offset:960
	v_mul_f64 v[16:17], v[16:17], v[28:29]
	v_fma_f64 v[14:15], v[14:15], v[22:23], -v[16:17]
	s_waitcnt lgkmcnt(1)
	v_mul_f64 v[92:93], v[2:3], v[38:39]
	v_mul_f64 v[12:13], v[12:13], v[30:31]
	v_fmac_f64_e32 v[92:93], v[4:5], v[40:41]
	v_add_f64 v[94:95], v[90:91], v[92:93]
	ds_read_b128 v[90:93], v1 offset:976
	s_waitcnt lgkmcnt(1)
	v_mul_f64 v[96:97], v[86:87], v[34:35]
	v_fmac_f64_e32 v[96:97], v[88:89], v[36:37]
	v_add_f64 v[98:99], v[94:95], v[96:97]
	ds_read_b128 v[94:97], v1 offset:992
	s_waitcnt lgkmcnt(1)
	v_mul_f64 v[100:101], v[90:91], v[46:47]
	s_waitcnt vmcnt(60)
	v_fmac_f64_e32 v[100:101], v[92:93], v[48:49]
	v_add_f64 v[102:103], v[98:99], v[100:101]
	ds_read_b128 v[98:101], v1 offset:1008
	s_waitcnt lgkmcnt(1)
	v_mul_f64 v[104:105], v[94:95], v[42:43]
	v_fmac_f64_e32 v[104:105], v[96:97], v[44:45]
	v_add_f64 v[106:107], v[102:103], v[104:105]
	ds_read_b128 v[102:105], v1 offset:1024
	s_waitcnt vmcnt(54) lgkmcnt(1)
	v_mul_f64 v[108:109], v[98:99], v[54:55]
	s_waitcnt vmcnt(52)
	v_fmac_f64_e32 v[108:109], v[100:101], v[56:57]
	v_add_f64 v[110:111], v[106:107], v[108:109]
	ds_read_b128 v[106:109], v1 offset:1040
	s_waitcnt lgkmcnt(1)
	v_mul_f64 v[112:113], v[102:103], v[50:51]
	v_fmac_f64_e32 v[112:113], v[104:105], v[52:53]
	v_add_f64 v[114:115], v[110:111], v[112:113]
	ds_read_b128 v[110:113], v1 offset:1056
	s_waitcnt vmcnt(46) lgkmcnt(1)
	v_mul_f64 v[116:117], v[106:107], v[62:63]
	s_waitcnt vmcnt(44)
	v_fmac_f64_e32 v[116:117], v[108:109], v[64:65]
	v_add_f64 v[120:121], v[114:115], v[116:117]
	ds_read_b128 v[114:117], v1 offset:1072
	s_waitcnt lgkmcnt(1)
	v_mul_f64 v[122:123], v[110:111], v[58:59]
	v_fmac_f64_e32 v[122:123], v[112:113], v[60:61]
	v_add_f64 v[14:15], v[14:15], 0
	v_fma_f64 v[10:11], v[10:11], v[24:25], -v[12:13]
	v_mul_f64 v[8:9], v[8:9], v[32:33]
	v_add_f64 v[124:125], v[120:121], v[122:123]
	ds_read_b128 v[120:123], v1 offset:1088
	v_add_f64 v[10:11], v[14:15], v[10:11]
	v_fma_f64 v[6:7], v[6:7], v[26:27], -v[8:9]
	v_mul_f64 v[4:5], v[4:5], v[38:39]
	v_add_f64 v[6:7], v[10:11], v[6:7]
	v_fma_f64 v[2:3], v[2:3], v[40:41], -v[4:5]
	v_mul_f64 v[4:5], v[88:89], v[34:35]
	v_add_f64 v[2:3], v[6:7], v[2:3]
	v_fma_f64 v[4:5], v[86:87], v[36:37], -v[4:5]
	s_waitcnt vmcnt(38) lgkmcnt(1)
	v_mul_f64 v[126:127], v[114:115], v[70:71]
	v_add_f64 v[2:3], v[2:3], v[4:5]
	v_mul_f64 v[4:5], v[92:93], v[46:47]
	s_waitcnt vmcnt(36)
	v_fmac_f64_e32 v[126:127], v[116:117], v[72:73]
	v_fma_f64 v[4:5], v[90:91], v[48:49], -v[4:5]
	v_add_f64 v[128:129], v[124:125], v[126:127]
	ds_read_b128 v[124:127], v1 offset:1104
	s_waitcnt lgkmcnt(1)
	v_mul_f64 v[130:131], v[120:121], v[66:67]
	v_add_f64 v[2:3], v[2:3], v[4:5]
	v_mul_f64 v[4:5], v[96:97], v[42:43]
	v_fmac_f64_e32 v[130:131], v[122:123], v[68:69]
	v_fma_f64 v[4:5], v[94:95], v[44:45], -v[4:5]
	v_add_f64 v[132:133], v[128:129], v[130:131]
	ds_read_b128 v[128:131], v1 offset:1120
	v_add_f64 v[2:3], v[2:3], v[4:5]
	v_mul_f64 v[4:5], v[100:101], v[54:55]
	v_fma_f64 v[4:5], v[98:99], v[56:57], -v[4:5]
	v_add_f64 v[2:3], v[2:3], v[4:5]
	v_mul_f64 v[4:5], v[104:105], v[50:51]
	s_waitcnt vmcnt(30) lgkmcnt(1)
	v_mul_f64 v[134:135], v[124:125], v[78:79]
	v_fma_f64 v[4:5], v[102:103], v[52:53], -v[4:5]
	s_waitcnt vmcnt(28)
	v_fmac_f64_e32 v[134:135], v[126:127], v[80:81]
	v_add_f64 v[2:3], v[2:3], v[4:5]
	v_mul_f64 v[4:5], v[108:109], v[62:63]
	v_add_f64 v[136:137], v[132:133], v[134:135]
	ds_read_b128 v[132:135], v1 offset:1136
	s_waitcnt lgkmcnt(1)
	v_mul_f64 v[138:139], v[128:129], v[74:75]
	v_fma_f64 v[4:5], v[106:107], v[64:65], -v[4:5]
	v_fmac_f64_e32 v[138:139], v[130:131], v[76:77]
	v_add_f64 v[2:3], v[2:3], v[4:5]
	v_mul_f64 v[4:5], v[112:113], v[58:59]
	v_add_f64 v[140:141], v[136:137], v[138:139]
	ds_read_b128 v[136:139], v1 offset:1152
	v_fma_f64 v[4:5], v[110:111], v[60:61], -v[4:5]
	v_add_f64 v[2:3], v[2:3], v[4:5]
	v_mul_f64 v[4:5], v[116:117], v[70:71]
	v_fma_f64 v[4:5], v[114:115], v[72:73], -v[4:5]
	s_waitcnt vmcnt(22) lgkmcnt(1)
	v_mul_f64 v[142:143], v[132:133], v[160:161]
	v_add_f64 v[2:3], v[2:3], v[4:5]
	v_mul_f64 v[4:5], v[122:123], v[66:67]
	s_waitcnt vmcnt(20)
	v_fmac_f64_e32 v[142:143], v[134:135], v[162:163]
	v_fma_f64 v[4:5], v[120:121], v[68:69], -v[4:5]
	v_add_f64 v[144:145], v[140:141], v[142:143]
	ds_read_b128 v[140:143], v1 offset:1168
	s_waitcnt lgkmcnt(1)
	v_mul_f64 v[146:147], v[136:137], v[82:83]
	v_add_f64 v[2:3], v[2:3], v[4:5]
	v_mul_f64 v[4:5], v[126:127], v[78:79]
	v_fmac_f64_e32 v[146:147], v[138:139], v[84:85]
	v_fma_f64 v[4:5], v[124:125], v[80:81], -v[4:5]
	v_add_f64 v[148:149], v[144:145], v[146:147]
	ds_read_b128 v[144:147], v1 offset:1184
	v_add_f64 v[2:3], v[2:3], v[4:5]
	v_mul_f64 v[4:5], v[130:131], v[74:75]
	v_fma_f64 v[4:5], v[128:129], v[76:77], -v[4:5]
	v_add_f64 v[2:3], v[2:3], v[4:5]
	v_mul_f64 v[4:5], v[134:135], v[160:161]
	s_waitcnt vmcnt(14) lgkmcnt(1)
	v_mul_f64 v[150:151], v[140:141], v[168:169]
	v_fma_f64 v[4:5], v[132:133], v[162:163], -v[4:5]
	s_waitcnt vmcnt(12)
	v_fmac_f64_e32 v[150:151], v[142:143], v[170:171]
	v_add_f64 v[2:3], v[2:3], v[4:5]
	v_mul_f64 v[4:5], v[138:139], v[82:83]
	v_add_f64 v[152:153], v[148:149], v[150:151]
	ds_read_b128 v[148:151], v1 offset:1200
	s_waitcnt lgkmcnt(1)
	v_mul_f64 v[154:155], v[144:145], v[164:165]
	v_fma_f64 v[4:5], v[136:137], v[84:85], -v[4:5]
	v_fmac_f64_e32 v[154:155], v[146:147], v[166:167]
	v_add_f64 v[2:3], v[2:3], v[4:5]
	v_mul_f64 v[4:5], v[142:143], v[168:169]
	v_add_f64 v[184:185], v[152:153], v[154:155]
	ds_read_b128 v[152:155], v1 offset:1216
	ds_read_b128 v[156:159], v1 offset:1232
	v_fma_f64 v[4:5], v[140:141], v[170:171], -v[4:5]
	v_add_f64 v[2:3], v[2:3], v[4:5]
	v_mul_f64 v[4:5], v[146:147], v[164:165]
	v_fma_f64 v[4:5], v[144:145], v[166:167], -v[4:5]
	v_add_f64 v[2:3], v[2:3], v[4:5]
	s_waitcnt vmcnt(6) lgkmcnt(2)
	v_mul_f64 v[4:5], v[150:151], v[176:177]
	v_mul_f64 v[186:187], v[148:149], v[176:177]
	s_waitcnt vmcnt(4)
	v_fma_f64 v[4:5], v[148:149], v[178:179], -v[4:5]
	v_fmac_f64_e32 v[186:187], v[150:151], v[178:179]
	v_add_f64 v[2:3], v[2:3], v[4:5]
	s_waitcnt lgkmcnt(1)
	v_mul_f64 v[4:5], v[154:155], v[172:173]
	v_add_f64 v[184:185], v[184:185], v[186:187]
	v_mul_f64 v[186:187], v[152:153], v[172:173]
	v_fma_f64 v[4:5], v[152:153], v[174:175], -v[4:5]
	v_fmac_f64_e32 v[186:187], v[154:155], v[174:175]
	v_add_f64 v[2:3], v[2:3], v[4:5]
	s_waitcnt vmcnt(2) lgkmcnt(0)
	v_mul_f64 v[4:5], v[158:159], v[180:181]
	v_add_f64 v[184:185], v[184:185], v[186:187]
	v_mul_f64 v[186:187], v[156:157], v[180:181]
	s_waitcnt vmcnt(0)
	v_fma_f64 v[4:5], v[156:157], v[182:183], -v[4:5]
	v_fmac_f64_e32 v[186:187], v[158:159], v[182:183]
	v_add_f64 v[2:3], v[2:3], v[4:5]
	v_add_f64 v[184:185], v[184:185], v[186:187]
	v_add_f64 v[2:3], v[20:21], -v[2:3]
	v_cmp_lt_u32_e32 vcc, 15, v0
	v_add_f64 v[4:5], v[18:19], -v[184:185]
	buffer_store_dword v3, off, s[0:3], 0 offset:276
	buffer_store_dword v2, off, s[0:3], 0 offset:272
	;; [unrolled: 1-line block ×4, first 2 shown]
	s_and_saveexec_b64 s[4:5], vcc
	s_cbranch_execz .LBB102_217
; %bb.216:
	v_accvgpr_read_b32 v1, a101
	buffer_load_dword v2, v1, s[0:3], 0 offen
	buffer_load_dword v3, v1, s[0:3], 0 offen offset:4
	buffer_load_dword v4, v1, s[0:3], 0 offen offset:8
	;; [unrolled: 1-line block ×3, first 2 shown]
	v_mov_b32_e32 v1, 0
	v_accvgpr_read_b32 v6, a116
	buffer_store_dword v1, off, s[0:3], 0 offset:256
	buffer_store_dword v1, off, s[0:3], 0 offset:260
	;; [unrolled: 1-line block ×4, first 2 shown]
	s_waitcnt vmcnt(4)
	ds_write_b128 v6, v[2:5]
.LBB102_217:
	s_or_b64 exec, exec, s[4:5]
	s_waitcnt lgkmcnt(0)
	; wave barrier
	s_waitcnt lgkmcnt(0)
	buffer_load_dword v9, off, s[0:3], 0 offset:284
	buffer_load_dword v6, off, s[0:3], 0 offset:296
	;; [unrolled: 1-line block ×64, first 2 shown]
	v_mov_b32_e32 v1, 0
	ds_read_b128 v[74:77], v1 offset:880
	ds_read_b128 v[78:81], v1 offset:896
	buffer_load_dword v67, off, s[0:3], 0 offset:540
	buffer_load_dword v66, off, s[0:3], 0 offset:536
	;; [unrolled: 1-line block ×8, first 2 shown]
	ds_read_b128 v[82:85], v1 offset:912
	ds_read_b128 v[86:89], v1 offset:928
	buffer_load_dword v169, off, s[0:3], 0 offset:572
	buffer_load_dword v168, off, s[0:3], 0 offset:568
	;; [unrolled: 1-line block ×24, first 2 shown]
	ds_read_b128 v[164:167], v1 offset:1232
	v_cmp_lt_u32_e32 vcc, 14, v0
	s_waitcnt vmcnt(62) lgkmcnt(1)
	v_mul_f64 v[96:97], v[86:87], v[22:23]
	v_fmac_f64_e32 v[96:97], v[88:89], v[24:25]
	v_mul_f64 v[92:93], v[78:79], v[6:7]
	v_mul_f64 v[90:91], v[74:75], v[8:9]
	;; [unrolled: 1-line block ×3, first 2 shown]
	v_fmac_f64_e32 v[90:91], v[76:77], v[10:11]
	v_add_f64 v[90:91], v[90:91], 0
	v_fma_f64 v[8:9], v[74:75], v[10:11], -v[8:9]
	v_mul_f64 v[6:7], v[80:81], v[6:7]
	v_add_f64 v[8:9], v[8:9], 0
	v_fmac_f64_e32 v[92:93], v[80:81], v[14:15]
	v_add_f64 v[90:91], v[90:91], v[92:93]
	v_mul_f64 v[92:93], v[82:83], v[16:17]
	v_fmac_f64_e32 v[92:93], v[84:85], v[12:13]
	v_add_f64 v[94:95], v[90:91], v[92:93]
	ds_read_b128 v[90:93], v1 offset:944
	v_add_f64 v[98:99], v[94:95], v[96:97]
	ds_read_b128 v[94:97], v1 offset:960
	v_fma_f64 v[6:7], v[78:79], v[14:15], -v[6:7]
	v_add_f64 v[6:7], v[8:9], v[6:7]
	s_waitcnt lgkmcnt(1)
	v_mul_f64 v[100:101], v[90:91], v[18:19]
	v_fmac_f64_e32 v[100:101], v[92:93], v[20:21]
	v_add_f64 v[102:103], v[98:99], v[100:101]
	ds_read_b128 v[98:101], v1 offset:976
	s_waitcnt lgkmcnt(1)
	v_mul_f64 v[104:105], v[94:95], v[30:31]
	v_fmac_f64_e32 v[104:105], v[96:97], v[32:33]
	v_add_f64 v[106:107], v[102:103], v[104:105]
	ds_read_b128 v[102:105], v1 offset:992
	s_waitcnt lgkmcnt(1)
	v_mul_f64 v[108:109], v[98:99], v[26:27]
	v_fmac_f64_e32 v[108:109], v[100:101], v[28:29]
	v_add_f64 v[110:111], v[106:107], v[108:109]
	ds_read_b128 v[106:109], v1 offset:1008
	s_waitcnt vmcnt(58) lgkmcnt(1)
	v_mul_f64 v[112:113], v[102:103], v[38:39]
	s_waitcnt vmcnt(56)
	v_fmac_f64_e32 v[112:113], v[104:105], v[40:41]
	v_add_f64 v[114:115], v[110:111], v[112:113]
	ds_read_b128 v[110:113], v1 offset:1024
	s_waitcnt lgkmcnt(1)
	v_mul_f64 v[116:117], v[106:107], v[34:35]
	v_fmac_f64_e32 v[116:117], v[108:109], v[36:37]
	v_add_f64 v[120:121], v[114:115], v[116:117]
	ds_read_b128 v[114:117], v1 offset:1040
	s_waitcnt vmcnt(50) lgkmcnt(1)
	v_mul_f64 v[122:123], v[110:111], v[46:47]
	s_waitcnt vmcnt(48)
	v_fmac_f64_e32 v[122:123], v[112:113], v[48:49]
	v_add_f64 v[124:125], v[120:121], v[122:123]
	ds_read_b128 v[120:123], v1 offset:1056
	v_mul_f64 v[8:9], v[84:85], v[16:17]
	s_waitcnt lgkmcnt(1)
	v_mul_f64 v[126:127], v[114:115], v[42:43]
	v_fma_f64 v[8:9], v[82:83], v[12:13], -v[8:9]
	v_fmac_f64_e32 v[126:127], v[116:117], v[44:45]
	v_add_f64 v[6:7], v[6:7], v[8:9]
	v_mul_f64 v[8:9], v[88:89], v[22:23]
	v_add_f64 v[128:129], v[124:125], v[126:127]
	ds_read_b128 v[124:127], v1 offset:1072
	s_waitcnt vmcnt(42) lgkmcnt(1)
	v_mul_f64 v[130:131], v[120:121], v[54:55]
	v_fma_f64 v[8:9], v[86:87], v[24:25], -v[8:9]
	s_waitcnt vmcnt(40)
	v_fmac_f64_e32 v[130:131], v[122:123], v[56:57]
	v_add_f64 v[6:7], v[6:7], v[8:9]
	v_mul_f64 v[8:9], v[92:93], v[18:19]
	v_add_f64 v[132:133], v[128:129], v[130:131]
	ds_read_b128 v[128:131], v1 offset:1088
	v_fma_f64 v[8:9], v[90:91], v[20:21], -v[8:9]
	v_add_f64 v[6:7], v[6:7], v[8:9]
	v_mul_f64 v[8:9], v[96:97], v[30:31]
	v_fma_f64 v[8:9], v[94:95], v[32:33], -v[8:9]
	s_waitcnt lgkmcnt(1)
	v_mul_f64 v[134:135], v[124:125], v[50:51]
	v_add_f64 v[6:7], v[6:7], v[8:9]
	v_mul_f64 v[8:9], v[100:101], v[26:27]
	v_fmac_f64_e32 v[134:135], v[126:127], v[52:53]
	v_fma_f64 v[8:9], v[98:99], v[28:29], -v[8:9]
	v_add_f64 v[136:137], v[132:133], v[134:135]
	ds_read_b128 v[132:135], v1 offset:1104
	s_waitcnt vmcnt(34) lgkmcnt(1)
	v_mul_f64 v[138:139], v[128:129], v[62:63]
	v_add_f64 v[6:7], v[6:7], v[8:9]
	v_mul_f64 v[8:9], v[104:105], v[38:39]
	s_waitcnt vmcnt(32)
	v_fmac_f64_e32 v[138:139], v[130:131], v[64:65]
	v_fma_f64 v[8:9], v[102:103], v[40:41], -v[8:9]
	v_add_f64 v[140:141], v[136:137], v[138:139]
	ds_read_b128 v[136:139], v1 offset:1120
	v_add_f64 v[6:7], v[6:7], v[8:9]
	v_mul_f64 v[8:9], v[108:109], v[34:35]
	v_fma_f64 v[8:9], v[106:107], v[36:37], -v[8:9]
	v_add_f64 v[6:7], v[6:7], v[8:9]
	v_mul_f64 v[8:9], v[112:113], v[46:47]
	s_waitcnt lgkmcnt(1)
	v_mul_f64 v[142:143], v[132:133], v[58:59]
	v_fma_f64 v[8:9], v[110:111], v[48:49], -v[8:9]
	v_fmac_f64_e32 v[142:143], v[134:135], v[60:61]
	v_add_f64 v[6:7], v[6:7], v[8:9]
	v_mul_f64 v[8:9], v[116:117], v[42:43]
	v_add_f64 v[144:145], v[140:141], v[142:143]
	ds_read_b128 v[140:143], v1 offset:1136
	s_waitcnt vmcnt(26) lgkmcnt(1)
	v_mul_f64 v[146:147], v[136:137], v[70:71]
	v_fma_f64 v[8:9], v[114:115], v[44:45], -v[8:9]
	s_waitcnt vmcnt(24)
	v_fmac_f64_e32 v[146:147], v[138:139], v[72:73]
	v_add_f64 v[6:7], v[6:7], v[8:9]
	v_mul_f64 v[8:9], v[122:123], v[54:55]
	v_add_f64 v[148:149], v[144:145], v[146:147]
	ds_read_b128 v[144:147], v1 offset:1152
	v_fma_f64 v[8:9], v[120:121], v[56:57], -v[8:9]
	v_add_f64 v[6:7], v[6:7], v[8:9]
	v_mul_f64 v[8:9], v[126:127], v[50:51]
	v_fma_f64 v[8:9], v[124:125], v[52:53], -v[8:9]
	s_waitcnt lgkmcnt(1)
	v_mul_f64 v[150:151], v[140:141], v[66:67]
	v_add_f64 v[6:7], v[6:7], v[8:9]
	v_mul_f64 v[8:9], v[130:131], v[62:63]
	v_fmac_f64_e32 v[150:151], v[142:143], v[68:69]
	v_fma_f64 v[8:9], v[128:129], v[64:65], -v[8:9]
	v_add_f64 v[152:153], v[148:149], v[150:151]
	ds_read_b128 v[148:151], v1 offset:1168
	s_waitcnt vmcnt(18) lgkmcnt(1)
	v_mul_f64 v[154:155], v[144:145], v[172:173]
	v_add_f64 v[6:7], v[6:7], v[8:9]
	v_mul_f64 v[8:9], v[134:135], v[58:59]
	s_waitcnt vmcnt(16)
	v_fmac_f64_e32 v[154:155], v[146:147], v[174:175]
	v_fma_f64 v[8:9], v[132:133], v[60:61], -v[8:9]
	v_add_f64 v[156:157], v[152:153], v[154:155]
	ds_read_b128 v[152:155], v1 offset:1184
	v_add_f64 v[6:7], v[6:7], v[8:9]
	v_mul_f64 v[8:9], v[138:139], v[70:71]
	v_fma_f64 v[8:9], v[136:137], v[72:73], -v[8:9]
	v_add_f64 v[6:7], v[6:7], v[8:9]
	v_mul_f64 v[8:9], v[142:143], v[66:67]
	s_waitcnt lgkmcnt(1)
	v_mul_f64 v[158:159], v[148:149], v[168:169]
	v_fma_f64 v[8:9], v[140:141], v[68:69], -v[8:9]
	v_fmac_f64_e32 v[158:159], v[150:151], v[170:171]
	v_add_f64 v[6:7], v[6:7], v[8:9]
	v_mul_f64 v[8:9], v[146:147], v[172:173]
	v_add_f64 v[160:161], v[156:157], v[158:159]
	ds_read_b128 v[156:159], v1 offset:1200
	s_waitcnt vmcnt(10) lgkmcnt(1)
	v_mul_f64 v[162:163], v[152:153], v[180:181]
	v_fma_f64 v[8:9], v[144:145], v[174:175], -v[8:9]
	s_waitcnt vmcnt(8)
	v_fmac_f64_e32 v[162:163], v[154:155], v[182:183]
	v_add_f64 v[6:7], v[6:7], v[8:9]
	v_mul_f64 v[8:9], v[150:151], v[168:169]
	v_add_f64 v[200:201], v[160:161], v[162:163]
	ds_read_b128 v[160:163], v1 offset:1216
	v_fma_f64 v[8:9], v[148:149], v[170:171], -v[8:9]
	v_add_f64 v[6:7], v[6:7], v[8:9]
	v_mul_f64 v[8:9], v[154:155], v[180:181]
	v_fma_f64 v[8:9], v[152:153], v[182:183], -v[8:9]
	v_add_f64 v[6:7], v[6:7], v[8:9]
	s_waitcnt lgkmcnt(1)
	v_mul_f64 v[8:9], v[158:159], v[176:177]
	v_mul_f64 v[202:203], v[156:157], v[176:177]
	v_fma_f64 v[8:9], v[156:157], v[178:179], -v[8:9]
	v_fmac_f64_e32 v[202:203], v[158:159], v[178:179]
	v_add_f64 v[6:7], v[6:7], v[8:9]
	s_waitcnt vmcnt(2) lgkmcnt(0)
	v_mul_f64 v[8:9], v[162:163], v[196:197]
	v_add_f64 v[200:201], v[200:201], v[202:203]
	v_mul_f64 v[202:203], v[160:161], v[196:197]
	s_waitcnt vmcnt(0)
	v_fma_f64 v[8:9], v[160:161], v[198:199], -v[8:9]
	v_fmac_f64_e32 v[202:203], v[162:163], v[198:199]
	v_add_f64 v[6:7], v[6:7], v[8:9]
	v_mul_f64 v[8:9], v[166:167], v[184:185]
	v_add_f64 v[200:201], v[200:201], v[202:203]
	v_mul_f64 v[202:203], v[164:165], v[184:185]
	v_fma_f64 v[8:9], v[164:165], v[186:187], -v[8:9]
	v_fmac_f64_e32 v[202:203], v[166:167], v[186:187]
	v_add_f64 v[6:7], v[6:7], v[8:9]
	v_add_f64 v[200:201], v[200:201], v[202:203]
	v_add_f64 v[4:5], v[4:5], -v[6:7]
	v_add_f64 v[2:3], v[2:3], -v[200:201]
	buffer_store_dword v5, off, s[0:3], 0 offset:260
	buffer_store_dword v4, off, s[0:3], 0 offset:256
	;; [unrolled: 1-line block ×4, first 2 shown]
	s_and_saveexec_b64 s[4:5], vcc
	s_cbranch_execz .LBB102_219
; %bb.218:
	v_accvgpr_read_b32 v5, a102
	buffer_load_dword v2, v5, s[0:3], 0 offen
	buffer_load_dword v3, v5, s[0:3], 0 offen offset:4
	buffer_load_dword v4, v5, s[0:3], 0 offen offset:8
	s_nop 0
	buffer_load_dword v5, v5, s[0:3], 0 offen offset:12
	v_accvgpr_read_b32 v6, a116
	buffer_store_dword v1, off, s[0:3], 0 offset:240
	buffer_store_dword v1, off, s[0:3], 0 offset:244
	;; [unrolled: 1-line block ×4, first 2 shown]
	s_waitcnt vmcnt(4)
	ds_write_b128 v6, v[2:5]
.LBB102_219:
	s_or_b64 exec, exec, s[4:5]
	s_waitcnt lgkmcnt(0)
	; wave barrier
	s_waitcnt lgkmcnt(0)
	buffer_load_dword v22, off, s[0:3], 0 offset:256
	buffer_load_dword v23, off, s[0:3], 0 offset:260
	;; [unrolled: 1-line block ×16, first 2 shown]
	ds_read_b128 v[2:5], v1 offset:864
	ds_read_b128 v[6:9], v1 offset:880
	;; [unrolled: 1-line block ×4, first 2 shown]
	buffer_load_dword v35, off, s[0:3], 0 offset:332
	buffer_load_dword v34, off, s[0:3], 0 offset:328
	;; [unrolled: 1-line block ×48, first 2 shown]
	v_cmp_lt_u32_e32 vcc, 13, v0
	s_waitcnt vmcnt(42) lgkmcnt(0)
	v_mul_f64 v[104:105], v[14:15], v[38:39]
	s_waitcnt vmcnt(40)
	v_fmac_f64_e32 v[104:105], v[16:17], v[40:41]
	v_mul_f64 v[82:83], v[2:3], v[24:25]
	v_fmac_f64_e32 v[82:83], v[4:5], v[22:23]
	v_add_f64 v[82:83], v[82:83], 0
	v_mul_f64 v[4:5], v[4:5], v[24:25]
	v_mul_f64 v[84:85], v[6:7], v[32:33]
	v_fma_f64 v[2:3], v[2:3], v[22:23], -v[4:5]
	v_mul_f64 v[98:99], v[10:11], v[26:27]
	v_fmac_f64_e32 v[98:99], v[12:13], v[30:31]
	v_fmac_f64_e32 v[84:85], v[8:9], v[28:29]
	v_add_f64 v[100:101], v[82:83], v[84:85]
	buffer_load_dword v83, off, s[0:3], 0 offset:524
	buffer_load_dword v82, off, s[0:3], 0 offset:520
	;; [unrolled: 1-line block ×32, first 2 shown]
	v_add_f64 v[102:103], v[100:101], v[98:99]
	ds_read_b128 v[98:101], v1 offset:928
	buffer_load_dword v205, off, s[0:3], 0 offset:636
	buffer_load_dword v204, off, s[0:3], 0 offset:632
	;; [unrolled: 1-line block ×4, first 2 shown]
	v_add_f64 v[106:107], v[102:103], v[104:105]
	ds_read_b128 v[102:105], v1 offset:944
	v_mul_f64 v[4:5], v[8:9], v[32:33]
	s_waitcnt lgkmcnt(1)
	v_mul_f64 v[108:109], v[98:99], v[34:35]
	v_fmac_f64_e32 v[108:109], v[100:101], v[36:37]
	v_add_f64 v[110:111], v[106:107], v[108:109]
	ds_read_b128 v[106:109], v1 offset:960
	s_waitcnt vmcnt(62) lgkmcnt(1)
	v_mul_f64 v[112:113], v[102:103], v[46:47]
	v_fmac_f64_e32 v[112:113], v[104:105], v[48:49]
	v_add_f64 v[114:115], v[110:111], v[112:113]
	ds_read_b128 v[110:113], v1 offset:976
	s_waitcnt lgkmcnt(1)
	v_mul_f64 v[116:117], v[106:107], v[42:43]
	v_fmac_f64_e32 v[116:117], v[108:109], v[44:45]
	v_add_f64 v[120:121], v[114:115], v[116:117]
	ds_read_b128 v[114:117], v1 offset:992
	s_waitcnt lgkmcnt(1)
	v_mul_f64 v[122:123], v[110:111], v[54:55]
	s_waitcnt vmcnt(60)
	v_fmac_f64_e32 v[122:123], v[112:113], v[56:57]
	v_add_f64 v[124:125], v[120:121], v[122:123]
	ds_read_b128 v[120:123], v1 offset:1008
	s_waitcnt lgkmcnt(1)
	v_mul_f64 v[126:127], v[114:115], v[50:51]
	v_fmac_f64_e32 v[126:127], v[116:117], v[52:53]
	v_add_f64 v[128:129], v[124:125], v[126:127]
	ds_read_b128 v[124:127], v1 offset:1024
	s_waitcnt vmcnt(54) lgkmcnt(1)
	v_mul_f64 v[130:131], v[120:121], v[62:63]
	s_waitcnt vmcnt(52)
	v_fmac_f64_e32 v[130:131], v[122:123], v[64:65]
	v_add_f64 v[132:133], v[128:129], v[130:131]
	ds_read_b128 v[128:131], v1 offset:1040
	s_waitcnt lgkmcnt(1)
	v_mul_f64 v[134:135], v[124:125], v[58:59]
	v_fmac_f64_e32 v[134:135], v[126:127], v[60:61]
	v_add_f64 v[2:3], v[2:3], 0
	v_fma_f64 v[4:5], v[6:7], v[28:29], -v[4:5]
	v_add_f64 v[136:137], v[132:133], v[134:135]
	ds_read_b128 v[132:135], v1 offset:1056
	v_add_f64 v[2:3], v[2:3], v[4:5]
	v_mul_f64 v[4:5], v[12:13], v[26:27]
	v_fma_f64 v[4:5], v[10:11], v[30:31], -v[4:5]
	v_add_f64 v[2:3], v[2:3], v[4:5]
	v_mul_f64 v[4:5], v[16:17], v[38:39]
	s_waitcnt vmcnt(46) lgkmcnt(1)
	v_mul_f64 v[138:139], v[128:129], v[70:71]
	v_fma_f64 v[4:5], v[14:15], v[40:41], -v[4:5]
	s_waitcnt vmcnt(44)
	v_fmac_f64_e32 v[138:139], v[130:131], v[72:73]
	v_add_f64 v[2:3], v[2:3], v[4:5]
	v_mul_f64 v[4:5], v[100:101], v[34:35]
	v_add_f64 v[140:141], v[136:137], v[138:139]
	ds_read_b128 v[136:139], v1 offset:1072
	s_waitcnt lgkmcnt(1)
	v_mul_f64 v[142:143], v[132:133], v[66:67]
	v_fma_f64 v[4:5], v[98:99], v[36:37], -v[4:5]
	v_fmac_f64_e32 v[142:143], v[134:135], v[68:69]
	v_add_f64 v[2:3], v[2:3], v[4:5]
	v_mul_f64 v[4:5], v[104:105], v[46:47]
	v_add_f64 v[144:145], v[140:141], v[142:143]
	ds_read_b128 v[140:143], v1 offset:1088
	v_fma_f64 v[4:5], v[102:103], v[48:49], -v[4:5]
	v_add_f64 v[2:3], v[2:3], v[4:5]
	v_mul_f64 v[4:5], v[108:109], v[42:43]
	v_fma_f64 v[4:5], v[106:107], v[44:45], -v[4:5]
	s_waitcnt vmcnt(38) lgkmcnt(1)
	v_mul_f64 v[146:147], v[136:137], v[78:79]
	v_add_f64 v[2:3], v[2:3], v[4:5]
	v_mul_f64 v[4:5], v[112:113], v[54:55]
	s_waitcnt vmcnt(36)
	v_fmac_f64_e32 v[146:147], v[138:139], v[80:81]
	v_fma_f64 v[4:5], v[110:111], v[56:57], -v[4:5]
	v_add_f64 v[148:149], v[144:145], v[146:147]
	ds_read_b128 v[144:147], v1 offset:1104
	s_waitcnt lgkmcnt(1)
	v_mul_f64 v[150:151], v[140:141], v[74:75]
	v_add_f64 v[2:3], v[2:3], v[4:5]
	v_mul_f64 v[4:5], v[116:117], v[50:51]
	v_fmac_f64_e32 v[150:151], v[142:143], v[76:77]
	v_fma_f64 v[4:5], v[114:115], v[52:53], -v[4:5]
	v_add_f64 v[152:153], v[148:149], v[150:151]
	ds_read_b128 v[148:151], v1 offset:1120
	v_add_f64 v[2:3], v[2:3], v[4:5]
	v_mul_f64 v[4:5], v[122:123], v[62:63]
	v_fma_f64 v[4:5], v[120:121], v[64:65], -v[4:5]
	v_add_f64 v[2:3], v[2:3], v[4:5]
	v_mul_f64 v[4:5], v[126:127], v[58:59]
	s_waitcnt vmcnt(30) lgkmcnt(1)
	v_mul_f64 v[154:155], v[144:145], v[86:87]
	v_fma_f64 v[4:5], v[124:125], v[60:61], -v[4:5]
	s_waitcnt vmcnt(28)
	v_fmac_f64_e32 v[154:155], v[146:147], v[88:89]
	v_add_f64 v[2:3], v[2:3], v[4:5]
	v_mul_f64 v[4:5], v[130:131], v[70:71]
	v_add_f64 v[156:157], v[152:153], v[154:155]
	ds_read_b128 v[152:155], v1 offset:1136
	s_waitcnt lgkmcnt(1)
	v_mul_f64 v[158:159], v[148:149], v[82:83]
	v_fma_f64 v[4:5], v[128:129], v[72:73], -v[4:5]
	v_fmac_f64_e32 v[158:159], v[150:151], v[84:85]
	v_add_f64 v[2:3], v[2:3], v[4:5]
	v_mul_f64 v[4:5], v[134:135], v[66:67]
	v_add_f64 v[160:161], v[156:157], v[158:159]
	ds_read_b128 v[156:159], v1 offset:1152
	v_fma_f64 v[4:5], v[132:133], v[68:69], -v[4:5]
	v_add_f64 v[2:3], v[2:3], v[4:5]
	v_mul_f64 v[4:5], v[138:139], v[78:79]
	v_fma_f64 v[4:5], v[136:137], v[80:81], -v[4:5]
	s_waitcnt vmcnt(22) lgkmcnt(1)
	v_mul_f64 v[162:163], v[152:153], v[94:95]
	v_add_f64 v[2:3], v[2:3], v[4:5]
	v_mul_f64 v[4:5], v[142:143], v[74:75]
	s_waitcnt vmcnt(20)
	v_fmac_f64_e32 v[162:163], v[154:155], v[96:97]
	v_fma_f64 v[4:5], v[140:141], v[76:77], -v[4:5]
	v_add_f64 v[164:165], v[160:161], v[162:163]
	ds_read_b128 v[160:163], v1 offset:1168
	s_waitcnt lgkmcnt(1)
	v_mul_f64 v[166:167], v[156:157], v[90:91]
	v_add_f64 v[2:3], v[2:3], v[4:5]
	v_mul_f64 v[4:5], v[146:147], v[86:87]
	v_fmac_f64_e32 v[166:167], v[158:159], v[92:93]
	v_fma_f64 v[4:5], v[144:145], v[88:89], -v[4:5]
	v_add_f64 v[168:169], v[164:165], v[166:167]
	ds_read_b128 v[164:167], v1 offset:1184
	v_add_f64 v[2:3], v[2:3], v[4:5]
	v_mul_f64 v[4:5], v[150:151], v[82:83]
	v_fma_f64 v[4:5], v[148:149], v[84:85], -v[4:5]
	v_add_f64 v[2:3], v[2:3], v[4:5]
	v_mul_f64 v[4:5], v[154:155], v[94:95]
	s_waitcnt vmcnt(14) lgkmcnt(1)
	v_mul_f64 v[170:171], v[160:161], v[184:185]
	v_fma_f64 v[4:5], v[152:153], v[96:97], -v[4:5]
	s_waitcnt vmcnt(12)
	v_fmac_f64_e32 v[170:171], v[162:163], v[186:187]
	v_add_f64 v[2:3], v[2:3], v[4:5]
	v_mul_f64 v[4:5], v[158:159], v[90:91]
	v_add_f64 v[172:173], v[168:169], v[170:171]
	ds_read_b128 v[168:171], v1 offset:1200
	s_waitcnt lgkmcnt(1)
	v_mul_f64 v[174:175], v[164:165], v[180:181]
	v_fma_f64 v[4:5], v[156:157], v[92:93], -v[4:5]
	v_fmac_f64_e32 v[174:175], v[166:167], v[182:183]
	v_add_f64 v[2:3], v[2:3], v[4:5]
	v_mul_f64 v[4:5], v[162:163], v[184:185]
	v_add_f64 v[208:209], v[172:173], v[174:175]
	ds_read_b128 v[172:175], v1 offset:1216
	v_fma_f64 v[4:5], v[160:161], v[186:187], -v[4:5]
	v_add_f64 v[2:3], v[2:3], v[4:5]
	v_mul_f64 v[4:5], v[166:167], v[180:181]
	ds_read_b128 v[176:179], v1 offset:1232
	v_fma_f64 v[4:5], v[164:165], v[182:183], -v[4:5]
	v_add_f64 v[2:3], v[2:3], v[4:5]
	s_waitcnt vmcnt(6) lgkmcnt(2)
	v_mul_f64 v[4:5], v[170:171], v[200:201]
	v_mul_f64 v[210:211], v[168:169], v[200:201]
	s_waitcnt vmcnt(4)
	v_fma_f64 v[4:5], v[168:169], v[202:203], -v[4:5]
	v_fmac_f64_e32 v[210:211], v[170:171], v[202:203]
	v_add_f64 v[2:3], v[2:3], v[4:5]
	s_waitcnt lgkmcnt(1)
	v_mul_f64 v[4:5], v[174:175], v[196:197]
	v_add_f64 v[208:209], v[208:209], v[210:211]
	v_mul_f64 v[210:211], v[172:173], v[196:197]
	v_fma_f64 v[4:5], v[172:173], v[198:199], -v[4:5]
	v_fmac_f64_e32 v[210:211], v[174:175], v[198:199]
	v_add_f64 v[2:3], v[2:3], v[4:5]
	s_waitcnt vmcnt(2) lgkmcnt(0)
	v_mul_f64 v[4:5], v[178:179], v[204:205]
	v_add_f64 v[208:209], v[208:209], v[210:211]
	v_mul_f64 v[210:211], v[176:177], v[204:205]
	s_waitcnt vmcnt(0)
	v_fma_f64 v[4:5], v[176:177], v[206:207], -v[4:5]
	v_fmac_f64_e32 v[210:211], v[178:179], v[206:207]
	v_add_f64 v[2:3], v[2:3], v[4:5]
	v_add_f64 v[208:209], v[208:209], v[210:211]
	v_add_f64 v[2:3], v[20:21], -v[2:3]
	v_add_f64 v[4:5], v[18:19], -v[208:209]
	buffer_store_dword v3, off, s[0:3], 0 offset:244
	buffer_store_dword v2, off, s[0:3], 0 offset:240
	buffer_store_dword v5, off, s[0:3], 0 offset:252
	buffer_store_dword v4, off, s[0:3], 0 offset:248
	s_and_saveexec_b64 s[4:5], vcc
	s_cbranch_execz .LBB102_221
; %bb.220:
	v_accvgpr_read_b32 v1, a103
	buffer_load_dword v2, v1, s[0:3], 0 offen
	buffer_load_dword v3, v1, s[0:3], 0 offen offset:4
	buffer_load_dword v4, v1, s[0:3], 0 offen offset:8
	;; [unrolled: 1-line block ×3, first 2 shown]
	v_mov_b32_e32 v1, 0
	v_accvgpr_read_b32 v6, a116
	buffer_store_dword v1, off, s[0:3], 0 offset:224
	buffer_store_dword v1, off, s[0:3], 0 offset:228
	;; [unrolled: 1-line block ×4, first 2 shown]
	s_waitcnt vmcnt(4)
	ds_write_b128 v6, v[2:5]
.LBB102_221:
	s_or_b64 exec, exec, s[4:5]
	s_waitcnt lgkmcnt(0)
	; wave barrier
	s_waitcnt lgkmcnt(0)
	buffer_load_dword v22, off, s[0:3], 0 offset:240
	buffer_load_dword v23, off, s[0:3], 0 offset:244
	;; [unrolled: 1-line block ×64, first 2 shown]
	v_mov_b32_e32 v1, 0
	ds_read_b128 v[18:21], v1 offset:848
	ds_read_b128 v[14:17], v1 offset:864
	;; [unrolled: 1-line block ×5, first 2 shown]
	v_cmp_lt_u32_e32 vcc, 12, v0
	s_waitcnt vmcnt(60) lgkmcnt(4)
	v_mul_f64 v[86:87], v[18:19], v[26:27]
	v_fmac_f64_e32 v[86:87], v[20:21], v[22:23]
	v_add_f64 v[86:87], v[86:87], 0
	v_mul_f64 v[20:21], v[20:21], v[26:27]
	s_waitcnt vmcnt(56) lgkmcnt(3)
	v_mul_f64 v[88:89], v[14:15], v[28:29]
	v_fmac_f64_e32 v[88:89], v[16:17], v[24:25]
	s_waitcnt vmcnt(54) lgkmcnt(2)
	v_mul_f64 v[90:91], v[10:11], v[30:31]
	v_add_f64 v[86:87], v[86:87], v[88:89]
	v_fma_f64 v[18:19], v[18:19], v[22:23], -v[20:21]
	v_mul_f64 v[16:17], v[16:17], v[28:29]
	s_waitcnt vmcnt(50) lgkmcnt(1)
	v_mul_f64 v[102:103], v[6:7], v[40:41]
	v_add_f64 v[18:19], v[18:19], 0
	s_waitcnt vmcnt(48)
	v_fmac_f64_e32 v[90:91], v[12:13], v[44:45]
	v_add_f64 v[104:105], v[86:87], v[90:91]
	buffer_load_dword v87, off, s[0:3], 0 offset:508
	buffer_load_dword v86, off, s[0:3], 0 offset:504
	;; [unrolled: 1-line block ×40, first 2 shown]
	s_waitcnt vmcnt(62)
	v_fmac_f64_e32 v[102:103], v[8:9], v[42:43]
	v_add_f64 v[106:107], v[104:105], v[102:103]
	ds_read_b128 v[102:105], v1 offset:928
	s_waitcnt lgkmcnt(1)
	v_mul_f64 v[108:109], v[2:3], v[36:37]
	v_fmac_f64_e32 v[108:109], v[4:5], v[38:39]
	v_add_f64 v[110:111], v[106:107], v[108:109]
	ds_read_b128 v[106:109], v1 offset:944
	s_waitcnt lgkmcnt(1)
	v_mul_f64 v[112:113], v[102:103], v[50:51]
	;; [unrolled: 5-line block ×5, first 2 shown]
	v_fmac_f64_e32 v[126:127], v[116:117], v[56:57]
	v_add_f64 v[128:129], v[124:125], v[126:127]
	ds_read_b128 v[124:127], v1 offset:1008
	s_waitcnt vmcnt(58) lgkmcnt(1)
	v_mul_f64 v[130:131], v[120:121], v[66:67]
	s_waitcnt vmcnt(56)
	v_fmac_f64_e32 v[130:131], v[122:123], v[68:69]
	v_add_f64 v[132:133], v[128:129], v[130:131]
	ds_read_b128 v[128:131], v1 offset:1024
	s_waitcnt lgkmcnt(1)
	v_mul_f64 v[134:135], v[124:125], v[62:63]
	v_fmac_f64_e32 v[134:135], v[126:127], v[64:65]
	v_add_f64 v[136:137], v[132:133], v[134:135]
	ds_read_b128 v[132:135], v1 offset:1040
	s_waitcnt vmcnt(50) lgkmcnt(1)
	v_mul_f64 v[138:139], v[128:129], v[74:75]
	s_waitcnt vmcnt(48)
	v_fmac_f64_e32 v[138:139], v[130:131], v[76:77]
	v_add_f64 v[140:141], v[136:137], v[138:139]
	ds_read_b128 v[136:139], v1 offset:1056
	v_fma_f64 v[14:15], v[14:15], v[24:25], -v[16:17]
	v_mul_f64 v[12:13], v[12:13], v[30:31]
	v_add_f64 v[14:15], v[18:19], v[14:15]
	v_fma_f64 v[10:11], v[10:11], v[44:45], -v[12:13]
	v_mul_f64 v[8:9], v[8:9], v[40:41]
	s_waitcnt lgkmcnt(1)
	v_mul_f64 v[142:143], v[132:133], v[70:71]
	v_add_f64 v[10:11], v[14:15], v[10:11]
	v_fma_f64 v[6:7], v[6:7], v[42:43], -v[8:9]
	v_mul_f64 v[4:5], v[4:5], v[36:37]
	v_fmac_f64_e32 v[142:143], v[134:135], v[72:73]
	v_add_f64 v[6:7], v[10:11], v[6:7]
	v_fma_f64 v[2:3], v[2:3], v[38:39], -v[4:5]
	v_mul_f64 v[4:5], v[104:105], v[50:51]
	v_add_f64 v[144:145], v[140:141], v[142:143]
	ds_read_b128 v[140:143], v1 offset:1072
	s_waitcnt vmcnt(42) lgkmcnt(1)
	v_mul_f64 v[146:147], v[136:137], v[82:83]
	v_add_f64 v[2:3], v[6:7], v[2:3]
	v_fma_f64 v[4:5], v[102:103], v[52:53], -v[4:5]
	s_waitcnt vmcnt(40)
	v_fmac_f64_e32 v[146:147], v[138:139], v[84:85]
	v_add_f64 v[2:3], v[2:3], v[4:5]
	v_mul_f64 v[4:5], v[108:109], v[46:47]
	v_add_f64 v[148:149], v[144:145], v[146:147]
	ds_read_b128 v[144:147], v1 offset:1088
	v_fma_f64 v[4:5], v[106:107], v[48:49], -v[4:5]
	v_add_f64 v[2:3], v[2:3], v[4:5]
	v_mul_f64 v[4:5], v[112:113], v[58:59]
	v_fma_f64 v[4:5], v[110:111], v[60:61], -v[4:5]
	s_waitcnt lgkmcnt(1)
	v_mul_f64 v[150:151], v[140:141], v[78:79]
	v_add_f64 v[2:3], v[2:3], v[4:5]
	v_mul_f64 v[4:5], v[116:117], v[54:55]
	v_fmac_f64_e32 v[150:151], v[142:143], v[80:81]
	v_fma_f64 v[4:5], v[114:115], v[56:57], -v[4:5]
	v_add_f64 v[152:153], v[148:149], v[150:151]
	ds_read_b128 v[148:151], v1 offset:1104
	s_waitcnt vmcnt(34) lgkmcnt(1)
	v_mul_f64 v[154:155], v[144:145], v[90:91]
	v_add_f64 v[2:3], v[2:3], v[4:5]
	v_mul_f64 v[4:5], v[122:123], v[66:67]
	s_waitcnt vmcnt(32)
	v_fmac_f64_e32 v[154:155], v[146:147], v[92:93]
	v_fma_f64 v[4:5], v[120:121], v[68:69], -v[4:5]
	v_add_f64 v[156:157], v[152:153], v[154:155]
	ds_read_b128 v[152:155], v1 offset:1120
	v_add_f64 v[2:3], v[2:3], v[4:5]
	v_mul_f64 v[4:5], v[126:127], v[62:63]
	v_fma_f64 v[4:5], v[124:125], v[64:65], -v[4:5]
	v_add_f64 v[2:3], v[2:3], v[4:5]
	v_mul_f64 v[4:5], v[130:131], v[74:75]
	s_waitcnt lgkmcnt(1)
	v_mul_f64 v[158:159], v[148:149], v[86:87]
	v_fma_f64 v[4:5], v[128:129], v[76:77], -v[4:5]
	v_fmac_f64_e32 v[158:159], v[150:151], v[88:89]
	v_add_f64 v[2:3], v[2:3], v[4:5]
	v_mul_f64 v[4:5], v[134:135], v[70:71]
	v_add_f64 v[160:161], v[156:157], v[158:159]
	ds_read_b128 v[156:159], v1 offset:1136
	s_waitcnt vmcnt(26) lgkmcnt(1)
	v_mul_f64 v[162:163], v[152:153], v[98:99]
	v_fma_f64 v[4:5], v[132:133], v[72:73], -v[4:5]
	s_waitcnt vmcnt(24)
	v_fmac_f64_e32 v[162:163], v[154:155], v[100:101]
	v_add_f64 v[2:3], v[2:3], v[4:5]
	v_mul_f64 v[4:5], v[138:139], v[82:83]
	v_add_f64 v[164:165], v[160:161], v[162:163]
	ds_read_b128 v[160:163], v1 offset:1152
	v_fma_f64 v[4:5], v[136:137], v[84:85], -v[4:5]
	v_add_f64 v[2:3], v[2:3], v[4:5]
	v_mul_f64 v[4:5], v[142:143], v[78:79]
	v_fma_f64 v[4:5], v[140:141], v[80:81], -v[4:5]
	s_waitcnt lgkmcnt(1)
	v_mul_f64 v[166:167], v[156:157], v[94:95]
	v_add_f64 v[2:3], v[2:3], v[4:5]
	v_mul_f64 v[4:5], v[146:147], v[90:91]
	v_fmac_f64_e32 v[166:167], v[158:159], v[96:97]
	v_fma_f64 v[4:5], v[144:145], v[92:93], -v[4:5]
	v_add_f64 v[168:169], v[164:165], v[166:167]
	ds_read_b128 v[164:167], v1 offset:1168
	s_waitcnt vmcnt(18) lgkmcnt(1)
	v_mul_f64 v[170:171], v[160:161], v[196:197]
	v_add_f64 v[2:3], v[2:3], v[4:5]
	v_mul_f64 v[4:5], v[150:151], v[86:87]
	s_waitcnt vmcnt(16)
	v_fmac_f64_e32 v[170:171], v[162:163], v[198:199]
	v_fma_f64 v[4:5], v[148:149], v[88:89], -v[4:5]
	v_add_f64 v[172:173], v[168:169], v[170:171]
	ds_read_b128 v[168:171], v1 offset:1184
	v_add_f64 v[2:3], v[2:3], v[4:5]
	v_mul_f64 v[4:5], v[154:155], v[98:99]
	v_fma_f64 v[4:5], v[152:153], v[100:101], -v[4:5]
	v_add_f64 v[2:3], v[2:3], v[4:5]
	v_mul_f64 v[4:5], v[158:159], v[94:95]
	s_waitcnt lgkmcnt(1)
	v_mul_f64 v[174:175], v[164:165], v[184:185]
	v_fma_f64 v[4:5], v[156:157], v[96:97], -v[4:5]
	v_fmac_f64_e32 v[174:175], v[166:167], v[186:187]
	v_add_f64 v[2:3], v[2:3], v[4:5]
	v_mul_f64 v[4:5], v[162:163], v[196:197]
	v_add_f64 v[176:177], v[172:173], v[174:175]
	ds_read_b128 v[172:175], v1 offset:1200
	s_waitcnt vmcnt(10) lgkmcnt(1)
	v_mul_f64 v[178:179], v[168:169], v[204:205]
	v_fma_f64 v[4:5], v[160:161], v[198:199], -v[4:5]
	s_waitcnt vmcnt(8)
	v_fmac_f64_e32 v[178:179], v[170:171], v[206:207]
	v_add_f64 v[2:3], v[2:3], v[4:5]
	v_mul_f64 v[4:5], v[166:167], v[184:185]
	v_add_f64 v[216:217], v[176:177], v[178:179]
	ds_read_b128 v[176:179], v1 offset:1216
	ds_read_b128 v[180:183], v1 offset:1232
	v_fma_f64 v[4:5], v[164:165], v[186:187], -v[4:5]
	v_add_f64 v[2:3], v[2:3], v[4:5]
	v_mul_f64 v[4:5], v[170:171], v[204:205]
	v_fma_f64 v[4:5], v[168:169], v[206:207], -v[4:5]
	v_add_f64 v[2:3], v[2:3], v[4:5]
	s_waitcnt lgkmcnt(2)
	v_mul_f64 v[4:5], v[174:175], v[200:201]
	v_mul_f64 v[218:219], v[172:173], v[200:201]
	v_fma_f64 v[4:5], v[172:173], v[202:203], -v[4:5]
	v_fmac_f64_e32 v[218:219], v[174:175], v[202:203]
	v_add_f64 v[2:3], v[2:3], v[4:5]
	s_waitcnt vmcnt(2) lgkmcnt(1)
	v_mul_f64 v[4:5], v[178:179], v[212:213]
	v_add_f64 v[216:217], v[216:217], v[218:219]
	v_mul_f64 v[218:219], v[176:177], v[212:213]
	s_waitcnt vmcnt(0)
	v_fma_f64 v[4:5], v[176:177], v[214:215], -v[4:5]
	v_fmac_f64_e32 v[218:219], v[178:179], v[214:215]
	v_add_f64 v[2:3], v[2:3], v[4:5]
	s_waitcnt lgkmcnt(0)
	v_mul_f64 v[4:5], v[182:183], v[208:209]
	v_add_f64 v[216:217], v[216:217], v[218:219]
	v_mul_f64 v[218:219], v[180:181], v[208:209]
	v_fma_f64 v[4:5], v[180:181], v[210:211], -v[4:5]
	v_fmac_f64_e32 v[218:219], v[182:183], v[210:211]
	v_add_f64 v[2:3], v[2:3], v[4:5]
	v_add_f64 v[216:217], v[216:217], v[218:219]
	v_add_f64 v[2:3], v[34:35], -v[2:3]
	v_add_f64 v[4:5], v[32:33], -v[216:217]
	buffer_store_dword v3, off, s[0:3], 0 offset:228
	buffer_store_dword v2, off, s[0:3], 0 offset:224
	;; [unrolled: 1-line block ×4, first 2 shown]
	s_and_saveexec_b64 s[4:5], vcc
	s_cbranch_execz .LBB102_223
; %bb.222:
	v_accvgpr_read_b32 v5, a104
	buffer_load_dword v2, v5, s[0:3], 0 offen
	buffer_load_dword v3, v5, s[0:3], 0 offen offset:4
	buffer_load_dword v4, v5, s[0:3], 0 offen offset:8
	s_nop 0
	buffer_load_dword v5, v5, s[0:3], 0 offen offset:12
	v_accvgpr_read_b32 v6, a116
	buffer_store_dword v1, off, s[0:3], 0 offset:208
	buffer_store_dword v1, off, s[0:3], 0 offset:212
	;; [unrolled: 1-line block ×4, first 2 shown]
	s_waitcnt vmcnt(4)
	ds_write_b128 v6, v[2:5]
.LBB102_223:
	s_or_b64 exec, exec, s[4:5]
	s_waitcnt lgkmcnt(0)
	; wave barrier
	s_waitcnt lgkmcnt(0)
	buffer_load_dword v26, off, s[0:3], 0 offset:224
	buffer_load_dword v27, off, s[0:3], 0 offset:228
	;; [unrolled: 1-line block ×24, first 2 shown]
	ds_read_b128 v[22:25], v1 offset:832
	ds_read_b128 v[18:21], v1 offset:848
	;; [unrolled: 1-line block ×6, first 2 shown]
	buffer_load_dword v51, off, s[0:3], 0 offset:332
	buffer_load_dword v50, off, s[0:3], 0 offset:328
	;; [unrolled: 1-line block ×40, first 2 shown]
	v_cmp_lt_u32_e32 vcc, 11, v0
	s_waitcnt vmcnt(34) lgkmcnt(0)
	v_mul_f64 v[122:123], v[14:15], v[54:55]
	s_waitcnt vmcnt(32)
	v_fmac_f64_e32 v[122:123], v[16:17], v[56:57]
	v_mul_f64 v[90:91], v[22:23], v[28:29]
	v_fmac_f64_e32 v[90:91], v[24:25], v[26:27]
	v_mul_f64 v[92:93], v[18:19], v[30:31]
	v_add_f64 v[90:91], v[90:91], 0
	v_mul_f64 v[94:95], v[10:11], v[32:33]
	v_mul_f64 v[24:25], v[24:25], v[28:29]
	v_mul_f64 v[114:115], v[2:3], v[38:39]
	v_fma_f64 v[22:23], v[22:23], v[26:27], -v[24:25]
	v_add_f64 v[22:23], v[22:23], 0
	v_mul_f64 v[96:97], v[6:7], v[42:43]
	v_fmac_f64_e32 v[92:93], v[20:21], v[48:49]
	v_add_f64 v[90:91], v[90:91], v[92:93]
	v_fmac_f64_e32 v[94:95], v[12:13], v[46:47]
	v_add_f64 v[90:91], v[90:91], v[94:95]
	;; [unrolled: 2-line block ×3, first 2 shown]
	buffer_load_dword v91, off, s[0:3], 0 offset:492
	buffer_load_dword v90, off, s[0:3], 0 offset:488
	;; [unrolled: 1-line block ×40, first 2 shown]
	v_fmac_f64_e32 v[114:115], v[4:5], v[40:41]
	v_add_f64 v[120:121], v[116:117], v[114:115]
	ds_read_b128 v[114:117], v1 offset:928
	buffer_load_dword v221, off, s[0:3], 0 offset:636
	buffer_load_dword v220, off, s[0:3], 0 offset:632
	buffer_load_dword v223, off, s[0:3], 0 offset:628
	buffer_load_dword v222, off, s[0:3], 0 offset:624
	v_add_f64 v[124:125], v[120:121], v[122:123]
	ds_read_b128 v[120:123], v1 offset:944
	v_mul_f64 v[20:21], v[20:21], v[30:31]
	s_waitcnt lgkmcnt(1)
	v_mul_f64 v[126:127], v[114:115], v[50:51]
	v_fmac_f64_e32 v[126:127], v[116:117], v[52:53]
	v_add_f64 v[128:129], v[124:125], v[126:127]
	ds_read_b128 v[124:127], v1 offset:960
	s_waitcnt vmcnt(62) lgkmcnt(1)
	v_mul_f64 v[130:131], v[120:121], v[62:63]
	v_fmac_f64_e32 v[130:131], v[122:123], v[64:65]
	v_add_f64 v[132:133], v[128:129], v[130:131]
	ds_read_b128 v[128:131], v1 offset:976
	s_waitcnt lgkmcnt(1)
	v_mul_f64 v[134:135], v[124:125], v[58:59]
	v_fmac_f64_e32 v[134:135], v[126:127], v[60:61]
	v_add_f64 v[136:137], v[132:133], v[134:135]
	ds_read_b128 v[132:135], v1 offset:992
	s_waitcnt lgkmcnt(1)
	v_mul_f64 v[138:139], v[128:129], v[70:71]
	s_waitcnt vmcnt(60)
	v_fmac_f64_e32 v[138:139], v[130:131], v[72:73]
	v_add_f64 v[140:141], v[136:137], v[138:139]
	ds_read_b128 v[136:139], v1 offset:1008
	s_waitcnt lgkmcnt(1)
	v_mul_f64 v[142:143], v[132:133], v[66:67]
	v_fmac_f64_e32 v[142:143], v[134:135], v[68:69]
	v_add_f64 v[144:145], v[140:141], v[142:143]
	ds_read_b128 v[140:143], v1 offset:1024
	s_waitcnt vmcnt(54) lgkmcnt(1)
	v_mul_f64 v[146:147], v[136:137], v[78:79]
	s_waitcnt vmcnt(52)
	v_fmac_f64_e32 v[146:147], v[138:139], v[80:81]
	v_add_f64 v[148:149], v[144:145], v[146:147]
	ds_read_b128 v[144:147], v1 offset:1040
	s_waitcnt lgkmcnt(1)
	v_mul_f64 v[150:151], v[140:141], v[74:75]
	v_fmac_f64_e32 v[150:151], v[142:143], v[76:77]
	v_fma_f64 v[18:19], v[18:19], v[48:49], -v[20:21]
	v_mul_f64 v[12:13], v[12:13], v[32:33]
	v_add_f64 v[152:153], v[148:149], v[150:151]
	ds_read_b128 v[148:151], v1 offset:1056
	v_add_f64 v[18:19], v[22:23], v[18:19]
	v_fma_f64 v[10:11], v[10:11], v[46:47], -v[12:13]
	v_mul_f64 v[8:9], v[8:9], v[42:43]
	v_add_f64 v[10:11], v[18:19], v[10:11]
	v_fma_f64 v[6:7], v[6:7], v[44:45], -v[8:9]
	v_mul_f64 v[4:5], v[4:5], v[38:39]
	;; [unrolled: 3-line block ×3, first 2 shown]
	s_waitcnt vmcnt(46) lgkmcnt(1)
	v_mul_f64 v[154:155], v[144:145], v[86:87]
	v_add_f64 v[2:3], v[6:7], v[2:3]
	v_fma_f64 v[4:5], v[14:15], v[56:57], -v[4:5]
	s_waitcnt vmcnt(44)
	v_fmac_f64_e32 v[154:155], v[146:147], v[88:89]
	v_add_f64 v[2:3], v[2:3], v[4:5]
	v_mul_f64 v[4:5], v[116:117], v[50:51]
	v_add_f64 v[156:157], v[152:153], v[154:155]
	ds_read_b128 v[152:155], v1 offset:1072
	s_waitcnt lgkmcnt(1)
	v_mul_f64 v[158:159], v[148:149], v[82:83]
	v_fma_f64 v[4:5], v[114:115], v[52:53], -v[4:5]
	v_fmac_f64_e32 v[158:159], v[150:151], v[84:85]
	v_add_f64 v[2:3], v[2:3], v[4:5]
	v_mul_f64 v[4:5], v[122:123], v[62:63]
	v_add_f64 v[160:161], v[156:157], v[158:159]
	ds_read_b128 v[156:159], v1 offset:1088
	v_fma_f64 v[4:5], v[120:121], v[64:65], -v[4:5]
	v_add_f64 v[2:3], v[2:3], v[4:5]
	v_mul_f64 v[4:5], v[126:127], v[58:59]
	v_fma_f64 v[4:5], v[124:125], v[60:61], -v[4:5]
	s_waitcnt vmcnt(38) lgkmcnt(1)
	v_mul_f64 v[162:163], v[152:153], v[94:95]
	v_add_f64 v[2:3], v[2:3], v[4:5]
	v_mul_f64 v[4:5], v[130:131], v[70:71]
	s_waitcnt vmcnt(36)
	v_fmac_f64_e32 v[162:163], v[154:155], v[96:97]
	v_fma_f64 v[4:5], v[128:129], v[72:73], -v[4:5]
	v_add_f64 v[164:165], v[160:161], v[162:163]
	ds_read_b128 v[160:163], v1 offset:1104
	s_waitcnt lgkmcnt(1)
	v_mul_f64 v[166:167], v[156:157], v[90:91]
	v_add_f64 v[2:3], v[2:3], v[4:5]
	v_mul_f64 v[4:5], v[134:135], v[66:67]
	v_fmac_f64_e32 v[166:167], v[158:159], v[92:93]
	v_fma_f64 v[4:5], v[132:133], v[68:69], -v[4:5]
	v_add_f64 v[168:169], v[164:165], v[166:167]
	ds_read_b128 v[164:167], v1 offset:1120
	v_add_f64 v[2:3], v[2:3], v[4:5]
	v_mul_f64 v[4:5], v[138:139], v[78:79]
	v_fma_f64 v[4:5], v[136:137], v[80:81], -v[4:5]
	v_add_f64 v[2:3], v[2:3], v[4:5]
	v_mul_f64 v[4:5], v[142:143], v[74:75]
	s_waitcnt vmcnt(30) lgkmcnt(1)
	v_mul_f64 v[170:171], v[160:161], v[102:103]
	v_fma_f64 v[4:5], v[140:141], v[76:77], -v[4:5]
	s_waitcnt vmcnt(28)
	v_fmac_f64_e32 v[170:171], v[162:163], v[104:105]
	v_add_f64 v[2:3], v[2:3], v[4:5]
	v_mul_f64 v[4:5], v[146:147], v[86:87]
	v_add_f64 v[172:173], v[168:169], v[170:171]
	ds_read_b128 v[168:171], v1 offset:1136
	s_waitcnt lgkmcnt(1)
	v_mul_f64 v[174:175], v[164:165], v[98:99]
	v_fma_f64 v[4:5], v[144:145], v[88:89], -v[4:5]
	v_fmac_f64_e32 v[174:175], v[166:167], v[100:101]
	v_add_f64 v[2:3], v[2:3], v[4:5]
	v_mul_f64 v[4:5], v[150:151], v[82:83]
	v_add_f64 v[176:177], v[172:173], v[174:175]
	ds_read_b128 v[172:175], v1 offset:1152
	v_fma_f64 v[4:5], v[148:149], v[84:85], -v[4:5]
	v_add_f64 v[2:3], v[2:3], v[4:5]
	v_mul_f64 v[4:5], v[154:155], v[94:95]
	v_fma_f64 v[4:5], v[152:153], v[96:97], -v[4:5]
	s_waitcnt vmcnt(22) lgkmcnt(1)
	v_mul_f64 v[178:179], v[168:169], v[110:111]
	v_add_f64 v[2:3], v[2:3], v[4:5]
	v_mul_f64 v[4:5], v[158:159], v[90:91]
	s_waitcnt vmcnt(20)
	v_fmac_f64_e32 v[178:179], v[170:171], v[112:113]
	v_fma_f64 v[4:5], v[156:157], v[92:93], -v[4:5]
	v_add_f64 v[180:181], v[176:177], v[178:179]
	ds_read_b128 v[176:179], v1 offset:1168
	s_waitcnt lgkmcnt(1)
	v_mul_f64 v[182:183], v[172:173], v[106:107]
	v_add_f64 v[2:3], v[2:3], v[4:5]
	v_mul_f64 v[4:5], v[162:163], v[102:103]
	v_fmac_f64_e32 v[182:183], v[174:175], v[108:109]
	v_fma_f64 v[4:5], v[160:161], v[104:105], -v[4:5]
	v_add_f64 v[184:185], v[180:181], v[182:183]
	ds_read_b128 v[180:183], v1 offset:1184
	v_add_f64 v[2:3], v[2:3], v[4:5]
	v_mul_f64 v[4:5], v[166:167], v[98:99]
	v_fma_f64 v[4:5], v[164:165], v[100:101], -v[4:5]
	v_add_f64 v[2:3], v[2:3], v[4:5]
	v_mul_f64 v[4:5], v[170:171], v[110:111]
	s_waitcnt vmcnt(14) lgkmcnt(1)
	v_mul_f64 v[186:187], v[176:177], v[208:209]
	v_fma_f64 v[4:5], v[168:169], v[112:113], -v[4:5]
	s_waitcnt vmcnt(12)
	v_fmac_f64_e32 v[186:187], v[178:179], v[210:211]
	v_add_f64 v[2:3], v[2:3], v[4:5]
	v_mul_f64 v[4:5], v[174:175], v[106:107]
	v_add_f64 v[196:197], v[184:185], v[186:187]
	ds_read_b128 v[184:187], v1 offset:1200
	s_waitcnt lgkmcnt(1)
	v_mul_f64 v[198:199], v[180:181], v[204:205]
	v_fma_f64 v[4:5], v[172:173], v[108:109], -v[4:5]
	v_fmac_f64_e32 v[198:199], v[182:183], v[206:207]
	v_add_f64 v[2:3], v[2:3], v[4:5]
	v_mul_f64 v[4:5], v[178:179], v[208:209]
	v_add_f64 v[224:225], v[196:197], v[198:199]
	ds_read_b128 v[196:199], v1 offset:1216
	v_fma_f64 v[4:5], v[176:177], v[210:211], -v[4:5]
	v_add_f64 v[2:3], v[2:3], v[4:5]
	v_mul_f64 v[4:5], v[182:183], v[204:205]
	ds_read_b128 v[200:203], v1 offset:1232
	v_fma_f64 v[4:5], v[180:181], v[206:207], -v[4:5]
	v_add_f64 v[2:3], v[2:3], v[4:5]
	s_waitcnt vmcnt(6) lgkmcnt(2)
	v_mul_f64 v[4:5], v[186:187], v[216:217]
	v_mul_f64 v[226:227], v[184:185], v[216:217]
	s_waitcnt vmcnt(4)
	v_fma_f64 v[4:5], v[184:185], v[218:219], -v[4:5]
	v_fmac_f64_e32 v[226:227], v[186:187], v[218:219]
	v_add_f64 v[2:3], v[2:3], v[4:5]
	s_waitcnt lgkmcnt(1)
	v_mul_f64 v[4:5], v[198:199], v[212:213]
	v_add_f64 v[224:225], v[224:225], v[226:227]
	v_mul_f64 v[226:227], v[196:197], v[212:213]
	v_fma_f64 v[4:5], v[196:197], v[214:215], -v[4:5]
	v_fmac_f64_e32 v[226:227], v[198:199], v[214:215]
	v_add_f64 v[2:3], v[2:3], v[4:5]
	s_waitcnt vmcnt(2) lgkmcnt(0)
	v_mul_f64 v[4:5], v[202:203], v[220:221]
	v_add_f64 v[224:225], v[224:225], v[226:227]
	v_mul_f64 v[226:227], v[200:201], v[220:221]
	s_waitcnt vmcnt(0)
	v_fma_f64 v[4:5], v[200:201], v[222:223], -v[4:5]
	v_fmac_f64_e32 v[226:227], v[202:203], v[222:223]
	v_add_f64 v[2:3], v[2:3], v[4:5]
	v_add_f64 v[224:225], v[224:225], v[226:227]
	v_add_f64 v[2:3], v[36:37], -v[2:3]
	v_add_f64 v[4:5], v[34:35], -v[224:225]
	buffer_store_dword v3, off, s[0:3], 0 offset:212
	buffer_store_dword v2, off, s[0:3], 0 offset:208
	;; [unrolled: 1-line block ×4, first 2 shown]
	s_and_saveexec_b64 s[4:5], vcc
	s_cbranch_execz .LBB102_225
; %bb.224:
	v_accvgpr_read_b32 v1, a105
	buffer_load_dword v2, v1, s[0:3], 0 offen
	buffer_load_dword v3, v1, s[0:3], 0 offen offset:4
	buffer_load_dword v4, v1, s[0:3], 0 offen offset:8
	;; [unrolled: 1-line block ×3, first 2 shown]
	v_mov_b32_e32 v1, 0
	v_accvgpr_read_b32 v6, a116
	buffer_store_dword v1, off, s[0:3], 0 offset:192
	buffer_store_dword v1, off, s[0:3], 0 offset:196
	;; [unrolled: 1-line block ×4, first 2 shown]
	s_waitcnt vmcnt(4)
	ds_write_b128 v6, v[2:5]
.LBB102_225:
	s_or_b64 exec, exec, s[4:5]
	s_waitcnt lgkmcnt(0)
	; wave barrier
	s_waitcnt lgkmcnt(0)
	buffer_load_dword v30, off, s[0:3], 0 offset:208
	buffer_load_dword v31, off, s[0:3], 0 offset:212
	;; [unrolled: 1-line block ×56, first 2 shown]
	v_mov_b32_e32 v1, 0
	ds_read_b128 v[26:29], v1 offset:816
	ds_read_b128 v[22:25], v1 offset:832
	;; [unrolled: 1-line block ×7, first 2 shown]
	v_cmp_lt_u32_e32 vcc, 10, v0
	s_waitcnt vmcnt(52) lgkmcnt(6)
	v_mul_f64 v[86:87], v[26:27], v[34:35]
	v_fmac_f64_e32 v[86:87], v[28:29], v[30:31]
	v_add_f64 v[86:87], v[86:87], 0
	v_mul_f64 v[28:29], v[28:29], v[34:35]
	s_waitcnt vmcnt(48) lgkmcnt(5)
	v_mul_f64 v[88:89], v[22:23], v[36:37]
	v_fmac_f64_e32 v[88:89], v[24:25], v[32:33]
	s_waitcnt vmcnt(46) lgkmcnt(4)
	v_mul_f64 v[90:91], v[18:19], v[38:39]
	v_add_f64 v[86:87], v[86:87], v[88:89]
	s_waitcnt vmcnt(44) lgkmcnt(2)
	v_mul_f64 v[94:95], v[10:11], v[40:41]
	v_fma_f64 v[26:27], v[26:27], v[30:31], -v[28:29]
	s_waitcnt vmcnt(42)
	v_fmac_f64_e32 v[94:95], v[12:13], v[42:43]
	v_mul_f64 v[24:25], v[24:25], v[36:37]
	s_waitcnt vmcnt(40)
	v_mul_f64 v[92:93], v[14:15], v[48:49]
	v_add_f64 v[26:27], v[26:27], 0
	v_fma_f64 v[22:23], v[22:23], v[32:33], -v[24:25]
	v_add_f64 v[22:23], v[26:27], v[22:23]
	s_waitcnt vmcnt(36) lgkmcnt(1)
	v_mul_f64 v[110:111], v[6:7], v[54:55]
	v_mul_f64 v[12:13], v[12:13], v[40:41]
	s_waitcnt vmcnt(34)
	v_fmac_f64_e32 v[90:91], v[20:21], v[60:61]
	v_add_f64 v[86:87], v[86:87], v[90:91]
	s_waitcnt vmcnt(32)
	v_fmac_f64_e32 v[92:93], v[16:17], v[58:59]
	v_add_f64 v[86:87], v[86:87], v[92:93]
	v_add_f64 v[116:117], v[86:87], v[94:95]
	buffer_load_dword v87, off, s[0:3], 0 offset:444
	buffer_load_dword v86, off, s[0:3], 0 offset:440
	;; [unrolled: 1-line block ×56, first 2 shown]
	ds_read_b128 v[126:129], v1 offset:928
	ds_read_b128 v[130:133], v1 offset:944
	v_mul_f64 v[20:21], v[20:21], v[38:39]
	v_fma_f64 v[18:19], v[18:19], v[60:61], -v[20:21]
	v_mul_f64 v[16:17], v[16:17], v[48:49]
	s_waitcnt vmcnt(62)
	v_fmac_f64_e32 v[110:111], v[8:9], v[56:57]
	v_add_f64 v[18:19], v[22:23], v[18:19]
	v_fma_f64 v[14:15], v[14:15], v[58:59], -v[16:17]
	v_add_f64 v[110:111], v[116:117], v[110:111]
	s_waitcnt lgkmcnt(2)
	v_mul_f64 v[116:117], v[2:3], v[50:51]
	v_add_f64 v[14:15], v[18:19], v[14:15]
	v_fma_f64 v[10:11], v[10:11], v[42:43], -v[12:13]
	v_mul_f64 v[8:9], v[8:9], v[54:55]
	v_fmac_f64_e32 v[116:117], v[4:5], v[52:53]
	ds_read_b128 v[134:137], v1 offset:960
	ds_read_b128 v[138:141], v1 offset:976
	v_add_f64 v[10:11], v[14:15], v[10:11]
	v_fma_f64 v[6:7], v[6:7], v[56:57], -v[8:9]
	v_mul_f64 v[4:5], v[4:5], v[50:51]
	v_add_f64 v[6:7], v[10:11], v[6:7]
	v_fma_f64 v[2:3], v[2:3], v[52:53], -v[4:5]
	s_waitcnt lgkmcnt(3)
	v_mul_f64 v[4:5], v[128:129], v[66:67]
	v_add_f64 v[110:111], v[110:111], v[116:117]
	v_mul_f64 v[116:117], v[126:127], v[66:67]
	v_add_f64 v[2:3], v[6:7], v[2:3]
	v_fma_f64 v[4:5], v[126:127], v[68:69], -v[4:5]
	v_fmac_f64_e32 v[116:117], v[128:129], v[68:69]
	v_add_f64 v[2:3], v[2:3], v[4:5]
	s_waitcnt lgkmcnt(2)
	v_mul_f64 v[4:5], v[132:133], v[62:63]
	v_add_f64 v[110:111], v[110:111], v[116:117]
	v_mul_f64 v[116:117], v[130:131], v[62:63]
	ds_read_b128 v[142:145], v1 offset:992
	ds_read_b128 v[146:149], v1 offset:1008
	v_fma_f64 v[4:5], v[130:131], v[64:65], -v[4:5]
	v_fmac_f64_e32 v[116:117], v[132:133], v[64:65]
	v_add_f64 v[2:3], v[2:3], v[4:5]
	s_waitcnt lgkmcnt(3)
	v_mul_f64 v[4:5], v[136:137], v[74:75]
	v_add_f64 v[110:111], v[110:111], v[116:117]
	v_mul_f64 v[116:117], v[134:135], v[74:75]
	v_fma_f64 v[4:5], v[134:135], v[76:77], -v[4:5]
	v_fmac_f64_e32 v[116:117], v[136:137], v[76:77]
	v_add_f64 v[2:3], v[2:3], v[4:5]
	s_waitcnt lgkmcnt(2)
	v_mul_f64 v[4:5], v[140:141], v[70:71]
	v_add_f64 v[110:111], v[110:111], v[116:117]
	v_mul_f64 v[116:117], v[138:139], v[70:71]
	ds_read_b128 v[150:153], v1 offset:1024
	ds_read_b128 v[154:157], v1 offset:1040
	v_fma_f64 v[4:5], v[138:139], v[72:73], -v[4:5]
	v_fmac_f64_e32 v[116:117], v[140:141], v[72:73]
	v_add_f64 v[2:3], v[2:3], v[4:5]
	s_waitcnt vmcnt(58) lgkmcnt(3)
	v_mul_f64 v[4:5], v[144:145], v[82:83]
	v_add_f64 v[110:111], v[110:111], v[116:117]
	v_mul_f64 v[116:117], v[142:143], v[82:83]
	s_waitcnt vmcnt(56)
	v_fma_f64 v[4:5], v[142:143], v[84:85], -v[4:5]
	v_fmac_f64_e32 v[116:117], v[144:145], v[84:85]
	v_add_f64 v[2:3], v[2:3], v[4:5]
	s_waitcnt lgkmcnt(2)
	v_mul_f64 v[4:5], v[148:149], v[78:79]
	v_add_f64 v[110:111], v[110:111], v[116:117]
	v_mul_f64 v[116:117], v[146:147], v[78:79]
	ds_read_b128 v[158:161], v1 offset:1056
	ds_read_b128 v[162:165], v1 offset:1072
	v_fma_f64 v[4:5], v[146:147], v[80:81], -v[4:5]
	v_fmac_f64_e32 v[116:117], v[148:149], v[80:81]
	v_add_f64 v[2:3], v[2:3], v[4:5]
	s_waitcnt vmcnt(50) lgkmcnt(3)
	v_mul_f64 v[4:5], v[152:153], v[90:91]
	v_add_f64 v[110:111], v[110:111], v[116:117]
	v_mul_f64 v[116:117], v[150:151], v[90:91]
	s_waitcnt vmcnt(48)
	;; [unrolled: 17-line block ×7, first 2 shown]
	v_fma_f64 v[4:5], v[200:201], v[226:227], -v[4:5]
	v_fmac_f64_e32 v[116:117], v[202:203], v[226:227]
	v_add_f64 v[2:3], v[2:3], v[4:5]
	s_waitcnt lgkmcnt(2)
	v_mul_f64 v[4:5], v[206:207], v[220:221]
	v_add_f64 v[110:111], v[110:111], v[116:117]
	v_mul_f64 v[116:117], v[204:205], v[220:221]
	v_fma_f64 v[4:5], v[204:205], v[222:223], -v[4:5]
	v_fmac_f64_e32 v[116:117], v[206:207], v[222:223]
	v_add_f64 v[2:3], v[2:3], v[4:5]
	s_waitcnt vmcnt(2) lgkmcnt(1)
	v_mul_f64 v[4:5], v[210:211], v[232:233]
	v_add_f64 v[110:111], v[110:111], v[116:117]
	v_mul_f64 v[116:117], v[208:209], v[232:233]
	s_waitcnt vmcnt(0)
	v_fma_f64 v[4:5], v[208:209], v[234:235], -v[4:5]
	v_fmac_f64_e32 v[116:117], v[210:211], v[234:235]
	v_add_f64 v[2:3], v[2:3], v[4:5]
	s_waitcnt lgkmcnt(0)
	v_mul_f64 v[4:5], v[214:215], v[228:229]
	v_add_f64 v[110:111], v[110:111], v[116:117]
	v_mul_f64 v[116:117], v[212:213], v[228:229]
	v_fma_f64 v[4:5], v[212:213], v[230:231], -v[4:5]
	v_fmac_f64_e32 v[116:117], v[214:215], v[230:231]
	v_add_f64 v[2:3], v[2:3], v[4:5]
	v_add_f64 v[110:111], v[110:111], v[116:117]
	v_add_f64 v[2:3], v[46:47], -v[2:3]
	v_add_f64 v[4:5], v[44:45], -v[110:111]
	buffer_store_dword v3, off, s[0:3], 0 offset:196
	buffer_store_dword v2, off, s[0:3], 0 offset:192
	;; [unrolled: 1-line block ×4, first 2 shown]
	s_and_saveexec_b64 s[4:5], vcc
	s_cbranch_execz .LBB102_227
; %bb.226:
	v_accvgpr_read_b32 v5, a106
	buffer_load_dword v2, v5, s[0:3], 0 offen
	buffer_load_dword v3, v5, s[0:3], 0 offen offset:4
	buffer_load_dword v4, v5, s[0:3], 0 offen offset:8
	s_nop 0
	buffer_load_dword v5, v5, s[0:3], 0 offen offset:12
	v_accvgpr_read_b32 v6, a116
	buffer_store_dword v1, off, s[0:3], 0 offset:176
	buffer_store_dword v1, off, s[0:3], 0 offset:180
	buffer_store_dword v1, off, s[0:3], 0 offset:184
	buffer_store_dword v1, off, s[0:3], 0 offset:188
	s_waitcnt vmcnt(4)
	ds_write_b128 v6, v[2:5]
.LBB102_227:
	s_or_b64 exec, exec, s[4:5]
	s_waitcnt lgkmcnt(0)
	; wave barrier
	s_waitcnt lgkmcnt(0)
	buffer_load_dword v34, off, s[0:3], 0 offset:192
	buffer_load_dword v35, off, s[0:3], 0 offset:196
	;; [unrolled: 1-line block ×32, first 2 shown]
	ds_read_b128 v[30:33], v1 offset:800
	ds_read_b128 v[26:29], v1 offset:816
	;; [unrolled: 1-line block ×8, first 2 shown]
	buffer_load_dword v67, off, s[0:3], 0 offset:332
	buffer_load_dword v66, off, s[0:3], 0 offset:328
	;; [unrolled: 1-line block ×24, first 2 shown]
	v_cmp_lt_u32_e32 vcc, 9, v0
	s_waitcnt vmcnt(52) lgkmcnt(7)
	v_mul_f64 v[90:91], v[30:31], v[38:39]
	v_fmac_f64_e32 v[90:91], v[32:33], v[34:35]
	v_add_f64 v[90:91], v[90:91], 0
	v_mul_f64 v[32:33], v[32:33], v[38:39]
	s_waitcnt vmcnt(48) lgkmcnt(6)
	v_mul_f64 v[92:93], v[26:27], v[40:41]
	v_fmac_f64_e32 v[92:93], v[28:29], v[36:37]
	s_waitcnt vmcnt(46) lgkmcnt(5)
	v_mul_f64 v[94:95], v[22:23], v[42:43]
	v_add_f64 v[90:91], v[90:91], v[92:93]
	s_waitcnt vmcnt(44) lgkmcnt(4)
	v_mul_f64 v[96:97], v[18:19], v[48:49]
	v_fma_f64 v[30:31], v[30:31], v[34:35], -v[32:33]
	s_waitcnt vmcnt(42) lgkmcnt(1)
	v_mul_f64 v[124:125], v[2:3], v[50:51]
	v_mul_f64 v[28:29], v[28:29], v[40:41]
	s_waitcnt vmcnt(18) lgkmcnt(0)
	v_mul_f64 v[138:139], v[14:15], v[70:71]
	v_mul_f64 v[100:101], v[6:7], v[54:55]
	s_waitcnt vmcnt(16)
	v_fmac_f64_e32 v[138:139], v[16:17], v[72:73]
	v_mul_f64 v[98:99], v[10:11], v[56:57]
	v_add_f64 v[30:31], v[30:31], 0
	v_fmac_f64_e32 v[98:99], v[12:13], v[58:59]
	v_fma_f64 v[26:27], v[26:27], v[36:37], -v[28:29]
	v_fmac_f64_e32 v[94:95], v[24:25], v[64:65]
	v_add_f64 v[90:91], v[90:91], v[94:95]
	v_fmac_f64_e32 v[96:97], v[20:21], v[62:63]
	v_add_f64 v[90:91], v[90:91], v[96:97]
	;; [unrolled: 2-line block ×3, first 2 shown]
	v_add_f64 v[126:127], v[90:91], v[100:101]
	buffer_load_dword v91, off, s[0:3], 0 offset:428
	buffer_load_dword v90, off, s[0:3], 0 offset:424
	;; [unrolled: 1-line block ×56, first 2 shown]
	v_fmac_f64_e32 v[124:125], v[4:5], v[52:53]
	v_add_f64 v[136:137], v[126:127], v[124:125]
	ds_read_b128 v[124:127], v1 offset:928
	buffer_load_dword v237, off, s[0:3], 0 offset:636
	buffer_load_dword v236, off, s[0:3], 0 offset:632
	;; [unrolled: 1-line block ×4, first 2 shown]
	v_add_f64 v[140:141], v[136:137], v[138:139]
	ds_read_b128 v[136:139], v1 offset:944
	v_mul_f64 v[24:25], v[24:25], v[42:43]
	s_waitcnt lgkmcnt(1)
	v_mul_f64 v[142:143], v[124:125], v[66:67]
	v_fmac_f64_e32 v[142:143], v[126:127], v[68:69]
	v_add_f64 v[144:145], v[140:141], v[142:143]
	ds_read_b128 v[140:143], v1 offset:960
	s_waitcnt vmcnt(62) lgkmcnt(1)
	v_mul_f64 v[146:147], v[136:137], v[78:79]
	v_fmac_f64_e32 v[146:147], v[138:139], v[80:81]
	v_add_f64 v[148:149], v[144:145], v[146:147]
	ds_read_b128 v[144:147], v1 offset:976
	s_waitcnt lgkmcnt(1)
	v_mul_f64 v[150:151], v[140:141], v[74:75]
	v_fmac_f64_e32 v[150:151], v[142:143], v[76:77]
	v_add_f64 v[152:153], v[148:149], v[150:151]
	ds_read_b128 v[148:151], v1 offset:992
	s_waitcnt lgkmcnt(1)
	v_mul_f64 v[154:155], v[144:145], v[86:87]
	s_waitcnt vmcnt(60)
	v_fmac_f64_e32 v[154:155], v[146:147], v[88:89]
	v_add_f64 v[156:157], v[152:153], v[154:155]
	ds_read_b128 v[152:155], v1 offset:1008
	s_waitcnt lgkmcnt(1)
	v_mul_f64 v[158:159], v[148:149], v[82:83]
	v_fmac_f64_e32 v[158:159], v[150:151], v[84:85]
	v_add_f64 v[160:161], v[156:157], v[158:159]
	ds_read_b128 v[156:159], v1 offset:1024
	v_add_f64 v[26:27], v[30:31], v[26:27]
	v_fma_f64 v[22:23], v[22:23], v[64:65], -v[24:25]
	s_waitcnt vmcnt(54) lgkmcnt(1)
	v_mul_f64 v[162:163], v[152:153], v[94:95]
	v_mul_f64 v[20:21], v[20:21], v[48:49]
	s_waitcnt vmcnt(52)
	v_fmac_f64_e32 v[162:163], v[154:155], v[96:97]
	v_add_f64 v[164:165], v[160:161], v[162:163]
	ds_read_b128 v[160:163], v1 offset:1040
	s_waitcnt lgkmcnt(1)
	v_mul_f64 v[166:167], v[156:157], v[90:91]
	v_fmac_f64_e32 v[166:167], v[158:159], v[92:93]
	v_add_f64 v[22:23], v[26:27], v[22:23]
	v_fma_f64 v[18:19], v[18:19], v[62:63], -v[20:21]
	v_mul_f64 v[12:13], v[12:13], v[56:57]
	v_add_f64 v[168:169], v[164:165], v[166:167]
	ds_read_b128 v[164:167], v1 offset:1056
	v_add_f64 v[18:19], v[22:23], v[18:19]
	v_fma_f64 v[10:11], v[10:11], v[58:59], -v[12:13]
	v_mul_f64 v[8:9], v[8:9], v[54:55]
	v_add_f64 v[10:11], v[18:19], v[10:11]
	v_fma_f64 v[6:7], v[6:7], v[60:61], -v[8:9]
	v_mul_f64 v[4:5], v[4:5], v[50:51]
	;; [unrolled: 3-line block ×3, first 2 shown]
	s_waitcnt vmcnt(46) lgkmcnt(1)
	v_mul_f64 v[170:171], v[160:161], v[102:103]
	v_add_f64 v[2:3], v[6:7], v[2:3]
	v_fma_f64 v[4:5], v[14:15], v[72:73], -v[4:5]
	s_waitcnt vmcnt(44)
	v_fmac_f64_e32 v[170:171], v[162:163], v[104:105]
	v_add_f64 v[2:3], v[2:3], v[4:5]
	v_mul_f64 v[4:5], v[126:127], v[66:67]
	v_add_f64 v[172:173], v[168:169], v[170:171]
	ds_read_b128 v[168:171], v1 offset:1072
	s_waitcnt lgkmcnt(1)
	v_mul_f64 v[174:175], v[164:165], v[98:99]
	v_fma_f64 v[4:5], v[124:125], v[68:69], -v[4:5]
	v_fmac_f64_e32 v[174:175], v[166:167], v[100:101]
	v_add_f64 v[2:3], v[2:3], v[4:5]
	v_mul_f64 v[4:5], v[138:139], v[78:79]
	v_add_f64 v[176:177], v[172:173], v[174:175]
	ds_read_b128 v[172:175], v1 offset:1088
	v_fma_f64 v[4:5], v[136:137], v[80:81], -v[4:5]
	v_add_f64 v[2:3], v[2:3], v[4:5]
	v_mul_f64 v[4:5], v[142:143], v[74:75]
	v_fma_f64 v[4:5], v[140:141], v[76:77], -v[4:5]
	s_waitcnt vmcnt(38) lgkmcnt(1)
	v_mul_f64 v[178:179], v[168:169], v[110:111]
	v_add_f64 v[2:3], v[2:3], v[4:5]
	v_mul_f64 v[4:5], v[146:147], v[86:87]
	s_waitcnt vmcnt(36)
	v_fmac_f64_e32 v[178:179], v[170:171], v[112:113]
	v_fma_f64 v[4:5], v[144:145], v[88:89], -v[4:5]
	v_add_f64 v[180:181], v[176:177], v[178:179]
	ds_read_b128 v[176:179], v1 offset:1104
	s_waitcnt lgkmcnt(1)
	v_mul_f64 v[182:183], v[172:173], v[106:107]
	v_add_f64 v[2:3], v[2:3], v[4:5]
	v_mul_f64 v[4:5], v[150:151], v[82:83]
	v_fmac_f64_e32 v[182:183], v[174:175], v[108:109]
	v_fma_f64 v[4:5], v[148:149], v[84:85], -v[4:5]
	v_add_f64 v[184:185], v[180:181], v[182:183]
	ds_read_b128 v[180:183], v1 offset:1120
	v_add_f64 v[2:3], v[2:3], v[4:5]
	v_mul_f64 v[4:5], v[154:155], v[94:95]
	v_fma_f64 v[4:5], v[152:153], v[96:97], -v[4:5]
	v_add_f64 v[2:3], v[2:3], v[4:5]
	v_mul_f64 v[4:5], v[158:159], v[90:91]
	s_waitcnt vmcnt(30) lgkmcnt(1)
	v_mul_f64 v[186:187], v[176:177], v[120:121]
	v_fma_f64 v[4:5], v[156:157], v[92:93], -v[4:5]
	s_waitcnt vmcnt(28)
	v_fmac_f64_e32 v[186:187], v[178:179], v[122:123]
	v_add_f64 v[2:3], v[2:3], v[4:5]
	v_mul_f64 v[4:5], v[162:163], v[102:103]
	v_add_f64 v[196:197], v[184:185], v[186:187]
	ds_read_b128 v[184:187], v1 offset:1136
	s_waitcnt lgkmcnt(1)
	v_mul_f64 v[198:199], v[180:181], v[114:115]
	v_fma_f64 v[4:5], v[160:161], v[104:105], -v[4:5]
	v_fmac_f64_e32 v[198:199], v[182:183], v[116:117]
	v_add_f64 v[2:3], v[2:3], v[4:5]
	v_mul_f64 v[4:5], v[166:167], v[98:99]
	v_add_f64 v[200:201], v[196:197], v[198:199]
	ds_read_b128 v[196:199], v1 offset:1152
	v_fma_f64 v[4:5], v[164:165], v[100:101], -v[4:5]
	v_add_f64 v[2:3], v[2:3], v[4:5]
	v_mul_f64 v[4:5], v[170:171], v[110:111]
	v_fma_f64 v[4:5], v[168:169], v[112:113], -v[4:5]
	s_waitcnt vmcnt(22) lgkmcnt(1)
	v_mul_f64 v[202:203], v[184:185], v[132:133]
	v_add_f64 v[2:3], v[2:3], v[4:5]
	v_mul_f64 v[4:5], v[174:175], v[106:107]
	s_waitcnt vmcnt(20)
	v_fmac_f64_e32 v[202:203], v[186:187], v[134:135]
	v_fma_f64 v[4:5], v[172:173], v[108:109], -v[4:5]
	v_add_f64 v[204:205], v[200:201], v[202:203]
	ds_read_b128 v[200:203], v1 offset:1168
	s_waitcnt lgkmcnt(1)
	v_mul_f64 v[206:207], v[196:197], v[128:129]
	v_add_f64 v[2:3], v[2:3], v[4:5]
	v_mul_f64 v[4:5], v[178:179], v[120:121]
	v_fmac_f64_e32 v[206:207], v[198:199], v[130:131]
	v_fma_f64 v[4:5], v[176:177], v[122:123], -v[4:5]
	v_add_f64 v[208:209], v[204:205], v[206:207]
	ds_read_b128 v[204:207], v1 offset:1184
	v_add_f64 v[2:3], v[2:3], v[4:5]
	v_mul_f64 v[4:5], v[182:183], v[114:115]
	v_fma_f64 v[4:5], v[180:181], v[116:117], -v[4:5]
	v_add_f64 v[2:3], v[2:3], v[4:5]
	v_mul_f64 v[4:5], v[186:187], v[132:133]
	s_waitcnt vmcnt(14) lgkmcnt(1)
	v_mul_f64 v[210:211], v[200:201], v[224:225]
	v_fma_f64 v[4:5], v[184:185], v[134:135], -v[4:5]
	s_waitcnt vmcnt(12)
	v_fmac_f64_e32 v[210:211], v[202:203], v[226:227]
	v_add_f64 v[2:3], v[2:3], v[4:5]
	v_mul_f64 v[4:5], v[198:199], v[128:129]
	v_add_f64 v[212:213], v[208:209], v[210:211]
	ds_read_b128 v[208:211], v1 offset:1200
	s_waitcnt lgkmcnt(1)
	v_mul_f64 v[214:215], v[204:205], v[220:221]
	v_fma_f64 v[4:5], v[196:197], v[130:131], -v[4:5]
	v_fmac_f64_e32 v[214:215], v[206:207], v[222:223]
	v_add_f64 v[2:3], v[2:3], v[4:5]
	v_mul_f64 v[4:5], v[202:203], v[224:225]
	v_add_f64 v[240:241], v[212:213], v[214:215]
	ds_read_b128 v[212:215], v1 offset:1216
	v_fma_f64 v[4:5], v[200:201], v[226:227], -v[4:5]
	v_add_f64 v[2:3], v[2:3], v[4:5]
	v_mul_f64 v[4:5], v[206:207], v[220:221]
	ds_read_b128 v[216:219], v1 offset:1232
	v_fma_f64 v[4:5], v[204:205], v[222:223], -v[4:5]
	v_add_f64 v[2:3], v[2:3], v[4:5]
	s_waitcnt vmcnt(6) lgkmcnt(2)
	v_mul_f64 v[4:5], v[210:211], v[232:233]
	v_mul_f64 v[242:243], v[208:209], v[232:233]
	s_waitcnt vmcnt(4)
	v_fma_f64 v[4:5], v[208:209], v[234:235], -v[4:5]
	v_fmac_f64_e32 v[242:243], v[210:211], v[234:235]
	v_add_f64 v[2:3], v[2:3], v[4:5]
	s_waitcnt lgkmcnt(1)
	v_mul_f64 v[4:5], v[214:215], v[228:229]
	v_add_f64 v[240:241], v[240:241], v[242:243]
	v_mul_f64 v[242:243], v[212:213], v[228:229]
	v_fma_f64 v[4:5], v[212:213], v[230:231], -v[4:5]
	v_fmac_f64_e32 v[242:243], v[214:215], v[230:231]
	v_add_f64 v[2:3], v[2:3], v[4:5]
	s_waitcnt vmcnt(2) lgkmcnt(0)
	v_mul_f64 v[4:5], v[218:219], v[236:237]
	v_add_f64 v[240:241], v[240:241], v[242:243]
	v_mul_f64 v[242:243], v[216:217], v[236:237]
	s_waitcnt vmcnt(0)
	v_fma_f64 v[4:5], v[216:217], v[238:239], -v[4:5]
	v_fmac_f64_e32 v[242:243], v[218:219], v[238:239]
	v_add_f64 v[2:3], v[2:3], v[4:5]
	v_add_f64 v[240:241], v[240:241], v[242:243]
	v_add_f64 v[2:3], v[46:47], -v[2:3]
	v_add_f64 v[4:5], v[44:45], -v[240:241]
	buffer_store_dword v3, off, s[0:3], 0 offset:180
	buffer_store_dword v2, off, s[0:3], 0 offset:176
	;; [unrolled: 1-line block ×4, first 2 shown]
	s_and_saveexec_b64 s[4:5], vcc
	s_cbranch_execz .LBB102_229
; %bb.228:
	v_accvgpr_read_b32 v1, a107
	buffer_load_dword v2, v1, s[0:3], 0 offen
	buffer_load_dword v3, v1, s[0:3], 0 offen offset:4
	buffer_load_dword v4, v1, s[0:3], 0 offen offset:8
	;; [unrolled: 1-line block ×3, first 2 shown]
	v_mov_b32_e32 v1, 0
	v_accvgpr_read_b32 v6, a116
	buffer_store_dword v1, off, s[0:3], 0 offset:160
	buffer_store_dword v1, off, s[0:3], 0 offset:164
	;; [unrolled: 1-line block ×4, first 2 shown]
	s_waitcnt vmcnt(4)
	ds_write_b128 v6, v[2:5]
.LBB102_229:
	s_or_b64 exec, exec, s[4:5]
	s_waitcnt lgkmcnt(0)
	; wave barrier
	s_waitcnt lgkmcnt(0)
	buffer_load_dword v38, off, s[0:3], 0 offset:176
	buffer_load_dword v39, off, s[0:3], 0 offset:180
	;; [unrolled: 1-line block ×48, first 2 shown]
	v_mov_b32_e32 v1, 0
	ds_read_b128 v[34:37], v1 offset:784
	ds_read_b128 v[30:33], v1 offset:800
	ds_read_b128 v[26:29], v1 offset:816
	ds_read_b128 v[22:25], v1 offset:832
	ds_read_b128 v[18:21], v1 offset:848
	ds_read_b128 v[14:17], v1 offset:864
	ds_read_b128 v[10:13], v1 offset:880
	ds_read_b128 v[6:9], v1 offset:896
	ds_read_b128 v[2:5], v1 offset:912
	v_cmp_lt_u32_e32 vcc, 8, v0
	s_waitcnt vmcnt(44) lgkmcnt(8)
	v_mul_f64 v[86:87], v[34:35], v[42:43]
	v_fmac_f64_e32 v[86:87], v[36:37], v[38:39]
	v_add_f64 v[86:87], v[86:87], 0
	v_mul_f64 v[36:37], v[36:37], v[42:43]
	s_waitcnt vmcnt(40) lgkmcnt(7)
	v_mul_f64 v[88:89], v[30:31], v[44:45]
	v_fmac_f64_e32 v[88:89], v[32:33], v[40:41]
	s_waitcnt vmcnt(38) lgkmcnt(6)
	v_mul_f64 v[90:91], v[26:27], v[46:47]
	v_add_f64 v[86:87], v[86:87], v[88:89]
	s_waitcnt vmcnt(36) lgkmcnt(4)
	v_mul_f64 v[94:95], v[18:19], v[48:49]
	v_fma_f64 v[34:35], v[34:35], v[38:39], -v[36:37]
	s_waitcnt vmcnt(34)
	v_fmac_f64_e32 v[94:95], v[20:21], v[50:51]
	v_mul_f64 v[32:33], v[32:33], v[44:45]
	s_waitcnt vmcnt(32)
	v_mul_f64 v[92:93], v[22:23], v[52:53]
	v_add_f64 v[34:35], v[34:35], 0
	s_waitcnt vmcnt(30) lgkmcnt(2)
	v_mul_f64 v[98:99], v[10:11], v[54:55]
	v_fma_f64 v[30:31], v[30:31], v[40:41], -v[32:33]
	s_waitcnt vmcnt(28)
	v_fmac_f64_e32 v[98:99], v[12:13], v[56:57]
	v_add_f64 v[30:31], v[34:35], v[30:31]
	s_waitcnt vmcnt(26)
	v_mul_f64 v[96:97], v[14:15], v[58:59]
	v_mul_f64 v[20:21], v[20:21], v[48:49]
	v_fma_f64 v[18:19], v[18:19], v[50:51], -v[20:21]
	v_mul_f64 v[12:13], v[12:13], v[54:55]
	s_waitcnt vmcnt(22) lgkmcnt(1)
	v_mul_f64 v[110:111], v[6:7], v[68:69]
	v_fma_f64 v[10:11], v[10:11], v[56:57], -v[12:13]
	s_waitcnt vmcnt(20)
	v_fmac_f64_e32 v[90:91], v[28:29], v[76:77]
	v_add_f64 v[86:87], v[86:87], v[90:91]
	s_waitcnt vmcnt(18)
	v_fmac_f64_e32 v[92:93], v[24:25], v[74:75]
	v_add_f64 v[86:87], v[86:87], v[92:93]
	;; [unrolled: 3-line block ×3, first 2 shown]
	v_add_f64 v[86:87], v[86:87], v[96:97]
	v_add_f64 v[112:113], v[86:87], v[98:99]
	buffer_load_dword v87, off, s[0:3], 0 offset:380
	buffer_load_dword v86, off, s[0:3], 0 offset:376
	;; [unrolled: 1-line block ×72, first 2 shown]
	s_waitcnt vmcnt(62)
	v_fmac_f64_e32 v[110:111], v[8:9], v[70:71]
	v_add_f64 v[144:145], v[112:113], v[110:111]
	ds_read_b128 v[110:113], v1 offset:928
	s_waitcnt lgkmcnt(1)
	v_mul_f64 v[146:147], v[2:3], v[64:65]
	v_fmac_f64_e32 v[146:147], v[4:5], v[66:67]
	v_add_f64 v[148:149], v[144:145], v[146:147]
	ds_read_b128 v[144:147], v1 offset:944
	s_waitcnt lgkmcnt(1)
	v_mul_f64 v[150:151], v[110:111], v[82:83]
	;; [unrolled: 5-line block ×5, first 2 shown]
	v_fmac_f64_e32 v[162:163], v[154:155], v[88:89]
	v_add_f64 v[164:165], v[160:161], v[162:163]
	ds_read_b128 v[160:163], v1 offset:1008
	s_waitcnt vmcnt(58) lgkmcnt(1)
	v_mul_f64 v[166:167], v[156:157], v[98:99]
	s_waitcnt vmcnt(56)
	v_fmac_f64_e32 v[166:167], v[158:159], v[100:101]
	v_add_f64 v[168:169], v[164:165], v[166:167]
	ds_read_b128 v[164:167], v1 offset:1024
	s_waitcnt lgkmcnt(1)
	v_mul_f64 v[170:171], v[160:161], v[94:95]
	v_fmac_f64_e32 v[170:171], v[162:163], v[96:97]
	v_mul_f64 v[28:29], v[28:29], v[46:47]
	v_add_f64 v[172:173], v[168:169], v[170:171]
	ds_read_b128 v[168:171], v1 offset:1040
	s_waitcnt vmcnt(50) lgkmcnt(1)
	v_mul_f64 v[174:175], v[164:165], v[106:107]
	v_fma_f64 v[26:27], v[26:27], v[76:77], -v[28:29]
	v_mul_f64 v[24:25], v[24:25], v[52:53]
	s_waitcnt vmcnt(48)
	v_fmac_f64_e32 v[174:175], v[166:167], v[108:109]
	v_add_f64 v[26:27], v[30:31], v[26:27]
	v_fma_f64 v[22:23], v[22:23], v[74:75], -v[24:25]
	v_add_f64 v[176:177], v[172:173], v[174:175]
	ds_read_b128 v[172:175], v1 offset:1056
	v_add_f64 v[22:23], v[26:27], v[22:23]
	v_mul_f64 v[16:17], v[16:17], v[58:59]
	v_add_f64 v[18:19], v[22:23], v[18:19]
	v_fma_f64 v[14:15], v[14:15], v[72:73], -v[16:17]
	v_add_f64 v[14:15], v[18:19], v[14:15]
	v_mul_f64 v[8:9], v[8:9], v[68:69]
	s_waitcnt lgkmcnt(1)
	v_mul_f64 v[178:179], v[168:169], v[102:103]
	v_add_f64 v[10:11], v[14:15], v[10:11]
	v_fma_f64 v[6:7], v[6:7], v[70:71], -v[8:9]
	v_mul_f64 v[4:5], v[4:5], v[64:65]
	v_fmac_f64_e32 v[178:179], v[170:171], v[104:105]
	v_add_f64 v[6:7], v[10:11], v[6:7]
	v_fma_f64 v[2:3], v[2:3], v[66:67], -v[4:5]
	v_mul_f64 v[4:5], v[112:113], v[82:83]
	v_add_f64 v[180:181], v[176:177], v[178:179]
	ds_read_b128 v[176:179], v1 offset:1072
	s_waitcnt vmcnt(42) lgkmcnt(1)
	v_mul_f64 v[182:183], v[172:173], v[120:121]
	v_add_f64 v[2:3], v[6:7], v[2:3]
	v_fma_f64 v[4:5], v[110:111], v[84:85], -v[4:5]
	s_waitcnt vmcnt(40)
	v_fmac_f64_e32 v[182:183], v[174:175], v[122:123]
	v_add_f64 v[2:3], v[2:3], v[4:5]
	v_mul_f64 v[4:5], v[146:147], v[78:79]
	v_add_f64 v[184:185], v[180:181], v[182:183]
	ds_read_b128 v[180:183], v1 offset:1088
	v_fma_f64 v[4:5], v[144:145], v[80:81], -v[4:5]
	v_add_f64 v[2:3], v[2:3], v[4:5]
	v_mul_f64 v[4:5], v[150:151], v[90:91]
	v_fma_f64 v[4:5], v[148:149], v[92:93], -v[4:5]
	s_waitcnt lgkmcnt(1)
	v_mul_f64 v[186:187], v[176:177], v[114:115]
	v_add_f64 v[2:3], v[2:3], v[4:5]
	v_mul_f64 v[4:5], v[154:155], v[86:87]
	v_fmac_f64_e32 v[186:187], v[178:179], v[116:117]
	v_fma_f64 v[4:5], v[152:153], v[88:89], -v[4:5]
	v_add_f64 v[196:197], v[184:185], v[186:187]
	ds_read_b128 v[184:187], v1 offset:1104
	s_waitcnt vmcnt(34) lgkmcnt(1)
	v_mul_f64 v[198:199], v[180:181], v[128:129]
	v_add_f64 v[2:3], v[2:3], v[4:5]
	v_mul_f64 v[4:5], v[158:159], v[98:99]
	s_waitcnt vmcnt(32)
	v_fmac_f64_e32 v[198:199], v[182:183], v[130:131]
	v_fma_f64 v[4:5], v[156:157], v[100:101], -v[4:5]
	v_add_f64 v[200:201], v[196:197], v[198:199]
	ds_read_b128 v[196:199], v1 offset:1120
	v_add_f64 v[2:3], v[2:3], v[4:5]
	v_mul_f64 v[4:5], v[162:163], v[94:95]
	v_fma_f64 v[4:5], v[160:161], v[96:97], -v[4:5]
	v_add_f64 v[2:3], v[2:3], v[4:5]
	v_mul_f64 v[4:5], v[166:167], v[106:107]
	s_waitcnt lgkmcnt(1)
	v_mul_f64 v[202:203], v[184:185], v[124:125]
	v_fma_f64 v[4:5], v[164:165], v[108:109], -v[4:5]
	v_fmac_f64_e32 v[202:203], v[186:187], v[126:127]
	v_add_f64 v[2:3], v[2:3], v[4:5]
	v_mul_f64 v[4:5], v[170:171], v[102:103]
	v_add_f64 v[204:205], v[200:201], v[202:203]
	ds_read_b128 v[200:203], v1 offset:1136
	s_waitcnt vmcnt(26) lgkmcnt(1)
	v_mul_f64 v[206:207], v[196:197], v[136:137]
	v_fma_f64 v[4:5], v[168:169], v[104:105], -v[4:5]
	s_waitcnt vmcnt(24)
	v_fmac_f64_e32 v[206:207], v[198:199], v[138:139]
	v_add_f64 v[2:3], v[2:3], v[4:5]
	v_mul_f64 v[4:5], v[174:175], v[120:121]
	v_add_f64 v[208:209], v[204:205], v[206:207]
	ds_read_b128 v[204:207], v1 offset:1152
	v_fma_f64 v[4:5], v[172:173], v[122:123], -v[4:5]
	v_add_f64 v[2:3], v[2:3], v[4:5]
	v_mul_f64 v[4:5], v[178:179], v[114:115]
	v_fma_f64 v[4:5], v[176:177], v[116:117], -v[4:5]
	s_waitcnt lgkmcnt(1)
	v_mul_f64 v[210:211], v[200:201], v[132:133]
	v_add_f64 v[2:3], v[2:3], v[4:5]
	v_mul_f64 v[4:5], v[182:183], v[128:129]
	v_fmac_f64_e32 v[210:211], v[202:203], v[134:135]
	v_fma_f64 v[4:5], v[180:181], v[130:131], -v[4:5]
	v_add_f64 v[212:213], v[208:209], v[210:211]
	ds_read_b128 v[208:211], v1 offset:1168
	s_waitcnt vmcnt(18) lgkmcnt(1)
	v_mul_f64 v[214:215], v[204:205], v[228:229]
	v_add_f64 v[2:3], v[2:3], v[4:5]
	v_mul_f64 v[4:5], v[186:187], v[124:125]
	s_waitcnt vmcnt(16)
	v_fmac_f64_e32 v[214:215], v[206:207], v[230:231]
	v_fma_f64 v[4:5], v[184:185], v[126:127], -v[4:5]
	v_add_f64 v[216:217], v[212:213], v[214:215]
	ds_read_b128 v[212:215], v1 offset:1184
	v_add_f64 v[2:3], v[2:3], v[4:5]
	v_mul_f64 v[4:5], v[198:199], v[136:137]
	v_fma_f64 v[4:5], v[196:197], v[138:139], -v[4:5]
	v_add_f64 v[2:3], v[2:3], v[4:5]
	v_mul_f64 v[4:5], v[202:203], v[132:133]
	s_waitcnt lgkmcnt(1)
	v_mul_f64 v[218:219], v[208:209], v[140:141]
	v_fma_f64 v[4:5], v[200:201], v[134:135], -v[4:5]
	v_fmac_f64_e32 v[218:219], v[210:211], v[142:143]
	v_add_f64 v[2:3], v[2:3], v[4:5]
	v_mul_f64 v[4:5], v[206:207], v[228:229]
	v_add_f64 v[220:221], v[216:217], v[218:219]
	ds_read_b128 v[216:219], v1 offset:1200
	s_waitcnt vmcnt(10) lgkmcnt(1)
	v_mul_f64 v[222:223], v[212:213], v[236:237]
	v_fma_f64 v[4:5], v[204:205], v[230:231], -v[4:5]
	s_waitcnt vmcnt(8)
	v_fmac_f64_e32 v[222:223], v[214:215], v[238:239]
	v_add_f64 v[2:3], v[2:3], v[4:5]
	v_mul_f64 v[4:5], v[210:211], v[140:141]
	v_add_f64 v[248:249], v[220:221], v[222:223]
	ds_read_b128 v[220:223], v1 offset:1216
	ds_read_b128 v[224:227], v1 offset:1232
	v_fma_f64 v[4:5], v[208:209], v[142:143], -v[4:5]
	v_add_f64 v[2:3], v[2:3], v[4:5]
	v_mul_f64 v[4:5], v[214:215], v[236:237]
	v_fma_f64 v[4:5], v[212:213], v[238:239], -v[4:5]
	v_add_f64 v[2:3], v[2:3], v[4:5]
	s_waitcnt lgkmcnt(2)
	v_mul_f64 v[4:5], v[218:219], v[232:233]
	v_mul_f64 v[250:251], v[216:217], v[232:233]
	v_fma_f64 v[4:5], v[216:217], v[234:235], -v[4:5]
	v_fmac_f64_e32 v[250:251], v[218:219], v[234:235]
	v_add_f64 v[2:3], v[2:3], v[4:5]
	s_waitcnt vmcnt(2) lgkmcnt(1)
	v_mul_f64 v[4:5], v[222:223], v[244:245]
	v_add_f64 v[248:249], v[248:249], v[250:251]
	v_mul_f64 v[250:251], v[220:221], v[244:245]
	s_waitcnt vmcnt(0)
	v_fma_f64 v[4:5], v[220:221], v[246:247], -v[4:5]
	v_fmac_f64_e32 v[250:251], v[222:223], v[246:247]
	v_add_f64 v[2:3], v[2:3], v[4:5]
	s_waitcnt lgkmcnt(0)
	v_mul_f64 v[4:5], v[226:227], v[240:241]
	v_add_f64 v[248:249], v[248:249], v[250:251]
	v_mul_f64 v[250:251], v[224:225], v[240:241]
	v_fma_f64 v[4:5], v[224:225], v[242:243], -v[4:5]
	v_fmac_f64_e32 v[250:251], v[226:227], v[242:243]
	v_add_f64 v[2:3], v[2:3], v[4:5]
	v_add_f64 v[248:249], v[248:249], v[250:251]
	v_add_f64 v[2:3], v[62:63], -v[2:3]
	v_add_f64 v[4:5], v[60:61], -v[248:249]
	buffer_store_dword v3, off, s[0:3], 0 offset:164
	buffer_store_dword v2, off, s[0:3], 0 offset:160
	;; [unrolled: 1-line block ×4, first 2 shown]
	s_and_saveexec_b64 s[4:5], vcc
	s_cbranch_execz .LBB102_231
; %bb.230:
	v_accvgpr_read_b32 v5, a108
	buffer_load_dword v2, v5, s[0:3], 0 offen
	buffer_load_dword v3, v5, s[0:3], 0 offen offset:4
	buffer_load_dword v4, v5, s[0:3], 0 offen offset:8
	s_nop 0
	buffer_load_dword v5, v5, s[0:3], 0 offen offset:12
	v_accvgpr_read_b32 v6, a116
	buffer_store_dword v1, off, s[0:3], 0 offset:144
	buffer_store_dword v1, off, s[0:3], 0 offset:148
	;; [unrolled: 1-line block ×4, first 2 shown]
	s_waitcnt vmcnt(4)
	ds_write_b128 v6, v[2:5]
.LBB102_231:
	s_or_b64 exec, exec, s[4:5]
	s_waitcnt lgkmcnt(0)
	; wave barrier
	s_waitcnt lgkmcnt(0)
	buffer_load_dword v48, off, s[0:3], 0 offset:160
	buffer_load_dword v49, off, s[0:3], 0 offset:164
	;; [unrolled: 1-line block ×40, first 2 shown]
	ds_read_b128 v[38:41], v1 offset:768
	ds_read_b128 v[34:37], v1 offset:784
	;; [unrolled: 1-line block ×10, first 2 shown]
	buffer_load_dword v83, off, s[0:3], 0 offset:332
	buffer_load_dword v82, off, s[0:3], 0 offset:328
	;; [unrolled: 1-line block ×8, first 2 shown]
	v_cmp_lt_u32_e32 vcc, 7, v0
	s_waitcnt vmcnt(44) lgkmcnt(9)
	v_mul_f64 v[90:91], v[38:39], v[50:51]
	v_fmac_f64_e32 v[90:91], v[40:41], v[48:49]
	v_add_f64 v[90:91], v[90:91], 0
	v_mul_f64 v[40:41], v[40:41], v[50:51]
	s_waitcnt vmcnt(40) lgkmcnt(8)
	v_mul_f64 v[92:93], v[34:35], v[44:45]
	v_fmac_f64_e32 v[92:93], v[36:37], v[42:43]
	s_waitcnt vmcnt(38) lgkmcnt(7)
	v_mul_f64 v[94:95], v[30:31], v[46:47]
	v_add_f64 v[90:91], v[90:91], v[92:93]
	s_waitcnt vmcnt(36) lgkmcnt(5)
	v_mul_f64 v[98:99], v[22:23], v[52:53]
	v_mul_f64 v[36:37], v[36:37], v[44:45]
	s_waitcnt vmcnt(34)
	v_fmac_f64_e32 v[98:99], v[24:25], v[54:55]
	v_fma_f64 v[34:35], v[34:35], v[42:43], -v[36:37]
	s_waitcnt vmcnt(32)
	v_mul_f64 v[96:97], v[26:27], v[56:57]
	v_mul_f64 v[24:25], v[24:25], v[52:53]
	s_waitcnt vmcnt(30) lgkmcnt(4)
	v_mul_f64 v[100:101], v[18:19], v[62:63]
	v_fma_f64 v[22:23], v[22:23], v[54:55], -v[24:25]
	s_waitcnt vmcnt(28) lgkmcnt(1)
	v_mul_f64 v[124:125], v[2:3], v[64:65]
	s_waitcnt vmcnt(25)
	v_mul_f64 v[104:105], v[6:7], v[68:69]
	s_waitcnt vmcnt(23)
	;; [unrolled: 2-line block ×3, first 2 shown]
	v_fmac_f64_e32 v[102:103], v[12:13], v[72:73]
	v_mul_f64 v[12:13], v[12:13], v[70:71]
	s_waitcnt vmcnt(19)
	v_fmac_f64_e32 v[94:95], v[32:33], v[80:81]
	v_add_f64 v[90:91], v[90:91], v[94:95]
	s_waitcnt vmcnt(17)
	v_fmac_f64_e32 v[96:97], v[28:29], v[78:79]
	v_add_f64 v[90:91], v[90:91], v[96:97]
	;; [unrolled: 3-line block ×3, first 2 shown]
	v_add_f64 v[90:91], v[90:91], v[100:101]
	s_waitcnt vmcnt(13)
	v_fmac_f64_e32 v[104:105], v[8:9], v[74:75]
	v_add_f64 v[90:91], v[90:91], v[102:103]
	v_add_f64 v[126:127], v[90:91], v[104:105]
	buffer_load_dword v91, off, s[0:3], 0 offset:364
	buffer_load_dword v90, off, s[0:3], 0 offset:360
	;; [unrolled: 1-line block ×72, first 2 shown]
	s_waitcnt vmcnt(62)
	v_fmac_f64_e32 v[124:125], v[4:5], v[66:67]
	v_add_f64 v[152:153], v[126:127], v[124:125]
	ds_read_b128 v[124:127], v1 offset:928
	s_waitcnt lgkmcnt(1)
	v_mul_f64 v[154:155], v[14:15], v[86:87]
	v_fmac_f64_e32 v[154:155], v[16:17], v[88:89]
	buffer_load_dword v245, off, s[0:3], 0 offset:636
	buffer_load_dword v244, off, s[0:3], 0 offset:632
	;; [unrolled: 1-line block ×4, first 2 shown]
	v_add_f64 v[156:157], v[152:153], v[154:155]
	s_waitcnt lgkmcnt(0)
	v_mul_f64 v[158:159], v[124:125], v[82:83]
	ds_read_b128 v[152:155], v1 offset:944
	v_fmac_f64_e32 v[158:159], v[126:127], v[84:85]
	v_add_f64 v[160:161], v[156:157], v[158:159]
	ds_read_b128 v[156:159], v1 offset:960
	v_mul_f64 v[32:33], v[32:33], v[46:47]
	s_waitcnt lgkmcnt(1)
	v_mul_f64 v[162:163], v[152:153], v[94:95]
	v_fma_f64 v[30:31], v[30:31], v[80:81], -v[32:33]
	v_fmac_f64_e32 v[162:163], v[154:155], v[96:97]
	s_waitcnt lgkmcnt(0)
	v_mul_f64 v[166:167], v[156:157], v[90:91]
	v_add_f64 v[164:165], v[160:161], v[162:163]
	ds_read_b128 v[160:163], v1 offset:976
	v_fmac_f64_e32 v[166:167], v[158:159], v[92:93]
	v_add_f64 v[168:169], v[164:165], v[166:167]
	ds_read_b128 v[164:167], v1 offset:992
	v_mul_f64 v[28:29], v[28:29], v[56:57]
	s_waitcnt vmcnt(62) lgkmcnt(1)
	v_mul_f64 v[170:171], v[160:161], v[102:103]
	s_waitcnt vmcnt(60)
	v_fmac_f64_e32 v[170:171], v[162:163], v[104:105]
	v_add_f64 v[172:173], v[168:169], v[170:171]
	s_waitcnt lgkmcnt(0)
	v_mul_f64 v[174:175], v[164:165], v[98:99]
	ds_read_b128 v[168:171], v1 offset:1008
	v_fmac_f64_e32 v[174:175], v[166:167], v[100:101]
	v_add_f64 v[176:177], v[172:173], v[174:175]
	ds_read_b128 v[172:175], v1 offset:1024
	v_fma_f64 v[26:27], v[26:27], v[78:79], -v[28:29]
	s_waitcnt vmcnt(54) lgkmcnt(1)
	v_mul_f64 v[178:179], v[168:169], v[110:111]
	s_waitcnt vmcnt(52)
	v_fmac_f64_e32 v[178:179], v[170:171], v[112:113]
	v_add_f64 v[180:181], v[176:177], v[178:179]
	s_waitcnt lgkmcnt(0)
	v_mul_f64 v[182:183], v[172:173], v[106:107]
	ds_read_b128 v[176:179], v1 offset:1040
	v_fmac_f64_e32 v[182:183], v[174:175], v[108:109]
	v_add_f64 v[184:185], v[180:181], v[182:183]
	ds_read_b128 v[180:183], v1 offset:1056
	v_mul_f64 v[20:21], v[20:21], v[62:63]
	s_waitcnt vmcnt(46) lgkmcnt(1)
	v_mul_f64 v[186:187], v[176:177], v[120:121]
	s_waitcnt vmcnt(44)
	v_fmac_f64_e32 v[186:187], v[178:179], v[122:123]
	v_add_f64 v[196:197], v[184:185], v[186:187]
	s_waitcnt lgkmcnt(0)
	v_mul_f64 v[198:199], v[180:181], v[114:115]
	ds_read_b128 v[184:187], v1 offset:1072
	v_fmac_f64_e32 v[198:199], v[182:183], v[116:117]
	v_add_f64 v[200:201], v[196:197], v[198:199]
	ds_read_b128 v[196:199], v1 offset:1088
	v_fma_f64 v[18:19], v[18:19], v[76:77], -v[20:21]
	s_waitcnt vmcnt(38) lgkmcnt(1)
	v_mul_f64 v[202:203], v[184:185], v[132:133]
	s_waitcnt vmcnt(36)
	v_fmac_f64_e32 v[202:203], v[186:187], v[134:135]
	v_add_f64 v[204:205], v[200:201], v[202:203]
	s_waitcnt lgkmcnt(0)
	v_mul_f64 v[206:207], v[196:197], v[128:129]
	ds_read_b128 v[200:203], v1 offset:1104
	v_fmac_f64_e32 v[206:207], v[198:199], v[130:131]
	v_add_f64 v[208:209], v[204:205], v[206:207]
	ds_read_b128 v[204:207], v1 offset:1120
	v_fma_f64 v[10:11], v[10:11], v[72:73], -v[12:13]
	s_waitcnt vmcnt(30) lgkmcnt(1)
	v_mul_f64 v[210:211], v[200:201], v[140:141]
	s_waitcnt vmcnt(28)
	v_fmac_f64_e32 v[210:211], v[202:203], v[142:143]
	v_add_f64 v[212:213], v[208:209], v[210:211]
	s_waitcnt lgkmcnt(0)
	v_mul_f64 v[214:215], v[204:205], v[136:137]
	ds_read_b128 v[208:211], v1 offset:1136
	v_fmac_f64_e32 v[214:215], v[206:207], v[138:139]
	v_add_f64 v[216:217], v[212:213], v[214:215]
	ds_read_b128 v[212:215], v1 offset:1152
	v_mul_f64 v[8:9], v[8:9], v[68:69]
	s_waitcnt vmcnt(22) lgkmcnt(1)
	v_mul_f64 v[218:219], v[208:209], v[148:149]
	s_waitcnt vmcnt(20)
	v_fmac_f64_e32 v[218:219], v[210:211], v[150:151]
	v_add_f64 v[220:221], v[216:217], v[218:219]
	s_waitcnt lgkmcnt(0)
	v_mul_f64 v[222:223], v[212:213], v[144:145]
	ds_read_b128 v[216:219], v1 offset:1168
	v_fmac_f64_e32 v[222:223], v[214:215], v[146:147]
	v_add_f64 v[224:225], v[220:221], v[222:223]
	ds_read_b128 v[220:223], v1 offset:1184
	v_fma_f64 v[6:7], v[6:7], v[74:75], -v[8:9]
	s_waitcnt vmcnt(14) lgkmcnt(1)
	v_mul_f64 v[226:227], v[216:217], v[232:233]
	s_waitcnt vmcnt(12)
	v_fmac_f64_e32 v[226:227], v[218:219], v[234:235]
	v_add_f64 v[248:249], v[224:225], v[226:227]
	s_waitcnt lgkmcnt(0)
	v_mul_f64 v[250:251], v[220:221], v[228:229]
	v_fmac_f64_e32 v[250:251], v[222:223], v[230:231]
	v_add_f64 v[248:249], v[248:249], v[250:251]
	v_fma_f64 v[250:251], v[38:39], v[48:49], -v[40:41]
	v_add_f64 v[250:251], v[250:251], 0
	v_add_f64 v[34:35], v[250:251], v[34:35]
	;; [unrolled: 1-line block ×7, first 2 shown]
	v_mul_f64 v[4:5], v[4:5], v[64:65]
	v_add_f64 v[6:7], v[10:11], v[6:7]
	v_fma_f64 v[2:3], v[2:3], v[66:67], -v[4:5]
	v_mul_f64 v[4:5], v[16:17], v[86:87]
	v_add_f64 v[2:3], v[6:7], v[2:3]
	v_fma_f64 v[4:5], v[14:15], v[88:89], -v[4:5]
	v_add_f64 v[2:3], v[2:3], v[4:5]
	v_mul_f64 v[4:5], v[126:127], v[82:83]
	v_fma_f64 v[4:5], v[124:125], v[84:85], -v[4:5]
	v_add_f64 v[2:3], v[2:3], v[4:5]
	v_mul_f64 v[4:5], v[154:155], v[94:95]
	;; [unrolled: 3-line block ×15, first 2 shown]
	ds_read_b128 v[224:227], v1 offset:1200
	ds_read_b128 v[38:41], v1 offset:1216
	v_fma_f64 v[4:5], v[212:213], v[146:147], -v[4:5]
	v_add_f64 v[2:3], v[2:3], v[4:5]
	v_mul_f64 v[4:5], v[218:219], v[232:233]
	v_fma_f64 v[4:5], v[216:217], v[234:235], -v[4:5]
	v_add_f64 v[2:3], v[2:3], v[4:5]
	v_mul_f64 v[4:5], v[222:223], v[228:229]
	ds_read_b128 v[48:51], v1 offset:1232
	v_fma_f64 v[4:5], v[220:221], v[230:231], -v[4:5]
	v_add_f64 v[2:3], v[2:3], v[4:5]
	s_waitcnt vmcnt(6) lgkmcnt(2)
	v_mul_f64 v[4:5], v[226:227], v[240:241]
	v_mul_f64 v[252:253], v[224:225], v[240:241]
	s_waitcnt vmcnt(4)
	v_fma_f64 v[4:5], v[224:225], v[242:243], -v[4:5]
	v_fmac_f64_e32 v[252:253], v[226:227], v[242:243]
	v_add_f64 v[2:3], v[2:3], v[4:5]
	s_waitcnt lgkmcnt(1)
	v_mul_f64 v[4:5], v[40:41], v[236:237]
	v_add_f64 v[248:249], v[248:249], v[252:253]
	v_mul_f64 v[252:253], v[38:39], v[236:237]
	v_fma_f64 v[4:5], v[38:39], v[238:239], -v[4:5]
	v_fmac_f64_e32 v[252:253], v[40:41], v[238:239]
	v_add_f64 v[2:3], v[2:3], v[4:5]
	s_waitcnt vmcnt(2) lgkmcnt(0)
	v_mul_f64 v[4:5], v[50:51], v[244:245]
	v_add_f64 v[248:249], v[248:249], v[252:253]
	v_mul_f64 v[252:253], v[48:49], v[244:245]
	s_waitcnt vmcnt(0)
	v_fma_f64 v[4:5], v[48:49], v[246:247], -v[4:5]
	v_fmac_f64_e32 v[252:253], v[50:51], v[246:247]
	v_add_f64 v[2:3], v[2:3], v[4:5]
	v_add_f64 v[248:249], v[248:249], v[252:253]
	v_add_f64 v[2:3], v[60:61], -v[2:3]
	v_add_f64 v[4:5], v[58:59], -v[248:249]
	buffer_store_dword v3, off, s[0:3], 0 offset:148
	buffer_store_dword v2, off, s[0:3], 0 offset:144
	;; [unrolled: 1-line block ×4, first 2 shown]
	s_and_saveexec_b64 s[4:5], vcc
	s_cbranch_execz .LBB102_233
; %bb.232:
	v_accvgpr_read_b32 v1, a109
	buffer_load_dword v2, v1, s[0:3], 0 offen
	buffer_load_dword v3, v1, s[0:3], 0 offen offset:4
	buffer_load_dword v4, v1, s[0:3], 0 offen offset:8
	;; [unrolled: 1-line block ×3, first 2 shown]
	v_mov_b32_e32 v1, 0
	v_accvgpr_read_b32 v6, a116
	buffer_store_dword v1, off, s[0:3], 0 offset:128
	buffer_store_dword v1, off, s[0:3], 0 offset:132
	buffer_store_dword v1, off, s[0:3], 0 offset:136
	buffer_store_dword v1, off, s[0:3], 0 offset:140
	s_waitcnt vmcnt(4)
	ds_write_b128 v6, v[2:5]
.LBB102_233:
	s_or_b64 exec, exec, s[4:5]
	s_waitcnt lgkmcnt(0)
	; wave barrier
	s_waitcnt lgkmcnt(0)
	buffer_load_dword v106, off, s[0:3], 0 offset:144
	buffer_load_dword v107, off, s[0:3], 0 offset:148
	;; [unrolled: 1-line block ×49, first 2 shown]
	v_mov_b32_e32 v1, 0
	ds_read_b128 v[110:113], v1 offset:752
	ds_read_b128 v[250:253], v1 offset:768
	;; [unrolled: 1-line block ×10, first 2 shown]
	buffer_load_dword v160, off, s[0:3], 0 offset:336
	buffer_load_dword v175, off, s[0:3], 0 offset:332
	;; [unrolled: 1-line block ×69, first 2 shown]
	v_cmp_lt_u32_e32 vcc, 6, v0
	s_waitcnt vmcnt(62) lgkmcnt(9)
	v_mul_f64 v[34:35], v[110:111], v[108:109]
	v_fmac_f64_e32 v[34:35], v[112:113], v[106:107]
	v_add_f64 v[34:35], v[34:35], 0
	v_mul_f64 v[108:109], v[112:113], v[108:109]
	s_waitcnt lgkmcnt(8)
	v_mul_f64 v[36:37], v[250:251], v[116:117]
	v_fmac_f64_e32 v[36:37], v[252:253], v[114:115]
	s_waitcnt lgkmcnt(7)
	v_mul_f64 v[38:39], v[30:31], v[120:121]
	v_add_f64 v[34:35], v[34:35], v[36:37]
	s_waitcnt lgkmcnt(5)
	v_mul_f64 v[42:43], v[22:23], v[122:123]
	v_mul_f64 v[116:117], v[252:253], v[116:117]
	v_fmac_f64_e32 v[42:43], v[24:25], v[124:125]
	v_fma_f64 v[250:251], v[250:251], v[114:115], -v[116:117]
	v_mul_f64 v[40:41], v[26:27], v[126:127]
	v_mul_f64 v[24:25], v[24:25], v[122:123]
	s_waitcnt lgkmcnt(3)
	v_mul_f64 v[46:47], v[14:15], v[128:129]
	v_fma_f64 v[22:23], v[22:23], v[124:125], -v[24:25]
	v_fmac_f64_e32 v[46:47], v[16:17], v[130:131]
	v_mul_f64 v[16:17], v[16:17], v[128:129]
	v_mul_f64 v[44:45], v[18:19], v[132:133]
	v_fma_f64 v[14:15], v[14:15], v[130:131], -v[16:17]
	s_waitcnt lgkmcnt(1)
	v_mul_f64 v[50:51], v[6:7], v[134:135]
	v_fmac_f64_e32 v[50:51], v[8:9], v[136:137]
	v_mul_f64 v[8:9], v[8:9], v[134:135]
	v_mul_f64 v[48:49], v[10:11], v[142:143]
	v_fma_f64 v[6:7], v[6:7], v[136:137], -v[8:9]
	s_waitcnt lgkmcnt(0)
	v_mul_f64 v[52:53], v[2:3], v[138:139]
	v_fmac_f64_e32 v[38:39], v[32:33], v[154:155]
	v_add_f64 v[34:35], v[34:35], v[38:39]
	v_fmac_f64_e32 v[40:41], v[28:29], v[152:153]
	v_add_f64 v[34:35], v[34:35], v[40:41]
	;; [unrolled: 2-line block ×3, first 2 shown]
	v_add_f64 v[34:35], v[34:35], v[44:45]
	v_fmac_f64_e32 v[48:49], v[12:13], v[148:149]
	v_add_f64 v[34:35], v[34:35], v[46:47]
	v_add_f64 v[34:35], v[34:35], v[48:49]
	v_fmac_f64_e32 v[52:53], v[4:5], v[146:147]
	v_add_f64 v[34:35], v[34:35], v[50:51]
	v_add_f64 v[42:43], v[34:35], v[52:53]
	ds_read_b128 v[38:41], v1 offset:912
	ds_read_b128 v[34:37], v1 offset:928
	buffer_load_dword v231, off, s[0:3], 0 offset:636
	buffer_load_dword v230, off, s[0:3], 0 offset:632
	;; [unrolled: 1-line block ×8, first 2 shown]
	ds_read_b128 v[114:117], v1 offset:1232
	v_mul_f64 v[32:33], v[32:33], v[120:121]
	s_waitcnt lgkmcnt(2)
	v_mul_f64 v[44:45], v[38:39], v[144:145]
	v_fmac_f64_e32 v[44:45], v[40:41], v[156:157]
	v_add_f64 v[46:47], v[42:43], v[44:45]
	ds_read_b128 v[42:45], v1 offset:944
	s_waitcnt lgkmcnt(2)
	v_mul_f64 v[48:49], v[34:35], v[174:175]
	v_fmac_f64_e32 v[48:49], v[36:37], v[178:179]
	v_add_f64 v[50:51], v[46:47], v[48:49]
	ds_read_b128 v[46:49], v1 offset:960
	;; [unrolled: 5-line block ×3, first 2 shown]
	s_waitcnt vmcnt(62) lgkmcnt(1)
	v_mul_f64 v[56:57], v[46:47], v[182:183]
	v_fmac_f64_e32 v[56:57], v[48:49], v[186:187]
	v_add_f64 v[58:59], v[54:55], v[56:57]
	ds_read_b128 v[54:57], v1 offset:992
	s_waitcnt lgkmcnt(1)
	v_mul_f64 v[60:61], v[50:51], v[162:163]
	v_fmac_f64_e32 v[60:61], v[52:53], v[164:165]
	v_add_f64 v[62:63], v[58:59], v[60:61]
	ds_read_b128 v[58:61], v1 offset:1008
	s_waitcnt vmcnt(58) lgkmcnt(1)
	v_mul_f64 v[64:65], v[54:55], v[198:199]
	s_waitcnt vmcnt(56)
	v_fmac_f64_e32 v[64:65], v[56:57], v[202:203]
	v_add_f64 v[66:67], v[62:63], v[64:65]
	ds_read_b128 v[62:65], v1 offset:1024
	s_waitcnt lgkmcnt(1)
	v_mul_f64 v[68:69], v[58:59], v[166:167]
	v_fmac_f64_e32 v[68:69], v[60:61], v[168:169]
	v_add_f64 v[70:71], v[66:67], v[68:69]
	ds_read_b128 v[66:69], v1 offset:1040
	s_waitcnt vmcnt(50) lgkmcnt(1)
	v_mul_f64 v[72:73], v[62:63], v[206:207]
	s_waitcnt vmcnt(48)
	;; [unrolled: 11-line block ×5, first 2 shown]
	v_fmac_f64_e32 v[96:97], v[88:89], v[228:229]
	v_add_f64 v[98:99], v[94:95], v[96:97]
	ds_read_b128 v[94:97], v1 offset:1152
	s_waitcnt lgkmcnt(1)
	v_mul_f64 v[100:101], v[90:91], v[200:201]
	v_fmac_f64_e32 v[100:101], v[92:93], v[204:205]
	v_add_f64 v[246:247], v[98:99], v[100:101]
	ds_read_b128 v[98:101], v1 offset:1168
	ds_read_b128 v[102:105], v1 offset:1184
	s_waitcnt vmcnt(18) lgkmcnt(2)
	v_mul_f64 v[248:249], v[94:95], v[232:233]
	s_waitcnt vmcnt(16)
	v_fmac_f64_e32 v[248:249], v[96:97], v[236:237]
	v_add_f64 v[246:247], v[246:247], v[248:249]
	s_waitcnt lgkmcnt(1)
	v_mul_f64 v[248:249], v[98:99], v[208:209]
	v_fmac_f64_e32 v[248:249], v[100:101], v[212:213]
	v_add_f64 v[246:247], v[246:247], v[248:249]
	v_fma_f64 v[248:249], v[110:111], v[106:107], -v[108:109]
	ds_read_b128 v[110:113], v1 offset:1200
	ds_read_b128 v[106:109], v1 offset:1216
	s_waitcnt vmcnt(10) lgkmcnt(2)
	v_mul_f64 v[254:255], v[102:103], v[238:239]
	s_waitcnt vmcnt(8)
	v_fmac_f64_e32 v[254:255], v[104:105], v[240:241]
	v_add_f64 v[246:247], v[246:247], v[254:255]
	s_waitcnt lgkmcnt(1)
	v_mul_f64 v[252:253], v[110:111], v[216:217]
	v_fmac_f64_e32 v[252:253], v[112:113], v[220:221]
	v_add_f64 v[246:247], v[246:247], v[252:253]
	s_waitcnt vmcnt(2) lgkmcnt(0)
	v_mul_f64 v[252:253], v[106:107], v[242:243]
	s_waitcnt vmcnt(0)
	v_fmac_f64_e32 v[252:253], v[108:109], v[244:245]
	v_add_f64 v[246:247], v[246:247], v[252:253]
	v_mul_f64 v[252:253], v[114:115], v[230:231]
	v_fmac_f64_e32 v[252:253], v[116:117], v[234:235]
	v_add_f64 v[246:247], v[246:247], v[252:253]
	buffer_load_dword v252, off, s[0:3], 0 offset:136
	buffer_load_dword v253, off, s[0:3], 0 offset:140
	v_add_f64 v[248:249], v[248:249], 0
	v_add_f64 v[248:249], v[248:249], v[250:251]
	v_fma_f64 v[30:31], v[30:31], v[154:155], -v[32:33]
	v_mul_f64 v[28:29], v[28:29], v[126:127]
	v_add_f64 v[30:31], v[248:249], v[30:31]
	v_fma_f64 v[26:27], v[26:27], v[152:153], -v[28:29]
	v_add_f64 v[26:27], v[30:31], v[26:27]
	v_mul_f64 v[20:21], v[20:21], v[132:133]
	v_add_f64 v[22:23], v[26:27], v[22:23]
	v_fma_f64 v[18:19], v[18:19], v[150:151], -v[20:21]
	v_add_f64 v[18:19], v[22:23], v[18:19]
	;; [unrolled: 4-line block ×3, first 2 shown]
	v_mul_f64 v[4:5], v[4:5], v[138:139]
	v_add_f64 v[6:7], v[10:11], v[6:7]
	v_fma_f64 v[2:3], v[2:3], v[146:147], -v[4:5]
	v_mul_f64 v[4:5], v[40:41], v[144:145]
	v_add_f64 v[2:3], v[6:7], v[2:3]
	v_fma_f64 v[4:5], v[38:39], v[156:157], -v[4:5]
	v_add_f64 v[2:3], v[2:3], v[4:5]
	v_mul_f64 v[4:5], v[36:37], v[174:175]
	v_fma_f64 v[4:5], v[34:35], v[178:179], -v[4:5]
	v_add_f64 v[2:3], v[2:3], v[4:5]
	v_mul_f64 v[4:5], v[44:45], v[158:159]
	;; [unrolled: 3-line block ×20, first 2 shown]
	v_fma_f64 v[4:5], v[114:115], v[234:235], -v[4:5]
	v_add_f64 v[2:3], v[2:3], v[4:5]
	v_add_f64 v[2:3], v[140:141], -v[2:3]
	s_waitcnt vmcnt(0)
	v_add_f64 v[4:5], v[252:253], -v[246:247]
	buffer_store_dword v3, off, s[0:3], 0 offset:132
	buffer_store_dword v2, off, s[0:3], 0 offset:128
	;; [unrolled: 1-line block ×4, first 2 shown]
	s_and_saveexec_b64 s[4:5], vcc
	s_cbranch_execz .LBB102_235
; %bb.234:
	v_accvgpr_read_b32 v5, a110
	buffer_load_dword v2, v5, s[0:3], 0 offen
	buffer_load_dword v3, v5, s[0:3], 0 offen offset:4
	buffer_load_dword v4, v5, s[0:3], 0 offen offset:8
	s_nop 0
	buffer_load_dword v5, v5, s[0:3], 0 offen offset:12
	v_accvgpr_read_b32 v6, a116
	buffer_store_dword v1, off, s[0:3], 0 offset:112
	buffer_store_dword v1, off, s[0:3], 0 offset:116
	buffer_store_dword v1, off, s[0:3], 0 offset:120
	buffer_store_dword v1, off, s[0:3], 0 offset:124
	s_waitcnt vmcnt(4)
	ds_write_b128 v6, v[2:5]
.LBB102_235:
	s_or_b64 exec, exec, s[4:5]
	s_waitcnt lgkmcnt(0)
	; wave barrier
	s_waitcnt lgkmcnt(0)
	buffer_load_dword v112, off, s[0:3], 0 offset:128
	buffer_load_dword v113, off, s[0:3], 0 offset:132
	;; [unrolled: 1-line block ×36, first 2 shown]
	ds_read_b128 v[102:105], v1 offset:736
	ds_read_b128 v[106:109], v1 offset:752
	;; [unrolled: 1-line block ×9, first 2 shown]
	buffer_load_dword v145, off, s[0:3], 0 offset:300
	buffer_load_dword v144, off, s[0:3], 0 offset:296
	;; [unrolled: 1-line block ×78, first 2 shown]
	v_cmp_lt_u32_e32 vcc, 5, v0
	s_waitcnt vmcnt(62) lgkmcnt(8)
	v_mul_f64 v[26:27], v[102:103], v[246:247]
	v_fmac_f64_e32 v[26:27], v[104:105], v[112:113]
	v_add_f64 v[26:27], v[26:27], 0
	v_mul_f64 v[104:105], v[104:105], v[246:247]
	s_waitcnt lgkmcnt(7)
	v_mul_f64 v[28:29], v[106:107], v[248:249]
	v_fmac_f64_e32 v[28:29], v[108:109], v[110:111]
	s_waitcnt lgkmcnt(6)
	v_mul_f64 v[30:31], v[114:115], v[244:245]
	v_add_f64 v[26:27], v[26:27], v[28:29]
	s_waitcnt lgkmcnt(4)
	v_mul_f64 v[34:35], v[18:19], v[120:121]
	v_fma_f64 v[246:247], v[102:103], v[112:113], -v[104:105]
	v_fmac_f64_e32 v[34:35], v[20:21], v[122:123]
	v_mul_f64 v[108:109], v[108:109], v[248:249]
	v_mul_f64 v[32:33], v[22:23], v[124:125]
	v_fma_f64 v[248:249], v[106:107], v[110:111], -v[108:109]
	s_waitcnt lgkmcnt(2)
	v_mul_f64 v[38:39], v[10:11], v[126:127]
	v_add_f64 v[246:247], v[246:247], 0
	v_fmac_f64_e32 v[38:39], v[12:13], v[128:129]
	v_add_f64 v[246:247], v[246:247], v[248:249]
	v_mul_f64 v[36:37], v[14:15], v[132:133]
	v_mul_f64 v[20:21], v[20:21], v[120:121]
	s_waitcnt lgkmcnt(1)
	v_mul_f64 v[40:41], v[6:7], v[130:131]
	v_fma_f64 v[18:19], v[18:19], v[122:123], -v[20:21]
	v_fmac_f64_e32 v[30:31], v[116:117], v[250:251]
	v_add_f64 v[26:27], v[26:27], v[30:31]
	v_fmac_f64_e32 v[32:33], v[24:25], v[140:141]
	v_add_f64 v[26:27], v[26:27], v[32:33]
	;; [unrolled: 2-line block ×3, first 2 shown]
	v_add_f64 v[26:27], v[26:27], v[36:37]
	v_fmac_f64_e32 v[40:41], v[8:9], v[136:137]
	v_add_f64 v[30:31], v[26:27], v[38:39]
	ds_read_b128 v[26:29], v1 offset:880
	s_waitcnt lgkmcnt(1)
	v_mul_f64 v[32:33], v[2:3], v[134:135]
	v_add_f64 v[30:31], v[30:31], v[40:41]
	v_fmac_f64_e32 v[32:33], v[4:5], v[142:143]
	v_add_f64 v[34:35], v[30:31], v[32:33]
	ds_read_b128 v[30:33], v1 offset:896
	s_waitcnt lgkmcnt(1)
	v_mul_f64 v[36:37], v[26:27], v[148:149]
	buffer_load_dword v233, off, s[0:3], 0 offset:564
	buffer_load_dword v232, off, s[0:3], 0 offset:560
	v_fmac_f64_e32 v[36:37], v[28:29], v[150:151]
	v_add_f64 v[38:39], v[34:35], v[36:37]
	s_waitcnt lgkmcnt(0)
	v_mul_f64 v[40:41], v[30:31], v[144:145]
	ds_read_b128 v[34:37], v1 offset:912
	v_fmac_f64_e32 v[40:41], v[32:33], v[146:147]
	v_add_f64 v[42:43], v[38:39], v[40:41]
	ds_read_b128 v[38:41], v1 offset:928
	v_mul_f64 v[116:117], v[116:117], v[244:245]
	s_waitcnt lgkmcnt(1)
	v_mul_f64 v[44:45], v[34:35], v[160:161]
	v_fmac_f64_e32 v[44:45], v[36:37], v[162:163]
	v_add_f64 v[46:47], v[42:43], v[44:45]
	s_waitcnt lgkmcnt(0)
	v_mul_f64 v[48:49], v[38:39], v[152:153]
	v_fmac_f64_e32 v[48:49], v[40:41], v[154:155]
	ds_read_b128 v[42:45], v1 offset:944
	v_add_f64 v[50:51], v[46:47], v[48:49]
	ds_read_b128 v[46:49], v1 offset:960
	buffer_load_dword v187, off, s[0:3], 0 offset:620
	buffer_load_dword v235, off, s[0:3], 0 offset:604
	;; [unrolled: 1-line block ×12, first 2 shown]
	ds_read_b128 v[106:109], v1 offset:1200
	s_waitcnt vmcnt(62) lgkmcnt(2)
	v_mul_f64 v[52:53], v[42:43], v[176:177]
	v_fmac_f64_e32 v[52:53], v[44:45], v[180:181]
	v_add_f64 v[54:55], v[50:51], v[52:53]
	ds_read_b128 v[50:53], v1 offset:976
	s_waitcnt lgkmcnt(2)
	v_mul_f64 v[56:57], v[46:47], v[156:157]
	v_fmac_f64_e32 v[56:57], v[48:49], v[158:159]
	v_add_f64 v[58:59], v[54:55], v[56:57]
	ds_read_b128 v[54:57], v1 offset:992
	s_waitcnt lgkmcnt(1)
	v_mul_f64 v[60:61], v[50:51], v[184:185]
	s_waitcnt vmcnt(60)
	v_fmac_f64_e32 v[60:61], v[52:53], v[198:199]
	v_add_f64 v[62:63], v[58:59], v[60:61]
	ds_read_b128 v[58:61], v1 offset:1008
	s_waitcnt lgkmcnt(1)
	v_mul_f64 v[64:65], v[54:55], v[164:165]
	v_fmac_f64_e32 v[64:65], v[56:57], v[166:167]
	v_add_f64 v[66:67], v[62:63], v[64:65]
	ds_read_b128 v[62:65], v1 offset:1024
	s_waitcnt vmcnt(54) lgkmcnt(1)
	v_mul_f64 v[68:69], v[58:59], v[202:203]
	s_waitcnt vmcnt(52)
	v_fmac_f64_e32 v[68:69], v[60:61], v[206:207]
	v_add_f64 v[70:71], v[66:67], v[68:69]
	ds_read_b128 v[66:69], v1 offset:1040
	s_waitcnt lgkmcnt(1)
	v_mul_f64 v[72:73], v[62:63], v[168:169]
	v_fmac_f64_e32 v[72:73], v[64:65], v[170:171]
	v_add_f64 v[74:75], v[70:71], v[72:73]
	ds_read_b128 v[70:73], v1 offset:1056
	s_waitcnt vmcnt(46) lgkmcnt(1)
	;; [unrolled: 11-line block ×4, first 2 shown]
	v_mul_f64 v[92:93], v[82:83], v[222:223]
	s_waitcnt vmcnt(28)
	v_fmac_f64_e32 v[92:93], v[84:85], v[224:225]
	v_add_f64 v[98:99], v[90:91], v[92:93]
	ds_read_b128 v[90:93], v1 offset:1136
	ds_read_b128 v[94:97], v1 offset:1152
	s_waitcnt lgkmcnt(2)
	v_mul_f64 v[100:101], v[86:87], v[196:197]
	v_fmac_f64_e32 v[100:101], v[88:89], v[200:201]
	v_add_f64 v[98:99], v[98:99], v[100:101]
	s_waitcnt vmcnt(22) lgkmcnt(1)
	v_mul_f64 v[100:101], v[90:91], v[226:227]
	s_waitcnt vmcnt(20)
	v_fmac_f64_e32 v[100:101], v[92:93], v[228:229]
	v_add_f64 v[98:99], v[98:99], v[100:101]
	s_waitcnt lgkmcnt(0)
	v_mul_f64 v[100:101], v[94:95], v[204:205]
	v_fmac_f64_e32 v[100:101], v[96:97], v[208:209]
	v_add_f64 v[252:253], v[98:99], v[100:101]
	ds_read_b128 v[98:101], v1 offset:1168
	ds_read_b128 v[102:105], v1 offset:1184
	v_fma_f64 v[250:251], v[114:115], v[250:251], -v[116:117]
	ds_read_b128 v[114:117], v1 offset:1232
	v_mul_f64 v[24:25], v[24:25], v[124:125]
	s_waitcnt vmcnt(14) lgkmcnt(2)
	v_mul_f64 v[112:113], v[98:99], v[230:231]
	s_waitcnt lgkmcnt(1)
	v_mul_f64 v[110:111], v[102:103], v[212:213]
	s_waitcnt vmcnt(12)
	v_fmac_f64_e32 v[112:113], v[100:101], v[232:233]
	v_add_f64 v[112:113], v[252:253], v[112:113]
	v_fmac_f64_e32 v[110:111], v[104:105], v[216:217]
	v_add_f64 v[252:253], v[112:113], v[110:111]
	ds_read_b128 v[110:113], v1 offset:1216
	v_add_f64 v[246:247], v[246:247], v[250:251]
	v_fma_f64 v[22:23], v[22:23], v[140:141], -v[24:25]
	v_add_f64 v[22:23], v[246:247], v[22:23]
	s_waitcnt vmcnt(9)
	v_mul_f64 v[244:245], v[106:107], v[234:235]
	v_mul_f64 v[16:17], v[16:17], v[132:133]
	s_waitcnt vmcnt(7)
	v_fmac_f64_e32 v[244:245], v[108:109], v[240:241]
	v_add_f64 v[244:245], v[252:253], v[244:245]
	s_waitcnt vmcnt(6) lgkmcnt(0)
	v_mul_f64 v[252:253], v[110:111], v[186:187]
	s_waitcnt vmcnt(4)
	v_fmac_f64_e32 v[252:253], v[112:113], v[238:239]
	v_add_f64 v[244:245], v[244:245], v[252:253]
	s_waitcnt vmcnt(2)
	v_mul_f64 v[252:253], v[114:115], v[236:237]
	v_add_f64 v[18:19], v[22:23], v[18:19]
	s_waitcnt vmcnt(0)
	v_fmac_f64_e32 v[252:253], v[116:117], v[242:243]
	v_add_f64 v[244:245], v[244:245], v[252:253]
	buffer_load_dword v254, off, s[0:3], 0 offset:112
	buffer_load_dword v255, off, s[0:3], 0 offset:116
	;; [unrolled: 1-line block ×4, first 2 shown]
	v_fma_f64 v[14:15], v[14:15], v[138:139], -v[16:17]
	v_mul_f64 v[12:13], v[12:13], v[126:127]
	v_add_f64 v[14:15], v[18:19], v[14:15]
	v_fma_f64 v[10:11], v[10:11], v[128:129], -v[12:13]
	v_mul_f64 v[8:9], v[8:9], v[130:131]
	v_add_f64 v[10:11], v[14:15], v[10:11]
	;; [unrolled: 3-line block ×4, first 2 shown]
	v_fma_f64 v[4:5], v[26:27], v[150:151], -v[4:5]
	v_add_f64 v[2:3], v[2:3], v[4:5]
	v_mul_f64 v[4:5], v[32:33], v[144:145]
	v_fma_f64 v[4:5], v[30:31], v[146:147], -v[4:5]
	v_add_f64 v[2:3], v[2:3], v[4:5]
	v_mul_f64 v[4:5], v[36:37], v[160:161]
	;; [unrolled: 3-line block ×22, first 2 shown]
	v_fma_f64 v[4:5], v[114:115], v[242:243], -v[4:5]
	v_add_f64 v[2:3], v[2:3], v[4:5]
	s_waitcnt vmcnt(2)
	v_add_f64 v[2:3], v[254:255], -v[2:3]
	s_waitcnt vmcnt(0)
	v_add_f64 v[4:5], v[252:253], -v[244:245]
	buffer_store_dword v3, off, s[0:3], 0 offset:116
	buffer_store_dword v2, off, s[0:3], 0 offset:112
	;; [unrolled: 1-line block ×4, first 2 shown]
	s_and_saveexec_b64 s[4:5], vcc
	s_cbranch_execz .LBB102_237
; %bb.236:
	v_accvgpr_read_b32 v1, a111
	buffer_load_dword v2, v1, s[0:3], 0 offen
	buffer_load_dword v3, v1, s[0:3], 0 offen offset:4
	buffer_load_dword v4, v1, s[0:3], 0 offen offset:8
	;; [unrolled: 1-line block ×3, first 2 shown]
	v_mov_b32_e32 v1, 0
	v_accvgpr_read_b32 v6, a116
	buffer_store_dword v1, off, s[0:3], 0 offset:96
	buffer_store_dword v1, off, s[0:3], 0 offset:100
	;; [unrolled: 1-line block ×4, first 2 shown]
	s_waitcnt vmcnt(4)
	ds_write_b128 v6, v[2:5]
.LBB102_237:
	s_or_b64 exec, exec, s[4:5]
	s_waitcnt lgkmcnt(0)
	; wave barrier
	s_waitcnt lgkmcnt(0)
	buffer_load_dword v94, off, s[0:3], 0 offset:112
	buffer_load_dword v95, off, s[0:3], 0 offset:116
	buffer_load_dword v96, off, s[0:3], 0 offset:120
	buffer_load_dword v97, off, s[0:3], 0 offset:124
	buffer_load_dword v98, off, s[0:3], 0 offset:128
	buffer_load_dword v99, off, s[0:3], 0 offset:132
	buffer_load_dword v100, off, s[0:3], 0 offset:136
	buffer_load_dword v101, off, s[0:3], 0 offset:140
	buffer_load_dword v106, off, s[0:3], 0 offset:152
	buffer_load_dword v107, off, s[0:3], 0 offset:156
	buffer_load_dword v123, off, s[0:3], 0 offset:188
	buffer_load_dword v122, off, s[0:3], 0 offset:184
	buffer_load_dword v127, off, s[0:3], 0 offset:180
	buffer_load_dword v126, off, s[0:3], 0 offset:176
	buffer_load_dword v111, off, s[0:3], 0 offset:172
	buffer_load_dword v110, off, s[0:3], 0 offset:168
	buffer_load_dword v121, off, s[0:3], 0 offset:220
	buffer_load_dword v120, off, s[0:3], 0 offset:216
	buffer_load_dword v125, off, s[0:3], 0 offset:212
	buffer_load_dword v124, off, s[0:3], 0 offset:208
	buffer_load_dword v133, off, s[0:3], 0 offset:204
	buffer_load_dword v132, off, s[0:3], 0 offset:200
	buffer_load_dword v128, off, s[0:3], 0 offset:248
	buffer_load_dword v131, off, s[0:3], 0 offset:236
	buffer_load_dword v130, off, s[0:3], 0 offset:232
	buffer_load_dword v129, off, s[0:3], 0 offset:252
	buffer_load_dword v108, off, s[0:3], 0 offset:144
	buffer_load_dword v109, off, s[0:3], 0 offset:148
	buffer_load_dword v113, off, s[0:3], 0 offset:164
	buffer_load_dword v112, off, s[0:3], 0 offset:160
	buffer_load_dword v137, off, s[0:3], 0 offset:196
	buffer_load_dword v136, off, s[0:3], 0 offset:192
	buffer_load_dword v135, off, s[0:3], 0 offset:228
	buffer_load_dword v134, off, s[0:3], 0 offset:224
	buffer_load_dword v140, off, s[0:3], 0 offset:240
	buffer_load_dword v141, off, s[0:3], 0 offset:244
	buffer_load_dword v138, off, s[0:3], 0 offset:280
	buffer_load_dword v145, off, s[0:3], 0 offset:268
	buffer_load_dword v144, off, s[0:3], 0 offset:264
	buffer_load_dword v147, off, s[0:3], 0 offset:260
	buffer_load_dword v146, off, s[0:3], 0 offset:256
	buffer_load_dword v143, off, s[0:3], 0 offset:276
	buffer_load_dword v142, off, s[0:3], 0 offset:272
	buffer_load_dword v139, off, s[0:3], 0 offset:284
	buffer_load_dword v149, off, s[0:3], 0 offset:300
	buffer_load_dword v148, off, s[0:3], 0 offset:296
	buffer_load_dword v153, off, s[0:3], 0 offset:292
	buffer_load_dword v152, off, s[0:3], 0 offset:288
	buffer_load_dword v150, off, s[0:3], 0 offset:312
	buffer_load_dword v154, off, s[0:3], 0 offset:304
	buffer_load_dword v155, off, s[0:3], 0 offset:308
	buffer_load_dword v151, off, s[0:3], 0 offset:316
	v_mov_b32_e32 v1, 0
	ds_read_b128 v[102:105], v1 offset:720
	ds_read_b128 v[114:117], v1 offset:736
	;; [unrolled: 1-line block ×10, first 2 shown]
	v_cmp_lt_u32_e32 vcc, 4, v0
	s_waitcnt vmcnt(48) lgkmcnt(9)
	v_mul_f64 v[26:27], v[102:103], v[96:97]
	v_fmac_f64_e32 v[26:27], v[104:105], v[94:95]
	v_add_f64 v[26:27], v[26:27], 0
	v_mul_f64 v[96:97], v[104:105], v[96:97]
	s_waitcnt vmcnt(44) lgkmcnt(8)
	v_mul_f64 v[28:29], v[114:115], v[100:101]
	v_fmac_f64_e32 v[28:29], v[116:117], v[98:99]
	s_waitcnt vmcnt(42) lgkmcnt(7)
	v_mul_f64 v[30:31], v[244:245], v[106:107]
	v_add_f64 v[26:27], v[26:27], v[28:29]
	s_waitcnt vmcnt(40) lgkmcnt(5)
	v_mul_f64 v[34:35], v[22:23], v[122:123]
	v_fma_f64 v[254:255], v[102:103], v[94:95], -v[96:97]
	s_waitcnt vmcnt(38)
	v_fmac_f64_e32 v[34:35], v[24:25], v[126:127]
	v_mul_f64 v[100:101], v[116:117], v[100:101]
	s_waitcnt vmcnt(36)
	v_mul_f64 v[32:33], v[250:251], v[110:111]
	v_fma_f64 v[188:189], v[114:115], v[98:99], -v[100:101]
	s_waitcnt vmcnt(34) lgkmcnt(3)
	v_mul_f64 v[38:39], v[14:15], v[120:121]
	v_mul_f64 v[106:107], v[246:247], v[106:107]
	s_waitcnt vmcnt(32)
	v_fmac_f64_e32 v[38:39], v[16:17], v[124:125]
	v_mul_f64 v[110:111], v[252:253], v[110:111]
	s_waitcnt vmcnt(30)
	v_mul_f64 v[36:37], v[18:19], v[132:133]
	v_mul_f64 v[24:25], v[24:25], v[122:123]
	v_fma_f64 v[22:23], v[22:23], v[126:127], -v[24:25]
	s_waitcnt vmcnt(27) lgkmcnt(2)
	v_mul_f64 v[40:41], v[10:11], v[130:131]
	s_waitcnt vmcnt(26) lgkmcnt(1)
	v_mul_f64 v[42:43], v[6:7], v[128:129]
	v_mul_f64 v[16:17], v[16:17], v[120:121]
	s_waitcnt vmcnt(24)
	v_fmac_f64_e32 v[30:31], v[246:247], v[108:109]
	v_add_f64 v[26:27], v[26:27], v[30:31]
	s_waitcnt vmcnt(22)
	v_fmac_f64_e32 v[32:33], v[252:253], v[112:113]
	v_add_f64 v[26:27], v[26:27], v[32:33]
	s_waitcnt vmcnt(20)
	v_fmac_f64_e32 v[36:37], v[20:21], v[136:137]
	v_add_f64 v[26:27], v[26:27], v[34:35]
	v_add_f64 v[26:27], v[26:27], v[36:37]
	s_waitcnt vmcnt(18)
	v_fmac_f64_e32 v[40:41], v[12:13], v[134:135]
	v_add_f64 v[26:27], v[26:27], v[38:39]
	v_add_f64 v[26:27], v[26:27], v[40:41]
	s_waitcnt vmcnt(16)
	v_fmac_f64_e32 v[42:43], v[8:9], v[140:141]
	v_add_f64 v[34:35], v[26:27], v[42:43]
	ds_read_b128 v[26:29], v1 offset:880
	ds_read_b128 v[30:33], v1 offset:896
	buffer_load_dword v157, off, s[0:3], 0 offset:348
	buffer_load_dword v156, off, s[0:3], 0 offset:344
	;; [unrolled: 1-line block ×56, first 2 shown]
	s_waitcnt vmcnt(62) lgkmcnt(2)
	v_mul_f64 v[36:37], v[2:3], v[144:145]
	v_fmac_f64_e32 v[36:37], v[4:5], v[146:147]
	v_add_f64 v[34:35], v[34:35], v[36:37]
	s_waitcnt lgkmcnt(1)
	v_mul_f64 v[36:37], v[26:27], v[138:139]
	v_fmac_f64_e32 v[36:37], v[28:29], v[142:143]
	v_add_f64 v[34:35], v[34:35], v[36:37]
	s_waitcnt lgkmcnt(0)
	v_mul_f64 v[36:37], v[30:31], v[148:149]
	s_waitcnt vmcnt(60)
	v_fmac_f64_e32 v[36:37], v[32:33], v[152:153]
	v_add_f64 v[42:43], v[34:35], v[36:37]
	ds_read_b128 v[34:37], v1 offset:912
	buffer_load_dword v211, off, s[0:3], 0 offset:572
	buffer_load_dword v210, off, s[0:3], 0 offset:568
	;; [unrolled: 1-line block ×16, first 2 shown]
	ds_read_b128 v[38:41], v1 offset:928
	buffer_load_dword v233, off, s[0:3], 0 offset:636
	buffer_load_dword v232, off, s[0:3], 0 offset:632
	;; [unrolled: 1-line block ×8, first 2 shown]
	ds_read_b128 v[98:101], v1 offset:1168
	s_waitcnt vmcnt(62) lgkmcnt(2)
	v_mul_f64 v[44:45], v[34:35], v[150:151]
	v_fmac_f64_e32 v[44:45], v[36:37], v[154:155]
	v_add_f64 v[46:47], v[42:43], v[44:45]
	ds_read_b128 v[42:45], v1 offset:944
	v_fma_f64 v[246:247], v[250:251], v[112:113], -v[110:111]
	v_mul_f64 v[20:21], v[20:21], v[132:133]
	v_fma_f64 v[18:19], v[18:19], v[136:137], -v[20:21]
	v_fma_f64 v[14:15], v[14:15], v[124:125], -v[16:17]
	v_mul_f64 v[12:13], v[12:13], v[130:131]
	v_fma_f64 v[10:11], v[10:11], v[134:135], -v[12:13]
	v_mul_f64 v[8:9], v[8:9], v[128:129]
	;; [unrolled: 2-line block ×4, first 2 shown]
	s_waitcnt lgkmcnt(2)
	v_mul_f64 v[48:49], v[38:39], v[172:173]
	v_fma_f64 v[4:5], v[26:27], v[142:143], -v[4:5]
	v_fmac_f64_e32 v[48:49], v[40:41], v[176:177]
	v_add_f64 v[50:51], v[46:47], v[48:49]
	ds_read_b128 v[46:49], v1 offset:960
	s_waitcnt lgkmcnt(1)
	v_mul_f64 v[52:53], v[42:43], v[156:157]
	v_fmac_f64_e32 v[52:53], v[44:45], v[158:159]
	v_add_f64 v[54:55], v[50:51], v[52:53]
	ds_read_b128 v[50:53], v1 offset:976
	s_waitcnt lgkmcnt(1)
	v_mul_f64 v[56:57], v[46:47], v[180:181]
	v_fmac_f64_e32 v[56:57], v[48:49], v[184:185]
	v_add_f64 v[58:59], v[54:55], v[56:57]
	ds_read_b128 v[54:57], v1 offset:992
	s_waitcnt lgkmcnt(1)
	v_mul_f64 v[60:61], v[50:51], v[160:161]
	v_fmac_f64_e32 v[60:61], v[52:53], v[162:163]
	v_add_f64 v[62:63], v[58:59], v[60:61]
	ds_read_b128 v[58:61], v1 offset:1008
	s_waitcnt vmcnt(58) lgkmcnt(1)
	v_mul_f64 v[64:65], v[54:55], v[198:199]
	s_waitcnt vmcnt(56)
	v_fmac_f64_e32 v[64:65], v[56:57], v[202:203]
	v_add_f64 v[66:67], v[62:63], v[64:65]
	ds_read_b128 v[62:65], v1 offset:1024
	s_waitcnt lgkmcnt(1)
	v_mul_f64 v[68:69], v[58:59], v[164:165]
	v_fmac_f64_e32 v[68:69], v[60:61], v[166:167]
	v_add_f64 v[70:71], v[66:67], v[68:69]
	ds_read_b128 v[66:69], v1 offset:1040
	s_waitcnt vmcnt(50) lgkmcnt(1)
	v_mul_f64 v[72:73], v[62:63], v[206:207]
	s_waitcnt vmcnt(48)
	v_fmac_f64_e32 v[72:73], v[64:65], v[208:209]
	v_add_f64 v[74:75], v[70:71], v[72:73]
	ds_read_b128 v[70:73], v1 offset:1056
	s_waitcnt lgkmcnt(1)
	v_mul_f64 v[76:77], v[66:67], v[168:169]
	;; [unrolled: 11-line block ×3, first 2 shown]
	v_fmac_f64_e32 v[84:85], v[76:77], v[178:179]
	v_add_f64 v[90:91], v[82:83], v[84:85]
	ds_read_b128 v[82:85], v1 offset:1104
	ds_read_b128 v[86:89], v1 offset:1120
	s_waitcnt vmcnt(34) lgkmcnt(2)
	v_mul_f64 v[92:93], v[78:79], v[220:221]
	s_waitcnt vmcnt(32)
	v_fmac_f64_e32 v[92:93], v[80:81], v[226:227]
	v_add_f64 v[90:91], v[90:91], v[92:93]
	s_waitcnt lgkmcnt(1)
	v_mul_f64 v[92:93], v[82:83], v[182:183]
	v_fmac_f64_e32 v[92:93], v[84:85], v[196:197]
	v_add_f64 v[90:91], v[90:91], v[92:93]
	s_waitcnt vmcnt(27) lgkmcnt(0)
	v_mul_f64 v[92:93], v[86:87], v[224:225]
	s_waitcnt vmcnt(25)
	v_fmac_f64_e32 v[92:93], v[88:89], v[228:229]
	v_add_f64 v[248:249], v[90:91], v[92:93]
	ds_read_b128 v[90:93], v1 offset:1136
	ds_read_b128 v[94:97], v1 offset:1152
	ds_read_b128 v[110:113], v1 offset:1216
	s_waitcnt lgkmcnt(2)
	v_mul_f64 v[102:103], v[90:91], v[200:201]
	s_waitcnt vmcnt(24)
	v_fmac_f64_e32 v[102:103], v[92:93], v[204:205]
	s_waitcnt vmcnt(18) lgkmcnt(1)
	v_mul_f64 v[104:105], v[94:95], v[230:231]
	v_add_f64 v[102:103], v[248:249], v[102:103]
	s_waitcnt vmcnt(16)
	v_fmac_f64_e32 v[104:105], v[96:97], v[234:235]
	v_add_f64 v[102:103], v[102:103], v[104:105]
	v_fma_f64 v[248:249], v[244:245], v[108:109], -v[106:107]
	ds_read_b128 v[106:109], v1 offset:1200
	v_mul_f64 v[104:105], v[98:99], v[210:211]
	v_fmac_f64_e32 v[104:105], v[100:101], v[214:215]
	v_add_f64 v[114:115], v[102:103], v[104:105]
	ds_read_b128 v[102:105], v1 offset:1184
	s_waitcnt vmcnt(10) lgkmcnt(0)
	v_mul_f64 v[116:117], v[102:103], v[238:239]
	s_waitcnt vmcnt(8)
	v_fmac_f64_e32 v[116:117], v[104:105], v[240:241]
	v_add_f64 v[114:115], v[114:115], v[116:117]
	v_mul_f64 v[116:117], v[106:107], v[218:219]
	v_fmac_f64_e32 v[116:117], v[108:109], v[222:223]
	v_add_f64 v[114:115], v[114:115], v[116:117]
	s_waitcnt vmcnt(2)
	v_mul_f64 v[116:117], v[110:111], v[186:187]
	s_waitcnt vmcnt(0)
	v_fmac_f64_e32 v[116:117], v[112:113], v[242:243]
	v_add_f64 v[244:245], v[114:115], v[116:117]
	ds_read_b128 v[114:117], v1 offset:1232
	buffer_load_dword v252, off, s[0:3], 0 offset:96
	buffer_load_dword v253, off, s[0:3], 0 offset:100
	s_waitcnt lgkmcnt(0)
	v_mul_f64 v[250:251], v[114:115], v[232:233]
	v_fmac_f64_e32 v[250:251], v[116:117], v[236:237]
	v_add_f64 v[244:245], v[244:245], v[250:251]
	v_add_f64 v[250:251], v[254:255], 0
	;; [unrolled: 1-line block ×4, first 2 shown]
	buffer_load_dword v248, off, s[0:3], 0 offset:104
	buffer_load_dword v249, off, s[0:3], 0 offset:108
	v_add_f64 v[188:189], v[188:189], v[246:247]
	v_add_f64 v[22:23], v[188:189], v[22:23]
	v_add_f64 v[18:19], v[22:23], v[18:19]
	v_add_f64 v[14:15], v[18:19], v[14:15]
	v_add_f64 v[10:11], v[14:15], v[10:11]
	v_add_f64 v[6:7], v[10:11], v[6:7]
	v_add_f64 v[2:3], v[6:7], v[2:3]
	v_add_f64 v[2:3], v[2:3], v[4:5]
	v_mul_f64 v[4:5], v[32:33], v[148:149]
	v_fma_f64 v[4:5], v[30:31], v[152:153], -v[4:5]
	v_add_f64 v[2:3], v[2:3], v[4:5]
	v_mul_f64 v[4:5], v[36:37], v[150:151]
	v_fma_f64 v[4:5], v[34:35], v[154:155], -v[4:5]
	v_add_f64 v[2:3], v[2:3], v[4:5]
	;; [unrolled: 3-line block ×22, first 2 shown]
	s_waitcnt vmcnt(2)
	v_add_f64 v[2:3], v[252:253], -v[2:3]
	s_waitcnt vmcnt(0)
	v_add_f64 v[4:5], v[248:249], -v[244:245]
	buffer_store_dword v3, off, s[0:3], 0 offset:100
	buffer_store_dword v2, off, s[0:3], 0 offset:96
	;; [unrolled: 1-line block ×4, first 2 shown]
	s_and_saveexec_b64 s[4:5], vcc
	s_cbranch_execz .LBB102_239
; %bb.238:
	v_accvgpr_read_b32 v5, a112
	buffer_load_dword v2, v5, s[0:3], 0 offen
	buffer_load_dword v3, v5, s[0:3], 0 offen offset:4
	buffer_load_dword v4, v5, s[0:3], 0 offen offset:8
	s_nop 0
	buffer_load_dword v5, v5, s[0:3], 0 offen offset:12
	v_accvgpr_read_b32 v6, a116
	buffer_store_dword v1, off, s[0:3], 0 offset:80
	buffer_store_dword v1, off, s[0:3], 0 offset:84
	;; [unrolled: 1-line block ×4, first 2 shown]
	s_waitcnt vmcnt(4)
	ds_write_b128 v6, v[2:5]
.LBB102_239:
	s_or_b64 exec, exec, s[4:5]
	s_waitcnt lgkmcnt(0)
	; wave barrier
	s_waitcnt lgkmcnt(0)
	buffer_load_dword v86, off, s[0:3], 0 offset:96
	buffer_load_dword v87, off, s[0:3], 0 offset:100
	;; [unrolled: 1-line block ×42, first 2 shown]
	ds_read_b128 v[94:97], v1 offset:704
	ds_read_b128 v[106:109], v1 offset:720
	;; [unrolled: 1-line block ×10, first 2 shown]
	buffer_load_dword v147, off, s[0:3], 0 offset:244
	buffer_load_dword v146, off, s[0:3], 0 offset:240
	ds_read_b128 v[6:9], v1 offset:864
	buffer_load_dword v143, off, s[0:3], 0 offset:300
	buffer_load_dword v142, off, s[0:3], 0 offset:296
	;; [unrolled: 1-line block ×80, first 2 shown]
	v_cmp_lt_u32_e32 vcc, 3, v0
	s_waitcnt vmcnt(62) lgkmcnt(10)
	v_mul_f64 v[26:27], v[94:95], v[88:89]
	v_fmac_f64_e32 v[26:27], v[96:97], v[86:87]
	v_add_f64 v[26:27], v[26:27], 0
	v_mul_f64 v[88:89], v[96:97], v[88:89]
	s_waitcnt lgkmcnt(9)
	v_mul_f64 v[28:29], v[106:107], v[92:93]
	v_fmac_f64_e32 v[28:29], v[108:109], v[90:91]
	s_waitcnt lgkmcnt(8)
	v_mul_f64 v[30:31], v[114:115], v[98:99]
	v_add_f64 v[26:27], v[26:27], v[28:29]
	s_waitcnt lgkmcnt(6)
	v_mul_f64 v[34:35], v[250:251], v[110:111]
	v_fma_f64 v[188:189], v[94:95], v[86:87], -v[88:89]
	v_fmac_f64_e32 v[34:35], v[252:253], v[112:113]
	v_mul_f64 v[92:93], v[108:109], v[92:93]
	v_mul_f64 v[32:33], v[246:247], v[102:103]
	v_fma_f64 v[254:255], v[106:107], v[90:91], -v[92:93]
	s_waitcnt lgkmcnt(4)
	v_mul_f64 v[38:39], v[18:19], v[120:121]
	v_mul_f64 v[98:99], v[116:117], v[98:99]
	v_fmac_f64_e32 v[38:39], v[20:21], v[122:123]
	v_mul_f64 v[102:103], v[248:249], v[102:103]
	v_mul_f64 v[36:37], v[22:23], v[124:125]
	;; [unrolled: 1-line block ×3, first 2 shown]
	s_waitcnt lgkmcnt(2)
	v_mul_f64 v[42:43], v[10:11], v[126:127]
	v_add_f64 v[188:189], v[188:189], 0
	v_add_f64 v[188:189], v[188:189], v[254:255]
	v_mul_f64 v[40:41], v[14:15], v[132:133]
	v_mul_f64 v[20:21], v[20:21], v[120:121]
	s_waitcnt lgkmcnt(1)
	v_mul_f64 v[44:45], v[2:3], v[130:131]
	v_fma_f64 v[18:19], v[18:19], v[122:123], -v[20:21]
	v_fmac_f64_e32 v[30:31], v[116:117], v[100:101]
	v_add_f64 v[26:27], v[26:27], v[30:31]
	v_fmac_f64_e32 v[32:33], v[248:249], v[104:105]
	v_add_f64 v[26:27], v[26:27], v[32:33]
	;; [unrolled: 2-line block ×3, first 2 shown]
	v_add_f64 v[26:27], v[26:27], v[36:37]
	v_fmac_f64_e32 v[40:41], v[16:17], v[134:135]
	v_add_f64 v[26:27], v[26:27], v[38:39]
	v_fmac_f64_e32 v[42:43], v[12:13], v[128:129]
	v_add_f64 v[26:27], v[26:27], v[40:41]
	v_add_f64 v[26:27], v[26:27], v[42:43]
	s_waitcnt lgkmcnt(0)
	v_mul_f64 v[32:33], v[6:7], v[138:139]
	v_fmac_f64_e32 v[44:45], v[4:5], v[146:147]
	v_add_f64 v[30:31], v[26:27], v[44:45]
	ds_read_b128 v[26:29], v1 offset:880
	v_fmac_f64_e32 v[32:33], v[8:9], v[140:141]
	v_add_f64 v[34:35], v[30:31], v[32:33]
	ds_read_b128 v[30:33], v1 offset:896
	v_fma_f64 v[190:191], v[114:115], v[100:101], -v[98:99]
	s_waitcnt lgkmcnt(1)
	v_mul_f64 v[36:37], v[26:27], v[148:149]
	v_fmac_f64_e32 v[36:37], v[28:29], v[164:165]
	v_add_f64 v[38:39], v[34:35], v[36:37]
	ds_read_b128 v[34:37], v1 offset:912
	s_waitcnt lgkmcnt(1)
	v_mul_f64 v[40:41], v[30:31], v[142:143]
	v_fmac_f64_e32 v[40:41], v[32:33], v[144:145]
	v_add_f64 v[42:43], v[38:39], v[40:41]
	ds_read_b128 v[38:41], v1 offset:928
	s_waitcnt lgkmcnt(1)
	v_mul_f64 v[44:45], v[34:35], v[168:169]
	v_fmac_f64_e32 v[44:45], v[36:37], v[172:173]
	v_add_f64 v[46:47], v[42:43], v[44:45]
	ds_read_b128 v[42:45], v1 offset:944
	s_waitcnt lgkmcnt(1)
	v_mul_f64 v[48:49], v[38:39], v[150:151]
	v_fmac_f64_e32 v[48:49], v[40:41], v[152:153]
	v_add_f64 v[50:51], v[46:47], v[48:49]
	ds_read_b128 v[46:49], v1 offset:960
	s_waitcnt vmcnt(58) lgkmcnt(1)
	v_mul_f64 v[52:53], v[42:43], v[176:177]
	s_waitcnt vmcnt(56)
	v_fmac_f64_e32 v[52:53], v[44:45], v[180:181]
	v_add_f64 v[54:55], v[50:51], v[52:53]
	ds_read_b128 v[50:53], v1 offset:976
	buffer_load_dword v184, off, s[0:3], 0 offset:616
	buffer_load_dword v239, off, s[0:3], 0 offset:604
	;; [unrolled: 1-line block ×8, first 2 shown]
	s_waitcnt lgkmcnt(1)
	v_mul_f64 v[56:57], v[46:47], v[154:155]
	v_fmac_f64_e32 v[56:57], v[48:49], v[156:157]
	v_add_f64 v[58:59], v[54:55], v[56:57]
	ds_read_b128 v[54:57], v1 offset:992
	buffer_load_dword v243, off, s[0:3], 0 offset:636
	buffer_load_dword v242, off, s[0:3], 0 offset:632
	;; [unrolled: 1-line block ×4, first 2 shown]
	s_waitcnt vmcnt(62) lgkmcnt(1)
	v_mul_f64 v[60:61], v[50:51], v[196:197]
	s_waitcnt vmcnt(60)
	v_fmac_f64_e32 v[60:61], v[52:53], v[200:201]
	v_add_f64 v[62:63], v[58:59], v[60:61]
	ds_read_b128 v[58:61], v1 offset:1008
	s_waitcnt lgkmcnt(1)
	v_mul_f64 v[64:65], v[54:55], v[158:159]
	v_fmac_f64_e32 v[64:65], v[56:57], v[160:161]
	v_add_f64 v[66:67], v[62:63], v[64:65]
	ds_read_b128 v[62:65], v1 offset:1024
	s_waitcnt vmcnt(54) lgkmcnt(1)
	v_mul_f64 v[68:69], v[58:59], v[204:205]
	s_waitcnt vmcnt(52)
	v_fmac_f64_e32 v[68:69], v[60:61], v[208:209]
	v_add_f64 v[70:71], v[66:67], v[68:69]
	ds_read_b128 v[66:69], v1 offset:1040
	s_waitcnt lgkmcnt(1)
	v_mul_f64 v[72:73], v[62:63], v[162:163]
	v_fmac_f64_e32 v[72:73], v[64:65], v[166:167]
	v_add_f64 v[74:75], v[70:71], v[72:73]
	ds_read_b128 v[70:73], v1 offset:1056
	s_waitcnt vmcnt(46) lgkmcnt(1)
	v_mul_f64 v[76:77], v[66:67], v[212:213]
	s_waitcnt vmcnt(44)
	v_fmac_f64_e32 v[76:77], v[68:69], v[216:217]
	v_add_f64 v[82:83], v[74:75], v[76:77]
	ds_read_b128 v[74:77], v1 offset:1072
	ds_read_b128 v[78:81], v1 offset:1088
	s_waitcnt lgkmcnt(2)
	v_mul_f64 v[84:85], v[70:71], v[170:171]
	v_fmac_f64_e32 v[84:85], v[72:73], v[174:175]
	v_add_f64 v[82:83], v[82:83], v[84:85]
	s_waitcnt vmcnt(38) lgkmcnt(1)
	v_mul_f64 v[84:85], v[74:75], v[220:221]
	s_waitcnt vmcnt(36)
	v_fmac_f64_e32 v[84:85], v[76:77], v[222:223]
	v_add_f64 v[82:83], v[82:83], v[84:85]
	s_waitcnt lgkmcnt(0)
	v_mul_f64 v[84:85], v[78:79], v[178:179]
	v_fmac_f64_e32 v[84:85], v[80:81], v[182:183]
	v_add_f64 v[186:187], v[82:83], v[84:85]
	ds_read_b128 v[82:85], v1 offset:1104
	ds_read_b128 v[86:89], v1 offset:1120
	;; [unrolled: 1-line block ×4, first 2 shown]
	v_fma_f64 v[248:249], v[250:251], v[112:113], -v[110:111]
	s_waitcnt vmcnt(30) lgkmcnt(3)
	v_mul_f64 v[94:95], v[82:83], v[224:225]
	s_waitcnt vmcnt(28)
	v_fmac_f64_e32 v[94:95], v[84:85], v[226:227]
	s_waitcnt lgkmcnt(2)
	v_mul_f64 v[96:97], v[86:87], v[198:199]
	v_add_f64 v[94:95], v[186:187], v[94:95]
	v_fmac_f64_e32 v[96:97], v[88:89], v[202:203]
	v_add_f64 v[106:107], v[94:95], v[96:97]
	ds_read_b128 v[94:97], v1 offset:1152
	s_waitcnt vmcnt(22) lgkmcnt(2)
	v_mul_f64 v[108:109], v[90:91], v[228:229]
	s_waitcnt vmcnt(20)
	v_fmac_f64_e32 v[108:109], v[92:93], v[230:231]
	v_add_f64 v[106:107], v[106:107], v[108:109]
	v_fma_f64 v[186:187], v[246:247], v[104:105], -v[102:103]
	s_waitcnt lgkmcnt(0)
	v_mul_f64 v[108:109], v[94:95], v[206:207]
	v_fmac_f64_e32 v[108:109], v[96:97], v[210:211]
	v_add_f64 v[114:115], v[106:107], v[108:109]
	ds_read_b128 v[106:109], v1 offset:1184
	ds_read_b128 v[102:105], v1 offset:1200
	ds_read_b128 v[110:113], v1 offset:1216
	s_waitcnt vmcnt(14)
	v_mul_f64 v[116:117], v[98:99], v[232:233]
	s_waitcnt vmcnt(12)
	v_fmac_f64_e32 v[116:117], v[100:101], v[234:235]
	v_add_f64 v[114:115], v[114:115], v[116:117]
	s_waitcnt lgkmcnt(2)
	v_mul_f64 v[116:117], v[106:107], v[214:215]
	v_fmac_f64_e32 v[116:117], v[108:109], v[218:219]
	v_add_f64 v[114:115], v[114:115], v[116:117]
	v_mul_f64 v[24:25], v[24:25], v[124:125]
	v_fma_f64 v[22:23], v[22:23], v[136:137], -v[24:25]
	v_mul_f64 v[16:17], v[16:17], v[132:133]
	v_fma_f64 v[14:15], v[14:15], v[134:135], -v[16:17]
	;; [unrolled: 2-line block ×5, first 2 shown]
	s_waitcnt vmcnt(9) lgkmcnt(1)
	v_mul_f64 v[116:117], v[102:103], v[238:239]
	s_waitcnt vmcnt(7)
	v_fmac_f64_e32 v[116:117], v[104:105], v[240:241]
	v_add_f64 v[114:115], v[114:115], v[116:117]
	s_waitcnt vmcnt(5) lgkmcnt(0)
	v_mul_f64 v[116:117], v[110:111], v[184:185]
	s_waitcnt vmcnt(4)
	v_fmac_f64_e32 v[116:117], v[112:113], v[236:237]
	v_add_f64 v[246:247], v[114:115], v[116:117]
	ds_read_b128 v[114:117], v1 offset:1232
	buffer_load_dword v254, off, s[0:3], 0 offset:80
	buffer_load_dword v255, off, s[0:3], 0 offset:84
	;; [unrolled: 1-line block ×4, first 2 shown]
	s_waitcnt vmcnt(6) lgkmcnt(0)
	v_mul_f64 v[250:251], v[114:115], v[242:243]
	s_waitcnt vmcnt(4)
	v_fmac_f64_e32 v[250:251], v[116:117], v[244:245]
	v_add_f64 v[246:247], v[246:247], v[250:251]
	v_add_f64 v[250:251], v[188:189], v[190:191]
	;; [unrolled: 1-line block ×10, first 2 shown]
	v_mul_f64 v[4:5], v[28:29], v[148:149]
	v_fma_f64 v[4:5], v[26:27], v[164:165], -v[4:5]
	v_add_f64 v[2:3], v[2:3], v[4:5]
	v_mul_f64 v[4:5], v[32:33], v[142:143]
	v_fma_f64 v[4:5], v[30:31], v[144:145], -v[4:5]
	v_add_f64 v[2:3], v[2:3], v[4:5]
	;; [unrolled: 3-line block ×23, first 2 shown]
	s_waitcnt vmcnt(2)
	v_add_f64 v[2:3], v[254:255], -v[2:3]
	s_waitcnt vmcnt(0)
	v_add_f64 v[4:5], v[252:253], -v[246:247]
	buffer_store_dword v3, off, s[0:3], 0 offset:84
	buffer_store_dword v2, off, s[0:3], 0 offset:80
	;; [unrolled: 1-line block ×4, first 2 shown]
	s_and_saveexec_b64 s[4:5], vcc
	s_cbranch_execz .LBB102_241
; %bb.240:
	v_accvgpr_read_b32 v1, a113
	buffer_load_dword v2, v1, s[0:3], 0 offen
	buffer_load_dword v3, v1, s[0:3], 0 offen offset:4
	buffer_load_dword v4, v1, s[0:3], 0 offen offset:8
	;; [unrolled: 1-line block ×3, first 2 shown]
	v_mov_b32_e32 v1, 0
	v_accvgpr_read_b32 v6, a116
	buffer_store_dword v1, off, s[0:3], 0 offset:64
	buffer_store_dword v1, off, s[0:3], 0 offset:68
	;; [unrolled: 1-line block ×4, first 2 shown]
	s_waitcnt vmcnt(4)
	ds_write_b128 v6, v[2:5]
.LBB102_241:
	s_or_b64 exec, exec, s[4:5]
	s_waitcnt lgkmcnt(0)
	; wave barrier
	s_waitcnt lgkmcnt(0)
	buffer_load_dword v82, off, s[0:3], 0 offset:80
	buffer_load_dword v83, off, s[0:3], 0 offset:84
	;; [unrolled: 1-line block ×54, first 2 shown]
	v_mov_b32_e32 v1, 0
	ds_read_b128 v[90:93], v1 offset:688
	ds_read_b128 v[106:109], v1 offset:704
	;; [unrolled: 1-line block ×9, first 2 shown]
	buffer_load_dword v141, off, s[0:3], 0 offset:308
	buffer_load_dword v140, off, s[0:3], 0 offset:304
	;; [unrolled: 1-line block ×62, first 2 shown]
	v_cmp_lt_u32_e32 vcc, 2, v0
	s_waitcnt vmcnt(62) lgkmcnt(8)
	v_mul_f64 v[14:15], v[90:91], v[84:85]
	v_fmac_f64_e32 v[14:15], v[92:93], v[82:83]
	v_add_f64 v[14:15], v[14:15], 0
	v_mul_f64 v[84:85], v[92:93], v[84:85]
	s_waitcnt lgkmcnt(7)
	v_mul_f64 v[16:17], v[106:107], v[88:89]
	v_fmac_f64_e32 v[16:17], v[108:109], v[86:87]
	s_waitcnt lgkmcnt(6)
	v_mul_f64 v[18:19], v[114:115], v[94:95]
	v_add_f64 v[14:15], v[14:15], v[16:17]
	s_waitcnt lgkmcnt(4)
	v_mul_f64 v[22:23], v[248:249], v[102:103]
	v_fma_f64 v[188:189], v[90:91], v[82:83], -v[84:85]
	v_fmac_f64_e32 v[22:23], v[250:251], v[104:105]
	v_mul_f64 v[88:89], v[108:109], v[88:89]
	v_mul_f64 v[20:21], v[244:245], v[98:99]
	v_fma_f64 v[190:191], v[106:107], v[86:87], -v[88:89]
	s_waitcnt lgkmcnt(2)
	v_mul_f64 v[26:27], v[10:11], v[196:197]
	v_mul_f64 v[94:95], v[116:117], v[94:95]
	v_fmac_f64_e32 v[26:27], v[12:13], v[198:199]
	v_mul_f64 v[98:99], v[246:247], v[98:99]
	v_mul_f64 v[24:25], v[252:253], v[110:111]
	;; [unrolled: 1-line block ×3, first 2 shown]
	s_waitcnt lgkmcnt(1)
	v_mul_f64 v[28:29], v[6:7], v[200:201]
	v_mul_f64 v[110:111], v[254:255], v[110:111]
	v_fmac_f64_e32 v[18:19], v[116:117], v[96:97]
	v_add_f64 v[14:15], v[14:15], v[18:19]
	v_fmac_f64_e32 v[20:21], v[246:247], v[100:101]
	v_add_f64 v[14:15], v[14:15], v[20:21]
	v_fmac_f64_e32 v[24:25], v[254:255], v[112:113]
	v_add_f64 v[14:15], v[14:15], v[22:23]
	v_add_f64 v[14:15], v[14:15], v[24:25]
	v_fmac_f64_e32 v[28:29], v[8:9], v[204:205]
	v_add_f64 v[14:15], v[14:15], v[26:27]
	v_add_f64 v[18:19], v[14:15], v[28:29]
	ds_read_b128 v[14:17], v1 offset:832
	s_waitcnt lgkmcnt(1)
	v_mul_f64 v[20:21], v[2:3], v[202:203]
	v_fmac_f64_e32 v[20:21], v[4:5], v[120:121]
	v_add_f64 v[22:23], v[18:19], v[20:21]
	ds_read_b128 v[18:21], v1 offset:848
	s_waitcnt lgkmcnt(1)
	v_mul_f64 v[24:25], v[14:15], v[126:127]
	v_fmac_f64_e32 v[24:25], v[16:17], v[128:129]
	;; [unrolled: 5-line block ×5, first 2 shown]
	v_add_f64 v[38:39], v[34:35], v[36:37]
	ds_read_b128 v[34:37], v1 offset:912
	s_waitcnt vmcnt(58) lgkmcnt(1)
	v_mul_f64 v[40:41], v[30:31], v[154:155]
	s_waitcnt vmcnt(56)
	v_fmac_f64_e32 v[40:41], v[32:33], v[158:159]
	v_add_f64 v[42:43], v[38:39], v[40:41]
	ds_read_b128 v[38:41], v1 offset:928
	s_waitcnt lgkmcnt(1)
	v_mul_f64 v[44:45], v[34:35], v[134:135]
	v_fmac_f64_e32 v[44:45], v[36:37], v[140:141]
	v_add_f64 v[46:47], v[42:43], v[44:45]
	ds_read_b128 v[42:45], v1 offset:944
	s_waitcnt vmcnt(50) lgkmcnt(1)
	v_mul_f64 v[48:49], v[38:39], v[162:163]
	s_waitcnt vmcnt(48)
	v_fmac_f64_e32 v[48:49], v[40:41], v[166:167]
	v_add_f64 v[50:51], v[46:47], v[48:49]
	ds_read_b128 v[46:49], v1 offset:960
	buffer_load_dword v183, off, s[0:3], 0 offset:556
	buffer_load_dword v182, off, s[0:3], 0 offset:552
	;; [unrolled: 1-line block ×8, first 2 shown]
	s_waitcnt lgkmcnt(1)
	v_mul_f64 v[52:53], v[42:43], v[142:143]
	v_fmac_f64_e32 v[52:53], v[44:45], v[144:145]
	v_add_f64 v[54:55], v[50:51], v[52:53]
	ds_read_b128 v[50:53], v1 offset:976
	s_waitcnt vmcnt(50) lgkmcnt(1)
	v_mul_f64 v[56:57], v[46:47], v[170:171]
	s_waitcnt vmcnt(48)
	v_fmac_f64_e32 v[56:57], v[48:49], v[174:175]
	buffer_load_dword v229, off, s[0:3], 0 offset:604
	buffer_load_dword v235, off, s[0:3], 0 offset:588
	;; [unrolled: 1-line block ×12, first 2 shown]
	v_add_f64 v[58:59], v[54:55], v[56:57]
	ds_read_b128 v[54:57], v1 offset:992
	s_waitcnt lgkmcnt(1)
	v_mul_f64 v[60:61], v[50:51], v[146:147]
	v_fmac_f64_e32 v[60:61], v[52:53], v[148:149]
	v_add_f64 v[62:63], v[58:59], v[60:61]
	ds_read_b128 v[58:61], v1 offset:1008
	s_waitcnt vmcnt(54) lgkmcnt(1)
	v_mul_f64 v[64:65], v[54:55], v[178:179]
	s_waitcnt vmcnt(52)
	v_fmac_f64_e32 v[64:65], v[56:57], v[206:207]
	v_add_f64 v[66:67], v[62:63], v[64:65]
	ds_read_b128 v[62:65], v1 offset:1024
	s_waitcnt lgkmcnt(1)
	v_mul_f64 v[68:69], v[58:59], v[150:151]
	v_fmac_f64_e32 v[68:69], v[60:61], v[152:153]
	v_add_f64 v[70:71], v[66:67], v[68:69]
	ds_read_b128 v[66:69], v1 offset:1040
	s_waitcnt vmcnt(46) lgkmcnt(1)
	v_mul_f64 v[72:73], v[62:63], v[210:211]
	s_waitcnt vmcnt(44)
	v_fmac_f64_e32 v[72:73], v[64:65], v[212:213]
	v_add_f64 v[78:79], v[70:71], v[72:73]
	ds_read_b128 v[70:73], v1 offset:1056
	ds_read_b128 v[74:77], v1 offset:1072
	s_waitcnt lgkmcnt(2)
	v_mul_f64 v[80:81], v[66:67], v[156:157]
	v_fmac_f64_e32 v[80:81], v[68:69], v[160:161]
	v_add_f64 v[78:79], v[78:79], v[80:81]
	s_waitcnt vmcnt(38) lgkmcnt(1)
	v_mul_f64 v[80:81], v[70:71], v[214:215]
	s_waitcnt vmcnt(36)
	v_fmac_f64_e32 v[80:81], v[72:73], v[216:217]
	v_add_f64 v[78:79], v[78:79], v[80:81]
	s_waitcnt lgkmcnt(0)
	v_mul_f64 v[80:81], v[74:75], v[164:165]
	v_fmac_f64_e32 v[80:81], v[76:77], v[168:169]
	v_add_f64 v[184:185], v[78:79], v[80:81]
	ds_read_b128 v[78:81], v1 offset:1088
	ds_read_b128 v[82:85], v1 offset:1104
	;; [unrolled: 1-line block ×3, first 2 shown]
	v_fma_f64 v[192:193], v[114:115], v[96:97], -v[94:95]
	ds_read_b128 v[94:97], v1 offset:1152
	s_waitcnt vmcnt(30) lgkmcnt(3)
	v_mul_f64 v[90:91], v[78:79], v[218:219]
	s_waitcnt vmcnt(28)
	v_fmac_f64_e32 v[90:91], v[80:81], v[220:221]
	s_waitcnt lgkmcnt(2)
	v_mul_f64 v[92:93], v[82:83], v[172:173]
	v_add_f64 v[90:91], v[184:185], v[90:91]
	v_fmac_f64_e32 v[92:93], v[84:85], v[176:177]
	v_add_f64 v[90:91], v[90:91], v[92:93]
	s_waitcnt vmcnt(22) lgkmcnt(1)
	v_mul_f64 v[92:93], v[86:87], v[222:223]
	s_waitcnt vmcnt(20)
	v_fmac_f64_e32 v[92:93], v[88:89], v[224:225]
	v_add_f64 v[106:107], v[90:91], v[92:93]
	ds_read_b128 v[90:93], v1 offset:1136
	v_fma_f64 v[194:195], v[244:245], v[100:101], -v[98:99]
	ds_read_b128 v[98:101], v1 offset:1168
	buffer_load_dword v184, off, s[0:3], 0 offset:632
	v_fma_f64 v[248:249], v[248:249], v[104:105], -v[102:103]
	s_waitcnt lgkmcnt(1)
	v_mul_f64 v[108:109], v[90:91], v[180:181]
	v_fmac_f64_e32 v[108:109], v[92:93], v[208:209]
	v_add_f64 v[106:107], v[106:107], v[108:109]
	ds_read_b128 v[102:105], v1 offset:1184
	v_fma_f64 v[186:187], v[252:253], v[112:113], -v[110:111]
	ds_read_b128 v[110:113], v1 offset:1216
	v_add_f64 v[188:189], v[188:189], 0
	v_add_f64 v[188:189], v[188:189], v[190:191]
	;; [unrolled: 1-line block ×5, first 2 shown]
	v_mul_f64 v[12:13], v[12:13], v[196:197]
	v_add_f64 v[186:187], v[252:253], v[186:187]
	v_fma_f64 v[10:11], v[10:11], v[198:199], -v[12:13]
	v_mul_f64 v[8:9], v[8:9], v[200:201]
	v_add_f64 v[10:11], v[186:187], v[10:11]
	v_fma_f64 v[6:7], v[6:7], v[204:205], -v[8:9]
	;; [unrolled: 3-line block ×3, first 2 shown]
	v_mul_f64 v[4:5], v[16:17], v[126:127]
	v_add_f64 v[2:3], v[6:7], v[2:3]
	s_waitcnt vmcnt(19)
	v_mul_f64 v[108:109], v[94:95], v[182:183]
	v_fma_f64 v[4:5], v[14:15], v[128:129], -v[4:5]
	s_waitcnt vmcnt(17)
	v_fmac_f64_e32 v[108:109], v[96:97], v[226:227]
	v_add_f64 v[106:107], v[106:107], v[108:109]
	s_waitcnt vmcnt(15) lgkmcnt(2)
	v_mul_f64 v[108:109], v[98:99], v[230:231]
	s_waitcnt vmcnt(13)
	v_fmac_f64_e32 v[108:109], v[100:101], v[232:233]
	v_add_f64 v[114:115], v[106:107], v[108:109]
	ds_read_b128 v[106:109], v1 offset:1200
	buffer_load_dword v246, off, s[0:3], 0 offset:624
	buffer_load_dword v185, off, s[0:3], 0 offset:636
	;; [unrolled: 1-line block ×3, first 2 shown]
	s_waitcnt vmcnt(13) lgkmcnt(2)
	v_mul_f64 v[116:117], v[102:103], v[234:235]
	s_waitcnt vmcnt(11)
	v_fmac_f64_e32 v[116:117], v[104:105], v[240:241]
	v_add_f64 v[114:115], v[114:115], v[116:117]
	s_waitcnt vmcnt(10) lgkmcnt(0)
	v_mul_f64 v[116:117], v[106:107], v[228:229]
	s_waitcnt vmcnt(8)
	v_fmac_f64_e32 v[116:117], v[108:109], v[238:239]
	v_add_f64 v[114:115], v[114:115], v[116:117]
	s_waitcnt vmcnt(6)
	v_mul_f64 v[116:117], v[110:111], v[236:237]
	s_waitcnt vmcnt(4)
	v_fmac_f64_e32 v[116:117], v[112:113], v[242:243]
	v_add_f64 v[244:245], v[114:115], v[116:117]
	ds_read_b128 v[114:117], v1 offset:1232
	v_add_f64 v[2:3], v[2:3], v[4:5]
	v_mul_f64 v[4:5], v[20:21], v[122:123]
	v_fma_f64 v[4:5], v[18:19], v[124:125], -v[4:5]
	v_add_f64 v[2:3], v[2:3], v[4:5]
	v_mul_f64 v[4:5], v[24:25], v[136:137]
	v_fma_f64 v[4:5], v[22:23], v[138:139], -v[4:5]
	;; [unrolled: 3-line block ×22, first 2 shown]
	v_add_f64 v[2:3], v[2:3], v[4:5]
	v_mul_f64 v[4:5], v[108:109], v[228:229]
	s_waitcnt vmcnt(1) lgkmcnt(0)
	v_mul_f64 v[250:251], v[114:115], v[184:185]
	s_waitcnt vmcnt(0)
	v_fmac_f64_e32 v[250:251], v[116:117], v[246:247]
	v_add_f64 v[244:245], v[244:245], v[250:251]
	buffer_load_dword v250, off, s[0:3], 0 offset:64
	buffer_load_dword v251, off, s[0:3], 0 offset:68
	;; [unrolled: 1-line block ×4, first 2 shown]
	v_fma_f64 v[4:5], v[106:107], v[238:239], -v[4:5]
	v_add_f64 v[2:3], v[2:3], v[4:5]
	v_mul_f64 v[4:5], v[112:113], v[236:237]
	v_fma_f64 v[4:5], v[110:111], v[242:243], -v[4:5]
	v_add_f64 v[2:3], v[2:3], v[4:5]
	v_mul_f64 v[4:5], v[116:117], v[184:185]
	v_fma_f64 v[4:5], v[114:115], v[246:247], -v[4:5]
	v_add_f64 v[2:3], v[2:3], v[4:5]
	s_waitcnt vmcnt(2)
	v_add_f64 v[2:3], v[250:251], -v[2:3]
	s_waitcnt vmcnt(0)
	v_add_f64 v[4:5], v[248:249], -v[244:245]
	buffer_store_dword v3, off, s[0:3], 0 offset:68
	buffer_store_dword v2, off, s[0:3], 0 offset:64
	;; [unrolled: 1-line block ×4, first 2 shown]
	s_and_saveexec_b64 s[4:5], vcc
	s_cbranch_execz .LBB102_243
; %bb.242:
	v_accvgpr_read_b32 v5, a114
	buffer_load_dword v2, v5, s[0:3], 0 offen
	buffer_load_dword v3, v5, s[0:3], 0 offen offset:4
	buffer_load_dword v4, v5, s[0:3], 0 offen offset:8
	s_nop 0
	buffer_load_dword v5, v5, s[0:3], 0 offen offset:12
	v_accvgpr_read_b32 v6, a116
	buffer_store_dword v1, off, s[0:3], 0 offset:48
	buffer_store_dword v1, off, s[0:3], 0 offset:52
	;; [unrolled: 1-line block ×4, first 2 shown]
	s_waitcnt vmcnt(4)
	ds_write_b128 v6, v[2:5]
.LBB102_243:
	s_or_b64 exec, exec, s[4:5]
	s_waitcnt lgkmcnt(0)
	; wave barrier
	s_waitcnt lgkmcnt(0)
	buffer_load_dword v84, off, s[0:3], 0 offset:64
	buffer_load_dword v85, off, s[0:3], 0 offset:68
	;; [unrolled: 1-line block ×34, first 2 shown]
	ds_read_b128 v[74:77], v1 offset:672
	ds_read_b128 v[78:81], v1 offset:688
	;; [unrolled: 1-line block ×8, first 2 shown]
	buffer_load_dword v125, off, s[0:3], 0 offset:180
	buffer_load_dword v124, off, s[0:3], 0 offset:176
	ds_read_b128 v[6:9], v1 offset:800
	buffer_load_dword v127, off, s[0:3], 0 offset:236
	buffer_load_dword v126, off, s[0:3], 0 offset:232
	;; [unrolled: 1-line block ×80, first 2 shown]
	v_cmp_lt_u32_e32 vcc, 1, v0
	s_waitcnt vmcnt(62) lgkmcnt(8)
	v_mul_f64 v[10:11], v[74:75], v[106:107]
	v_fmac_f64_e32 v[10:11], v[76:77], v[84:85]
	v_add_f64 v[10:11], v[10:11], 0
	v_mul_f64 v[76:77], v[76:77], v[106:107]
	s_waitcnt lgkmcnt(7)
	v_mul_f64 v[12:13], v[78:79], v[96:97]
	v_fmac_f64_e32 v[12:13], v[80:81], v[82:83]
	s_waitcnt lgkmcnt(6)
	v_mul_f64 v[14:15], v[86:87], v[94:95]
	v_add_f64 v[10:11], v[10:11], v[12:13]
	s_waitcnt lgkmcnt(4)
	v_mul_f64 v[18:19], v[98:99], v[108:109]
	v_fma_f64 v[190:191], v[74:75], v[84:85], -v[76:77]
	v_fmac_f64_e32 v[18:19], v[100:101], v[114:115]
	v_mul_f64 v[80:81], v[80:81], v[96:97]
	v_mul_f64 v[16:17], v[90:91], v[116:117]
	v_fma_f64 v[192:193], v[78:79], v[82:83], -v[80:81]
	s_waitcnt lgkmcnt(2)
	v_mul_f64 v[22:23], v[110:111], v[182:183]
	v_mul_f64 v[100:101], v[100:101], v[108:109]
	;; [unrolled: 1-line block ×3, first 2 shown]
	s_waitcnt lgkmcnt(1)
	v_mul_f64 v[24:25], v[2:3], v[196:197]
	v_fmac_f64_e32 v[14:15], v[88:89], v[250:251]
	v_add_f64 v[10:11], v[10:11], v[14:15]
	v_fmac_f64_e32 v[16:17], v[92:93], v[248:249]
	v_add_f64 v[10:11], v[10:11], v[16:17]
	;; [unrolled: 2-line block ×4, first 2 shown]
	v_add_f64 v[10:11], v[10:11], v[22:23]
	s_waitcnt lgkmcnt(0)
	v_mul_f64 v[16:17], v[6:7], v[120:121]
	v_fmac_f64_e32 v[16:17], v[8:9], v[122:123]
	v_fmac_f64_e32 v[24:25], v[4:5], v[124:125]
	v_add_f64 v[14:15], v[10:11], v[24:25]
	ds_read_b128 v[10:13], v1 offset:816
	v_add_f64 v[18:19], v[14:15], v[16:17]
	ds_read_b128 v[14:17], v1 offset:832
	v_mul_f64 v[88:89], v[88:89], v[94:95]
	v_mul_f64 v[92:93], v[92:93], v[116:117]
	s_waitcnt lgkmcnt(1)
	v_mul_f64 v[20:21], v[10:11], v[130:131]
	v_fmac_f64_e32 v[20:21], v[12:13], v[132:133]
	s_waitcnt lgkmcnt(0)
	v_mul_f64 v[24:25], v[14:15], v[126:127]
	v_add_f64 v[22:23], v[18:19], v[20:21]
	ds_read_b128 v[18:21], v1 offset:848
	v_fmac_f64_e32 v[24:25], v[16:17], v[128:129]
	v_add_f64 v[26:27], v[22:23], v[24:25]
	ds_read_b128 v[22:25], v1 offset:864
	v_fma_f64 v[194:195], v[90:91], v[248:249], -v[92:93]
	s_waitcnt lgkmcnt(1)
	v_mul_f64 v[28:29], v[18:19], v[142:143]
	v_fmac_f64_e32 v[28:29], v[20:21], v[144:145]
	v_add_f64 v[30:31], v[26:27], v[28:29]
	s_waitcnt lgkmcnt(0)
	v_mul_f64 v[32:33], v[22:23], v[134:135]
	ds_read_b128 v[26:29], v1 offset:880
	v_fmac_f64_e32 v[32:33], v[24:25], v[136:137]
	v_add_f64 v[34:35], v[30:31], v[32:33]
	ds_read_b128 v[30:33], v1 offset:896
	v_fma_f64 v[248:249], v[98:99], v[114:115], -v[100:101]
	s_waitcnt vmcnt(58) lgkmcnt(1)
	v_mul_f64 v[36:37], v[26:27], v[158:159]
	s_waitcnt vmcnt(56)
	v_fmac_f64_e32 v[36:37], v[28:29], v[162:163]
	v_add_f64 v[38:39], v[34:35], v[36:37]
	s_waitcnt lgkmcnt(0)
	v_mul_f64 v[40:41], v[30:31], v[138:139]
	ds_read_b128 v[34:37], v1 offset:912
	v_fmac_f64_e32 v[40:41], v[32:33], v[140:141]
	v_add_f64 v[42:43], v[38:39], v[40:41]
	ds_read_b128 v[38:41], v1 offset:928
	v_mul_f64 v[104:105], v[104:105], v[186:187]
	s_waitcnt vmcnt(50) lgkmcnt(1)
	v_mul_f64 v[44:45], v[34:35], v[166:167]
	s_waitcnt vmcnt(48)
	v_fmac_f64_e32 v[44:45], v[36:37], v[170:171]
	v_add_f64 v[46:47], v[42:43], v[44:45]
	s_waitcnt lgkmcnt(0)
	v_mul_f64 v[48:49], v[38:39], v[146:147]
	v_fmac_f64_e32 v[48:49], v[40:41], v[148:149]
	ds_read_b128 v[42:45], v1 offset:944
	v_add_f64 v[50:51], v[46:47], v[48:49]
	ds_read_b128 v[46:49], v1 offset:960
	buffer_load_dword v181, off, s[0:3], 0 offset:556
	buffer_load_dword v225, off, s[0:3], 0 offset:540
	buffer_load_dword v224, off, s[0:3], 0 offset:536
	buffer_load_dword v231, off, s[0:3], 0 offset:532
	buffer_load_dword v230, off, s[0:3], 0 offset:528
	buffer_load_dword v180, off, s[0:3], 0 offset:552
	buffer_load_dword v229, off, s[0:3], 0 offset:548
	buffer_load_dword v228, off, s[0:3], 0 offset:544
	buffer_load_dword v227, off, s[0:3], 0 offset:572
	buffer_load_dword v226, off, s[0:3], 0 offset:568
	buffer_load_dword v233, off, s[0:3], 0 offset:564
	buffer_load_dword v232, off, s[0:3], 0 offset:560
	v_mul_f64 v[112:113], v[112:113], v[182:183]
	s_waitcnt vmcnt(54) lgkmcnt(1)
	v_mul_f64 v[52:53], v[42:43], v[174:175]
	s_waitcnt vmcnt(52)
	v_fmac_f64_e32 v[52:53], v[44:45], v[178:179]
	v_add_f64 v[54:55], v[50:51], v[52:53]
	ds_read_b128 v[50:53], v1 offset:976
	s_waitcnt lgkmcnt(1)
	v_mul_f64 v[56:57], v[46:47], v[150:151]
	v_fmac_f64_e32 v[56:57], v[48:49], v[152:153]
	buffer_load_dword v237, off, s[0:3], 0 offset:588
	buffer_load_dword v236, off, s[0:3], 0 offset:584
	;; [unrolled: 1-line block ×12, first 2 shown]
	v_add_f64 v[58:59], v[54:55], v[56:57]
	ds_read_b128 v[54:57], v1 offset:992
	s_waitcnt vmcnt(58) lgkmcnt(1)
	v_mul_f64 v[60:61], v[50:51], v[200:201]
	s_waitcnt vmcnt(56)
	v_fmac_f64_e32 v[60:61], v[52:53], v[204:205]
	v_add_f64 v[62:63], v[58:59], v[60:61]
	ds_read_b128 v[58:61], v1 offset:1008
	s_waitcnt lgkmcnt(1)
	v_mul_f64 v[64:65], v[54:55], v[154:155]
	v_fmac_f64_e32 v[64:65], v[56:57], v[156:157]
	v_add_f64 v[70:71], v[62:63], v[64:65]
	ds_read_b128 v[62:65], v1 offset:1024
	ds_read_b128 v[66:69], v1 offset:1040
	s_waitcnt vmcnt(50) lgkmcnt(2)
	v_mul_f64 v[72:73], v[58:59], v[208:209]
	s_waitcnt vmcnt(48)
	v_fmac_f64_e32 v[72:73], v[60:61], v[210:211]
	v_add_f64 v[70:71], v[70:71], v[72:73]
	s_waitcnt lgkmcnt(1)
	v_mul_f64 v[72:73], v[62:63], v[160:161]
	v_fmac_f64_e32 v[72:73], v[64:65], v[164:165]
	v_add_f64 v[70:71], v[70:71], v[72:73]
	s_waitcnt vmcnt(42) lgkmcnt(0)
	v_mul_f64 v[72:73], v[66:67], v[212:213]
	s_waitcnt vmcnt(40)
	v_fmac_f64_e32 v[72:73], v[68:69], v[214:215]
	v_add_f64 v[188:189], v[70:71], v[72:73]
	ds_read_b128 v[70:73], v1 offset:1056
	ds_read_b128 v[74:77], v1 offset:1072
	;; [unrolled: 1-line block ×5, first 2 shown]
	s_waitcnt lgkmcnt(4)
	v_mul_f64 v[84:85], v[70:71], v[168:169]
	v_fmac_f64_e32 v[84:85], v[72:73], v[172:173]
	v_add_f64 v[82:83], v[188:189], v[84:85]
	s_waitcnt vmcnt(34) lgkmcnt(3)
	v_mul_f64 v[84:85], v[74:75], v[216:217]
	s_waitcnt vmcnt(32)
	v_fmac_f64_e32 v[84:85], v[76:77], v[218:219]
	v_add_f64 v[82:83], v[82:83], v[84:85]
	v_fma_f64 v[188:189], v[86:87], v[250:251], -v[88:89]
	ds_read_b128 v[86:89], v1 offset:1120
	s_waitcnt lgkmcnt(3)
	v_mul_f64 v[84:85], v[78:79], v[176:177]
	v_fmac_f64_e32 v[84:85], v[80:81], v[198:199]
	v_add_f64 v[96:97], v[82:83], v[84:85]
	ds_read_b128 v[82:85], v1 offset:1104
	v_fma_f64 v[252:253], v[102:103], v[246:247], -v[104:105]
	v_fma_f64 v[254:255], v[110:111], v[184:185], -v[112:113]
	ds_read_b128 v[110:113], v1 offset:1216
	v_mul_f64 v[4:5], v[4:5], v[196:197]
	s_waitcnt vmcnt(26) lgkmcnt(1)
	v_mul_f64 v[94:95], v[82:83], v[220:221]
	s_waitcnt vmcnt(24)
	v_fmac_f64_e32 v[94:95], v[84:85], v[222:223]
	v_add_f64 v[94:95], v[96:97], v[94:95]
	v_mul_f64 v[96:97], v[86:87], v[202:203]
	v_fmac_f64_e32 v[96:97], v[88:89], v[206:207]
	v_add_f64 v[106:107], v[94:95], v[96:97]
	ds_read_b128 v[94:97], v1 offset:1152
	v_fma_f64 v[2:3], v[2:3], v[124:125], -v[4:5]
	v_mul_f64 v[4:5], v[8:9], v[120:121]
	v_fma_f64 v[4:5], v[6:7], v[122:123], -v[4:5]
	ds_read_b128 v[102:105], v1 offset:1200
	s_waitcnt vmcnt(21)
	v_mul_f64 v[108:109], v[90:91], v[224:225]
	s_waitcnt vmcnt(19)
	v_fmac_f64_e32 v[108:109], v[92:93], v[230:231]
	v_add_f64 v[106:107], v[106:107], v[108:109]
	s_waitcnt vmcnt(18) lgkmcnt(1)
	v_mul_f64 v[108:109], v[94:95], v[180:181]
	s_waitcnt vmcnt(16)
	v_fmac_f64_e32 v[108:109], v[96:97], v[228:229]
	v_add_f64 v[114:115], v[106:107], v[108:109]
	ds_read_b128 v[106:109], v1 offset:1184
	buffer_load_dword v185, off, s[0:3], 0 offset:636
	buffer_load_dword v184, off, s[0:3], 0 offset:632
	;; [unrolled: 1-line block ×4, first 2 shown]
	s_waitcnt vmcnt(18)
	v_mul_f64 v[116:117], v[98:99], v[226:227]
	s_waitcnt vmcnt(16)
	v_fmac_f64_e32 v[116:117], v[100:101], v[232:233]
	v_add_f64 v[114:115], v[114:115], v[116:117]
	s_waitcnt vmcnt(14) lgkmcnt(0)
	v_mul_f64 v[116:117], v[106:107], v[236:237]
	s_waitcnt vmcnt(12)
	v_fmac_f64_e32 v[116:117], v[108:109], v[238:239]
	v_add_f64 v[114:115], v[114:115], v[116:117]
	s_waitcnt vmcnt(9)
	v_mul_f64 v[116:117], v[102:103], v[242:243]
	s_waitcnt vmcnt(7)
	v_fmac_f64_e32 v[116:117], v[104:105], v[244:245]
	v_add_f64 v[114:115], v[114:115], v[116:117]
	s_waitcnt vmcnt(5)
	v_mul_f64 v[116:117], v[110:111], v[234:235]
	s_waitcnt vmcnt(4)
	v_fmac_f64_e32 v[116:117], v[112:113], v[240:241]
	v_add_f64 v[182:183], v[114:115], v[116:117]
	ds_read_b128 v[114:117], v1 offset:1232
	s_waitcnt vmcnt(2) lgkmcnt(0)
	v_mul_f64 v[186:187], v[114:115], v[184:185]
	s_waitcnt vmcnt(0)
	v_fmac_f64_e32 v[186:187], v[116:117], v[246:247]
	v_add_f64 v[182:183], v[182:183], v[186:187]
	v_add_f64 v[186:187], v[190:191], 0
	;; [unrolled: 1-line block ×6, first 2 shown]
	buffer_load_dword v250, off, s[0:3], 0 offset:48
	buffer_load_dword v251, off, s[0:3], 0 offset:52
	;; [unrolled: 1-line block ×4, first 2 shown]
	v_add_f64 v[186:187], v[186:187], v[252:253]
	v_add_f64 v[186:187], v[186:187], v[254:255]
	;; [unrolled: 1-line block ×4, first 2 shown]
	v_mul_f64 v[4:5], v[12:13], v[130:131]
	v_fma_f64 v[4:5], v[10:11], v[132:133], -v[4:5]
	v_add_f64 v[2:3], v[2:3], v[4:5]
	v_mul_f64 v[4:5], v[16:17], v[126:127]
	v_fma_f64 v[4:5], v[14:15], v[128:129], -v[4:5]
	v_add_f64 v[2:3], v[2:3], v[4:5]
	v_mul_f64 v[4:5], v[20:21], v[142:143]
	v_fma_f64 v[4:5], v[18:19], v[144:145], -v[4:5]
	v_add_f64 v[2:3], v[2:3], v[4:5]
	v_mul_f64 v[4:5], v[24:25], v[134:135]
	v_fma_f64 v[4:5], v[22:23], v[136:137], -v[4:5]
	v_add_f64 v[2:3], v[2:3], v[4:5]
	v_mul_f64 v[4:5], v[28:29], v[158:159]
	v_fma_f64 v[4:5], v[26:27], v[162:163], -v[4:5]
	v_add_f64 v[2:3], v[2:3], v[4:5]
	v_mul_f64 v[4:5], v[32:33], v[138:139]
	v_fma_f64 v[4:5], v[30:31], v[140:141], -v[4:5]
	v_add_f64 v[2:3], v[2:3], v[4:5]
	v_mul_f64 v[4:5], v[36:37], v[166:167]
	v_fma_f64 v[4:5], v[34:35], v[170:171], -v[4:5]
	v_add_f64 v[2:3], v[2:3], v[4:5]
	v_mul_f64 v[4:5], v[40:41], v[146:147]
	v_fma_f64 v[4:5], v[38:39], v[148:149], -v[4:5]
	v_add_f64 v[2:3], v[2:3], v[4:5]
	v_mul_f64 v[4:5], v[44:45], v[174:175]
	v_fma_f64 v[4:5], v[42:43], v[178:179], -v[4:5]
	v_add_f64 v[2:3], v[2:3], v[4:5]
	v_mul_f64 v[4:5], v[48:49], v[150:151]
	v_fma_f64 v[4:5], v[46:47], v[152:153], -v[4:5]
	v_add_f64 v[2:3], v[2:3], v[4:5]
	v_mul_f64 v[4:5], v[52:53], v[200:201]
	v_fma_f64 v[4:5], v[50:51], v[204:205], -v[4:5]
	v_add_f64 v[2:3], v[2:3], v[4:5]
	v_mul_f64 v[4:5], v[56:57], v[154:155]
	v_fma_f64 v[4:5], v[54:55], v[156:157], -v[4:5]
	v_add_f64 v[2:3], v[2:3], v[4:5]
	v_mul_f64 v[4:5], v[60:61], v[208:209]
	v_fma_f64 v[4:5], v[58:59], v[210:211], -v[4:5]
	v_add_f64 v[2:3], v[2:3], v[4:5]
	v_mul_f64 v[4:5], v[64:65], v[160:161]
	v_fma_f64 v[4:5], v[62:63], v[164:165], -v[4:5]
	v_add_f64 v[2:3], v[2:3], v[4:5]
	v_mul_f64 v[4:5], v[68:69], v[212:213]
	v_fma_f64 v[4:5], v[66:67], v[214:215], -v[4:5]
	v_add_f64 v[2:3], v[2:3], v[4:5]
	v_mul_f64 v[4:5], v[72:73], v[168:169]
	v_fma_f64 v[4:5], v[70:71], v[172:173], -v[4:5]
	v_add_f64 v[2:3], v[2:3], v[4:5]
	v_mul_f64 v[4:5], v[76:77], v[216:217]
	v_fma_f64 v[4:5], v[74:75], v[218:219], -v[4:5]
	v_add_f64 v[2:3], v[2:3], v[4:5]
	v_mul_f64 v[4:5], v[80:81], v[176:177]
	v_fma_f64 v[4:5], v[78:79], v[198:199], -v[4:5]
	v_add_f64 v[2:3], v[2:3], v[4:5]
	v_mul_f64 v[4:5], v[84:85], v[220:221]
	v_fma_f64 v[4:5], v[82:83], v[222:223], -v[4:5]
	v_add_f64 v[2:3], v[2:3], v[4:5]
	v_mul_f64 v[4:5], v[88:89], v[202:203]
	v_fma_f64 v[4:5], v[86:87], v[206:207], -v[4:5]
	v_add_f64 v[2:3], v[2:3], v[4:5]
	v_mul_f64 v[4:5], v[92:93], v[224:225]
	v_fma_f64 v[4:5], v[90:91], v[230:231], -v[4:5]
	v_add_f64 v[2:3], v[2:3], v[4:5]
	v_mul_f64 v[4:5], v[96:97], v[180:181]
	v_fma_f64 v[4:5], v[94:95], v[228:229], -v[4:5]
	v_add_f64 v[2:3], v[2:3], v[4:5]
	v_mul_f64 v[4:5], v[100:101], v[226:227]
	v_fma_f64 v[4:5], v[98:99], v[232:233], -v[4:5]
	v_add_f64 v[2:3], v[2:3], v[4:5]
	v_mul_f64 v[4:5], v[108:109], v[236:237]
	v_fma_f64 v[4:5], v[106:107], v[238:239], -v[4:5]
	v_add_f64 v[2:3], v[2:3], v[4:5]
	v_mul_f64 v[4:5], v[104:105], v[242:243]
	v_fma_f64 v[4:5], v[102:103], v[244:245], -v[4:5]
	v_add_f64 v[2:3], v[2:3], v[4:5]
	v_mul_f64 v[4:5], v[112:113], v[234:235]
	v_fma_f64 v[4:5], v[110:111], v[240:241], -v[4:5]
	v_add_f64 v[2:3], v[2:3], v[4:5]
	v_mul_f64 v[4:5], v[116:117], v[184:185]
	v_fma_f64 v[4:5], v[114:115], v[246:247], -v[4:5]
	v_add_f64 v[2:3], v[2:3], v[4:5]
	s_waitcnt vmcnt(2)
	v_add_f64 v[2:3], v[250:251], -v[2:3]
	s_waitcnt vmcnt(0)
	v_add_f64 v[4:5], v[248:249], -v[182:183]
	buffer_store_dword v3, off, s[0:3], 0 offset:52
	buffer_store_dword v2, off, s[0:3], 0 offset:48
	;; [unrolled: 1-line block ×4, first 2 shown]
	s_and_saveexec_b64 s[4:5], vcc
	s_cbranch_execz .LBB102_245
; %bb.244:
	v_accvgpr_read_b32 v1, a115
	buffer_load_dword v2, v1, s[0:3], 0 offen
	buffer_load_dword v3, v1, s[0:3], 0 offen offset:4
	buffer_load_dword v4, v1, s[0:3], 0 offen offset:8
	;; [unrolled: 1-line block ×3, first 2 shown]
	v_mov_b32_e32 v1, 0
	v_accvgpr_read_b32 v6, a116
	buffer_store_dword v1, off, s[0:3], 0 offset:32
	buffer_store_dword v1, off, s[0:3], 0 offset:36
	;; [unrolled: 1-line block ×4, first 2 shown]
	s_waitcnt vmcnt(4)
	ds_write_b128 v6, v[2:5]
.LBB102_245:
	s_or_b64 exec, exec, s[4:5]
	s_waitcnt lgkmcnt(0)
	; wave barrier
	s_waitcnt lgkmcnt(0)
	buffer_load_dword v66, off, s[0:3], 0 offset:48
	buffer_load_dword v67, off, s[0:3], 0 offset:52
	buffer_load_dword v68, off, s[0:3], 0 offset:56
	buffer_load_dword v69, off, s[0:3], 0 offset:60
	buffer_load_dword v70, off, s[0:3], 0 offset:64
	buffer_load_dword v71, off, s[0:3], 0 offset:68
	buffer_load_dword v72, off, s[0:3], 0 offset:72
	buffer_load_dword v73, off, s[0:3], 0 offset:76
	buffer_load_dword v78, off, s[0:3], 0 offset:88
	buffer_load_dword v79, off, s[0:3], 0 offset:92
	buffer_load_dword v91, off, s[0:3], 0 offset:124
	buffer_load_dword v90, off, s[0:3], 0 offset:120
	buffer_load_dword v93, off, s[0:3], 0 offset:116
	buffer_load_dword v92, off, s[0:3], 0 offset:112
	buffer_load_dword v83, off, s[0:3], 0 offset:108
	buffer_load_dword v82, off, s[0:3], 0 offset:104
	buffer_load_dword v103, off, s[0:3], 0 offset:156
	buffer_load_dword v102, off, s[0:3], 0 offset:152
	buffer_load_dword v104, off, s[0:3], 0 offset:144
	buffer_load_dword v95, off, s[0:3], 0 offset:140
	buffer_load_dword v94, off, s[0:3], 0 offset:136
	buffer_load_dword v107, off, s[0:3], 0 offset:172
	buffer_load_dword v106, off, s[0:3], 0 offset:168
	buffer_load_dword v80, off, s[0:3], 0 offset:80
	buffer_load_dword v81, off, s[0:3], 0 offset:84
	buffer_load_dword v85, off, s[0:3], 0 offset:100
	buffer_load_dword v84, off, s[0:3], 0 offset:96
	buffer_load_dword v97, off, s[0:3], 0 offset:132
	buffer_load_dword v96, off, s[0:3], 0 offset:128
	buffer_load_dword v105, off, s[0:3], 0 offset:148
	buffer_load_dword v196, off, s[0:3], 0 offset:184
	buffer_load_dword v198, off, s[0:3], 0 offset:176
	buffer_load_dword v199, off, s[0:3], 0 offset:180
	buffer_load_dword v197, off, s[0:3], 0 offset:188
	buffer_load_dword v109, off, s[0:3], 0 offset:164
	buffer_load_dword v108, off, s[0:3], 0 offset:160
	buffer_load_dword v201, off, s[0:3], 0 offset:220
	buffer_load_dword v200, off, s[0:3], 0 offset:216
	buffer_load_dword v203, off, s[0:3], 0 offset:212
	buffer_load_dword v202, off, s[0:3], 0 offset:208
	buffer_load_dword v205, off, s[0:3], 0 offset:204
	buffer_load_dword v204, off, s[0:3], 0 offset:200
	buffer_load_dword v207, off, s[0:3], 0 offset:196
	buffer_load_dword v206, off, s[0:3], 0 offset:192
	buffer_load_dword v209, off, s[0:3], 0 offset:252
	buffer_load_dword v208, off, s[0:3], 0 offset:248
	buffer_load_dword v211, off, s[0:3], 0 offset:244
	buffer_load_dword v210, off, s[0:3], 0 offset:240
	buffer_load_dword v217, off, s[0:3], 0 offset:236
	buffer_load_dword v216, off, s[0:3], 0 offset:232
	buffer_load_dword v121, off, s[0:3], 0 offset:228
	buffer_load_dword v120, off, s[0:3], 0 offset:224
	buffer_load_dword v213, off, s[0:3], 0 offset:284
	buffer_load_dword v212, off, s[0:3], 0 offset:280
	buffer_load_dword v215, off, s[0:3], 0 offset:276
	v_mov_b32_e32 v186, 0
	ds_read_b128 v[74:77], v186 offset:656
	ds_read_b128 v[86:89], v186 offset:672
	;; [unrolled: 1-line block ×9, first 2 shown]
	buffer_load_dword v214, off, s[0:3], 0 offset:272
	buffer_load_dword v135, off, s[0:3], 0 offset:268
	;; [unrolled: 1-line block ×61, first 2 shown]
	v_cmp_ne_u32_e32 vcc, 0, v0
	s_waitcnt vmcnt(62) lgkmcnt(8)
	v_mul_f64 v[6:7], v[74:75], v[68:69]
	v_fmac_f64_e32 v[6:7], v[76:77], v[66:67]
	v_add_f64 v[6:7], v[6:7], 0
	v_mul_f64 v[68:69], v[76:77], v[68:69]
	s_waitcnt lgkmcnt(7)
	v_mul_f64 v[8:9], v[86:87], v[72:73]
	v_fmac_f64_e32 v[8:9], v[88:89], v[70:71]
	s_waitcnt lgkmcnt(6)
	v_mul_f64 v[10:11], v[98:99], v[78:79]
	v_add_f64 v[6:7], v[6:7], v[8:9]
	s_waitcnt lgkmcnt(4)
	v_mul_f64 v[14:15], v[114:115], v[90:91]
	v_fma_f64 v[188:189], v[74:75], v[66:67], -v[68:69]
	v_fmac_f64_e32 v[14:15], v[116:117], v[92:93]
	v_mul_f64 v[72:73], v[88:89], v[72:73]
	v_mul_f64 v[12:13], v[110:111], v[82:83]
	;; [unrolled: 1-line block ×3, first 2 shown]
	s_waitcnt lgkmcnt(2)
	v_mul_f64 v[18:19], v[176:177], v[102:103]
	v_mul_f64 v[82:83], v[112:113], v[82:83]
	;; [unrolled: 1-line block ×4, first 2 shown]
	v_fma_f64 v[194:195], v[114:115], v[92:93], -v[90:91]
	s_waitcnt lgkmcnt(1)
	v_mul_f64 v[20:21], v[180:181], v[106:107]
	v_fmac_f64_e32 v[20:21], v[182:183], v[108:109]
	v_fmac_f64_e32 v[10:11], v[100:101], v[80:81]
	v_add_f64 v[6:7], v[6:7], v[10:11]
	v_fmac_f64_e32 v[12:13], v[112:113], v[84:85]
	v_add_f64 v[6:7], v[6:7], v[12:13]
	;; [unrolled: 2-line block ×4, first 2 shown]
	v_add_f64 v[6:7], v[6:7], v[18:19]
	v_add_f64 v[10:11], v[6:7], v[20:21]
	ds_read_b128 v[6:9], v186 offset:800
	s_waitcnt lgkmcnt(1)
	v_mul_f64 v[12:13], v[2:3], v[196:197]
	v_fmac_f64_e32 v[12:13], v[4:5], v[198:199]
	v_add_f64 v[14:15], v[10:11], v[12:13]
	ds_read_b128 v[10:13], v186 offset:816
	s_waitcnt lgkmcnt(1)
	v_mul_f64 v[16:17], v[6:7], v[204:205]
	v_fmac_f64_e32 v[16:17], v[8:9], v[206:207]
	;; [unrolled: 5-line block ×5, first 2 shown]
	v_add_f64 v[30:31], v[26:27], v[28:29]
	ds_read_b128 v[26:29], v186 offset:880
	s_waitcnt vmcnt(58) lgkmcnt(1)
	v_mul_f64 v[32:33], v[22:23], v[134:135]
	s_waitcnt vmcnt(56)
	v_fmac_f64_e32 v[32:33], v[24:25], v[138:139]
	v_add_f64 v[34:35], v[30:31], v[32:33]
	ds_read_b128 v[30:33], v186 offset:896
	s_waitcnt lgkmcnt(1)
	v_mul_f64 v[36:37], v[26:27], v[212:213]
	v_fmac_f64_e32 v[36:37], v[28:29], v[214:215]
	v_add_f64 v[38:39], v[34:35], v[36:37]
	ds_read_b128 v[34:37], v186 offset:912
	s_waitcnt vmcnt(50) lgkmcnt(1)
	v_mul_f64 v[40:41], v[30:31], v[142:143]
	s_waitcnt vmcnt(48)
	v_fmac_f64_e32 v[40:41], v[32:33], v[218:219]
	v_add_f64 v[42:43], v[38:39], v[40:41]
	ds_read_b128 v[38:41], v186 offset:928
	s_waitcnt lgkmcnt(1)
	v_mul_f64 v[44:45], v[34:35], v[122:123]
	v_fmac_f64_e32 v[44:45], v[36:37], v[124:125]
	v_add_f64 v[46:47], v[42:43], v[44:45]
	ds_read_b128 v[42:45], v186 offset:944
	s_waitcnt vmcnt(42) lgkmcnt(1)
	v_mul_f64 v[48:49], v[38:39], v[222:223]
	s_waitcnt vmcnt(40)
	v_fmac_f64_e32 v[48:49], v[40:41], v[226:227]
	v_add_f64 v[50:51], v[46:47], v[48:49]
	ds_read_b128 v[46:49], v186 offset:960
	buffer_load_dword v147, off, s[0:3], 0 offset:524
	buffer_load_dword v146, off, s[0:3], 0 offset:520
	;; [unrolled: 1-line block ×4, first 2 shown]
	s_waitcnt lgkmcnt(1)
	v_mul_f64 v[52:53], v[42:43], v[126:127]
	v_fmac_f64_e32 v[52:53], v[44:45], v[128:129]
	v_add_f64 v[54:55], v[50:51], v[52:53]
	ds_read_b128 v[50:53], v186 offset:976
	buffer_load_dword v151, off, s[0:3], 0 offset:540
	buffer_load_dword v150, off, s[0:3], 0 offset:536
	;; [unrolled: 1-line block ×8, first 2 shown]
	s_waitcnt vmcnt(46) lgkmcnt(1)
	v_mul_f64 v[56:57], v[46:47], v[230:231]
	s_waitcnt vmcnt(44)
	v_fmac_f64_e32 v[56:57], v[48:49], v[234:235]
	v_add_f64 v[58:59], v[54:55], v[56:57]
	ds_read_b128 v[54:57], v186 offset:992
	buffer_load_dword v161, off, s[0:3], 0 offset:572
	buffer_load_dword v160, off, s[0:3], 0 offset:568
	;; [unrolled: 1-line block ×12, first 2 shown]
	s_waitcnt lgkmcnt(1)
	v_mul_f64 v[60:61], v[50:51], v[130:131]
	v_fmac_f64_e32 v[60:61], v[52:53], v[132:133]
	v_add_f64 v[62:63], v[58:59], v[60:61]
	ds_read_b128 v[58:61], v186 offset:1008
	s_waitcnt vmcnt(50) lgkmcnt(1)
	v_mul_f64 v[64:65], v[54:55], v[238:239]
	s_waitcnt vmcnt(48)
	v_fmac_f64_e32 v[64:65], v[56:57], v[240:241]
	v_add_f64 v[62:63], v[62:63], v[64:65]
	buffer_load_dword v255, off, s[0:3], 0 offset:620
	buffer_load_dword v254, off, s[0:3], 0 offset:616
	;; [unrolled: 1-line block ×4, first 2 shown]
	s_waitcnt lgkmcnt(0)
	v_mul_f64 v[64:65], v[58:59], v[136:137]
	v_fmac_f64_e32 v[64:65], v[60:61], v[140:141]
	v_add_f64 v[184:185], v[62:63], v[64:65]
	ds_read_b128 v[62:65], v186 offset:1024
	ds_read_b128 v[66:69], v186 offset:1040
	v_fma_f64 v[190:191], v[98:99], v[80:81], -v[78:79]
	ds_read_b128 v[78:81], v186 offset:1088
	v_fma_f64 v[192:193], v[110:111], v[84:85], -v[82:83]
	ds_read_b128 v[82:85], v186 offset:1104
	s_waitcnt vmcnt(46) lgkmcnt(3)
	v_mul_f64 v[74:75], v[62:63], v[242:243]
	s_waitcnt vmcnt(44)
	v_fmac_f64_e32 v[74:75], v[64:65], v[244:245]
	v_add_f64 v[74:75], v[184:185], v[74:75]
	v_fma_f64 v[184:185], v[86:87], v[70:71], -v[72:73]
	ds_read_b128 v[70:73], v186 offset:1056
	s_waitcnt lgkmcnt(3)
	v_mul_f64 v[76:77], v[66:67], v[144:145]
	v_fmac_f64_e32 v[76:77], v[68:69], v[220:221]
	v_add_f64 v[86:87], v[74:75], v[76:77]
	ds_read_b128 v[74:77], v186 offset:1072
	s_waitcnt vmcnt(38) lgkmcnt(1)
	v_mul_f64 v[88:89], v[70:71], v[246:247]
	s_waitcnt vmcnt(36)
	v_fmac_f64_e32 v[88:89], v[72:73], v[248:249]
	v_add_f64 v[86:87], v[86:87], v[88:89]
	ds_read_b128 v[90:93], v186 offset:1136
	s_waitcnt lgkmcnt(1)
	v_mul_f64 v[88:89], v[74:75], v[224:225]
	v_fmac_f64_e32 v[88:89], v[76:77], v[228:229]
	v_add_f64 v[86:87], v[86:87], v[88:89]
	s_waitcnt vmcnt(30)
	v_mul_f64 v[88:89], v[78:79], v[250:251]
	s_waitcnt vmcnt(28)
	v_fmac_f64_e32 v[88:89], v[80:81], v[252:253]
	v_add_f64 v[86:87], v[86:87], v[88:89]
	v_mul_f64 v[88:89], v[82:83], v[232:233]
	v_fmac_f64_e32 v[88:89], v[84:85], v[236:237]
	v_add_f64 v[98:99], v[86:87], v[88:89]
	ds_read_b128 v[86:89], v186 offset:1120
	v_mul_f64 v[94:95], v[174:175], v[94:95]
	v_fma_f64 v[118:119], v[172:173], v[96:97], -v[94:95]
	ds_read_b128 v[94:97], v186 offset:1152
	v_mul_f64 v[102:103], v[178:179], v[102:103]
	v_fma_f64 v[178:179], v[176:177], v[104:105], -v[102:103]
	;; [unrolled: 3-line block ×3, first 2 shown]
	v_mul_f64 v[4:5], v[4:5], v[196:197]
	v_fma_f64 v[2:3], v[2:3], v[198:199], -v[4:5]
	v_mul_f64 v[4:5], v[8:9], v[204:205]
	v_fma_f64 v[4:5], v[6:7], v[206:207], -v[4:5]
	ds_read_b128 v[106:109], v186 offset:1200
	s_waitcnt vmcnt(26) lgkmcnt(3)
	v_mul_f64 v[100:101], v[86:87], v[146:147]
	s_waitcnt vmcnt(24)
	v_fmac_f64_e32 v[100:101], v[88:89], v[148:149]
	v_add_f64 v[98:99], v[98:99], v[100:101]
	s_waitcnt vmcnt(22)
	v_mul_f64 v[100:101], v[90:91], v[150:151]
	s_waitcnt vmcnt(20)
	v_fmac_f64_e32 v[100:101], v[92:93], v[154:155]
	v_add_f64 v[98:99], v[98:99], v[100:101]
	s_waitcnt vmcnt(18) lgkmcnt(2)
	v_mul_f64 v[100:101], v[94:95], v[152:153]
	s_waitcnt vmcnt(16)
	v_fmac_f64_e32 v[100:101], v[96:97], v[156:157]
	v_add_f64 v[110:111], v[98:99], v[100:101]
	ds_read_b128 v[98:101], v186 offset:1168
	s_waitcnt vmcnt(14) lgkmcnt(0)
	v_mul_f64 v[112:113], v[98:99], v[160:161]
	s_waitcnt vmcnt(12)
	v_fmac_f64_e32 v[112:113], v[100:101], v[162:163]
	v_add_f64 v[110:111], v[110:111], v[112:113]
	s_waitcnt vmcnt(9)
	v_mul_f64 v[112:113], v[102:103], v[166:167]
	s_waitcnt vmcnt(7)
	v_fmac_f64_e32 v[112:113], v[104:105], v[168:169]
	v_add_f64 v[110:111], v[110:111], v[112:113]
	s_waitcnt vmcnt(5)
	v_mul_f64 v[112:113], v[106:107], v[158:159]
	s_waitcnt vmcnt(4)
	v_fmac_f64_e32 v[112:113], v[108:109], v[164:165]
	v_add_f64 v[114:115], v[110:111], v[112:113]
	ds_read_b128 v[110:113], v186 offset:1216
	buffer_load_dword v174, off, s[0:3], 0 offset:632
	buffer_load_dword v175, off, s[0:3], 0 offset:636
	;; [unrolled: 1-line block ×4, first 2 shown]
	s_waitcnt vmcnt(6) lgkmcnt(0)
	v_mul_f64 v[116:117], v[110:111], v[254:255]
	s_waitcnt vmcnt(4)
	v_fmac_f64_e32 v[116:117], v[112:113], v[170:171]
	v_add_f64 v[172:173], v[114:115], v[116:117]
	ds_read_b128 v[114:117], v186 offset:1232
	s_waitcnt vmcnt(2) lgkmcnt(0)
	v_mul_f64 v[180:181], v[114:115], v[174:175]
	s_waitcnt vmcnt(0)
	v_fmac_f64_e32 v[180:181], v[116:117], v[176:177]
	v_add_f64 v[172:173], v[172:173], v[180:181]
	v_add_f64 v[180:181], v[188:189], 0
	;; [unrolled: 1-line block ×7, first 2 shown]
	buffer_load_dword v180, off, s[0:3], 0 offset:32
	buffer_load_dword v181, off, s[0:3], 0 offset:36
	v_add_f64 v[184:185], v[118:119], v[178:179]
	buffer_load_dword v178, off, s[0:3], 0 offset:40
	buffer_load_dword v179, off, s[0:3], 0 offset:44
	v_add_f64 v[118:119], v[184:185], v[182:183]
	v_add_f64 v[2:3], v[118:119], v[2:3]
	;; [unrolled: 1-line block ×3, first 2 shown]
	v_mul_f64 v[4:5], v[12:13], v[200:201]
	v_fma_f64 v[4:5], v[10:11], v[202:203], -v[4:5]
	v_add_f64 v[2:3], v[2:3], v[4:5]
	v_mul_f64 v[4:5], v[16:17], v[216:217]
	v_fma_f64 v[4:5], v[14:15], v[120:121], -v[4:5]
	v_add_f64 v[2:3], v[2:3], v[4:5]
	;; [unrolled: 3-line block ×27, first 2 shown]
	s_waitcnt vmcnt(2)
	v_add_f64 v[2:3], v[180:181], -v[2:3]
	s_waitcnt vmcnt(0)
	v_add_f64 v[4:5], v[178:179], -v[172:173]
	buffer_store_dword v3, off, s[0:3], 0 offset:36
	buffer_store_dword v2, off, s[0:3], 0 offset:32
	;; [unrolled: 1-line block ×4, first 2 shown]
	s_and_saveexec_b64 s[4:5], vcc
	s_cbranch_execz .LBB102_247
; %bb.246:
	buffer_load_dword v0, off, s[0:3], 0 offset:16
	buffer_load_dword v1, off, s[0:3], 0 offset:20
	;; [unrolled: 1-line block ×4, first 2 shown]
	v_accvgpr_read_b32 v4, a116
	buffer_store_dword v186, off, s[0:3], 0 offset:16
	buffer_store_dword v186, off, s[0:3], 0 offset:20
	;; [unrolled: 1-line block ×4, first 2 shown]
	s_waitcnt vmcnt(4)
	ds_write_b128 v4, v[0:3]
.LBB102_247:
	s_or_b64 exec, exec, s[4:5]
	s_waitcnt lgkmcnt(0)
	; wave barrier
	s_waitcnt lgkmcnt(0)
	buffer_load_dword v60, off, s[0:3], 0 offset:32
	buffer_load_dword v61, off, s[0:3], 0 offset:36
	buffer_load_dword v62, off, s[0:3], 0 offset:40
	buffer_load_dword v63, off, s[0:3], 0 offset:44
	buffer_load_dword v64, off, s[0:3], 0 offset:48
	buffer_load_dword v65, off, s[0:3], 0 offset:52
	buffer_load_dword v66, off, s[0:3], 0 offset:56
	buffer_load_dword v67, off, s[0:3], 0 offset:60
	buffer_load_dword v68, off, s[0:3], 0 offset:72
	buffer_load_dword v69, off, s[0:3], 0 offset:76
	buffer_load_dword v81, off, s[0:3], 0 offset:108
	buffer_load_dword v80, off, s[0:3], 0 offset:104
	buffer_load_dword v83, off, s[0:3], 0 offset:100
	buffer_load_dword v82, off, s[0:3], 0 offset:96
	buffer_load_dword v77, off, s[0:3], 0 offset:92
	buffer_load_dword v76, off, s[0:3], 0 offset:88
	buffer_load_dword v93, off, s[0:3], 0 offset:140
	buffer_load_dword v92, off, s[0:3], 0 offset:136
	buffer_load_dword v95, off, s[0:3], 0 offset:132
	buffer_load_dword v94, off, s[0:3], 0 offset:128
	buffer_load_dword v89, off, s[0:3], 0 offset:124
	buffer_load_dword v88, off, s[0:3], 0 offset:120
	buffer_load_dword v105, off, s[0:3], 0 offset:172
	buffer_load_dword v104, off, s[0:3], 0 offset:168
	buffer_load_dword v106, off, s[0:3], 0 offset:160
	buffer_load_dword v101, off, s[0:3], 0 offset:156
	buffer_load_dword v100, off, s[0:3], 0 offset:152
	buffer_load_dword v117, off, s[0:3], 0 offset:188
	buffer_load_dword v116, off, s[0:3], 0 offset:184
	buffer_load_dword v70, off, s[0:3], 0 offset:64
	buffer_load_dword v71, off, s[0:3], 0 offset:68
	buffer_load_dword v79, off, s[0:3], 0 offset:84
	buffer_load_dword v78, off, s[0:3], 0 offset:80
	buffer_load_dword v91, off, s[0:3], 0 offset:116
	buffer_load_dword v90, off, s[0:3], 0 offset:112
	buffer_load_dword v103, off, s[0:3], 0 offset:148
	buffer_load_dword v102, off, s[0:3], 0 offset:144
	buffer_load_dword v107, off, s[0:3], 0 offset:164
	buffer_load_dword v196, off, s[0:3], 0 offset:200
	buffer_load_dword v198, off, s[0:3], 0 offset:192
	buffer_load_dword v199, off, s[0:3], 0 offset:196
	buffer_load_dword v197, off, s[0:3], 0 offset:204
	ds_read_b128 v[72:75], v186 offset:640
	ds_read_b128 v[84:87], v186 offset:656
	;; [unrolled: 1-line block ×10, first 2 shown]
	buffer_load_dword v205, off, s[0:3], 0 offset:180
	buffer_load_dword v204, off, s[0:3], 0 offset:176
	ds_read_b128 v[4:7], v186 offset:800
	buffer_load_dword v201, off, s[0:3], 0 offset:236
	buffer_load_dword v200, off, s[0:3], 0 offset:232
	;; [unrolled: 1-line block ×80, first 2 shown]
	s_and_b64 vcc, exec, s[16:17]
	s_waitcnt vmcnt(62) lgkmcnt(10)
	v_mul_f64 v[8:9], v[72:73], v[62:63]
	v_fmac_f64_e32 v[8:9], v[74:75], v[60:61]
	v_add_f64 v[8:9], v[8:9], 0
	v_mul_f64 v[62:63], v[74:75], v[62:63]
	s_waitcnt lgkmcnt(9)
	v_mul_f64 v[10:11], v[84:85], v[66:67]
	v_fmac_f64_e32 v[10:11], v[86:87], v[64:65]
	s_waitcnt lgkmcnt(8)
	v_mul_f64 v[12:13], v[96:97], v[68:69]
	v_add_f64 v[8:9], v[8:9], v[10:11]
	s_waitcnt lgkmcnt(6)
	v_mul_f64 v[16:17], v[112:113], v[80:81]
	v_fma_f64 v[190:191], v[72:73], v[60:61], -v[62:63]
	v_fmac_f64_e32 v[16:17], v[114:115], v[82:83]
	v_mul_f64 v[66:67], v[86:87], v[66:67]
	v_mul_f64 v[14:15], v[108:109], v[76:77]
	;; [unrolled: 1-line block ×3, first 2 shown]
	s_waitcnt lgkmcnt(4)
	v_mul_f64 v[20:21], v[174:175], v[92:93]
	v_mul_f64 v[76:77], v[110:111], v[76:77]
	v_fmac_f64_e32 v[20:21], v[176:177], v[94:95]
	v_mul_f64 v[80:81], v[114:115], v[80:81]
	v_mul_f64 v[18:19], v[170:171], v[88:89]
	v_fma_f64 v[194:195], v[112:113], v[82:83], -v[80:81]
	s_waitcnt lgkmcnt(2)
	v_mul_f64 v[24:25], v[182:183], v[104:105]
	v_mul_f64 v[88:89], v[172:173], v[88:89]
	;; [unrolled: 1-line block ×4, first 2 shown]
	v_fma_f64 v[176:177], v[174:175], v[94:95], -v[92:93]
	s_waitcnt lgkmcnt(1)
	v_mul_f64 v[26:27], v[0:1], v[116:117]
	v_mul_f64 v[100:101], v[180:181], v[100:101]
	v_fmac_f64_e32 v[12:13], v[98:99], v[70:71]
	v_add_f64 v[8:9], v[8:9], v[12:13]
	v_fmac_f64_e32 v[14:15], v[110:111], v[78:79]
	v_add_f64 v[8:9], v[8:9], v[14:15]
	;; [unrolled: 2-line block ×3, first 2 shown]
	v_add_f64 v[8:9], v[8:9], v[18:19]
	v_fmac_f64_e32 v[22:23], v[180:181], v[102:103]
	v_add_f64 v[8:9], v[8:9], v[20:21]
	v_fmac_f64_e32 v[24:25], v[184:185], v[106:107]
	v_add_f64 v[8:9], v[8:9], v[22:23]
	v_add_f64 v[8:9], v[8:9], v[24:25]
	s_waitcnt lgkmcnt(0)
	v_mul_f64 v[14:15], v[4:5], v[196:197]
	v_fmac_f64_e32 v[26:27], v[2:3], v[204:205]
	v_add_f64 v[12:13], v[8:9], v[26:27]
	ds_read_b128 v[8:11], v186 offset:816
	v_fmac_f64_e32 v[14:15], v[6:7], v[198:199]
	v_add_f64 v[16:17], v[12:13], v[14:15]
	ds_read_b128 v[12:15], v186 offset:832
	v_fma_f64 v[192:193], v[108:109], v[78:79], -v[76:77]
	s_waitcnt lgkmcnt(1)
	v_mul_f64 v[18:19], v[8:9], v[206:207]
	v_fmac_f64_e32 v[18:19], v[10:11], v[222:223]
	v_add_f64 v[20:21], v[16:17], v[18:19]
	ds_read_b128 v[16:19], v186 offset:848
	s_waitcnt lgkmcnt(1)
	v_mul_f64 v[22:23], v[12:13], v[200:201]
	v_fmac_f64_e32 v[22:23], v[14:15], v[202:203]
	v_add_f64 v[24:25], v[20:21], v[22:23]
	ds_read_b128 v[20:23], v186 offset:864
	;; [unrolled: 5-line block ×4, first 2 shown]
	s_waitcnt vmcnt(58) lgkmcnt(1)
	v_mul_f64 v[34:35], v[24:25], v[234:235]
	s_waitcnt vmcnt(56)
	v_fmac_f64_e32 v[34:35], v[26:27], v[238:239]
	v_add_f64 v[36:37], v[32:33], v[34:35]
	ds_read_b128 v[32:35], v186 offset:912
	s_waitcnt lgkmcnt(1)
	v_mul_f64 v[38:39], v[28:29], v[212:213]
	v_fmac_f64_e32 v[38:39], v[30:31], v[214:215]
	v_add_f64 v[40:41], v[36:37], v[38:39]
	ds_read_b128 v[36:39], v186 offset:928
	s_waitcnt vmcnt(50) lgkmcnt(1)
	v_mul_f64 v[42:43], v[32:33], v[242:243]
	s_waitcnt vmcnt(48)
	v_fmac_f64_e32 v[42:43], v[34:35], v[246:247]
	v_add_f64 v[44:45], v[40:41], v[42:43]
	ds_read_b128 v[40:43], v186 offset:944
	s_waitcnt lgkmcnt(1)
	v_mul_f64 v[46:47], v[36:37], v[216:217]
	v_fmac_f64_e32 v[46:47], v[38:39], v[218:219]
	v_add_f64 v[48:49], v[44:45], v[46:47]
	ds_read_b128 v[44:47], v186 offset:960
	s_waitcnt vmcnt(42) lgkmcnt(1)
	v_mul_f64 v[50:51], v[40:41], v[250:251]
	s_waitcnt vmcnt(40)
	v_fmac_f64_e32 v[50:51], v[42:43], v[254:255]
	v_add_f64 v[52:53], v[48:49], v[50:51]
	ds_read_b128 v[48:51], v186 offset:976
	buffer_load_dword v146, off, s[0:3], 0 offset:552
	buffer_load_dword v151, off, s[0:3], 0 offset:540
	;; [unrolled: 1-line block ×8, first 2 shown]
	s_waitcnt lgkmcnt(1)
	v_mul_f64 v[54:55], v[44:45], v[220:221]
	v_fmac_f64_e32 v[54:55], v[46:47], v[224:225]
	v_add_f64 v[56:57], v[52:53], v[54:55]
	ds_read_b128 v[52:55], v186 offset:992
	buffer_load_dword v155, off, s[0:3], 0 offset:572
	buffer_load_dword v154, off, s[0:3], 0 offset:568
	;; [unrolled: 1-line block ×4, first 2 shown]
	s_waitcnt vmcnt(46) lgkmcnt(1)
	v_mul_f64 v[58:59], v[48:49], v[122:123]
	s_waitcnt vmcnt(44)
	v_fmac_f64_e32 v[58:59], v[50:51], v[126:127]
	v_add_f64 v[118:119], v[56:57], v[58:59]
	ds_read_b128 v[56:59], v186 offset:1008
	buffer_load_dword v159, off, s[0:3], 0 offset:588
	buffer_load_dword v158, off, s[0:3], 0 offset:584
	;; [unrolled: 1-line block ×8, first 2 shown]
	s_waitcnt lgkmcnt(1)
	v_mul_f64 v[188:189], v[52:53], v[228:229]
	v_fmac_f64_e32 v[188:189], v[54:55], v[232:233]
	v_add_f64 v[60:61], v[118:119], v[188:189]
	s_waitcnt vmcnt(46) lgkmcnt(0)
	v_mul_f64 v[62:63], v[56:57], v[130:131]
	s_waitcnt vmcnt(44)
	v_fmac_f64_e32 v[62:63], v[58:59], v[132:133]
	buffer_load_dword v166, off, s[0:3], 0 offset:616
	buffer_load_dword v168, off, s[0:3], 0 offset:608
	;; [unrolled: 1-line block ×4, first 2 shown]
	v_add_f64 v[72:73], v[60:61], v[62:63]
	ds_read_b128 v[60:63], v186 offset:1024
	v_fma_f64 v[118:119], v[84:85], v[64:65], -v[66:67]
	ds_read_b128 v[64:67], v186 offset:1040
	v_fma_f64 v[188:189], v[96:97], v[70:71], -v[68:69]
	ds_read_b128 v[68:71], v186 offset:1056
	ds_read_b128 v[76:79], v186 offset:1088
	s_waitcnt lgkmcnt(3)
	v_mul_f64 v[74:75], v[60:61], v[236:237]
	v_fmac_f64_e32 v[74:75], v[62:63], v[240:241]
	v_add_f64 v[72:73], v[72:73], v[74:75]
	s_waitcnt vmcnt(42) lgkmcnt(2)
	v_mul_f64 v[74:75], v[64:65], v[134:135]
	s_waitcnt vmcnt(40)
	v_fmac_f64_e32 v[74:75], v[66:67], v[136:137]
	v_add_f64 v[72:73], v[72:73], v[74:75]
	s_waitcnt lgkmcnt(1)
	v_mul_f64 v[74:75], v[68:69], v[244:245]
	v_fmac_f64_e32 v[74:75], v[70:71], v[248:249]
	v_add_f64 v[84:85], v[72:73], v[74:75]
	ds_read_b128 v[72:75], v186 offset:1072
	ds_read_b128 v[80:83], v186 offset:1104
	v_fma_f64 v[170:171], v[170:171], v[90:91], -v[88:89]
	ds_read_b128 v[88:91], v186 offset:1136
	ds_read_b128 v[92:95], v186 offset:1152
	s_waitcnt vmcnt(34) lgkmcnt(3)
	v_mul_f64 v[86:87], v[72:73], v[138:139]
	s_waitcnt vmcnt(32)
	v_fmac_f64_e32 v[86:87], v[74:75], v[140:141]
	v_add_f64 v[84:85], v[84:85], v[86:87]
	v_mul_f64 v[86:87], v[76:77], v[252:253]
	v_fmac_f64_e32 v[86:87], v[78:79], v[120:121]
	v_add_f64 v[84:85], v[84:85], v[86:87]
	s_waitcnt vmcnt(26) lgkmcnt(2)
	v_mul_f64 v[86:87], v[80:81], v[142:143]
	s_waitcnt vmcnt(24)
	v_fmac_f64_e32 v[86:87], v[82:83], v[144:145]
	v_add_f64 v[96:97], v[84:85], v[86:87]
	ds_read_b128 v[84:87], v186 offset:1120
	v_fma_f64 v[180:181], v[178:179], v[102:103], -v[100:101]
	ds_read_b128 v[100:103], v186 offset:1184
	v_mul_f64 v[104:105], v[184:185], v[104:105]
	v_fma_f64 v[182:183], v[182:183], v[106:107], -v[104:105]
	s_waitcnt lgkmcnt(1)
	v_mul_f64 v[98:99], v[84:85], v[124:125]
	v_fmac_f64_e32 v[98:99], v[86:87], v[128:129]
	v_add_f64 v[96:97], v[96:97], v[98:99]
	v_mul_f64 v[2:3], v[2:3], v[116:117]
	v_fma_f64 v[0:1], v[0:1], v[204:205], -v[2:3]
	v_mul_f64 v[2:3], v[6:7], v[196:197]
	v_fma_f64 v[2:3], v[4:5], v[198:199], -v[2:3]
	ds_read_b128 v[104:107], v186 offset:1200
	s_waitcnt vmcnt(21)
	v_mul_f64 v[98:99], v[88:89], v[150:151]
	s_waitcnt vmcnt(19)
	v_fmac_f64_e32 v[98:99], v[90:91], v[152:153]
	v_add_f64 v[96:97], v[96:97], v[98:99]
	s_waitcnt vmcnt(17)
	v_mul_f64 v[98:99], v[92:93], v[146:147]
	s_waitcnt vmcnt(16)
	v_fmac_f64_e32 v[98:99], v[94:95], v[148:149]
	v_add_f64 v[108:109], v[96:97], v[98:99]
	ds_read_b128 v[96:99], v186 offset:1168
	s_waitcnt vmcnt(14) lgkmcnt(0)
	v_mul_f64 v[110:111], v[96:97], v[154:155]
	s_waitcnt vmcnt(12)
	v_fmac_f64_e32 v[110:111], v[98:99], v[156:157]
	v_add_f64 v[108:109], v[108:109], v[110:111]
	s_waitcnt vmcnt(10)
	v_mul_f64 v[110:111], v[100:101], v[158:159]
	s_waitcnt vmcnt(8)
	v_fmac_f64_e32 v[110:111], v[102:103], v[162:163]
	v_add_f64 v[108:109], v[108:109], v[110:111]
	s_waitcnt vmcnt(6)
	v_mul_f64 v[110:111], v[104:105], v[160:161]
	s_waitcnt vmcnt(4)
	v_fmac_f64_e32 v[110:111], v[106:107], v[164:165]
	v_add_f64 v[112:113], v[108:109], v[110:111]
	ds_read_b128 v[108:111], v186 offset:1216
	buffer_load_dword v173, off, s[0:3], 0 offset:636
	buffer_load_dword v172, off, s[0:3], 0 offset:632
	;; [unrolled: 1-line block ×4, first 2 shown]
	s_waitcnt vmcnt(5) lgkmcnt(0)
	v_mul_f64 v[114:115], v[108:109], v[166:167]
	s_waitcnt vmcnt(4)
	v_fmac_f64_e32 v[114:115], v[110:111], v[168:169]
	v_add_f64 v[178:179], v[112:113], v[114:115]
	ds_read_b128 v[112:115], v186 offset:1232
	s_waitcnt vmcnt(2) lgkmcnt(0)
	v_mul_f64 v[184:185], v[112:113], v[172:173]
	s_waitcnt vmcnt(0)
	v_fmac_f64_e32 v[184:185], v[114:115], v[174:175]
	v_add_f64 v[186:187], v[178:179], v[184:185]
	v_add_f64 v[178:179], v[190:191], 0
	;; [unrolled: 1-line block ×7, first 2 shown]
	buffer_load_dword v178, off, s[0:3], 0 offset:16
	buffer_load_dword v179, off, s[0:3], 0 offset:20
	v_add_f64 v[184:185], v[118:119], v[176:177]
	buffer_load_dword v176, off, s[0:3], 0 offset:24
	buffer_load_dword v177, off, s[0:3], 0 offset:28
	v_add_f64 v[118:119], v[184:185], v[180:181]
	v_add_f64 v[118:119], v[118:119], v[182:183]
	;; [unrolled: 1-line block ×4, first 2 shown]
	v_mul_f64 v[2:3], v[10:11], v[206:207]
	v_fma_f64 v[2:3], v[8:9], v[222:223], -v[2:3]
	v_add_f64 v[0:1], v[0:1], v[2:3]
	v_mul_f64 v[2:3], v[14:15], v[200:201]
	v_fma_f64 v[2:3], v[12:13], v[202:203], -v[2:3]
	v_add_f64 v[0:1], v[0:1], v[2:3]
	;; [unrolled: 3-line block ×27, first 2 shown]
	s_waitcnt vmcnt(2)
	v_add_f64 v[0:1], v[178:179], -v[0:1]
	s_waitcnt vmcnt(0)
	v_add_f64 v[2:3], v[176:177], -v[186:187]
	buffer_store_dword v1, off, s[0:3], 0 offset:20
	buffer_store_dword v0, off, s[0:3], 0 offset:16
	;; [unrolled: 1-line block ×4, first 2 shown]
	s_cbranch_vccz .LBB102_325
; %bb.248:
	v_pk_mov_b32 v[0:1], s[10:11], s[10:11] op_sel:[0,1]
	flat_load_dword v0, v[0:1] offset:148
	s_waitcnt vmcnt(0) lgkmcnt(0)
	v_add_u32_e32 v0, -1, v0
	v_cmp_ne_u32_e32 vcc, 37, v0
	s_and_saveexec_b64 s[4:5], vcc
	s_cbranch_execz .LBB102_250
; %bb.249:
	v_mov_b32_e32 v1, 16
	v_accvgpr_read_b32 v9, a79
	v_lshl_add_u32 v0, v0, 4, v1
	buffer_load_dword v1, v9, s[0:3], 0 offen offset:4
	buffer_load_dword v2, v9, s[0:3], 0 offen offset:8
	buffer_load_dword v3, v9, s[0:3], 0 offen offset:12
	buffer_load_dword v4, v0, s[0:3], 0 offen
	buffer_load_dword v5, v0, s[0:3], 0 offen offset:4
	buffer_load_dword v6, v0, s[0:3], 0 offen offset:8
	buffer_load_dword v7, v0, s[0:3], 0 offen offset:12
	buffer_load_dword v8, v9, s[0:3], 0 offen
	s_waitcnt vmcnt(4)
	buffer_store_dword v4, v9, s[0:3], 0 offen
	s_waitcnt vmcnt(4)
	buffer_store_dword v5, v9, s[0:3], 0 offen offset:4
	s_waitcnt vmcnt(4)
	buffer_store_dword v6, v9, s[0:3], 0 offen offset:8
	s_waitcnt vmcnt(4)
	buffer_store_dword v7, v9, s[0:3], 0 offen offset:12
	buffer_store_dword v3, v0, s[0:3], 0 offen offset:12
	buffer_store_dword v2, v0, s[0:3], 0 offen offset:8
	buffer_store_dword v1, v0, s[0:3], 0 offen offset:4
	s_waitcnt vmcnt(7)
	buffer_store_dword v8, v0, s[0:3], 0 offen
.LBB102_250:
	s_or_b64 exec, exec, s[4:5]
	v_pk_mov_b32 v[0:1], s[10:11], s[10:11] op_sel:[0,1]
	flat_load_dword v0, v[0:1] offset:144
	s_waitcnt vmcnt(0) lgkmcnt(0)
	v_add_u32_e32 v0, -1, v0
	v_cmp_ne_u32_e32 vcc, 36, v0
	s_and_saveexec_b64 s[4:5], vcc
	s_cbranch_execz .LBB102_252
; %bb.251:
	v_mov_b32_e32 v1, 16
	v_accvgpr_read_b32 v9, a80
	v_lshl_add_u32 v0, v0, 4, v1
	buffer_load_dword v1, v9, s[0:3], 0 offen offset:4
	buffer_load_dword v2, v9, s[0:3], 0 offen offset:8
	buffer_load_dword v3, v9, s[0:3], 0 offen offset:12
	buffer_load_dword v4, v0, s[0:3], 0 offen
	buffer_load_dword v5, v0, s[0:3], 0 offen offset:4
	buffer_load_dword v6, v0, s[0:3], 0 offen offset:8
	buffer_load_dword v7, v0, s[0:3], 0 offen offset:12
	buffer_load_dword v8, v9, s[0:3], 0 offen
	s_waitcnt vmcnt(4)
	buffer_store_dword v4, v9, s[0:3], 0 offen
	s_waitcnt vmcnt(4)
	buffer_store_dword v5, v9, s[0:3], 0 offen offset:4
	s_waitcnt vmcnt(4)
	buffer_store_dword v6, v9, s[0:3], 0 offen offset:8
	s_waitcnt vmcnt(4)
	buffer_store_dword v7, v9, s[0:3], 0 offen offset:12
	buffer_store_dword v3, v0, s[0:3], 0 offen offset:12
	buffer_store_dword v2, v0, s[0:3], 0 offen offset:8
	buffer_store_dword v1, v0, s[0:3], 0 offen offset:4
	s_waitcnt vmcnt(7)
	buffer_store_dword v8, v0, s[0:3], 0 offen
.LBB102_252:
	s_or_b64 exec, exec, s[4:5]
	;; [unrolled: 34-line block ×37, first 2 shown]
	v_pk_mov_b32 v[0:1], s[10:11], s[10:11] op_sel:[0,1]
	flat_load_dword v0, v[0:1]
	s_waitcnt vmcnt(0) lgkmcnt(0)
	v_add_u32_e32 v0, -1, v0
	v_cmp_ne_u32_e32 vcc, 0, v0
	s_and_saveexec_b64 s[4:5], vcc
	s_cbranch_execz .LBB102_324
; %bb.323:
	v_mov_b32_e32 v1, 16
	v_lshl_add_u32 v0, v0, 4, v1
	buffer_load_dword v1, v0, s[0:3], 0 offen
	buffer_load_dword v2, v0, s[0:3], 0 offen offset:4
	buffer_load_dword v3, v0, s[0:3], 0 offen offset:8
	;; [unrolled: 1-line block ×3, first 2 shown]
	buffer_load_dword v5, off, s[0:3], 0 offset:28
	buffer_load_dword v6, off, s[0:3], 0 offset:24
	;; [unrolled: 1-line block ×4, first 2 shown]
	s_waitcnt vmcnt(7)
	buffer_store_dword v1, off, s[0:3], 0 offset:16
	s_waitcnt vmcnt(7)
	buffer_store_dword v2, off, s[0:3], 0 offset:20
	;; [unrolled: 2-line block ×4, first 2 shown]
	s_waitcnt vmcnt(7)
	buffer_store_dword v5, v0, s[0:3], 0 offen offset:12
	s_waitcnt vmcnt(7)
	buffer_store_dword v6, v0, s[0:3], 0 offen offset:8
	s_waitcnt vmcnt(7)
	buffer_store_dword v7, v0, s[0:3], 0 offen offset:4
	s_waitcnt vmcnt(7)
	buffer_store_dword v8, v0, s[0:3], 0 offen
.LBB102_324:
	s_or_b64 exec, exec, s[4:5]
.LBB102_325:
	buffer_load_dword v0, off, s[0:3], 0 offset:16
	buffer_load_dword v1, off, s[0:3], 0 offset:20
	;; [unrolled: 1-line block ×4, first 2 shown]
	v_accvgpr_read_b32 v13, a115
	buffer_load_dword v4, v13, s[0:3], 0 offen
	buffer_load_dword v5, v13, s[0:3], 0 offen offset:4
	buffer_load_dword v6, v13, s[0:3], 0 offen offset:8
	;; [unrolled: 1-line block ×3, first 2 shown]
	v_accvgpr_read_b32 v8, a114
	buffer_load_dword v9, v8, s[0:3], 0 offen offset:4
	buffer_load_dword v10, v8, s[0:3], 0 offen offset:8
	;; [unrolled: 1-line block ×3, first 2 shown]
	v_accvgpr_read_b32 v15, a113
	buffer_load_dword v12, v15, s[0:3], 0 offen
                                        ; kill: killed $vgpr13
	buffer_load_dword v13, v15, s[0:3], 0 offen offset:4
	buffer_load_dword v14, v15, s[0:3], 0 offen offset:8
	s_nop 0
	buffer_load_dword v8, v8, s[0:3], 0 offen
	s_nop 0
	buffer_load_dword v15, v15, s[0:3], 0 offen offset:12
	v_accvgpr_read_b32 v16, a112
	buffer_load_dword v17, v16, s[0:3], 0 offen offset:4
	buffer_load_dword v18, v16, s[0:3], 0 offen offset:8
	buffer_load_dword v19, v16, s[0:3], 0 offen offset:12
	v_accvgpr_read_b32 v23, a111
	buffer_load_dword v20, v23, s[0:3], 0 offen
	buffer_load_dword v21, v23, s[0:3], 0 offen offset:4
	buffer_load_dword v22, v23, s[0:3], 0 offen offset:8
	s_nop 0
	buffer_load_dword v16, v16, s[0:3], 0 offen
	s_nop 0
	buffer_load_dword v23, v23, s[0:3], 0 offen offset:12
	v_accvgpr_read_b32 v24, a110
	buffer_load_dword v25, v24, s[0:3], 0 offen offset:4
	buffer_load_dword v26, v24, s[0:3], 0 offen offset:8
	buffer_load_dword v27, v24, s[0:3], 0 offen offset:12
	v_accvgpr_read_b32 v31, a109
	buffer_load_dword v28, v31, s[0:3], 0 offen
	;; [unrolled: 12-line block ×14, first 2 shown]
	buffer_load_dword v129, v116, s[0:3], 0 offen offset:4
	buffer_load_dword v130, v116, s[0:3], 0 offen offset:8
	buffer_load_dword v124, v117, s[0:3], 0 offen
	buffer_load_dword v131, v116, s[0:3], 0 offen offset:12
	v_accvgpr_read_b32 v117, a84
	buffer_load_dword v133, v117, s[0:3], 0 offen offset:4
	buffer_load_dword v134, v117, s[0:3], 0 offen offset:8
	buffer_load_dword v135, v117, s[0:3], 0 offen offset:12
	v_accvgpr_read_b32 v116, a83
	buffer_load_dword v136, v116, s[0:3], 0 offen
	buffer_load_dword v137, v116, s[0:3], 0 offen offset:4
	buffer_load_dword v138, v116, s[0:3], 0 offen offset:8
	buffer_load_dword v132, v117, s[0:3], 0 offen
	buffer_load_dword v139, v116, s[0:3], 0 offen offset:12
	v_accvgpr_read_b32 v117, a82
	buffer_load_dword v141, v117, s[0:3], 0 offen offset:4
	buffer_load_dword v142, v117, s[0:3], 0 offen offset:8
	buffer_load_dword v143, v117, s[0:3], 0 offen offset:12
	v_accvgpr_read_b32 v116, a81
	buffer_load_dword v144, v116, s[0:3], 0 offen
	buffer_load_dword v145, v116, s[0:3], 0 offen offset:4
	buffer_load_dword v146, v116, s[0:3], 0 offen offset:8
	buffer_load_dword v140, v117, s[0:3], 0 offen
	buffer_load_dword v147, v116, s[0:3], 0 offen offset:12
	v_accvgpr_read_b32 v117, a80
	buffer_load_dword v149, v117, s[0:3], 0 offen offset:4
	buffer_load_dword v150, v117, s[0:3], 0 offen offset:8
	buffer_load_dword v151, v117, s[0:3], 0 offen offset:12
	v_accvgpr_read_b32 v116, a79
	buffer_load_dword v152, v116, s[0:3], 0 offen
	buffer_load_dword v153, v116, s[0:3], 0 offen offset:4
	buffer_load_dword v154, v116, s[0:3], 0 offen offset:8
	buffer_load_dword v148, v117, s[0:3], 0 offen
	buffer_load_dword v155, v116, s[0:3], 0 offen offset:12
	v_accvgpr_read_b32 v116, a78
	buffer_load_dword v156, v116, s[0:3], 0 offen
	buffer_load_dword v157, v116, s[0:3], 0 offen offset:4
	buffer_load_dword v158, v116, s[0:3], 0 offen offset:8
	;; [unrolled: 1-line block ×3, first 2 shown]
	v_accvgpr_read_b32 v117, a1
	v_accvgpr_read_b32 v116, a0
	s_waitcnt vmcnt(62)
	global_store_dwordx4 v[116:117], v[0:3], off
	s_nop 0
	v_accvgpr_read_b32 v0, a2
	v_accvgpr_read_b32 v1, a3
	global_store_dwordx4 v[0:1], v[4:7], off
	v_accvgpr_read_b32 v0, a4
	v_accvgpr_read_b32 v1, a5
	global_store_dwordx4 v[0:1], v[8:11], off
	v_accvgpr_read_b32 v0, a6
	v_accvgpr_read_b32 v1, a7
	global_store_dwordx4 v[0:1], v[12:15], off
	v_accvgpr_read_b32 v0, a8
	v_accvgpr_read_b32 v1, a9
	global_store_dwordx4 v[0:1], v[16:19], off
	v_accvgpr_read_b32 v0, a10
	v_accvgpr_read_b32 v1, a11
	global_store_dwordx4 v[0:1], v[20:23], off
	v_accvgpr_read_b32 v0, a12
	v_accvgpr_read_b32 v1, a13
	global_store_dwordx4 v[0:1], v[24:27], off
	v_accvgpr_read_b32 v0, a14
	v_accvgpr_read_b32 v1, a15
	global_store_dwordx4 v[0:1], v[28:31], off
	v_accvgpr_read_b32 v0, a16
	v_accvgpr_read_b32 v1, a17
	global_store_dwordx4 v[0:1], v[32:35], off
	v_accvgpr_read_b32 v0, a18
	v_accvgpr_read_b32 v1, a19
	global_store_dwordx4 v[0:1], v[36:39], off
	v_accvgpr_read_b32 v0, a20
	v_accvgpr_read_b32 v1, a21
	global_store_dwordx4 v[0:1], v[40:43], off
	v_accvgpr_read_b32 v0, a22
	v_accvgpr_read_b32 v1, a23
	global_store_dwordx4 v[0:1], v[44:47], off
	v_accvgpr_read_b32 v0, a24
	v_accvgpr_read_b32 v1, a25
	global_store_dwordx4 v[0:1], v[48:51], off
	v_accvgpr_read_b32 v0, a26
	v_accvgpr_read_b32 v1, a27
	global_store_dwordx4 v[0:1], v[52:55], off
	v_accvgpr_read_b32 v0, a28
	v_accvgpr_read_b32 v1, a29
	global_store_dwordx4 v[0:1], v[56:59], off
	v_accvgpr_read_b32 v0, a30
	v_accvgpr_read_b32 v1, a31
	global_store_dwordx4 v[0:1], v[60:63], off
	v_accvgpr_read_b32 v0, a32
	v_accvgpr_read_b32 v1, a33
	global_store_dwordx4 v[0:1], v[64:67], off
	v_accvgpr_read_b32 v0, a34
	v_accvgpr_read_b32 v1, a35
	global_store_dwordx4 v[0:1], v[68:71], off
	v_accvgpr_read_b32 v0, a36
	v_accvgpr_read_b32 v1, a37
	global_store_dwordx4 v[0:1], v[72:75], off
	v_accvgpr_read_b32 v0, a38
	v_accvgpr_read_b32 v1, a39
	global_store_dwordx4 v[0:1], v[76:79], off
	v_accvgpr_read_b32 v0, a40
	v_accvgpr_read_b32 v1, a41
	global_store_dwordx4 v[0:1], v[80:83], off
	v_accvgpr_read_b32 v0, a42
	v_accvgpr_read_b32 v1, a43
	global_store_dwordx4 v[0:1], v[84:87], off
	v_accvgpr_read_b32 v0, a44
	v_accvgpr_read_b32 v1, a45
	s_waitcnt vmcnt(62)
	global_store_dwordx4 v[0:1], v[88:91], off
	v_accvgpr_read_b32 v0, a46
	v_accvgpr_read_b32 v1, a47
	global_store_dwordx4 v[0:1], v[92:95], off
	v_accvgpr_read_b32 v0, a48
	v_accvgpr_read_b32 v1, a49
	;; [unrolled: 3-line block ×6, first 2 shown]
	s_waitcnt vmcnt(62)
	global_store_dwordx4 v[0:1], v[112:115], off
	v_accvgpr_read_b32 v0, a58
	v_accvgpr_read_b32 v1, a59
	global_store_dwordx4 v[0:1], v[120:123], off
	v_accvgpr_read_b32 v0, a60
	v_accvgpr_read_b32 v1, a61
	s_waitcnt vmcnt(59)
	global_store_dwordx4 v[0:1], v[124:127], off
	v_accvgpr_read_b32 v0, a62
	v_accvgpr_read_b32 v1, a63
	s_waitcnt vmcnt(59)
	;; [unrolled: 4-line block ×9, first 2 shown]
	global_store_dwordx4 v[0:1], v[156:159], off
	s_endpgm
	.section	.rodata,"a",@progbits
	.p2align	6, 0x0
	.amdhsa_kernel _ZN9rocsolver6v33100L18getri_kernel_smallILi39E19rocblas_complex_numIdEPKPS3_EEvT1_iilPiilS8_bb
		.amdhsa_group_segment_fixed_size 1256
		.amdhsa_private_segment_fixed_size 656
		.amdhsa_kernarg_size 60
		.amdhsa_user_sgpr_count 8
		.amdhsa_user_sgpr_private_segment_buffer 1
		.amdhsa_user_sgpr_dispatch_ptr 0
		.amdhsa_user_sgpr_queue_ptr 0
		.amdhsa_user_sgpr_kernarg_segment_ptr 1
		.amdhsa_user_sgpr_dispatch_id 0
		.amdhsa_user_sgpr_flat_scratch_init 1
		.amdhsa_user_sgpr_kernarg_preload_length 0
		.amdhsa_user_sgpr_kernarg_preload_offset 0
		.amdhsa_user_sgpr_private_segment_size 0
		.amdhsa_uses_dynamic_stack 0
		.amdhsa_system_sgpr_private_segment_wavefront_offset 1
		.amdhsa_system_sgpr_workgroup_id_x 1
		.amdhsa_system_sgpr_workgroup_id_y 0
		.amdhsa_system_sgpr_workgroup_id_z 0
		.amdhsa_system_sgpr_workgroup_info 0
		.amdhsa_system_vgpr_workitem_id 0
		.amdhsa_next_free_vgpr 373
		.amdhsa_next_free_sgpr 22
		.amdhsa_accum_offset 256
		.amdhsa_reserve_vcc 1
		.amdhsa_reserve_flat_scratch 1
		.amdhsa_float_round_mode_32 0
		.amdhsa_float_round_mode_16_64 0
		.amdhsa_float_denorm_mode_32 3
		.amdhsa_float_denorm_mode_16_64 3
		.amdhsa_dx10_clamp 1
		.amdhsa_ieee_mode 1
		.amdhsa_fp16_overflow 0
		.amdhsa_tg_split 0
		.amdhsa_exception_fp_ieee_invalid_op 0
		.amdhsa_exception_fp_denorm_src 0
		.amdhsa_exception_fp_ieee_div_zero 0
		.amdhsa_exception_fp_ieee_overflow 0
		.amdhsa_exception_fp_ieee_underflow 0
		.amdhsa_exception_fp_ieee_inexact 0
		.amdhsa_exception_int_div_zero 0
	.end_amdhsa_kernel
	.section	.text._ZN9rocsolver6v33100L18getri_kernel_smallILi39E19rocblas_complex_numIdEPKPS3_EEvT1_iilPiilS8_bb,"axG",@progbits,_ZN9rocsolver6v33100L18getri_kernel_smallILi39E19rocblas_complex_numIdEPKPS3_EEvT1_iilPiilS8_bb,comdat
.Lfunc_end102:
	.size	_ZN9rocsolver6v33100L18getri_kernel_smallILi39E19rocblas_complex_numIdEPKPS3_EEvT1_iilPiilS8_bb, .Lfunc_end102-_ZN9rocsolver6v33100L18getri_kernel_smallILi39E19rocblas_complex_numIdEPKPS3_EEvT1_iilPiilS8_bb
                                        ; -- End function
	.section	.AMDGPU.csdata,"",@progbits
; Kernel info:
; codeLenInByte = 102152
; NumSgprs: 28
; NumVgprs: 256
; NumAgprs: 117
; TotalNumVgprs: 373
; ScratchSize: 656
; MemoryBound: 0
; FloatMode: 240
; IeeeMode: 1
; LDSByteSize: 1256 bytes/workgroup (compile time only)
; SGPRBlocks: 3
; VGPRBlocks: 46
; NumSGPRsForWavesPerEU: 28
; NumVGPRsForWavesPerEU: 373
; AccumOffset: 256
; Occupancy: 1
; WaveLimiterHint : 1
; COMPUTE_PGM_RSRC2:SCRATCH_EN: 1
; COMPUTE_PGM_RSRC2:USER_SGPR: 8
; COMPUTE_PGM_RSRC2:TRAP_HANDLER: 0
; COMPUTE_PGM_RSRC2:TGID_X_EN: 1
; COMPUTE_PGM_RSRC2:TGID_Y_EN: 0
; COMPUTE_PGM_RSRC2:TGID_Z_EN: 0
; COMPUTE_PGM_RSRC2:TIDIG_COMP_CNT: 0
; COMPUTE_PGM_RSRC3_GFX90A:ACCUM_OFFSET: 63
; COMPUTE_PGM_RSRC3_GFX90A:TG_SPLIT: 0
	.section	.text._ZN9rocsolver6v33100L18getri_kernel_smallILi40E19rocblas_complex_numIdEPKPS3_EEvT1_iilPiilS8_bb,"axG",@progbits,_ZN9rocsolver6v33100L18getri_kernel_smallILi40E19rocblas_complex_numIdEPKPS3_EEvT1_iilPiilS8_bb,comdat
	.globl	_ZN9rocsolver6v33100L18getri_kernel_smallILi40E19rocblas_complex_numIdEPKPS3_EEvT1_iilPiilS8_bb ; -- Begin function _ZN9rocsolver6v33100L18getri_kernel_smallILi40E19rocblas_complex_numIdEPKPS3_EEvT1_iilPiilS8_bb
	.p2align	8
	.type	_ZN9rocsolver6v33100L18getri_kernel_smallILi40E19rocblas_complex_numIdEPKPS3_EEvT1_iilPiilS8_bb,@function
_ZN9rocsolver6v33100L18getri_kernel_smallILi40E19rocblas_complex_numIdEPKPS3_EEvT1_iilPiilS8_bb: ; @_ZN9rocsolver6v33100L18getri_kernel_smallILi40E19rocblas_complex_numIdEPKPS3_EEvT1_iilPiilS8_bb
; %bb.0:
	s_add_u32 flat_scratch_lo, s6, s9
	s_addc_u32 flat_scratch_hi, s7, 0
	s_add_u32 s0, s0, s9
	s_addc_u32 s1, s1, 0
	v_cmp_gt_u32_e32 vcc, 40, v0
	s_and_saveexec_b64 s[6:7], vcc
	s_cbranch_execz .LBB103_174
; %bb.1:
	s_load_dword s18, s[4:5], 0x38
	s_load_dwordx2 s[6:7], s[4:5], 0x0
	s_load_dwordx4 s[12:15], s[4:5], 0x28
	s_waitcnt lgkmcnt(0)
	s_bitcmp1_b32 s18, 8
	s_cselect_b64 s[16:17], -1, 0
	s_ashr_i32 s9, s8, 31
	s_lshl_b64 s[10:11], s[8:9], 3
	s_add_u32 s6, s6, s10
	s_addc_u32 s7, s7, s11
	s_load_dwordx2 s[6:7], s[6:7], 0x0
	s_bfe_u32 s10, s18, 0x10008
	s_cmp_eq_u32 s10, 0
                                        ; implicit-def: $sgpr10_sgpr11
	s_cbranch_scc1 .LBB103_3
; %bb.2:
	s_load_dword s10, s[4:5], 0x20
	s_load_dwordx2 s[20:21], s[4:5], 0x18
	s_mul_i32 s11, s8, s13
	s_mul_hi_u32 s13, s8, s12
	s_add_i32 s13, s13, s11
	s_mul_i32 s19, s9, s12
	s_add_i32 s13, s13, s19
	s_mul_i32 s12, s8, s12
	s_waitcnt lgkmcnt(0)
	s_ashr_i32 s11, s10, 31
	s_lshl_b64 s[12:13], s[12:13], 2
	s_add_u32 s12, s20, s12
	s_addc_u32 s13, s21, s13
	s_lshl_b64 s[10:11], s[10:11], 2
	s_add_u32 s10, s12, s10
	s_addc_u32 s11, s13, s11
.LBB103_3:
	s_load_dwordx2 s[4:5], s[4:5], 0x8
	v_lshlrev_b32_e32 v1, 4, v0
	s_waitcnt lgkmcnt(0)
	s_ashr_i32 s13, s4, 31
	s_mov_b32 s12, s4
	s_lshl_b64 s[12:13], s[12:13], 4
	s_add_u32 s6, s6, s12
	s_addc_u32 s7, s7, s13
	s_add_i32 s4, s5, s5
	v_add_u32_e32 v2, s4, v0
	v_add_u32_e32 v4, s5, v2
	;; [unrolled: 1-line block ×34, first 2 shown]
	v_ashrrev_i32_e32 v3, 31, v2
	v_add_u32_e32 v14, s5, v16
	v_lshlrev_b64 v[2:3], 4, v[2:3]
	v_add_u32_e32 v12, s5, v14
	v_mov_b32_e32 v5, s7
	v_add_co_u32_e32 v58, vcc, s6, v2
	v_add_u32_e32 v10, s5, v12
	v_addc_co_u32_e32 v59, vcc, v5, v3, vcc
	global_load_dwordx4 v[50:53], v1, s[6:7]
	v_add_u32_e32 v126, s5, v10
	v_mov_b32_e32 v2, s7
	v_add_co_u32_e32 v54, vcc, s6, v1
	s_mov_b32 s4, s5
	s_ashr_i32 s5, s5, 31
	v_addc_co_u32_e32 v55, vcc, 0, v2, vcc
	s_lshl_b64 s[4:5], s[4:5], 4
	v_mov_b32_e32 v2, s5
	v_add_co_u32_e32 v56, vcc, s4, v54
	v_accvgpr_write_b32 a2, v54
	v_addc_co_u32_e32 v57, vcc, v55, v2, vcc
	v_accvgpr_write_b32 a4, v56
	v_accvgpr_write_b32 a3, v55
	;; [unrolled: 1-line block ×3, first 2 shown]
	global_load_dwordx4 v[54:57], v[56:57], off
	v_accvgpr_write_b32 a0, v58
	v_accvgpr_write_b32 a1, v59
	global_load_dwordx4 v[58:61], v[58:59], off
	v_ashrrev_i32_e32 v5, 31, v4
	v_lshlrev_b64 v[2:3], 4, v[4:5]
	v_mov_b32_e32 v4, s7
	v_add_co_u32_e32 v62, vcc, s6, v2
	v_addc_co_u32_e32 v63, vcc, v4, v3, vcc
	v_accvgpr_write_b32 a6, v62
	v_ashrrev_i32_e32 v7, 31, v6
	v_accvgpr_write_b32 a7, v63
	global_load_dwordx4 v[62:65], v[62:63], off
	v_lshlrev_b64 v[2:3], 4, v[6:7]
	v_add_co_u32_e32 v2, vcc, s6, v2
	v_addc_co_u32_e32 v3, vcc, v4, v3, vcc
	v_accvgpr_write_b32 a9, v3
	global_load_dwordx4 v[66:69], v[2:3], off
	v_ashrrev_i32_e32 v9, 31, v8
	v_accvgpr_write_b32 a8, v2
	v_lshlrev_b64 v[2:3], 4, v[8:9]
	v_add_co_u32_e32 v6, vcc, s6, v2
	v_addc_co_u32_e32 v7, vcc, v4, v3, vcc
	v_ashrrev_i32_e32 v71, 31, v70
	v_lshlrev_b64 v[2:3], 4, v[70:71]
	global_load_dwordx4 v[70:73], v[6:7], off
	v_add_co_u32_e32 v2, vcc, s6, v2
	v_addc_co_u32_e32 v3, vcc, v4, v3, vcc
	global_load_dwordx4 v[74:77], v[2:3], off
	v_accvgpr_write_b32 a13, v3
	v_ashrrev_i32_e32 v79, 31, v78
	v_accvgpr_write_b32 a11, v7
	v_accvgpr_write_b32 a12, v2
	v_lshlrev_b64 v[2:3], 4, v[78:79]
	v_accvgpr_write_b32 a10, v6
	v_add_co_u32_e32 v6, vcc, s6, v2
	v_addc_co_u32_e32 v7, vcc, v4, v3, vcc
	v_ashrrev_i32_e32 v81, 31, v80
	v_lshlrev_b64 v[2:3], 4, v[80:81]
	global_load_dwordx4 v[78:81], v[6:7], off
	v_add_co_u32_e32 v2, vcc, s6, v2
	v_addc_co_u32_e32 v3, vcc, v4, v3, vcc
	global_load_dwordx4 v[82:85], v[2:3], off
	v_accvgpr_write_b32 a17, v3
	v_ashrrev_i32_e32 v87, 31, v86
	v_accvgpr_write_b32 a15, v7
	v_accvgpr_write_b32 a16, v2
	v_lshlrev_b64 v[2:3], 4, v[86:87]
	v_accvgpr_write_b32 a14, v6
	;; [unrolled: 14-line block ×6, first 2 shown]
	v_add_co_u32_e32 v6, vcc, s6, v2
	v_addc_co_u32_e32 v7, vcc, v4, v3, vcc
	v_ashrrev_i32_e32 v123, 31, v122
	v_lshlrev_b64 v[2:3], 4, v[122:123]
	global_load_dwordx4 v[122:125], v[6:7], off
	v_add_co_u32_e32 v2, vcc, s6, v2
	v_accvgpr_write_b32 a37, v7
	v_addc_co_u32_e32 v3, vcc, v4, v3, vcc
	v_accvgpr_write_b32 a36, v6
	global_load_dwordx4 v[6:9], v[2:3], off
	v_ashrrev_i32_e32 v127, 31, v126
	v_accvgpr_write_b32 a39, v3
	v_accvgpr_write_b32 a38, v2
	v_lshlrev_b64 v[2:3], 4, v[126:127]
	v_add_co_u32_e32 v2, vcc, s6, v2
	v_addc_co_u32_e32 v3, vcc, v4, v3, vcc
	v_ashrrev_i32_e32 v49, 31, v48
	v_accvgpr_write_b32 a35, v3
	v_lshlrev_b64 v[48:49], 4, v[48:49]
	v_accvgpr_write_b32 a34, v2
	global_load_dwordx4 v[2:5], v[2:3], off
	s_waitcnt vmcnt(19)
	buffer_store_dword v53, off, s[0:3], 0 offset:28
	buffer_store_dword v52, off, s[0:3], 0 offset:24
	buffer_store_dword v51, off, s[0:3], 0 offset:20
	buffer_store_dword v50, off, s[0:3], 0 offset:16
	s_waitcnt vmcnt(22)
	buffer_store_dword v57, off, s[0:3], 0 offset:44
	buffer_store_dword v56, off, s[0:3], 0 offset:40
	buffer_store_dword v55, off, s[0:3], 0 offset:36
	buffer_store_dword v54, off, s[0:3], 0 offset:32
	;; [unrolled: 5-line block ×16, first 2 shown]
	buffer_store_dword v117, off, s[0:3], 0 offset:284
	buffer_store_dword v116, off, s[0:3], 0 offset:280
	;; [unrolled: 1-line block ×8, first 2 shown]
	s_waitcnt vmcnt(62)
	buffer_store_dword v9, off, s[0:3], 0 offset:316
	v_mov_b32_e32 v9, s7
	v_add_co_u32_e32 v48, vcc, s6, v48
	v_ashrrev_i32_e32 v47, 31, v46
	v_addc_co_u32_e32 v49, vcc, v9, v49, vcc
	v_lshlrev_b64 v[46:47], 4, v[46:47]
	v_add_co_u32_e32 v50, vcc, s6, v46
	v_accvgpr_write_b32 a40, v48
	v_addc_co_u32_e32 v51, vcc, v9, v47, vcc
	v_accvgpr_write_b32 a41, v49
	global_load_dwordx4 v[46:49], v[48:49], off
	v_accvgpr_write_b32 a42, v50
	v_ashrrev_i32_e32 v45, 31, v44
	v_accvgpr_write_b32 a43, v51
	global_load_dwordx4 v[50:53], v[50:51], off
	v_lshlrev_b64 v[44:45], 4, v[44:45]
	v_add_co_u32_e32 v44, vcc, s6, v44
	v_ashrrev_i32_e32 v43, 31, v42
	v_addc_co_u32_e32 v45, vcc, v9, v45, vcc
	v_lshlrev_b64 v[42:43], 4, v[42:43]
	v_add_co_u32_e32 v54, vcc, s6, v42
	v_accvgpr_write_b32 a44, v44
	v_addc_co_u32_e32 v55, vcc, v9, v43, vcc
	v_accvgpr_write_b32 a45, v45
	global_load_dwordx4 v[42:45], v[44:45], off
	v_accvgpr_write_b32 a46, v54
	v_ashrrev_i32_e32 v41, 31, v40
	v_accvgpr_write_b32 a47, v55
	global_load_dwordx4 v[54:57], v[54:55], off
	v_lshlrev_b64 v[40:41], 4, v[40:41]
	;; [unrolled: 14-line block ×9, first 2 shown]
	v_add_co_u32_e32 v12, vcc, s6, v12
	v_addc_co_u32_e32 v13, vcc, v9, v13, vcc
	v_ashrrev_i32_e32 v11, 31, v10
	v_accvgpr_write_b32 a77, v13
	v_lshlrev_b64 v[86:87], 4, v[10:11]
	v_accvgpr_write_b32 a76, v12
	global_load_dwordx4 v[10:13], v[12:13], off
	v_add_co_u32_e32 v86, vcc, s6, v86
	v_addc_co_u32_e32 v87, vcc, v9, v87, vcc
	v_accvgpr_write_b32 a78, v86
	v_accvgpr_write_b32 a79, v87
	global_load_dwordx4 v[86:89], v[86:87], off
	s_nop 0
	buffer_store_dword v8, off, s[0:3], 0 offset:312
	buffer_store_dword v7, off, s[0:3], 0 offset:308
	buffer_store_dword v6, off, s[0:3], 0 offset:304
	s_waitcnt vmcnt(22)
	buffer_store_dword v49, off, s[0:3], 0 offset:332
	buffer_store_dword v48, off, s[0:3], 0 offset:328
	buffer_store_dword v47, off, s[0:3], 0 offset:324
	buffer_store_dword v46, off, s[0:3], 0 offset:320
	s_waitcnt vmcnt(25)
	buffer_store_dword v53, off, s[0:3], 0 offset:348
	;; [unrolled: 5-line block ×15, first 2 shown]
	buffer_store_dword v20, off, s[0:3], 0 offset:552
	buffer_store_dword v19, off, s[0:3], 0 offset:548
	;; [unrolled: 1-line block ×11, first 2 shown]
	s_waitcnt vmcnt(62)
	buffer_store_dword v85, off, s[0:3], 0 offset:604
	buffer_store_dword v84, off, s[0:3], 0 offset:600
	;; [unrolled: 1-line block ×16, first 2 shown]
	v_mov_b32_e32 v2, 16
	v_add_u32_e32 v3, 16, v2
	v_accvgpr_write_b32 a118, v3
	v_add_u32_e32 v3, 32, v2
	v_accvgpr_write_b32 a117, v3
	;; [unrolled: 2-line block ×37, first 2 shown]
	v_add_u32_e32 v3, 0x260, v2
	v_add_u32_e32 v2, 0x270, v2
	v_accvgpr_write_b32 a81, v3
	v_accvgpr_write_b32 a80, v2
	s_bitcmp0_b32 s18, 0
	s_mov_b64 s[6:7], -1
	s_cbranch_scc1 .LBB103_172
; %bb.4:
	v_cmp_eq_u32_e64 s[4:5], 0, v0
	s_and_saveexec_b64 s[6:7], s[4:5]
	s_cbranch_execz .LBB103_6
; %bb.5:
	v_mov_b32_e32 v2, 0
	ds_write_b32 v2, v2 offset:1280
.LBB103_6:
	s_or_b64 exec, exec, s[6:7]
	v_mov_b32_e32 v2, 16
	v_lshl_add_u32 v12, v0, 4, v2
	s_waitcnt lgkmcnt(0)
	; wave barrier
	s_waitcnt lgkmcnt(0)
	buffer_load_dword v2, v12, s[0:3], 0 offen
	buffer_load_dword v3, v12, s[0:3], 0 offen offset:4
	buffer_load_dword v4, v12, s[0:3], 0 offen offset:8
	;; [unrolled: 1-line block ×3, first 2 shown]
	s_waitcnt vmcnt(2)
	v_cmp_eq_f64_e32 vcc, 0, v[2:3]
	s_waitcnt vmcnt(0)
	v_cmp_eq_f64_e64 s[6:7], 0, v[4:5]
	s_and_b64 s[6:7], vcc, s[6:7]
	s_and_saveexec_b64 s[12:13], s[6:7]
	s_cbranch_execz .LBB103_10
; %bb.7:
	v_mov_b32_e32 v2, 0
	ds_read_b32 v4, v2 offset:1280
	v_add_u32_e32 v3, 1, v0
	s_waitcnt lgkmcnt(0)
	v_readfirstlane_b32 s6, v4
	s_cmp_eq_u32 s6, 0
	s_cselect_b64 s[18:19], -1, 0
	v_cmp_gt_i32_e32 vcc, s6, v3
	s_or_b64 s[18:19], s[18:19], vcc
	s_and_b64 exec, exec, s[18:19]
	s_cbranch_execz .LBB103_10
; %bb.8:
	s_mov_b64 s[18:19], 0
	v_mov_b32_e32 v4, s6
.LBB103_9:                              ; =>This Inner Loop Header: Depth=1
	ds_cmpst_rtn_b32 v4, v2, v4, v3 offset:1280
	s_waitcnt lgkmcnt(0)
	v_cmp_ne_u32_e32 vcc, 0, v4
	v_cmp_le_i32_e64 s[6:7], v4, v3
	s_and_b64 s[6:7], vcc, s[6:7]
	s_and_b64 s[6:7], exec, s[6:7]
	s_or_b64 s[18:19], s[6:7], s[18:19]
	s_andn2_b64 exec, exec, s[18:19]
	s_cbranch_execnz .LBB103_9
.LBB103_10:
	s_or_b64 exec, exec, s[12:13]
	v_mov_b32_e32 v3, 0
	s_waitcnt lgkmcnt(0)
	; wave barrier
	ds_read_b32 v2, v3 offset:1280
	s_and_saveexec_b64 s[6:7], s[4:5]
	s_cbranch_execz .LBB103_12
; %bb.11:
	s_lshl_b64 s[12:13], s[8:9], 2
	s_add_u32 s12, s14, s12
	s_addc_u32 s13, s15, s13
	s_waitcnt lgkmcnt(0)
	global_store_dword v3, v2, s[12:13]
.LBB103_12:
	s_or_b64 exec, exec, s[6:7]
	s_waitcnt lgkmcnt(0)
	v_cmp_ne_u32_e32 vcc, 0, v2
	s_mov_b64 s[6:7], 0
	s_cbranch_vccnz .LBB103_172
; %bb.13:
	buffer_load_dword v7, v12, s[0:3], 0 offen offset:4
	buffer_load_dword v6, v12, s[0:3], 0 offen
	buffer_load_dword v9, v12, s[0:3], 0 offen offset:12
	buffer_load_dword v8, v12, s[0:3], 0 offen offset:8
                                        ; implicit-def: $vgpr10_vgpr11
	s_waitcnt vmcnt(3)
	v_xor_b32_e32 v3, 0x80000000, v7
	s_waitcnt vmcnt(2)
	v_cmp_gt_f64_e32 vcc, 0, v[6:7]
	s_waitcnt vmcnt(1)
	v_xor_b32_e32 v4, 0x80000000, v9
	v_cndmask_b32_e32 v3, v7, v3, vcc
	s_waitcnt vmcnt(0)
	v_cmp_gt_f64_e32 vcc, 0, v[8:9]
	v_mov_b32_e32 v2, v6
	v_cndmask_b32_e32 v5, v9, v4, vcc
	v_mov_b32_e32 v4, v8
	v_cmp_ngt_f64_e32 vcc, v[2:3], v[4:5]
                                        ; implicit-def: $vgpr4_vgpr5
	s_and_saveexec_b64 s[6:7], vcc
	s_xor_b64 s[6:7], exec, s[6:7]
	s_cbranch_execz .LBB103_15
; %bb.14:
	v_div_scale_f64 v[2:3], s[12:13], v[8:9], v[8:9], v[6:7]
	v_rcp_f64_e32 v[4:5], v[2:3]
	v_div_scale_f64 v[10:11], vcc, v[6:7], v[8:9], v[6:7]
	v_fma_f64 v[14:15], -v[2:3], v[4:5], 1.0
	v_fmac_f64_e32 v[4:5], v[4:5], v[14:15]
	v_fma_f64 v[14:15], -v[2:3], v[4:5], 1.0
	v_fmac_f64_e32 v[4:5], v[4:5], v[14:15]
	v_mul_f64 v[14:15], v[10:11], v[4:5]
	v_fma_f64 v[2:3], -v[2:3], v[14:15], v[10:11]
	v_div_fmas_f64 v[2:3], v[2:3], v[4:5], v[14:15]
	v_div_fixup_f64 v[2:3], v[2:3], v[8:9], v[6:7]
	v_fmac_f64_e32 v[8:9], v[6:7], v[2:3]
	v_div_scale_f64 v[4:5], s[12:13], v[8:9], v[8:9], 1.0
	v_rcp_f64_e32 v[6:7], v[4:5]
	v_fma_f64 v[10:11], -v[4:5], v[6:7], 1.0
	v_fmac_f64_e32 v[6:7], v[6:7], v[10:11]
	v_fma_f64 v[10:11], -v[4:5], v[6:7], 1.0
	v_fmac_f64_e32 v[6:7], v[6:7], v[10:11]
	v_div_scale_f64 v[10:11], vcc, 1.0, v[8:9], 1.0
	v_mul_f64 v[14:15], v[10:11], v[6:7]
	v_fma_f64 v[4:5], -v[4:5], v[14:15], v[10:11]
	s_nop 1
	v_div_fmas_f64 v[4:5], v[4:5], v[6:7], v[14:15]
	v_div_fixup_f64 v[4:5], v[4:5], v[8:9], 1.0
	v_mul_f64 v[10:11], v[2:3], v[4:5]
	v_xor_b32_e32 v5, 0x80000000, v5
	v_xor_b32_e32 v3, 0x80000000, v11
	v_mov_b32_e32 v2, v10
                                        ; implicit-def: $vgpr6_vgpr7
                                        ; implicit-def: $vgpr8_vgpr9
.LBB103_15:
	s_andn2_saveexec_b64 s[6:7], s[6:7]
	s_cbranch_execz .LBB103_17
; %bb.16:
	v_div_scale_f64 v[2:3], s[12:13], v[6:7], v[6:7], v[8:9]
	v_rcp_f64_e32 v[4:5], v[2:3]
	v_div_scale_f64 v[10:11], vcc, v[8:9], v[6:7], v[8:9]
	v_fma_f64 v[14:15], -v[2:3], v[4:5], 1.0
	v_fmac_f64_e32 v[4:5], v[4:5], v[14:15]
	v_fma_f64 v[14:15], -v[2:3], v[4:5], 1.0
	v_fmac_f64_e32 v[4:5], v[4:5], v[14:15]
	v_mul_f64 v[14:15], v[10:11], v[4:5]
	v_fma_f64 v[2:3], -v[2:3], v[14:15], v[10:11]
	v_div_fmas_f64 v[2:3], v[2:3], v[4:5], v[14:15]
	v_div_fixup_f64 v[4:5], v[2:3], v[6:7], v[8:9]
	v_fmac_f64_e32 v[6:7], v[8:9], v[4:5]
	v_div_scale_f64 v[2:3], s[12:13], v[6:7], v[6:7], 1.0
	v_rcp_f64_e32 v[8:9], v[2:3]
	v_fma_f64 v[10:11], -v[2:3], v[8:9], 1.0
	v_fmac_f64_e32 v[8:9], v[8:9], v[10:11]
	v_fma_f64 v[10:11], -v[2:3], v[8:9], 1.0
	v_fmac_f64_e32 v[8:9], v[8:9], v[10:11]
	v_div_scale_f64 v[10:11], vcc, 1.0, v[6:7], 1.0
	v_mul_f64 v[14:15], v[10:11], v[8:9]
	v_fma_f64 v[2:3], -v[2:3], v[14:15], v[10:11]
	s_nop 1
	v_div_fmas_f64 v[2:3], v[2:3], v[8:9], v[14:15]
	v_div_fixup_f64 v[10:11], v[2:3], v[6:7], 1.0
	v_xor_b32_e32 v3, 0x80000000, v11
	v_mov_b32_e32 v2, v10
	v_mul_f64 v[4:5], v[4:5], -v[10:11]
.LBB103_17:
	s_or_b64 exec, exec, s[6:7]
	buffer_store_dword v11, v12, s[0:3], 0 offen offset:4
	buffer_store_dword v10, v12, s[0:3], 0 offen
	buffer_store_dword v5, v12, s[0:3], 0 offen offset:12
	buffer_store_dword v4, v12, s[0:3], 0 offen offset:8
	v_accvgpr_read_b32 v6, a118
	buffer_load_dword v11, v6, s[0:3], 0 offen offset:12
	buffer_load_dword v10, v6, s[0:3], 0 offen offset:8
	;; [unrolled: 1-line block ×3, first 2 shown]
	buffer_load_dword v8, v6, s[0:3], 0 offen
	v_xor_b32_e32 v5, 0x80000000, v5
	v_add_u32_e32 v6, 0x280, v1
	ds_write_b128 v1, v[2:5]
	s_waitcnt vmcnt(0)
	ds_write_b128 v1, v[8:11] offset:640
	s_waitcnt lgkmcnt(0)
	; wave barrier
	s_waitcnt lgkmcnt(0)
	s_and_saveexec_b64 s[6:7], s[4:5]
	s_cbranch_execz .LBB103_19
; %bb.18:
	buffer_load_dword v14, v12, s[0:3], 0 offen offset:8
	buffer_load_dword v15, v12, s[0:3], 0 offen offset:12
	buffer_load_dword v16, v12, s[0:3], 0 offen
	buffer_load_dword v17, v12, s[0:3], 0 offen offset:4
	ds_read_b128 v[2:5], v6
	v_mov_b32_e32 v7, 0
	ds_read_b128 v[8:11], v7 offset:16
	s_waitcnt vmcnt(2) lgkmcnt(1)
	v_mul_f64 v[18:19], v[4:5], v[14:15]
	v_mul_f64 v[14:15], v[2:3], v[14:15]
	s_waitcnt vmcnt(0)
	v_fmac_f64_e32 v[14:15], v[4:5], v[16:17]
	v_fma_f64 v[2:3], v[2:3], v[16:17], -v[18:19]
	v_add_f64 v[4:5], v[14:15], 0
	v_add_f64 v[2:3], v[2:3], 0
	s_waitcnt lgkmcnt(0)
	v_mul_f64 v[14:15], v[4:5], v[10:11]
	v_mul_f64 v[10:11], v[2:3], v[10:11]
	v_fma_f64 v[2:3], v[2:3], v[8:9], -v[14:15]
	v_fmac_f64_e32 v[10:11], v[4:5], v[8:9]
	buffer_store_dword v2, off, s[0:3], 0 offset:32
	buffer_store_dword v3, off, s[0:3], 0 offset:36
	;; [unrolled: 1-line block ×4, first 2 shown]
.LBB103_19:
	s_or_b64 exec, exec, s[6:7]
	v_accvgpr_read_b32 v5, a117
	s_waitcnt lgkmcnt(0)
	; wave barrier
	buffer_load_dword v2, v5, s[0:3], 0 offen
	buffer_load_dword v3, v5, s[0:3], 0 offen offset:4
	buffer_load_dword v4, v5, s[0:3], 0 offen offset:8
	s_nop 0
	buffer_load_dword v5, v5, s[0:3], 0 offen offset:12
	v_cmp_gt_u32_e32 vcc, 2, v0
	s_waitcnt vmcnt(0)
	ds_write_b128 v6, v[2:5]
	s_waitcnt lgkmcnt(0)
	; wave barrier
	s_waitcnt lgkmcnt(0)
	s_and_saveexec_b64 s[6:7], vcc
	s_cbranch_execz .LBB103_23
; %bb.20:
	buffer_load_dword v8, v12, s[0:3], 0 offen offset:8
	buffer_load_dword v9, v12, s[0:3], 0 offen offset:12
	buffer_load_dword v10, v12, s[0:3], 0 offen
	buffer_load_dword v11, v12, s[0:3], 0 offen offset:4
	ds_read_b128 v[2:5], v6
	s_waitcnt vmcnt(2) lgkmcnt(0)
	v_mul_f64 v[12:13], v[4:5], v[8:9]
	v_mul_f64 v[8:9], v[2:3], v[8:9]
	s_waitcnt vmcnt(0)
	v_fma_f64 v[2:3], v[2:3], v[10:11], -v[12:13]
	v_fmac_f64_e32 v[8:9], v[4:5], v[10:11]
	v_add_f64 v[4:5], v[2:3], 0
	v_add_f64 v[2:3], v[8:9], 0
	s_and_saveexec_b64 s[12:13], s[4:5]
	s_cbranch_execz .LBB103_22
; %bb.21:
	buffer_load_dword v12, off, s[0:3], 0 offset:40
	buffer_load_dword v13, off, s[0:3], 0 offset:44
	buffer_load_dword v14, off, s[0:3], 0 offset:32
	buffer_load_dword v15, off, s[0:3], 0 offset:36
	v_mov_b32_e32 v7, 0
	ds_read_b128 v[8:11], v7 offset:656
	s_waitcnt vmcnt(2) lgkmcnt(0)
	v_mul_f64 v[16:17], v[8:9], v[12:13]
	v_mul_f64 v[12:13], v[10:11], v[12:13]
	s_waitcnt vmcnt(0)
	v_fmac_f64_e32 v[16:17], v[10:11], v[14:15]
	v_fma_f64 v[8:9], v[8:9], v[14:15], -v[12:13]
	v_add_f64 v[2:3], v[2:3], v[16:17]
	v_add_f64 v[4:5], v[4:5], v[8:9]
.LBB103_22:
	s_or_b64 exec, exec, s[12:13]
	v_mov_b32_e32 v7, 0
	ds_read_b128 v[8:11], v7 offset:32
	s_waitcnt lgkmcnt(0)
	v_mul_f64 v[12:13], v[2:3], v[10:11]
	v_mul_f64 v[10:11], v[4:5], v[10:11]
	v_fma_f64 v[4:5], v[4:5], v[8:9], -v[12:13]
	v_fmac_f64_e32 v[10:11], v[2:3], v[8:9]
	buffer_store_dword v5, off, s[0:3], 0 offset:52
	buffer_store_dword v4, off, s[0:3], 0 offset:48
	;; [unrolled: 1-line block ×4, first 2 shown]
.LBB103_23:
	s_or_b64 exec, exec, s[6:7]
	v_accvgpr_read_b32 v5, a116
	s_waitcnt lgkmcnt(0)
	; wave barrier
	buffer_load_dword v2, v5, s[0:3], 0 offen
	buffer_load_dword v3, v5, s[0:3], 0 offen offset:4
	buffer_load_dword v4, v5, s[0:3], 0 offen offset:8
	s_nop 0
	buffer_load_dword v5, v5, s[0:3], 0 offen offset:12
	v_cmp_gt_u32_e32 vcc, 3, v0
	v_add_u32_e32 v7, -1, v0
	s_waitcnt vmcnt(0)
	ds_write_b128 v6, v[2:5]
	s_waitcnt lgkmcnt(0)
	; wave barrier
	s_waitcnt lgkmcnt(0)
	s_and_saveexec_b64 s[4:5], vcc
	s_cbranch_execz .LBB103_27
; %bb.24:
	v_pk_mov_b32 v[2:3], 0, 0
	v_add_u32_e32 v8, -1, v0
	v_add_u32_e32 v9, 0x280, v1
	v_add_u32_e32 v10, 16, v1
	s_mov_b64 s[6:7], 0
	v_pk_mov_b32 v[4:5], v[2:3], v[2:3] op_sel:[0,1]
.LBB103_25:                             ; =>This Inner Loop Header: Depth=1
	buffer_load_dword v16, v10, s[0:3], 0 offen offset:8
	buffer_load_dword v17, v10, s[0:3], 0 offen offset:12
	buffer_load_dword v18, v10, s[0:3], 0 offen
	buffer_load_dword v19, v10, s[0:3], 0 offen offset:4
	ds_read_b128 v[12:15], v9
	v_add_u32_e32 v8, 1, v8
	v_cmp_lt_u32_e32 vcc, 1, v8
	v_add_u32_e32 v9, 16, v9
	v_add_u32_e32 v10, 16, v10
	s_or_b64 s[6:7], vcc, s[6:7]
	s_waitcnt vmcnt(2) lgkmcnt(0)
	v_mul_f64 v[20:21], v[14:15], v[16:17]
	v_mul_f64 v[16:17], v[12:13], v[16:17]
	s_waitcnt vmcnt(0)
	v_fma_f64 v[12:13], v[12:13], v[18:19], -v[20:21]
	v_fmac_f64_e32 v[16:17], v[14:15], v[18:19]
	v_add_f64 v[4:5], v[4:5], v[12:13]
	v_add_f64 v[2:3], v[2:3], v[16:17]
	s_andn2_b64 exec, exec, s[6:7]
	s_cbranch_execnz .LBB103_25
; %bb.26:
	s_or_b64 exec, exec, s[6:7]
	v_mov_b32_e32 v8, 0
	ds_read_b128 v[8:11], v8 offset:48
	s_waitcnt lgkmcnt(0)
	v_mul_f64 v[12:13], v[2:3], v[10:11]
	v_mul_f64 v[10:11], v[4:5], v[10:11]
	v_fma_f64 v[4:5], v[4:5], v[8:9], -v[12:13]
	v_fmac_f64_e32 v[10:11], v[2:3], v[8:9]
	buffer_store_dword v5, off, s[0:3], 0 offset:68
	buffer_store_dword v4, off, s[0:3], 0 offset:64
	buffer_store_dword v11, off, s[0:3], 0 offset:76
	buffer_store_dword v10, off, s[0:3], 0 offset:72
.LBB103_27:
	s_or_b64 exec, exec, s[4:5]
	v_accvgpr_read_b32 v5, a115
	s_waitcnt lgkmcnt(0)
	; wave barrier
	buffer_load_dword v2, v5, s[0:3], 0 offen
	buffer_load_dword v3, v5, s[0:3], 0 offen offset:4
	buffer_load_dword v4, v5, s[0:3], 0 offen offset:8
	s_nop 0
	buffer_load_dword v5, v5, s[0:3], 0 offen offset:12
	v_cmp_gt_u32_e32 vcc, 4, v0
	s_waitcnt vmcnt(0)
	ds_write_b128 v6, v[2:5]
	s_waitcnt lgkmcnt(0)
	; wave barrier
	s_waitcnt lgkmcnt(0)
	s_and_saveexec_b64 s[4:5], vcc
	s_cbranch_execz .LBB103_31
; %bb.28:
	v_pk_mov_b32 v[2:3], 0, 0
	v_add_u32_e32 v8, -1, v0
	v_add_u32_e32 v9, 0x280, v1
	v_add_u32_e32 v10, 16, v1
	s_mov_b64 s[6:7], 0
	v_pk_mov_b32 v[4:5], v[2:3], v[2:3] op_sel:[0,1]
.LBB103_29:                             ; =>This Inner Loop Header: Depth=1
	buffer_load_dword v16, v10, s[0:3], 0 offen offset:8
	buffer_load_dword v17, v10, s[0:3], 0 offen offset:12
	buffer_load_dword v18, v10, s[0:3], 0 offen
	buffer_load_dword v19, v10, s[0:3], 0 offen offset:4
	ds_read_b128 v[12:15], v9
	v_add_u32_e32 v8, 1, v8
	v_cmp_lt_u32_e32 vcc, 2, v8
	v_add_u32_e32 v9, 16, v9
	v_add_u32_e32 v10, 16, v10
	s_or_b64 s[6:7], vcc, s[6:7]
	s_waitcnt vmcnt(2) lgkmcnt(0)
	v_mul_f64 v[20:21], v[14:15], v[16:17]
	v_mul_f64 v[16:17], v[12:13], v[16:17]
	s_waitcnt vmcnt(0)
	v_fma_f64 v[12:13], v[12:13], v[18:19], -v[20:21]
	v_fmac_f64_e32 v[16:17], v[14:15], v[18:19]
	v_add_f64 v[4:5], v[4:5], v[12:13]
	v_add_f64 v[2:3], v[2:3], v[16:17]
	s_andn2_b64 exec, exec, s[6:7]
	s_cbranch_execnz .LBB103_29
; %bb.30:
	s_or_b64 exec, exec, s[6:7]
	v_mov_b32_e32 v8, 0
	ds_read_b128 v[8:11], v8 offset:64
	s_waitcnt lgkmcnt(0)
	v_mul_f64 v[12:13], v[2:3], v[10:11]
	v_mul_f64 v[10:11], v[4:5], v[10:11]
	v_fma_f64 v[4:5], v[4:5], v[8:9], -v[12:13]
	v_fmac_f64_e32 v[10:11], v[2:3], v[8:9]
	buffer_store_dword v5, off, s[0:3], 0 offset:84
	buffer_store_dword v4, off, s[0:3], 0 offset:80
	buffer_store_dword v11, off, s[0:3], 0 offset:92
	buffer_store_dword v10, off, s[0:3], 0 offset:88
.LBB103_31:
	s_or_b64 exec, exec, s[4:5]
	v_accvgpr_read_b32 v5, a114
	s_waitcnt lgkmcnt(0)
	; wave barrier
	buffer_load_dword v2, v5, s[0:3], 0 offen
	buffer_load_dword v3, v5, s[0:3], 0 offen offset:4
	buffer_load_dword v4, v5, s[0:3], 0 offen offset:8
	s_nop 0
	buffer_load_dword v5, v5, s[0:3], 0 offen offset:12
	v_cmp_gt_u32_e32 vcc, 5, v0
	;; [unrolled: 59-line block ×19, first 2 shown]
	s_waitcnt vmcnt(0)
	ds_write_b128 v6, v[2:5]
	s_waitcnt lgkmcnt(0)
	; wave barrier
	s_waitcnt lgkmcnt(0)
	s_and_saveexec_b64 s[4:5], vcc
	s_cbranch_execz .LBB103_103
; %bb.100:
	v_pk_mov_b32 v[2:3], 0, 0
	v_add_u32_e32 v8, -1, v0
	v_add_u32_e32 v9, 0x280, v1
	v_add_u32_e32 v10, 16, v1
	s_mov_b64 s[6:7], 0
	v_pk_mov_b32 v[4:5], v[2:3], v[2:3] op_sel:[0,1]
.LBB103_101:                            ; =>This Inner Loop Header: Depth=1
	buffer_load_dword v16, v10, s[0:3], 0 offen offset:8
	buffer_load_dword v17, v10, s[0:3], 0 offen offset:12
	buffer_load_dword v18, v10, s[0:3], 0 offen
	buffer_load_dword v19, v10, s[0:3], 0 offen offset:4
	ds_read_b128 v[12:15], v9
	v_add_u32_e32 v8, 1, v8
	v_cmp_lt_u32_e32 vcc, 20, v8
	v_add_u32_e32 v9, 16, v9
	v_add_u32_e32 v10, 16, v10
	s_or_b64 s[6:7], vcc, s[6:7]
	s_waitcnt vmcnt(2) lgkmcnt(0)
	v_mul_f64 v[20:21], v[14:15], v[16:17]
	v_mul_f64 v[16:17], v[12:13], v[16:17]
	s_waitcnt vmcnt(0)
	v_fma_f64 v[12:13], v[12:13], v[18:19], -v[20:21]
	v_fmac_f64_e32 v[16:17], v[14:15], v[18:19]
	v_add_f64 v[4:5], v[4:5], v[12:13]
	v_add_f64 v[2:3], v[2:3], v[16:17]
	s_andn2_b64 exec, exec, s[6:7]
	s_cbranch_execnz .LBB103_101
; %bb.102:
	s_or_b64 exec, exec, s[6:7]
	v_mov_b32_e32 v8, 0
	ds_read_b128 v[8:11], v8 offset:352
	s_waitcnt lgkmcnt(0)
	v_mul_f64 v[12:13], v[2:3], v[10:11]
	v_mul_f64 v[10:11], v[4:5], v[10:11]
	v_fma_f64 v[4:5], v[4:5], v[8:9], -v[12:13]
	v_fmac_f64_e32 v[10:11], v[2:3], v[8:9]
	buffer_store_dword v5, off, s[0:3], 0 offset:372
	buffer_store_dword v4, off, s[0:3], 0 offset:368
	buffer_store_dword v11, off, s[0:3], 0 offset:380
	buffer_store_dword v10, off, s[0:3], 0 offset:376
.LBB103_103:
	s_or_b64 exec, exec, s[4:5]
	v_accvgpr_read_b32 v5, a96
	s_waitcnt lgkmcnt(0)
	; wave barrier
	buffer_load_dword v2, v5, s[0:3], 0 offen
	buffer_load_dword v3, v5, s[0:3], 0 offen offset:4
	buffer_load_dword v4, v5, s[0:3], 0 offen offset:8
	s_nop 0
	buffer_load_dword v5, v5, s[0:3], 0 offen offset:12
	v_cmp_gt_u32_e32 vcc, 23, v0
	s_waitcnt vmcnt(0)
	ds_write_b128 v6, v[2:5]
	s_waitcnt lgkmcnt(0)
	; wave barrier
	s_waitcnt lgkmcnt(0)
	s_and_saveexec_b64 s[4:5], vcc
	s_cbranch_execz .LBB103_107
; %bb.104:
	v_pk_mov_b32 v[2:3], 0, 0
	v_add_u32_e32 v8, -1, v0
	v_add_u32_e32 v9, 0x280, v1
	v_add_u32_e32 v10, 16, v1
	s_mov_b64 s[6:7], 0
	v_pk_mov_b32 v[4:5], v[2:3], v[2:3] op_sel:[0,1]
.LBB103_105:                            ; =>This Inner Loop Header: Depth=1
	buffer_load_dword v16, v10, s[0:3], 0 offen offset:8
	buffer_load_dword v17, v10, s[0:3], 0 offen offset:12
	buffer_load_dword v18, v10, s[0:3], 0 offen
	buffer_load_dword v19, v10, s[0:3], 0 offen offset:4
	ds_read_b128 v[12:15], v9
	v_add_u32_e32 v8, 1, v8
	v_cmp_lt_u32_e32 vcc, 21, v8
	v_add_u32_e32 v9, 16, v9
	v_add_u32_e32 v10, 16, v10
	s_or_b64 s[6:7], vcc, s[6:7]
	s_waitcnt vmcnt(2) lgkmcnt(0)
	v_mul_f64 v[20:21], v[14:15], v[16:17]
	v_mul_f64 v[16:17], v[12:13], v[16:17]
	s_waitcnt vmcnt(0)
	v_fma_f64 v[12:13], v[12:13], v[18:19], -v[20:21]
	v_fmac_f64_e32 v[16:17], v[14:15], v[18:19]
	v_add_f64 v[4:5], v[4:5], v[12:13]
	v_add_f64 v[2:3], v[2:3], v[16:17]
	s_andn2_b64 exec, exec, s[6:7]
	s_cbranch_execnz .LBB103_105
; %bb.106:
	s_or_b64 exec, exec, s[6:7]
	v_mov_b32_e32 v8, 0
	ds_read_b128 v[8:11], v8 offset:368
	s_waitcnt lgkmcnt(0)
	v_mul_f64 v[12:13], v[2:3], v[10:11]
	v_mul_f64 v[10:11], v[4:5], v[10:11]
	v_fma_f64 v[4:5], v[4:5], v[8:9], -v[12:13]
	v_fmac_f64_e32 v[10:11], v[2:3], v[8:9]
	buffer_store_dword v5, off, s[0:3], 0 offset:388
	buffer_store_dword v4, off, s[0:3], 0 offset:384
	buffer_store_dword v11, off, s[0:3], 0 offset:396
	buffer_store_dword v10, off, s[0:3], 0 offset:392
.LBB103_107:
	s_or_b64 exec, exec, s[4:5]
	v_accvgpr_read_b32 v5, a95
	s_waitcnt lgkmcnt(0)
	; wave barrier
	buffer_load_dword v2, v5, s[0:3], 0 offen
	buffer_load_dword v3, v5, s[0:3], 0 offen offset:4
	buffer_load_dword v4, v5, s[0:3], 0 offen offset:8
	s_nop 0
	buffer_load_dword v5, v5, s[0:3], 0 offen offset:12
	v_cmp_gt_u32_e32 vcc, 24, v0
	;; [unrolled: 59-line block ×16, first 2 shown]
	s_waitcnt vmcnt(0)
	ds_write_b128 v6, v[2:5]
	s_waitcnt lgkmcnt(0)
	; wave barrier
	s_waitcnt lgkmcnt(0)
	s_and_saveexec_b64 s[4:5], vcc
	s_cbranch_execz .LBB103_167
; %bb.164:
	v_pk_mov_b32 v[2:3], 0, 0
	v_add_u32_e32 v8, -1, v0
	v_add_u32_e32 v9, 0x280, v1
	v_add_u32_e32 v10, 16, v1
	s_mov_b64 s[6:7], 0
	v_pk_mov_b32 v[4:5], v[2:3], v[2:3] op_sel:[0,1]
.LBB103_165:                            ; =>This Inner Loop Header: Depth=1
	buffer_load_dword v16, v10, s[0:3], 0 offen offset:8
	buffer_load_dword v17, v10, s[0:3], 0 offen offset:12
	buffer_load_dword v18, v10, s[0:3], 0 offen
	buffer_load_dword v19, v10, s[0:3], 0 offen offset:4
	ds_read_b128 v[12:15], v9
	v_add_u32_e32 v8, 1, v8
	v_cmp_lt_u32_e32 vcc, 36, v8
	v_add_u32_e32 v9, 16, v9
	v_add_u32_e32 v10, 16, v10
	s_or_b64 s[6:7], vcc, s[6:7]
	s_waitcnt vmcnt(2) lgkmcnt(0)
	v_mul_f64 v[20:21], v[14:15], v[16:17]
	v_mul_f64 v[16:17], v[12:13], v[16:17]
	s_waitcnt vmcnt(0)
	v_fma_f64 v[12:13], v[12:13], v[18:19], -v[20:21]
	v_fmac_f64_e32 v[16:17], v[14:15], v[18:19]
	v_add_f64 v[4:5], v[4:5], v[12:13]
	v_add_f64 v[2:3], v[2:3], v[16:17]
	s_andn2_b64 exec, exec, s[6:7]
	s_cbranch_execnz .LBB103_165
; %bb.166:
	s_or_b64 exec, exec, s[6:7]
	v_mov_b32_e32 v8, 0
	ds_read_b128 v[8:11], v8 offset:608
	s_waitcnt lgkmcnt(0)
	v_mul_f64 v[12:13], v[2:3], v[10:11]
	v_mul_f64 v[10:11], v[4:5], v[10:11]
	v_fma_f64 v[4:5], v[4:5], v[8:9], -v[12:13]
	v_fmac_f64_e32 v[10:11], v[2:3], v[8:9]
	buffer_store_dword v5, off, s[0:3], 0 offset:628
	buffer_store_dword v4, off, s[0:3], 0 offset:624
	;; [unrolled: 1-line block ×4, first 2 shown]
.LBB103_167:
	s_or_b64 exec, exec, s[4:5]
	v_accvgpr_read_b32 v5, a80
	s_waitcnt lgkmcnt(0)
	; wave barrier
	buffer_load_dword v2, v5, s[0:3], 0 offen
	buffer_load_dword v3, v5, s[0:3], 0 offen offset:4
	buffer_load_dword v4, v5, s[0:3], 0 offen offset:8
	s_nop 0
	buffer_load_dword v5, v5, s[0:3], 0 offen offset:12
	v_cmp_ne_u32_e32 vcc, 39, v0
	s_waitcnt vmcnt(0)
	ds_write_b128 v6, v[2:5]
	s_waitcnt lgkmcnt(0)
	; wave barrier
	s_waitcnt lgkmcnt(0)
	s_and_saveexec_b64 s[4:5], vcc
	s_cbranch_execz .LBB103_171
; %bb.168:
	v_pk_mov_b32 v[2:3], 0, 0
	v_add_u32_e32 v6, 0x280, v1
	v_add_u32_e32 v1, 16, v1
	s_mov_b64 s[6:7], 0
	v_pk_mov_b32 v[4:5], v[2:3], v[2:3] op_sel:[0,1]
.LBB103_169:                            ; =>This Inner Loop Header: Depth=1
	buffer_load_dword v12, v1, s[0:3], 0 offen offset:8
	buffer_load_dword v13, v1, s[0:3], 0 offen offset:12
	buffer_load_dword v14, v1, s[0:3], 0 offen
	buffer_load_dword v15, v1, s[0:3], 0 offen offset:4
	ds_read_b128 v[8:11], v6
	v_add_u32_e32 v7, 1, v7
	v_cmp_lt_u32_e32 vcc, 37, v7
	v_add_u32_e32 v6, 16, v6
	v_add_u32_e32 v1, 16, v1
	s_or_b64 s[6:7], vcc, s[6:7]
	s_waitcnt vmcnt(2) lgkmcnt(0)
	v_mul_f64 v[16:17], v[10:11], v[12:13]
	v_mul_f64 v[12:13], v[8:9], v[12:13]
	s_waitcnt vmcnt(0)
	v_fma_f64 v[8:9], v[8:9], v[14:15], -v[16:17]
	v_fmac_f64_e32 v[12:13], v[10:11], v[14:15]
	v_add_f64 v[4:5], v[4:5], v[8:9]
	v_add_f64 v[2:3], v[2:3], v[12:13]
	s_andn2_b64 exec, exec, s[6:7]
	s_cbranch_execnz .LBB103_169
; %bb.170:
	s_or_b64 exec, exec, s[6:7]
	v_mov_b32_e32 v1, 0
	ds_read_b128 v[6:9], v1 offset:624
	s_waitcnt lgkmcnt(0)
	v_mul_f64 v[10:11], v[2:3], v[8:9]
	v_mul_f64 v[8:9], v[4:5], v[8:9]
	v_fma_f64 v[4:5], v[4:5], v[6:7], -v[10:11]
	v_fmac_f64_e32 v[8:9], v[2:3], v[6:7]
	buffer_store_dword v5, off, s[0:3], 0 offset:644
	buffer_store_dword v4, off, s[0:3], 0 offset:640
	;; [unrolled: 1-line block ×4, first 2 shown]
.LBB103_171:
	s_or_b64 exec, exec, s[4:5]
	s_mov_b64 s[6:7], -1
	s_waitcnt lgkmcnt(0)
	; wave barrier
.LBB103_172:
	s_and_b64 vcc, exec, s[6:7]
	s_cbranch_vccz .LBB103_174
; %bb.173:
	s_lshl_b64 s[4:5], s[8:9], 2
	s_add_u32 s4, s14, s4
	s_addc_u32 s5, s15, s5
	v_mov_b32_e32 v1, 0
	global_load_dword v1, v1, s[4:5]
	s_waitcnt vmcnt(0)
	v_cmp_ne_u32_e32 vcc, 0, v1
	s_cbranch_vccz .LBB103_175
.LBB103_174:
	s_endpgm
.LBB103_175:
	v_mov_b32_e32 v1, 0x280
	v_lshl_add_u32 v1, v0, 4, v1
	v_accvgpr_write_b32 a119, v1
	v_cmp_eq_u32_e32 vcc, 39, v0
	s_and_saveexec_b64 s[4:5], vcc
	s_cbranch_execz .LBB103_177
; %bb.176:
	v_accvgpr_read_b32 v1, a81
	buffer_load_dword v2, v1, s[0:3], 0 offen
	buffer_load_dword v3, v1, s[0:3], 0 offen offset:4
	buffer_load_dword v4, v1, s[0:3], 0 offen offset:8
	;; [unrolled: 1-line block ×3, first 2 shown]
	v_mov_b32_e32 v1, 0
	v_accvgpr_read_b32 v6, a119
	buffer_store_dword v1, off, s[0:3], 0 offset:624
	buffer_store_dword v1, off, s[0:3], 0 offset:628
	;; [unrolled: 1-line block ×4, first 2 shown]
	s_waitcnt vmcnt(4)
	ds_write_b128 v6, v[2:5]
.LBB103_177:
	s_or_b64 exec, exec, s[4:5]
	s_waitcnt lgkmcnt(0)
	; wave barrier
	s_waitcnt lgkmcnt(0)
	buffer_load_dword v6, off, s[0:3], 0 offset:648
	buffer_load_dword v7, off, s[0:3], 0 offset:652
	;; [unrolled: 1-line block ×8, first 2 shown]
	v_mov_b32_e32 v1, 0
	ds_read_b128 v[2:5], v1 offset:1264
	v_cmp_lt_u32_e32 vcc, 37, v0
	s_waitcnt vmcnt(6) lgkmcnt(0)
	v_mul_f64 v[14:15], v[2:3], v[6:7]
	v_mul_f64 v[6:7], v[4:5], v[6:7]
	s_waitcnt vmcnt(4)
	v_fma_f64 v[2:3], v[2:3], v[8:9], -v[6:7]
	v_fmac_f64_e32 v[14:15], v[4:5], v[8:9]
	v_add_f64 v[2:3], v[2:3], 0
	v_add_f64 v[4:5], v[14:15], 0
	s_waitcnt vmcnt(2)
	v_add_f64 v[2:3], v[10:11], -v[2:3]
	s_waitcnt vmcnt(0)
	v_add_f64 v[4:5], v[12:13], -v[4:5]
	buffer_store_dword v2, off, s[0:3], 0 offset:624
	buffer_store_dword v3, off, s[0:3], 0 offset:628
	;; [unrolled: 1-line block ×4, first 2 shown]
	s_and_saveexec_b64 s[4:5], vcc
	s_cbranch_execz .LBB103_179
; %bb.178:
	v_accvgpr_read_b32 v5, a82
	buffer_load_dword v2, v5, s[0:3], 0 offen
	buffer_load_dword v3, v5, s[0:3], 0 offen offset:4
	buffer_load_dword v4, v5, s[0:3], 0 offen offset:8
	s_nop 0
	buffer_load_dword v5, v5, s[0:3], 0 offen offset:12
	v_accvgpr_read_b32 v6, a119
	buffer_store_dword v1, off, s[0:3], 0 offset:608
	buffer_store_dword v1, off, s[0:3], 0 offset:612
	;; [unrolled: 1-line block ×4, first 2 shown]
	s_waitcnt vmcnt(4)
	ds_write_b128 v6, v[2:5]
.LBB103_179:
	s_or_b64 exec, exec, s[4:5]
	s_waitcnt lgkmcnt(0)
	; wave barrier
	s_waitcnt lgkmcnt(0)
	buffer_load_dword v10, off, s[0:3], 0 offset:632
	buffer_load_dword v11, off, s[0:3], 0 offset:636
	;; [unrolled: 1-line block ×12, first 2 shown]
	ds_read_b128 v[2:5], v1 offset:1248
	ds_read_b128 v[6:9], v1 offset:1264
	v_cmp_lt_u32_e32 vcc, 36, v0
	s_waitcnt vmcnt(10) lgkmcnt(1)
	v_mul_f64 v[22:23], v[2:3], v[10:11]
	v_mul_f64 v[10:11], v[4:5], v[10:11]
	s_waitcnt vmcnt(8) lgkmcnt(0)
	v_mul_f64 v[24:25], v[6:7], v[12:13]
	v_mul_f64 v[12:13], v[8:9], v[12:13]
	s_waitcnt vmcnt(6)
	v_fma_f64 v[2:3], v[2:3], v[14:15], -v[10:11]
	v_fmac_f64_e32 v[22:23], v[4:5], v[14:15]
	s_waitcnt vmcnt(4)
	v_fma_f64 v[4:5], v[6:7], v[16:17], -v[12:13]
	v_add_f64 v[2:3], v[2:3], 0
	v_fmac_f64_e32 v[24:25], v[8:9], v[16:17]
	v_add_f64 v[6:7], v[22:23], 0
	v_add_f64 v[2:3], v[2:3], v[4:5]
	;; [unrolled: 1-line block ×3, first 2 shown]
	s_waitcnt vmcnt(2)
	v_add_f64 v[2:3], v[18:19], -v[2:3]
	s_waitcnt vmcnt(0)
	v_add_f64 v[4:5], v[20:21], -v[6:7]
	buffer_store_dword v2, off, s[0:3], 0 offset:608
	buffer_store_dword v3, off, s[0:3], 0 offset:612
	;; [unrolled: 1-line block ×4, first 2 shown]
	s_and_saveexec_b64 s[4:5], vcc
	s_cbranch_execz .LBB103_181
; %bb.180:
	v_accvgpr_read_b32 v1, a83
	buffer_load_dword v2, v1, s[0:3], 0 offen
	buffer_load_dword v3, v1, s[0:3], 0 offen offset:4
	buffer_load_dword v4, v1, s[0:3], 0 offen offset:8
	;; [unrolled: 1-line block ×3, first 2 shown]
	v_mov_b32_e32 v1, 0
	v_accvgpr_read_b32 v6, a119
	buffer_store_dword v1, off, s[0:3], 0 offset:592
	buffer_store_dword v1, off, s[0:3], 0 offset:596
	;; [unrolled: 1-line block ×4, first 2 shown]
	s_waitcnt vmcnt(4)
	ds_write_b128 v6, v[2:5]
.LBB103_181:
	s_or_b64 exec, exec, s[4:5]
	s_waitcnt lgkmcnt(0)
	; wave barrier
	s_waitcnt lgkmcnt(0)
	buffer_load_dword v14, off, s[0:3], 0 offset:616
	buffer_load_dword v15, off, s[0:3], 0 offset:620
	;; [unrolled: 1-line block ×16, first 2 shown]
	v_mov_b32_e32 v1, 0
	ds_read_b128 v[2:5], v1 offset:1232
	ds_read_b128 v[6:9], v1 offset:1248
	;; [unrolled: 1-line block ×3, first 2 shown]
	v_cmp_lt_u32_e32 vcc, 35, v0
	s_waitcnt vmcnt(14) lgkmcnt(2)
	v_mul_f64 v[30:31], v[2:3], v[14:15]
	v_mul_f64 v[14:15], v[4:5], v[14:15]
	s_waitcnt vmcnt(12) lgkmcnt(1)
	v_mul_f64 v[32:33], v[6:7], v[16:17]
	v_mul_f64 v[16:17], v[8:9], v[16:17]
	;; [unrolled: 3-line block ×3, first 2 shown]
	s_waitcnt vmcnt(8)
	v_fma_f64 v[2:3], v[2:3], v[20:21], -v[14:15]
	v_fmac_f64_e32 v[30:31], v[4:5], v[20:21]
	s_waitcnt vmcnt(6)
	v_fma_f64 v[4:5], v[6:7], v[22:23], -v[16:17]
	v_add_f64 v[2:3], v[2:3], 0
	v_fmac_f64_e32 v[32:33], v[8:9], v[22:23]
	s_waitcnt vmcnt(4)
	v_fma_f64 v[6:7], v[10:11], v[24:25], -v[18:19]
	v_add_f64 v[8:9], v[30:31], 0
	v_add_f64 v[2:3], v[2:3], v[4:5]
	v_fmac_f64_e32 v[34:35], v[12:13], v[24:25]
	v_add_f64 v[8:9], v[8:9], v[32:33]
	v_add_f64 v[2:3], v[2:3], v[6:7]
	;; [unrolled: 1-line block ×3, first 2 shown]
	s_waitcnt vmcnt(2)
	v_add_f64 v[2:3], v[26:27], -v[2:3]
	s_waitcnt vmcnt(0)
	v_add_f64 v[4:5], v[28:29], -v[4:5]
	buffer_store_dword v2, off, s[0:3], 0 offset:592
	buffer_store_dword v3, off, s[0:3], 0 offset:596
	;; [unrolled: 1-line block ×4, first 2 shown]
	s_and_saveexec_b64 s[4:5], vcc
	s_cbranch_execz .LBB103_183
; %bb.182:
	v_accvgpr_read_b32 v5, a84
	buffer_load_dword v2, v5, s[0:3], 0 offen
	buffer_load_dword v3, v5, s[0:3], 0 offen offset:4
	buffer_load_dword v4, v5, s[0:3], 0 offen offset:8
	s_nop 0
	buffer_load_dword v5, v5, s[0:3], 0 offen offset:12
	v_accvgpr_read_b32 v6, a119
	buffer_store_dword v1, off, s[0:3], 0 offset:576
	buffer_store_dword v1, off, s[0:3], 0 offset:580
	buffer_store_dword v1, off, s[0:3], 0 offset:584
	buffer_store_dword v1, off, s[0:3], 0 offset:588
	s_waitcnt vmcnt(4)
	ds_write_b128 v6, v[2:5]
.LBB103_183:
	s_or_b64 exec, exec, s[4:5]
	s_waitcnt lgkmcnt(0)
	; wave barrier
	s_waitcnt lgkmcnt(0)
	buffer_load_dword v18, off, s[0:3], 0 offset:600
	buffer_load_dword v19, off, s[0:3], 0 offset:604
	;; [unrolled: 1-line block ×20, first 2 shown]
	ds_read_b128 v[2:5], v1 offset:1216
	ds_read_b128 v[6:9], v1 offset:1232
	;; [unrolled: 1-line block ×4, first 2 shown]
	v_cmp_lt_u32_e32 vcc, 34, v0
	s_waitcnt vmcnt(18) lgkmcnt(3)
	v_mul_f64 v[38:39], v[2:3], v[18:19]
	v_mul_f64 v[18:19], v[4:5], v[18:19]
	s_waitcnt vmcnt(16) lgkmcnt(2)
	v_mul_f64 v[40:41], v[6:7], v[20:21]
	v_mul_f64 v[20:21], v[8:9], v[20:21]
	;; [unrolled: 3-line block ×4, first 2 shown]
	s_waitcnt vmcnt(10)
	v_fma_f64 v[2:3], v[2:3], v[26:27], -v[18:19]
	v_fmac_f64_e32 v[38:39], v[4:5], v[26:27]
	s_waitcnt vmcnt(8)
	v_fma_f64 v[4:5], v[6:7], v[28:29], -v[20:21]
	v_add_f64 v[2:3], v[2:3], 0
	v_fmac_f64_e32 v[40:41], v[8:9], v[28:29]
	s_waitcnt vmcnt(6)
	v_fma_f64 v[6:7], v[10:11], v[30:31], -v[22:23]
	v_add_f64 v[10:11], v[38:39], 0
	v_add_f64 v[2:3], v[2:3], v[4:5]
	v_fmac_f64_e32 v[42:43], v[12:13], v[30:31]
	s_waitcnt vmcnt(4)
	v_fma_f64 v[8:9], v[14:15], v[32:33], -v[24:25]
	v_add_f64 v[10:11], v[10:11], v[40:41]
	v_add_f64 v[2:3], v[2:3], v[6:7]
	v_fmac_f64_e32 v[44:45], v[16:17], v[32:33]
	v_add_f64 v[4:5], v[10:11], v[42:43]
	v_add_f64 v[2:3], v[2:3], v[8:9]
	;; [unrolled: 1-line block ×3, first 2 shown]
	s_waitcnt vmcnt(2)
	v_add_f64 v[2:3], v[34:35], -v[2:3]
	s_waitcnt vmcnt(0)
	v_add_f64 v[4:5], v[36:37], -v[4:5]
	buffer_store_dword v2, off, s[0:3], 0 offset:576
	buffer_store_dword v3, off, s[0:3], 0 offset:580
	buffer_store_dword v4, off, s[0:3], 0 offset:584
	buffer_store_dword v5, off, s[0:3], 0 offset:588
	s_and_saveexec_b64 s[4:5], vcc
	s_cbranch_execz .LBB103_185
; %bb.184:
	v_accvgpr_read_b32 v1, a85
	buffer_load_dword v2, v1, s[0:3], 0 offen
	buffer_load_dword v3, v1, s[0:3], 0 offen offset:4
	buffer_load_dword v4, v1, s[0:3], 0 offen offset:8
	;; [unrolled: 1-line block ×3, first 2 shown]
	v_mov_b32_e32 v1, 0
	v_accvgpr_read_b32 v6, a119
	buffer_store_dword v1, off, s[0:3], 0 offset:560
	buffer_store_dword v1, off, s[0:3], 0 offset:564
	;; [unrolled: 1-line block ×4, first 2 shown]
	s_waitcnt vmcnt(4)
	ds_write_b128 v6, v[2:5]
.LBB103_185:
	s_or_b64 exec, exec, s[4:5]
	s_waitcnt lgkmcnt(0)
	; wave barrier
	s_waitcnt lgkmcnt(0)
	buffer_load_dword v22, off, s[0:3], 0 offset:584
	buffer_load_dword v23, off, s[0:3], 0 offset:588
	;; [unrolled: 1-line block ×24, first 2 shown]
	v_mov_b32_e32 v1, 0
	ds_read_b128 v[2:5], v1 offset:1200
	ds_read_b128 v[6:9], v1 offset:1216
	;; [unrolled: 1-line block ×5, first 2 shown]
	v_cmp_lt_u32_e32 vcc, 33, v0
	s_waitcnt vmcnt(22) lgkmcnt(4)
	v_mul_f64 v[46:47], v[2:3], v[22:23]
	v_mul_f64 v[22:23], v[4:5], v[22:23]
	s_waitcnt vmcnt(20) lgkmcnt(3)
	v_mul_f64 v[48:49], v[6:7], v[24:25]
	v_mul_f64 v[24:25], v[8:9], v[24:25]
	;; [unrolled: 3-line block ×4, first 2 shown]
	s_waitcnt vmcnt(13) lgkmcnt(0)
	v_mul_f64 v[54:55], v[18:19], v[28:29]
	s_waitcnt vmcnt(11)
	v_fma_f64 v[2:3], v[2:3], v[34:35], -v[22:23]
	v_fmac_f64_e32 v[46:47], v[4:5], v[34:35]
	s_waitcnt vmcnt(9)
	v_fma_f64 v[4:5], v[6:7], v[36:37], -v[24:25]
	v_add_f64 v[2:3], v[2:3], 0
	v_fmac_f64_e32 v[48:49], v[8:9], v[36:37]
	s_waitcnt vmcnt(7)
	v_fmac_f64_e32 v[50:51], v[12:13], v[38:39]
	v_fma_f64 v[6:7], v[10:11], v[38:39], -v[26:27]
	v_add_f64 v[12:13], v[46:47], 0
	v_add_f64 v[2:3], v[2:3], v[4:5]
	v_mul_f64 v[28:29], v[20:21], v[28:29]
	s_waitcnt vmcnt(5)
	v_fma_f64 v[8:9], v[14:15], v[40:41], -v[32:33]
	v_add_f64 v[12:13], v[12:13], v[48:49]
	v_add_f64 v[2:3], v[2:3], v[6:7]
	v_fmac_f64_e32 v[52:53], v[16:17], v[40:41]
	s_waitcnt vmcnt(4)
	v_fma_f64 v[10:11], v[18:19], v[30:31], -v[28:29]
	v_add_f64 v[4:5], v[12:13], v[50:51]
	v_add_f64 v[2:3], v[2:3], v[8:9]
	v_fmac_f64_e32 v[54:55], v[20:21], v[30:31]
	v_add_f64 v[4:5], v[4:5], v[52:53]
	v_add_f64 v[2:3], v[2:3], v[10:11]
	;; [unrolled: 1-line block ×3, first 2 shown]
	s_waitcnt vmcnt(2)
	v_add_f64 v[2:3], v[42:43], -v[2:3]
	s_waitcnt vmcnt(0)
	v_add_f64 v[4:5], v[44:45], -v[4:5]
	buffer_store_dword v3, off, s[0:3], 0 offset:564
	buffer_store_dword v2, off, s[0:3], 0 offset:560
	;; [unrolled: 1-line block ×4, first 2 shown]
	s_and_saveexec_b64 s[4:5], vcc
	s_cbranch_execz .LBB103_187
; %bb.186:
	v_accvgpr_read_b32 v5, a86
	buffer_load_dword v2, v5, s[0:3], 0 offen
	buffer_load_dword v3, v5, s[0:3], 0 offen offset:4
	buffer_load_dword v4, v5, s[0:3], 0 offen offset:8
	s_nop 0
	buffer_load_dword v5, v5, s[0:3], 0 offen offset:12
	v_accvgpr_read_b32 v6, a119
	buffer_store_dword v1, off, s[0:3], 0 offset:544
	buffer_store_dword v1, off, s[0:3], 0 offset:548
	;; [unrolled: 1-line block ×4, first 2 shown]
	s_waitcnt vmcnt(4)
	ds_write_b128 v6, v[2:5]
.LBB103_187:
	s_or_b64 exec, exec, s[4:5]
	s_waitcnt lgkmcnt(0)
	; wave barrier
	s_waitcnt lgkmcnt(0)
	buffer_load_dword v26, off, s[0:3], 0 offset:568
	buffer_load_dword v27, off, s[0:3], 0 offset:572
	;; [unrolled: 1-line block ×28, first 2 shown]
	ds_read_b128 v[2:5], v1 offset:1184
	ds_read_b128 v[6:9], v1 offset:1200
	;; [unrolled: 1-line block ×6, first 2 shown]
	v_cmp_lt_u32_e32 vcc, 32, v0
	s_waitcnt vmcnt(26) lgkmcnt(5)
	v_mul_f64 v[54:55], v[2:3], v[26:27]
	v_mul_f64 v[26:27], v[4:5], v[26:27]
	s_waitcnt vmcnt(24) lgkmcnt(4)
	v_mul_f64 v[56:57], v[6:7], v[28:29]
	v_mul_f64 v[28:29], v[8:9], v[28:29]
	;; [unrolled: 3-line block ×4, first 2 shown]
	s_waitcnt vmcnt(17)
	v_mul_f64 v[60:61], v[14:15], v[36:37]
	v_mul_f64 v[36:37], v[16:17], v[36:37]
	s_waitcnt vmcnt(15) lgkmcnt(0)
	v_mul_f64 v[64:65], v[22:23], v[38:39]
	v_mul_f64 v[38:39], v[24:25], v[38:39]
	s_waitcnt vmcnt(14)
	v_fmac_f64_e32 v[62:63], v[20:21], v[34:35]
	s_waitcnt vmcnt(12)
	v_fma_f64 v[2:3], v[2:3], v[40:41], -v[26:27]
	v_fmac_f64_e32 v[54:55], v[4:5], v[40:41]
	s_waitcnt vmcnt(10)
	v_fma_f64 v[4:5], v[6:7], v[42:43], -v[28:29]
	v_add_f64 v[2:3], v[2:3], 0
	v_fmac_f64_e32 v[56:57], v[8:9], v[42:43]
	s_waitcnt vmcnt(8)
	v_fma_f64 v[6:7], v[10:11], v[44:45], -v[30:31]
	s_waitcnt vmcnt(6)
	v_fma_f64 v[8:9], v[14:15], v[46:47], -v[36:37]
	v_add_f64 v[14:15], v[54:55], 0
	v_add_f64 v[2:3], v[2:3], v[4:5]
	v_fmac_f64_e32 v[58:59], v[12:13], v[44:45]
	v_add_f64 v[14:15], v[14:15], v[56:57]
	v_add_f64 v[2:3], v[2:3], v[6:7]
	v_fmac_f64_e32 v[60:61], v[16:17], v[46:47]
	v_fma_f64 v[10:11], v[18:19], v[34:35], -v[32:33]
	v_add_f64 v[4:5], v[14:15], v[58:59]
	v_add_f64 v[2:3], v[2:3], v[8:9]
	s_waitcnt vmcnt(4)
	v_fma_f64 v[12:13], v[22:23], v[48:49], -v[38:39]
	v_add_f64 v[4:5], v[4:5], v[60:61]
	v_add_f64 v[2:3], v[2:3], v[10:11]
	v_fmac_f64_e32 v[64:65], v[24:25], v[48:49]
	v_add_f64 v[4:5], v[4:5], v[62:63]
	v_add_f64 v[2:3], v[2:3], v[12:13]
	v_add_f64 v[4:5], v[4:5], v[64:65]
	s_waitcnt vmcnt(2)
	v_add_f64 v[2:3], v[50:51], -v[2:3]
	s_waitcnt vmcnt(0)
	v_add_f64 v[4:5], v[52:53], -v[4:5]
	buffer_store_dword v3, off, s[0:3], 0 offset:548
	buffer_store_dword v2, off, s[0:3], 0 offset:544
	;; [unrolled: 1-line block ×4, first 2 shown]
	s_and_saveexec_b64 s[4:5], vcc
	s_cbranch_execz .LBB103_189
; %bb.188:
	v_accvgpr_read_b32 v1, a87
	buffer_load_dword v2, v1, s[0:3], 0 offen
	buffer_load_dword v3, v1, s[0:3], 0 offen offset:4
	buffer_load_dword v4, v1, s[0:3], 0 offen offset:8
	;; [unrolled: 1-line block ×3, first 2 shown]
	v_mov_b32_e32 v1, 0
	v_accvgpr_read_b32 v6, a119
	buffer_store_dword v1, off, s[0:3], 0 offset:528
	buffer_store_dword v1, off, s[0:3], 0 offset:532
	;; [unrolled: 1-line block ×4, first 2 shown]
	s_waitcnt vmcnt(4)
	ds_write_b128 v6, v[2:5]
.LBB103_189:
	s_or_b64 exec, exec, s[4:5]
	s_waitcnt lgkmcnt(0)
	; wave barrier
	s_waitcnt lgkmcnt(0)
	buffer_load_dword v30, off, s[0:3], 0 offset:552
	buffer_load_dword v31, off, s[0:3], 0 offset:556
	buffer_load_dword v32, off, s[0:3], 0 offset:568
	buffer_load_dword v33, off, s[0:3], 0 offset:572
	buffer_load_dword v34, off, s[0:3], 0 offset:584
	buffer_load_dword v35, off, s[0:3], 0 offset:588
	buffer_load_dword v37, off, s[0:3], 0 offset:620
	buffer_load_dword v36, off, s[0:3], 0 offset:616
	buffer_load_dword v38, off, s[0:3], 0 offset:608
	buffer_load_dword v41, off, s[0:3], 0 offset:604
	buffer_load_dword v40, off, s[0:3], 0 offset:600
	buffer_load_dword v42, off, s[0:3], 0 offset:648
	buffer_load_dword v44, off, s[0:3], 0 offset:640
	buffer_load_dword v47, off, s[0:3], 0 offset:636
	buffer_load_dword v46, off, s[0:3], 0 offset:632
	buffer_load_dword v43, off, s[0:3], 0 offset:652
	buffer_load_dword v39, off, s[0:3], 0 offset:612
	buffer_load_dword v48, off, s[0:3], 0 offset:544
	buffer_load_dword v49, off, s[0:3], 0 offset:548
	buffer_load_dword v50, off, s[0:3], 0 offset:560
	buffer_load_dword v51, off, s[0:3], 0 offset:564
	buffer_load_dword v52, off, s[0:3], 0 offset:576
	buffer_load_dword v53, off, s[0:3], 0 offset:580
	buffer_load_dword v55, off, s[0:3], 0 offset:596
	buffer_load_dword v54, off, s[0:3], 0 offset:592
	buffer_load_dword v57, off, s[0:3], 0 offset:628
	buffer_load_dword v56, off, s[0:3], 0 offset:624
	buffer_load_dword v45, off, s[0:3], 0 offset:644
	buffer_load_dword v58, off, s[0:3], 0 offset:528
	buffer_load_dword v59, off, s[0:3], 0 offset:532
	buffer_load_dword v60, off, s[0:3], 0 offset:536
	buffer_load_dword v61, off, s[0:3], 0 offset:540
	v_mov_b32_e32 v1, 0
	ds_read_b128 v[2:5], v1 offset:1168
	ds_read_b128 v[6:9], v1 offset:1184
	ds_read_b128 v[10:13], v1 offset:1200
	ds_read_b128 v[14:17], v1 offset:1216
	ds_read_b128 v[18:21], v1 offset:1232
	ds_read_b128 v[22:25], v1 offset:1248
	ds_read_b128 v[26:29], v1 offset:1264
	v_cmp_lt_u32_e32 vcc, 31, v0
	s_waitcnt vmcnt(30) lgkmcnt(6)
	v_mul_f64 v[62:63], v[2:3], v[30:31]
	v_mul_f64 v[30:31], v[4:5], v[30:31]
	s_waitcnt vmcnt(28) lgkmcnt(5)
	v_mul_f64 v[64:65], v[6:7], v[32:33]
	v_mul_f64 v[32:33], v[8:9], v[32:33]
	;; [unrolled: 3-line block ×4, first 2 shown]
	s_waitcnt vmcnt(21)
	v_mul_f64 v[68:69], v[14:15], v[40:41]
	v_mul_f64 v[40:41], v[16:17], v[40:41]
	s_waitcnt vmcnt(17) lgkmcnt(1)
	v_mul_f64 v[72:73], v[22:23], v[46:47]
	v_mul_f64 v[46:47], v[24:25], v[46:47]
	s_waitcnt vmcnt(16) lgkmcnt(0)
	v_mul_f64 v[74:75], v[26:27], v[42:43]
	v_mul_f64 v[42:43], v[28:29], v[42:43]
	s_waitcnt vmcnt(13)
	v_fma_f64 v[2:3], v[2:3], v[48:49], -v[30:31]
	v_fmac_f64_e32 v[62:63], v[4:5], v[48:49]
	s_waitcnt vmcnt(11)
	v_fma_f64 v[4:5], v[6:7], v[50:51], -v[32:33]
	v_add_f64 v[2:3], v[2:3], 0
	v_fmac_f64_e32 v[64:65], v[8:9], v[50:51]
	s_waitcnt vmcnt(9)
	v_fma_f64 v[6:7], v[10:11], v[52:53], -v[34:35]
	s_waitcnt vmcnt(7)
	v_fmac_f64_e32 v[68:69], v[16:17], v[54:55]
	v_add_f64 v[16:17], v[62:63], 0
	v_add_f64 v[2:3], v[2:3], v[4:5]
	v_fmac_f64_e32 v[66:67], v[12:13], v[52:53]
	v_fma_f64 v[8:9], v[14:15], v[54:55], -v[40:41]
	v_add_f64 v[16:17], v[16:17], v[64:65]
	v_add_f64 v[2:3], v[2:3], v[6:7]
	v_fma_f64 v[10:11], v[18:19], v[38:39], -v[36:37]
	v_add_f64 v[4:5], v[16:17], v[66:67]
	v_add_f64 v[2:3], v[2:3], v[8:9]
	v_fmac_f64_e32 v[70:71], v[20:21], v[38:39]
	s_waitcnt vmcnt(5)
	v_fma_f64 v[12:13], v[22:23], v[56:57], -v[46:47]
	v_add_f64 v[4:5], v[4:5], v[68:69]
	v_add_f64 v[2:3], v[2:3], v[10:11]
	v_fmac_f64_e32 v[72:73], v[24:25], v[56:57]
	s_waitcnt vmcnt(4)
	v_fma_f64 v[14:15], v[26:27], v[44:45], -v[42:43]
	v_add_f64 v[4:5], v[4:5], v[70:71]
	v_add_f64 v[2:3], v[2:3], v[12:13]
	v_fmac_f64_e32 v[74:75], v[28:29], v[44:45]
	v_add_f64 v[4:5], v[4:5], v[72:73]
	v_add_f64 v[2:3], v[2:3], v[14:15]
	;; [unrolled: 1-line block ×3, first 2 shown]
	s_waitcnt vmcnt(2)
	v_add_f64 v[2:3], v[58:59], -v[2:3]
	s_waitcnt vmcnt(0)
	v_add_f64 v[4:5], v[60:61], -v[4:5]
	buffer_store_dword v3, off, s[0:3], 0 offset:532
	buffer_store_dword v2, off, s[0:3], 0 offset:528
	;; [unrolled: 1-line block ×4, first 2 shown]
	s_and_saveexec_b64 s[4:5], vcc
	s_cbranch_execz .LBB103_191
; %bb.190:
	v_accvgpr_read_b32 v5, a88
	buffer_load_dword v2, v5, s[0:3], 0 offen
	buffer_load_dword v3, v5, s[0:3], 0 offen offset:4
	buffer_load_dword v4, v5, s[0:3], 0 offen offset:8
	s_nop 0
	buffer_load_dword v5, v5, s[0:3], 0 offen offset:12
	v_accvgpr_read_b32 v6, a119
	buffer_store_dword v1, off, s[0:3], 0 offset:512
	buffer_store_dword v1, off, s[0:3], 0 offset:516
	buffer_store_dword v1, off, s[0:3], 0 offset:520
	buffer_store_dword v1, off, s[0:3], 0 offset:524
	s_waitcnt vmcnt(4)
	ds_write_b128 v6, v[2:5]
.LBB103_191:
	s_or_b64 exec, exec, s[4:5]
	s_waitcnt lgkmcnt(0)
	; wave barrier
	s_waitcnt lgkmcnt(0)
	buffer_load_dword v34, off, s[0:3], 0 offset:536
	buffer_load_dword v35, off, s[0:3], 0 offset:540
	;; [unrolled: 1-line block ×36, first 2 shown]
	ds_read_b128 v[2:5], v1 offset:1152
	ds_read_b128 v[6:9], v1 offset:1168
	;; [unrolled: 1-line block ×8, first 2 shown]
	v_cmp_lt_u32_e32 vcc, 30, v0
	s_waitcnt vmcnt(34) lgkmcnt(7)
	v_mul_f64 v[70:71], v[2:3], v[34:35]
	v_mul_f64 v[34:35], v[4:5], v[34:35]
	s_waitcnt vmcnt(32) lgkmcnt(6)
	v_mul_f64 v[72:73], v[6:7], v[36:37]
	v_mul_f64 v[36:37], v[8:9], v[36:37]
	;; [unrolled: 3-line block ×4, first 2 shown]
	s_waitcnt vmcnt(25)
	v_mul_f64 v[76:77], v[14:15], v[44:45]
	v_mul_f64 v[44:45], v[16:17], v[44:45]
	s_waitcnt vmcnt(23) lgkmcnt(1)
	v_mul_f64 v[82:83], v[26:27], v[46:47]
	v_mul_f64 v[46:47], v[28:29], v[46:47]
	s_waitcnt vmcnt(20)
	v_mul_f64 v[80:81], v[22:23], v[50:51]
	v_mul_f64 v[50:51], v[24:25], v[50:51]
	s_waitcnt vmcnt(18) lgkmcnt(0)
	v_mul_f64 v[84:85], v[30:31], v[52:53]
	s_waitcnt vmcnt(17)
	v_fmac_f64_e32 v[78:79], v[20:21], v[42:43]
	s_waitcnt vmcnt(16)
	v_fmac_f64_e32 v[82:83], v[28:29], v[48:49]
	s_waitcnt vmcnt(14)
	v_fma_f64 v[2:3], v[2:3], v[54:55], -v[34:35]
	v_fmac_f64_e32 v[70:71], v[4:5], v[54:55]
	s_waitcnt vmcnt(12)
	v_fma_f64 v[4:5], v[6:7], v[56:57], -v[36:37]
	v_add_f64 v[2:3], v[2:3], 0
	v_fmac_f64_e32 v[72:73], v[8:9], v[56:57]
	s_waitcnt vmcnt(10)
	v_fma_f64 v[6:7], v[10:11], v[58:59], -v[38:39]
	s_waitcnt vmcnt(8)
	v_fmac_f64_e32 v[76:77], v[16:17], v[60:61]
	v_add_f64 v[16:17], v[70:71], 0
	v_add_f64 v[2:3], v[2:3], v[4:5]
	v_fmac_f64_e32 v[74:75], v[12:13], v[58:59]
	v_fma_f64 v[8:9], v[14:15], v[60:61], -v[44:45]
	v_add_f64 v[16:17], v[16:17], v[72:73]
	v_add_f64 v[2:3], v[2:3], v[6:7]
	v_fma_f64 v[10:11], v[18:19], v[42:43], -v[40:41]
	v_add_f64 v[4:5], v[16:17], v[74:75]
	v_add_f64 v[2:3], v[2:3], v[8:9]
	s_waitcnt vmcnt(6)
	v_fma_f64 v[12:13], v[22:23], v[62:63], -v[50:51]
	v_add_f64 v[4:5], v[4:5], v[76:77]
	v_add_f64 v[2:3], v[2:3], v[10:11]
	v_fmac_f64_e32 v[80:81], v[24:25], v[62:63]
	v_fma_f64 v[14:15], v[26:27], v[48:49], -v[46:47]
	v_add_f64 v[4:5], v[4:5], v[78:79]
	v_add_f64 v[2:3], v[2:3], v[12:13]
	v_mul_f64 v[6:7], v[32:33], v[52:53]
	v_add_f64 v[4:5], v[4:5], v[80:81]
	v_add_f64 v[2:3], v[2:3], v[14:15]
	s_waitcnt vmcnt(4)
	v_fma_f64 v[6:7], v[30:31], v[64:65], -v[6:7]
	v_fmac_f64_e32 v[84:85], v[32:33], v[64:65]
	v_add_f64 v[4:5], v[4:5], v[82:83]
	v_add_f64 v[2:3], v[2:3], v[6:7]
	;; [unrolled: 1-line block ×3, first 2 shown]
	s_waitcnt vmcnt(2)
	v_add_f64 v[2:3], v[66:67], -v[2:3]
	s_waitcnt vmcnt(0)
	v_add_f64 v[4:5], v[68:69], -v[4:5]
	buffer_store_dword v3, off, s[0:3], 0 offset:516
	buffer_store_dword v2, off, s[0:3], 0 offset:512
	;; [unrolled: 1-line block ×4, first 2 shown]
	s_and_saveexec_b64 s[4:5], vcc
	s_cbranch_execz .LBB103_193
; %bb.192:
	v_accvgpr_read_b32 v1, a89
	buffer_load_dword v2, v1, s[0:3], 0 offen
	buffer_load_dword v3, v1, s[0:3], 0 offen offset:4
	buffer_load_dword v4, v1, s[0:3], 0 offen offset:8
	;; [unrolled: 1-line block ×3, first 2 shown]
	v_mov_b32_e32 v1, 0
	v_accvgpr_read_b32 v6, a119
	buffer_store_dword v1, off, s[0:3], 0 offset:496
	buffer_store_dword v1, off, s[0:3], 0 offset:500
	;; [unrolled: 1-line block ×4, first 2 shown]
	s_waitcnt vmcnt(4)
	ds_write_b128 v6, v[2:5]
.LBB103_193:
	s_or_b64 exec, exec, s[4:5]
	s_waitcnt lgkmcnt(0)
	; wave barrier
	s_waitcnt lgkmcnt(0)
	buffer_load_dword v38, off, s[0:3], 0 offset:520
	buffer_load_dword v39, off, s[0:3], 0 offset:524
	;; [unrolled: 1-line block ×40, first 2 shown]
	v_mov_b32_e32 v1, 0
	ds_read_b128 v[2:5], v1 offset:1136
	ds_read_b128 v[6:9], v1 offset:1152
	;; [unrolled: 1-line block ×9, first 2 shown]
	v_cmp_lt_u32_e32 vcc, 29, v0
	s_waitcnt vmcnt(38) lgkmcnt(8)
	v_mul_f64 v[78:79], v[2:3], v[38:39]
	v_mul_f64 v[38:39], v[4:5], v[38:39]
	s_waitcnt vmcnt(36) lgkmcnt(7)
	v_mul_f64 v[80:81], v[6:7], v[40:41]
	v_mul_f64 v[40:41], v[8:9], v[40:41]
	;; [unrolled: 3-line block ×3, first 2 shown]
	s_waitcnt vmcnt(32) lgkmcnt(4)
	v_mul_f64 v[86:87], v[18:19], v[44:45]
	s_waitcnt vmcnt(30)
	v_fmac_f64_e32 v[86:87], v[20:21], v[46:47]
	s_waitcnt vmcnt(28)
	v_mul_f64 v[84:85], v[14:15], v[48:49]
	v_mul_f64 v[48:49], v[16:17], v[48:49]
	s_waitcnt vmcnt(26) lgkmcnt(2)
	v_mul_f64 v[90:91], v[26:27], v[50:51]
	s_waitcnt vmcnt(24)
	v_fmac_f64_e32 v[90:91], v[28:29], v[52:53]
	s_waitcnt vmcnt(22)
	v_mul_f64 v[88:89], v[22:23], v[54:55]
	s_waitcnt vmcnt(18) lgkmcnt(1)
	v_mul_f64 v[92:93], v[30:31], v[60:61]
	s_waitcnt vmcnt(17) lgkmcnt(0)
	v_mul_f64 v[94:95], v[34:35], v[56:57]
	s_waitcnt vmcnt(15)
	v_fma_f64 v[2:3], v[2:3], v[62:63], -v[38:39]
	v_fmac_f64_e32 v[78:79], v[4:5], v[62:63]
	s_waitcnt vmcnt(13)
	v_fma_f64 v[4:5], v[6:7], v[64:65], -v[40:41]
	v_add_f64 v[2:3], v[2:3], 0
	s_waitcnt vmcnt(11)
	v_fma_f64 v[6:7], v[10:11], v[66:67], -v[42:43]
	v_add_f64 v[2:3], v[2:3], v[4:5]
	v_fmac_f64_e32 v[80:81], v[8:9], v[64:65]
	s_waitcnt vmcnt(9)
	v_fma_f64 v[8:9], v[14:15], v[68:69], -v[48:49]
	v_add_f64 v[2:3], v[2:3], v[6:7]
	v_mul_f64 v[6:7], v[20:21], v[44:45]
	v_add_f64 v[2:3], v[2:3], v[8:9]
	v_fma_f64 v[6:7], v[18:19], v[46:47], -v[6:7]
	v_add_f64 v[2:3], v[2:3], v[6:7]
	v_mul_f64 v[6:7], v[24:25], v[54:55]
	v_add_f64 v[10:11], v[78:79], 0
	s_waitcnt vmcnt(7)
	v_fma_f64 v[6:7], v[22:23], v[70:71], -v[6:7]
	v_fmac_f64_e32 v[82:83], v[12:13], v[66:67]
	v_add_f64 v[10:11], v[10:11], v[80:81]
	v_add_f64 v[2:3], v[2:3], v[6:7]
	v_mul_f64 v[6:7], v[28:29], v[50:51]
	v_fmac_f64_e32 v[84:85], v[16:17], v[68:69]
	v_add_f64 v[4:5], v[10:11], v[82:83]
	v_fma_f64 v[6:7], v[26:27], v[52:53], -v[6:7]
	v_add_f64 v[4:5], v[4:5], v[84:85]
	v_add_f64 v[2:3], v[2:3], v[6:7]
	v_mul_f64 v[6:7], v[32:33], v[60:61]
	v_fmac_f64_e32 v[88:89], v[24:25], v[70:71]
	v_add_f64 v[4:5], v[4:5], v[86:87]
	s_waitcnt vmcnt(5)
	v_fma_f64 v[6:7], v[30:31], v[72:73], -v[6:7]
	v_add_f64 v[4:5], v[4:5], v[88:89]
	v_add_f64 v[2:3], v[2:3], v[6:7]
	v_mul_f64 v[6:7], v[36:37], v[56:57]
	v_fmac_f64_e32 v[92:93], v[32:33], v[72:73]
	v_add_f64 v[4:5], v[4:5], v[90:91]
	s_waitcnt vmcnt(4)
	v_fma_f64 v[6:7], v[34:35], v[58:59], -v[6:7]
	v_fmac_f64_e32 v[94:95], v[36:37], v[58:59]
	v_add_f64 v[4:5], v[4:5], v[92:93]
	v_add_f64 v[2:3], v[2:3], v[6:7]
	;; [unrolled: 1-line block ×3, first 2 shown]
	s_waitcnt vmcnt(2)
	v_add_f64 v[2:3], v[74:75], -v[2:3]
	s_waitcnt vmcnt(0)
	v_add_f64 v[4:5], v[76:77], -v[4:5]
	buffer_store_dword v3, off, s[0:3], 0 offset:500
	buffer_store_dword v2, off, s[0:3], 0 offset:496
	;; [unrolled: 1-line block ×4, first 2 shown]
	s_and_saveexec_b64 s[4:5], vcc
	s_cbranch_execz .LBB103_195
; %bb.194:
	v_accvgpr_read_b32 v5, a90
	buffer_load_dword v2, v5, s[0:3], 0 offen
	buffer_load_dword v3, v5, s[0:3], 0 offen offset:4
	buffer_load_dword v4, v5, s[0:3], 0 offen offset:8
	s_nop 0
	buffer_load_dword v5, v5, s[0:3], 0 offen offset:12
	v_accvgpr_read_b32 v6, a119
	buffer_store_dword v1, off, s[0:3], 0 offset:480
	buffer_store_dword v1, off, s[0:3], 0 offset:484
	;; [unrolled: 1-line block ×4, first 2 shown]
	s_waitcnt vmcnt(4)
	ds_write_b128 v6, v[2:5]
.LBB103_195:
	s_or_b64 exec, exec, s[4:5]
	s_waitcnt lgkmcnt(0)
	; wave barrier
	s_waitcnt lgkmcnt(0)
	buffer_load_dword v4, off, s[0:3], 0 offset:496
	buffer_load_dword v5, off, s[0:3], 0 offset:500
	;; [unrolled: 1-line block ×44, first 2 shown]
	ds_read_b128 v[6:9], v1 offset:1120
	ds_read_b128 v[10:13], v1 offset:1136
	;; [unrolled: 1-line block ×10, first 2 shown]
	v_cmp_lt_u32_e32 vcc, 28, v0
	s_waitcnt vmcnt(40) lgkmcnt(9)
	v_mul_f64 v[86:87], v[6:7], v[46:47]
	v_mul_f64 v[46:47], v[8:9], v[46:47]
	s_waitcnt vmcnt(38) lgkmcnt(8)
	v_mul_f64 v[88:89], v[10:11], v[48:49]
	v_mul_f64 v[48:49], v[12:13], v[48:49]
	v_fmac_f64_e32 v[86:87], v[8:9], v[4:5]
	v_fma_f64 v[4:5], v[6:7], v[4:5], -v[46:47]
	s_waitcnt vmcnt(36) lgkmcnt(7)
	v_mul_f64 v[90:91], v[14:15], v[2:3]
	v_add_f64 v[4:5], v[4:5], 0
	v_mul_f64 v[2:3], v[16:17], v[2:3]
	v_add_f64 v[8:9], v[86:87], 0
	s_waitcnt vmcnt(30) lgkmcnt(6)
	v_mul_f64 v[92:93], v[18:19], v[54:55]
	s_waitcnt lgkmcnt(5)
	v_mul_f64 v[94:95], v[22:23], v[50:51]
	v_fmac_f64_e32 v[94:95], v[24:25], v[52:53]
	s_waitcnt vmcnt(28) lgkmcnt(3)
	v_mul_f64 v[98:99], v[30:31], v[56:57]
	s_waitcnt vmcnt(26)
	v_fmac_f64_e32 v[98:99], v[32:33], v[58:59]
	s_waitcnt vmcnt(24)
	v_mul_f64 v[96:97], v[26:27], v[60:61]
	s_waitcnt vmcnt(22) lgkmcnt(1)
	v_mul_f64 v[102:103], v[38:39], v[62:63]
	s_waitcnt vmcnt(20)
	v_fmac_f64_e32 v[102:103], v[40:41], v[64:65]
	s_waitcnt vmcnt(18)
	v_mul_f64 v[100:101], v[34:35], v[66:67]
	s_waitcnt vmcnt(16) lgkmcnt(0)
	v_mul_f64 v[104:105], v[42:43], v[68:69]
	s_waitcnt vmcnt(14)
	v_fma_f64 v[6:7], v[10:11], v[70:71], -v[48:49]
	v_add_f64 v[4:5], v[4:5], v[6:7]
	s_waitcnt vmcnt(12)
	v_fma_f64 v[2:3], v[14:15], v[72:73], -v[2:3]
	v_add_f64 v[2:3], v[4:5], v[2:3]
	v_mul_f64 v[4:5], v[20:21], v[54:55]
	s_waitcnt vmcnt(10)
	v_fma_f64 v[4:5], v[18:19], v[74:75], -v[4:5]
	v_add_f64 v[2:3], v[2:3], v[4:5]
	v_mul_f64 v[4:5], v[24:25], v[50:51]
	v_fma_f64 v[4:5], v[22:23], v[52:53], -v[4:5]
	v_add_f64 v[2:3], v[2:3], v[4:5]
	v_mul_f64 v[4:5], v[28:29], v[60:61]
	s_waitcnt vmcnt(8)
	v_fma_f64 v[4:5], v[26:27], v[76:77], -v[4:5]
	v_fmac_f64_e32 v[88:89], v[12:13], v[70:71]
	v_add_f64 v[2:3], v[2:3], v[4:5]
	v_mul_f64 v[4:5], v[32:33], v[56:57]
	v_fmac_f64_e32 v[90:91], v[16:17], v[72:73]
	v_add_f64 v[8:9], v[8:9], v[88:89]
	v_fma_f64 v[4:5], v[30:31], v[58:59], -v[4:5]
	v_fmac_f64_e32 v[92:93], v[20:21], v[74:75]
	v_add_f64 v[6:7], v[8:9], v[90:91]
	v_add_f64 v[2:3], v[2:3], v[4:5]
	v_mul_f64 v[4:5], v[36:37], v[66:67]
	v_add_f64 v[6:7], v[6:7], v[92:93]
	s_waitcnt vmcnt(6)
	v_fma_f64 v[4:5], v[34:35], v[78:79], -v[4:5]
	v_fmac_f64_e32 v[96:97], v[28:29], v[76:77]
	v_add_f64 v[6:7], v[6:7], v[94:95]
	v_add_f64 v[2:3], v[2:3], v[4:5]
	v_mul_f64 v[4:5], v[40:41], v[62:63]
	v_add_f64 v[6:7], v[6:7], v[96:97]
	v_fma_f64 v[4:5], v[38:39], v[64:65], -v[4:5]
	v_fmac_f64_e32 v[100:101], v[36:37], v[78:79]
	v_add_f64 v[6:7], v[6:7], v[98:99]
	v_add_f64 v[2:3], v[2:3], v[4:5]
	v_mul_f64 v[4:5], v[44:45], v[68:69]
	v_add_f64 v[6:7], v[6:7], v[100:101]
	s_waitcnt vmcnt(4)
	v_fma_f64 v[4:5], v[42:43], v[80:81], -v[4:5]
	v_fmac_f64_e32 v[104:105], v[44:45], v[80:81]
	v_add_f64 v[6:7], v[6:7], v[102:103]
	v_add_f64 v[2:3], v[2:3], v[4:5]
	;; [unrolled: 1-line block ×3, first 2 shown]
	s_waitcnt vmcnt(2)
	v_add_f64 v[2:3], v[82:83], -v[2:3]
	s_waitcnt vmcnt(0)
	v_add_f64 v[4:5], v[84:85], -v[6:7]
	buffer_store_dword v3, off, s[0:3], 0 offset:484
	buffer_store_dword v2, off, s[0:3], 0 offset:480
	;; [unrolled: 1-line block ×4, first 2 shown]
	s_and_saveexec_b64 s[4:5], vcc
	s_cbranch_execz .LBB103_197
; %bb.196:
	v_accvgpr_read_b32 v1, a91
	buffer_load_dword v2, v1, s[0:3], 0 offen
	buffer_load_dword v3, v1, s[0:3], 0 offen offset:4
	buffer_load_dword v4, v1, s[0:3], 0 offen offset:8
	;; [unrolled: 1-line block ×3, first 2 shown]
	v_mov_b32_e32 v1, 0
	v_accvgpr_read_b32 v6, a119
	buffer_store_dword v1, off, s[0:3], 0 offset:464
	buffer_store_dword v1, off, s[0:3], 0 offset:468
	;; [unrolled: 1-line block ×4, first 2 shown]
	s_waitcnt vmcnt(4)
	ds_write_b128 v6, v[2:5]
.LBB103_197:
	s_or_b64 exec, exec, s[4:5]
	s_waitcnt lgkmcnt(0)
	; wave barrier
	s_waitcnt lgkmcnt(0)
	buffer_load_dword v2, off, s[0:3], 0 offset:480
	buffer_load_dword v3, off, s[0:3], 0 offset:484
	;; [unrolled: 1-line block ×48, first 2 shown]
	v_mov_b32_e32 v1, 0
	ds_read_b128 v[12:15], v1 offset:1104
	ds_read_b128 v[16:19], v1 offset:1120
	;; [unrolled: 1-line block ×11, first 2 shown]
	v_cmp_lt_u32_e32 vcc, 27, v0
	s_waitcnt vmcnt(44) lgkmcnt(10)
	v_mul_f64 v[94:95], v[12:13], v[6:7]
	v_mul_f64 v[6:7], v[14:15], v[6:7]
	v_fmac_f64_e32 v[94:95], v[14:15], v[2:3]
	v_fma_f64 v[2:3], v[12:13], v[2:3], -v[6:7]
	s_waitcnt vmcnt(40) lgkmcnt(9)
	v_mul_f64 v[96:97], v[16:17], v[8:9]
	v_mul_f64 v[6:7], v[18:19], v[8:9]
	v_fmac_f64_e32 v[96:97], v[18:19], v[4:5]
	v_add_f64 v[2:3], v[2:3], 0
	v_fma_f64 v[4:5], v[16:17], v[4:5], -v[6:7]
	v_add_f64 v[2:3], v[2:3], v[4:5]
	s_waitcnt vmcnt(38) lgkmcnt(8)
	v_mul_f64 v[4:5], v[22:23], v[10:11]
	v_mul_f64 v[98:99], v[20:21], v[10:11]
	v_add_f64 v[94:95], v[94:95], 0
	s_waitcnt vmcnt(32) lgkmcnt(7)
	v_mul_f64 v[100:101], v[24:25], v[60:61]
	v_add_f64 v[94:95], v[94:95], v[96:97]
	s_waitcnt lgkmcnt(6)
	v_mul_f64 v[102:103], v[28:29], v[56:57]
	v_fmac_f64_e32 v[102:103], v[30:31], v[58:59]
	s_waitcnt vmcnt(30) lgkmcnt(4)
	v_mul_f64 v[106:107], v[36:37], v[62:63]
	s_waitcnt vmcnt(26)
	v_mul_f64 v[104:105], v[32:33], v[66:67]
	v_fmac_f64_e32 v[106:107], v[38:39], v[64:65]
	s_waitcnt vmcnt(24) lgkmcnt(2)
	v_mul_f64 v[110:111], v[44:45], v[68:69]
	s_waitcnt vmcnt(22)
	v_fmac_f64_e32 v[110:111], v[46:47], v[70:71]
	s_waitcnt vmcnt(20)
	v_mul_f64 v[108:109], v[40:41], v[72:73]
	s_waitcnt vmcnt(16) lgkmcnt(1)
	v_mul_f64 v[112:113], v[48:49], v[78:79]
	s_waitcnt vmcnt(14)
	v_fma_f64 v[4:5], v[20:21], v[80:81], -v[4:5]
	v_add_f64 v[2:3], v[2:3], v[4:5]
	v_mul_f64 v[4:5], v[26:27], v[60:61]
	s_waitcnt vmcnt(12)
	v_fma_f64 v[4:5], v[24:25], v[82:83], -v[4:5]
	v_add_f64 v[2:3], v[2:3], v[4:5]
	v_mul_f64 v[4:5], v[30:31], v[56:57]
	v_fma_f64 v[4:5], v[28:29], v[58:59], -v[4:5]
	v_add_f64 v[2:3], v[2:3], v[4:5]
	v_mul_f64 v[4:5], v[34:35], v[66:67]
	s_waitcnt vmcnt(10)
	v_fma_f64 v[4:5], v[32:33], v[84:85], -v[4:5]
	v_add_f64 v[2:3], v[2:3], v[4:5]
	v_mul_f64 v[4:5], v[38:39], v[62:63]
	v_fma_f64 v[4:5], v[36:37], v[64:65], -v[4:5]
	v_fmac_f64_e32 v[98:99], v[22:23], v[80:81]
	v_add_f64 v[2:3], v[2:3], v[4:5]
	v_mul_f64 v[4:5], v[42:43], v[72:73]
	v_fmac_f64_e32 v[100:101], v[26:27], v[82:83]
	v_add_f64 v[94:95], v[94:95], v[98:99]
	s_waitcnt vmcnt(8)
	v_fma_f64 v[4:5], v[40:41], v[86:87], -v[4:5]
	v_add_f64 v[94:95], v[94:95], v[100:101]
	v_add_f64 v[2:3], v[2:3], v[4:5]
	v_mul_f64 v[4:5], v[46:47], v[68:69]
	v_fmac_f64_e32 v[104:105], v[34:35], v[84:85]
	v_add_f64 v[94:95], v[94:95], v[102:103]
	v_fma_f64 v[4:5], v[44:45], v[70:71], -v[4:5]
	v_add_f64 v[94:95], v[94:95], v[104:105]
	v_add_f64 v[2:3], v[2:3], v[4:5]
	v_mul_f64 v[4:5], v[50:51], v[78:79]
	v_fmac_f64_e32 v[108:109], v[42:43], v[86:87]
	v_add_f64 v[94:95], v[94:95], v[106:107]
	s_waitcnt vmcnt(6)
	v_fma_f64 v[4:5], v[48:49], v[88:89], -v[4:5]
	v_add_f64 v[94:95], v[94:95], v[108:109]
	v_add_f64 v[2:3], v[2:3], v[4:5]
	s_waitcnt vmcnt(5) lgkmcnt(0)
	v_mul_f64 v[4:5], v[54:55], v[74:75]
	v_fmac_f64_e32 v[112:113], v[50:51], v[88:89]
	v_add_f64 v[94:95], v[94:95], v[110:111]
	v_mul_f64 v[96:97], v[52:53], v[74:75]
	s_waitcnt vmcnt(4)
	v_fma_f64 v[4:5], v[52:53], v[76:77], -v[4:5]
	v_add_f64 v[94:95], v[94:95], v[112:113]
	v_fmac_f64_e32 v[96:97], v[54:55], v[76:77]
	v_add_f64 v[2:3], v[2:3], v[4:5]
	v_add_f64 v[94:95], v[94:95], v[96:97]
	s_waitcnt vmcnt(2)
	v_add_f64 v[2:3], v[90:91], -v[2:3]
	s_waitcnt vmcnt(0)
	v_add_f64 v[4:5], v[92:93], -v[94:95]
	buffer_store_dword v3, off, s[0:3], 0 offset:468
	buffer_store_dword v2, off, s[0:3], 0 offset:464
	;; [unrolled: 1-line block ×4, first 2 shown]
	s_and_saveexec_b64 s[4:5], vcc
	s_cbranch_execz .LBB103_199
; %bb.198:
	v_accvgpr_read_b32 v5, a92
	buffer_load_dword v2, v5, s[0:3], 0 offen
	buffer_load_dword v3, v5, s[0:3], 0 offen offset:4
	buffer_load_dword v4, v5, s[0:3], 0 offen offset:8
	s_nop 0
	buffer_load_dword v5, v5, s[0:3], 0 offen offset:12
	v_accvgpr_read_b32 v6, a119
	buffer_store_dword v1, off, s[0:3], 0 offset:448
	buffer_store_dword v1, off, s[0:3], 0 offset:452
	;; [unrolled: 1-line block ×4, first 2 shown]
	s_waitcnt vmcnt(4)
	ds_write_b128 v6, v[2:5]
.LBB103_199:
	s_or_b64 exec, exec, s[4:5]
	s_waitcnt lgkmcnt(0)
	; wave barrier
	s_waitcnt lgkmcnt(0)
	buffer_load_dword v2, off, s[0:3], 0 offset:464
	buffer_load_dword v3, off, s[0:3], 0 offset:468
	;; [unrolled: 1-line block ×52, first 2 shown]
	ds_read_b128 v[12:15], v1 offset:1088
	ds_read_b128 v[16:19], v1 offset:1104
	;; [unrolled: 1-line block ×10, first 2 shown]
	v_cmp_lt_u32_e32 vcc, 26, v0
	s_waitcnt vmcnt(48) lgkmcnt(9)
	v_mul_f64 v[52:53], v[12:13], v[6:7]
	v_mul_f64 v[6:7], v[14:15], v[6:7]
	v_fmac_f64_e32 v[52:53], v[14:15], v[2:3]
	v_fma_f64 v[2:3], v[12:13], v[2:3], -v[6:7]
	s_waitcnt vmcnt(44) lgkmcnt(8)
	v_mul_f64 v[54:55], v[16:17], v[8:9]
	v_mul_f64 v[6:7], v[18:19], v[8:9]
	v_fmac_f64_e32 v[54:55], v[18:19], v[4:5]
	v_add_f64 v[2:3], v[2:3], 0
	v_fma_f64 v[4:5], v[16:17], v[4:5], -v[6:7]
	v_add_f64 v[2:3], v[2:3], v[4:5]
	s_waitcnt vmcnt(42) lgkmcnt(7)
	v_mul_f64 v[4:5], v[22:23], v[10:11]
	v_mul_f64 v[56:57], v[20:21], v[10:11]
	v_add_f64 v[52:53], v[52:53], 0
	s_waitcnt vmcnt(36) lgkmcnt(6)
	v_mul_f64 v[58:59], v[24:25], v[64:65]
	v_add_f64 v[52:53], v[52:53], v[54:55]
	s_waitcnt lgkmcnt(5)
	v_mul_f64 v[102:103], v[28:29], v[60:61]
	v_fmac_f64_e32 v[102:103], v[30:31], v[62:63]
	s_waitcnt vmcnt(34) lgkmcnt(3)
	v_mul_f64 v[106:107], v[36:37], v[66:67]
	s_waitcnt vmcnt(30)
	v_mul_f64 v[104:105], v[32:33], v[70:71]
	v_fmac_f64_e32 v[106:107], v[38:39], v[68:69]
	s_waitcnt vmcnt(26) lgkmcnt(2)
	v_mul_f64 v[108:109], v[40:41], v[76:77]
	s_waitcnt vmcnt(25) lgkmcnt(1)
	v_mul_f64 v[110:111], v[44:45], v[72:73]
	s_waitcnt vmcnt(23)
	v_fma_f64 v[4:5], v[20:21], v[78:79], -v[4:5]
	v_add_f64 v[2:3], v[2:3], v[4:5]
	v_mul_f64 v[4:5], v[26:27], v[64:65]
	s_waitcnt vmcnt(21)
	v_fma_f64 v[4:5], v[24:25], v[80:81], -v[4:5]
	v_fmac_f64_e32 v[56:57], v[22:23], v[78:79]
	v_add_f64 v[2:3], v[2:3], v[4:5]
	v_mul_f64 v[4:5], v[30:31], v[60:61]
	v_fmac_f64_e32 v[58:59], v[26:27], v[80:81]
	v_add_f64 v[52:53], v[52:53], v[56:57]
	v_fma_f64 v[4:5], v[28:29], v[62:63], -v[4:5]
	v_add_f64 v[52:53], v[52:53], v[58:59]
	v_add_f64 v[2:3], v[2:3], v[4:5]
	v_mul_f64 v[4:5], v[34:35], v[70:71]
	s_waitcnt vmcnt(19)
	v_fmac_f64_e32 v[104:105], v[34:35], v[82:83]
	v_add_f64 v[52:53], v[52:53], v[102:103]
	v_fma_f64 v[4:5], v[32:33], v[82:83], -v[4:5]
	v_add_f64 v[52:53], v[52:53], v[104:105]
	v_add_f64 v[2:3], v[2:3], v[4:5]
	v_mul_f64 v[4:5], v[38:39], v[66:67]
	s_waitcnt vmcnt(17)
	v_fmac_f64_e32 v[108:109], v[42:43], v[84:85]
	v_add_f64 v[52:53], v[52:53], v[106:107]
	v_fma_f64 v[4:5], v[36:37], v[68:69], -v[4:5]
	s_waitcnt vmcnt(16)
	v_fmac_f64_e32 v[110:111], v[46:47], v[74:75]
	v_add_f64 v[52:53], v[52:53], v[108:109]
	v_add_f64 v[2:3], v[2:3], v[4:5]
	v_mul_f64 v[4:5], v[42:43], v[76:77]
	v_add_f64 v[102:103], v[52:53], v[110:111]
	ds_read_b128 v[52:55], v1 offset:1248
	ds_read_b128 v[56:59], v1 offset:1264
	v_fma_f64 v[4:5], v[40:41], v[84:85], -v[4:5]
	v_add_f64 v[2:3], v[2:3], v[4:5]
	v_mul_f64 v[4:5], v[46:47], v[72:73]
	v_fma_f64 v[4:5], v[44:45], v[74:75], -v[4:5]
	v_add_f64 v[2:3], v[2:3], v[4:5]
	s_waitcnt vmcnt(12) lgkmcnt(2)
	v_mul_f64 v[4:5], v[50:51], v[90:91]
	v_mul_f64 v[104:105], v[48:49], v[90:91]
	s_waitcnt vmcnt(10)
	v_fma_f64 v[4:5], v[48:49], v[92:93], -v[4:5]
	v_fmac_f64_e32 v[104:105], v[50:51], v[92:93]
	v_add_f64 v[2:3], v[2:3], v[4:5]
	s_waitcnt vmcnt(8) lgkmcnt(1)
	v_mul_f64 v[4:5], v[54:55], v[86:87]
	v_add_f64 v[102:103], v[102:103], v[104:105]
	v_mul_f64 v[104:105], v[52:53], v[86:87]
	v_fma_f64 v[4:5], v[52:53], v[88:89], -v[4:5]
	v_fmac_f64_e32 v[104:105], v[54:55], v[88:89]
	v_add_f64 v[2:3], v[2:3], v[4:5]
	s_waitcnt vmcnt(6) lgkmcnt(0)
	v_mul_f64 v[4:5], v[58:59], v[94:95]
	v_add_f64 v[102:103], v[102:103], v[104:105]
	v_mul_f64 v[104:105], v[56:57], v[94:95]
	s_waitcnt vmcnt(4)
	v_fma_f64 v[4:5], v[56:57], v[96:97], -v[4:5]
	v_fmac_f64_e32 v[104:105], v[58:59], v[96:97]
	v_add_f64 v[2:3], v[2:3], v[4:5]
	v_add_f64 v[102:103], v[102:103], v[104:105]
	s_waitcnt vmcnt(2)
	v_add_f64 v[2:3], v[98:99], -v[2:3]
	s_waitcnt vmcnt(0)
	v_add_f64 v[4:5], v[100:101], -v[102:103]
	buffer_store_dword v3, off, s[0:3], 0 offset:452
	buffer_store_dword v2, off, s[0:3], 0 offset:448
	;; [unrolled: 1-line block ×4, first 2 shown]
	s_and_saveexec_b64 s[4:5], vcc
	s_cbranch_execz .LBB103_201
; %bb.200:
	v_accvgpr_read_b32 v1, a93
	buffer_load_dword v2, v1, s[0:3], 0 offen
	buffer_load_dword v3, v1, s[0:3], 0 offen offset:4
	buffer_load_dword v4, v1, s[0:3], 0 offen offset:8
	;; [unrolled: 1-line block ×3, first 2 shown]
	v_mov_b32_e32 v1, 0
	v_accvgpr_read_b32 v6, a119
	buffer_store_dword v1, off, s[0:3], 0 offset:432
	buffer_store_dword v1, off, s[0:3], 0 offset:436
	;; [unrolled: 1-line block ×4, first 2 shown]
	s_waitcnt vmcnt(4)
	ds_write_b128 v6, v[2:5]
.LBB103_201:
	s_or_b64 exec, exec, s[4:5]
	s_waitcnt lgkmcnt(0)
	; wave barrier
	s_waitcnt lgkmcnt(0)
	buffer_load_dword v2, off, s[0:3], 0 offset:448
	buffer_load_dword v3, off, s[0:3], 0 offset:452
	;; [unrolled: 1-line block ×56, first 2 shown]
	v_mov_b32_e32 v1, 0
	ds_read_b128 v[18:21], v1 offset:1072
	ds_read_b128 v[22:25], v1 offset:1088
	;; [unrolled: 1-line block ×9, first 2 shown]
	v_cmp_lt_u32_e32 vcc, 25, v0
	s_waitcnt vmcnt(52) lgkmcnt(8)
	v_mul_f64 v[50:51], v[18:19], v[6:7]
	v_fmac_f64_e32 v[50:51], v[20:21], v[2:3]
	v_mul_f64 v[6:7], v[20:21], v[6:7]
	v_add_f64 v[50:51], v[50:51], 0
	s_waitcnt vmcnt(48) lgkmcnt(7)
	v_mul_f64 v[52:53], v[22:23], v[8:9]
	v_fmac_f64_e32 v[52:53], v[24:25], v[4:5]
	s_waitcnt vmcnt(46) lgkmcnt(6)
	v_mul_f64 v[54:55], v[26:27], v[10:11]
	v_fma_f64 v[2:3], v[18:19], v[2:3], -v[6:7]
	v_mul_f64 v[6:7], v[24:25], v[8:9]
	v_add_f64 v[50:51], v[50:51], v[52:53]
	v_add_f64 v[2:3], v[2:3], 0
	v_fma_f64 v[4:5], v[22:23], v[4:5], -v[6:7]
	s_waitcnt vmcnt(40) lgkmcnt(5)
	v_mul_f64 v[56:57], v[30:31], v[16:17]
	s_waitcnt lgkmcnt(4)
	v_mul_f64 v[58:59], v[34:35], v[12:13]
	v_add_f64 v[2:3], v[2:3], v[4:5]
	v_mul_f64 v[4:5], v[28:29], v[10:11]
	s_waitcnt vmcnt(36) lgkmcnt(3)
	v_mul_f64 v[60:61], v[38:39], v[74:75]
	v_fmac_f64_e32 v[58:59], v[36:37], v[14:15]
	s_waitcnt vmcnt(35) lgkmcnt(2)
	v_mul_f64 v[62:63], v[42:43], v[70:71]
	s_waitcnt vmcnt(33)
	v_fmac_f64_e32 v[54:55], v[28:29], v[76:77]
	v_add_f64 v[50:51], v[50:51], v[54:55]
	s_waitcnt vmcnt(31)
	v_fmac_f64_e32 v[56:57], v[32:33], v[78:79]
	v_add_f64 v[50:51], v[50:51], v[56:57]
	v_fma_f64 v[4:5], v[26:27], v[76:77], -v[4:5]
	s_waitcnt vmcnt(29)
	v_fmac_f64_e32 v[60:61], v[40:41], v[80:81]
	v_add_f64 v[50:51], v[50:51], v[58:59]
	v_add_f64 v[2:3], v[2:3], v[4:5]
	v_mul_f64 v[4:5], v[32:33], v[16:17]
	s_waitcnt vmcnt(28)
	v_fmac_f64_e32 v[62:63], v[44:45], v[72:73]
	v_add_f64 v[50:51], v[50:51], v[60:61]
	v_fma_f64 v[4:5], v[30:31], v[78:79], -v[4:5]
	v_add_f64 v[54:55], v[50:51], v[62:63]
	ds_read_b128 v[50:53], v1 offset:1200
	s_waitcnt vmcnt(24) lgkmcnt(2)
	v_mul_f64 v[56:57], v[46:47], v[86:87]
	v_add_f64 v[2:3], v[2:3], v[4:5]
	v_mul_f64 v[4:5], v[36:37], v[12:13]
	s_waitcnt vmcnt(22)
	v_fmac_f64_e32 v[56:57], v[48:49], v[88:89]
	v_fma_f64 v[4:5], v[34:35], v[14:15], -v[4:5]
	v_add_f64 v[58:59], v[54:55], v[56:57]
	ds_read_b128 v[54:57], v1 offset:1216
	v_add_f64 v[2:3], v[2:3], v[4:5]
	v_mul_f64 v[4:5], v[40:41], v[74:75]
	v_fma_f64 v[4:5], v[38:39], v[80:81], -v[4:5]
	v_add_f64 v[2:3], v[2:3], v[4:5]
	v_mul_f64 v[4:5], v[44:45], v[70:71]
	s_waitcnt vmcnt(20) lgkmcnt(1)
	v_mul_f64 v[60:61], v[50:51], v[82:83]
	v_fma_f64 v[4:5], v[42:43], v[72:73], -v[4:5]
	v_fmac_f64_e32 v[60:61], v[52:53], v[84:85]
	v_add_f64 v[2:3], v[2:3], v[4:5]
	v_mul_f64 v[4:5], v[48:49], v[86:87]
	v_add_f64 v[62:63], v[58:59], v[60:61]
	ds_read_b128 v[58:61], v1 offset:1232
	s_waitcnt vmcnt(16) lgkmcnt(1)
	v_mul_f64 v[64:65], v[54:55], v[94:95]
	v_fma_f64 v[4:5], v[46:47], v[88:89], -v[4:5]
	s_waitcnt vmcnt(14)
	v_fmac_f64_e32 v[64:65], v[56:57], v[96:97]
	v_add_f64 v[2:3], v[2:3], v[4:5]
	v_mul_f64 v[4:5], v[52:53], v[82:83]
	v_add_f64 v[110:111], v[62:63], v[64:65]
	ds_read_b128 v[62:65], v1 offset:1248
	v_fma_f64 v[4:5], v[50:51], v[84:85], -v[4:5]
	v_add_f64 v[2:3], v[2:3], v[4:5]
	v_mul_f64 v[4:5], v[56:57], v[94:95]
	v_fma_f64 v[4:5], v[54:55], v[96:97], -v[4:5]
	v_add_f64 v[2:3], v[2:3], v[4:5]
	s_waitcnt vmcnt(12) lgkmcnt(1)
	v_mul_f64 v[4:5], v[60:61], v[90:91]
	v_mul_f64 v[112:113], v[58:59], v[90:91]
	v_fma_f64 v[4:5], v[58:59], v[92:93], -v[4:5]
	v_fmac_f64_e32 v[112:113], v[60:61], v[92:93]
	v_add_f64 v[2:3], v[2:3], v[4:5]
	s_waitcnt vmcnt(8) lgkmcnt(0)
	v_mul_f64 v[4:5], v[64:65], v[102:103]
	v_add_f64 v[110:111], v[110:111], v[112:113]
	v_mul_f64 v[112:113], v[62:63], v[102:103]
	s_waitcnt vmcnt(6)
	v_fma_f64 v[4:5], v[62:63], v[104:105], -v[4:5]
	v_fmac_f64_e32 v[112:113], v[64:65], v[104:105]
	v_add_f64 v[2:3], v[2:3], v[4:5]
	s_waitcnt vmcnt(5)
	v_mul_f64 v[4:5], v[68:69], v[98:99]
	v_add_f64 v[110:111], v[110:111], v[112:113]
	v_mul_f64 v[112:113], v[66:67], v[98:99]
	s_waitcnt vmcnt(4)
	v_fma_f64 v[4:5], v[66:67], v[100:101], -v[4:5]
	v_fmac_f64_e32 v[112:113], v[68:69], v[100:101]
	v_add_f64 v[2:3], v[2:3], v[4:5]
	v_add_f64 v[110:111], v[110:111], v[112:113]
	s_waitcnt vmcnt(2)
	v_add_f64 v[2:3], v[106:107], -v[2:3]
	s_waitcnt vmcnt(0)
	v_add_f64 v[4:5], v[108:109], -v[110:111]
	buffer_store_dword v3, off, s[0:3], 0 offset:436
	buffer_store_dword v2, off, s[0:3], 0 offset:432
	;; [unrolled: 1-line block ×4, first 2 shown]
	s_and_saveexec_b64 s[4:5], vcc
	s_cbranch_execz .LBB103_203
; %bb.202:
	v_accvgpr_read_b32 v5, a94
	buffer_load_dword v2, v5, s[0:3], 0 offen
	buffer_load_dword v3, v5, s[0:3], 0 offen offset:4
	buffer_load_dword v4, v5, s[0:3], 0 offen offset:8
	s_nop 0
	buffer_load_dword v5, v5, s[0:3], 0 offen offset:12
	v_accvgpr_read_b32 v6, a119
	buffer_store_dword v1, off, s[0:3], 0 offset:416
	buffer_store_dword v1, off, s[0:3], 0 offset:420
	;; [unrolled: 1-line block ×4, first 2 shown]
	s_waitcnt vmcnt(4)
	ds_write_b128 v6, v[2:5]
.LBB103_203:
	s_or_b64 exec, exec, s[4:5]
	s_waitcnt lgkmcnt(0)
	; wave barrier
	s_waitcnt lgkmcnt(0)
	buffer_load_dword v2, off, s[0:3], 0 offset:432
	buffer_load_dword v3, off, s[0:3], 0 offset:436
	;; [unrolled: 1-line block ×60, first 2 shown]
	ds_read_b128 v[24:27], v1 offset:1056
	ds_read_b128 v[28:31], v1 offset:1072
	;; [unrolled: 1-line block ×8, first 2 shown]
	v_cmp_lt_u32_e32 vcc, 24, v0
	ds_read_b128 v[76:79], v1 offset:1264
	s_waitcnt vmcnt(56) lgkmcnt(8)
	v_mul_f64 v[56:57], v[24:25], v[6:7]
	v_fmac_f64_e32 v[56:57], v[26:27], v[2:3]
	v_add_f64 v[56:57], v[56:57], 0
	v_mul_f64 v[6:7], v[26:27], v[6:7]
	s_waitcnt vmcnt(52) lgkmcnt(7)
	v_mul_f64 v[58:59], v[28:29], v[8:9]
	v_fmac_f64_e32 v[58:59], v[30:31], v[4:5]
	s_waitcnt vmcnt(50) lgkmcnt(6)
	v_mul_f64 v[60:61], v[32:33], v[10:11]
	v_add_f64 v[56:57], v[56:57], v[58:59]
	s_waitcnt vmcnt(48) lgkmcnt(4)
	v_mul_f64 v[64:65], v[40:41], v[12:13]
	v_fma_f64 v[2:3], v[24:25], v[2:3], -v[6:7]
	s_waitcnt vmcnt(46)
	v_fmac_f64_e32 v[64:65], v[42:43], v[14:15]
	v_mul_f64 v[6:7], v[30:31], v[8:9]
	s_waitcnt vmcnt(44)
	v_mul_f64 v[62:63], v[36:37], v[16:17]
	v_add_f64 v[2:3], v[2:3], 0
	v_fma_f64 v[4:5], v[28:29], v[4:5], -v[6:7]
	v_add_f64 v[2:3], v[2:3], v[4:5]
	s_waitcnt vmcnt(40) lgkmcnt(3)
	v_mul_f64 v[66:67], v[44:45], v[22:23]
	v_mul_f64 v[4:5], v[34:35], v[10:11]
	s_waitcnt vmcnt(38)
	v_fmac_f64_e32 v[60:61], v[34:35], v[80:81]
	v_add_f64 v[56:57], v[56:57], v[60:61]
	s_waitcnt vmcnt(36)
	v_fmac_f64_e32 v[62:63], v[38:39], v[82:83]
	v_add_f64 v[56:57], v[56:57], v[62:63]
	;; [unrolled: 3-line block ×3, first 2 shown]
	s_waitcnt vmcnt(32) lgkmcnt(2)
	v_mul_f64 v[58:59], v[48:49], v[18:19]
	v_add_f64 v[56:57], v[56:57], v[66:67]
	v_fmac_f64_e32 v[58:59], v[50:51], v[20:21]
	v_add_f64 v[60:61], v[56:57], v[58:59]
	ds_read_b128 v[56:59], v1 offset:1184
	v_fma_f64 v[4:5], v[32:33], v[80:81], -v[4:5]
	v_add_f64 v[2:3], v[2:3], v[4:5]
	v_mul_f64 v[4:5], v[38:39], v[16:17]
	v_fma_f64 v[4:5], v[36:37], v[82:83], -v[4:5]
	s_waitcnt vmcnt(28) lgkmcnt(2)
	v_mul_f64 v[62:63], v[52:53], v[90:91]
	v_add_f64 v[2:3], v[2:3], v[4:5]
	v_mul_f64 v[4:5], v[42:43], v[12:13]
	s_waitcnt vmcnt(26)
	v_fmac_f64_e32 v[62:63], v[54:55], v[92:93]
	v_fma_f64 v[4:5], v[40:41], v[14:15], -v[4:5]
	v_add_f64 v[64:65], v[60:61], v[62:63]
	ds_read_b128 v[60:63], v1 offset:1200
	s_waitcnt vmcnt(24) lgkmcnt(1)
	v_mul_f64 v[66:67], v[56:57], v[86:87]
	v_add_f64 v[2:3], v[2:3], v[4:5]
	v_mul_f64 v[4:5], v[46:47], v[22:23]
	v_fmac_f64_e32 v[66:67], v[58:59], v[88:89]
	v_fma_f64 v[4:5], v[44:45], v[84:85], -v[4:5]
	v_add_f64 v[68:69], v[64:65], v[66:67]
	ds_read_b128 v[64:67], v1 offset:1216
	v_add_f64 v[2:3], v[2:3], v[4:5]
	v_mul_f64 v[4:5], v[50:51], v[18:19]
	v_fma_f64 v[4:5], v[48:49], v[20:21], -v[4:5]
	v_add_f64 v[2:3], v[2:3], v[4:5]
	v_mul_f64 v[4:5], v[54:55], v[90:91]
	s_waitcnt vmcnt(20) lgkmcnt(1)
	v_mul_f64 v[70:71], v[60:61], v[98:99]
	v_fma_f64 v[4:5], v[52:53], v[92:93], -v[4:5]
	s_waitcnt vmcnt(18)
	v_fmac_f64_e32 v[70:71], v[62:63], v[100:101]
	v_add_f64 v[2:3], v[2:3], v[4:5]
	v_mul_f64 v[4:5], v[58:59], v[86:87]
	v_add_f64 v[72:73], v[68:69], v[70:71]
	ds_read_b128 v[68:71], v1 offset:1232
	s_waitcnt vmcnt(16) lgkmcnt(1)
	v_mul_f64 v[74:75], v[64:65], v[94:95]
	v_fma_f64 v[4:5], v[56:57], v[88:89], -v[4:5]
	v_fmac_f64_e32 v[74:75], v[66:67], v[96:97]
	v_add_f64 v[2:3], v[2:3], v[4:5]
	v_mul_f64 v[4:5], v[62:63], v[98:99]
	v_add_f64 v[118:119], v[72:73], v[74:75]
	ds_read_b128 v[72:75], v1 offset:1248
	v_fma_f64 v[4:5], v[60:61], v[100:101], -v[4:5]
	v_add_f64 v[2:3], v[2:3], v[4:5]
	v_mul_f64 v[4:5], v[66:67], v[94:95]
	v_fma_f64 v[4:5], v[64:65], v[96:97], -v[4:5]
	v_add_f64 v[2:3], v[2:3], v[4:5]
	s_waitcnt vmcnt(12) lgkmcnt(1)
	v_mul_f64 v[4:5], v[70:71], v[106:107]
	v_mul_f64 v[122:123], v[68:69], v[106:107]
	s_waitcnt vmcnt(10)
	v_fma_f64 v[4:5], v[68:69], v[108:109], -v[4:5]
	v_fmac_f64_e32 v[122:123], v[70:71], v[108:109]
	v_add_f64 v[2:3], v[2:3], v[4:5]
	s_waitcnt vmcnt(8) lgkmcnt(0)
	v_mul_f64 v[4:5], v[74:75], v[102:103]
	v_add_f64 v[118:119], v[118:119], v[122:123]
	v_mul_f64 v[122:123], v[72:73], v[102:103]
	v_fma_f64 v[4:5], v[72:73], v[104:105], -v[4:5]
	v_fmac_f64_e32 v[122:123], v[74:75], v[104:105]
	v_add_f64 v[2:3], v[2:3], v[4:5]
	s_waitcnt vmcnt(6)
	v_mul_f64 v[4:5], v[78:79], v[110:111]
	v_add_f64 v[118:119], v[118:119], v[122:123]
	v_mul_f64 v[122:123], v[76:77], v[110:111]
	s_waitcnt vmcnt(4)
	v_fma_f64 v[4:5], v[76:77], v[112:113], -v[4:5]
	v_fmac_f64_e32 v[122:123], v[78:79], v[112:113]
	v_add_f64 v[2:3], v[2:3], v[4:5]
	v_add_f64 v[118:119], v[118:119], v[122:123]
	s_waitcnt vmcnt(2)
	v_add_f64 v[2:3], v[114:115], -v[2:3]
	s_waitcnt vmcnt(0)
	v_add_f64 v[4:5], v[116:117], -v[118:119]
	buffer_store_dword v3, off, s[0:3], 0 offset:420
	buffer_store_dword v2, off, s[0:3], 0 offset:416
	;; [unrolled: 1-line block ×4, first 2 shown]
	s_and_saveexec_b64 s[4:5], vcc
	s_cbranch_execz .LBB103_205
; %bb.204:
	v_accvgpr_read_b32 v1, a95
	buffer_load_dword v2, v1, s[0:3], 0 offen
	buffer_load_dword v3, v1, s[0:3], 0 offen offset:4
	buffer_load_dword v4, v1, s[0:3], 0 offen offset:8
	;; [unrolled: 1-line block ×3, first 2 shown]
	v_mov_b32_e32 v1, 0
	v_accvgpr_read_b32 v6, a119
	buffer_store_dword v1, off, s[0:3], 0 offset:400
	buffer_store_dword v1, off, s[0:3], 0 offset:404
	;; [unrolled: 1-line block ×4, first 2 shown]
	s_waitcnt vmcnt(4)
	ds_write_b128 v6, v[2:5]
.LBB103_205:
	s_or_b64 exec, exec, s[4:5]
	s_waitcnt lgkmcnt(0)
	; wave barrier
	s_waitcnt lgkmcnt(0)
	buffer_load_dword v2, off, s[0:3], 0 offset:416
	buffer_load_dword v3, off, s[0:3], 0 offset:420
	;; [unrolled: 1-line block ×64, first 2 shown]
	v_mov_b32_e32 v1, 0
	ds_read_b128 v[30:33], v1 offset:1040
	ds_read_b128 v[34:37], v1 offset:1056
	ds_read_b128 v[38:41], v1 offset:1072
	ds_read_b128 v[42:45], v1 offset:1088
	ds_read_b128 v[46:49], v1 offset:1104
	ds_read_b128 v[50:53], v1 offset:1120
	ds_read_b128 v[86:89], v1 offset:1264
	v_cmp_lt_u32_e32 vcc, 23, v0
	s_waitcnt vmcnt(60) lgkmcnt(6)
	v_mul_f64 v[54:55], v[30:31], v[6:7]
	v_fmac_f64_e32 v[54:55], v[32:33], v[2:3]
	v_add_f64 v[54:55], v[54:55], 0
	v_mul_f64 v[6:7], v[32:33], v[6:7]
	s_waitcnt vmcnt(56) lgkmcnt(5)
	v_mul_f64 v[56:57], v[34:35], v[8:9]
	v_fmac_f64_e32 v[56:57], v[36:37], v[4:5]
	s_waitcnt vmcnt(54) lgkmcnt(4)
	v_mul_f64 v[58:59], v[38:39], v[10:11]
	v_add_f64 v[54:55], v[54:55], v[56:57]
	v_fma_f64 v[2:3], v[30:31], v[2:3], -v[6:7]
	v_mul_f64 v[6:7], v[36:37], v[8:9]
	s_waitcnt vmcnt(50) lgkmcnt(3)
	v_mul_f64 v[60:61], v[42:43], v[16:17]
	s_waitcnt vmcnt(49) lgkmcnt(2)
	v_mul_f64 v[62:63], v[46:47], v[12:13]
	v_add_f64 v[2:3], v[2:3], 0
	s_waitcnt vmcnt(47)
	v_fmac_f64_e32 v[58:59], v[40:41], v[20:21]
	v_add_f64 v[54:55], v[54:55], v[58:59]
	s_waitcnt vmcnt(45)
	v_fmac_f64_e32 v[60:61], v[44:45], v[18:19]
	;; [unrolled: 3-line block ×3, first 2 shown]
	v_add_f64 v[58:59], v[54:55], v[62:63]
	ds_read_b128 v[54:57], v1 offset:1136
	s_waitcnt vmcnt(40) lgkmcnt(2)
	v_mul_f64 v[60:61], v[50:51], v[26:27]
	v_fma_f64 v[4:5], v[34:35], v[4:5], -v[6:7]
	s_waitcnt vmcnt(38)
	v_fmac_f64_e32 v[60:61], v[52:53], v[28:29]
	v_add_f64 v[62:63], v[58:59], v[60:61]
	ds_read_b128 v[58:61], v1 offset:1152
	s_waitcnt vmcnt(36) lgkmcnt(1)
	v_mul_f64 v[64:65], v[54:55], v[22:23]
	v_fmac_f64_e32 v[64:65], v[56:57], v[24:25]
	v_add_f64 v[2:3], v[2:3], v[4:5]
	v_mul_f64 v[4:5], v[40:41], v[10:11]
	v_add_f64 v[66:67], v[62:63], v[64:65]
	ds_read_b128 v[62:65], v1 offset:1168
	s_waitcnt vmcnt(32) lgkmcnt(1)
	v_mul_f64 v[68:69], v[58:59], v[94:95]
	v_fma_f64 v[4:5], v[38:39], v[20:21], -v[4:5]
	s_waitcnt vmcnt(30)
	v_fmac_f64_e32 v[68:69], v[60:61], v[96:97]
	v_add_f64 v[2:3], v[2:3], v[4:5]
	v_mul_f64 v[4:5], v[44:45], v[16:17]
	v_add_f64 v[70:71], v[66:67], v[68:69]
	ds_read_b128 v[66:69], v1 offset:1184
	v_fma_f64 v[4:5], v[42:43], v[18:19], -v[4:5]
	v_add_f64 v[2:3], v[2:3], v[4:5]
	v_mul_f64 v[4:5], v[48:49], v[12:13]
	v_fma_f64 v[4:5], v[46:47], v[14:15], -v[4:5]
	s_waitcnt vmcnt(28) lgkmcnt(1)
	v_mul_f64 v[72:73], v[62:63], v[90:91]
	v_add_f64 v[2:3], v[2:3], v[4:5]
	v_mul_f64 v[4:5], v[52:53], v[26:27]
	v_fmac_f64_e32 v[72:73], v[64:65], v[92:93]
	v_fma_f64 v[4:5], v[50:51], v[28:29], -v[4:5]
	v_add_f64 v[74:75], v[70:71], v[72:73]
	ds_read_b128 v[70:73], v1 offset:1200
	s_waitcnt vmcnt(24) lgkmcnt(1)
	v_mul_f64 v[76:77], v[66:67], v[102:103]
	v_add_f64 v[2:3], v[2:3], v[4:5]
	v_mul_f64 v[4:5], v[56:57], v[22:23]
	s_waitcnt vmcnt(22)
	v_fmac_f64_e32 v[76:77], v[68:69], v[104:105]
	v_fma_f64 v[4:5], v[54:55], v[24:25], -v[4:5]
	v_add_f64 v[78:79], v[74:75], v[76:77]
	ds_read_b128 v[74:77], v1 offset:1216
	v_add_f64 v[2:3], v[2:3], v[4:5]
	v_mul_f64 v[4:5], v[60:61], v[94:95]
	v_fma_f64 v[4:5], v[58:59], v[96:97], -v[4:5]
	v_add_f64 v[2:3], v[2:3], v[4:5]
	v_mul_f64 v[4:5], v[64:65], v[90:91]
	s_waitcnt vmcnt(20) lgkmcnt(1)
	v_mul_f64 v[80:81], v[70:71], v[98:99]
	v_fma_f64 v[4:5], v[62:63], v[92:93], -v[4:5]
	v_fmac_f64_e32 v[80:81], v[72:73], v[100:101]
	v_add_f64 v[2:3], v[2:3], v[4:5]
	v_mul_f64 v[4:5], v[68:69], v[102:103]
	v_add_f64 v[82:83], v[78:79], v[80:81]
	ds_read_b128 v[78:81], v1 offset:1232
	s_waitcnt vmcnt(16) lgkmcnt(1)
	v_mul_f64 v[84:85], v[74:75], v[110:111]
	v_fma_f64 v[4:5], v[66:67], v[104:105], -v[4:5]
	s_waitcnt vmcnt(14)
	v_fmac_f64_e32 v[84:85], v[76:77], v[112:113]
	v_add_f64 v[2:3], v[2:3], v[4:5]
	v_mul_f64 v[4:5], v[72:73], v[98:99]
	v_add_f64 v[128:129], v[82:83], v[84:85]
	ds_read_b128 v[82:85], v1 offset:1248
	v_fma_f64 v[4:5], v[70:71], v[100:101], -v[4:5]
	v_add_f64 v[2:3], v[2:3], v[4:5]
	v_mul_f64 v[4:5], v[76:77], v[110:111]
	v_fma_f64 v[4:5], v[74:75], v[112:113], -v[4:5]
	v_add_f64 v[2:3], v[2:3], v[4:5]
	s_waitcnt vmcnt(12) lgkmcnt(1)
	v_mul_f64 v[4:5], v[80:81], v[106:107]
	v_mul_f64 v[130:131], v[78:79], v[106:107]
	v_fma_f64 v[4:5], v[78:79], v[108:109], -v[4:5]
	v_fmac_f64_e32 v[130:131], v[80:81], v[108:109]
	v_add_f64 v[2:3], v[2:3], v[4:5]
	s_waitcnt vmcnt(8) lgkmcnt(0)
	v_mul_f64 v[4:5], v[84:85], v[118:119]
	v_add_f64 v[128:129], v[128:129], v[130:131]
	v_mul_f64 v[130:131], v[82:83], v[118:119]
	s_waitcnt vmcnt(6)
	v_fma_f64 v[4:5], v[82:83], v[122:123], -v[4:5]
	v_fmac_f64_e32 v[130:131], v[84:85], v[122:123]
	v_add_f64 v[2:3], v[2:3], v[4:5]
	s_waitcnt vmcnt(5)
	v_mul_f64 v[4:5], v[88:89], v[114:115]
	v_add_f64 v[128:129], v[128:129], v[130:131]
	v_mul_f64 v[130:131], v[86:87], v[114:115]
	s_waitcnt vmcnt(4)
	v_fma_f64 v[4:5], v[86:87], v[116:117], -v[4:5]
	v_fmac_f64_e32 v[130:131], v[88:89], v[116:117]
	v_add_f64 v[2:3], v[2:3], v[4:5]
	v_add_f64 v[128:129], v[128:129], v[130:131]
	s_waitcnt vmcnt(2)
	v_add_f64 v[2:3], v[124:125], -v[2:3]
	s_waitcnt vmcnt(0)
	v_add_f64 v[4:5], v[126:127], -v[128:129]
	buffer_store_dword v3, off, s[0:3], 0 offset:404
	buffer_store_dword v2, off, s[0:3], 0 offset:400
	;; [unrolled: 1-line block ×4, first 2 shown]
	s_and_saveexec_b64 s[4:5], vcc
	s_cbranch_execz .LBB103_207
; %bb.206:
	v_accvgpr_read_b32 v5, a96
	buffer_load_dword v2, v5, s[0:3], 0 offen
	buffer_load_dword v3, v5, s[0:3], 0 offen offset:4
	buffer_load_dword v4, v5, s[0:3], 0 offen offset:8
	s_nop 0
	buffer_load_dword v5, v5, s[0:3], 0 offen offset:12
	v_accvgpr_read_b32 v6, a119
	buffer_store_dword v1, off, s[0:3], 0 offset:384
	buffer_store_dword v1, off, s[0:3], 0 offset:388
	;; [unrolled: 1-line block ×4, first 2 shown]
	s_waitcnt vmcnt(4)
	ds_write_b128 v6, v[2:5]
.LBB103_207:
	s_or_b64 exec, exec, s[4:5]
	s_waitcnt lgkmcnt(0)
	; wave barrier
	s_waitcnt lgkmcnt(0)
	buffer_load_dword v2, off, s[0:3], 0 offset:400
	buffer_load_dword v3, off, s[0:3], 0 offset:404
	;; [unrolled: 1-line block ×64, first 2 shown]
	ds_read_b128 v[46:49], v1 offset:1024
	ds_read_b128 v[50:53], v1 offset:1040
	;; [unrolled: 1-line block ×4, first 2 shown]
	buffer_load_dword v132, off, s[0:3], 0 offset:384
	buffer_load_dword v133, off, s[0:3], 0 offset:388
	buffer_load_dword v134, off, s[0:3], 0 offset:392
	buffer_load_dword v135, off, s[0:3], 0 offset:396
	v_cmp_lt_u32_e32 vcc, 22, v0
	ds_read_b128 v[106:109], v1 offset:1264
	s_waitcnt vmcnt(62) lgkmcnt(4)
	v_mul_f64 v[62:63], v[46:47], v[4:5]
	v_fmac_f64_e32 v[62:63], v[48:49], v[2:3]
	v_add_f64 v[62:63], v[62:63], 0
	s_waitcnt lgkmcnt(2)
	v_mul_f64 v[66:67], v[54:55], v[6:7]
	v_mul_f64 v[4:5], v[48:49], v[4:5]
	v_fma_f64 v[2:3], v[46:47], v[2:3], -v[4:5]
	s_waitcnt vmcnt(58) lgkmcnt(1)
	v_mul_f64 v[68:69], v[58:59], v[12:13]
	v_add_f64 v[2:3], v[2:3], 0
	s_waitcnt vmcnt(56)
	v_mul_f64 v[64:65], v[50:51], v[18:19]
	v_mul_f64 v[4:5], v[52:53], v[18:19]
	s_waitcnt vmcnt(53)
	v_fmac_f64_e32 v[66:67], v[56:57], v[16:17]
	s_waitcnt vmcnt(52)
	v_fmac_f64_e32 v[64:65], v[52:53], v[20:21]
	v_add_f64 v[70:71], v[62:63], v[64:65]
	ds_read_b128 v[62:65], v1 offset:1088
	v_add_f64 v[66:67], v[70:71], v[66:67]
	s_waitcnt vmcnt(50)
	v_fmac_f64_e32 v[68:69], v[60:61], v[14:15]
	v_add_f64 v[70:71], v[66:67], v[68:69]
	ds_read_b128 v[66:69], v1 offset:1104
	s_waitcnt vmcnt(49) lgkmcnt(1)
	v_mul_f64 v[72:73], v[62:63], v[8:9]
	s_waitcnt vmcnt(48)
	v_fmac_f64_e32 v[72:73], v[64:65], v[10:11]
	v_add_f64 v[74:75], v[70:71], v[72:73]
	ds_read_b128 v[70:73], v1 offset:1120
	s_waitcnt vmcnt(44) lgkmcnt(1)
	v_mul_f64 v[76:77], v[66:67], v[26:27]
	;; [unrolled: 6-line block ×3, first 2 shown]
	s_waitcnt vmcnt(40)
	v_fmac_f64_e32 v[80:81], v[72:73], v[24:25]
	v_add_f64 v[82:83], v[78:79], v[80:81]
	ds_read_b128 v[78:81], v1 offset:1152
	v_fma_f64 v[4:5], v[50:51], v[20:21], -v[4:5]
	v_add_f64 v[2:3], v[2:3], v[4:5]
	v_mul_f64 v[4:5], v[56:57], v[6:7]
	s_waitcnt vmcnt(36) lgkmcnt(1)
	v_mul_f64 v[84:85], v[74:75], v[34:35]
	v_fma_f64 v[4:5], v[54:55], v[16:17], -v[4:5]
	s_waitcnt vmcnt(34)
	v_fmac_f64_e32 v[84:85], v[76:77], v[36:37]
	v_add_f64 v[2:3], v[2:3], v[4:5]
	v_mul_f64 v[4:5], v[60:61], v[12:13]
	v_add_f64 v[86:87], v[82:83], v[84:85]
	ds_read_b128 v[82:85], v1 offset:1168
	s_waitcnt vmcnt(33) lgkmcnt(1)
	v_mul_f64 v[88:89], v[78:79], v[30:31]
	v_fma_f64 v[4:5], v[58:59], v[14:15], -v[4:5]
	s_waitcnt vmcnt(32)
	v_fmac_f64_e32 v[88:89], v[80:81], v[32:33]
	v_add_f64 v[2:3], v[2:3], v[4:5]
	v_mul_f64 v[4:5], v[64:65], v[8:9]
	v_add_f64 v[90:91], v[86:87], v[88:89]
	ds_read_b128 v[86:89], v1 offset:1184
	v_fma_f64 v[4:5], v[62:63], v[10:11], -v[4:5]
	v_add_f64 v[2:3], v[2:3], v[4:5]
	v_mul_f64 v[4:5], v[68:69], v[26:27]
	v_fma_f64 v[4:5], v[66:67], v[28:29], -v[4:5]
	s_waitcnt vmcnt(28) lgkmcnt(1)
	v_mul_f64 v[92:93], v[82:83], v[42:43]
	v_add_f64 v[2:3], v[2:3], v[4:5]
	v_mul_f64 v[4:5], v[72:73], v[22:23]
	s_waitcnt vmcnt(26)
	v_fmac_f64_e32 v[92:93], v[84:85], v[44:45]
	v_fma_f64 v[4:5], v[70:71], v[24:25], -v[4:5]
	v_add_f64 v[94:95], v[90:91], v[92:93]
	ds_read_b128 v[90:93], v1 offset:1200
	s_waitcnt vmcnt(25) lgkmcnt(1)
	v_mul_f64 v[96:97], v[86:87], v[38:39]
	v_add_f64 v[2:3], v[2:3], v[4:5]
	v_mul_f64 v[4:5], v[76:77], v[34:35]
	s_waitcnt vmcnt(24)
	v_fmac_f64_e32 v[96:97], v[88:89], v[40:41]
	v_fma_f64 v[4:5], v[74:75], v[36:37], -v[4:5]
	v_add_f64 v[98:99], v[94:95], v[96:97]
	ds_read_b128 v[94:97], v1 offset:1216
	v_add_f64 v[2:3], v[2:3], v[4:5]
	v_mul_f64 v[4:5], v[80:81], v[30:31]
	v_fma_f64 v[4:5], v[78:79], v[32:33], -v[4:5]
	v_add_f64 v[2:3], v[2:3], v[4:5]
	v_mul_f64 v[4:5], v[84:85], v[42:43]
	s_waitcnt vmcnt(20) lgkmcnt(1)
	v_mul_f64 v[100:101], v[90:91], v[114:115]
	v_fma_f64 v[4:5], v[82:83], v[44:45], -v[4:5]
	s_waitcnt vmcnt(18)
	v_fmac_f64_e32 v[100:101], v[92:93], v[116:117]
	v_add_f64 v[2:3], v[2:3], v[4:5]
	v_mul_f64 v[4:5], v[88:89], v[38:39]
	v_add_f64 v[102:103], v[98:99], v[100:101]
	ds_read_b128 v[98:101], v1 offset:1232
	s_waitcnt vmcnt(17) lgkmcnt(1)
	v_mul_f64 v[104:105], v[94:95], v[110:111]
	v_fma_f64 v[4:5], v[86:87], v[40:41], -v[4:5]
	s_waitcnt vmcnt(16)
	v_fmac_f64_e32 v[104:105], v[96:97], v[112:113]
	v_add_f64 v[2:3], v[2:3], v[4:5]
	v_mul_f64 v[4:5], v[92:93], v[114:115]
	v_add_f64 v[136:137], v[102:103], v[104:105]
	ds_read_b128 v[102:105], v1 offset:1248
	v_fma_f64 v[4:5], v[90:91], v[116:117], -v[4:5]
	v_add_f64 v[2:3], v[2:3], v[4:5]
	v_mul_f64 v[4:5], v[96:97], v[110:111]
	v_fma_f64 v[4:5], v[94:95], v[112:113], -v[4:5]
	v_add_f64 v[2:3], v[2:3], v[4:5]
	s_waitcnt vmcnt(12) lgkmcnt(1)
	v_mul_f64 v[4:5], v[100:101], v[124:125]
	v_mul_f64 v[138:139], v[98:99], v[124:125]
	s_waitcnt vmcnt(10)
	v_fma_f64 v[4:5], v[98:99], v[126:127], -v[4:5]
	v_fmac_f64_e32 v[138:139], v[100:101], v[126:127]
	v_add_f64 v[2:3], v[2:3], v[4:5]
	s_waitcnt vmcnt(9) lgkmcnt(0)
	v_mul_f64 v[4:5], v[104:105], v[118:119]
	v_add_f64 v[136:137], v[136:137], v[138:139]
	v_mul_f64 v[138:139], v[102:103], v[118:119]
	s_waitcnt vmcnt(8)
	v_fma_f64 v[4:5], v[102:103], v[122:123], -v[4:5]
	v_fmac_f64_e32 v[138:139], v[104:105], v[122:123]
	v_add_f64 v[2:3], v[2:3], v[4:5]
	s_waitcnt vmcnt(6)
	v_mul_f64 v[4:5], v[108:109], v[128:129]
	v_add_f64 v[136:137], v[136:137], v[138:139]
	v_mul_f64 v[138:139], v[106:107], v[128:129]
	s_waitcnt vmcnt(4)
	v_fma_f64 v[4:5], v[106:107], v[130:131], -v[4:5]
	v_fmac_f64_e32 v[138:139], v[108:109], v[130:131]
	v_add_f64 v[2:3], v[2:3], v[4:5]
	v_add_f64 v[136:137], v[136:137], v[138:139]
	s_waitcnt vmcnt(2)
	v_add_f64 v[2:3], v[132:133], -v[2:3]
	s_waitcnt vmcnt(0)
	v_add_f64 v[4:5], v[134:135], -v[136:137]
	buffer_store_dword v3, off, s[0:3], 0 offset:388
	buffer_store_dword v2, off, s[0:3], 0 offset:384
	;; [unrolled: 1-line block ×4, first 2 shown]
	s_and_saveexec_b64 s[4:5], vcc
	s_cbranch_execz .LBB103_209
; %bb.208:
	v_accvgpr_read_b32 v1, a97
	buffer_load_dword v2, v1, s[0:3], 0 offen
	buffer_load_dword v3, v1, s[0:3], 0 offen offset:4
	buffer_load_dword v4, v1, s[0:3], 0 offen offset:8
	;; [unrolled: 1-line block ×3, first 2 shown]
	v_mov_b32_e32 v1, 0
	v_accvgpr_read_b32 v6, a119
	buffer_store_dword v1, off, s[0:3], 0 offset:368
	buffer_store_dword v1, off, s[0:3], 0 offset:372
	;; [unrolled: 1-line block ×4, first 2 shown]
	s_waitcnt vmcnt(4)
	ds_write_b128 v6, v[2:5]
.LBB103_209:
	s_or_b64 exec, exec, s[4:5]
	s_waitcnt lgkmcnt(0)
	; wave barrier
	s_waitcnt lgkmcnt(0)
	buffer_load_dword v2, off, s[0:3], 0 offset:384
	buffer_load_dword v3, off, s[0:3], 0 offset:388
	;; [unrolled: 1-line block ×68, first 2 shown]
	v_mov_b32_e32 v1, 0
	buffer_load_dword v140, off, s[0:3], 0 offset:368
	buffer_load_dword v141, off, s[0:3], 0 offset:372
	;; [unrolled: 1-line block ×3, first 2 shown]
	ds_read_b128 v[46:49], v1 offset:1008
	ds_read_b128 v[50:53], v1 offset:1024
	buffer_load_dword v143, off, s[0:3], 0 offset:380
	ds_read_b128 v[54:57], v1 offset:1040
	ds_read_b128 v[58:61], v1 offset:1056
	;; [unrolled: 1-line block ×3, first 2 shown]
	v_cmp_lt_u32_e32 vcc, 21, v0
	s_waitcnt vmcnt(62) lgkmcnt(4)
	v_mul_f64 v[62:63], v[46:47], v[6:7]
	v_fmac_f64_e32 v[62:63], v[48:49], v[2:3]
	v_add_f64 v[62:63], v[62:63], 0
	v_mul_f64 v[6:7], v[48:49], v[6:7]
	s_waitcnt lgkmcnt(3)
	v_mul_f64 v[64:65], v[50:51], v[10:11]
	v_fmac_f64_e32 v[64:65], v[52:53], v[4:5]
	v_add_f64 v[62:63], v[62:63], v[64:65]
	v_fma_f64 v[2:3], v[46:47], v[2:3], -v[6:7]
	s_waitcnt vmcnt(60) lgkmcnt(2)
	v_mul_f64 v[64:65], v[54:55], v[12:13]
	v_fmac_f64_e32 v[64:65], v[56:57], v[8:9]
	v_add_f64 v[66:67], v[62:63], v[64:65]
	ds_read_b128 v[62:65], v1 offset:1072
	s_waitcnt vmcnt(56) lgkmcnt(2)
	v_mul_f64 v[68:69], v[58:59], v[18:19]
	v_mul_f64 v[6:7], v[52:53], v[10:11]
	s_waitcnt vmcnt(54)
	v_fmac_f64_e32 v[68:69], v[60:61], v[20:21]
	v_add_f64 v[70:71], v[66:67], v[68:69]
	ds_read_b128 v[66:69], v1 offset:1088
	s_waitcnt vmcnt(53) lgkmcnt(1)
	v_mul_f64 v[72:73], v[62:63], v[14:15]
	s_waitcnt vmcnt(52)
	v_fmac_f64_e32 v[72:73], v[64:65], v[16:17]
	v_add_f64 v[74:75], v[70:71], v[72:73]
	ds_read_b128 v[70:73], v1 offset:1104
	s_waitcnt vmcnt(48) lgkmcnt(1)
	;; [unrolled: 6-line block ×4, first 2 shown]
	v_mul_f64 v[84:85], v[74:75], v[34:35]
	s_waitcnt vmcnt(38)
	v_fmac_f64_e32 v[84:85], v[76:77], v[36:37]
	v_add_f64 v[2:3], v[2:3], 0
	v_fma_f64 v[4:5], v[50:51], v[4:5], -v[6:7]
	v_add_f64 v[86:87], v[82:83], v[84:85]
	ds_read_b128 v[82:85], v1 offset:1152
	v_add_f64 v[2:3], v[2:3], v[4:5]
	v_mul_f64 v[4:5], v[56:57], v[12:13]
	v_fma_f64 v[4:5], v[54:55], v[8:9], -v[4:5]
	v_add_f64 v[2:3], v[2:3], v[4:5]
	v_mul_f64 v[4:5], v[60:61], v[18:19]
	s_waitcnt vmcnt(37) lgkmcnt(1)
	v_mul_f64 v[88:89], v[78:79], v[30:31]
	v_fma_f64 v[4:5], v[58:59], v[20:21], -v[4:5]
	s_waitcnt vmcnt(36)
	v_fmac_f64_e32 v[88:89], v[80:81], v[32:33]
	v_add_f64 v[2:3], v[2:3], v[4:5]
	v_mul_f64 v[4:5], v[64:65], v[14:15]
	v_add_f64 v[90:91], v[86:87], v[88:89]
	ds_read_b128 v[86:89], v1 offset:1168
	s_waitcnt vmcnt(32) lgkmcnt(1)
	v_mul_f64 v[92:93], v[82:83], v[42:43]
	v_fma_f64 v[4:5], v[62:63], v[16:17], -v[4:5]
	s_waitcnt vmcnt(30)
	v_fmac_f64_e32 v[92:93], v[84:85], v[44:45]
	v_add_f64 v[2:3], v[2:3], v[4:5]
	v_mul_f64 v[4:5], v[68:69], v[26:27]
	v_add_f64 v[94:95], v[90:91], v[92:93]
	ds_read_b128 v[90:93], v1 offset:1184
	v_fma_f64 v[4:5], v[66:67], v[28:29], -v[4:5]
	v_add_f64 v[2:3], v[2:3], v[4:5]
	v_mul_f64 v[4:5], v[72:73], v[22:23]
	v_fma_f64 v[4:5], v[70:71], v[24:25], -v[4:5]
	s_waitcnt vmcnt(29) lgkmcnt(1)
	v_mul_f64 v[96:97], v[86:87], v[38:39]
	v_add_f64 v[2:3], v[2:3], v[4:5]
	v_mul_f64 v[4:5], v[76:77], v[34:35]
	s_waitcnt vmcnt(28)
	v_fmac_f64_e32 v[96:97], v[88:89], v[40:41]
	v_fma_f64 v[4:5], v[74:75], v[36:37], -v[4:5]
	v_add_f64 v[98:99], v[94:95], v[96:97]
	ds_read_b128 v[94:97], v1 offset:1200
	s_waitcnt vmcnt(24) lgkmcnt(1)
	v_mul_f64 v[100:101], v[90:91], v[118:119]
	v_add_f64 v[2:3], v[2:3], v[4:5]
	v_mul_f64 v[4:5], v[80:81], v[30:31]
	s_waitcnt vmcnt(22)
	v_fmac_f64_e32 v[100:101], v[92:93], v[122:123]
	v_fma_f64 v[4:5], v[78:79], v[32:33], -v[4:5]
	v_add_f64 v[102:103], v[98:99], v[100:101]
	ds_read_b128 v[98:101], v1 offset:1216
	v_add_f64 v[2:3], v[2:3], v[4:5]
	v_mul_f64 v[4:5], v[84:85], v[42:43]
	v_fma_f64 v[4:5], v[82:83], v[44:45], -v[4:5]
	v_add_f64 v[2:3], v[2:3], v[4:5]
	v_mul_f64 v[4:5], v[88:89], v[38:39]
	s_waitcnt vmcnt(21) lgkmcnt(1)
	v_mul_f64 v[104:105], v[94:95], v[114:115]
	v_fma_f64 v[4:5], v[86:87], v[40:41], -v[4:5]
	s_waitcnt vmcnt(20)
	v_fmac_f64_e32 v[104:105], v[96:97], v[116:117]
	v_add_f64 v[2:3], v[2:3], v[4:5]
	v_mul_f64 v[4:5], v[92:93], v[118:119]
	v_add_f64 v[106:107], v[102:103], v[104:105]
	ds_read_b128 v[102:105], v1 offset:1232
	s_waitcnt vmcnt(16) lgkmcnt(1)
	v_mul_f64 v[108:109], v[98:99], v[128:129]
	v_fma_f64 v[4:5], v[90:91], v[122:123], -v[4:5]
	s_waitcnt vmcnt(14)
	v_fmac_f64_e32 v[108:109], v[100:101], v[130:131]
	v_add_f64 v[2:3], v[2:3], v[4:5]
	v_mul_f64 v[4:5], v[96:97], v[114:115]
	v_add_f64 v[144:145], v[106:107], v[108:109]
	ds_read_b128 v[106:109], v1 offset:1248
	v_fma_f64 v[4:5], v[94:95], v[116:117], -v[4:5]
	v_add_f64 v[2:3], v[2:3], v[4:5]
	v_mul_f64 v[4:5], v[100:101], v[128:129]
	v_fma_f64 v[4:5], v[98:99], v[130:131], -v[4:5]
	v_add_f64 v[2:3], v[2:3], v[4:5]
	s_waitcnt vmcnt(13) lgkmcnt(1)
	v_mul_f64 v[4:5], v[104:105], v[124:125]
	v_mul_f64 v[146:147], v[102:103], v[124:125]
	s_waitcnt vmcnt(12)
	v_fma_f64 v[4:5], v[102:103], v[126:127], -v[4:5]
	v_fmac_f64_e32 v[146:147], v[104:105], v[126:127]
	v_add_f64 v[2:3], v[2:3], v[4:5]
	s_waitcnt vmcnt(8) lgkmcnt(0)
	v_mul_f64 v[4:5], v[108:109], v[136:137]
	v_add_f64 v[144:145], v[144:145], v[146:147]
	v_mul_f64 v[146:147], v[106:107], v[136:137]
	s_waitcnt vmcnt(6)
	v_fma_f64 v[4:5], v[106:107], v[138:139], -v[4:5]
	v_fmac_f64_e32 v[146:147], v[108:109], v[138:139]
	v_add_f64 v[2:3], v[2:3], v[4:5]
	s_waitcnt vmcnt(5)
	v_mul_f64 v[4:5], v[112:113], v[132:133]
	v_add_f64 v[144:145], v[144:145], v[146:147]
	v_mul_f64 v[146:147], v[110:111], v[132:133]
	s_waitcnt vmcnt(4)
	v_fma_f64 v[4:5], v[110:111], v[134:135], -v[4:5]
	v_fmac_f64_e32 v[146:147], v[112:113], v[134:135]
	v_add_f64 v[2:3], v[2:3], v[4:5]
	v_add_f64 v[144:145], v[144:145], v[146:147]
	s_waitcnt vmcnt(2)
	v_add_f64 v[2:3], v[140:141], -v[2:3]
	s_waitcnt vmcnt(0)
	v_add_f64 v[4:5], v[142:143], -v[144:145]
	buffer_store_dword v3, off, s[0:3], 0 offset:372
	buffer_store_dword v2, off, s[0:3], 0 offset:368
	buffer_store_dword v5, off, s[0:3], 0 offset:380
	buffer_store_dword v4, off, s[0:3], 0 offset:376
	s_and_saveexec_b64 s[4:5], vcc
	s_cbranch_execz .LBB103_211
; %bb.210:
	v_accvgpr_read_b32 v5, a98
	buffer_load_dword v2, v5, s[0:3], 0 offen
	buffer_load_dword v3, v5, s[0:3], 0 offen offset:4
	buffer_load_dword v4, v5, s[0:3], 0 offen offset:8
	s_nop 0
	buffer_load_dword v5, v5, s[0:3], 0 offen offset:12
	v_accvgpr_read_b32 v6, a119
	buffer_store_dword v1, off, s[0:3], 0 offset:352
	buffer_store_dword v1, off, s[0:3], 0 offset:356
	;; [unrolled: 1-line block ×4, first 2 shown]
	s_waitcnt vmcnt(4)
	ds_write_b128 v6, v[2:5]
.LBB103_211:
	s_or_b64 exec, exec, s[4:5]
	s_waitcnt lgkmcnt(0)
	; wave barrier
	s_waitcnt lgkmcnt(0)
	buffer_load_dword v2, off, s[0:3], 0 offset:368
	buffer_load_dword v3, off, s[0:3], 0 offset:372
	;; [unrolled: 1-line block ×72, first 2 shown]
	ds_read_b128 v[52:55], v1 offset:992
	buffer_load_dword v148, off, s[0:3], 0 offset:352
	buffer_load_dword v149, off, s[0:3], 0 offset:356
	;; [unrolled: 1-line block ×4, first 2 shown]
	ds_read_b128 v[56:59], v1 offset:1008
	ds_read_b128 v[60:63], v1 offset:1024
	;; [unrolled: 1-line block ×3, first 2 shown]
	v_cmp_lt_u32_e32 vcc, 20, v0
	ds_read_b128 v[122:125], v1 offset:1264
	s_waitcnt vmcnt(62) lgkmcnt(4)
	v_mul_f64 v[68:69], v[52:53], v[8:9]
	v_fmac_f64_e32 v[68:69], v[54:55], v[2:3]
	v_add_f64 v[68:69], v[68:69], 0
	v_mul_f64 v[8:9], v[54:55], v[8:9]
	s_waitcnt lgkmcnt(3)
	v_mul_f64 v[70:71], v[56:57], v[10:11]
	v_fmac_f64_e32 v[70:71], v[58:59], v[4:5]
	v_add_f64 v[68:69], v[68:69], v[70:71]
	v_fma_f64 v[2:3], v[52:53], v[2:3], -v[8:9]
	s_waitcnt lgkmcnt(2)
	v_mul_f64 v[70:71], v[60:61], v[12:13]
	v_fmac_f64_e32 v[70:71], v[62:63], v[6:7]
	v_add_f64 v[72:73], v[68:69], v[70:71]
	ds_read_b128 v[68:71], v1 offset:1056
	s_waitcnt vmcnt(60) lgkmcnt(2)
	v_mul_f64 v[74:75], v[64:65], v[18:19]
	v_mul_f64 v[8:9], v[58:59], v[10:11]
	s_waitcnt vmcnt(58)
	v_fmac_f64_e32 v[74:75], v[66:67], v[20:21]
	v_add_f64 v[76:77], v[72:73], v[74:75]
	ds_read_b128 v[72:75], v1 offset:1072
	s_waitcnt vmcnt(57) lgkmcnt(1)
	v_mul_f64 v[78:79], v[68:69], v[14:15]
	s_waitcnt vmcnt(56)
	v_fmac_f64_e32 v[78:79], v[70:71], v[16:17]
	v_add_f64 v[80:81], v[76:77], v[78:79]
	ds_read_b128 v[76:79], v1 offset:1088
	s_waitcnt vmcnt(52) lgkmcnt(1)
	;; [unrolled: 6-line block ×4, first 2 shown]
	v_mul_f64 v[90:91], v[80:81], v[34:35]
	s_waitcnt vmcnt(42)
	v_fmac_f64_e32 v[90:91], v[82:83], v[36:37]
	v_add_f64 v[2:3], v[2:3], 0
	v_fma_f64 v[4:5], v[56:57], v[4:5], -v[8:9]
	v_add_f64 v[92:93], v[88:89], v[90:91]
	ds_read_b128 v[88:91], v1 offset:1136
	s_waitcnt vmcnt(41) lgkmcnt(1)
	v_mul_f64 v[94:95], v[84:85], v[30:31]
	v_add_f64 v[2:3], v[2:3], v[4:5]
	v_mul_f64 v[4:5], v[62:63], v[12:13]
	s_waitcnt vmcnt(40)
	v_fmac_f64_e32 v[94:95], v[86:87], v[32:33]
	v_fma_f64 v[4:5], v[60:61], v[6:7], -v[4:5]
	v_add_f64 v[96:97], v[92:93], v[94:95]
	ds_read_b128 v[92:95], v1 offset:1152
	v_add_f64 v[2:3], v[2:3], v[4:5]
	v_mul_f64 v[4:5], v[66:67], v[18:19]
	v_fma_f64 v[4:5], v[64:65], v[20:21], -v[4:5]
	v_add_f64 v[2:3], v[2:3], v[4:5]
	v_mul_f64 v[4:5], v[70:71], v[14:15]
	s_waitcnt vmcnt(36) lgkmcnt(1)
	v_mul_f64 v[98:99], v[88:89], v[42:43]
	v_fma_f64 v[4:5], v[68:69], v[16:17], -v[4:5]
	s_waitcnt vmcnt(34)
	v_fmac_f64_e32 v[98:99], v[90:91], v[44:45]
	v_add_f64 v[2:3], v[2:3], v[4:5]
	v_mul_f64 v[4:5], v[74:75], v[26:27]
	v_add_f64 v[100:101], v[96:97], v[98:99]
	ds_read_b128 v[96:99], v1 offset:1168
	s_waitcnt vmcnt(33) lgkmcnt(1)
	v_mul_f64 v[102:103], v[92:93], v[38:39]
	v_fma_f64 v[4:5], v[72:73], v[28:29], -v[4:5]
	s_waitcnt vmcnt(32)
	v_fmac_f64_e32 v[102:103], v[94:95], v[40:41]
	v_add_f64 v[2:3], v[2:3], v[4:5]
	v_mul_f64 v[4:5], v[78:79], v[22:23]
	v_add_f64 v[104:105], v[100:101], v[102:103]
	ds_read_b128 v[100:103], v1 offset:1184
	v_fma_f64 v[4:5], v[76:77], v[24:25], -v[4:5]
	v_add_f64 v[2:3], v[2:3], v[4:5]
	v_mul_f64 v[4:5], v[82:83], v[34:35]
	v_fma_f64 v[4:5], v[80:81], v[36:37], -v[4:5]
	s_waitcnt vmcnt(28) lgkmcnt(1)
	v_mul_f64 v[106:107], v[96:97], v[50:51]
	v_add_f64 v[2:3], v[2:3], v[4:5]
	v_mul_f64 v[4:5], v[86:87], v[30:31]
	s_waitcnt vmcnt(26)
	v_fmac_f64_e32 v[106:107], v[98:99], v[126:127]
	v_fma_f64 v[4:5], v[84:85], v[32:33], -v[4:5]
	v_add_f64 v[108:109], v[104:105], v[106:107]
	ds_read_b128 v[104:107], v1 offset:1200
	s_waitcnt vmcnt(25) lgkmcnt(1)
	v_mul_f64 v[110:111], v[100:101], v[46:47]
	v_add_f64 v[2:3], v[2:3], v[4:5]
	v_mul_f64 v[4:5], v[90:91], v[42:43]
	s_waitcnt vmcnt(24)
	v_fmac_f64_e32 v[110:111], v[102:103], v[48:49]
	v_fma_f64 v[4:5], v[88:89], v[44:45], -v[4:5]
	v_add_f64 v[112:113], v[108:109], v[110:111]
	ds_read_b128 v[108:111], v1 offset:1216
	v_add_f64 v[2:3], v[2:3], v[4:5]
	v_mul_f64 v[4:5], v[94:95], v[38:39]
	v_fma_f64 v[4:5], v[92:93], v[40:41], -v[4:5]
	v_add_f64 v[2:3], v[2:3], v[4:5]
	v_mul_f64 v[4:5], v[98:99], v[50:51]
	s_waitcnt vmcnt(20) lgkmcnt(1)
	v_mul_f64 v[114:115], v[104:105], v[132:133]
	v_fma_f64 v[4:5], v[96:97], v[126:127], -v[4:5]
	s_waitcnt vmcnt(18)
	v_fmac_f64_e32 v[114:115], v[106:107], v[134:135]
	v_add_f64 v[2:3], v[2:3], v[4:5]
	v_mul_f64 v[4:5], v[102:103], v[46:47]
	v_add_f64 v[116:117], v[112:113], v[114:115]
	ds_read_b128 v[112:115], v1 offset:1232
	s_waitcnt vmcnt(17) lgkmcnt(1)
	v_mul_f64 v[118:119], v[108:109], v[128:129]
	v_fma_f64 v[4:5], v[100:101], v[48:49], -v[4:5]
	s_waitcnt vmcnt(16)
	v_fmac_f64_e32 v[118:119], v[110:111], v[130:131]
	v_add_f64 v[2:3], v[2:3], v[4:5]
	v_mul_f64 v[4:5], v[106:107], v[132:133]
	v_add_f64 v[152:153], v[116:117], v[118:119]
	ds_read_b128 v[116:119], v1 offset:1248
	v_fma_f64 v[4:5], v[104:105], v[134:135], -v[4:5]
	v_add_f64 v[2:3], v[2:3], v[4:5]
	v_mul_f64 v[4:5], v[110:111], v[128:129]
	v_fma_f64 v[4:5], v[108:109], v[130:131], -v[4:5]
	v_add_f64 v[2:3], v[2:3], v[4:5]
	s_waitcnt vmcnt(12) lgkmcnt(1)
	v_mul_f64 v[4:5], v[114:115], v[140:141]
	v_mul_f64 v[154:155], v[112:113], v[140:141]
	s_waitcnt vmcnt(10)
	v_fma_f64 v[4:5], v[112:113], v[142:143], -v[4:5]
	v_fmac_f64_e32 v[154:155], v[114:115], v[142:143]
	v_add_f64 v[2:3], v[2:3], v[4:5]
	s_waitcnt vmcnt(9) lgkmcnt(0)
	v_mul_f64 v[4:5], v[118:119], v[136:137]
	v_add_f64 v[152:153], v[152:153], v[154:155]
	v_mul_f64 v[154:155], v[116:117], v[136:137]
	s_waitcnt vmcnt(8)
	v_fma_f64 v[4:5], v[116:117], v[138:139], -v[4:5]
	v_fmac_f64_e32 v[154:155], v[118:119], v[138:139]
	v_add_f64 v[2:3], v[2:3], v[4:5]
	s_waitcnt vmcnt(6)
	v_mul_f64 v[4:5], v[124:125], v[144:145]
	v_add_f64 v[152:153], v[152:153], v[154:155]
	v_mul_f64 v[154:155], v[122:123], v[144:145]
	s_waitcnt vmcnt(4)
	v_fma_f64 v[4:5], v[122:123], v[146:147], -v[4:5]
	v_fmac_f64_e32 v[154:155], v[124:125], v[146:147]
	v_add_f64 v[2:3], v[2:3], v[4:5]
	v_add_f64 v[152:153], v[152:153], v[154:155]
	s_waitcnt vmcnt(2)
	v_add_f64 v[2:3], v[148:149], -v[2:3]
	s_waitcnt vmcnt(0)
	v_add_f64 v[4:5], v[150:151], -v[152:153]
	buffer_store_dword v3, off, s[0:3], 0 offset:356
	buffer_store_dword v2, off, s[0:3], 0 offset:352
	;; [unrolled: 1-line block ×4, first 2 shown]
	s_and_saveexec_b64 s[4:5], vcc
	s_cbranch_execz .LBB103_213
; %bb.212:
	v_accvgpr_read_b32 v1, a99
	buffer_load_dword v2, v1, s[0:3], 0 offen
	buffer_load_dword v3, v1, s[0:3], 0 offen offset:4
	buffer_load_dword v4, v1, s[0:3], 0 offen offset:8
	;; [unrolled: 1-line block ×3, first 2 shown]
	v_mov_b32_e32 v1, 0
	v_accvgpr_read_b32 v6, a119
	buffer_store_dword v1, off, s[0:3], 0 offset:336
	buffer_store_dword v1, off, s[0:3], 0 offset:340
	;; [unrolled: 1-line block ×4, first 2 shown]
	s_waitcnt vmcnt(4)
	ds_write_b128 v6, v[2:5]
.LBB103_213:
	s_or_b64 exec, exec, s[4:5]
	s_waitcnt lgkmcnt(0)
	; wave barrier
	s_waitcnt lgkmcnt(0)
	buffer_load_dword v2, off, s[0:3], 0 offset:352
	buffer_load_dword v3, off, s[0:3], 0 offset:356
	;; [unrolled: 1-line block ×76, first 2 shown]
	v_mov_b32_e32 v1, 0
	ds_read_b128 v[54:57], v1 offset:976
	buffer_load_dword v156, off, s[0:3], 0 offset:336
	buffer_load_dword v157, off, s[0:3], 0 offset:340
	buffer_load_dword v158, off, s[0:3], 0 offset:344
	buffer_load_dword v159, off, s[0:3], 0 offset:348
	ds_read_b128 v[58:61], v1 offset:992
	ds_read_b128 v[62:65], v1 offset:1008
	;; [unrolled: 1-line block ×4, first 2 shown]
	v_cmp_lt_u32_e32 vcc, 19, v0
	s_waitcnt vmcnt(62) lgkmcnt(4)
	v_mul_f64 v[70:71], v[54:55], v[8:9]
	v_fmac_f64_e32 v[70:71], v[56:57], v[2:3]
	v_add_f64 v[70:71], v[70:71], 0
	v_mul_f64 v[8:9], v[56:57], v[8:9]
	s_waitcnt lgkmcnt(3)
	v_mul_f64 v[72:73], v[58:59], v[10:11]
	v_fmac_f64_e32 v[72:73], v[60:61], v[4:5]
	v_add_f64 v[70:71], v[70:71], v[72:73]
	v_fma_f64 v[2:3], v[54:55], v[2:3], -v[8:9]
	s_waitcnt lgkmcnt(2)
	v_mul_f64 v[72:73], v[62:63], v[12:13]
	v_fmac_f64_e32 v[72:73], v[64:65], v[6:7]
	v_add_f64 v[74:75], v[70:71], v[72:73]
	ds_read_b128 v[70:73], v1 offset:1040
	s_waitcnt lgkmcnt(2)
	v_mul_f64 v[76:77], v[66:67], v[18:19]
	v_mul_f64 v[8:9], v[60:61], v[10:11]
	v_fmac_f64_e32 v[76:77], v[68:69], v[20:21]
	v_add_f64 v[78:79], v[74:75], v[76:77]
	ds_read_b128 v[74:77], v1 offset:1056
	s_waitcnt vmcnt(61) lgkmcnt(1)
	v_mul_f64 v[80:81], v[70:71], v[14:15]
	s_waitcnt vmcnt(60)
	v_fmac_f64_e32 v[80:81], v[72:73], v[16:17]
	v_add_f64 v[82:83], v[78:79], v[80:81]
	ds_read_b128 v[78:81], v1 offset:1072
	s_waitcnt vmcnt(56) lgkmcnt(1)
	v_mul_f64 v[84:85], v[74:75], v[26:27]
	s_waitcnt vmcnt(54)
	;; [unrolled: 6-line block ×4, first 2 shown]
	v_fmac_f64_e32 v[92:93], v[84:85], v[36:37]
	v_add_f64 v[94:95], v[90:91], v[92:93]
	ds_read_b128 v[90:93], v1 offset:1120
	v_add_f64 v[2:3], v[2:3], 0
	v_fma_f64 v[4:5], v[58:59], v[4:5], -v[8:9]
	s_waitcnt vmcnt(45) lgkmcnt(1)
	v_mul_f64 v[96:97], v[86:87], v[30:31]
	v_add_f64 v[2:3], v[2:3], v[4:5]
	v_mul_f64 v[4:5], v[64:65], v[12:13]
	s_waitcnt vmcnt(44)
	v_fmac_f64_e32 v[96:97], v[88:89], v[32:33]
	v_fma_f64 v[4:5], v[62:63], v[6:7], -v[4:5]
	v_add_f64 v[98:99], v[94:95], v[96:97]
	ds_read_b128 v[94:97], v1 offset:1136
	s_waitcnt vmcnt(40) lgkmcnt(1)
	v_mul_f64 v[100:101], v[90:91], v[42:43]
	v_add_f64 v[2:3], v[2:3], v[4:5]
	v_mul_f64 v[4:5], v[68:69], v[18:19]
	s_waitcnt vmcnt(38)
	v_fmac_f64_e32 v[100:101], v[92:93], v[44:45]
	v_fma_f64 v[4:5], v[66:67], v[20:21], -v[4:5]
	v_add_f64 v[102:103], v[98:99], v[100:101]
	ds_read_b128 v[98:101], v1 offset:1152
	v_add_f64 v[2:3], v[2:3], v[4:5]
	v_mul_f64 v[4:5], v[72:73], v[14:15]
	v_fma_f64 v[4:5], v[70:71], v[16:17], -v[4:5]
	v_add_f64 v[2:3], v[2:3], v[4:5]
	v_mul_f64 v[4:5], v[76:77], v[26:27]
	s_waitcnt vmcnt(37) lgkmcnt(1)
	v_mul_f64 v[104:105], v[94:95], v[38:39]
	v_fma_f64 v[4:5], v[74:75], v[28:29], -v[4:5]
	s_waitcnt vmcnt(36)
	v_fmac_f64_e32 v[104:105], v[96:97], v[40:41]
	v_add_f64 v[2:3], v[2:3], v[4:5]
	v_mul_f64 v[4:5], v[80:81], v[22:23]
	v_add_f64 v[106:107], v[102:103], v[104:105]
	ds_read_b128 v[102:105], v1 offset:1168
	s_waitcnt vmcnt(32) lgkmcnt(1)
	v_mul_f64 v[108:109], v[98:99], v[50:51]
	v_fma_f64 v[4:5], v[78:79], v[24:25], -v[4:5]
	s_waitcnt vmcnt(30)
	v_fmac_f64_e32 v[108:109], v[100:101], v[52:53]
	v_add_f64 v[2:3], v[2:3], v[4:5]
	v_mul_f64 v[4:5], v[84:85], v[34:35]
	v_add_f64 v[110:111], v[106:107], v[108:109]
	ds_read_b128 v[106:109], v1 offset:1184
	v_fma_f64 v[4:5], v[82:83], v[36:37], -v[4:5]
	v_add_f64 v[2:3], v[2:3], v[4:5]
	v_mul_f64 v[4:5], v[88:89], v[30:31]
	v_fma_f64 v[4:5], v[86:87], v[32:33], -v[4:5]
	s_waitcnt vmcnt(29) lgkmcnt(1)
	v_mul_f64 v[112:113], v[102:103], v[46:47]
	v_add_f64 v[2:3], v[2:3], v[4:5]
	v_mul_f64 v[4:5], v[92:93], v[42:43]
	s_waitcnt vmcnt(28)
	v_fmac_f64_e32 v[112:113], v[104:105], v[48:49]
	v_fma_f64 v[4:5], v[90:91], v[44:45], -v[4:5]
	v_add_f64 v[114:115], v[110:111], v[112:113]
	ds_read_b128 v[110:113], v1 offset:1200
	s_waitcnt vmcnt(24) lgkmcnt(1)
	v_mul_f64 v[116:117], v[106:107], v[136:137]
	v_add_f64 v[2:3], v[2:3], v[4:5]
	v_mul_f64 v[4:5], v[96:97], v[38:39]
	s_waitcnt vmcnt(22)
	v_fmac_f64_e32 v[116:117], v[108:109], v[138:139]
	v_fma_f64 v[4:5], v[94:95], v[40:41], -v[4:5]
	v_add_f64 v[122:123], v[114:115], v[116:117]
	ds_read_b128 v[114:117], v1 offset:1216
	v_add_f64 v[2:3], v[2:3], v[4:5]
	v_mul_f64 v[4:5], v[100:101], v[50:51]
	v_fma_f64 v[4:5], v[98:99], v[52:53], -v[4:5]
	v_add_f64 v[2:3], v[2:3], v[4:5]
	v_mul_f64 v[4:5], v[104:105], v[46:47]
	s_waitcnt vmcnt(21) lgkmcnt(1)
	v_mul_f64 v[124:125], v[110:111], v[118:119]
	v_fma_f64 v[4:5], v[102:103], v[48:49], -v[4:5]
	s_waitcnt vmcnt(20)
	v_fmac_f64_e32 v[124:125], v[112:113], v[134:135]
	v_add_f64 v[2:3], v[2:3], v[4:5]
	v_mul_f64 v[4:5], v[108:109], v[136:137]
	v_add_f64 v[126:127], v[122:123], v[124:125]
	ds_read_b128 v[122:125], v1 offset:1232
	s_waitcnt vmcnt(16) lgkmcnt(1)
	v_mul_f64 v[128:129], v[114:115], v[144:145]
	v_fma_f64 v[4:5], v[106:107], v[138:139], -v[4:5]
	s_waitcnt vmcnt(14)
	v_fmac_f64_e32 v[128:129], v[116:117], v[146:147]
	v_add_f64 v[2:3], v[2:3], v[4:5]
	v_mul_f64 v[4:5], v[112:113], v[118:119]
	v_add_f64 v[160:161], v[126:127], v[128:129]
	ds_read_b128 v[126:129], v1 offset:1248
	v_fma_f64 v[4:5], v[110:111], v[134:135], -v[4:5]
	v_add_f64 v[2:3], v[2:3], v[4:5]
	v_mul_f64 v[4:5], v[116:117], v[144:145]
	v_fma_f64 v[4:5], v[114:115], v[146:147], -v[4:5]
	v_add_f64 v[2:3], v[2:3], v[4:5]
	s_waitcnt vmcnt(13) lgkmcnt(1)
	v_mul_f64 v[4:5], v[124:125], v[140:141]
	v_mul_f64 v[162:163], v[122:123], v[140:141]
	s_waitcnt vmcnt(12)
	v_fma_f64 v[4:5], v[122:123], v[142:143], -v[4:5]
	v_fmac_f64_e32 v[162:163], v[124:125], v[142:143]
	v_add_f64 v[2:3], v[2:3], v[4:5]
	s_waitcnt vmcnt(8) lgkmcnt(0)
	v_mul_f64 v[4:5], v[128:129], v[152:153]
	v_add_f64 v[160:161], v[160:161], v[162:163]
	v_mul_f64 v[162:163], v[126:127], v[152:153]
	s_waitcnt vmcnt(6)
	v_fma_f64 v[4:5], v[126:127], v[154:155], -v[4:5]
	v_fmac_f64_e32 v[162:163], v[128:129], v[154:155]
	v_add_f64 v[2:3], v[2:3], v[4:5]
	s_waitcnt vmcnt(5)
	v_mul_f64 v[4:5], v[132:133], v[148:149]
	v_add_f64 v[160:161], v[160:161], v[162:163]
	v_mul_f64 v[162:163], v[130:131], v[148:149]
	s_waitcnt vmcnt(4)
	v_fma_f64 v[4:5], v[130:131], v[150:151], -v[4:5]
	v_fmac_f64_e32 v[162:163], v[132:133], v[150:151]
	v_add_f64 v[2:3], v[2:3], v[4:5]
	v_add_f64 v[160:161], v[160:161], v[162:163]
	s_waitcnt vmcnt(2)
	v_add_f64 v[2:3], v[156:157], -v[2:3]
	s_waitcnt vmcnt(0)
	v_add_f64 v[4:5], v[158:159], -v[160:161]
	buffer_store_dword v3, off, s[0:3], 0 offset:340
	buffer_store_dword v2, off, s[0:3], 0 offset:336
	;; [unrolled: 1-line block ×4, first 2 shown]
	s_and_saveexec_b64 s[4:5], vcc
	s_cbranch_execz .LBB103_215
; %bb.214:
	v_accvgpr_read_b32 v5, a100
	buffer_load_dword v2, v5, s[0:3], 0 offen
	buffer_load_dword v3, v5, s[0:3], 0 offen offset:4
	buffer_load_dword v4, v5, s[0:3], 0 offen offset:8
	s_nop 0
	buffer_load_dword v5, v5, s[0:3], 0 offen offset:12
	v_accvgpr_read_b32 v6, a119
	buffer_store_dword v1, off, s[0:3], 0 offset:320
	buffer_store_dword v1, off, s[0:3], 0 offset:324
	;; [unrolled: 1-line block ×4, first 2 shown]
	s_waitcnt vmcnt(4)
	ds_write_b128 v6, v[2:5]
.LBB103_215:
	s_or_b64 exec, exec, s[4:5]
	s_waitcnt lgkmcnt(0)
	; wave barrier
	s_waitcnt lgkmcnt(0)
	buffer_load_dword v2, off, s[0:3], 0 offset:336
	buffer_load_dword v3, off, s[0:3], 0 offset:340
	;; [unrolled: 1-line block ×76, first 2 shown]
	ds_read_b128 v[54:57], v1 offset:960
	buffer_load_dword v161, off, s[0:3], 0 offset:652
	buffer_load_dword v160, off, s[0:3], 0 offset:648
	;; [unrolled: 1-line block ×8, first 2 shown]
	ds_read_b128 v[58:61], v1 offset:976
	ds_read_b128 v[62:65], v1 offset:992
	ds_read_b128 v[66:69], v1 offset:1008
	v_cmp_lt_u32_e32 vcc, 18, v0
	ds_read_b128 v[134:137], v1 offset:1264
	s_waitcnt vmcnt(62) lgkmcnt(4)
	v_mul_f64 v[70:71], v[54:55], v[8:9]
	v_fmac_f64_e32 v[70:71], v[56:57], v[2:3]
	v_add_f64 v[70:71], v[70:71], 0
	v_mul_f64 v[8:9], v[56:57], v[8:9]
	s_waitcnt lgkmcnt(3)
	v_mul_f64 v[72:73], v[58:59], v[10:11]
	v_fmac_f64_e32 v[72:73], v[60:61], v[4:5]
	v_add_f64 v[70:71], v[70:71], v[72:73]
	v_fma_f64 v[2:3], v[54:55], v[2:3], -v[8:9]
	s_waitcnt lgkmcnt(2)
	v_mul_f64 v[72:73], v[62:63], v[12:13]
	v_fmac_f64_e32 v[72:73], v[64:65], v[6:7]
	v_add_f64 v[74:75], v[70:71], v[72:73]
	ds_read_b128 v[70:73], v1 offset:1024
	v_mul_f64 v[8:9], v[60:61], v[10:11]
	v_add_f64 v[2:3], v[2:3], 0
	s_waitcnt lgkmcnt(2)
	v_mul_f64 v[76:77], v[66:67], v[18:19]
	v_fma_f64 v[4:5], v[58:59], v[4:5], -v[8:9]
	v_fmac_f64_e32 v[76:77], v[68:69], v[20:21]
	v_add_f64 v[78:79], v[74:75], v[76:77]
	ds_read_b128 v[74:77], v1 offset:1040
	s_waitcnt lgkmcnt(1)
	v_mul_f64 v[80:81], v[70:71], v[14:15]
	v_fmac_f64_e32 v[80:81], v[72:73], v[16:17]
	v_add_f64 v[82:83], v[78:79], v[80:81]
	ds_read_b128 v[78:81], v1 offset:1056
	s_waitcnt vmcnt(58) lgkmcnt(1)
	v_mul_f64 v[84:85], v[74:75], v[26:27]
	s_waitcnt vmcnt(56)
	v_fmac_f64_e32 v[84:85], v[76:77], v[28:29]
	v_add_f64 v[86:87], v[82:83], v[84:85]
	ds_read_b128 v[82:85], v1 offset:1072
	s_waitcnt lgkmcnt(1)
	v_mul_f64 v[88:89], v[78:79], v[22:23]
	v_fmac_f64_e32 v[88:89], v[80:81], v[24:25]
	v_add_f64 v[90:91], v[86:87], v[88:89]
	ds_read_b128 v[86:89], v1 offset:1088
	s_waitcnt vmcnt(50) lgkmcnt(1)
	v_mul_f64 v[92:93], v[82:83], v[34:35]
	s_waitcnt vmcnt(48)
	v_fmac_f64_e32 v[92:93], v[84:85], v[36:37]
	v_add_f64 v[94:95], v[90:91], v[92:93]
	ds_read_b128 v[90:93], v1 offset:1104
	s_waitcnt lgkmcnt(1)
	v_mul_f64 v[96:97], v[86:87], v[30:31]
	v_fmac_f64_e32 v[96:97], v[88:89], v[32:33]
	v_add_f64 v[98:99], v[94:95], v[96:97]
	ds_read_b128 v[94:97], v1 offset:1120
	v_add_f64 v[2:3], v[2:3], v[4:5]
	v_mul_f64 v[4:5], v[64:65], v[12:13]
	v_fma_f64 v[4:5], v[62:63], v[6:7], -v[4:5]
	s_waitcnt vmcnt(42) lgkmcnt(1)
	v_mul_f64 v[100:101], v[90:91], v[42:43]
	v_add_f64 v[2:3], v[2:3], v[4:5]
	v_mul_f64 v[4:5], v[68:69], v[18:19]
	s_waitcnt vmcnt(40)
	v_fmac_f64_e32 v[100:101], v[92:93], v[44:45]
	v_fma_f64 v[4:5], v[66:67], v[20:21], -v[4:5]
	v_add_f64 v[102:103], v[98:99], v[100:101]
	ds_read_b128 v[98:101], v1 offset:1136
	s_waitcnt lgkmcnt(1)
	v_mul_f64 v[104:105], v[94:95], v[38:39]
	v_add_f64 v[2:3], v[2:3], v[4:5]
	v_mul_f64 v[4:5], v[72:73], v[14:15]
	v_fmac_f64_e32 v[104:105], v[96:97], v[40:41]
	v_fma_f64 v[4:5], v[70:71], v[16:17], -v[4:5]
	v_add_f64 v[106:107], v[102:103], v[104:105]
	ds_read_b128 v[102:105], v1 offset:1152
	v_add_f64 v[2:3], v[2:3], v[4:5]
	v_mul_f64 v[4:5], v[76:77], v[26:27]
	v_fma_f64 v[4:5], v[74:75], v[28:29], -v[4:5]
	v_add_f64 v[2:3], v[2:3], v[4:5]
	v_mul_f64 v[4:5], v[80:81], v[22:23]
	s_waitcnt vmcnt(34) lgkmcnt(1)
	v_mul_f64 v[108:109], v[98:99], v[50:51]
	v_fma_f64 v[4:5], v[78:79], v[24:25], -v[4:5]
	s_waitcnt vmcnt(32)
	v_fmac_f64_e32 v[108:109], v[100:101], v[52:53]
	v_add_f64 v[2:3], v[2:3], v[4:5]
	v_mul_f64 v[4:5], v[84:85], v[34:35]
	v_add_f64 v[110:111], v[106:107], v[108:109]
	ds_read_b128 v[106:109], v1 offset:1168
	s_waitcnt lgkmcnt(1)
	v_mul_f64 v[112:113], v[102:103], v[46:47]
	v_fma_f64 v[4:5], v[82:83], v[36:37], -v[4:5]
	v_fmac_f64_e32 v[112:113], v[104:105], v[48:49]
	v_add_f64 v[2:3], v[2:3], v[4:5]
	v_mul_f64 v[4:5], v[88:89], v[30:31]
	v_add_f64 v[114:115], v[110:111], v[112:113]
	ds_read_b128 v[110:113], v1 offset:1184
	v_fma_f64 v[4:5], v[86:87], v[32:33], -v[4:5]
	v_add_f64 v[2:3], v[2:3], v[4:5]
	v_mul_f64 v[4:5], v[92:93], v[42:43]
	v_fma_f64 v[4:5], v[90:91], v[44:45], -v[4:5]
	s_waitcnt vmcnt(26) lgkmcnt(1)
	v_mul_f64 v[116:117], v[106:107], v[140:141]
	v_add_f64 v[2:3], v[2:3], v[4:5]
	v_mul_f64 v[4:5], v[96:97], v[38:39]
	s_waitcnt vmcnt(24)
	v_fmac_f64_e32 v[116:117], v[108:109], v[142:143]
	v_fma_f64 v[4:5], v[94:95], v[40:41], -v[4:5]
	v_add_f64 v[122:123], v[114:115], v[116:117]
	ds_read_b128 v[114:117], v1 offset:1200
	s_waitcnt lgkmcnt(1)
	v_mul_f64 v[124:125], v[110:111], v[118:119]
	v_add_f64 v[2:3], v[2:3], v[4:5]
	v_mul_f64 v[4:5], v[100:101], v[50:51]
	v_fmac_f64_e32 v[124:125], v[112:113], v[138:139]
	v_fma_f64 v[4:5], v[98:99], v[52:53], -v[4:5]
	v_add_f64 v[126:127], v[122:123], v[124:125]
	ds_read_b128 v[122:125], v1 offset:1216
	v_add_f64 v[2:3], v[2:3], v[4:5]
	v_mul_f64 v[4:5], v[104:105], v[46:47]
	v_fma_f64 v[4:5], v[102:103], v[48:49], -v[4:5]
	v_add_f64 v[2:3], v[2:3], v[4:5]
	v_mul_f64 v[4:5], v[108:109], v[140:141]
	s_waitcnt vmcnt(18) lgkmcnt(1)
	v_mul_f64 v[128:129], v[114:115], v[148:149]
	v_fma_f64 v[4:5], v[106:107], v[142:143], -v[4:5]
	s_waitcnt vmcnt(16)
	v_fmac_f64_e32 v[128:129], v[116:117], v[150:151]
	v_add_f64 v[2:3], v[2:3], v[4:5]
	v_mul_f64 v[4:5], v[112:113], v[118:119]
	v_add_f64 v[130:131], v[126:127], v[128:129]
	ds_read_b128 v[126:129], v1 offset:1232
	s_waitcnt lgkmcnt(1)
	v_mul_f64 v[132:133], v[122:123], v[144:145]
	v_fma_f64 v[4:5], v[110:111], v[138:139], -v[4:5]
	v_fmac_f64_e32 v[132:133], v[124:125], v[146:147]
	v_add_f64 v[2:3], v[2:3], v[4:5]
	v_mul_f64 v[4:5], v[116:117], v[148:149]
	v_add_f64 v[168:169], v[130:131], v[132:133]
	ds_read_b128 v[130:133], v1 offset:1248
	v_fma_f64 v[4:5], v[114:115], v[150:151], -v[4:5]
	v_add_f64 v[2:3], v[2:3], v[4:5]
	v_mul_f64 v[4:5], v[124:125], v[144:145]
	v_fma_f64 v[4:5], v[122:123], v[146:147], -v[4:5]
	v_add_f64 v[2:3], v[2:3], v[4:5]
	s_waitcnt vmcnt(10) lgkmcnt(1)
	v_mul_f64 v[4:5], v[128:129], v[156:157]
	v_mul_f64 v[170:171], v[126:127], v[156:157]
	s_waitcnt vmcnt(8)
	v_fma_f64 v[4:5], v[126:127], v[158:159], -v[4:5]
	v_fmac_f64_e32 v[170:171], v[128:129], v[158:159]
	v_add_f64 v[2:3], v[2:3], v[4:5]
	s_waitcnt lgkmcnt(0)
	v_mul_f64 v[4:5], v[132:133], v[152:153]
	v_add_f64 v[168:169], v[168:169], v[170:171]
	v_mul_f64 v[170:171], v[130:131], v[152:153]
	v_fma_f64 v[4:5], v[130:131], v[154:155], -v[4:5]
	v_fmac_f64_e32 v[170:171], v[132:133], v[154:155]
	v_add_f64 v[2:3], v[2:3], v[4:5]
	s_waitcnt vmcnt(6)
	v_mul_f64 v[4:5], v[136:137], v[160:161]
	v_add_f64 v[168:169], v[168:169], v[170:171]
	v_mul_f64 v[170:171], v[134:135], v[160:161]
	s_waitcnt vmcnt(4)
	v_fma_f64 v[4:5], v[134:135], v[162:163], -v[4:5]
	v_fmac_f64_e32 v[170:171], v[136:137], v[162:163]
	v_add_f64 v[2:3], v[2:3], v[4:5]
	v_add_f64 v[168:169], v[168:169], v[170:171]
	s_waitcnt vmcnt(2)
	v_add_f64 v[2:3], v[164:165], -v[2:3]
	s_waitcnt vmcnt(0)
	v_add_f64 v[4:5], v[166:167], -v[168:169]
	buffer_store_dword v3, off, s[0:3], 0 offset:324
	buffer_store_dword v2, off, s[0:3], 0 offset:320
	;; [unrolled: 1-line block ×4, first 2 shown]
	s_and_saveexec_b64 s[4:5], vcc
	s_cbranch_execz .LBB103_217
; %bb.216:
	v_accvgpr_read_b32 v1, a101
	buffer_load_dword v2, v1, s[0:3], 0 offen
	buffer_load_dword v3, v1, s[0:3], 0 offen offset:4
	buffer_load_dword v4, v1, s[0:3], 0 offen offset:8
	;; [unrolled: 1-line block ×3, first 2 shown]
	v_mov_b32_e32 v1, 0
	v_accvgpr_read_b32 v6, a119
	buffer_store_dword v1, off, s[0:3], 0 offset:304
	buffer_store_dword v1, off, s[0:3], 0 offset:308
	;; [unrolled: 1-line block ×4, first 2 shown]
	s_waitcnt vmcnt(4)
	ds_write_b128 v6, v[2:5]
.LBB103_217:
	s_or_b64 exec, exec, s[4:5]
	s_waitcnt lgkmcnt(0)
	; wave barrier
	s_waitcnt lgkmcnt(0)
	buffer_load_dword v4, off, s[0:3], 0 offset:304
	buffer_load_dword v5, off, s[0:3], 0 offset:308
	;; [unrolled: 1-line block ×84, first 2 shown]
	v_mov_b32_e32 v1, 0
	ds_read_b128 v[66:69], v1 offset:944
	buffer_load_dword v173, off, s[0:3], 0 offset:652
	buffer_load_dword v172, off, s[0:3], 0 offset:648
	;; [unrolled: 1-line block ×4, first 2 shown]
	ds_read_b128 v[70:73], v1 offset:960
	ds_read_b128 v[74:77], v1 offset:976
	;; [unrolled: 1-line block ×4, first 2 shown]
	v_cmp_lt_u32_e32 vcc, 17, v0
	s_waitcnt vmcnt(62) lgkmcnt(4)
	v_mul_f64 v[82:83], v[66:67], v[12:13]
	v_fmac_f64_e32 v[82:83], v[68:69], v[6:7]
	s_waitcnt lgkmcnt(3)
	v_mul_f64 v[84:85], v[70:71], v[14:15]
	v_add_f64 v[82:83], v[82:83], 0
	v_fmac_f64_e32 v[84:85], v[72:73], v[8:9]
	v_add_f64 v[82:83], v[82:83], v[84:85]
	s_waitcnt lgkmcnt(2)
	v_mul_f64 v[84:85], v[74:75], v[16:17]
	v_fmac_f64_e32 v[84:85], v[76:77], v[10:11]
	v_add_f64 v[86:87], v[82:83], v[84:85]
	ds_read_b128 v[82:85], v1 offset:1008
	v_mul_f64 v[12:13], v[68:69], v[12:13]
	s_waitcnt lgkmcnt(2)
	v_mul_f64 v[88:89], v[78:79], v[22:23]
	v_fma_f64 v[6:7], v[66:67], v[6:7], -v[12:13]
	v_fmac_f64_e32 v[88:89], v[80:81], v[24:25]
	v_add_f64 v[90:91], v[86:87], v[88:89]
	ds_read_b128 v[86:89], v1 offset:1024
	s_waitcnt lgkmcnt(1)
	v_mul_f64 v[92:93], v[82:83], v[18:19]
	v_fmac_f64_e32 v[92:93], v[84:85], v[20:21]
	v_add_f64 v[94:95], v[90:91], v[92:93]
	ds_read_b128 v[90:93], v1 offset:1040
	s_waitcnt vmcnt(58) lgkmcnt(1)
	v_mul_f64 v[96:97], v[86:87], v[30:31]
	s_waitcnt vmcnt(56)
	v_fmac_f64_e32 v[96:97], v[88:89], v[32:33]
	v_add_f64 v[98:99], v[94:95], v[96:97]
	ds_read_b128 v[94:97], v1 offset:1056
	s_waitcnt lgkmcnt(1)
	v_mul_f64 v[100:101], v[90:91], v[26:27]
	v_fmac_f64_e32 v[100:101], v[92:93], v[28:29]
	v_add_f64 v[102:103], v[98:99], v[100:101]
	ds_read_b128 v[98:101], v1 offset:1072
	s_waitcnt vmcnt(50) lgkmcnt(1)
	v_mul_f64 v[104:105], v[94:95], v[38:39]
	s_waitcnt vmcnt(48)
	v_fmac_f64_e32 v[104:105], v[96:97], v[40:41]
	v_add_f64 v[106:107], v[102:103], v[104:105]
	ds_read_b128 v[102:105], v1 offset:1088
	s_waitcnt lgkmcnt(1)
	v_mul_f64 v[108:109], v[98:99], v[34:35]
	v_fmac_f64_e32 v[108:109], v[100:101], v[36:37]
	v_mul_f64 v[12:13], v[72:73], v[14:15]
	v_add_f64 v[110:111], v[106:107], v[108:109]
	ds_read_b128 v[106:109], v1 offset:1104
	s_waitcnt vmcnt(42) lgkmcnt(1)
	v_mul_f64 v[112:113], v[102:103], v[46:47]
	v_add_f64 v[6:7], v[6:7], 0
	v_fma_f64 v[8:9], v[70:71], v[8:9], -v[12:13]
	s_waitcnt vmcnt(40)
	v_fmac_f64_e32 v[112:113], v[104:105], v[48:49]
	v_add_f64 v[6:7], v[6:7], v[8:9]
	v_mul_f64 v[8:9], v[76:77], v[16:17]
	v_add_f64 v[114:115], v[110:111], v[112:113]
	ds_read_b128 v[110:113], v1 offset:1120
	v_fma_f64 v[8:9], v[74:75], v[10:11], -v[8:9]
	v_add_f64 v[6:7], v[6:7], v[8:9]
	v_mul_f64 v[8:9], v[80:81], v[22:23]
	v_fma_f64 v[8:9], v[78:79], v[24:25], -v[8:9]
	s_waitcnt lgkmcnt(1)
	v_mul_f64 v[116:117], v[106:107], v[42:43]
	v_add_f64 v[6:7], v[6:7], v[8:9]
	v_mul_f64 v[8:9], v[84:85], v[18:19]
	v_fmac_f64_e32 v[116:117], v[108:109], v[44:45]
	v_fma_f64 v[8:9], v[82:83], v[20:21], -v[8:9]
	v_add_f64 v[122:123], v[114:115], v[116:117]
	ds_read_b128 v[114:117], v1 offset:1136
	s_waitcnt vmcnt(34) lgkmcnt(1)
	v_mul_f64 v[124:125], v[110:111], v[54:55]
	v_add_f64 v[6:7], v[6:7], v[8:9]
	v_mul_f64 v[8:9], v[88:89], v[30:31]
	s_waitcnt vmcnt(32)
	v_fmac_f64_e32 v[124:125], v[112:113], v[56:57]
	v_fma_f64 v[8:9], v[86:87], v[32:33], -v[8:9]
	v_add_f64 v[126:127], v[122:123], v[124:125]
	ds_read_b128 v[122:125], v1 offset:1152
	v_add_f64 v[6:7], v[6:7], v[8:9]
	v_mul_f64 v[8:9], v[92:93], v[26:27]
	v_fma_f64 v[8:9], v[90:91], v[28:29], -v[8:9]
	v_add_f64 v[6:7], v[6:7], v[8:9]
	v_mul_f64 v[8:9], v[96:97], v[38:39]
	s_waitcnt lgkmcnt(1)
	v_mul_f64 v[128:129], v[114:115], v[50:51]
	v_fma_f64 v[8:9], v[94:95], v[40:41], -v[8:9]
	v_fmac_f64_e32 v[128:129], v[116:117], v[52:53]
	v_add_f64 v[6:7], v[6:7], v[8:9]
	v_mul_f64 v[8:9], v[100:101], v[34:35]
	v_add_f64 v[130:131], v[126:127], v[128:129]
	ds_read_b128 v[126:129], v1 offset:1168
	s_waitcnt vmcnt(26) lgkmcnt(1)
	v_mul_f64 v[132:133], v[122:123], v[62:63]
	v_fma_f64 v[8:9], v[98:99], v[36:37], -v[8:9]
	s_waitcnt vmcnt(24)
	v_fmac_f64_e32 v[132:133], v[124:125], v[64:65]
	v_add_f64 v[6:7], v[6:7], v[8:9]
	v_mul_f64 v[8:9], v[104:105], v[46:47]
	v_add_f64 v[134:135], v[130:131], v[132:133]
	ds_read_b128 v[130:133], v1 offset:1184
	v_fma_f64 v[8:9], v[102:103], v[48:49], -v[8:9]
	v_add_f64 v[6:7], v[6:7], v[8:9]
	v_mul_f64 v[8:9], v[108:109], v[42:43]
	v_fma_f64 v[8:9], v[106:107], v[44:45], -v[8:9]
	s_waitcnt lgkmcnt(1)
	v_mul_f64 v[136:137], v[126:127], v[58:59]
	v_add_f64 v[6:7], v[6:7], v[8:9]
	v_mul_f64 v[8:9], v[112:113], v[54:55]
	v_fmac_f64_e32 v[136:137], v[128:129], v[60:61]
	v_fma_f64 v[8:9], v[110:111], v[56:57], -v[8:9]
	v_add_f64 v[138:139], v[134:135], v[136:137]
	ds_read_b128 v[134:137], v1 offset:1200
	s_waitcnt vmcnt(18) lgkmcnt(1)
	v_mul_f64 v[140:141], v[130:131], v[156:157]
	v_add_f64 v[6:7], v[6:7], v[8:9]
	v_mul_f64 v[8:9], v[116:117], v[50:51]
	s_waitcnt vmcnt(16)
	v_fmac_f64_e32 v[140:141], v[132:133], v[158:159]
	v_fma_f64 v[8:9], v[114:115], v[52:53], -v[8:9]
	v_add_f64 v[142:143], v[138:139], v[140:141]
	ds_read_b128 v[138:141], v1 offset:1216
	v_add_f64 v[6:7], v[6:7], v[8:9]
	v_mul_f64 v[8:9], v[124:125], v[62:63]
	v_fma_f64 v[8:9], v[122:123], v[64:65], -v[8:9]
	v_add_f64 v[6:7], v[6:7], v[8:9]
	v_mul_f64 v[8:9], v[128:129], v[58:59]
	s_waitcnt lgkmcnt(1)
	v_mul_f64 v[144:145], v[134:135], v[118:119]
	v_fma_f64 v[8:9], v[126:127], v[60:61], -v[8:9]
	v_fmac_f64_e32 v[144:145], v[136:137], v[154:155]
	v_add_f64 v[6:7], v[6:7], v[8:9]
	v_mul_f64 v[8:9], v[132:133], v[156:157]
	v_add_f64 v[146:147], v[142:143], v[144:145]
	ds_read_b128 v[142:145], v1 offset:1232
	s_waitcnt vmcnt(10) lgkmcnt(1)
	v_mul_f64 v[148:149], v[138:139], v[164:165]
	v_fma_f64 v[8:9], v[130:131], v[158:159], -v[8:9]
	s_waitcnt vmcnt(8)
	v_fmac_f64_e32 v[148:149], v[140:141], v[166:167]
	v_add_f64 v[6:7], v[6:7], v[8:9]
	v_mul_f64 v[8:9], v[136:137], v[118:119]
	v_add_f64 v[176:177], v[146:147], v[148:149]
	ds_read_b128 v[146:149], v1 offset:1248
	v_fma_f64 v[8:9], v[134:135], v[154:155], -v[8:9]
	v_add_f64 v[6:7], v[6:7], v[8:9]
	v_mul_f64 v[8:9], v[140:141], v[164:165]
	v_fma_f64 v[8:9], v[138:139], v[166:167], -v[8:9]
	v_add_f64 v[6:7], v[6:7], v[8:9]
	s_waitcnt lgkmcnt(1)
	v_mul_f64 v[8:9], v[144:145], v[160:161]
	v_mul_f64 v[178:179], v[142:143], v[160:161]
	v_fma_f64 v[8:9], v[142:143], v[162:163], -v[8:9]
	v_fmac_f64_e32 v[178:179], v[144:145], v[162:163]
	v_add_f64 v[6:7], v[6:7], v[8:9]
	s_waitcnt vmcnt(6) lgkmcnt(0)
	v_mul_f64 v[8:9], v[148:149], v[168:169]
	v_add_f64 v[176:177], v[176:177], v[178:179]
	v_mul_f64 v[178:179], v[146:147], v[168:169]
	s_waitcnt vmcnt(4)
	v_fma_f64 v[8:9], v[146:147], v[170:171], -v[8:9]
	v_fmac_f64_e32 v[178:179], v[148:149], v[170:171]
	v_add_f64 v[6:7], v[6:7], v[8:9]
	s_waitcnt vmcnt(2)
	v_mul_f64 v[8:9], v[152:153], v[172:173]
	v_add_f64 v[176:177], v[176:177], v[178:179]
	v_mul_f64 v[178:179], v[150:151], v[172:173]
	s_waitcnt vmcnt(0)
	v_fma_f64 v[8:9], v[150:151], v[174:175], -v[8:9]
	v_fmac_f64_e32 v[178:179], v[152:153], v[174:175]
	v_add_f64 v[6:7], v[6:7], v[8:9]
	v_add_f64 v[176:177], v[176:177], v[178:179]
	v_add_f64 v[4:5], v[4:5], -v[6:7]
	v_add_f64 v[2:3], v[2:3], -v[176:177]
	buffer_store_dword v5, off, s[0:3], 0 offset:308
	buffer_store_dword v4, off, s[0:3], 0 offset:304
	;; [unrolled: 1-line block ×4, first 2 shown]
	s_and_saveexec_b64 s[4:5], vcc
	s_cbranch_execz .LBB103_219
; %bb.218:
	v_accvgpr_read_b32 v5, a102
	buffer_load_dword v2, v5, s[0:3], 0 offen
	buffer_load_dword v3, v5, s[0:3], 0 offen offset:4
	buffer_load_dword v4, v5, s[0:3], 0 offen offset:8
	s_nop 0
	buffer_load_dword v5, v5, s[0:3], 0 offen offset:12
	v_accvgpr_read_b32 v6, a119
	buffer_store_dword v1, off, s[0:3], 0 offset:288
	buffer_store_dword v1, off, s[0:3], 0 offset:292
	;; [unrolled: 1-line block ×4, first 2 shown]
	s_waitcnt vmcnt(4)
	ds_write_b128 v6, v[2:5]
.LBB103_219:
	s_or_b64 exec, exec, s[4:5]
	s_waitcnt lgkmcnt(0)
	; wave barrier
	s_waitcnt lgkmcnt(0)
	ds_read_b128 v[14:17], v1 offset:928
	ds_read_b128 v[10:13], v1 offset:944
	;; [unrolled: 1-line block ×4, first 2 shown]
	buffer_load_dword v20, off, s[0:3], 0 offset:288
	buffer_load_dword v21, off, s[0:3], 0 offset:292
	;; [unrolled: 1-line block ×92, first 2 shown]
	s_waitcnt vmcnt(62) lgkmcnt(3)
	v_mul_f64 v[86:87], v[14:15], v[28:29]
	v_fmac_f64_e32 v[86:87], v[16:17], v[22:23]
	s_waitcnt lgkmcnt(2)
	v_mul_f64 v[88:89], v[10:11], v[30:31]
	v_add_f64 v[86:87], v[86:87], 0
	v_fmac_f64_e32 v[88:89], v[12:13], v[24:25]
	v_add_f64 v[86:87], v[86:87], v[88:89]
	s_waitcnt lgkmcnt(1)
	v_mul_f64 v[88:89], v[6:7], v[32:33]
	v_fmac_f64_e32 v[88:89], v[8:9], v[26:27]
	v_add_f64 v[90:91], v[86:87], v[88:89]
	ds_read_b128 v[86:89], v1 offset:992
	v_mul_f64 v[16:17], v[16:17], v[28:29]
	v_fma_f64 v[14:15], v[14:15], v[22:23], -v[16:17]
	s_waitcnt lgkmcnt(1)
	v_mul_f64 v[92:93], v[2:3], v[38:39]
	v_mul_f64 v[12:13], v[12:13], v[30:31]
	v_fmac_f64_e32 v[92:93], v[4:5], v[40:41]
	v_add_f64 v[94:95], v[90:91], v[92:93]
	ds_read_b128 v[90:93], v1 offset:1008
	s_waitcnt lgkmcnt(1)
	v_mul_f64 v[96:97], v[86:87], v[34:35]
	v_fmac_f64_e32 v[96:97], v[88:89], v[36:37]
	v_add_f64 v[98:99], v[94:95], v[96:97]
	ds_read_b128 v[94:97], v1 offset:1024
	s_waitcnt lgkmcnt(1)
	v_mul_f64 v[100:101], v[90:91], v[46:47]
	s_waitcnt vmcnt(60)
	v_fmac_f64_e32 v[100:101], v[92:93], v[48:49]
	v_add_f64 v[102:103], v[98:99], v[100:101]
	ds_read_b128 v[98:101], v1 offset:1040
	s_waitcnt lgkmcnt(1)
	v_mul_f64 v[104:105], v[94:95], v[42:43]
	v_fmac_f64_e32 v[104:105], v[96:97], v[44:45]
	v_add_f64 v[106:107], v[102:103], v[104:105]
	ds_read_b128 v[102:105], v1 offset:1056
	s_waitcnt vmcnt(54) lgkmcnt(1)
	v_mul_f64 v[108:109], v[98:99], v[54:55]
	s_waitcnt vmcnt(52)
	v_fmac_f64_e32 v[108:109], v[100:101], v[56:57]
	v_add_f64 v[110:111], v[106:107], v[108:109]
	ds_read_b128 v[106:109], v1 offset:1072
	s_waitcnt lgkmcnt(1)
	v_mul_f64 v[112:113], v[102:103], v[50:51]
	v_fmac_f64_e32 v[112:113], v[104:105], v[52:53]
	v_add_f64 v[114:115], v[110:111], v[112:113]
	ds_read_b128 v[110:113], v1 offset:1088
	s_waitcnt vmcnt(46) lgkmcnt(1)
	v_mul_f64 v[116:117], v[106:107], v[62:63]
	s_waitcnt vmcnt(44)
	v_fmac_f64_e32 v[116:117], v[108:109], v[64:65]
	v_add_f64 v[122:123], v[114:115], v[116:117]
	ds_read_b128 v[114:117], v1 offset:1104
	s_waitcnt lgkmcnt(1)
	v_mul_f64 v[124:125], v[110:111], v[58:59]
	v_fmac_f64_e32 v[124:125], v[112:113], v[60:61]
	v_add_f64 v[14:15], v[14:15], 0
	v_fma_f64 v[10:11], v[10:11], v[24:25], -v[12:13]
	v_mul_f64 v[8:9], v[8:9], v[32:33]
	v_add_f64 v[126:127], v[122:123], v[124:125]
	ds_read_b128 v[122:125], v1 offset:1120
	v_add_f64 v[10:11], v[14:15], v[10:11]
	v_fma_f64 v[6:7], v[6:7], v[26:27], -v[8:9]
	v_mul_f64 v[4:5], v[4:5], v[38:39]
	v_add_f64 v[6:7], v[10:11], v[6:7]
	v_fma_f64 v[2:3], v[2:3], v[40:41], -v[4:5]
	v_mul_f64 v[4:5], v[88:89], v[34:35]
	v_add_f64 v[2:3], v[6:7], v[2:3]
	v_fma_f64 v[4:5], v[86:87], v[36:37], -v[4:5]
	s_waitcnt vmcnt(38) lgkmcnt(1)
	v_mul_f64 v[128:129], v[114:115], v[70:71]
	v_add_f64 v[2:3], v[2:3], v[4:5]
	v_mul_f64 v[4:5], v[92:93], v[46:47]
	s_waitcnt vmcnt(36)
	v_fmac_f64_e32 v[128:129], v[116:117], v[72:73]
	v_fma_f64 v[4:5], v[90:91], v[48:49], -v[4:5]
	v_add_f64 v[130:131], v[126:127], v[128:129]
	ds_read_b128 v[126:129], v1 offset:1136
	s_waitcnt lgkmcnt(1)
	v_mul_f64 v[132:133], v[122:123], v[66:67]
	v_add_f64 v[2:3], v[2:3], v[4:5]
	v_mul_f64 v[4:5], v[96:97], v[42:43]
	v_fmac_f64_e32 v[132:133], v[124:125], v[68:69]
	v_fma_f64 v[4:5], v[94:95], v[44:45], -v[4:5]
	v_add_f64 v[134:135], v[130:131], v[132:133]
	ds_read_b128 v[130:133], v1 offset:1152
	v_add_f64 v[2:3], v[2:3], v[4:5]
	v_mul_f64 v[4:5], v[100:101], v[54:55]
	v_fma_f64 v[4:5], v[98:99], v[56:57], -v[4:5]
	v_add_f64 v[2:3], v[2:3], v[4:5]
	v_mul_f64 v[4:5], v[104:105], v[50:51]
	s_waitcnt vmcnt(30) lgkmcnt(1)
	v_mul_f64 v[136:137], v[126:127], v[78:79]
	v_fma_f64 v[4:5], v[102:103], v[52:53], -v[4:5]
	s_waitcnt vmcnt(28)
	v_fmac_f64_e32 v[136:137], v[128:129], v[80:81]
	v_add_f64 v[2:3], v[2:3], v[4:5]
	v_mul_f64 v[4:5], v[108:109], v[62:63]
	v_add_f64 v[138:139], v[134:135], v[136:137]
	ds_read_b128 v[134:137], v1 offset:1168
	s_waitcnt lgkmcnt(1)
	v_mul_f64 v[140:141], v[130:131], v[74:75]
	v_fma_f64 v[4:5], v[106:107], v[64:65], -v[4:5]
	v_fmac_f64_e32 v[140:141], v[132:133], v[76:77]
	v_add_f64 v[2:3], v[2:3], v[4:5]
	v_mul_f64 v[4:5], v[112:113], v[58:59]
	v_add_f64 v[142:143], v[138:139], v[140:141]
	ds_read_b128 v[138:141], v1 offset:1184
	v_fma_f64 v[4:5], v[110:111], v[60:61], -v[4:5]
	v_add_f64 v[2:3], v[2:3], v[4:5]
	v_mul_f64 v[4:5], v[116:117], v[70:71]
	v_fma_f64 v[4:5], v[114:115], v[72:73], -v[4:5]
	s_waitcnt vmcnt(22) lgkmcnt(1)
	v_mul_f64 v[144:145], v[134:135], v[118:119]
	v_add_f64 v[2:3], v[2:3], v[4:5]
	v_mul_f64 v[4:5], v[124:125], v[66:67]
	s_waitcnt vmcnt(20)
	v_fmac_f64_e32 v[144:145], v[136:137], v[162:163]
	v_fma_f64 v[4:5], v[122:123], v[68:69], -v[4:5]
	v_add_f64 v[146:147], v[142:143], v[144:145]
	ds_read_b128 v[142:145], v1 offset:1200
	s_waitcnt lgkmcnt(1)
	v_mul_f64 v[148:149], v[138:139], v[82:83]
	v_add_f64 v[2:3], v[2:3], v[4:5]
	v_mul_f64 v[4:5], v[128:129], v[78:79]
	v_fmac_f64_e32 v[148:149], v[140:141], v[84:85]
	v_fma_f64 v[4:5], v[126:127], v[80:81], -v[4:5]
	v_add_f64 v[150:151], v[146:147], v[148:149]
	ds_read_b128 v[146:149], v1 offset:1216
	v_add_f64 v[2:3], v[2:3], v[4:5]
	v_mul_f64 v[4:5], v[132:133], v[74:75]
	v_fma_f64 v[4:5], v[130:131], v[76:77], -v[4:5]
	v_add_f64 v[2:3], v[2:3], v[4:5]
	v_mul_f64 v[4:5], v[136:137], v[118:119]
	s_waitcnt vmcnt(14) lgkmcnt(1)
	v_mul_f64 v[152:153], v[142:143], v[168:169]
	v_fma_f64 v[4:5], v[134:135], v[162:163], -v[4:5]
	s_waitcnt vmcnt(12)
	v_fmac_f64_e32 v[152:153], v[144:145], v[170:171]
	v_add_f64 v[2:3], v[2:3], v[4:5]
	v_mul_f64 v[4:5], v[140:141], v[82:83]
	v_add_f64 v[154:155], v[150:151], v[152:153]
	ds_read_b128 v[150:153], v1 offset:1232
	s_waitcnt lgkmcnt(1)
	v_mul_f64 v[156:157], v[146:147], v[164:165]
	v_fma_f64 v[4:5], v[138:139], v[84:85], -v[4:5]
	v_fmac_f64_e32 v[156:157], v[148:149], v[166:167]
	v_add_f64 v[2:3], v[2:3], v[4:5]
	v_mul_f64 v[4:5], v[144:145], v[168:169]
	v_add_f64 v[184:185], v[154:155], v[156:157]
	ds_read_b128 v[154:157], v1 offset:1248
	ds_read_b128 v[158:161], v1 offset:1264
	v_fma_f64 v[4:5], v[142:143], v[170:171], -v[4:5]
	v_add_f64 v[2:3], v[2:3], v[4:5]
	v_mul_f64 v[4:5], v[148:149], v[164:165]
	v_fma_f64 v[4:5], v[146:147], v[166:167], -v[4:5]
	v_add_f64 v[2:3], v[2:3], v[4:5]
	s_waitcnt vmcnt(6) lgkmcnt(2)
	v_mul_f64 v[4:5], v[152:153], v[176:177]
	v_mul_f64 v[186:187], v[150:151], v[176:177]
	s_waitcnt vmcnt(4)
	v_fma_f64 v[4:5], v[150:151], v[178:179], -v[4:5]
	v_fmac_f64_e32 v[186:187], v[152:153], v[178:179]
	v_add_f64 v[2:3], v[2:3], v[4:5]
	s_waitcnt lgkmcnt(1)
	v_mul_f64 v[4:5], v[156:157], v[172:173]
	v_add_f64 v[184:185], v[184:185], v[186:187]
	v_mul_f64 v[186:187], v[154:155], v[172:173]
	v_fma_f64 v[4:5], v[154:155], v[174:175], -v[4:5]
	v_fmac_f64_e32 v[186:187], v[156:157], v[174:175]
	v_add_f64 v[2:3], v[2:3], v[4:5]
	s_waitcnt vmcnt(2) lgkmcnt(0)
	v_mul_f64 v[4:5], v[160:161], v[180:181]
	v_add_f64 v[184:185], v[184:185], v[186:187]
	v_mul_f64 v[186:187], v[158:159], v[180:181]
	s_waitcnt vmcnt(0)
	v_fma_f64 v[4:5], v[158:159], v[182:183], -v[4:5]
	v_fmac_f64_e32 v[186:187], v[160:161], v[182:183]
	v_add_f64 v[2:3], v[2:3], v[4:5]
	v_add_f64 v[184:185], v[184:185], v[186:187]
	v_add_f64 v[2:3], v[20:21], -v[2:3]
	v_cmp_lt_u32_e32 vcc, 16, v0
	v_add_f64 v[4:5], v[18:19], -v[184:185]
	buffer_store_dword v3, off, s[0:3], 0 offset:292
	buffer_store_dword v2, off, s[0:3], 0 offset:288
	;; [unrolled: 1-line block ×4, first 2 shown]
	s_and_saveexec_b64 s[4:5], vcc
	s_cbranch_execz .LBB103_221
; %bb.220:
	v_accvgpr_read_b32 v1, a103
	buffer_load_dword v2, v1, s[0:3], 0 offen
	buffer_load_dword v3, v1, s[0:3], 0 offen offset:4
	buffer_load_dword v4, v1, s[0:3], 0 offen offset:8
	;; [unrolled: 1-line block ×3, first 2 shown]
	v_mov_b32_e32 v1, 0
	v_accvgpr_read_b32 v6, a119
	buffer_store_dword v1, off, s[0:3], 0 offset:272
	buffer_store_dword v1, off, s[0:3], 0 offset:276
	;; [unrolled: 1-line block ×4, first 2 shown]
	s_waitcnt vmcnt(4)
	ds_write_b128 v6, v[2:5]
.LBB103_221:
	s_or_b64 exec, exec, s[4:5]
	s_waitcnt lgkmcnt(0)
	; wave barrier
	s_waitcnt lgkmcnt(0)
	buffer_load_dword v9, off, s[0:3], 0 offset:300
	buffer_load_dword v6, off, s[0:3], 0 offset:312
	;; [unrolled: 1-line block ×64, first 2 shown]
	v_mov_b32_e32 v1, 0
	ds_read_b128 v[74:77], v1 offset:912
	ds_read_b128 v[78:81], v1 offset:928
	buffer_load_dword v67, off, s[0:3], 0 offset:556
	buffer_load_dword v66, off, s[0:3], 0 offset:552
	;; [unrolled: 1-line block ×8, first 2 shown]
	ds_read_b128 v[82:85], v1 offset:944
	ds_read_b128 v[86:89], v1 offset:960
	buffer_load_dword v119, off, s[0:3], 0 offset:588
	buffer_load_dword v118, off, s[0:3], 0 offset:584
	;; [unrolled: 1-line block ×24, first 2 shown]
	ds_read_b128 v[166:169], v1 offset:1264
	v_cmp_lt_u32_e32 vcc, 15, v0
	s_waitcnt vmcnt(62) lgkmcnt(1)
	v_mul_f64 v[96:97], v[86:87], v[22:23]
	v_fmac_f64_e32 v[96:97], v[88:89], v[24:25]
	v_mul_f64 v[92:93], v[78:79], v[6:7]
	v_mul_f64 v[90:91], v[74:75], v[8:9]
	;; [unrolled: 1-line block ×3, first 2 shown]
	v_fmac_f64_e32 v[90:91], v[76:77], v[10:11]
	v_add_f64 v[90:91], v[90:91], 0
	v_fma_f64 v[8:9], v[74:75], v[10:11], -v[8:9]
	v_mul_f64 v[6:7], v[80:81], v[6:7]
	v_add_f64 v[8:9], v[8:9], 0
	v_fmac_f64_e32 v[92:93], v[80:81], v[14:15]
	v_add_f64 v[90:91], v[90:91], v[92:93]
	v_mul_f64 v[92:93], v[82:83], v[16:17]
	v_fmac_f64_e32 v[92:93], v[84:85], v[12:13]
	v_add_f64 v[94:95], v[90:91], v[92:93]
	ds_read_b128 v[90:93], v1 offset:976
	v_add_f64 v[98:99], v[94:95], v[96:97]
	ds_read_b128 v[94:97], v1 offset:992
	v_fma_f64 v[6:7], v[78:79], v[14:15], -v[6:7]
	v_add_f64 v[6:7], v[8:9], v[6:7]
	s_waitcnt lgkmcnt(1)
	v_mul_f64 v[100:101], v[90:91], v[18:19]
	v_fmac_f64_e32 v[100:101], v[92:93], v[20:21]
	v_add_f64 v[102:103], v[98:99], v[100:101]
	ds_read_b128 v[98:101], v1 offset:1008
	s_waitcnt lgkmcnt(1)
	v_mul_f64 v[104:105], v[94:95], v[30:31]
	v_fmac_f64_e32 v[104:105], v[96:97], v[32:33]
	v_add_f64 v[106:107], v[102:103], v[104:105]
	ds_read_b128 v[102:105], v1 offset:1024
	;; [unrolled: 5-line block ×3, first 2 shown]
	s_waitcnt vmcnt(58) lgkmcnt(1)
	v_mul_f64 v[112:113], v[102:103], v[38:39]
	s_waitcnt vmcnt(56)
	v_fmac_f64_e32 v[112:113], v[104:105], v[40:41]
	v_add_f64 v[114:115], v[110:111], v[112:113]
	ds_read_b128 v[110:113], v1 offset:1056
	s_waitcnt lgkmcnt(1)
	v_mul_f64 v[116:117], v[106:107], v[34:35]
	v_fmac_f64_e32 v[116:117], v[108:109], v[36:37]
	v_add_f64 v[122:123], v[114:115], v[116:117]
	ds_read_b128 v[114:117], v1 offset:1072
	s_waitcnt vmcnt(50) lgkmcnt(1)
	v_mul_f64 v[124:125], v[110:111], v[46:47]
	s_waitcnt vmcnt(48)
	v_fmac_f64_e32 v[124:125], v[112:113], v[48:49]
	v_add_f64 v[126:127], v[122:123], v[124:125]
	ds_read_b128 v[122:125], v1 offset:1088
	v_mul_f64 v[8:9], v[84:85], v[16:17]
	s_waitcnt lgkmcnt(1)
	v_mul_f64 v[128:129], v[114:115], v[42:43]
	v_fma_f64 v[8:9], v[82:83], v[12:13], -v[8:9]
	v_fmac_f64_e32 v[128:129], v[116:117], v[44:45]
	v_add_f64 v[6:7], v[6:7], v[8:9]
	v_mul_f64 v[8:9], v[88:89], v[22:23]
	v_add_f64 v[130:131], v[126:127], v[128:129]
	ds_read_b128 v[126:129], v1 offset:1104
	s_waitcnt vmcnt(42) lgkmcnt(1)
	v_mul_f64 v[132:133], v[122:123], v[54:55]
	v_fma_f64 v[8:9], v[86:87], v[24:25], -v[8:9]
	s_waitcnt vmcnt(40)
	v_fmac_f64_e32 v[132:133], v[124:125], v[56:57]
	v_add_f64 v[6:7], v[6:7], v[8:9]
	v_mul_f64 v[8:9], v[92:93], v[18:19]
	v_add_f64 v[134:135], v[130:131], v[132:133]
	ds_read_b128 v[130:133], v1 offset:1120
	v_fma_f64 v[8:9], v[90:91], v[20:21], -v[8:9]
	v_add_f64 v[6:7], v[6:7], v[8:9]
	v_mul_f64 v[8:9], v[96:97], v[30:31]
	v_fma_f64 v[8:9], v[94:95], v[32:33], -v[8:9]
	s_waitcnt lgkmcnt(1)
	v_mul_f64 v[136:137], v[126:127], v[50:51]
	v_add_f64 v[6:7], v[6:7], v[8:9]
	v_mul_f64 v[8:9], v[100:101], v[26:27]
	v_fmac_f64_e32 v[136:137], v[128:129], v[52:53]
	v_fma_f64 v[8:9], v[98:99], v[28:29], -v[8:9]
	v_add_f64 v[138:139], v[134:135], v[136:137]
	ds_read_b128 v[134:137], v1 offset:1136
	s_waitcnt vmcnt(34) lgkmcnt(1)
	v_mul_f64 v[140:141], v[130:131], v[62:63]
	v_add_f64 v[6:7], v[6:7], v[8:9]
	v_mul_f64 v[8:9], v[104:105], v[38:39]
	s_waitcnt vmcnt(32)
	v_fmac_f64_e32 v[140:141], v[132:133], v[64:65]
	v_fma_f64 v[8:9], v[102:103], v[40:41], -v[8:9]
	v_add_f64 v[142:143], v[138:139], v[140:141]
	ds_read_b128 v[138:141], v1 offset:1152
	v_add_f64 v[6:7], v[6:7], v[8:9]
	v_mul_f64 v[8:9], v[108:109], v[34:35]
	v_fma_f64 v[8:9], v[106:107], v[36:37], -v[8:9]
	v_add_f64 v[6:7], v[6:7], v[8:9]
	v_mul_f64 v[8:9], v[112:113], v[46:47]
	s_waitcnt lgkmcnt(1)
	v_mul_f64 v[144:145], v[134:135], v[58:59]
	v_fma_f64 v[8:9], v[110:111], v[48:49], -v[8:9]
	v_fmac_f64_e32 v[144:145], v[136:137], v[60:61]
	v_add_f64 v[6:7], v[6:7], v[8:9]
	v_mul_f64 v[8:9], v[116:117], v[42:43]
	v_add_f64 v[146:147], v[142:143], v[144:145]
	ds_read_b128 v[142:145], v1 offset:1168
	s_waitcnt vmcnt(26) lgkmcnt(1)
	v_mul_f64 v[148:149], v[138:139], v[70:71]
	v_fma_f64 v[8:9], v[114:115], v[44:45], -v[8:9]
	s_waitcnt vmcnt(24)
	v_fmac_f64_e32 v[148:149], v[140:141], v[72:73]
	v_add_f64 v[6:7], v[6:7], v[8:9]
	v_mul_f64 v[8:9], v[124:125], v[54:55]
	v_add_f64 v[150:151], v[146:147], v[148:149]
	ds_read_b128 v[146:149], v1 offset:1184
	v_fma_f64 v[8:9], v[122:123], v[56:57], -v[8:9]
	v_add_f64 v[6:7], v[6:7], v[8:9]
	v_mul_f64 v[8:9], v[128:129], v[50:51]
	v_fma_f64 v[8:9], v[126:127], v[52:53], -v[8:9]
	s_waitcnt lgkmcnt(1)
	v_mul_f64 v[152:153], v[142:143], v[66:67]
	v_add_f64 v[6:7], v[6:7], v[8:9]
	v_mul_f64 v[8:9], v[132:133], v[62:63]
	v_fmac_f64_e32 v[152:153], v[144:145], v[68:69]
	v_fma_f64 v[8:9], v[130:131], v[64:65], -v[8:9]
	v_add_f64 v[154:155], v[150:151], v[152:153]
	ds_read_b128 v[150:153], v1 offset:1200
	s_waitcnt vmcnt(18) lgkmcnt(1)
	v_mul_f64 v[156:157], v[146:147], v[172:173]
	v_add_f64 v[6:7], v[6:7], v[8:9]
	v_mul_f64 v[8:9], v[136:137], v[58:59]
	s_waitcnt vmcnt(16)
	v_fmac_f64_e32 v[156:157], v[148:149], v[174:175]
	v_fma_f64 v[8:9], v[134:135], v[60:61], -v[8:9]
	v_add_f64 v[158:159], v[154:155], v[156:157]
	ds_read_b128 v[154:157], v1 offset:1216
	v_add_f64 v[6:7], v[6:7], v[8:9]
	v_mul_f64 v[8:9], v[140:141], v[70:71]
	v_fma_f64 v[8:9], v[138:139], v[72:73], -v[8:9]
	v_add_f64 v[6:7], v[6:7], v[8:9]
	v_mul_f64 v[8:9], v[144:145], v[66:67]
	s_waitcnt lgkmcnt(1)
	v_mul_f64 v[160:161], v[150:151], v[118:119]
	v_fma_f64 v[8:9], v[142:143], v[68:69], -v[8:9]
	v_fmac_f64_e32 v[160:161], v[152:153], v[170:171]
	v_add_f64 v[6:7], v[6:7], v[8:9]
	v_mul_f64 v[8:9], v[148:149], v[172:173]
	v_add_f64 v[162:163], v[158:159], v[160:161]
	ds_read_b128 v[158:161], v1 offset:1232
	s_waitcnt vmcnt(10) lgkmcnt(1)
	v_mul_f64 v[164:165], v[154:155], v[180:181]
	v_fma_f64 v[8:9], v[146:147], v[174:175], -v[8:9]
	s_waitcnt vmcnt(8)
	v_fmac_f64_e32 v[164:165], v[156:157], v[182:183]
	v_add_f64 v[6:7], v[6:7], v[8:9]
	v_mul_f64 v[8:9], v[152:153], v[118:119]
	v_add_f64 v[192:193], v[162:163], v[164:165]
	ds_read_b128 v[162:165], v1 offset:1248
	v_fma_f64 v[8:9], v[150:151], v[170:171], -v[8:9]
	v_add_f64 v[6:7], v[6:7], v[8:9]
	v_mul_f64 v[8:9], v[156:157], v[180:181]
	v_fma_f64 v[8:9], v[154:155], v[182:183], -v[8:9]
	v_add_f64 v[6:7], v[6:7], v[8:9]
	s_waitcnt lgkmcnt(1)
	v_mul_f64 v[8:9], v[160:161], v[176:177]
	v_mul_f64 v[198:199], v[158:159], v[176:177]
	v_fma_f64 v[8:9], v[158:159], v[178:179], -v[8:9]
	v_fmac_f64_e32 v[198:199], v[160:161], v[178:179]
	v_add_f64 v[6:7], v[6:7], v[8:9]
	s_waitcnt vmcnt(2) lgkmcnt(0)
	v_mul_f64 v[8:9], v[164:165], v[188:189]
	v_add_f64 v[192:193], v[192:193], v[198:199]
	v_mul_f64 v[198:199], v[162:163], v[188:189]
	s_waitcnt vmcnt(0)
	v_fma_f64 v[8:9], v[162:163], v[190:191], -v[8:9]
	v_fmac_f64_e32 v[198:199], v[164:165], v[190:191]
	v_add_f64 v[6:7], v[6:7], v[8:9]
	v_mul_f64 v[8:9], v[168:169], v[184:185]
	v_add_f64 v[192:193], v[192:193], v[198:199]
	v_mul_f64 v[198:199], v[166:167], v[184:185]
	v_fma_f64 v[8:9], v[166:167], v[186:187], -v[8:9]
	v_fmac_f64_e32 v[198:199], v[168:169], v[186:187]
	v_add_f64 v[6:7], v[6:7], v[8:9]
	v_add_f64 v[192:193], v[192:193], v[198:199]
	v_add_f64 v[4:5], v[4:5], -v[6:7]
	v_add_f64 v[2:3], v[2:3], -v[192:193]
	buffer_store_dword v5, off, s[0:3], 0 offset:276
	buffer_store_dword v4, off, s[0:3], 0 offset:272
	;; [unrolled: 1-line block ×4, first 2 shown]
	s_and_saveexec_b64 s[4:5], vcc
	s_cbranch_execz .LBB103_223
; %bb.222:
	v_accvgpr_read_b32 v5, a104
	buffer_load_dword v2, v5, s[0:3], 0 offen
	buffer_load_dword v3, v5, s[0:3], 0 offen offset:4
	buffer_load_dword v4, v5, s[0:3], 0 offen offset:8
	s_nop 0
	buffer_load_dword v5, v5, s[0:3], 0 offen offset:12
	v_accvgpr_read_b32 v6, a119
	buffer_store_dword v1, off, s[0:3], 0 offset:256
	buffer_store_dword v1, off, s[0:3], 0 offset:260
	;; [unrolled: 1-line block ×4, first 2 shown]
	s_waitcnt vmcnt(4)
	ds_write_b128 v6, v[2:5]
.LBB103_223:
	s_or_b64 exec, exec, s[4:5]
	s_waitcnt lgkmcnt(0)
	; wave barrier
	s_waitcnt lgkmcnt(0)
	buffer_load_dword v22, off, s[0:3], 0 offset:272
	buffer_load_dword v23, off, s[0:3], 0 offset:276
	;; [unrolled: 1-line block ×16, first 2 shown]
	ds_read_b128 v[2:5], v1 offset:896
	ds_read_b128 v[6:9], v1 offset:912
	;; [unrolled: 1-line block ×4, first 2 shown]
	buffer_load_dword v35, off, s[0:3], 0 offset:348
	buffer_load_dword v34, off, s[0:3], 0 offset:344
	;; [unrolled: 1-line block ×48, first 2 shown]
	v_cmp_lt_u32_e32 vcc, 14, v0
	s_waitcnt vmcnt(42) lgkmcnt(0)
	v_mul_f64 v[104:105], v[14:15], v[38:39]
	s_waitcnt vmcnt(40)
	v_fmac_f64_e32 v[104:105], v[16:17], v[40:41]
	v_mul_f64 v[82:83], v[2:3], v[24:25]
	v_fmac_f64_e32 v[82:83], v[4:5], v[22:23]
	v_add_f64 v[82:83], v[82:83], 0
	v_mul_f64 v[4:5], v[4:5], v[24:25]
	v_mul_f64 v[84:85], v[6:7], v[32:33]
	v_fma_f64 v[2:3], v[2:3], v[22:23], -v[4:5]
	v_mul_f64 v[98:99], v[10:11], v[26:27]
	v_fmac_f64_e32 v[98:99], v[12:13], v[30:31]
	v_fmac_f64_e32 v[84:85], v[8:9], v[28:29]
	v_add_f64 v[100:101], v[82:83], v[84:85]
	buffer_load_dword v83, off, s[0:3], 0 offset:540
	buffer_load_dword v82, off, s[0:3], 0 offset:536
	;; [unrolled: 1-line block ×32, first 2 shown]
	v_add_f64 v[102:103], v[100:101], v[98:99]
	ds_read_b128 v[98:101], v1 offset:960
	buffer_load_dword v201, off, s[0:3], 0 offset:652
	buffer_load_dword v200, off, s[0:3], 0 offset:648
	;; [unrolled: 1-line block ×4, first 2 shown]
	v_add_f64 v[106:107], v[102:103], v[104:105]
	ds_read_b128 v[102:105], v1 offset:976
	v_mul_f64 v[4:5], v[8:9], v[32:33]
	s_waitcnt lgkmcnt(1)
	v_mul_f64 v[108:109], v[98:99], v[34:35]
	v_fmac_f64_e32 v[108:109], v[100:101], v[36:37]
	v_add_f64 v[110:111], v[106:107], v[108:109]
	ds_read_b128 v[106:109], v1 offset:992
	s_waitcnt vmcnt(62) lgkmcnt(1)
	v_mul_f64 v[112:113], v[102:103], v[46:47]
	v_fmac_f64_e32 v[112:113], v[104:105], v[48:49]
	v_add_f64 v[114:115], v[110:111], v[112:113]
	ds_read_b128 v[110:113], v1 offset:1008
	s_waitcnt lgkmcnt(1)
	v_mul_f64 v[116:117], v[106:107], v[42:43]
	v_fmac_f64_e32 v[116:117], v[108:109], v[44:45]
	v_add_f64 v[122:123], v[114:115], v[116:117]
	ds_read_b128 v[114:117], v1 offset:1024
	s_waitcnt lgkmcnt(1)
	v_mul_f64 v[124:125], v[110:111], v[54:55]
	s_waitcnt vmcnt(60)
	v_fmac_f64_e32 v[124:125], v[112:113], v[56:57]
	v_add_f64 v[126:127], v[122:123], v[124:125]
	ds_read_b128 v[122:125], v1 offset:1040
	s_waitcnt lgkmcnt(1)
	v_mul_f64 v[128:129], v[114:115], v[50:51]
	v_fmac_f64_e32 v[128:129], v[116:117], v[52:53]
	v_add_f64 v[130:131], v[126:127], v[128:129]
	ds_read_b128 v[126:129], v1 offset:1056
	s_waitcnt vmcnt(54) lgkmcnt(1)
	v_mul_f64 v[132:133], v[122:123], v[62:63]
	s_waitcnt vmcnt(52)
	v_fmac_f64_e32 v[132:133], v[124:125], v[64:65]
	v_add_f64 v[134:135], v[130:131], v[132:133]
	ds_read_b128 v[130:133], v1 offset:1072
	s_waitcnt lgkmcnt(1)
	v_mul_f64 v[136:137], v[126:127], v[58:59]
	v_fmac_f64_e32 v[136:137], v[128:129], v[60:61]
	v_add_f64 v[2:3], v[2:3], 0
	v_fma_f64 v[4:5], v[6:7], v[28:29], -v[4:5]
	v_add_f64 v[138:139], v[134:135], v[136:137]
	ds_read_b128 v[134:137], v1 offset:1088
	v_add_f64 v[2:3], v[2:3], v[4:5]
	v_mul_f64 v[4:5], v[12:13], v[26:27]
	v_fma_f64 v[4:5], v[10:11], v[30:31], -v[4:5]
	v_add_f64 v[2:3], v[2:3], v[4:5]
	v_mul_f64 v[4:5], v[16:17], v[38:39]
	s_waitcnt vmcnt(46) lgkmcnt(1)
	v_mul_f64 v[140:141], v[130:131], v[70:71]
	v_fma_f64 v[4:5], v[14:15], v[40:41], -v[4:5]
	s_waitcnt vmcnt(44)
	v_fmac_f64_e32 v[140:141], v[132:133], v[72:73]
	v_add_f64 v[2:3], v[2:3], v[4:5]
	v_mul_f64 v[4:5], v[100:101], v[34:35]
	v_add_f64 v[142:143], v[138:139], v[140:141]
	ds_read_b128 v[138:141], v1 offset:1104
	s_waitcnt lgkmcnt(1)
	v_mul_f64 v[144:145], v[134:135], v[66:67]
	v_fma_f64 v[4:5], v[98:99], v[36:37], -v[4:5]
	v_fmac_f64_e32 v[144:145], v[136:137], v[68:69]
	v_add_f64 v[2:3], v[2:3], v[4:5]
	v_mul_f64 v[4:5], v[104:105], v[46:47]
	v_add_f64 v[146:147], v[142:143], v[144:145]
	ds_read_b128 v[142:145], v1 offset:1120
	v_fma_f64 v[4:5], v[102:103], v[48:49], -v[4:5]
	v_add_f64 v[2:3], v[2:3], v[4:5]
	v_mul_f64 v[4:5], v[108:109], v[42:43]
	v_fma_f64 v[4:5], v[106:107], v[44:45], -v[4:5]
	s_waitcnt vmcnt(38) lgkmcnt(1)
	v_mul_f64 v[148:149], v[138:139], v[78:79]
	v_add_f64 v[2:3], v[2:3], v[4:5]
	v_mul_f64 v[4:5], v[112:113], v[54:55]
	s_waitcnt vmcnt(36)
	v_fmac_f64_e32 v[148:149], v[140:141], v[80:81]
	v_fma_f64 v[4:5], v[110:111], v[56:57], -v[4:5]
	v_add_f64 v[150:151], v[146:147], v[148:149]
	ds_read_b128 v[146:149], v1 offset:1136
	s_waitcnt lgkmcnt(1)
	v_mul_f64 v[152:153], v[142:143], v[74:75]
	v_add_f64 v[2:3], v[2:3], v[4:5]
	v_mul_f64 v[4:5], v[116:117], v[50:51]
	v_fmac_f64_e32 v[152:153], v[144:145], v[76:77]
	v_fma_f64 v[4:5], v[114:115], v[52:53], -v[4:5]
	v_add_f64 v[154:155], v[150:151], v[152:153]
	ds_read_b128 v[150:153], v1 offset:1152
	v_add_f64 v[2:3], v[2:3], v[4:5]
	v_mul_f64 v[4:5], v[124:125], v[62:63]
	v_fma_f64 v[4:5], v[122:123], v[64:65], -v[4:5]
	v_add_f64 v[2:3], v[2:3], v[4:5]
	v_mul_f64 v[4:5], v[128:129], v[58:59]
	s_waitcnt vmcnt(30) lgkmcnt(1)
	v_mul_f64 v[156:157], v[146:147], v[86:87]
	v_fma_f64 v[4:5], v[126:127], v[60:61], -v[4:5]
	s_waitcnt vmcnt(28)
	v_fmac_f64_e32 v[156:157], v[148:149], v[88:89]
	v_add_f64 v[2:3], v[2:3], v[4:5]
	v_mul_f64 v[4:5], v[132:133], v[70:71]
	v_add_f64 v[158:159], v[154:155], v[156:157]
	ds_read_b128 v[154:157], v1 offset:1168
	s_waitcnt lgkmcnt(1)
	v_mul_f64 v[160:161], v[150:151], v[82:83]
	v_fma_f64 v[4:5], v[130:131], v[72:73], -v[4:5]
	v_fmac_f64_e32 v[160:161], v[152:153], v[84:85]
	v_add_f64 v[2:3], v[2:3], v[4:5]
	v_mul_f64 v[4:5], v[136:137], v[66:67]
	v_add_f64 v[162:163], v[158:159], v[160:161]
	ds_read_b128 v[158:161], v1 offset:1184
	v_fma_f64 v[4:5], v[134:135], v[68:69], -v[4:5]
	v_add_f64 v[2:3], v[2:3], v[4:5]
	v_mul_f64 v[4:5], v[140:141], v[78:79]
	v_fma_f64 v[4:5], v[138:139], v[80:81], -v[4:5]
	s_waitcnt vmcnt(22) lgkmcnt(1)
	v_mul_f64 v[164:165], v[154:155], v[94:95]
	v_add_f64 v[2:3], v[2:3], v[4:5]
	v_mul_f64 v[4:5], v[144:145], v[74:75]
	s_waitcnt vmcnt(20)
	v_fmac_f64_e32 v[164:165], v[156:157], v[96:97]
	v_fma_f64 v[4:5], v[142:143], v[76:77], -v[4:5]
	v_add_f64 v[166:167], v[162:163], v[164:165]
	ds_read_b128 v[162:165], v1 offset:1200
	s_waitcnt lgkmcnt(1)
	v_mul_f64 v[168:169], v[158:159], v[90:91]
	v_add_f64 v[2:3], v[2:3], v[4:5]
	v_mul_f64 v[4:5], v[148:149], v[86:87]
	v_fmac_f64_e32 v[168:169], v[160:161], v[92:93]
	v_fma_f64 v[4:5], v[146:147], v[88:89], -v[4:5]
	v_add_f64 v[170:171], v[166:167], v[168:169]
	ds_read_b128 v[166:169], v1 offset:1216
	v_add_f64 v[2:3], v[2:3], v[4:5]
	v_mul_f64 v[4:5], v[152:153], v[82:83]
	v_fma_f64 v[4:5], v[150:151], v[84:85], -v[4:5]
	v_add_f64 v[2:3], v[2:3], v[4:5]
	v_mul_f64 v[4:5], v[156:157], v[94:95]
	s_waitcnt vmcnt(14) lgkmcnt(1)
	v_mul_f64 v[172:173], v[162:163], v[184:185]
	v_fma_f64 v[4:5], v[154:155], v[96:97], -v[4:5]
	s_waitcnt vmcnt(12)
	v_fmac_f64_e32 v[172:173], v[164:165], v[186:187]
	v_add_f64 v[2:3], v[2:3], v[4:5]
	v_mul_f64 v[4:5], v[160:161], v[90:91]
	v_add_f64 v[174:175], v[170:171], v[172:173]
	ds_read_b128 v[170:173], v1 offset:1232
	s_waitcnt lgkmcnt(1)
	v_mul_f64 v[176:177], v[166:167], v[118:119]
	v_fma_f64 v[4:5], v[158:159], v[92:93], -v[4:5]
	v_fmac_f64_e32 v[176:177], v[168:169], v[182:183]
	v_add_f64 v[2:3], v[2:3], v[4:5]
	v_mul_f64 v[4:5], v[164:165], v[184:185]
	v_add_f64 v[204:205], v[174:175], v[176:177]
	ds_read_b128 v[174:177], v1 offset:1248
	v_fma_f64 v[4:5], v[162:163], v[186:187], -v[4:5]
	v_add_f64 v[2:3], v[2:3], v[4:5]
	v_mul_f64 v[4:5], v[168:169], v[118:119]
	ds_read_b128 v[178:181], v1 offset:1264
	v_fma_f64 v[4:5], v[166:167], v[182:183], -v[4:5]
	v_add_f64 v[2:3], v[2:3], v[4:5]
	s_waitcnt vmcnt(6) lgkmcnt(2)
	v_mul_f64 v[4:5], v[172:173], v[192:193]
	v_mul_f64 v[206:207], v[170:171], v[192:193]
	s_waitcnt vmcnt(4)
	v_fma_f64 v[4:5], v[170:171], v[198:199], -v[4:5]
	v_fmac_f64_e32 v[206:207], v[172:173], v[198:199]
	v_add_f64 v[2:3], v[2:3], v[4:5]
	s_waitcnt lgkmcnt(1)
	v_mul_f64 v[4:5], v[176:177], v[188:189]
	v_add_f64 v[204:205], v[204:205], v[206:207]
	v_mul_f64 v[206:207], v[174:175], v[188:189]
	v_fma_f64 v[4:5], v[174:175], v[190:191], -v[4:5]
	v_fmac_f64_e32 v[206:207], v[176:177], v[190:191]
	v_add_f64 v[2:3], v[2:3], v[4:5]
	s_waitcnt vmcnt(2) lgkmcnt(0)
	v_mul_f64 v[4:5], v[180:181], v[200:201]
	v_add_f64 v[204:205], v[204:205], v[206:207]
	v_mul_f64 v[206:207], v[178:179], v[200:201]
	s_waitcnt vmcnt(0)
	v_fma_f64 v[4:5], v[178:179], v[202:203], -v[4:5]
	v_fmac_f64_e32 v[206:207], v[180:181], v[202:203]
	v_add_f64 v[2:3], v[2:3], v[4:5]
	v_add_f64 v[204:205], v[204:205], v[206:207]
	v_add_f64 v[2:3], v[20:21], -v[2:3]
	v_add_f64 v[4:5], v[18:19], -v[204:205]
	buffer_store_dword v3, off, s[0:3], 0 offset:260
	buffer_store_dword v2, off, s[0:3], 0 offset:256
	buffer_store_dword v5, off, s[0:3], 0 offset:268
	buffer_store_dword v4, off, s[0:3], 0 offset:264
	s_and_saveexec_b64 s[4:5], vcc
	s_cbranch_execz .LBB103_225
; %bb.224:
	v_accvgpr_read_b32 v1, a105
	buffer_load_dword v2, v1, s[0:3], 0 offen
	buffer_load_dword v3, v1, s[0:3], 0 offen offset:4
	buffer_load_dword v4, v1, s[0:3], 0 offen offset:8
	;; [unrolled: 1-line block ×3, first 2 shown]
	v_mov_b32_e32 v1, 0
	v_accvgpr_read_b32 v6, a119
	buffer_store_dword v1, off, s[0:3], 0 offset:240
	buffer_store_dword v1, off, s[0:3], 0 offset:244
	;; [unrolled: 1-line block ×4, first 2 shown]
	s_waitcnt vmcnt(4)
	ds_write_b128 v6, v[2:5]
.LBB103_225:
	s_or_b64 exec, exec, s[4:5]
	s_waitcnt lgkmcnt(0)
	; wave barrier
	s_waitcnt lgkmcnt(0)
	buffer_load_dword v22, off, s[0:3], 0 offset:256
	buffer_load_dword v23, off, s[0:3], 0 offset:260
	;; [unrolled: 1-line block ×64, first 2 shown]
	v_mov_b32_e32 v1, 0
	ds_read_b128 v[18:21], v1 offset:880
	ds_read_b128 v[14:17], v1 offset:896
	;; [unrolled: 1-line block ×5, first 2 shown]
	v_cmp_lt_u32_e32 vcc, 13, v0
	s_waitcnt vmcnt(60) lgkmcnt(4)
	v_mul_f64 v[86:87], v[18:19], v[26:27]
	v_fmac_f64_e32 v[86:87], v[20:21], v[22:23]
	v_add_f64 v[86:87], v[86:87], 0
	v_mul_f64 v[20:21], v[20:21], v[26:27]
	s_waitcnt vmcnt(56) lgkmcnt(3)
	v_mul_f64 v[88:89], v[14:15], v[28:29]
	v_fmac_f64_e32 v[88:89], v[16:17], v[24:25]
	s_waitcnt vmcnt(54) lgkmcnt(2)
	v_mul_f64 v[90:91], v[10:11], v[30:31]
	v_add_f64 v[86:87], v[86:87], v[88:89]
	v_fma_f64 v[18:19], v[18:19], v[22:23], -v[20:21]
	v_mul_f64 v[16:17], v[16:17], v[28:29]
	s_waitcnt vmcnt(50) lgkmcnt(1)
	v_mul_f64 v[102:103], v[6:7], v[40:41]
	v_add_f64 v[18:19], v[18:19], 0
	s_waitcnt vmcnt(48)
	v_fmac_f64_e32 v[90:91], v[12:13], v[44:45]
	v_add_f64 v[104:105], v[86:87], v[90:91]
	buffer_load_dword v87, off, s[0:3], 0 offset:524
	buffer_load_dword v86, off, s[0:3], 0 offset:520
	;; [unrolled: 1-line block ×40, first 2 shown]
	s_waitcnt vmcnt(62)
	v_fmac_f64_e32 v[102:103], v[8:9], v[42:43]
	v_add_f64 v[106:107], v[104:105], v[102:103]
	ds_read_b128 v[102:105], v1 offset:960
	s_waitcnt lgkmcnt(1)
	v_mul_f64 v[108:109], v[2:3], v[36:37]
	v_fmac_f64_e32 v[108:109], v[4:5], v[38:39]
	v_add_f64 v[110:111], v[106:107], v[108:109]
	ds_read_b128 v[106:109], v1 offset:976
	s_waitcnt lgkmcnt(1)
	v_mul_f64 v[112:113], v[102:103], v[50:51]
	v_fmac_f64_e32 v[112:113], v[104:105], v[52:53]
	v_add_f64 v[114:115], v[110:111], v[112:113]
	ds_read_b128 v[110:113], v1 offset:992
	s_waitcnt lgkmcnt(1)
	v_mul_f64 v[116:117], v[106:107], v[46:47]
	v_fmac_f64_e32 v[116:117], v[108:109], v[48:49]
	v_add_f64 v[122:123], v[114:115], v[116:117]
	ds_read_b128 v[114:117], v1 offset:1008
	s_waitcnt lgkmcnt(1)
	v_mul_f64 v[124:125], v[110:111], v[58:59]
	v_fmac_f64_e32 v[124:125], v[112:113], v[60:61]
	v_add_f64 v[126:127], v[122:123], v[124:125]
	ds_read_b128 v[122:125], v1 offset:1024
	s_waitcnt lgkmcnt(1)
	v_mul_f64 v[128:129], v[114:115], v[54:55]
	v_fmac_f64_e32 v[128:129], v[116:117], v[56:57]
	v_add_f64 v[130:131], v[126:127], v[128:129]
	ds_read_b128 v[126:129], v1 offset:1040
	s_waitcnt vmcnt(58) lgkmcnt(1)
	v_mul_f64 v[132:133], v[122:123], v[66:67]
	s_waitcnt vmcnt(56)
	v_fmac_f64_e32 v[132:133], v[124:125], v[68:69]
	v_add_f64 v[134:135], v[130:131], v[132:133]
	ds_read_b128 v[130:133], v1 offset:1056
	s_waitcnt lgkmcnt(1)
	v_mul_f64 v[136:137], v[126:127], v[62:63]
	v_fmac_f64_e32 v[136:137], v[128:129], v[64:65]
	v_add_f64 v[138:139], v[134:135], v[136:137]
	ds_read_b128 v[134:137], v1 offset:1072
	s_waitcnt vmcnt(50) lgkmcnt(1)
	v_mul_f64 v[140:141], v[130:131], v[74:75]
	s_waitcnt vmcnt(48)
	v_fmac_f64_e32 v[140:141], v[132:133], v[76:77]
	v_add_f64 v[142:143], v[138:139], v[140:141]
	ds_read_b128 v[138:141], v1 offset:1088
	v_fma_f64 v[14:15], v[14:15], v[24:25], -v[16:17]
	v_mul_f64 v[12:13], v[12:13], v[30:31]
	v_add_f64 v[14:15], v[18:19], v[14:15]
	v_fma_f64 v[10:11], v[10:11], v[44:45], -v[12:13]
	v_mul_f64 v[8:9], v[8:9], v[40:41]
	s_waitcnt lgkmcnt(1)
	v_mul_f64 v[144:145], v[134:135], v[70:71]
	v_add_f64 v[10:11], v[14:15], v[10:11]
	v_fma_f64 v[6:7], v[6:7], v[42:43], -v[8:9]
	v_mul_f64 v[4:5], v[4:5], v[36:37]
	v_fmac_f64_e32 v[144:145], v[136:137], v[72:73]
	v_add_f64 v[6:7], v[10:11], v[6:7]
	v_fma_f64 v[2:3], v[2:3], v[38:39], -v[4:5]
	v_mul_f64 v[4:5], v[104:105], v[50:51]
	v_add_f64 v[146:147], v[142:143], v[144:145]
	ds_read_b128 v[142:145], v1 offset:1104
	s_waitcnt vmcnt(42) lgkmcnt(1)
	v_mul_f64 v[148:149], v[138:139], v[82:83]
	v_add_f64 v[2:3], v[6:7], v[2:3]
	v_fma_f64 v[4:5], v[102:103], v[52:53], -v[4:5]
	s_waitcnt vmcnt(40)
	v_fmac_f64_e32 v[148:149], v[140:141], v[84:85]
	v_add_f64 v[2:3], v[2:3], v[4:5]
	v_mul_f64 v[4:5], v[108:109], v[46:47]
	v_add_f64 v[150:151], v[146:147], v[148:149]
	ds_read_b128 v[146:149], v1 offset:1120
	v_fma_f64 v[4:5], v[106:107], v[48:49], -v[4:5]
	v_add_f64 v[2:3], v[2:3], v[4:5]
	v_mul_f64 v[4:5], v[112:113], v[58:59]
	v_fma_f64 v[4:5], v[110:111], v[60:61], -v[4:5]
	s_waitcnt lgkmcnt(1)
	v_mul_f64 v[152:153], v[142:143], v[78:79]
	v_add_f64 v[2:3], v[2:3], v[4:5]
	v_mul_f64 v[4:5], v[116:117], v[54:55]
	v_fmac_f64_e32 v[152:153], v[144:145], v[80:81]
	v_fma_f64 v[4:5], v[114:115], v[56:57], -v[4:5]
	v_add_f64 v[154:155], v[150:151], v[152:153]
	ds_read_b128 v[150:153], v1 offset:1136
	s_waitcnt vmcnt(34) lgkmcnt(1)
	v_mul_f64 v[156:157], v[146:147], v[90:91]
	v_add_f64 v[2:3], v[2:3], v[4:5]
	v_mul_f64 v[4:5], v[124:125], v[66:67]
	s_waitcnt vmcnt(32)
	v_fmac_f64_e32 v[156:157], v[148:149], v[92:93]
	v_fma_f64 v[4:5], v[122:123], v[68:69], -v[4:5]
	v_add_f64 v[158:159], v[154:155], v[156:157]
	ds_read_b128 v[154:157], v1 offset:1152
	v_add_f64 v[2:3], v[2:3], v[4:5]
	v_mul_f64 v[4:5], v[128:129], v[62:63]
	v_fma_f64 v[4:5], v[126:127], v[64:65], -v[4:5]
	v_add_f64 v[2:3], v[2:3], v[4:5]
	v_mul_f64 v[4:5], v[132:133], v[74:75]
	s_waitcnt lgkmcnt(1)
	v_mul_f64 v[160:161], v[150:151], v[86:87]
	v_fma_f64 v[4:5], v[130:131], v[76:77], -v[4:5]
	v_fmac_f64_e32 v[160:161], v[152:153], v[88:89]
	v_add_f64 v[2:3], v[2:3], v[4:5]
	v_mul_f64 v[4:5], v[136:137], v[70:71]
	v_add_f64 v[162:163], v[158:159], v[160:161]
	ds_read_b128 v[158:161], v1 offset:1168
	s_waitcnt vmcnt(26) lgkmcnt(1)
	v_mul_f64 v[164:165], v[154:155], v[98:99]
	v_fma_f64 v[4:5], v[134:135], v[72:73], -v[4:5]
	s_waitcnt vmcnt(24)
	v_fmac_f64_e32 v[164:165], v[156:157], v[100:101]
	v_add_f64 v[2:3], v[2:3], v[4:5]
	v_mul_f64 v[4:5], v[140:141], v[82:83]
	v_add_f64 v[166:167], v[162:163], v[164:165]
	ds_read_b128 v[162:165], v1 offset:1184
	v_fma_f64 v[4:5], v[138:139], v[84:85], -v[4:5]
	v_add_f64 v[2:3], v[2:3], v[4:5]
	v_mul_f64 v[4:5], v[144:145], v[78:79]
	v_fma_f64 v[4:5], v[142:143], v[80:81], -v[4:5]
	s_waitcnt lgkmcnt(1)
	v_mul_f64 v[168:169], v[158:159], v[94:95]
	v_add_f64 v[2:3], v[2:3], v[4:5]
	v_mul_f64 v[4:5], v[148:149], v[90:91]
	v_fmac_f64_e32 v[168:169], v[160:161], v[96:97]
	v_fma_f64 v[4:5], v[146:147], v[92:93], -v[4:5]
	v_add_f64 v[170:171], v[166:167], v[168:169]
	ds_read_b128 v[166:169], v1 offset:1200
	s_waitcnt vmcnt(18) lgkmcnt(1)
	v_mul_f64 v[172:173], v[162:163], v[188:189]
	v_add_f64 v[2:3], v[2:3], v[4:5]
	v_mul_f64 v[4:5], v[152:153], v[86:87]
	s_waitcnt vmcnt(16)
	v_fmac_f64_e32 v[172:173], v[164:165], v[190:191]
	v_fma_f64 v[4:5], v[150:151], v[88:89], -v[4:5]
	v_add_f64 v[174:175], v[170:171], v[172:173]
	ds_read_b128 v[170:173], v1 offset:1216
	v_add_f64 v[2:3], v[2:3], v[4:5]
	v_mul_f64 v[4:5], v[156:157], v[98:99]
	v_fma_f64 v[4:5], v[154:155], v[100:101], -v[4:5]
	v_add_f64 v[2:3], v[2:3], v[4:5]
	v_mul_f64 v[4:5], v[160:161], v[94:95]
	s_waitcnt lgkmcnt(1)
	v_mul_f64 v[176:177], v[166:167], v[118:119]
	v_fma_f64 v[4:5], v[158:159], v[96:97], -v[4:5]
	v_fmac_f64_e32 v[176:177], v[168:169], v[186:187]
	v_add_f64 v[2:3], v[2:3], v[4:5]
	v_mul_f64 v[4:5], v[164:165], v[188:189]
	v_add_f64 v[178:179], v[174:175], v[176:177]
	ds_read_b128 v[174:177], v1 offset:1232
	s_waitcnt vmcnt(10) lgkmcnt(1)
	v_mul_f64 v[180:181], v[170:171], v[200:201]
	v_fma_f64 v[4:5], v[162:163], v[190:191], -v[4:5]
	s_waitcnt vmcnt(8)
	v_fmac_f64_e32 v[180:181], v[172:173], v[202:203]
	v_add_f64 v[2:3], v[2:3], v[4:5]
	v_mul_f64 v[4:5], v[168:169], v[118:119]
	v_add_f64 v[212:213], v[178:179], v[180:181]
	ds_read_b128 v[178:181], v1 offset:1248
	ds_read_b128 v[182:185], v1 offset:1264
	v_fma_f64 v[4:5], v[166:167], v[186:187], -v[4:5]
	v_add_f64 v[2:3], v[2:3], v[4:5]
	v_mul_f64 v[4:5], v[172:173], v[200:201]
	v_fma_f64 v[4:5], v[170:171], v[202:203], -v[4:5]
	v_add_f64 v[2:3], v[2:3], v[4:5]
	s_waitcnt lgkmcnt(2)
	v_mul_f64 v[4:5], v[176:177], v[192:193]
	v_mul_f64 v[214:215], v[174:175], v[192:193]
	v_fma_f64 v[4:5], v[174:175], v[198:199], -v[4:5]
	v_fmac_f64_e32 v[214:215], v[176:177], v[198:199]
	v_add_f64 v[2:3], v[2:3], v[4:5]
	s_waitcnt vmcnt(2) lgkmcnt(1)
	v_mul_f64 v[4:5], v[180:181], v[208:209]
	v_add_f64 v[212:213], v[212:213], v[214:215]
	v_mul_f64 v[214:215], v[178:179], v[208:209]
	s_waitcnt vmcnt(0)
	v_fma_f64 v[4:5], v[178:179], v[210:211], -v[4:5]
	v_fmac_f64_e32 v[214:215], v[180:181], v[210:211]
	v_add_f64 v[2:3], v[2:3], v[4:5]
	s_waitcnt lgkmcnt(0)
	v_mul_f64 v[4:5], v[184:185], v[204:205]
	v_add_f64 v[212:213], v[212:213], v[214:215]
	v_mul_f64 v[214:215], v[182:183], v[204:205]
	v_fma_f64 v[4:5], v[182:183], v[206:207], -v[4:5]
	v_fmac_f64_e32 v[214:215], v[184:185], v[206:207]
	v_add_f64 v[2:3], v[2:3], v[4:5]
	v_add_f64 v[212:213], v[212:213], v[214:215]
	v_add_f64 v[2:3], v[34:35], -v[2:3]
	v_add_f64 v[4:5], v[32:33], -v[212:213]
	buffer_store_dword v3, off, s[0:3], 0 offset:244
	buffer_store_dword v2, off, s[0:3], 0 offset:240
	;; [unrolled: 1-line block ×4, first 2 shown]
	s_and_saveexec_b64 s[4:5], vcc
	s_cbranch_execz .LBB103_227
; %bb.226:
	v_accvgpr_read_b32 v5, a106
	buffer_load_dword v2, v5, s[0:3], 0 offen
	buffer_load_dword v3, v5, s[0:3], 0 offen offset:4
	buffer_load_dword v4, v5, s[0:3], 0 offen offset:8
	s_nop 0
	buffer_load_dword v5, v5, s[0:3], 0 offen offset:12
	v_accvgpr_read_b32 v6, a119
	buffer_store_dword v1, off, s[0:3], 0 offset:224
	buffer_store_dword v1, off, s[0:3], 0 offset:228
	;; [unrolled: 1-line block ×4, first 2 shown]
	s_waitcnt vmcnt(4)
	ds_write_b128 v6, v[2:5]
.LBB103_227:
	s_or_b64 exec, exec, s[4:5]
	s_waitcnt lgkmcnt(0)
	; wave barrier
	s_waitcnt lgkmcnt(0)
	buffer_load_dword v26, off, s[0:3], 0 offset:240
	buffer_load_dword v27, off, s[0:3], 0 offset:244
	;; [unrolled: 1-line block ×24, first 2 shown]
	ds_read_b128 v[22:25], v1 offset:864
	ds_read_b128 v[18:21], v1 offset:880
	;; [unrolled: 1-line block ×6, first 2 shown]
	buffer_load_dword v51, off, s[0:3], 0 offset:348
	buffer_load_dword v50, off, s[0:3], 0 offset:344
	;; [unrolled: 1-line block ×40, first 2 shown]
	v_cmp_lt_u32_e32 vcc, 12, v0
	s_waitcnt vmcnt(34) lgkmcnt(0)
	v_mul_f64 v[124:125], v[14:15], v[54:55]
	s_waitcnt vmcnt(32)
	v_fmac_f64_e32 v[124:125], v[16:17], v[56:57]
	v_mul_f64 v[90:91], v[22:23], v[28:29]
	v_fmac_f64_e32 v[90:91], v[24:25], v[26:27]
	v_mul_f64 v[92:93], v[18:19], v[30:31]
	v_add_f64 v[90:91], v[90:91], 0
	v_mul_f64 v[94:95], v[10:11], v[32:33]
	v_mul_f64 v[24:25], v[24:25], v[28:29]
	;; [unrolled: 1-line block ×3, first 2 shown]
	v_fma_f64 v[22:23], v[22:23], v[26:27], -v[24:25]
	v_add_f64 v[22:23], v[22:23], 0
	v_mul_f64 v[96:97], v[6:7], v[42:43]
	v_fmac_f64_e32 v[92:93], v[20:21], v[48:49]
	v_add_f64 v[90:91], v[90:91], v[92:93]
	v_fmac_f64_e32 v[94:95], v[12:13], v[46:47]
	v_add_f64 v[90:91], v[90:91], v[94:95]
	;; [unrolled: 2-line block ×3, first 2 shown]
	buffer_load_dword v91, off, s[0:3], 0 offset:508
	buffer_load_dword v90, off, s[0:3], 0 offset:504
	;; [unrolled: 1-line block ×40, first 2 shown]
	v_fmac_f64_e32 v[114:115], v[4:5], v[40:41]
	v_add_f64 v[122:123], v[116:117], v[114:115]
	ds_read_b128 v[114:117], v1 offset:960
	buffer_load_dword v217, off, s[0:3], 0 offset:652
	buffer_load_dword v216, off, s[0:3], 0 offset:648
	buffer_load_dword v219, off, s[0:3], 0 offset:644
	buffer_load_dword v218, off, s[0:3], 0 offset:640
	v_add_f64 v[126:127], v[122:123], v[124:125]
	ds_read_b128 v[122:125], v1 offset:976
	v_mul_f64 v[20:21], v[20:21], v[30:31]
	s_waitcnt lgkmcnt(1)
	v_mul_f64 v[128:129], v[114:115], v[50:51]
	v_fmac_f64_e32 v[128:129], v[116:117], v[52:53]
	v_add_f64 v[130:131], v[126:127], v[128:129]
	ds_read_b128 v[126:129], v1 offset:992
	s_waitcnt vmcnt(62) lgkmcnt(1)
	v_mul_f64 v[132:133], v[122:123], v[62:63]
	v_fmac_f64_e32 v[132:133], v[124:125], v[64:65]
	v_add_f64 v[134:135], v[130:131], v[132:133]
	ds_read_b128 v[130:133], v1 offset:1008
	s_waitcnt lgkmcnt(1)
	v_mul_f64 v[136:137], v[126:127], v[58:59]
	v_fmac_f64_e32 v[136:137], v[128:129], v[60:61]
	v_add_f64 v[138:139], v[134:135], v[136:137]
	ds_read_b128 v[134:137], v1 offset:1024
	s_waitcnt lgkmcnt(1)
	v_mul_f64 v[140:141], v[130:131], v[70:71]
	s_waitcnt vmcnt(60)
	v_fmac_f64_e32 v[140:141], v[132:133], v[72:73]
	v_add_f64 v[142:143], v[138:139], v[140:141]
	ds_read_b128 v[138:141], v1 offset:1040
	s_waitcnt lgkmcnt(1)
	v_mul_f64 v[144:145], v[134:135], v[66:67]
	v_fmac_f64_e32 v[144:145], v[136:137], v[68:69]
	v_add_f64 v[146:147], v[142:143], v[144:145]
	ds_read_b128 v[142:145], v1 offset:1056
	s_waitcnt vmcnt(54) lgkmcnt(1)
	v_mul_f64 v[148:149], v[138:139], v[78:79]
	s_waitcnt vmcnt(52)
	v_fmac_f64_e32 v[148:149], v[140:141], v[80:81]
	v_add_f64 v[150:151], v[146:147], v[148:149]
	ds_read_b128 v[146:149], v1 offset:1072
	s_waitcnt lgkmcnt(1)
	v_mul_f64 v[152:153], v[142:143], v[74:75]
	v_fmac_f64_e32 v[152:153], v[144:145], v[76:77]
	v_fma_f64 v[18:19], v[18:19], v[48:49], -v[20:21]
	v_mul_f64 v[12:13], v[12:13], v[32:33]
	v_add_f64 v[154:155], v[150:151], v[152:153]
	ds_read_b128 v[150:153], v1 offset:1088
	v_add_f64 v[18:19], v[22:23], v[18:19]
	v_fma_f64 v[10:11], v[10:11], v[46:47], -v[12:13]
	v_mul_f64 v[8:9], v[8:9], v[42:43]
	v_add_f64 v[10:11], v[18:19], v[10:11]
	v_fma_f64 v[6:7], v[6:7], v[44:45], -v[8:9]
	v_mul_f64 v[4:5], v[4:5], v[38:39]
	;; [unrolled: 3-line block ×3, first 2 shown]
	s_waitcnt vmcnt(46) lgkmcnt(1)
	v_mul_f64 v[156:157], v[146:147], v[86:87]
	v_add_f64 v[2:3], v[6:7], v[2:3]
	v_fma_f64 v[4:5], v[14:15], v[56:57], -v[4:5]
	s_waitcnt vmcnt(44)
	v_fmac_f64_e32 v[156:157], v[148:149], v[88:89]
	v_add_f64 v[2:3], v[2:3], v[4:5]
	v_mul_f64 v[4:5], v[116:117], v[50:51]
	v_add_f64 v[158:159], v[154:155], v[156:157]
	ds_read_b128 v[154:157], v1 offset:1104
	s_waitcnt lgkmcnt(1)
	v_mul_f64 v[160:161], v[150:151], v[82:83]
	v_fma_f64 v[4:5], v[114:115], v[52:53], -v[4:5]
	v_fmac_f64_e32 v[160:161], v[152:153], v[84:85]
	v_add_f64 v[2:3], v[2:3], v[4:5]
	v_mul_f64 v[4:5], v[124:125], v[62:63]
	v_add_f64 v[162:163], v[158:159], v[160:161]
	ds_read_b128 v[158:161], v1 offset:1120
	v_fma_f64 v[4:5], v[122:123], v[64:65], -v[4:5]
	v_add_f64 v[2:3], v[2:3], v[4:5]
	v_mul_f64 v[4:5], v[128:129], v[58:59]
	v_fma_f64 v[4:5], v[126:127], v[60:61], -v[4:5]
	s_waitcnt vmcnt(38) lgkmcnt(1)
	v_mul_f64 v[164:165], v[154:155], v[94:95]
	v_add_f64 v[2:3], v[2:3], v[4:5]
	v_mul_f64 v[4:5], v[132:133], v[70:71]
	s_waitcnt vmcnt(36)
	v_fmac_f64_e32 v[164:165], v[156:157], v[96:97]
	v_fma_f64 v[4:5], v[130:131], v[72:73], -v[4:5]
	v_add_f64 v[166:167], v[162:163], v[164:165]
	ds_read_b128 v[162:165], v1 offset:1136
	s_waitcnt lgkmcnt(1)
	v_mul_f64 v[168:169], v[158:159], v[90:91]
	v_add_f64 v[2:3], v[2:3], v[4:5]
	v_mul_f64 v[4:5], v[136:137], v[66:67]
	v_fmac_f64_e32 v[168:169], v[160:161], v[92:93]
	v_fma_f64 v[4:5], v[134:135], v[68:69], -v[4:5]
	v_add_f64 v[170:171], v[166:167], v[168:169]
	ds_read_b128 v[166:169], v1 offset:1152
	v_add_f64 v[2:3], v[2:3], v[4:5]
	v_mul_f64 v[4:5], v[140:141], v[78:79]
	v_fma_f64 v[4:5], v[138:139], v[80:81], -v[4:5]
	v_add_f64 v[2:3], v[2:3], v[4:5]
	v_mul_f64 v[4:5], v[144:145], v[74:75]
	s_waitcnt vmcnt(30) lgkmcnt(1)
	v_mul_f64 v[172:173], v[162:163], v[102:103]
	v_fma_f64 v[4:5], v[142:143], v[76:77], -v[4:5]
	s_waitcnt vmcnt(28)
	v_fmac_f64_e32 v[172:173], v[164:165], v[104:105]
	v_add_f64 v[2:3], v[2:3], v[4:5]
	v_mul_f64 v[4:5], v[148:149], v[86:87]
	v_add_f64 v[174:175], v[170:171], v[172:173]
	ds_read_b128 v[170:173], v1 offset:1168
	s_waitcnt lgkmcnt(1)
	v_mul_f64 v[176:177], v[166:167], v[98:99]
	v_fma_f64 v[4:5], v[146:147], v[88:89], -v[4:5]
	v_fmac_f64_e32 v[176:177], v[168:169], v[100:101]
	v_add_f64 v[2:3], v[2:3], v[4:5]
	v_mul_f64 v[4:5], v[152:153], v[82:83]
	v_add_f64 v[178:179], v[174:175], v[176:177]
	ds_read_b128 v[174:177], v1 offset:1184
	v_fma_f64 v[4:5], v[150:151], v[84:85], -v[4:5]
	v_add_f64 v[2:3], v[2:3], v[4:5]
	v_mul_f64 v[4:5], v[156:157], v[94:95]
	v_fma_f64 v[4:5], v[154:155], v[96:97], -v[4:5]
	s_waitcnt vmcnt(22) lgkmcnt(1)
	v_mul_f64 v[180:181], v[170:171], v[110:111]
	v_add_f64 v[2:3], v[2:3], v[4:5]
	v_mul_f64 v[4:5], v[160:161], v[90:91]
	s_waitcnt vmcnt(20)
	v_fmac_f64_e32 v[180:181], v[172:173], v[112:113]
	v_fma_f64 v[4:5], v[158:159], v[92:93], -v[4:5]
	v_add_f64 v[182:183], v[178:179], v[180:181]
	ds_read_b128 v[178:181], v1 offset:1200
	s_waitcnt lgkmcnt(1)
	v_mul_f64 v[184:185], v[174:175], v[106:107]
	v_add_f64 v[2:3], v[2:3], v[4:5]
	v_mul_f64 v[4:5], v[164:165], v[102:103]
	v_fmac_f64_e32 v[184:185], v[176:177], v[108:109]
	v_fma_f64 v[4:5], v[162:163], v[104:105], -v[4:5]
	v_add_f64 v[186:187], v[182:183], v[184:185]
	ds_read_b128 v[182:185], v1 offset:1216
	v_add_f64 v[2:3], v[2:3], v[4:5]
	v_mul_f64 v[4:5], v[168:169], v[98:99]
	v_fma_f64 v[4:5], v[166:167], v[100:101], -v[4:5]
	v_add_f64 v[2:3], v[2:3], v[4:5]
	v_mul_f64 v[4:5], v[172:173], v[110:111]
	s_waitcnt vmcnt(14) lgkmcnt(1)
	v_mul_f64 v[188:189], v[178:179], v[192:193]
	v_fma_f64 v[4:5], v[170:171], v[112:113], -v[4:5]
	s_waitcnt vmcnt(12)
	v_fmac_f64_e32 v[188:189], v[180:181], v[206:207]
	v_add_f64 v[2:3], v[2:3], v[4:5]
	v_mul_f64 v[4:5], v[176:177], v[106:107]
	v_add_f64 v[198:199], v[186:187], v[188:189]
	ds_read_b128 v[186:189], v1 offset:1232
	s_waitcnt lgkmcnt(1)
	v_mul_f64 v[200:201], v[182:183], v[118:119]
	v_fma_f64 v[4:5], v[174:175], v[108:109], -v[4:5]
	v_fmac_f64_e32 v[200:201], v[184:185], v[190:191]
	v_add_f64 v[2:3], v[2:3], v[4:5]
	v_mul_f64 v[4:5], v[180:181], v[192:193]
	v_add_f64 v[220:221], v[198:199], v[200:201]
	ds_read_b128 v[198:201], v1 offset:1248
	v_fma_f64 v[4:5], v[178:179], v[206:207], -v[4:5]
	v_add_f64 v[2:3], v[2:3], v[4:5]
	v_mul_f64 v[4:5], v[184:185], v[118:119]
	ds_read_b128 v[202:205], v1 offset:1264
	v_fma_f64 v[4:5], v[182:183], v[190:191], -v[4:5]
	v_add_f64 v[2:3], v[2:3], v[4:5]
	s_waitcnt vmcnt(6) lgkmcnt(2)
	v_mul_f64 v[4:5], v[188:189], v[212:213]
	v_mul_f64 v[222:223], v[186:187], v[212:213]
	s_waitcnt vmcnt(4)
	v_fma_f64 v[4:5], v[186:187], v[214:215], -v[4:5]
	v_fmac_f64_e32 v[222:223], v[188:189], v[214:215]
	v_add_f64 v[2:3], v[2:3], v[4:5]
	s_waitcnt lgkmcnt(1)
	v_mul_f64 v[4:5], v[200:201], v[208:209]
	v_add_f64 v[220:221], v[220:221], v[222:223]
	v_mul_f64 v[222:223], v[198:199], v[208:209]
	v_fma_f64 v[4:5], v[198:199], v[210:211], -v[4:5]
	v_fmac_f64_e32 v[222:223], v[200:201], v[210:211]
	v_add_f64 v[2:3], v[2:3], v[4:5]
	s_waitcnt vmcnt(2) lgkmcnt(0)
	v_mul_f64 v[4:5], v[204:205], v[216:217]
	v_add_f64 v[220:221], v[220:221], v[222:223]
	v_mul_f64 v[222:223], v[202:203], v[216:217]
	s_waitcnt vmcnt(0)
	v_fma_f64 v[4:5], v[202:203], v[218:219], -v[4:5]
	v_fmac_f64_e32 v[222:223], v[204:205], v[218:219]
	v_add_f64 v[2:3], v[2:3], v[4:5]
	v_add_f64 v[220:221], v[220:221], v[222:223]
	v_add_f64 v[2:3], v[36:37], -v[2:3]
	v_add_f64 v[4:5], v[34:35], -v[220:221]
	buffer_store_dword v3, off, s[0:3], 0 offset:228
	buffer_store_dword v2, off, s[0:3], 0 offset:224
	;; [unrolled: 1-line block ×4, first 2 shown]
	s_and_saveexec_b64 s[4:5], vcc
	s_cbranch_execz .LBB103_229
; %bb.228:
	v_accvgpr_read_b32 v1, a107
	buffer_load_dword v2, v1, s[0:3], 0 offen
	buffer_load_dword v3, v1, s[0:3], 0 offen offset:4
	buffer_load_dword v4, v1, s[0:3], 0 offen offset:8
	;; [unrolled: 1-line block ×3, first 2 shown]
	v_mov_b32_e32 v1, 0
	v_accvgpr_read_b32 v6, a119
	buffer_store_dword v1, off, s[0:3], 0 offset:208
	buffer_store_dword v1, off, s[0:3], 0 offset:212
	;; [unrolled: 1-line block ×4, first 2 shown]
	s_waitcnt vmcnt(4)
	ds_write_b128 v6, v[2:5]
.LBB103_229:
	s_or_b64 exec, exec, s[4:5]
	s_waitcnt lgkmcnt(0)
	; wave barrier
	s_waitcnt lgkmcnt(0)
	buffer_load_dword v30, off, s[0:3], 0 offset:224
	buffer_load_dword v31, off, s[0:3], 0 offset:228
	;; [unrolled: 1-line block ×56, first 2 shown]
	v_mov_b32_e32 v1, 0
	ds_read_b128 v[26:29], v1 offset:848
	ds_read_b128 v[22:25], v1 offset:864
	;; [unrolled: 1-line block ×7, first 2 shown]
	v_cmp_lt_u32_e32 vcc, 11, v0
	s_waitcnt vmcnt(52) lgkmcnt(6)
	v_mul_f64 v[86:87], v[26:27], v[34:35]
	v_fmac_f64_e32 v[86:87], v[28:29], v[30:31]
	v_add_f64 v[86:87], v[86:87], 0
	v_mul_f64 v[28:29], v[28:29], v[34:35]
	s_waitcnt vmcnt(48) lgkmcnt(5)
	v_mul_f64 v[88:89], v[22:23], v[36:37]
	v_fmac_f64_e32 v[88:89], v[24:25], v[32:33]
	s_waitcnt vmcnt(46) lgkmcnt(4)
	v_mul_f64 v[90:91], v[18:19], v[38:39]
	v_add_f64 v[86:87], v[86:87], v[88:89]
	s_waitcnt vmcnt(44) lgkmcnt(2)
	v_mul_f64 v[94:95], v[10:11], v[40:41]
	v_fma_f64 v[26:27], v[26:27], v[30:31], -v[28:29]
	s_waitcnt vmcnt(42)
	v_fmac_f64_e32 v[94:95], v[12:13], v[42:43]
	v_mul_f64 v[24:25], v[24:25], v[36:37]
	s_waitcnt vmcnt(40)
	v_mul_f64 v[92:93], v[14:15], v[48:49]
	v_add_f64 v[26:27], v[26:27], 0
	v_fma_f64 v[22:23], v[22:23], v[32:33], -v[24:25]
	v_add_f64 v[22:23], v[26:27], v[22:23]
	s_waitcnt vmcnt(36) lgkmcnt(1)
	v_mul_f64 v[110:111], v[6:7], v[54:55]
	v_mul_f64 v[12:13], v[12:13], v[40:41]
	s_waitcnt vmcnt(34)
	v_fmac_f64_e32 v[90:91], v[20:21], v[60:61]
	v_add_f64 v[86:87], v[86:87], v[90:91]
	s_waitcnt vmcnt(32)
	v_fmac_f64_e32 v[92:93], v[16:17], v[58:59]
	v_add_f64 v[86:87], v[86:87], v[92:93]
	v_add_f64 v[116:117], v[86:87], v[94:95]
	buffer_load_dword v87, off, s[0:3], 0 offset:460
	buffer_load_dword v86, off, s[0:3], 0 offset:456
	;; [unrolled: 1-line block ×56, first 2 shown]
	ds_read_b128 v[126:129], v1 offset:960
	ds_read_b128 v[130:133], v1 offset:976
	v_mul_f64 v[20:21], v[20:21], v[38:39]
	v_fma_f64 v[18:19], v[18:19], v[60:61], -v[20:21]
	v_mul_f64 v[16:17], v[16:17], v[48:49]
	s_waitcnt vmcnt(62)
	v_fmac_f64_e32 v[110:111], v[8:9], v[56:57]
	v_add_f64 v[18:19], v[22:23], v[18:19]
	v_fma_f64 v[14:15], v[14:15], v[58:59], -v[16:17]
	v_add_f64 v[110:111], v[116:117], v[110:111]
	s_waitcnt lgkmcnt(2)
	v_mul_f64 v[116:117], v[2:3], v[50:51]
	v_add_f64 v[14:15], v[18:19], v[14:15]
	v_fma_f64 v[10:11], v[10:11], v[42:43], -v[12:13]
	v_mul_f64 v[8:9], v[8:9], v[54:55]
	v_fmac_f64_e32 v[116:117], v[4:5], v[52:53]
	ds_read_b128 v[134:137], v1 offset:992
	ds_read_b128 v[138:141], v1 offset:1008
	v_add_f64 v[10:11], v[14:15], v[10:11]
	v_fma_f64 v[6:7], v[6:7], v[56:57], -v[8:9]
	v_mul_f64 v[4:5], v[4:5], v[50:51]
	v_add_f64 v[6:7], v[10:11], v[6:7]
	v_fma_f64 v[2:3], v[2:3], v[52:53], -v[4:5]
	s_waitcnt lgkmcnt(3)
	v_mul_f64 v[4:5], v[128:129], v[66:67]
	v_add_f64 v[110:111], v[110:111], v[116:117]
	v_mul_f64 v[116:117], v[126:127], v[66:67]
	v_add_f64 v[2:3], v[6:7], v[2:3]
	v_fma_f64 v[4:5], v[126:127], v[68:69], -v[4:5]
	v_fmac_f64_e32 v[116:117], v[128:129], v[68:69]
	v_add_f64 v[2:3], v[2:3], v[4:5]
	s_waitcnt lgkmcnt(2)
	v_mul_f64 v[4:5], v[132:133], v[62:63]
	v_add_f64 v[110:111], v[110:111], v[116:117]
	v_mul_f64 v[116:117], v[130:131], v[62:63]
	ds_read_b128 v[142:145], v1 offset:1024
	ds_read_b128 v[146:149], v1 offset:1040
	v_fma_f64 v[4:5], v[130:131], v[64:65], -v[4:5]
	v_fmac_f64_e32 v[116:117], v[132:133], v[64:65]
	v_add_f64 v[2:3], v[2:3], v[4:5]
	s_waitcnt lgkmcnt(3)
	v_mul_f64 v[4:5], v[136:137], v[74:75]
	v_add_f64 v[110:111], v[110:111], v[116:117]
	v_mul_f64 v[116:117], v[134:135], v[74:75]
	v_fma_f64 v[4:5], v[134:135], v[76:77], -v[4:5]
	v_fmac_f64_e32 v[116:117], v[136:137], v[76:77]
	v_add_f64 v[2:3], v[2:3], v[4:5]
	s_waitcnt lgkmcnt(2)
	v_mul_f64 v[4:5], v[140:141], v[70:71]
	v_add_f64 v[110:111], v[110:111], v[116:117]
	v_mul_f64 v[116:117], v[138:139], v[70:71]
	ds_read_b128 v[150:153], v1 offset:1056
	ds_read_b128 v[154:157], v1 offset:1072
	v_fma_f64 v[4:5], v[138:139], v[72:73], -v[4:5]
	v_fmac_f64_e32 v[116:117], v[140:141], v[72:73]
	v_add_f64 v[2:3], v[2:3], v[4:5]
	s_waitcnt vmcnt(58) lgkmcnt(3)
	v_mul_f64 v[4:5], v[144:145], v[82:83]
	v_add_f64 v[110:111], v[110:111], v[116:117]
	v_mul_f64 v[116:117], v[142:143], v[82:83]
	s_waitcnt vmcnt(56)
	v_fma_f64 v[4:5], v[142:143], v[84:85], -v[4:5]
	v_fmac_f64_e32 v[116:117], v[144:145], v[84:85]
	v_add_f64 v[2:3], v[2:3], v[4:5]
	s_waitcnt lgkmcnt(2)
	v_mul_f64 v[4:5], v[148:149], v[78:79]
	v_add_f64 v[110:111], v[110:111], v[116:117]
	v_mul_f64 v[116:117], v[146:147], v[78:79]
	ds_read_b128 v[158:161], v1 offset:1088
	ds_read_b128 v[162:165], v1 offset:1104
	v_fma_f64 v[4:5], v[146:147], v[80:81], -v[4:5]
	v_fmac_f64_e32 v[116:117], v[148:149], v[80:81]
	v_add_f64 v[2:3], v[2:3], v[4:5]
	s_waitcnt vmcnt(50) lgkmcnt(3)
	v_mul_f64 v[4:5], v[152:153], v[90:91]
	v_add_f64 v[110:111], v[110:111], v[116:117]
	v_mul_f64 v[116:117], v[150:151], v[90:91]
	s_waitcnt vmcnt(48)
	;; [unrolled: 17-line block ×7, first 2 shown]
	v_fma_f64 v[4:5], v[198:199], v[222:223], -v[4:5]
	v_fmac_f64_e32 v[116:117], v[200:201], v[222:223]
	v_add_f64 v[2:3], v[2:3], v[4:5]
	s_waitcnt lgkmcnt(2)
	v_mul_f64 v[4:5], v[204:205], v[216:217]
	v_add_f64 v[110:111], v[110:111], v[116:117]
	v_mul_f64 v[116:117], v[202:203], v[216:217]
	v_fma_f64 v[4:5], v[202:203], v[218:219], -v[4:5]
	v_fmac_f64_e32 v[116:117], v[204:205], v[218:219]
	v_add_f64 v[2:3], v[2:3], v[4:5]
	s_waitcnt vmcnt(2) lgkmcnt(1)
	v_mul_f64 v[4:5], v[208:209], v[228:229]
	v_add_f64 v[110:111], v[110:111], v[116:117]
	v_mul_f64 v[116:117], v[206:207], v[228:229]
	s_waitcnt vmcnt(0)
	v_fma_f64 v[4:5], v[206:207], v[230:231], -v[4:5]
	v_fmac_f64_e32 v[116:117], v[208:209], v[230:231]
	v_add_f64 v[2:3], v[2:3], v[4:5]
	s_waitcnt lgkmcnt(0)
	v_mul_f64 v[4:5], v[212:213], v[224:225]
	v_add_f64 v[110:111], v[110:111], v[116:117]
	v_mul_f64 v[116:117], v[210:211], v[224:225]
	v_fma_f64 v[4:5], v[210:211], v[226:227], -v[4:5]
	v_fmac_f64_e32 v[116:117], v[212:213], v[226:227]
	v_add_f64 v[2:3], v[2:3], v[4:5]
	v_add_f64 v[110:111], v[110:111], v[116:117]
	v_add_f64 v[2:3], v[46:47], -v[2:3]
	v_add_f64 v[4:5], v[44:45], -v[110:111]
	buffer_store_dword v3, off, s[0:3], 0 offset:212
	buffer_store_dword v2, off, s[0:3], 0 offset:208
	;; [unrolled: 1-line block ×4, first 2 shown]
	s_and_saveexec_b64 s[4:5], vcc
	s_cbranch_execz .LBB103_231
; %bb.230:
	v_accvgpr_read_b32 v5, a108
	buffer_load_dword v2, v5, s[0:3], 0 offen
	buffer_load_dword v3, v5, s[0:3], 0 offen offset:4
	buffer_load_dword v4, v5, s[0:3], 0 offen offset:8
	s_nop 0
	buffer_load_dword v5, v5, s[0:3], 0 offen offset:12
	v_accvgpr_read_b32 v6, a119
	buffer_store_dword v1, off, s[0:3], 0 offset:192
	buffer_store_dword v1, off, s[0:3], 0 offset:196
	;; [unrolled: 1-line block ×4, first 2 shown]
	s_waitcnt vmcnt(4)
	ds_write_b128 v6, v[2:5]
.LBB103_231:
	s_or_b64 exec, exec, s[4:5]
	s_waitcnt lgkmcnt(0)
	; wave barrier
	s_waitcnt lgkmcnt(0)
	buffer_load_dword v34, off, s[0:3], 0 offset:208
	buffer_load_dword v35, off, s[0:3], 0 offset:212
	;; [unrolled: 1-line block ×32, first 2 shown]
	ds_read_b128 v[30:33], v1 offset:832
	ds_read_b128 v[26:29], v1 offset:848
	;; [unrolled: 1-line block ×8, first 2 shown]
	buffer_load_dword v67, off, s[0:3], 0 offset:348
	buffer_load_dword v66, off, s[0:3], 0 offset:344
	;; [unrolled: 1-line block ×24, first 2 shown]
	v_cmp_lt_u32_e32 vcc, 10, v0
	s_waitcnt vmcnt(52) lgkmcnt(7)
	v_mul_f64 v[90:91], v[30:31], v[38:39]
	v_fmac_f64_e32 v[90:91], v[32:33], v[34:35]
	v_add_f64 v[90:91], v[90:91], 0
	v_mul_f64 v[32:33], v[32:33], v[38:39]
	s_waitcnt vmcnt(48) lgkmcnt(6)
	v_mul_f64 v[92:93], v[26:27], v[40:41]
	v_fmac_f64_e32 v[92:93], v[28:29], v[36:37]
	s_waitcnt vmcnt(46) lgkmcnt(5)
	v_mul_f64 v[94:95], v[22:23], v[42:43]
	v_add_f64 v[90:91], v[90:91], v[92:93]
	s_waitcnt vmcnt(44) lgkmcnt(4)
	v_mul_f64 v[96:97], v[18:19], v[48:49]
	v_fma_f64 v[30:31], v[30:31], v[34:35], -v[32:33]
	s_waitcnt vmcnt(42) lgkmcnt(1)
	v_mul_f64 v[124:125], v[2:3], v[50:51]
	v_mul_f64 v[28:29], v[28:29], v[40:41]
	s_waitcnt vmcnt(18) lgkmcnt(0)
	v_mul_f64 v[138:139], v[14:15], v[70:71]
	v_mul_f64 v[100:101], v[6:7], v[54:55]
	s_waitcnt vmcnt(16)
	v_fmac_f64_e32 v[138:139], v[16:17], v[72:73]
	v_mul_f64 v[98:99], v[10:11], v[56:57]
	v_add_f64 v[30:31], v[30:31], 0
	v_fmac_f64_e32 v[98:99], v[12:13], v[58:59]
	v_fma_f64 v[26:27], v[26:27], v[36:37], -v[28:29]
	v_fmac_f64_e32 v[94:95], v[24:25], v[64:65]
	v_add_f64 v[90:91], v[90:91], v[94:95]
	v_fmac_f64_e32 v[96:97], v[20:21], v[62:63]
	v_add_f64 v[90:91], v[90:91], v[96:97]
	;; [unrolled: 2-line block ×3, first 2 shown]
	v_add_f64 v[126:127], v[90:91], v[100:101]
	buffer_load_dword v91, off, s[0:3], 0 offset:444
	buffer_load_dword v90, off, s[0:3], 0 offset:440
	;; [unrolled: 1-line block ×56, first 2 shown]
	v_fmac_f64_e32 v[124:125], v[4:5], v[52:53]
	v_add_f64 v[136:137], v[126:127], v[124:125]
	ds_read_b128 v[124:127], v1 offset:960
	buffer_load_dword v233, off, s[0:3], 0 offset:652
	buffer_load_dword v232, off, s[0:3], 0 offset:648
	;; [unrolled: 1-line block ×4, first 2 shown]
	v_add_f64 v[140:141], v[136:137], v[138:139]
	ds_read_b128 v[136:139], v1 offset:976
	v_mul_f64 v[24:25], v[24:25], v[42:43]
	s_waitcnt lgkmcnt(1)
	v_mul_f64 v[142:143], v[124:125], v[66:67]
	v_fmac_f64_e32 v[142:143], v[126:127], v[68:69]
	v_add_f64 v[144:145], v[140:141], v[142:143]
	ds_read_b128 v[140:143], v1 offset:992
	s_waitcnt vmcnt(62) lgkmcnt(1)
	v_mul_f64 v[146:147], v[136:137], v[78:79]
	v_fmac_f64_e32 v[146:147], v[138:139], v[80:81]
	v_add_f64 v[148:149], v[144:145], v[146:147]
	ds_read_b128 v[144:147], v1 offset:1008
	s_waitcnt lgkmcnt(1)
	v_mul_f64 v[150:151], v[140:141], v[74:75]
	v_fmac_f64_e32 v[150:151], v[142:143], v[76:77]
	v_add_f64 v[152:153], v[148:149], v[150:151]
	ds_read_b128 v[148:151], v1 offset:1024
	s_waitcnt lgkmcnt(1)
	v_mul_f64 v[154:155], v[144:145], v[86:87]
	s_waitcnt vmcnt(60)
	v_fmac_f64_e32 v[154:155], v[146:147], v[88:89]
	v_add_f64 v[156:157], v[152:153], v[154:155]
	ds_read_b128 v[152:155], v1 offset:1040
	s_waitcnt lgkmcnt(1)
	v_mul_f64 v[158:159], v[148:149], v[82:83]
	v_fmac_f64_e32 v[158:159], v[150:151], v[84:85]
	v_add_f64 v[160:161], v[156:157], v[158:159]
	ds_read_b128 v[156:159], v1 offset:1056
	v_add_f64 v[26:27], v[30:31], v[26:27]
	v_fma_f64 v[22:23], v[22:23], v[64:65], -v[24:25]
	s_waitcnt vmcnt(54) lgkmcnt(1)
	v_mul_f64 v[162:163], v[152:153], v[94:95]
	v_mul_f64 v[20:21], v[20:21], v[48:49]
	s_waitcnt vmcnt(52)
	v_fmac_f64_e32 v[162:163], v[154:155], v[96:97]
	v_add_f64 v[164:165], v[160:161], v[162:163]
	ds_read_b128 v[160:163], v1 offset:1072
	s_waitcnt lgkmcnt(1)
	v_mul_f64 v[166:167], v[156:157], v[90:91]
	v_fmac_f64_e32 v[166:167], v[158:159], v[92:93]
	v_add_f64 v[22:23], v[26:27], v[22:23]
	v_fma_f64 v[18:19], v[18:19], v[62:63], -v[20:21]
	v_mul_f64 v[12:13], v[12:13], v[56:57]
	v_add_f64 v[168:169], v[164:165], v[166:167]
	ds_read_b128 v[164:167], v1 offset:1088
	v_add_f64 v[18:19], v[22:23], v[18:19]
	v_fma_f64 v[10:11], v[10:11], v[58:59], -v[12:13]
	v_mul_f64 v[8:9], v[8:9], v[54:55]
	v_add_f64 v[10:11], v[18:19], v[10:11]
	v_fma_f64 v[6:7], v[6:7], v[60:61], -v[8:9]
	v_mul_f64 v[4:5], v[4:5], v[50:51]
	;; [unrolled: 3-line block ×3, first 2 shown]
	s_waitcnt vmcnt(46) lgkmcnt(1)
	v_mul_f64 v[170:171], v[160:161], v[102:103]
	v_add_f64 v[2:3], v[6:7], v[2:3]
	v_fma_f64 v[4:5], v[14:15], v[72:73], -v[4:5]
	s_waitcnt vmcnt(44)
	v_fmac_f64_e32 v[170:171], v[162:163], v[104:105]
	v_add_f64 v[2:3], v[2:3], v[4:5]
	v_mul_f64 v[4:5], v[126:127], v[66:67]
	v_add_f64 v[172:173], v[168:169], v[170:171]
	ds_read_b128 v[168:171], v1 offset:1104
	s_waitcnt lgkmcnt(1)
	v_mul_f64 v[174:175], v[164:165], v[98:99]
	v_fma_f64 v[4:5], v[124:125], v[68:69], -v[4:5]
	v_fmac_f64_e32 v[174:175], v[166:167], v[100:101]
	v_add_f64 v[2:3], v[2:3], v[4:5]
	v_mul_f64 v[4:5], v[138:139], v[78:79]
	v_add_f64 v[176:177], v[172:173], v[174:175]
	ds_read_b128 v[172:175], v1 offset:1120
	v_fma_f64 v[4:5], v[136:137], v[80:81], -v[4:5]
	v_add_f64 v[2:3], v[2:3], v[4:5]
	v_mul_f64 v[4:5], v[142:143], v[74:75]
	v_fma_f64 v[4:5], v[140:141], v[76:77], -v[4:5]
	s_waitcnt vmcnt(38) lgkmcnt(1)
	v_mul_f64 v[178:179], v[168:169], v[110:111]
	v_add_f64 v[2:3], v[2:3], v[4:5]
	v_mul_f64 v[4:5], v[146:147], v[86:87]
	s_waitcnt vmcnt(36)
	v_fmac_f64_e32 v[178:179], v[170:171], v[112:113]
	v_fma_f64 v[4:5], v[144:145], v[88:89], -v[4:5]
	v_add_f64 v[180:181], v[176:177], v[178:179]
	ds_read_b128 v[176:179], v1 offset:1136
	s_waitcnt lgkmcnt(1)
	v_mul_f64 v[182:183], v[172:173], v[106:107]
	v_add_f64 v[2:3], v[2:3], v[4:5]
	v_mul_f64 v[4:5], v[150:151], v[82:83]
	v_fmac_f64_e32 v[182:183], v[174:175], v[108:109]
	v_fma_f64 v[4:5], v[148:149], v[84:85], -v[4:5]
	v_add_f64 v[184:185], v[180:181], v[182:183]
	ds_read_b128 v[180:183], v1 offset:1152
	v_add_f64 v[2:3], v[2:3], v[4:5]
	v_mul_f64 v[4:5], v[154:155], v[94:95]
	v_fma_f64 v[4:5], v[152:153], v[96:97], -v[4:5]
	v_add_f64 v[2:3], v[2:3], v[4:5]
	v_mul_f64 v[4:5], v[158:159], v[90:91]
	s_waitcnt vmcnt(30) lgkmcnt(1)
	v_mul_f64 v[186:187], v[176:177], v[118:119]
	v_fma_f64 v[4:5], v[156:157], v[92:93], -v[4:5]
	s_waitcnt vmcnt(28)
	v_fmac_f64_e32 v[186:187], v[178:179], v[122:123]
	v_add_f64 v[2:3], v[2:3], v[4:5]
	v_mul_f64 v[4:5], v[162:163], v[102:103]
	v_add_f64 v[198:199], v[184:185], v[186:187]
	ds_read_b128 v[184:187], v1 offset:1168
	s_waitcnt lgkmcnt(1)
	v_mul_f64 v[200:201], v[180:181], v[114:115]
	v_fma_f64 v[4:5], v[160:161], v[104:105], -v[4:5]
	v_fmac_f64_e32 v[200:201], v[182:183], v[116:117]
	v_add_f64 v[2:3], v[2:3], v[4:5]
	v_mul_f64 v[4:5], v[166:167], v[98:99]
	v_add_f64 v[202:203], v[198:199], v[200:201]
	ds_read_b128 v[198:201], v1 offset:1184
	v_fma_f64 v[4:5], v[164:165], v[100:101], -v[4:5]
	v_add_f64 v[2:3], v[2:3], v[4:5]
	v_mul_f64 v[4:5], v[170:171], v[110:111]
	v_fma_f64 v[4:5], v[168:169], v[112:113], -v[4:5]
	s_waitcnt vmcnt(22) lgkmcnt(1)
	v_mul_f64 v[204:205], v[184:185], v[132:133]
	v_add_f64 v[2:3], v[2:3], v[4:5]
	v_mul_f64 v[4:5], v[174:175], v[106:107]
	s_waitcnt vmcnt(20)
	v_fmac_f64_e32 v[204:205], v[186:187], v[134:135]
	v_fma_f64 v[4:5], v[172:173], v[108:109], -v[4:5]
	v_add_f64 v[206:207], v[202:203], v[204:205]
	ds_read_b128 v[202:205], v1 offset:1200
	s_waitcnt lgkmcnt(1)
	v_mul_f64 v[208:209], v[198:199], v[128:129]
	v_add_f64 v[2:3], v[2:3], v[4:5]
	v_mul_f64 v[4:5], v[178:179], v[118:119]
	v_fmac_f64_e32 v[208:209], v[200:201], v[130:131]
	v_fma_f64 v[4:5], v[176:177], v[122:123], -v[4:5]
	v_add_f64 v[210:211], v[206:207], v[208:209]
	ds_read_b128 v[206:209], v1 offset:1216
	v_add_f64 v[2:3], v[2:3], v[4:5]
	v_mul_f64 v[4:5], v[182:183], v[114:115]
	v_fma_f64 v[4:5], v[180:181], v[116:117], -v[4:5]
	v_add_f64 v[2:3], v[2:3], v[4:5]
	v_mul_f64 v[4:5], v[186:187], v[132:133]
	s_waitcnt vmcnt(14) lgkmcnt(1)
	v_mul_f64 v[212:213], v[202:203], v[192:193]
	v_fma_f64 v[4:5], v[184:185], v[134:135], -v[4:5]
	s_waitcnt vmcnt(12)
	v_fmac_f64_e32 v[212:213], v[204:205], v[222:223]
	v_add_f64 v[2:3], v[2:3], v[4:5]
	v_mul_f64 v[4:5], v[200:201], v[128:129]
	v_add_f64 v[214:215], v[210:211], v[212:213]
	ds_read_b128 v[210:213], v1 offset:1232
	s_waitcnt lgkmcnt(1)
	v_mul_f64 v[216:217], v[206:207], v[188:189]
	v_fma_f64 v[4:5], v[198:199], v[130:131], -v[4:5]
	v_fmac_f64_e32 v[216:217], v[208:209], v[190:191]
	v_add_f64 v[2:3], v[2:3], v[4:5]
	v_mul_f64 v[4:5], v[204:205], v[192:193]
	v_add_f64 v[236:237], v[214:215], v[216:217]
	ds_read_b128 v[214:217], v1 offset:1248
	v_fma_f64 v[4:5], v[202:203], v[222:223], -v[4:5]
	v_add_f64 v[2:3], v[2:3], v[4:5]
	v_mul_f64 v[4:5], v[208:209], v[188:189]
	ds_read_b128 v[218:221], v1 offset:1264
	v_fma_f64 v[4:5], v[206:207], v[190:191], -v[4:5]
	v_add_f64 v[2:3], v[2:3], v[4:5]
	s_waitcnt vmcnt(6) lgkmcnt(2)
	v_mul_f64 v[4:5], v[212:213], v[228:229]
	v_mul_f64 v[238:239], v[210:211], v[228:229]
	s_waitcnt vmcnt(4)
	v_fma_f64 v[4:5], v[210:211], v[230:231], -v[4:5]
	v_fmac_f64_e32 v[238:239], v[212:213], v[230:231]
	v_add_f64 v[2:3], v[2:3], v[4:5]
	s_waitcnt lgkmcnt(1)
	v_mul_f64 v[4:5], v[216:217], v[224:225]
	v_add_f64 v[236:237], v[236:237], v[238:239]
	v_mul_f64 v[238:239], v[214:215], v[224:225]
	v_fma_f64 v[4:5], v[214:215], v[226:227], -v[4:5]
	v_fmac_f64_e32 v[238:239], v[216:217], v[226:227]
	v_add_f64 v[2:3], v[2:3], v[4:5]
	s_waitcnt vmcnt(2) lgkmcnt(0)
	v_mul_f64 v[4:5], v[220:221], v[232:233]
	v_add_f64 v[236:237], v[236:237], v[238:239]
	v_mul_f64 v[238:239], v[218:219], v[232:233]
	s_waitcnt vmcnt(0)
	v_fma_f64 v[4:5], v[218:219], v[234:235], -v[4:5]
	v_fmac_f64_e32 v[238:239], v[220:221], v[234:235]
	v_add_f64 v[2:3], v[2:3], v[4:5]
	v_add_f64 v[236:237], v[236:237], v[238:239]
	v_add_f64 v[2:3], v[46:47], -v[2:3]
	v_add_f64 v[4:5], v[44:45], -v[236:237]
	buffer_store_dword v3, off, s[0:3], 0 offset:196
	buffer_store_dword v2, off, s[0:3], 0 offset:192
	;; [unrolled: 1-line block ×4, first 2 shown]
	s_and_saveexec_b64 s[4:5], vcc
	s_cbranch_execz .LBB103_233
; %bb.232:
	v_accvgpr_read_b32 v1, a109
	buffer_load_dword v2, v1, s[0:3], 0 offen
	buffer_load_dword v3, v1, s[0:3], 0 offen offset:4
	buffer_load_dword v4, v1, s[0:3], 0 offen offset:8
	;; [unrolled: 1-line block ×3, first 2 shown]
	v_mov_b32_e32 v1, 0
	v_accvgpr_read_b32 v6, a119
	buffer_store_dword v1, off, s[0:3], 0 offset:176
	buffer_store_dword v1, off, s[0:3], 0 offset:180
	;; [unrolled: 1-line block ×4, first 2 shown]
	s_waitcnt vmcnt(4)
	ds_write_b128 v6, v[2:5]
.LBB103_233:
	s_or_b64 exec, exec, s[4:5]
	s_waitcnt lgkmcnt(0)
	; wave barrier
	s_waitcnt lgkmcnt(0)
	buffer_load_dword v38, off, s[0:3], 0 offset:192
	buffer_load_dword v39, off, s[0:3], 0 offset:196
	;; [unrolled: 1-line block ×48, first 2 shown]
	v_mov_b32_e32 v1, 0
	ds_read_b128 v[34:37], v1 offset:816
	ds_read_b128 v[30:33], v1 offset:832
	;; [unrolled: 1-line block ×9, first 2 shown]
	v_cmp_lt_u32_e32 vcc, 9, v0
	s_waitcnt vmcnt(44) lgkmcnt(8)
	v_mul_f64 v[86:87], v[34:35], v[42:43]
	v_fmac_f64_e32 v[86:87], v[36:37], v[38:39]
	v_add_f64 v[86:87], v[86:87], 0
	v_mul_f64 v[36:37], v[36:37], v[42:43]
	s_waitcnt vmcnt(40) lgkmcnt(7)
	v_mul_f64 v[88:89], v[30:31], v[44:45]
	v_fmac_f64_e32 v[88:89], v[32:33], v[40:41]
	s_waitcnt vmcnt(38) lgkmcnt(6)
	v_mul_f64 v[90:91], v[26:27], v[46:47]
	v_add_f64 v[86:87], v[86:87], v[88:89]
	s_waitcnt vmcnt(36) lgkmcnt(4)
	v_mul_f64 v[94:95], v[18:19], v[48:49]
	v_fma_f64 v[34:35], v[34:35], v[38:39], -v[36:37]
	s_waitcnt vmcnt(34)
	v_fmac_f64_e32 v[94:95], v[20:21], v[50:51]
	v_mul_f64 v[32:33], v[32:33], v[44:45]
	s_waitcnt vmcnt(32)
	v_mul_f64 v[92:93], v[22:23], v[52:53]
	v_add_f64 v[34:35], v[34:35], 0
	s_waitcnt vmcnt(30) lgkmcnt(2)
	v_mul_f64 v[98:99], v[10:11], v[54:55]
	v_fma_f64 v[30:31], v[30:31], v[40:41], -v[32:33]
	s_waitcnt vmcnt(28)
	v_fmac_f64_e32 v[98:99], v[12:13], v[56:57]
	v_add_f64 v[30:31], v[34:35], v[30:31]
	s_waitcnt vmcnt(26)
	v_mul_f64 v[96:97], v[14:15], v[58:59]
	v_mul_f64 v[20:21], v[20:21], v[48:49]
	v_fma_f64 v[18:19], v[18:19], v[50:51], -v[20:21]
	v_mul_f64 v[12:13], v[12:13], v[54:55]
	s_waitcnt vmcnt(22) lgkmcnt(1)
	v_mul_f64 v[110:111], v[6:7], v[68:69]
	v_fma_f64 v[10:11], v[10:11], v[56:57], -v[12:13]
	s_waitcnt vmcnt(20)
	v_fmac_f64_e32 v[90:91], v[28:29], v[76:77]
	v_add_f64 v[86:87], v[86:87], v[90:91]
	s_waitcnt vmcnt(18)
	v_fmac_f64_e32 v[92:93], v[24:25], v[74:75]
	v_add_f64 v[86:87], v[86:87], v[92:93]
	;; [unrolled: 3-line block ×3, first 2 shown]
	v_add_f64 v[86:87], v[86:87], v[96:97]
	v_add_f64 v[112:113], v[86:87], v[98:99]
	buffer_load_dword v87, off, s[0:3], 0 offset:396
	buffer_load_dword v86, off, s[0:3], 0 offset:392
	buffer_load_dword v89, off, s[0:3], 0 offset:388
	buffer_load_dword v88, off, s[0:3], 0 offset:384
	buffer_load_dword v91, off, s[0:3], 0 offset:380
	buffer_load_dword v90, off, s[0:3], 0 offset:376
	buffer_load_dword v93, off, s[0:3], 0 offset:372
	buffer_load_dword v92, off, s[0:3], 0 offset:368
	buffer_load_dword v95, off, s[0:3], 0 offset:428
	buffer_load_dword v94, off, s[0:3], 0 offset:424
	buffer_load_dword v97, off, s[0:3], 0 offset:420
	buffer_load_dword v96, off, s[0:3], 0 offset:416
	buffer_load_dword v99, off, s[0:3], 0 offset:412
	buffer_load_dword v98, off, s[0:3], 0 offset:408
	buffer_load_dword v101, off, s[0:3], 0 offset:404
	buffer_load_dword v100, off, s[0:3], 0 offset:400
	buffer_load_dword v103, off, s[0:3], 0 offset:460
	buffer_load_dword v102, off, s[0:3], 0 offset:456
	buffer_load_dword v105, off, s[0:3], 0 offset:452
	buffer_load_dword v104, off, s[0:3], 0 offset:448
	buffer_load_dword v107, off, s[0:3], 0 offset:444
	buffer_load_dword v106, off, s[0:3], 0 offset:440
	buffer_load_dword v109, off, s[0:3], 0 offset:436
	buffer_load_dword v108, off, s[0:3], 0 offset:432
	buffer_load_dword v115, off, s[0:3], 0 offset:492
	buffer_load_dword v114, off, s[0:3], 0 offset:488
	buffer_load_dword v117, off, s[0:3], 0 offset:484
	buffer_load_dword v116, off, s[0:3], 0 offset:480
	buffer_load_dword v119, off, s[0:3], 0 offset:476
	buffer_load_dword v118, off, s[0:3], 0 offset:472
	buffer_load_dword v123, off, s[0:3], 0 offset:468
	buffer_load_dword v122, off, s[0:3], 0 offset:464
	buffer_load_dword v125, off, s[0:3], 0 offset:524
	buffer_load_dword v124, off, s[0:3], 0 offset:520
	buffer_load_dword v127, off, s[0:3], 0 offset:516
	buffer_load_dword v126, off, s[0:3], 0 offset:512
	buffer_load_dword v129, off, s[0:3], 0 offset:508
	buffer_load_dword v128, off, s[0:3], 0 offset:504
	buffer_load_dword v131, off, s[0:3], 0 offset:500
	buffer_load_dword v130, off, s[0:3], 0 offset:496
	buffer_load_dword v133, off, s[0:3], 0 offset:556
	buffer_load_dword v132, off, s[0:3], 0 offset:552
	buffer_load_dword v135, off, s[0:3], 0 offset:548
	buffer_load_dword v134, off, s[0:3], 0 offset:544
	buffer_load_dword v137, off, s[0:3], 0 offset:540
	buffer_load_dword v136, off, s[0:3], 0 offset:536
	buffer_load_dword v139, off, s[0:3], 0 offset:532
	buffer_load_dword v138, off, s[0:3], 0 offset:528
	buffer_load_dword v141, off, s[0:3], 0 offset:588
	buffer_load_dword v140, off, s[0:3], 0 offset:584
	buffer_load_dword v143, off, s[0:3], 0 offset:580
	buffer_load_dword v142, off, s[0:3], 0 offset:576
	buffer_load_dword v189, off, s[0:3], 0 offset:572
	buffer_load_dword v188, off, s[0:3], 0 offset:568
	buffer_load_dword v191, off, s[0:3], 0 offset:564
	buffer_load_dword v190, off, s[0:3], 0 offset:560
	buffer_load_dword v193, off, s[0:3], 0 offset:620
	buffer_load_dword v192, off, s[0:3], 0 offset:616
	buffer_load_dword v231, off, s[0:3], 0 offset:612
	buffer_load_dword v230, off, s[0:3], 0 offset:608
	buffer_load_dword v233, off, s[0:3], 0 offset:604
	buffer_load_dword v232, off, s[0:3], 0 offset:600
	buffer_load_dword v235, off, s[0:3], 0 offset:596
	buffer_load_dword v234, off, s[0:3], 0 offset:592
	buffer_load_dword v237, off, s[0:3], 0 offset:652
	buffer_load_dword v236, off, s[0:3], 0 offset:648
	buffer_load_dword v239, off, s[0:3], 0 offset:644
	buffer_load_dword v238, off, s[0:3], 0 offset:640
	buffer_load_dword v241, off, s[0:3], 0 offset:636
	buffer_load_dword v240, off, s[0:3], 0 offset:632
	buffer_load_dword v243, off, s[0:3], 0 offset:628
	buffer_load_dword v242, off, s[0:3], 0 offset:624
	s_waitcnt vmcnt(62)
	v_fmac_f64_e32 v[110:111], v[8:9], v[70:71]
	v_add_f64 v[144:145], v[112:113], v[110:111]
	ds_read_b128 v[110:113], v1 offset:960
	s_waitcnt lgkmcnt(1)
	v_mul_f64 v[146:147], v[2:3], v[64:65]
	v_fmac_f64_e32 v[146:147], v[4:5], v[66:67]
	v_add_f64 v[148:149], v[144:145], v[146:147]
	ds_read_b128 v[144:147], v1 offset:976
	s_waitcnt lgkmcnt(1)
	v_mul_f64 v[150:151], v[110:111], v[82:83]
	;; [unrolled: 5-line block ×5, first 2 shown]
	v_fmac_f64_e32 v[162:163], v[154:155], v[88:89]
	v_add_f64 v[164:165], v[160:161], v[162:163]
	ds_read_b128 v[160:163], v1 offset:1040
	s_waitcnt vmcnt(58) lgkmcnt(1)
	v_mul_f64 v[166:167], v[156:157], v[98:99]
	s_waitcnt vmcnt(56)
	v_fmac_f64_e32 v[166:167], v[158:159], v[100:101]
	v_add_f64 v[168:169], v[164:165], v[166:167]
	ds_read_b128 v[164:167], v1 offset:1056
	s_waitcnt lgkmcnt(1)
	v_mul_f64 v[170:171], v[160:161], v[94:95]
	v_fmac_f64_e32 v[170:171], v[162:163], v[96:97]
	v_mul_f64 v[28:29], v[28:29], v[46:47]
	v_add_f64 v[172:173], v[168:169], v[170:171]
	ds_read_b128 v[168:171], v1 offset:1072
	s_waitcnt vmcnt(50) lgkmcnt(1)
	v_mul_f64 v[174:175], v[164:165], v[106:107]
	v_fma_f64 v[26:27], v[26:27], v[76:77], -v[28:29]
	v_mul_f64 v[24:25], v[24:25], v[52:53]
	s_waitcnt vmcnt(48)
	v_fmac_f64_e32 v[174:175], v[166:167], v[108:109]
	v_add_f64 v[26:27], v[30:31], v[26:27]
	v_fma_f64 v[22:23], v[22:23], v[74:75], -v[24:25]
	v_add_f64 v[176:177], v[172:173], v[174:175]
	ds_read_b128 v[172:175], v1 offset:1088
	v_add_f64 v[22:23], v[26:27], v[22:23]
	v_mul_f64 v[16:17], v[16:17], v[58:59]
	v_add_f64 v[18:19], v[22:23], v[18:19]
	v_fma_f64 v[14:15], v[14:15], v[72:73], -v[16:17]
	v_add_f64 v[14:15], v[18:19], v[14:15]
	v_mul_f64 v[8:9], v[8:9], v[68:69]
	s_waitcnt lgkmcnt(1)
	v_mul_f64 v[178:179], v[168:169], v[102:103]
	v_add_f64 v[10:11], v[14:15], v[10:11]
	v_fma_f64 v[6:7], v[6:7], v[70:71], -v[8:9]
	v_mul_f64 v[4:5], v[4:5], v[64:65]
	v_fmac_f64_e32 v[178:179], v[170:171], v[104:105]
	v_add_f64 v[6:7], v[10:11], v[6:7]
	v_fma_f64 v[2:3], v[2:3], v[66:67], -v[4:5]
	v_mul_f64 v[4:5], v[112:113], v[82:83]
	v_add_f64 v[180:181], v[176:177], v[178:179]
	ds_read_b128 v[176:179], v1 offset:1104
	s_waitcnt vmcnt(42) lgkmcnt(1)
	v_mul_f64 v[182:183], v[172:173], v[118:119]
	v_add_f64 v[2:3], v[6:7], v[2:3]
	v_fma_f64 v[4:5], v[110:111], v[84:85], -v[4:5]
	s_waitcnt vmcnt(40)
	v_fmac_f64_e32 v[182:183], v[174:175], v[122:123]
	v_add_f64 v[2:3], v[2:3], v[4:5]
	v_mul_f64 v[4:5], v[146:147], v[78:79]
	v_add_f64 v[184:185], v[180:181], v[182:183]
	ds_read_b128 v[180:183], v1 offset:1120
	v_fma_f64 v[4:5], v[144:145], v[80:81], -v[4:5]
	v_add_f64 v[2:3], v[2:3], v[4:5]
	v_mul_f64 v[4:5], v[150:151], v[90:91]
	v_fma_f64 v[4:5], v[148:149], v[92:93], -v[4:5]
	s_waitcnt lgkmcnt(1)
	v_mul_f64 v[186:187], v[176:177], v[114:115]
	v_add_f64 v[2:3], v[2:3], v[4:5]
	v_mul_f64 v[4:5], v[154:155], v[86:87]
	v_fmac_f64_e32 v[186:187], v[178:179], v[116:117]
	v_fma_f64 v[4:5], v[152:153], v[88:89], -v[4:5]
	v_add_f64 v[198:199], v[184:185], v[186:187]
	ds_read_b128 v[184:187], v1 offset:1136
	s_waitcnt vmcnt(34) lgkmcnt(1)
	v_mul_f64 v[200:201], v[180:181], v[128:129]
	v_add_f64 v[2:3], v[2:3], v[4:5]
	v_mul_f64 v[4:5], v[158:159], v[98:99]
	s_waitcnt vmcnt(32)
	v_fmac_f64_e32 v[200:201], v[182:183], v[130:131]
	v_fma_f64 v[4:5], v[156:157], v[100:101], -v[4:5]
	v_add_f64 v[202:203], v[198:199], v[200:201]
	ds_read_b128 v[198:201], v1 offset:1152
	v_add_f64 v[2:3], v[2:3], v[4:5]
	v_mul_f64 v[4:5], v[162:163], v[94:95]
	v_fma_f64 v[4:5], v[160:161], v[96:97], -v[4:5]
	v_add_f64 v[2:3], v[2:3], v[4:5]
	v_mul_f64 v[4:5], v[166:167], v[106:107]
	s_waitcnt lgkmcnt(1)
	v_mul_f64 v[204:205], v[184:185], v[124:125]
	v_fma_f64 v[4:5], v[164:165], v[108:109], -v[4:5]
	v_fmac_f64_e32 v[204:205], v[186:187], v[126:127]
	v_add_f64 v[2:3], v[2:3], v[4:5]
	v_mul_f64 v[4:5], v[170:171], v[102:103]
	v_add_f64 v[206:207], v[202:203], v[204:205]
	ds_read_b128 v[202:205], v1 offset:1168
	s_waitcnt vmcnt(26) lgkmcnt(1)
	v_mul_f64 v[208:209], v[198:199], v[136:137]
	v_fma_f64 v[4:5], v[168:169], v[104:105], -v[4:5]
	s_waitcnt vmcnt(24)
	v_fmac_f64_e32 v[208:209], v[200:201], v[138:139]
	v_add_f64 v[2:3], v[2:3], v[4:5]
	v_mul_f64 v[4:5], v[174:175], v[118:119]
	v_add_f64 v[210:211], v[206:207], v[208:209]
	ds_read_b128 v[206:209], v1 offset:1184
	v_fma_f64 v[4:5], v[172:173], v[122:123], -v[4:5]
	v_add_f64 v[2:3], v[2:3], v[4:5]
	v_mul_f64 v[4:5], v[178:179], v[114:115]
	v_fma_f64 v[4:5], v[176:177], v[116:117], -v[4:5]
	s_waitcnt lgkmcnt(1)
	v_mul_f64 v[212:213], v[202:203], v[132:133]
	v_add_f64 v[2:3], v[2:3], v[4:5]
	v_mul_f64 v[4:5], v[182:183], v[128:129]
	v_fmac_f64_e32 v[212:213], v[204:205], v[134:135]
	v_fma_f64 v[4:5], v[180:181], v[130:131], -v[4:5]
	v_add_f64 v[214:215], v[210:211], v[212:213]
	ds_read_b128 v[210:213], v1 offset:1200
	s_waitcnt vmcnt(18) lgkmcnt(1)
	v_mul_f64 v[216:217], v[206:207], v[188:189]
	v_add_f64 v[2:3], v[2:3], v[4:5]
	v_mul_f64 v[4:5], v[186:187], v[124:125]
	s_waitcnt vmcnt(16)
	v_fmac_f64_e32 v[216:217], v[208:209], v[190:191]
	v_fma_f64 v[4:5], v[184:185], v[126:127], -v[4:5]
	v_add_f64 v[218:219], v[214:215], v[216:217]
	ds_read_b128 v[214:217], v1 offset:1216
	v_add_f64 v[2:3], v[2:3], v[4:5]
	v_mul_f64 v[4:5], v[200:201], v[136:137]
	v_fma_f64 v[4:5], v[198:199], v[138:139], -v[4:5]
	v_add_f64 v[2:3], v[2:3], v[4:5]
	v_mul_f64 v[4:5], v[204:205], v[132:133]
	s_waitcnt lgkmcnt(1)
	v_mul_f64 v[220:221], v[210:211], v[140:141]
	v_fma_f64 v[4:5], v[202:203], v[134:135], -v[4:5]
	v_fmac_f64_e32 v[220:221], v[212:213], v[142:143]
	v_add_f64 v[2:3], v[2:3], v[4:5]
	v_mul_f64 v[4:5], v[208:209], v[188:189]
	v_add_f64 v[222:223], v[218:219], v[220:221]
	ds_read_b128 v[218:221], v1 offset:1232
	s_waitcnt vmcnt(10) lgkmcnt(1)
	v_mul_f64 v[224:225], v[214:215], v[232:233]
	v_fma_f64 v[4:5], v[206:207], v[190:191], -v[4:5]
	s_waitcnt vmcnt(8)
	v_fmac_f64_e32 v[224:225], v[216:217], v[234:235]
	v_add_f64 v[2:3], v[2:3], v[4:5]
	v_mul_f64 v[4:5], v[212:213], v[140:141]
	v_add_f64 v[244:245], v[222:223], v[224:225]
	ds_read_b128 v[222:225], v1 offset:1248
	ds_read_b128 v[226:229], v1 offset:1264
	v_fma_f64 v[4:5], v[210:211], v[142:143], -v[4:5]
	v_add_f64 v[2:3], v[2:3], v[4:5]
	v_mul_f64 v[4:5], v[216:217], v[232:233]
	v_fma_f64 v[4:5], v[214:215], v[234:235], -v[4:5]
	v_add_f64 v[2:3], v[2:3], v[4:5]
	s_waitcnt lgkmcnt(2)
	v_mul_f64 v[4:5], v[220:221], v[192:193]
	v_mul_f64 v[246:247], v[218:219], v[192:193]
	v_fma_f64 v[4:5], v[218:219], v[230:231], -v[4:5]
	v_fmac_f64_e32 v[246:247], v[220:221], v[230:231]
	v_add_f64 v[2:3], v[2:3], v[4:5]
	s_waitcnt vmcnt(2) lgkmcnt(1)
	v_mul_f64 v[4:5], v[224:225], v[240:241]
	v_add_f64 v[244:245], v[244:245], v[246:247]
	v_mul_f64 v[246:247], v[222:223], v[240:241]
	s_waitcnt vmcnt(0)
	v_fma_f64 v[4:5], v[222:223], v[242:243], -v[4:5]
	v_fmac_f64_e32 v[246:247], v[224:225], v[242:243]
	v_add_f64 v[2:3], v[2:3], v[4:5]
	s_waitcnt lgkmcnt(0)
	v_mul_f64 v[4:5], v[228:229], v[236:237]
	v_add_f64 v[244:245], v[244:245], v[246:247]
	v_mul_f64 v[246:247], v[226:227], v[236:237]
	v_fma_f64 v[4:5], v[226:227], v[238:239], -v[4:5]
	v_fmac_f64_e32 v[246:247], v[228:229], v[238:239]
	v_add_f64 v[2:3], v[2:3], v[4:5]
	v_add_f64 v[244:245], v[244:245], v[246:247]
	v_add_f64 v[2:3], v[62:63], -v[2:3]
	v_add_f64 v[4:5], v[60:61], -v[244:245]
	buffer_store_dword v3, off, s[0:3], 0 offset:180
	buffer_store_dword v2, off, s[0:3], 0 offset:176
	;; [unrolled: 1-line block ×4, first 2 shown]
	s_and_saveexec_b64 s[4:5], vcc
	s_cbranch_execz .LBB103_235
; %bb.234:
	v_accvgpr_read_b32 v5, a110
	buffer_load_dword v2, v5, s[0:3], 0 offen
	buffer_load_dword v3, v5, s[0:3], 0 offen offset:4
	buffer_load_dword v4, v5, s[0:3], 0 offen offset:8
	s_nop 0
	buffer_load_dword v5, v5, s[0:3], 0 offen offset:12
	v_accvgpr_read_b32 v6, a119
	buffer_store_dword v1, off, s[0:3], 0 offset:160
	buffer_store_dword v1, off, s[0:3], 0 offset:164
	buffer_store_dword v1, off, s[0:3], 0 offset:168
	buffer_store_dword v1, off, s[0:3], 0 offset:172
	s_waitcnt vmcnt(4)
	ds_write_b128 v6, v[2:5]
.LBB103_235:
	s_or_b64 exec, exec, s[4:5]
	s_waitcnt lgkmcnt(0)
	; wave barrier
	s_waitcnt lgkmcnt(0)
	buffer_load_dword v48, off, s[0:3], 0 offset:176
	buffer_load_dword v49, off, s[0:3], 0 offset:180
	buffer_load_dword v50, off, s[0:3], 0 offset:184
	buffer_load_dword v51, off, s[0:3], 0 offset:188
	buffer_load_dword v42, off, s[0:3], 0 offset:192
	buffer_load_dword v43, off, s[0:3], 0 offset:196
	buffer_load_dword v44, off, s[0:3], 0 offset:200
	buffer_load_dword v45, off, s[0:3], 0 offset:204
	buffer_load_dword v46, off, s[0:3], 0 offset:216
	buffer_load_dword v47, off, s[0:3], 0 offset:220
	buffer_load_dword v53, off, s[0:3], 0 offset:252
	buffer_load_dword v52, off, s[0:3], 0 offset:248
	buffer_load_dword v55, off, s[0:3], 0 offset:244
	buffer_load_dword v54, off, s[0:3], 0 offset:240
	buffer_load_dword v57, off, s[0:3], 0 offset:236
	buffer_load_dword v56, off, s[0:3], 0 offset:232
	buffer_load_dword v63, off, s[0:3], 0 offset:268
	buffer_load_dword v62, off, s[0:3], 0 offset:264
	buffer_load_dword v65, off, s[0:3], 0 offset:316
	buffer_load_dword v64, off, s[0:3], 0 offset:312
	buffer_load_dword v67, off, s[0:3], 0 offset:308
	buffer_load_dword v69, off, s[0:3], 0 offset:300
	buffer_load_dword v68, off, s[0:3], 0 offset:296
	buffer_load_dword v71, off, s[0:3], 0 offset:284
	buffer_load_dword v70, off, s[0:3], 0 offset:280
	buffer_load_dword v73, off, s[0:3], 0 offset:276
	buffer_load_dword v72, off, s[0:3], 0 offset:272
	buffer_load_dword v80, off, s[0:3], 0 offset:208
	buffer_load_dword v81, off, s[0:3], 0 offset:212
	buffer_load_dword v79, off, s[0:3], 0 offset:228
	buffer_load_dword v78, off, s[0:3], 0 offset:224
	buffer_load_dword v77, off, s[0:3], 0 offset:260
	buffer_load_dword v76, off, s[0:3], 0 offset:256
	buffer_load_dword v75, off, s[0:3], 0 offset:292
	buffer_load_dword v74, off, s[0:3], 0 offset:288
	buffer_load_dword v66, off, s[0:3], 0 offset:304
	buffer_load_dword v60, off, s[0:3], 0 offset:160
	buffer_load_dword v61, off, s[0:3], 0 offset:164
	buffer_load_dword v58, off, s[0:3], 0 offset:168
	buffer_load_dword v59, off, s[0:3], 0 offset:172
	ds_read_b128 v[38:41], v1 offset:800
	ds_read_b128 v[34:37], v1 offset:816
	;; [unrolled: 1-line block ×10, first 2 shown]
	buffer_load_dword v83, off, s[0:3], 0 offset:348
	buffer_load_dword v82, off, s[0:3], 0 offset:344
	;; [unrolled: 1-line block ×8, first 2 shown]
	v_cmp_lt_u32_e32 vcc, 8, v0
	s_waitcnt vmcnt(44) lgkmcnt(9)
	v_mul_f64 v[90:91], v[38:39], v[50:51]
	v_fmac_f64_e32 v[90:91], v[40:41], v[48:49]
	v_add_f64 v[90:91], v[90:91], 0
	v_mul_f64 v[40:41], v[40:41], v[50:51]
	s_waitcnt vmcnt(40) lgkmcnt(8)
	v_mul_f64 v[92:93], v[34:35], v[44:45]
	v_fmac_f64_e32 v[92:93], v[36:37], v[42:43]
	s_waitcnt vmcnt(38) lgkmcnt(7)
	v_mul_f64 v[94:95], v[30:31], v[46:47]
	v_add_f64 v[90:91], v[90:91], v[92:93]
	s_waitcnt vmcnt(36) lgkmcnt(5)
	v_mul_f64 v[98:99], v[22:23], v[52:53]
	v_mul_f64 v[36:37], v[36:37], v[44:45]
	s_waitcnt vmcnt(34)
	v_fmac_f64_e32 v[98:99], v[24:25], v[54:55]
	v_fma_f64 v[34:35], v[34:35], v[42:43], -v[36:37]
	s_waitcnt vmcnt(32)
	v_mul_f64 v[96:97], v[26:27], v[56:57]
	v_mul_f64 v[24:25], v[24:25], v[52:53]
	s_waitcnt vmcnt(30) lgkmcnt(4)
	v_mul_f64 v[100:101], v[18:19], v[62:63]
	v_fma_f64 v[22:23], v[22:23], v[54:55], -v[24:25]
	s_waitcnt vmcnt(28) lgkmcnt(1)
	v_mul_f64 v[124:125], v[2:3], v[64:65]
	s_waitcnt vmcnt(25)
	v_mul_f64 v[104:105], v[6:7], v[68:69]
	s_waitcnt vmcnt(23)
	;; [unrolled: 2-line block ×3, first 2 shown]
	v_fmac_f64_e32 v[102:103], v[12:13], v[72:73]
	v_mul_f64 v[12:13], v[12:13], v[70:71]
	s_waitcnt vmcnt(19)
	v_fmac_f64_e32 v[94:95], v[32:33], v[80:81]
	v_add_f64 v[90:91], v[90:91], v[94:95]
	s_waitcnt vmcnt(17)
	v_fmac_f64_e32 v[96:97], v[28:29], v[78:79]
	v_add_f64 v[90:91], v[90:91], v[96:97]
	;; [unrolled: 3-line block ×3, first 2 shown]
	v_add_f64 v[90:91], v[90:91], v[100:101]
	s_waitcnt vmcnt(13)
	v_fmac_f64_e32 v[104:105], v[8:9], v[74:75]
	v_add_f64 v[90:91], v[90:91], v[102:103]
	v_add_f64 v[126:127], v[90:91], v[104:105]
	buffer_load_dword v91, off, s[0:3], 0 offset:380
	buffer_load_dword v90, off, s[0:3], 0 offset:376
	;; [unrolled: 1-line block ×72, first 2 shown]
	s_waitcnt vmcnt(62)
	v_fmac_f64_e32 v[124:125], v[4:5], v[66:67]
	v_add_f64 v[152:153], v[126:127], v[124:125]
	ds_read_b128 v[124:127], v1 offset:960
	s_waitcnt lgkmcnt(1)
	v_mul_f64 v[154:155], v[14:15], v[86:87]
	v_fmac_f64_e32 v[154:155], v[16:17], v[88:89]
	buffer_load_dword v241, off, s[0:3], 0 offset:652
	buffer_load_dword v240, off, s[0:3], 0 offset:648
	;; [unrolled: 1-line block ×4, first 2 shown]
	v_add_f64 v[156:157], v[152:153], v[154:155]
	s_waitcnt lgkmcnt(0)
	v_mul_f64 v[158:159], v[124:125], v[82:83]
	ds_read_b128 v[152:155], v1 offset:976
	v_fmac_f64_e32 v[158:159], v[126:127], v[84:85]
	v_add_f64 v[160:161], v[156:157], v[158:159]
	ds_read_b128 v[156:159], v1 offset:992
	v_mul_f64 v[32:33], v[32:33], v[46:47]
	s_waitcnt lgkmcnt(1)
	v_mul_f64 v[162:163], v[152:153], v[94:95]
	v_fma_f64 v[30:31], v[30:31], v[80:81], -v[32:33]
	v_fmac_f64_e32 v[162:163], v[154:155], v[96:97]
	s_waitcnt lgkmcnt(0)
	v_mul_f64 v[166:167], v[156:157], v[90:91]
	v_add_f64 v[164:165], v[160:161], v[162:163]
	ds_read_b128 v[160:163], v1 offset:1008
	v_fmac_f64_e32 v[166:167], v[158:159], v[92:93]
	v_add_f64 v[168:169], v[164:165], v[166:167]
	ds_read_b128 v[164:167], v1 offset:1024
	v_mul_f64 v[28:29], v[28:29], v[56:57]
	s_waitcnt vmcnt(62) lgkmcnt(1)
	v_mul_f64 v[170:171], v[160:161], v[102:103]
	s_waitcnt vmcnt(60)
	v_fmac_f64_e32 v[170:171], v[162:163], v[104:105]
	v_add_f64 v[172:173], v[168:169], v[170:171]
	s_waitcnt lgkmcnt(0)
	v_mul_f64 v[174:175], v[164:165], v[98:99]
	ds_read_b128 v[168:171], v1 offset:1040
	v_fmac_f64_e32 v[174:175], v[166:167], v[100:101]
	v_add_f64 v[176:177], v[172:173], v[174:175]
	ds_read_b128 v[172:175], v1 offset:1056
	v_fma_f64 v[26:27], v[26:27], v[78:79], -v[28:29]
	s_waitcnt vmcnt(54) lgkmcnt(1)
	v_mul_f64 v[178:179], v[168:169], v[110:111]
	s_waitcnt vmcnt(52)
	v_fmac_f64_e32 v[178:179], v[170:171], v[112:113]
	v_add_f64 v[180:181], v[176:177], v[178:179]
	s_waitcnt lgkmcnt(0)
	v_mul_f64 v[182:183], v[172:173], v[106:107]
	ds_read_b128 v[176:179], v1 offset:1072
	v_fmac_f64_e32 v[182:183], v[174:175], v[108:109]
	v_add_f64 v[184:185], v[180:181], v[182:183]
	ds_read_b128 v[180:183], v1 offset:1088
	v_mul_f64 v[20:21], v[20:21], v[62:63]
	s_waitcnt vmcnt(46) lgkmcnt(1)
	v_mul_f64 v[186:187], v[176:177], v[118:119]
	s_waitcnt vmcnt(44)
	v_fmac_f64_e32 v[186:187], v[178:179], v[122:123]
	v_add_f64 v[198:199], v[184:185], v[186:187]
	s_waitcnt lgkmcnt(0)
	v_mul_f64 v[200:201], v[180:181], v[114:115]
	ds_read_b128 v[184:187], v1 offset:1104
	v_fmac_f64_e32 v[200:201], v[182:183], v[116:117]
	v_add_f64 v[202:203], v[198:199], v[200:201]
	ds_read_b128 v[198:201], v1 offset:1120
	v_fma_f64 v[18:19], v[18:19], v[76:77], -v[20:21]
	s_waitcnt vmcnt(38) lgkmcnt(1)
	v_mul_f64 v[204:205], v[184:185], v[132:133]
	s_waitcnt vmcnt(36)
	v_fmac_f64_e32 v[204:205], v[186:187], v[134:135]
	v_add_f64 v[206:207], v[202:203], v[204:205]
	s_waitcnt lgkmcnt(0)
	v_mul_f64 v[208:209], v[198:199], v[128:129]
	ds_read_b128 v[202:205], v1 offset:1136
	v_fmac_f64_e32 v[208:209], v[200:201], v[130:131]
	v_add_f64 v[210:211], v[206:207], v[208:209]
	ds_read_b128 v[206:209], v1 offset:1152
	v_fma_f64 v[10:11], v[10:11], v[72:73], -v[12:13]
	s_waitcnt vmcnt(30) lgkmcnt(1)
	v_mul_f64 v[212:213], v[202:203], v[140:141]
	s_waitcnt vmcnt(28)
	v_fmac_f64_e32 v[212:213], v[204:205], v[142:143]
	v_add_f64 v[214:215], v[210:211], v[212:213]
	s_waitcnt lgkmcnt(0)
	v_mul_f64 v[216:217], v[206:207], v[136:137]
	ds_read_b128 v[210:213], v1 offset:1168
	v_fmac_f64_e32 v[216:217], v[208:209], v[138:139]
	v_add_f64 v[218:219], v[214:215], v[216:217]
	ds_read_b128 v[214:217], v1 offset:1184
	v_mul_f64 v[8:9], v[8:9], v[68:69]
	s_waitcnt vmcnt(22) lgkmcnt(1)
	v_mul_f64 v[220:221], v[210:211], v[148:149]
	s_waitcnt vmcnt(20)
	v_fmac_f64_e32 v[220:221], v[212:213], v[150:151]
	v_add_f64 v[222:223], v[218:219], v[220:221]
	s_waitcnt lgkmcnt(0)
	v_mul_f64 v[224:225], v[214:215], v[144:145]
	ds_read_b128 v[218:221], v1 offset:1200
	v_fmac_f64_e32 v[224:225], v[216:217], v[146:147]
	v_add_f64 v[226:227], v[222:223], v[224:225]
	ds_read_b128 v[222:225], v1 offset:1216
	v_fma_f64 v[6:7], v[6:7], v[74:75], -v[8:9]
	s_waitcnt vmcnt(14) lgkmcnt(1)
	v_mul_f64 v[228:229], v[218:219], v[192:193]
	s_waitcnt vmcnt(12)
	v_fmac_f64_e32 v[228:229], v[220:221], v[230:231]
	v_add_f64 v[244:245], v[226:227], v[228:229]
	s_waitcnt lgkmcnt(0)
	v_mul_f64 v[246:247], v[222:223], v[188:189]
	v_fmac_f64_e32 v[246:247], v[224:225], v[190:191]
	v_add_f64 v[244:245], v[244:245], v[246:247]
	v_fma_f64 v[246:247], v[38:39], v[48:49], -v[40:41]
	v_add_f64 v[246:247], v[246:247], 0
	v_add_f64 v[34:35], v[246:247], v[34:35]
	;; [unrolled: 1-line block ×7, first 2 shown]
	v_mul_f64 v[4:5], v[4:5], v[64:65]
	v_add_f64 v[6:7], v[10:11], v[6:7]
	v_fma_f64 v[2:3], v[2:3], v[66:67], -v[4:5]
	v_mul_f64 v[4:5], v[16:17], v[86:87]
	v_add_f64 v[2:3], v[6:7], v[2:3]
	v_fma_f64 v[4:5], v[14:15], v[88:89], -v[4:5]
	v_add_f64 v[2:3], v[2:3], v[4:5]
	v_mul_f64 v[4:5], v[126:127], v[82:83]
	v_fma_f64 v[4:5], v[124:125], v[84:85], -v[4:5]
	v_add_f64 v[2:3], v[2:3], v[4:5]
	v_mul_f64 v[4:5], v[154:155], v[94:95]
	;; [unrolled: 3-line block ×15, first 2 shown]
	ds_read_b128 v[226:229], v1 offset:1232
	ds_read_b128 v[38:41], v1 offset:1248
	v_fma_f64 v[4:5], v[214:215], v[146:147], -v[4:5]
	v_add_f64 v[2:3], v[2:3], v[4:5]
	v_mul_f64 v[4:5], v[220:221], v[192:193]
	v_fma_f64 v[4:5], v[218:219], v[230:231], -v[4:5]
	v_add_f64 v[2:3], v[2:3], v[4:5]
	v_mul_f64 v[4:5], v[224:225], v[188:189]
	ds_read_b128 v[48:51], v1 offset:1264
	v_fma_f64 v[4:5], v[222:223], v[190:191], -v[4:5]
	v_add_f64 v[2:3], v[2:3], v[4:5]
	s_waitcnt vmcnt(6) lgkmcnt(2)
	v_mul_f64 v[4:5], v[228:229], v[236:237]
	v_mul_f64 v[248:249], v[226:227], v[236:237]
	s_waitcnt vmcnt(4)
	v_fma_f64 v[4:5], v[226:227], v[238:239], -v[4:5]
	v_fmac_f64_e32 v[248:249], v[228:229], v[238:239]
	v_add_f64 v[2:3], v[2:3], v[4:5]
	s_waitcnt lgkmcnt(1)
	v_mul_f64 v[4:5], v[40:41], v[232:233]
	v_add_f64 v[244:245], v[244:245], v[248:249]
	v_mul_f64 v[248:249], v[38:39], v[232:233]
	v_fma_f64 v[4:5], v[38:39], v[234:235], -v[4:5]
	v_fmac_f64_e32 v[248:249], v[40:41], v[234:235]
	v_add_f64 v[2:3], v[2:3], v[4:5]
	s_waitcnt vmcnt(2) lgkmcnt(0)
	v_mul_f64 v[4:5], v[50:51], v[240:241]
	v_add_f64 v[244:245], v[244:245], v[248:249]
	v_mul_f64 v[248:249], v[48:49], v[240:241]
	s_waitcnt vmcnt(0)
	v_fma_f64 v[4:5], v[48:49], v[242:243], -v[4:5]
	v_fmac_f64_e32 v[248:249], v[50:51], v[242:243]
	v_add_f64 v[2:3], v[2:3], v[4:5]
	v_add_f64 v[244:245], v[244:245], v[248:249]
	v_add_f64 v[2:3], v[60:61], -v[2:3]
	v_add_f64 v[4:5], v[58:59], -v[244:245]
	buffer_store_dword v3, off, s[0:3], 0 offset:164
	buffer_store_dword v2, off, s[0:3], 0 offset:160
	;; [unrolled: 1-line block ×4, first 2 shown]
	s_and_saveexec_b64 s[4:5], vcc
	s_cbranch_execz .LBB103_237
; %bb.236:
	v_accvgpr_read_b32 v1, a111
	buffer_load_dword v2, v1, s[0:3], 0 offen
	buffer_load_dword v3, v1, s[0:3], 0 offen offset:4
	buffer_load_dword v4, v1, s[0:3], 0 offen offset:8
	;; [unrolled: 1-line block ×3, first 2 shown]
	v_mov_b32_e32 v1, 0
	v_accvgpr_read_b32 v6, a119
	buffer_store_dword v1, off, s[0:3], 0 offset:144
	buffer_store_dword v1, off, s[0:3], 0 offset:148
	buffer_store_dword v1, off, s[0:3], 0 offset:152
	buffer_store_dword v1, off, s[0:3], 0 offset:156
	s_waitcnt vmcnt(4)
	ds_write_b128 v6, v[2:5]
.LBB103_237:
	s_or_b64 exec, exec, s[4:5]
	s_waitcnt lgkmcnt(0)
	; wave barrier
	s_waitcnt lgkmcnt(0)
	buffer_load_dword v106, off, s[0:3], 0 offset:160
	buffer_load_dword v107, off, s[0:3], 0 offset:164
	;; [unrolled: 1-line block ×49, first 2 shown]
	v_mov_b32_e32 v1, 0
	ds_read_b128 v[110:113], v1 offset:784
	ds_read_b128 v[250:253], v1 offset:800
	;; [unrolled: 1-line block ×10, first 2 shown]
	buffer_load_dword v160, off, s[0:3], 0 offset:352
	buffer_load_dword v175, off, s[0:3], 0 offset:348
	;; [unrolled: 1-line block ×69, first 2 shown]
	v_cmp_lt_u32_e32 vcc, 7, v0
	s_waitcnt vmcnt(62) lgkmcnt(9)
	v_mul_f64 v[34:35], v[110:111], v[108:109]
	v_fmac_f64_e32 v[34:35], v[112:113], v[106:107]
	v_add_f64 v[34:35], v[34:35], 0
	v_mul_f64 v[108:109], v[112:113], v[108:109]
	s_waitcnt lgkmcnt(8)
	v_mul_f64 v[36:37], v[250:251], v[116:117]
	v_fmac_f64_e32 v[36:37], v[252:253], v[114:115]
	s_waitcnt lgkmcnt(7)
	v_mul_f64 v[38:39], v[30:31], v[118:119]
	v_add_f64 v[34:35], v[34:35], v[36:37]
	s_waitcnt lgkmcnt(5)
	v_mul_f64 v[42:43], v[22:23], v[122:123]
	v_mul_f64 v[116:117], v[252:253], v[116:117]
	v_fmac_f64_e32 v[42:43], v[24:25], v[124:125]
	v_fma_f64 v[248:249], v[110:111], v[106:107], -v[108:109]
	v_mul_f64 v[40:41], v[26:27], v[126:127]
	v_fma_f64 v[250:251], v[250:251], v[114:115], -v[116:117]
	s_waitcnt lgkmcnt(3)
	v_mul_f64 v[46:47], v[14:15], v[128:129]
	v_mul_f64 v[24:25], v[24:25], v[122:123]
	v_fmac_f64_e32 v[46:47], v[16:17], v[130:131]
	v_fma_f64 v[22:23], v[22:23], v[124:125], -v[24:25]
	v_mul_f64 v[44:45], v[18:19], v[132:133]
	v_mul_f64 v[16:17], v[16:17], v[128:129]
	s_waitcnt lgkmcnt(1)
	v_mul_f64 v[50:51], v[6:7], v[134:135]
	v_fma_f64 v[14:15], v[14:15], v[130:131], -v[16:17]
	v_fmac_f64_e32 v[50:51], v[8:9], v[136:137]
	v_mul_f64 v[8:9], v[8:9], v[134:135]
	v_mul_f64 v[48:49], v[10:11], v[142:143]
	v_fma_f64 v[6:7], v[6:7], v[136:137], -v[8:9]
	s_waitcnt lgkmcnt(0)
	v_mul_f64 v[52:53], v[2:3], v[138:139]
	v_fmac_f64_e32 v[38:39], v[32:33], v[154:155]
	v_add_f64 v[34:35], v[34:35], v[38:39]
	v_fmac_f64_e32 v[40:41], v[28:29], v[152:153]
	v_add_f64 v[34:35], v[34:35], v[40:41]
	;; [unrolled: 2-line block ×3, first 2 shown]
	v_add_f64 v[34:35], v[34:35], v[44:45]
	v_fmac_f64_e32 v[48:49], v[12:13], v[148:149]
	v_add_f64 v[34:35], v[34:35], v[46:47]
	v_add_f64 v[34:35], v[34:35], v[48:49]
	v_fmac_f64_e32 v[52:53], v[4:5], v[146:147]
	v_add_f64 v[34:35], v[34:35], v[50:51]
	v_add_f64 v[42:43], v[34:35], v[52:53]
	ds_read_b128 v[38:41], v1 offset:944
	ds_read_b128 v[34:37], v1 offset:960
	buffer_load_dword v231, off, s[0:3], 0 offset:652
	buffer_load_dword v230, off, s[0:3], 0 offset:648
	;; [unrolled: 1-line block ×8, first 2 shown]
	ds_read_b128 v[110:113], v1 offset:1232
	ds_read_b128 v[106:109], v1 offset:1248
	s_waitcnt lgkmcnt(3)
	v_mul_f64 v[44:45], v[38:39], v[144:145]
	v_fmac_f64_e32 v[44:45], v[40:41], v[156:157]
	v_add_f64 v[46:47], v[42:43], v[44:45]
	ds_read_b128 v[42:45], v1 offset:976
	s_waitcnt lgkmcnt(3)
	v_mul_f64 v[48:49], v[34:35], v[174:175]
	v_fmac_f64_e32 v[48:49], v[36:37], v[178:179]
	v_add_f64 v[50:51], v[46:47], v[48:49]
	;; [unrolled: 5-line block ×3, first 2 shown]
	ds_read_b128 v[50:53], v1 offset:1008
	s_waitcnt vmcnt(62) lgkmcnt(1)
	v_mul_f64 v[56:57], v[46:47], v[182:183]
	v_fmac_f64_e32 v[56:57], v[48:49], v[186:187]
	v_add_f64 v[58:59], v[54:55], v[56:57]
	ds_read_b128 v[54:57], v1 offset:1024
	s_waitcnt lgkmcnt(1)
	v_mul_f64 v[60:61], v[50:51], v[162:163]
	v_fmac_f64_e32 v[60:61], v[52:53], v[164:165]
	v_add_f64 v[62:63], v[58:59], v[60:61]
	ds_read_b128 v[58:61], v1 offset:1040
	s_waitcnt vmcnt(58) lgkmcnt(1)
	v_mul_f64 v[64:65], v[54:55], v[198:199]
	s_waitcnt vmcnt(56)
	v_fmac_f64_e32 v[64:65], v[56:57], v[202:203]
	v_add_f64 v[66:67], v[62:63], v[64:65]
	ds_read_b128 v[62:65], v1 offset:1056
	s_waitcnt lgkmcnt(1)
	v_mul_f64 v[68:69], v[58:59], v[166:167]
	v_fmac_f64_e32 v[68:69], v[60:61], v[168:169]
	v_add_f64 v[70:71], v[66:67], v[68:69]
	ds_read_b128 v[66:69], v1 offset:1072
	s_waitcnt vmcnt(50) lgkmcnt(1)
	v_mul_f64 v[72:73], v[62:63], v[206:207]
	s_waitcnt vmcnt(48)
	;; [unrolled: 11-line block ×5, first 2 shown]
	v_fmac_f64_e32 v[96:97], v[88:89], v[228:229]
	v_add_f64 v[98:99], v[94:95], v[96:97]
	ds_read_b128 v[94:97], v1 offset:1184
	s_waitcnt lgkmcnt(1)
	v_mul_f64 v[100:101], v[90:91], v[200:201]
	v_fmac_f64_e32 v[100:101], v[92:93], v[204:205]
	v_add_f64 v[190:191], v[98:99], v[100:101]
	ds_read_b128 v[98:101], v1 offset:1200
	ds_read_b128 v[102:105], v1 offset:1216
	;; [unrolled: 1-line block ×3, first 2 shown]
	buffer_load_dword v252, off, s[0:3], 0 offset:152
	buffer_load_dword v253, off, s[0:3], 0 offset:156
	s_waitcnt vmcnt(20) lgkmcnt(3)
	v_mul_f64 v[192:193], v[94:95], v[232:233]
	s_waitcnt vmcnt(18)
	v_fmac_f64_e32 v[192:193], v[96:97], v[236:237]
	v_add_f64 v[190:191], v[190:191], v[192:193]
	s_waitcnt lgkmcnt(2)
	v_mul_f64 v[192:193], v[98:99], v[208:209]
	v_fmac_f64_e32 v[192:193], v[100:101], v[212:213]
	v_add_f64 v[190:191], v[190:191], v[192:193]
	s_waitcnt vmcnt(12) lgkmcnt(1)
	v_mul_f64 v[192:193], v[102:103], v[238:239]
	s_waitcnt vmcnt(10)
	v_fmac_f64_e32 v[192:193], v[104:105], v[240:241]
	v_add_f64 v[190:191], v[190:191], v[192:193]
	v_mul_f64 v[192:193], v[110:111], v[216:217]
	v_fmac_f64_e32 v[192:193], v[112:113], v[220:221]
	v_add_f64 v[190:191], v[190:191], v[192:193]
	s_waitcnt vmcnt(4)
	v_mul_f64 v[192:193], v[106:107], v[242:243]
	v_mul_f64 v[32:33], v[32:33], v[118:119]
	s_waitcnt vmcnt(2)
	v_fmac_f64_e32 v[192:193], v[108:109], v[244:245]
	v_add_f64 v[190:191], v[190:191], v[192:193]
	s_waitcnt lgkmcnt(0)
	v_mul_f64 v[192:193], v[114:115], v[230:231]
	v_fmac_f64_e32 v[192:193], v[116:117], v[234:235]
	v_add_f64 v[246:247], v[190:191], v[192:193]
	v_add_f64 v[190:191], v[248:249], 0
	;; [unrolled: 1-line block ×3, first 2 shown]
	v_fma_f64 v[30:31], v[30:31], v[154:155], -v[32:33]
	v_mul_f64 v[28:29], v[28:29], v[126:127]
	v_add_f64 v[30:31], v[190:191], v[30:31]
	v_fma_f64 v[26:27], v[26:27], v[152:153], -v[28:29]
	v_add_f64 v[26:27], v[30:31], v[26:27]
	v_mul_f64 v[20:21], v[20:21], v[132:133]
	v_add_f64 v[22:23], v[26:27], v[22:23]
	v_fma_f64 v[18:19], v[18:19], v[150:151], -v[20:21]
	v_add_f64 v[18:19], v[22:23], v[18:19]
	;; [unrolled: 4-line block ×3, first 2 shown]
	v_mul_f64 v[4:5], v[4:5], v[138:139]
	v_add_f64 v[6:7], v[10:11], v[6:7]
	v_fma_f64 v[2:3], v[2:3], v[146:147], -v[4:5]
	v_mul_f64 v[4:5], v[40:41], v[144:145]
	v_add_f64 v[2:3], v[6:7], v[2:3]
	v_fma_f64 v[4:5], v[38:39], v[156:157], -v[4:5]
	v_add_f64 v[2:3], v[2:3], v[4:5]
	v_mul_f64 v[4:5], v[36:37], v[174:175]
	v_fma_f64 v[4:5], v[34:35], v[178:179], -v[4:5]
	v_add_f64 v[2:3], v[2:3], v[4:5]
	v_mul_f64 v[4:5], v[44:45], v[158:159]
	v_fma_f64 v[4:5], v[42:43], v[160:161], -v[4:5]
	v_add_f64 v[2:3], v[2:3], v[4:5]
	v_mul_f64 v[4:5], v[48:49], v[182:183]
	v_fma_f64 v[4:5], v[46:47], v[186:187], -v[4:5]
	v_add_f64 v[2:3], v[2:3], v[4:5]
	v_mul_f64 v[4:5], v[52:53], v[162:163]
	v_fma_f64 v[4:5], v[50:51], v[164:165], -v[4:5]
	v_add_f64 v[2:3], v[2:3], v[4:5]
	v_mul_f64 v[4:5], v[56:57], v[198:199]
	v_fma_f64 v[4:5], v[54:55], v[202:203], -v[4:5]
	v_add_f64 v[2:3], v[2:3], v[4:5]
	v_mul_f64 v[4:5], v[60:61], v[166:167]
	v_fma_f64 v[4:5], v[58:59], v[168:169], -v[4:5]
	v_add_f64 v[2:3], v[2:3], v[4:5]
	v_mul_f64 v[4:5], v[64:65], v[206:207]
	v_fma_f64 v[4:5], v[62:63], v[210:211], -v[4:5]
	v_add_f64 v[2:3], v[2:3], v[4:5]
	v_mul_f64 v[4:5], v[68:69], v[170:171]
	v_fma_f64 v[4:5], v[66:67], v[172:173], -v[4:5]
	v_add_f64 v[2:3], v[2:3], v[4:5]
	v_mul_f64 v[4:5], v[72:73], v[214:215]
	v_fma_f64 v[4:5], v[70:71], v[218:219], -v[4:5]
	v_add_f64 v[2:3], v[2:3], v[4:5]
	v_mul_f64 v[4:5], v[76:77], v[176:177]
	v_fma_f64 v[4:5], v[74:75], v[180:181], -v[4:5]
	v_add_f64 v[2:3], v[2:3], v[4:5]
	v_mul_f64 v[4:5], v[80:81], v[222:223]
	v_fma_f64 v[4:5], v[78:79], v[224:225], -v[4:5]
	v_add_f64 v[2:3], v[2:3], v[4:5]
	v_mul_f64 v[4:5], v[84:85], v[184:185]
	v_fma_f64 v[4:5], v[82:83], v[188:189], -v[4:5]
	v_add_f64 v[2:3], v[2:3], v[4:5]
	v_mul_f64 v[4:5], v[88:89], v[226:227]
	v_fma_f64 v[4:5], v[86:87], v[228:229], -v[4:5]
	v_add_f64 v[2:3], v[2:3], v[4:5]
	v_mul_f64 v[4:5], v[92:93], v[200:201]
	v_fma_f64 v[4:5], v[90:91], v[204:205], -v[4:5]
	v_add_f64 v[2:3], v[2:3], v[4:5]
	v_mul_f64 v[4:5], v[96:97], v[232:233]
	v_fma_f64 v[4:5], v[94:95], v[236:237], -v[4:5]
	v_add_f64 v[2:3], v[2:3], v[4:5]
	v_mul_f64 v[4:5], v[100:101], v[208:209]
	v_fma_f64 v[4:5], v[98:99], v[212:213], -v[4:5]
	v_add_f64 v[2:3], v[2:3], v[4:5]
	v_mul_f64 v[4:5], v[104:105], v[238:239]
	v_fma_f64 v[4:5], v[102:103], v[240:241], -v[4:5]
	v_add_f64 v[2:3], v[2:3], v[4:5]
	v_mul_f64 v[4:5], v[112:113], v[216:217]
	v_fma_f64 v[4:5], v[110:111], v[220:221], -v[4:5]
	v_add_f64 v[2:3], v[2:3], v[4:5]
	v_mul_f64 v[4:5], v[108:109], v[242:243]
	v_fma_f64 v[4:5], v[106:107], v[244:245], -v[4:5]
	v_add_f64 v[2:3], v[2:3], v[4:5]
	v_mul_f64 v[4:5], v[116:117], v[230:231]
	v_fma_f64 v[4:5], v[114:115], v[234:235], -v[4:5]
	v_add_f64 v[2:3], v[2:3], v[4:5]
	v_add_f64 v[2:3], v[140:141], -v[2:3]
	s_waitcnt vmcnt(0)
	v_add_f64 v[4:5], v[252:253], -v[246:247]
	buffer_store_dword v3, off, s[0:3], 0 offset:148
	buffer_store_dword v2, off, s[0:3], 0 offset:144
	buffer_store_dword v5, off, s[0:3], 0 offset:156
	buffer_store_dword v4, off, s[0:3], 0 offset:152
	s_and_saveexec_b64 s[4:5], vcc
	s_cbranch_execz .LBB103_239
; %bb.238:
	v_accvgpr_read_b32 v5, a112
	buffer_load_dword v2, v5, s[0:3], 0 offen
	buffer_load_dword v3, v5, s[0:3], 0 offen offset:4
	buffer_load_dword v4, v5, s[0:3], 0 offen offset:8
	s_nop 0
	buffer_load_dword v5, v5, s[0:3], 0 offen offset:12
	v_accvgpr_read_b32 v6, a119
	buffer_store_dword v1, off, s[0:3], 0 offset:128
	buffer_store_dword v1, off, s[0:3], 0 offset:132
	;; [unrolled: 1-line block ×4, first 2 shown]
	s_waitcnt vmcnt(4)
	ds_write_b128 v6, v[2:5]
.LBB103_239:
	s_or_b64 exec, exec, s[4:5]
	s_waitcnt lgkmcnt(0)
	; wave barrier
	s_waitcnt lgkmcnt(0)
	buffer_load_dword v112, off, s[0:3], 0 offset:144
	buffer_load_dword v113, off, s[0:3], 0 offset:148
	;; [unrolled: 1-line block ×36, first 2 shown]
	ds_read_b128 v[102:105], v1 offset:768
	ds_read_b128 v[106:109], v1 offset:784
	;; [unrolled: 1-line block ×9, first 2 shown]
	buffer_load_dword v145, off, s[0:3], 0 offset:316
	buffer_load_dword v144, off, s[0:3], 0 offset:312
	;; [unrolled: 1-line block ×78, first 2 shown]
	v_cmp_lt_u32_e32 vcc, 6, v0
	s_waitcnt vmcnt(62) lgkmcnt(8)
	v_mul_f64 v[26:27], v[102:103], v[246:247]
	v_fmac_f64_e32 v[26:27], v[104:105], v[112:113]
	v_add_f64 v[26:27], v[26:27], 0
	v_mul_f64 v[104:105], v[104:105], v[246:247]
	s_waitcnt lgkmcnt(7)
	v_mul_f64 v[28:29], v[106:107], v[248:249]
	v_fmac_f64_e32 v[28:29], v[108:109], v[110:111]
	s_waitcnt lgkmcnt(6)
	v_mul_f64 v[30:31], v[114:115], v[244:245]
	v_add_f64 v[26:27], v[26:27], v[28:29]
	s_waitcnt lgkmcnt(4)
	v_mul_f64 v[34:35], v[18:19], v[118:119]
	v_fma_f64 v[246:247], v[102:103], v[112:113], -v[104:105]
	v_fmac_f64_e32 v[34:35], v[20:21], v[122:123]
	v_mul_f64 v[108:109], v[108:109], v[248:249]
	v_mul_f64 v[32:33], v[22:23], v[124:125]
	v_fma_f64 v[248:249], v[106:107], v[110:111], -v[108:109]
	s_waitcnt lgkmcnt(2)
	v_mul_f64 v[38:39], v[10:11], v[126:127]
	v_mul_f64 v[20:21], v[20:21], v[118:119]
	v_fmac_f64_e32 v[38:39], v[12:13], v[128:129]
	v_fma_f64 v[18:19], v[18:19], v[122:123], -v[20:21]
	v_mul_f64 v[36:37], v[14:15], v[132:133]
	v_mul_f64 v[12:13], v[12:13], v[126:127]
	s_waitcnt lgkmcnt(1)
	v_mul_f64 v[40:41], v[6:7], v[130:131]
	v_fma_f64 v[10:11], v[10:11], v[128:129], -v[12:13]
	v_fmac_f64_e32 v[30:31], v[116:117], v[250:251]
	v_add_f64 v[26:27], v[26:27], v[30:31]
	v_fmac_f64_e32 v[32:33], v[24:25], v[140:141]
	v_add_f64 v[26:27], v[26:27], v[32:33]
	;; [unrolled: 2-line block ×3, first 2 shown]
	v_add_f64 v[26:27], v[26:27], v[36:37]
	v_fmac_f64_e32 v[40:41], v[8:9], v[136:137]
	v_add_f64 v[30:31], v[26:27], v[38:39]
	v_add_f64 v[30:31], v[30:31], v[40:41]
	s_waitcnt lgkmcnt(0)
	v_mul_f64 v[32:33], v[2:3], v[134:135]
	v_fmac_f64_e32 v[32:33], v[4:5], v[142:143]
	ds_read_b128 v[26:29], v1 offset:912
	v_add_f64 v[34:35], v[30:31], v[32:33]
	ds_read_b128 v[30:33], v1 offset:928
	buffer_load_dword v231, off, s[0:3], 0 offset:580
	buffer_load_dword v230, off, s[0:3], 0 offset:576
	v_mul_f64 v[116:117], v[116:117], v[244:245]
	s_waitcnt lgkmcnt(1)
	v_mul_f64 v[36:37], v[26:27], v[148:149]
	v_fmac_f64_e32 v[36:37], v[28:29], v[150:151]
	v_add_f64 v[38:39], v[34:35], v[36:37]
	ds_read_b128 v[34:37], v1 offset:944
	s_waitcnt lgkmcnt(1)
	v_mul_f64 v[40:41], v[30:31], v[144:145]
	v_fmac_f64_e32 v[40:41], v[32:33], v[146:147]
	v_add_f64 v[42:43], v[38:39], v[40:41]
	ds_read_b128 v[38:41], v1 offset:960
	;; [unrolled: 5-line block ×4, first 2 shown]
	buffer_load_dword v233, off, s[0:3], 0 offset:636
	buffer_load_dword v235, off, s[0:3], 0 offset:620
	;; [unrolled: 1-line block ×12, first 2 shown]
	s_waitcnt vmcnt(62) lgkmcnt(1)
	v_mul_f64 v[52:53], v[42:43], v[176:177]
	v_fmac_f64_e32 v[52:53], v[44:45], v[180:181]
	v_add_f64 v[54:55], v[50:51], v[52:53]
	ds_read_b128 v[50:53], v1 offset:1008
	s_waitcnt lgkmcnt(1)
	v_mul_f64 v[56:57], v[46:47], v[156:157]
	v_fmac_f64_e32 v[56:57], v[48:49], v[158:159]
	v_add_f64 v[58:59], v[54:55], v[56:57]
	ds_read_b128 v[54:57], v1 offset:1024
	s_waitcnt lgkmcnt(1)
	v_mul_f64 v[60:61], v[50:51], v[184:185]
	s_waitcnt vmcnt(60)
	v_fmac_f64_e32 v[60:61], v[52:53], v[188:189]
	v_add_f64 v[62:63], v[58:59], v[60:61]
	ds_read_b128 v[58:61], v1 offset:1040
	s_waitcnt lgkmcnt(1)
	v_mul_f64 v[64:65], v[54:55], v[164:165]
	v_fmac_f64_e32 v[64:65], v[56:57], v[166:167]
	v_add_f64 v[66:67], v[62:63], v[64:65]
	ds_read_b128 v[62:65], v1 offset:1056
	s_waitcnt vmcnt(54) lgkmcnt(1)
	v_mul_f64 v[68:69], v[58:59], v[200:201]
	s_waitcnt vmcnt(52)
	v_fmac_f64_e32 v[68:69], v[60:61], v[204:205]
	v_add_f64 v[70:71], v[66:67], v[68:69]
	ds_read_b128 v[66:69], v1 offset:1072
	s_waitcnt lgkmcnt(1)
	v_mul_f64 v[72:73], v[62:63], v[168:169]
	v_fmac_f64_e32 v[72:73], v[64:65], v[170:171]
	v_add_f64 v[74:75], v[70:71], v[72:73]
	ds_read_b128 v[70:73], v1 offset:1088
	s_waitcnt vmcnt(46) lgkmcnt(1)
	;; [unrolled: 11-line block ×4, first 2 shown]
	v_mul_f64 v[92:93], v[82:83], v[220:221]
	s_waitcnt vmcnt(28)
	v_fmac_f64_e32 v[92:93], v[84:85], v[222:223]
	v_add_f64 v[98:99], v[90:91], v[92:93]
	ds_read_b128 v[90:93], v1 offset:1168
	ds_read_b128 v[94:97], v1 offset:1184
	s_waitcnt lgkmcnt(2)
	v_mul_f64 v[100:101], v[86:87], v[186:187]
	v_fmac_f64_e32 v[100:101], v[88:89], v[198:199]
	v_add_f64 v[98:99], v[98:99], v[100:101]
	s_waitcnt vmcnt(22) lgkmcnt(1)
	v_mul_f64 v[100:101], v[90:91], v[224:225]
	s_waitcnt vmcnt(20)
	v_fmac_f64_e32 v[100:101], v[92:93], v[226:227]
	v_add_f64 v[98:99], v[98:99], v[100:101]
	s_waitcnt lgkmcnt(0)
	v_mul_f64 v[100:101], v[94:95], v[202:203]
	v_fmac_f64_e32 v[100:101], v[96:97], v[206:207]
	v_add_f64 v[190:191], v[98:99], v[100:101]
	ds_read_b128 v[98:101], v1 offset:1200
	ds_read_b128 v[102:105], v1 offset:1216
	;; [unrolled: 1-line block ×3, first 2 shown]
	v_fma_f64 v[250:251], v[114:115], v[250:251], -v[116:117]
	ds_read_b128 v[114:117], v1 offset:1264
	s_waitcnt vmcnt(14) lgkmcnt(3)
	v_mul_f64 v[112:113], v[98:99], v[228:229]
	s_waitcnt lgkmcnt(2)
	v_mul_f64 v[110:111], v[102:103], v[210:211]
	s_waitcnt vmcnt(12)
	v_fmac_f64_e32 v[112:113], v[100:101], v[230:231]
	v_add_f64 v[112:113], v[190:191], v[112:113]
	v_fmac_f64_e32 v[110:111], v[104:105], v[214:215]
	v_add_f64 v[190:191], v[112:113], v[110:111]
	ds_read_b128 v[110:113], v1 offset:1248
	buffer_load_dword v254, off, s[0:3], 0 offset:128
	buffer_load_dword v255, off, s[0:3], 0 offset:132
	;; [unrolled: 1-line block ×4, first 2 shown]
	v_mul_f64 v[24:25], v[24:25], v[124:125]
	v_fma_f64 v[22:23], v[22:23], v[140:141], -v[24:25]
	v_mul_f64 v[16:17], v[16:17], v[132:133]
	s_waitcnt vmcnt(13) lgkmcnt(2)
	v_mul_f64 v[192:193], v[106:107], v[234:235]
	v_fma_f64 v[14:15], v[14:15], v[138:139], -v[16:17]
	s_waitcnt vmcnt(11)
	v_fmac_f64_e32 v[192:193], v[108:109], v[240:241]
	v_add_f64 v[190:191], v[190:191], v[192:193]
	s_waitcnt vmcnt(10) lgkmcnt(0)
	v_mul_f64 v[192:193], v[110:111], v[232:233]
	s_waitcnt vmcnt(8)
	v_fmac_f64_e32 v[192:193], v[112:113], v[238:239]
	v_add_f64 v[190:191], v[190:191], v[192:193]
	s_waitcnt vmcnt(6)
	v_mul_f64 v[192:193], v[114:115], v[236:237]
	v_mul_f64 v[8:9], v[8:9], v[130:131]
	s_waitcnt vmcnt(4)
	v_fmac_f64_e32 v[192:193], v[116:117], v[242:243]
	v_add_f64 v[244:245], v[190:191], v[192:193]
	v_add_f64 v[190:191], v[246:247], 0
	;; [unrolled: 1-line block ×8, first 2 shown]
	v_fma_f64 v[6:7], v[6:7], v[136:137], -v[8:9]
	v_mul_f64 v[4:5], v[4:5], v[134:135]
	v_add_f64 v[6:7], v[10:11], v[6:7]
	v_fma_f64 v[2:3], v[2:3], v[142:143], -v[4:5]
	v_mul_f64 v[4:5], v[28:29], v[148:149]
	v_add_f64 v[2:3], v[6:7], v[2:3]
	v_fma_f64 v[4:5], v[26:27], v[150:151], -v[4:5]
	v_add_f64 v[2:3], v[2:3], v[4:5]
	v_mul_f64 v[4:5], v[32:33], v[144:145]
	v_fma_f64 v[4:5], v[30:31], v[146:147], -v[4:5]
	v_add_f64 v[2:3], v[2:3], v[4:5]
	v_mul_f64 v[4:5], v[36:37], v[160:161]
	;; [unrolled: 3-line block ×22, first 2 shown]
	v_fma_f64 v[4:5], v[114:115], v[242:243], -v[4:5]
	v_add_f64 v[2:3], v[2:3], v[4:5]
	s_waitcnt vmcnt(2)
	v_add_f64 v[2:3], v[254:255], -v[2:3]
	s_waitcnt vmcnt(0)
	v_add_f64 v[4:5], v[252:253], -v[244:245]
	buffer_store_dword v3, off, s[0:3], 0 offset:132
	buffer_store_dword v2, off, s[0:3], 0 offset:128
	;; [unrolled: 1-line block ×4, first 2 shown]
	s_and_saveexec_b64 s[4:5], vcc
	s_cbranch_execz .LBB103_241
; %bb.240:
	v_accvgpr_read_b32 v1, a113
	buffer_load_dword v2, v1, s[0:3], 0 offen
	buffer_load_dword v3, v1, s[0:3], 0 offen offset:4
	buffer_load_dword v4, v1, s[0:3], 0 offen offset:8
	;; [unrolled: 1-line block ×3, first 2 shown]
	v_mov_b32_e32 v1, 0
	v_accvgpr_read_b32 v6, a119
	buffer_store_dword v1, off, s[0:3], 0 offset:112
	buffer_store_dword v1, off, s[0:3], 0 offset:116
	;; [unrolled: 1-line block ×4, first 2 shown]
	s_waitcnt vmcnt(4)
	ds_write_b128 v6, v[2:5]
.LBB103_241:
	s_or_b64 exec, exec, s[4:5]
	s_waitcnt lgkmcnt(0)
	; wave barrier
	s_waitcnt lgkmcnt(0)
	buffer_load_dword v94, off, s[0:3], 0 offset:128
	buffer_load_dword v95, off, s[0:3], 0 offset:132
	;; [unrolled: 1-line block ×52, first 2 shown]
	v_mov_b32_e32 v1, 0
	ds_read_b128 v[102:105], v1 offset:752
	ds_read_b128 v[114:117], v1 offset:768
	;; [unrolled: 1-line block ×10, first 2 shown]
	v_cmp_lt_u32_e32 vcc, 5, v0
	s_waitcnt vmcnt(48) lgkmcnt(9)
	v_mul_f64 v[26:27], v[102:103], v[96:97]
	v_fmac_f64_e32 v[26:27], v[104:105], v[94:95]
	v_add_f64 v[26:27], v[26:27], 0
	v_mul_f64 v[96:97], v[104:105], v[96:97]
	s_waitcnt vmcnt(44) lgkmcnt(8)
	v_mul_f64 v[28:29], v[114:115], v[100:101]
	v_fmac_f64_e32 v[28:29], v[116:117], v[98:99]
	s_waitcnt vmcnt(42) lgkmcnt(7)
	v_mul_f64 v[30:31], v[244:245], v[106:107]
	v_add_f64 v[26:27], v[26:27], v[28:29]
	s_waitcnt vmcnt(40) lgkmcnt(5)
	v_mul_f64 v[34:35], v[22:23], v[122:123]
	v_fma_f64 v[192:193], v[102:103], v[94:95], -v[96:97]
	s_waitcnt vmcnt(38)
	v_fmac_f64_e32 v[34:35], v[24:25], v[126:127]
	v_mul_f64 v[100:101], v[116:117], v[100:101]
	s_waitcnt vmcnt(36)
	v_mul_f64 v[32:33], v[250:251], v[110:111]
	v_fma_f64 v[254:255], v[114:115], v[98:99], -v[100:101]
	s_waitcnt vmcnt(34) lgkmcnt(3)
	v_mul_f64 v[38:39], v[14:15], v[118:119]
	v_mul_f64 v[106:107], v[246:247], v[106:107]
	s_waitcnt vmcnt(32)
	v_fmac_f64_e32 v[38:39], v[16:17], v[124:125]
	v_mul_f64 v[110:111], v[252:253], v[110:111]
	s_waitcnt vmcnt(30)
	v_mul_f64 v[36:37], v[18:19], v[132:133]
	v_mul_f64 v[24:25], v[24:25], v[122:123]
	v_fma_f64 v[22:23], v[22:23], v[126:127], -v[24:25]
	s_waitcnt vmcnt(27) lgkmcnt(2)
	v_mul_f64 v[40:41], v[10:11], v[130:131]
	s_waitcnt vmcnt(26) lgkmcnt(1)
	v_mul_f64 v[42:43], v[6:7], v[128:129]
	v_mul_f64 v[16:17], v[16:17], v[118:119]
	s_waitcnt vmcnt(24)
	v_fmac_f64_e32 v[30:31], v[246:247], v[108:109]
	v_add_f64 v[26:27], v[26:27], v[30:31]
	s_waitcnt vmcnt(22)
	v_fmac_f64_e32 v[32:33], v[252:253], v[112:113]
	v_add_f64 v[26:27], v[26:27], v[32:33]
	;; [unrolled: 3-line block ×3, first 2 shown]
	v_add_f64 v[26:27], v[26:27], v[36:37]
	s_waitcnt vmcnt(18)
	v_fmac_f64_e32 v[40:41], v[12:13], v[134:135]
	v_add_f64 v[26:27], v[26:27], v[38:39]
	v_add_f64 v[26:27], v[26:27], v[40:41]
	s_waitcnt vmcnt(16)
	v_fmac_f64_e32 v[42:43], v[8:9], v[140:141]
	v_add_f64 v[34:35], v[26:27], v[42:43]
	ds_read_b128 v[26:29], v1 offset:912
	ds_read_b128 v[30:33], v1 offset:928
	buffer_load_dword v157, off, s[0:3], 0 offset:364
	buffer_load_dword v156, off, s[0:3], 0 offset:360
	;; [unrolled: 1-line block ×56, first 2 shown]
	s_waitcnt vmcnt(62) lgkmcnt(2)
	v_mul_f64 v[36:37], v[2:3], v[144:145]
	v_fmac_f64_e32 v[36:37], v[4:5], v[146:147]
	v_add_f64 v[34:35], v[34:35], v[36:37]
	s_waitcnt lgkmcnt(1)
	v_mul_f64 v[36:37], v[26:27], v[138:139]
	v_fmac_f64_e32 v[36:37], v[28:29], v[142:143]
	v_add_f64 v[34:35], v[34:35], v[36:37]
	s_waitcnt lgkmcnt(0)
	v_mul_f64 v[36:37], v[30:31], v[148:149]
	s_waitcnt vmcnt(60)
	v_fmac_f64_e32 v[36:37], v[32:33], v[152:153]
	v_add_f64 v[42:43], v[34:35], v[36:37]
	ds_read_b128 v[34:37], v1 offset:944
	buffer_load_dword v209, off, s[0:3], 0 offset:588
	buffer_load_dword v208, off, s[0:3], 0 offset:584
	;; [unrolled: 1-line block ×16, first 2 shown]
	ds_read_b128 v[38:41], v1 offset:960
	buffer_load_dword v231, off, s[0:3], 0 offset:652
	buffer_load_dword v230, off, s[0:3], 0 offset:648
	;; [unrolled: 1-line block ×8, first 2 shown]
	ds_read_b128 v[98:101], v1 offset:1200
	s_waitcnt vmcnt(62) lgkmcnt(2)
	v_mul_f64 v[44:45], v[34:35], v[150:151]
	v_fmac_f64_e32 v[44:45], v[36:37], v[154:155]
	v_add_f64 v[46:47], v[42:43], v[44:45]
	ds_read_b128 v[42:45], v1 offset:976
	v_fma_f64 v[248:249], v[244:245], v[108:109], -v[106:107]
	ds_read_b128 v[106:109], v1 offset:1232
	v_fma_f64 v[246:247], v[250:251], v[112:113], -v[110:111]
	v_mul_f64 v[20:21], v[20:21], v[132:133]
	v_fma_f64 v[18:19], v[18:19], v[136:137], -v[20:21]
	v_fma_f64 v[14:15], v[14:15], v[124:125], -v[16:17]
	v_mul_f64 v[12:13], v[12:13], v[130:131]
	v_fma_f64 v[10:11], v[10:11], v[134:135], -v[12:13]
	v_mul_f64 v[8:9], v[8:9], v[128:129]
	;; [unrolled: 2-line block ×3, first 2 shown]
	s_waitcnt lgkmcnt(3)
	v_mul_f64 v[48:49], v[38:39], v[172:173]
	v_fma_f64 v[2:3], v[2:3], v[146:147], -v[4:5]
	v_fmac_f64_e32 v[48:49], v[40:41], v[176:177]
	v_add_f64 v[50:51], v[46:47], v[48:49]
	ds_read_b128 v[46:49], v1 offset:992
	s_waitcnt lgkmcnt(2)
	v_mul_f64 v[52:53], v[42:43], v[156:157]
	v_fmac_f64_e32 v[52:53], v[44:45], v[158:159]
	v_add_f64 v[54:55], v[50:51], v[52:53]
	ds_read_b128 v[50:53], v1 offset:1008
	s_waitcnt lgkmcnt(1)
	v_mul_f64 v[56:57], v[46:47], v[180:181]
	;; [unrolled: 5-line block ×3, first 2 shown]
	v_fmac_f64_e32 v[60:61], v[52:53], v[162:163]
	v_add_f64 v[62:63], v[58:59], v[60:61]
	ds_read_b128 v[58:61], v1 offset:1040
	s_waitcnt vmcnt(58) lgkmcnt(1)
	v_mul_f64 v[64:65], v[54:55], v[188:189]
	s_waitcnt vmcnt(56)
	v_fmac_f64_e32 v[64:65], v[56:57], v[200:201]
	v_add_f64 v[66:67], v[62:63], v[64:65]
	ds_read_b128 v[62:65], v1 offset:1056
	s_waitcnt lgkmcnt(1)
	v_mul_f64 v[68:69], v[58:59], v[164:165]
	v_fmac_f64_e32 v[68:69], v[60:61], v[166:167]
	v_add_f64 v[70:71], v[66:67], v[68:69]
	ds_read_b128 v[66:69], v1 offset:1072
	s_waitcnt vmcnt(50) lgkmcnt(1)
	v_mul_f64 v[72:73], v[62:63], v[204:205]
	s_waitcnt vmcnt(48)
	v_fmac_f64_e32 v[72:73], v[64:65], v[206:207]
	v_add_f64 v[74:75], v[70:71], v[72:73]
	ds_read_b128 v[70:73], v1 offset:1088
	s_waitcnt lgkmcnt(1)
	v_mul_f64 v[76:77], v[66:67], v[168:169]
	;; [unrolled: 11-line block ×3, first 2 shown]
	v_fmac_f64_e32 v[84:85], v[76:77], v[178:179]
	v_add_f64 v[90:91], v[82:83], v[84:85]
	ds_read_b128 v[82:85], v1 offset:1136
	ds_read_b128 v[86:89], v1 offset:1152
	s_waitcnt vmcnt(34) lgkmcnt(2)
	v_mul_f64 v[92:93], v[78:79], v[218:219]
	s_waitcnt vmcnt(32)
	v_fmac_f64_e32 v[92:93], v[80:81], v[224:225]
	v_add_f64 v[90:91], v[90:91], v[92:93]
	s_waitcnt lgkmcnt(1)
	v_mul_f64 v[92:93], v[82:83], v[182:183]
	v_fmac_f64_e32 v[92:93], v[84:85], v[186:187]
	v_add_f64 v[90:91], v[90:91], v[92:93]
	s_waitcnt vmcnt(27) lgkmcnt(0)
	v_mul_f64 v[92:93], v[86:87], v[222:223]
	s_waitcnt vmcnt(25)
	v_fmac_f64_e32 v[92:93], v[88:89], v[226:227]
	v_add_f64 v[190:191], v[90:91], v[92:93]
	ds_read_b128 v[90:93], v1 offset:1168
	ds_read_b128 v[94:97], v1 offset:1184
	;; [unrolled: 1-line block ×3, first 2 shown]
	v_mul_f64 v[4:5], v[28:29], v[138:139]
	v_fma_f64 v[4:5], v[26:27], v[142:143], -v[4:5]
	s_waitcnt lgkmcnt(2)
	v_mul_f64 v[102:103], v[90:91], v[198:199]
	s_waitcnt vmcnt(24)
	v_fmac_f64_e32 v[102:103], v[92:93], v[202:203]
	s_waitcnt vmcnt(18) lgkmcnt(1)
	v_mul_f64 v[104:105], v[94:95], v[228:229]
	v_add_f64 v[102:103], v[190:191], v[102:103]
	s_waitcnt vmcnt(16)
	v_fmac_f64_e32 v[104:105], v[96:97], v[232:233]
	v_add_f64 v[102:103], v[102:103], v[104:105]
	v_mul_f64 v[104:105], v[98:99], v[208:209]
	v_fmac_f64_e32 v[104:105], v[100:101], v[212:213]
	v_add_f64 v[114:115], v[102:103], v[104:105]
	ds_read_b128 v[102:105], v1 offset:1216
	s_waitcnt vmcnt(10) lgkmcnt(0)
	v_mul_f64 v[116:117], v[102:103], v[236:237]
	s_waitcnt vmcnt(8)
	v_fmac_f64_e32 v[116:117], v[104:105], v[238:239]
	v_add_f64 v[114:115], v[114:115], v[116:117]
	v_mul_f64 v[116:117], v[106:107], v[216:217]
	v_fmac_f64_e32 v[116:117], v[108:109], v[220:221]
	v_add_f64 v[114:115], v[114:115], v[116:117]
	s_waitcnt vmcnt(2)
	v_mul_f64 v[116:117], v[110:111], v[240:241]
	s_waitcnt vmcnt(0)
	v_fmac_f64_e32 v[116:117], v[112:113], v[242:243]
	v_add_f64 v[190:191], v[114:115], v[116:117]
	ds_read_b128 v[114:117], v1 offset:1264
	buffer_load_dword v252, off, s[0:3], 0 offset:112
	buffer_load_dword v253, off, s[0:3], 0 offset:116
	s_waitcnt lgkmcnt(0)
	v_mul_f64 v[244:245], v[114:115], v[230:231]
	v_fmac_f64_e32 v[244:245], v[116:117], v[234:235]
	v_add_f64 v[244:245], v[190:191], v[244:245]
	v_add_f64 v[190:191], v[192:193], 0
	;; [unrolled: 1-line block ×4, first 2 shown]
	buffer_load_dword v248, off, s[0:3], 0 offset:120
	buffer_load_dword v249, off, s[0:3], 0 offset:124
	v_add_f64 v[190:191], v[190:191], v[246:247]
	v_add_f64 v[22:23], v[190:191], v[22:23]
	;; [unrolled: 1-line block ×8, first 2 shown]
	v_mul_f64 v[4:5], v[32:33], v[148:149]
	v_fma_f64 v[4:5], v[30:31], v[152:153], -v[4:5]
	v_add_f64 v[2:3], v[2:3], v[4:5]
	v_mul_f64 v[4:5], v[36:37], v[150:151]
	v_fma_f64 v[4:5], v[34:35], v[154:155], -v[4:5]
	v_add_f64 v[2:3], v[2:3], v[4:5]
	;; [unrolled: 3-line block ×22, first 2 shown]
	s_waitcnt vmcnt(2)
	v_add_f64 v[2:3], v[252:253], -v[2:3]
	s_waitcnt vmcnt(0)
	v_add_f64 v[4:5], v[248:249], -v[244:245]
	buffer_store_dword v3, off, s[0:3], 0 offset:116
	buffer_store_dword v2, off, s[0:3], 0 offset:112
	;; [unrolled: 1-line block ×4, first 2 shown]
	s_and_saveexec_b64 s[4:5], vcc
	s_cbranch_execz .LBB103_243
; %bb.242:
	v_accvgpr_read_b32 v5, a114
	buffer_load_dword v2, v5, s[0:3], 0 offen
	buffer_load_dword v3, v5, s[0:3], 0 offen offset:4
	buffer_load_dword v4, v5, s[0:3], 0 offen offset:8
	s_nop 0
	buffer_load_dword v5, v5, s[0:3], 0 offen offset:12
	v_accvgpr_read_b32 v6, a119
	buffer_store_dword v1, off, s[0:3], 0 offset:96
	buffer_store_dword v1, off, s[0:3], 0 offset:100
	;; [unrolled: 1-line block ×4, first 2 shown]
	s_waitcnt vmcnt(4)
	ds_write_b128 v6, v[2:5]
.LBB103_243:
	s_or_b64 exec, exec, s[4:5]
	s_waitcnt lgkmcnt(0)
	; wave barrier
	s_waitcnt lgkmcnt(0)
	buffer_load_dword v86, off, s[0:3], 0 offset:112
	buffer_load_dword v87, off, s[0:3], 0 offset:116
	;; [unrolled: 1-line block ×42, first 2 shown]
	ds_read_b128 v[94:97], v1 offset:736
	ds_read_b128 v[106:109], v1 offset:752
	;; [unrolled: 1-line block ×10, first 2 shown]
	buffer_load_dword v147, off, s[0:3], 0 offset:260
	buffer_load_dword v146, off, s[0:3], 0 offset:256
	ds_read_b128 v[6:9], v1 offset:896
	buffer_load_dword v143, off, s[0:3], 0 offset:316
	buffer_load_dword v142, off, s[0:3], 0 offset:312
	;; [unrolled: 1-line block ×80, first 2 shown]
	v_cmp_lt_u32_e32 vcc, 4, v0
	s_waitcnt vmcnt(62) lgkmcnt(10)
	v_mul_f64 v[26:27], v[94:95], v[88:89]
	v_fmac_f64_e32 v[26:27], v[96:97], v[86:87]
	v_add_f64 v[26:27], v[26:27], 0
	v_mul_f64 v[88:89], v[96:97], v[88:89]
	s_waitcnt lgkmcnt(9)
	v_mul_f64 v[28:29], v[106:107], v[92:93]
	v_fmac_f64_e32 v[28:29], v[108:109], v[90:91]
	s_waitcnt lgkmcnt(8)
	v_mul_f64 v[30:31], v[114:115], v[98:99]
	v_add_f64 v[26:27], v[26:27], v[28:29]
	s_waitcnt lgkmcnt(6)
	v_mul_f64 v[34:35], v[248:249], v[110:111]
	v_fma_f64 v[192:193], v[94:95], v[86:87], -v[88:89]
	v_fmac_f64_e32 v[34:35], v[250:251], v[112:113]
	v_mul_f64 v[92:93], v[108:109], v[92:93]
	v_mul_f64 v[32:33], v[244:245], v[102:103]
	;; [unrolled: 1-line block ×3, first 2 shown]
	s_waitcnt lgkmcnt(4)
	v_mul_f64 v[38:39], v[18:19], v[118:119]
	v_mul_f64 v[102:103], v[246:247], v[102:103]
	v_fmac_f64_e32 v[38:39], v[20:21], v[122:123]
	v_mul_f64 v[110:111], v[250:251], v[110:111]
	v_mul_f64 v[36:37], v[22:23], v[124:125]
	v_fma_f64 v[248:249], v[248:249], v[112:113], -v[110:111]
	s_waitcnt lgkmcnt(2)
	v_mul_f64 v[42:43], v[10:11], v[126:127]
	v_add_f64 v[192:193], v[192:193], 0
	v_mul_f64 v[20:21], v[20:21], v[118:119]
	v_mul_f64 v[40:41], v[14:15], v[132:133]
	v_fma_f64 v[18:19], v[18:19], v[122:123], -v[20:21]
	s_waitcnt lgkmcnt(1)
	v_mul_f64 v[44:45], v[2:3], v[130:131]
	v_fmac_f64_e32 v[30:31], v[116:117], v[100:101]
	v_add_f64 v[26:27], v[26:27], v[30:31]
	v_fmac_f64_e32 v[32:33], v[246:247], v[104:105]
	v_add_f64 v[26:27], v[26:27], v[32:33]
	;; [unrolled: 2-line block ×3, first 2 shown]
	v_add_f64 v[26:27], v[26:27], v[36:37]
	v_fmac_f64_e32 v[40:41], v[16:17], v[134:135]
	v_add_f64 v[26:27], v[26:27], v[38:39]
	v_fmac_f64_e32 v[42:43], v[12:13], v[128:129]
	v_add_f64 v[26:27], v[26:27], v[40:41]
	v_add_f64 v[26:27], v[26:27], v[42:43]
	s_waitcnt lgkmcnt(0)
	v_mul_f64 v[32:33], v[6:7], v[138:139]
	v_fmac_f64_e32 v[44:45], v[4:5], v[146:147]
	v_add_f64 v[30:31], v[26:27], v[44:45]
	ds_read_b128 v[26:29], v1 offset:912
	v_fmac_f64_e32 v[32:33], v[8:9], v[140:141]
	v_add_f64 v[34:35], v[30:31], v[32:33]
	ds_read_b128 v[30:33], v1 offset:928
	v_fma_f64 v[252:253], v[114:115], v[100:101], -v[98:99]
	s_waitcnt lgkmcnt(1)
	v_mul_f64 v[36:37], v[26:27], v[148:149]
	v_fmac_f64_e32 v[36:37], v[28:29], v[164:165]
	v_add_f64 v[38:39], v[34:35], v[36:37]
	ds_read_b128 v[34:37], v1 offset:944
	s_waitcnt lgkmcnt(1)
	v_mul_f64 v[40:41], v[30:31], v[142:143]
	v_fmac_f64_e32 v[40:41], v[32:33], v[144:145]
	v_add_f64 v[42:43], v[38:39], v[40:41]
	ds_read_b128 v[38:41], v1 offset:960
	;; [unrolled: 5-line block ×4, first 2 shown]
	s_waitcnt vmcnt(58) lgkmcnt(1)
	v_mul_f64 v[52:53], v[42:43], v[176:177]
	s_waitcnt vmcnt(56)
	v_fmac_f64_e32 v[52:53], v[44:45], v[180:181]
	v_add_f64 v[54:55], v[50:51], v[52:53]
	ds_read_b128 v[50:53], v1 offset:1008
	buffer_load_dword v232, off, s[0:3], 0 offset:632
	buffer_load_dword v237, off, s[0:3], 0 offset:620
	;; [unrolled: 1-line block ×8, first 2 shown]
	s_waitcnt lgkmcnt(1)
	v_mul_f64 v[56:57], v[46:47], v[154:155]
	v_fmac_f64_e32 v[56:57], v[48:49], v[156:157]
	v_add_f64 v[58:59], v[54:55], v[56:57]
	ds_read_b128 v[54:57], v1 offset:1024
	buffer_load_dword v241, off, s[0:3], 0 offset:652
	buffer_load_dword v240, off, s[0:3], 0 offset:648
	;; [unrolled: 1-line block ×4, first 2 shown]
	s_waitcnt vmcnt(62) lgkmcnt(1)
	v_mul_f64 v[60:61], v[50:51], v[184:185]
	s_waitcnt vmcnt(60)
	v_fmac_f64_e32 v[60:61], v[52:53], v[198:199]
	v_add_f64 v[62:63], v[58:59], v[60:61]
	ds_read_b128 v[58:61], v1 offset:1040
	s_waitcnt lgkmcnt(1)
	v_mul_f64 v[64:65], v[54:55], v[158:159]
	v_fmac_f64_e32 v[64:65], v[56:57], v[160:161]
	v_add_f64 v[66:67], v[62:63], v[64:65]
	ds_read_b128 v[62:65], v1 offset:1056
	s_waitcnt vmcnt(54) lgkmcnt(1)
	v_mul_f64 v[68:69], v[58:59], v[202:203]
	s_waitcnt vmcnt(52)
	v_fmac_f64_e32 v[68:69], v[60:61], v[206:207]
	v_add_f64 v[70:71], v[66:67], v[68:69]
	ds_read_b128 v[66:69], v1 offset:1072
	s_waitcnt lgkmcnt(1)
	v_mul_f64 v[72:73], v[62:63], v[162:163]
	v_fmac_f64_e32 v[72:73], v[64:65], v[166:167]
	v_add_f64 v[74:75], v[70:71], v[72:73]
	ds_read_b128 v[70:73], v1 offset:1088
	s_waitcnt vmcnt(46) lgkmcnt(1)
	v_mul_f64 v[76:77], v[66:67], v[210:211]
	s_waitcnt vmcnt(44)
	v_fmac_f64_e32 v[76:77], v[68:69], v[214:215]
	v_add_f64 v[82:83], v[74:75], v[76:77]
	ds_read_b128 v[74:77], v1 offset:1104
	ds_read_b128 v[78:81], v1 offset:1120
	s_waitcnt lgkmcnt(2)
	v_mul_f64 v[84:85], v[70:71], v[170:171]
	v_fmac_f64_e32 v[84:85], v[72:73], v[174:175]
	v_add_f64 v[82:83], v[82:83], v[84:85]
	s_waitcnt vmcnt(38) lgkmcnt(1)
	v_mul_f64 v[84:85], v[74:75], v[218:219]
	s_waitcnt vmcnt(36)
	v_fmac_f64_e32 v[84:85], v[76:77], v[220:221]
	v_add_f64 v[82:83], v[82:83], v[84:85]
	s_waitcnt lgkmcnt(0)
	v_mul_f64 v[84:85], v[78:79], v[178:179]
	v_fmac_f64_e32 v[84:85], v[80:81], v[182:183]
	v_add_f64 v[190:191], v[82:83], v[84:85]
	ds_read_b128 v[82:85], v1 offset:1136
	ds_read_b128 v[86:89], v1 offset:1152
	;; [unrolled: 1-line block ×3, first 2 shown]
	v_fma_f64 v[246:247], v[244:245], v[104:105], -v[102:103]
	ds_read_b128 v[102:105], v1 offset:1232
	ds_read_b128 v[110:113], v1 offset:1248
	s_waitcnt vmcnt(30) lgkmcnt(4)
	v_mul_f64 v[94:95], v[82:83], v[222:223]
	s_waitcnt vmcnt(28)
	v_fmac_f64_e32 v[94:95], v[84:85], v[224:225]
	v_add_f64 v[94:95], v[190:191], v[94:95]
	v_fma_f64 v[190:191], v[106:107], v[90:91], -v[92:93]
	ds_read_b128 v[90:93], v1 offset:1168
	s_waitcnt lgkmcnt(4)
	v_mul_f64 v[96:97], v[86:87], v[186:187]
	v_fmac_f64_e32 v[96:97], v[88:89], v[200:201]
	v_add_f64 v[106:107], v[94:95], v[96:97]
	ds_read_b128 v[94:97], v1 offset:1184
	s_waitcnt vmcnt(22) lgkmcnt(1)
	v_mul_f64 v[108:109], v[90:91], v[226:227]
	s_waitcnt vmcnt(20)
	v_fmac_f64_e32 v[108:109], v[92:93], v[228:229]
	v_add_f64 v[106:107], v[106:107], v[108:109]
	v_add_f64 v[190:191], v[192:193], v[190:191]
	s_waitcnt lgkmcnt(0)
	v_mul_f64 v[108:109], v[94:95], v[204:205]
	v_fmac_f64_e32 v[108:109], v[96:97], v[208:209]
	v_add_f64 v[114:115], v[106:107], v[108:109]
	ds_read_b128 v[106:109], v1 offset:1216
	s_waitcnt vmcnt(14)
	v_mul_f64 v[116:117], v[98:99], v[230:231]
	s_waitcnt vmcnt(12)
	v_fmac_f64_e32 v[116:117], v[100:101], v[188:189]
	v_add_f64 v[114:115], v[114:115], v[116:117]
	v_mul_f64 v[24:25], v[24:25], v[124:125]
	s_waitcnt lgkmcnt(0)
	v_mul_f64 v[116:117], v[106:107], v[212:213]
	v_fmac_f64_e32 v[116:117], v[108:109], v[216:217]
	v_add_f64 v[114:115], v[114:115], v[116:117]
	v_fma_f64 v[22:23], v[22:23], v[136:137], -v[24:25]
	v_mul_f64 v[16:17], v[16:17], v[132:133]
	v_fma_f64 v[14:15], v[14:15], v[134:135], -v[16:17]
	v_mul_f64 v[12:13], v[12:13], v[126:127]
	;; [unrolled: 2-line block ×4, first 2 shown]
	v_fma_f64 v[4:5], v[6:7], v[140:141], -v[4:5]
	s_waitcnt vmcnt(9)
	v_mul_f64 v[116:117], v[102:103], v[236:237]
	s_waitcnt vmcnt(7)
	v_fmac_f64_e32 v[116:117], v[104:105], v[238:239]
	v_add_f64 v[114:115], v[114:115], v[116:117]
	s_waitcnt vmcnt(5)
	v_mul_f64 v[116:117], v[110:111], v[232:233]
	s_waitcnt vmcnt(4)
	v_fmac_f64_e32 v[116:117], v[112:113], v[234:235]
	v_add_f64 v[244:245], v[114:115], v[116:117]
	ds_read_b128 v[114:117], v1 offset:1264
	s_waitcnt vmcnt(2) lgkmcnt(0)
	v_mul_f64 v[250:251], v[114:115], v[240:241]
	s_waitcnt vmcnt(0)
	v_fmac_f64_e32 v[250:251], v[116:117], v[242:243]
	v_add_f64 v[244:245], v[244:245], v[250:251]
	v_add_f64 v[250:251], v[190:191], v[252:253]
	buffer_load_dword v254, off, s[0:3], 0 offset:96
	buffer_load_dword v255, off, s[0:3], 0 offset:100
	;; [unrolled: 1-line block ×4, first 2 shown]
	v_add_f64 v[190:191], v[250:251], v[246:247]
	v_add_f64 v[190:191], v[190:191], v[248:249]
	;; [unrolled: 1-line block ×8, first 2 shown]
	v_mul_f64 v[4:5], v[28:29], v[148:149]
	v_fma_f64 v[4:5], v[26:27], v[164:165], -v[4:5]
	v_add_f64 v[2:3], v[2:3], v[4:5]
	v_mul_f64 v[4:5], v[32:33], v[142:143]
	v_fma_f64 v[4:5], v[30:31], v[144:145], -v[4:5]
	v_add_f64 v[2:3], v[2:3], v[4:5]
	;; [unrolled: 3-line block ×23, first 2 shown]
	s_waitcnt vmcnt(2)
	v_add_f64 v[2:3], v[254:255], -v[2:3]
	s_waitcnt vmcnt(0)
	v_add_f64 v[4:5], v[252:253], -v[244:245]
	buffer_store_dword v3, off, s[0:3], 0 offset:100
	buffer_store_dword v2, off, s[0:3], 0 offset:96
	;; [unrolled: 1-line block ×4, first 2 shown]
	s_and_saveexec_b64 s[4:5], vcc
	s_cbranch_execz .LBB103_245
; %bb.244:
	v_accvgpr_read_b32 v1, a115
	buffer_load_dword v2, v1, s[0:3], 0 offen
	buffer_load_dword v3, v1, s[0:3], 0 offen offset:4
	buffer_load_dword v4, v1, s[0:3], 0 offen offset:8
	;; [unrolled: 1-line block ×3, first 2 shown]
	v_mov_b32_e32 v1, 0
	v_accvgpr_read_b32 v6, a119
	buffer_store_dword v1, off, s[0:3], 0 offset:80
	buffer_store_dword v1, off, s[0:3], 0 offset:84
	;; [unrolled: 1-line block ×4, first 2 shown]
	s_waitcnt vmcnt(4)
	ds_write_b128 v6, v[2:5]
.LBB103_245:
	s_or_b64 exec, exec, s[4:5]
	s_waitcnt lgkmcnt(0)
	; wave barrier
	s_waitcnt lgkmcnt(0)
	buffer_load_dword v82, off, s[0:3], 0 offset:96
	buffer_load_dword v83, off, s[0:3], 0 offset:100
	;; [unrolled: 1-line block ×54, first 2 shown]
	v_mov_b32_e32 v1, 0
	ds_read_b128 v[90:93], v1 offset:720
	ds_read_b128 v[106:109], v1 offset:736
	;; [unrolled: 1-line block ×9, first 2 shown]
	buffer_load_dword v151, off, s[0:3], 0 offset:324
	buffer_load_dword v150, off, s[0:3], 0 offset:320
	;; [unrolled: 1-line block ×62, first 2 shown]
	v_cmp_lt_u32_e32 vcc, 3, v0
	s_waitcnt vmcnt(62) lgkmcnt(8)
	v_mul_f64 v[14:15], v[90:91], v[84:85]
	v_fmac_f64_e32 v[14:15], v[92:93], v[82:83]
	v_add_f64 v[14:15], v[14:15], 0
	v_mul_f64 v[84:85], v[92:93], v[84:85]
	s_waitcnt lgkmcnt(7)
	v_mul_f64 v[16:17], v[106:107], v[88:89]
	v_fmac_f64_e32 v[16:17], v[108:109], v[86:87]
	s_waitcnt lgkmcnt(6)
	v_mul_f64 v[18:19], v[114:115], v[94:95]
	v_add_f64 v[14:15], v[14:15], v[16:17]
	s_waitcnt lgkmcnt(4)
	v_mul_f64 v[22:23], v[246:247], v[102:103]
	v_fma_f64 v[190:191], v[90:91], v[82:83], -v[84:85]
	v_fmac_f64_e32 v[22:23], v[248:249], v[104:105]
	v_mul_f64 v[88:89], v[108:109], v[88:89]
	v_mul_f64 v[20:21], v[242:243], v[98:99]
	v_fma_f64 v[192:193], v[106:107], v[86:87], -v[88:89]
	s_waitcnt lgkmcnt(2)
	v_mul_f64 v[26:27], v[10:11], v[118:119]
	v_mul_f64 v[94:95], v[116:117], v[94:95]
	v_fmac_f64_e32 v[26:27], v[12:13], v[122:123]
	v_mul_f64 v[98:99], v[244:245], v[98:99]
	v_mul_f64 v[24:25], v[250:251], v[110:111]
	;; [unrolled: 1-line block ×3, first 2 shown]
	s_waitcnt lgkmcnt(1)
	v_mul_f64 v[28:29], v[6:7], v[124:125]
	v_mul_f64 v[110:111], v[252:253], v[110:111]
	v_fmac_f64_e32 v[18:19], v[116:117], v[96:97]
	v_add_f64 v[14:15], v[14:15], v[18:19]
	v_fmac_f64_e32 v[20:21], v[244:245], v[100:101]
	v_add_f64 v[14:15], v[14:15], v[20:21]
	;; [unrolled: 2-line block ×3, first 2 shown]
	v_add_f64 v[14:15], v[14:15], v[24:25]
	v_fmac_f64_e32 v[28:29], v[8:9], v[128:129]
	v_add_f64 v[14:15], v[14:15], v[26:27]
	v_add_f64 v[18:19], v[14:15], v[28:29]
	ds_read_b128 v[14:17], v1 offset:864
	s_waitcnt lgkmcnt(1)
	v_mul_f64 v[20:21], v[2:3], v[126:127]
	v_fmac_f64_e32 v[20:21], v[4:5], v[130:131]
	v_add_f64 v[22:23], v[18:19], v[20:21]
	ds_read_b128 v[18:21], v1 offset:880
	s_waitcnt lgkmcnt(1)
	v_mul_f64 v[24:25], v[14:15], v[136:137]
	v_fmac_f64_e32 v[24:25], v[16:17], v[138:139]
	;; [unrolled: 5-line block ×5, first 2 shown]
	v_add_f64 v[38:39], v[34:35], v[36:37]
	ds_read_b128 v[34:37], v1 offset:944
	s_waitcnt vmcnt(58) lgkmcnt(1)
	v_mul_f64 v[40:41], v[30:31], v[164:165]
	s_waitcnt vmcnt(56)
	v_fmac_f64_e32 v[40:41], v[32:33], v[168:169]
	v_add_f64 v[42:43], v[38:39], v[40:41]
	ds_read_b128 v[38:41], v1 offset:960
	s_waitcnt lgkmcnt(1)
	v_mul_f64 v[44:45], v[34:35], v[144:145]
	v_fmac_f64_e32 v[44:45], v[36:37], v[150:151]
	v_add_f64 v[46:47], v[42:43], v[44:45]
	ds_read_b128 v[42:45], v1 offset:976
	s_waitcnt vmcnt(50) lgkmcnt(1)
	v_mul_f64 v[48:49], v[38:39], v[172:173]
	s_waitcnt vmcnt(48)
	v_fmac_f64_e32 v[48:49], v[40:41], v[176:177]
	v_add_f64 v[50:51], v[46:47], v[48:49]
	ds_read_b128 v[46:49], v1 offset:992
	buffer_load_dword v223, off, s[0:3], 0 offset:572
	buffer_load_dword v222, off, s[0:3], 0 offset:568
	;; [unrolled: 1-line block ×8, first 2 shown]
	s_waitcnt lgkmcnt(1)
	v_mul_f64 v[52:53], v[42:43], v[152:153]
	v_fmac_f64_e32 v[52:53], v[44:45], v[154:155]
	v_add_f64 v[54:55], v[50:51], v[52:53]
	ds_read_b128 v[50:53], v1 offset:1008
	s_waitcnt vmcnt(50) lgkmcnt(1)
	v_mul_f64 v[56:57], v[46:47], v[180:181]
	s_waitcnt vmcnt(48)
	v_fmac_f64_e32 v[56:57], v[48:49], v[184:185]
	buffer_load_dword v227, off, s[0:3], 0 offset:620
	buffer_load_dword v233, off, s[0:3], 0 offset:604
	buffer_load_dword v232, off, s[0:3], 0 offset:600
	buffer_load_dword v239, off, s[0:3], 0 offset:596
	buffer_load_dword v238, off, s[0:3], 0 offset:592
	buffer_load_dword v226, off, s[0:3], 0 offset:616
	buffer_load_dword v237, off, s[0:3], 0 offset:612
	buffer_load_dword v236, off, s[0:3], 0 offset:608
	buffer_load_dword v235, off, s[0:3], 0 offset:636
	buffer_load_dword v234, off, s[0:3], 0 offset:632
	buffer_load_dword v241, off, s[0:3], 0 offset:628
	buffer_load_dword v240, off, s[0:3], 0 offset:624
	v_add_f64 v[58:59], v[54:55], v[56:57]
	ds_read_b128 v[54:57], v1 offset:1024
	s_waitcnt lgkmcnt(1)
	v_mul_f64 v[60:61], v[50:51], v[156:157]
	v_fmac_f64_e32 v[60:61], v[52:53], v[158:159]
	v_add_f64 v[62:63], v[58:59], v[60:61]
	ds_read_b128 v[58:61], v1 offset:1040
	s_waitcnt vmcnt(54) lgkmcnt(1)
	v_mul_f64 v[64:65], v[54:55], v[198:199]
	s_waitcnt vmcnt(52)
	v_fmac_f64_e32 v[64:65], v[56:57], v[202:203]
	v_add_f64 v[66:67], v[62:63], v[64:65]
	ds_read_b128 v[62:65], v1 offset:1056
	s_waitcnt lgkmcnt(1)
	v_mul_f64 v[68:69], v[58:59], v[160:161]
	v_fmac_f64_e32 v[68:69], v[60:61], v[162:163]
	v_add_f64 v[70:71], v[66:67], v[68:69]
	ds_read_b128 v[66:69], v1 offset:1072
	s_waitcnt vmcnt(46) lgkmcnt(1)
	v_mul_f64 v[72:73], v[62:63], v[206:207]
	s_waitcnt vmcnt(44)
	v_fmac_f64_e32 v[72:73], v[64:65], v[208:209]
	v_add_f64 v[78:79], v[70:71], v[72:73]
	ds_read_b128 v[70:73], v1 offset:1088
	ds_read_b128 v[74:77], v1 offset:1104
	s_waitcnt lgkmcnt(2)
	v_mul_f64 v[80:81], v[66:67], v[166:167]
	v_fmac_f64_e32 v[80:81], v[68:69], v[170:171]
	v_add_f64 v[78:79], v[78:79], v[80:81]
	s_waitcnt vmcnt(38) lgkmcnt(1)
	v_mul_f64 v[80:81], v[70:71], v[210:211]
	s_waitcnt vmcnt(36)
	v_fmac_f64_e32 v[80:81], v[72:73], v[212:213]
	v_add_f64 v[78:79], v[78:79], v[80:81]
	s_waitcnt lgkmcnt(0)
	v_mul_f64 v[80:81], v[74:75], v[174:175]
	v_fmac_f64_e32 v[80:81], v[76:77], v[178:179]
	v_add_f64 v[188:189], v[78:79], v[80:81]
	ds_read_b128 v[78:81], v1 offset:1120
	ds_read_b128 v[82:85], v1 offset:1136
	;; [unrolled: 1-line block ×3, first 2 shown]
	v_fma_f64 v[254:255], v[114:115], v[96:97], -v[94:95]
	ds_read_b128 v[94:97], v1 offset:1184
	s_waitcnt vmcnt(30) lgkmcnt(3)
	v_mul_f64 v[90:91], v[78:79], v[214:215]
	s_waitcnt vmcnt(28)
	v_fmac_f64_e32 v[90:91], v[80:81], v[216:217]
	s_waitcnt lgkmcnt(2)
	v_mul_f64 v[92:93], v[82:83], v[182:183]
	v_add_f64 v[90:91], v[188:189], v[90:91]
	v_fmac_f64_e32 v[92:93], v[84:85], v[186:187]
	v_add_f64 v[90:91], v[90:91], v[92:93]
	s_waitcnt vmcnt(22) lgkmcnt(1)
	v_mul_f64 v[92:93], v[86:87], v[218:219]
	s_waitcnt vmcnt(20)
	v_fmac_f64_e32 v[92:93], v[88:89], v[220:221]
	v_add_f64 v[106:107], v[90:91], v[92:93]
	ds_read_b128 v[90:93], v1 offset:1168
	v_fma_f64 v[194:195], v[242:243], v[100:101], -v[98:99]
	ds_read_b128 v[98:101], v1 offset:1200
	buffer_load_dword v188, off, s[0:3], 0 offset:648
	v_fma_f64 v[246:247], v[246:247], v[104:105], -v[102:103]
	s_waitcnt lgkmcnt(1)
	v_mul_f64 v[108:109], v[90:91], v[200:201]
	v_fmac_f64_e32 v[108:109], v[92:93], v[204:205]
	v_add_f64 v[106:107], v[106:107], v[108:109]
	ds_read_b128 v[102:105], v1 offset:1216
	v_fma_f64 v[250:251], v[250:251], v[112:113], -v[110:111]
	ds_read_b128 v[110:113], v1 offset:1248
	v_add_f64 v[190:191], v[190:191], 0
	v_add_f64 v[190:191], v[190:191], v[192:193]
	;; [unrolled: 1-line block ×5, first 2 shown]
	v_mul_f64 v[12:13], v[12:13], v[118:119]
	v_add_f64 v[190:191], v[252:253], v[250:251]
	v_fma_f64 v[10:11], v[10:11], v[122:123], -v[12:13]
	v_mul_f64 v[8:9], v[8:9], v[124:125]
	v_add_f64 v[10:11], v[190:191], v[10:11]
	v_fma_f64 v[6:7], v[6:7], v[128:129], -v[8:9]
	;; [unrolled: 3-line block ×3, first 2 shown]
	v_mul_f64 v[4:5], v[16:17], v[136:137]
	v_add_f64 v[2:3], v[6:7], v[2:3]
	s_waitcnt vmcnt(19)
	v_mul_f64 v[108:109], v[94:95], v[222:223]
	v_fma_f64 v[4:5], v[14:15], v[138:139], -v[4:5]
	s_waitcnt vmcnt(17)
	v_fmac_f64_e32 v[108:109], v[96:97], v[224:225]
	v_add_f64 v[106:107], v[106:107], v[108:109]
	s_waitcnt vmcnt(15) lgkmcnt(2)
	v_mul_f64 v[108:109], v[98:99], v[228:229]
	s_waitcnt vmcnt(13)
	v_fmac_f64_e32 v[108:109], v[100:101], v[230:231]
	v_add_f64 v[114:115], v[106:107], v[108:109]
	ds_read_b128 v[106:109], v1 offset:1232
	buffer_load_dword v244, off, s[0:3], 0 offset:640
	buffer_load_dword v189, off, s[0:3], 0 offset:652
	;; [unrolled: 1-line block ×3, first 2 shown]
	s_waitcnt vmcnt(13) lgkmcnt(2)
	v_mul_f64 v[116:117], v[102:103], v[232:233]
	s_waitcnt vmcnt(11)
	v_fmac_f64_e32 v[116:117], v[104:105], v[238:239]
	v_add_f64 v[114:115], v[114:115], v[116:117]
	s_waitcnt vmcnt(10) lgkmcnt(0)
	v_mul_f64 v[116:117], v[106:107], v[226:227]
	s_waitcnt vmcnt(8)
	v_fmac_f64_e32 v[116:117], v[108:109], v[236:237]
	v_add_f64 v[114:115], v[114:115], v[116:117]
	s_waitcnt vmcnt(6)
	v_mul_f64 v[116:117], v[110:111], v[234:235]
	s_waitcnt vmcnt(4)
	v_fmac_f64_e32 v[116:117], v[112:113], v[240:241]
	v_add_f64 v[242:243], v[114:115], v[116:117]
	ds_read_b128 v[114:117], v1 offset:1264
	v_add_f64 v[2:3], v[2:3], v[4:5]
	v_mul_f64 v[4:5], v[20:21], v[132:133]
	v_fma_f64 v[4:5], v[18:19], v[134:135], -v[4:5]
	v_add_f64 v[2:3], v[2:3], v[4:5]
	v_mul_f64 v[4:5], v[24:25], v[146:147]
	v_fma_f64 v[4:5], v[22:23], v[148:149], -v[4:5]
	;; [unrolled: 3-line block ×22, first 2 shown]
	v_add_f64 v[2:3], v[2:3], v[4:5]
	v_mul_f64 v[4:5], v[108:109], v[226:227]
	s_waitcnt vmcnt(1) lgkmcnt(0)
	v_mul_f64 v[248:249], v[114:115], v[188:189]
	s_waitcnt vmcnt(0)
	v_fmac_f64_e32 v[248:249], v[116:117], v[244:245]
	v_add_f64 v[242:243], v[242:243], v[248:249]
	buffer_load_dword v248, off, s[0:3], 0 offset:80
	buffer_load_dword v249, off, s[0:3], 0 offset:84
	;; [unrolled: 1-line block ×4, first 2 shown]
	v_fma_f64 v[4:5], v[106:107], v[236:237], -v[4:5]
	v_add_f64 v[2:3], v[2:3], v[4:5]
	v_mul_f64 v[4:5], v[112:113], v[234:235]
	v_fma_f64 v[4:5], v[110:111], v[240:241], -v[4:5]
	v_add_f64 v[2:3], v[2:3], v[4:5]
	v_mul_f64 v[4:5], v[116:117], v[188:189]
	v_fma_f64 v[4:5], v[114:115], v[244:245], -v[4:5]
	v_add_f64 v[2:3], v[2:3], v[4:5]
	s_waitcnt vmcnt(2)
	v_add_f64 v[2:3], v[248:249], -v[2:3]
	s_waitcnt vmcnt(0)
	v_add_f64 v[4:5], v[246:247], -v[242:243]
	buffer_store_dword v3, off, s[0:3], 0 offset:84
	buffer_store_dword v2, off, s[0:3], 0 offset:80
	;; [unrolled: 1-line block ×4, first 2 shown]
	s_and_saveexec_b64 s[4:5], vcc
	s_cbranch_execz .LBB103_247
; %bb.246:
	v_accvgpr_read_b32 v5, a116
	buffer_load_dword v2, v5, s[0:3], 0 offen
	buffer_load_dword v3, v5, s[0:3], 0 offen offset:4
	buffer_load_dword v4, v5, s[0:3], 0 offen offset:8
	s_nop 0
	buffer_load_dword v5, v5, s[0:3], 0 offen offset:12
	v_accvgpr_read_b32 v6, a119
	buffer_store_dword v1, off, s[0:3], 0 offset:64
	buffer_store_dword v1, off, s[0:3], 0 offset:68
	buffer_store_dword v1, off, s[0:3], 0 offset:72
	buffer_store_dword v1, off, s[0:3], 0 offset:76
	s_waitcnt vmcnt(4)
	ds_write_b128 v6, v[2:5]
.LBB103_247:
	s_or_b64 exec, exec, s[4:5]
	s_waitcnt lgkmcnt(0)
	; wave barrier
	s_waitcnt lgkmcnt(0)
	buffer_load_dword v84, off, s[0:3], 0 offset:80
	buffer_load_dword v85, off, s[0:3], 0 offset:84
	;; [unrolled: 1-line block ×34, first 2 shown]
	ds_read_b128 v[74:77], v1 offset:704
	ds_read_b128 v[78:81], v1 offset:720
	;; [unrolled: 1-line block ×8, first 2 shown]
	buffer_load_dword v127, off, s[0:3], 0 offset:196
	buffer_load_dword v126, off, s[0:3], 0 offset:192
	ds_read_b128 v[6:9], v1 offset:832
	buffer_load_dword v129, off, s[0:3], 0 offset:252
	buffer_load_dword v128, off, s[0:3], 0 offset:248
	;; [unrolled: 1-line block ×80, first 2 shown]
	v_cmp_lt_u32_e32 vcc, 2, v0
	s_waitcnt vmcnt(62) lgkmcnt(8)
	v_mul_f64 v[10:11], v[74:75], v[106:107]
	v_fmac_f64_e32 v[10:11], v[76:77], v[84:85]
	v_add_f64 v[10:11], v[10:11], 0
	v_mul_f64 v[76:77], v[76:77], v[106:107]
	s_waitcnt lgkmcnt(7)
	v_mul_f64 v[12:13], v[78:79], v[96:97]
	v_fmac_f64_e32 v[12:13], v[80:81], v[82:83]
	s_waitcnt lgkmcnt(6)
	v_mul_f64 v[14:15], v[86:87], v[94:95]
	v_add_f64 v[10:11], v[10:11], v[12:13]
	s_waitcnt lgkmcnt(4)
	v_mul_f64 v[18:19], v[98:99], v[108:109]
	v_fma_f64 v[192:193], v[74:75], v[84:85], -v[76:77]
	v_fmac_f64_e32 v[18:19], v[100:101], v[114:115]
	v_mul_f64 v[80:81], v[80:81], v[96:97]
	v_mul_f64 v[16:17], v[90:91], v[116:117]
	v_fma_f64 v[194:195], v[78:79], v[82:83], -v[80:81]
	s_waitcnt lgkmcnt(2)
	v_mul_f64 v[22:23], v[110:111], v[188:189]
	v_mul_f64 v[100:101], v[100:101], v[108:109]
	v_fma_f64 v[254:255], v[98:99], v[114:115], -v[100:101]
	v_mul_f64 v[20:21], v[102:103], v[244:245]
	v_add_f64 v[192:193], v[192:193], 0
	s_waitcnt lgkmcnt(1)
	v_mul_f64 v[24:25], v[2:3], v[118:119]
	v_add_f64 v[192:193], v[192:193], v[194:195]
	v_fmac_f64_e32 v[14:15], v[88:89], v[250:251]
	v_add_f64 v[10:11], v[10:11], v[14:15]
	v_fmac_f64_e32 v[16:17], v[92:93], v[248:249]
	;; [unrolled: 2-line block ×4, first 2 shown]
	v_add_f64 v[10:11], v[10:11], v[20:21]
	v_add_f64 v[10:11], v[10:11], v[22:23]
	s_waitcnt lgkmcnt(0)
	v_mul_f64 v[16:17], v[6:7], v[122:123]
	v_fmac_f64_e32 v[16:17], v[8:9], v[124:125]
	v_fmac_f64_e32 v[24:25], v[4:5], v[126:127]
	v_add_f64 v[14:15], v[10:11], v[24:25]
	ds_read_b128 v[10:13], v1 offset:848
	v_add_f64 v[18:19], v[14:15], v[16:17]
	ds_read_b128 v[14:17], v1 offset:864
	v_mul_f64 v[88:89], v[88:89], v[94:95]
	v_mul_f64 v[92:93], v[92:93], v[116:117]
	s_waitcnt lgkmcnt(1)
	v_mul_f64 v[20:21], v[10:11], v[132:133]
	v_fmac_f64_e32 v[20:21], v[12:13], v[134:135]
	s_waitcnt lgkmcnt(0)
	v_mul_f64 v[24:25], v[14:15], v[128:129]
	v_add_f64 v[22:23], v[18:19], v[20:21]
	ds_read_b128 v[18:21], v1 offset:880
	v_fmac_f64_e32 v[24:25], v[16:17], v[130:131]
	v_add_f64 v[26:27], v[22:23], v[24:25]
	ds_read_b128 v[22:25], v1 offset:896
	v_fma_f64 v[248:249], v[90:91], v[248:249], -v[92:93]
	s_waitcnt lgkmcnt(1)
	v_mul_f64 v[28:29], v[18:19], v[144:145]
	v_fmac_f64_e32 v[28:29], v[20:21], v[146:147]
	v_add_f64 v[30:31], v[26:27], v[28:29]
	s_waitcnt lgkmcnt(0)
	v_mul_f64 v[32:33], v[22:23], v[136:137]
	ds_read_b128 v[26:29], v1 offset:912
	v_fmac_f64_e32 v[32:33], v[24:25], v[138:139]
	v_add_f64 v[34:35], v[30:31], v[32:33]
	ds_read_b128 v[30:33], v1 offset:928
	v_mul_f64 v[104:105], v[104:105], v[244:245]
	s_waitcnt vmcnt(58) lgkmcnt(1)
	v_mul_f64 v[36:37], v[26:27], v[160:161]
	s_waitcnt vmcnt(56)
	v_fmac_f64_e32 v[36:37], v[28:29], v[164:165]
	v_add_f64 v[38:39], v[34:35], v[36:37]
	s_waitcnt lgkmcnt(0)
	v_mul_f64 v[40:41], v[30:31], v[140:141]
	ds_read_b128 v[34:37], v1 offset:944
	v_fmac_f64_e32 v[40:41], v[32:33], v[142:143]
	v_add_f64 v[42:43], v[38:39], v[40:41]
	ds_read_b128 v[38:41], v1 offset:960
	v_mul_f64 v[112:113], v[112:113], v[188:189]
	s_waitcnt vmcnt(50) lgkmcnt(1)
	v_mul_f64 v[44:45], v[34:35], v[168:169]
	s_waitcnt vmcnt(48)
	v_fmac_f64_e32 v[44:45], v[36:37], v[172:173]
	v_add_f64 v[46:47], v[42:43], v[44:45]
	s_waitcnt lgkmcnt(0)
	v_mul_f64 v[48:49], v[38:39], v[148:149]
	v_fmac_f64_e32 v[48:49], v[40:41], v[150:151]
	ds_read_b128 v[42:45], v1 offset:976
	v_add_f64 v[50:51], v[46:47], v[48:49]
	ds_read_b128 v[46:49], v1 offset:992
	buffer_load_dword v219, off, s[0:3], 0 offset:572
	buffer_load_dword v221, off, s[0:3], 0 offset:556
	;; [unrolled: 1-line block ×12, first 2 shown]
	v_fma_f64 v[252:253], v[110:111], v[242:243], -v[112:113]
	s_waitcnt vmcnt(54) lgkmcnt(1)
	v_mul_f64 v[52:53], v[42:43], v[176:177]
	s_waitcnt vmcnt(52)
	v_fmac_f64_e32 v[52:53], v[44:45], v[180:181]
	v_add_f64 v[54:55], v[50:51], v[52:53]
	ds_read_b128 v[50:53], v1 offset:1008
	s_waitcnt lgkmcnt(1)
	v_mul_f64 v[56:57], v[46:47], v[152:153]
	v_fmac_f64_e32 v[56:57], v[48:49], v[154:155]
	buffer_load_dword v233, off, s[0:3], 0 offset:604
	buffer_load_dword v232, off, s[0:3], 0 offset:600
	;; [unrolled: 1-line block ×12, first 2 shown]
	v_add_f64 v[58:59], v[54:55], v[56:57]
	ds_read_b128 v[54:57], v1 offset:1024
	s_waitcnt vmcnt(58) lgkmcnt(1)
	v_mul_f64 v[60:61], v[50:51], v[184:185]
	s_waitcnt vmcnt(56)
	v_fmac_f64_e32 v[60:61], v[52:53], v[198:199]
	v_add_f64 v[62:63], v[58:59], v[60:61]
	ds_read_b128 v[58:61], v1 offset:1040
	s_waitcnt lgkmcnt(1)
	v_mul_f64 v[64:65], v[54:55], v[156:157]
	v_fmac_f64_e32 v[64:65], v[56:57], v[158:159]
	v_add_f64 v[70:71], v[62:63], v[64:65]
	ds_read_b128 v[62:65], v1 offset:1056
	ds_read_b128 v[66:69], v1 offset:1072
	s_waitcnt vmcnt(50) lgkmcnt(2)
	v_mul_f64 v[72:73], v[58:59], v[202:203]
	s_waitcnt vmcnt(48)
	v_fmac_f64_e32 v[72:73], v[60:61], v[204:205]
	v_add_f64 v[70:71], v[70:71], v[72:73]
	s_waitcnt lgkmcnt(1)
	v_mul_f64 v[72:73], v[62:63], v[162:163]
	v_fmac_f64_e32 v[72:73], v[64:65], v[166:167]
	v_add_f64 v[70:71], v[70:71], v[72:73]
	s_waitcnt vmcnt(42) lgkmcnt(0)
	v_mul_f64 v[72:73], v[66:67], v[206:207]
	s_waitcnt vmcnt(40)
	v_fmac_f64_e32 v[72:73], v[68:69], v[208:209]
	v_add_f64 v[190:191], v[70:71], v[72:73]
	ds_read_b128 v[70:73], v1 offset:1088
	ds_read_b128 v[74:77], v1 offset:1104
	;; [unrolled: 1-line block ×5, first 2 shown]
	s_waitcnt lgkmcnt(4)
	v_mul_f64 v[84:85], v[70:71], v[170:171]
	v_fmac_f64_e32 v[84:85], v[72:73], v[174:175]
	v_add_f64 v[82:83], v[190:191], v[84:85]
	s_waitcnt vmcnt(34) lgkmcnt(3)
	v_mul_f64 v[84:85], v[74:75], v[210:211]
	s_waitcnt vmcnt(32)
	v_fmac_f64_e32 v[84:85], v[76:77], v[212:213]
	v_add_f64 v[82:83], v[82:83], v[84:85]
	v_fma_f64 v[190:191], v[86:87], v[250:251], -v[88:89]
	ds_read_b128 v[86:89], v1 offset:1152
	s_waitcnt lgkmcnt(3)
	v_mul_f64 v[84:85], v[78:79], v[178:179]
	v_fmac_f64_e32 v[84:85], v[80:81], v[182:183]
	v_add_f64 v[96:97], v[82:83], v[84:85]
	ds_read_b128 v[82:85], v1 offset:1136
	v_fma_f64 v[250:251], v[102:103], v[246:247], -v[104:105]
	ds_read_b128 v[110:113], v1 offset:1248
	v_add_f64 v[190:191], v[192:193], v[190:191]
	v_add_f64 v[190:191], v[190:191], v[248:249]
	s_waitcnt vmcnt(26) lgkmcnt(1)
	v_mul_f64 v[94:95], v[82:83], v[214:215]
	s_waitcnt vmcnt(24)
	v_fmac_f64_e32 v[94:95], v[84:85], v[216:217]
	v_add_f64 v[94:95], v[96:97], v[94:95]
	v_mul_f64 v[96:97], v[86:87], v[186:187]
	v_fmac_f64_e32 v[96:97], v[88:89], v[200:201]
	v_add_f64 v[106:107], v[94:95], v[96:97]
	ds_read_b128 v[94:97], v1 offset:1184
	v_add_f64 v[254:255], v[190:191], v[254:255]
	v_add_f64 v[190:191], v[254:255], v[250:251]
	v_mul_f64 v[4:5], v[4:5], v[118:119]
	v_add_f64 v[190:191], v[190:191], v[252:253]
	ds_read_b128 v[102:105], v1 offset:1232
	v_fma_f64 v[2:3], v[2:3], v[126:127], -v[4:5]
	v_mul_f64 v[4:5], v[8:9], v[122:123]
	v_add_f64 v[2:3], v[190:191], v[2:3]
	v_fma_f64 v[4:5], v[6:7], v[124:125], -v[4:5]
	v_add_f64 v[2:3], v[2:3], v[4:5]
	v_mul_f64 v[4:5], v[12:13], v[132:133]
	v_fma_f64 v[4:5], v[10:11], v[134:135], -v[4:5]
	v_add_f64 v[2:3], v[2:3], v[4:5]
	v_mul_f64 v[4:5], v[16:17], v[128:129]
	s_waitcnt vmcnt(21)
	v_mul_f64 v[108:109], v[90:91], v[220:221]
	v_fma_f64 v[4:5], v[14:15], v[130:131], -v[4:5]
	s_waitcnt vmcnt(19)
	v_fmac_f64_e32 v[108:109], v[92:93], v[226:227]
	v_add_f64 v[106:107], v[106:107], v[108:109]
	s_waitcnt vmcnt(18) lgkmcnt(1)
	v_mul_f64 v[108:109], v[94:95], v[218:219]
	s_waitcnt vmcnt(16)
	v_fmac_f64_e32 v[108:109], v[96:97], v[224:225]
	v_add_f64 v[114:115], v[106:107], v[108:109]
	ds_read_b128 v[106:109], v1 offset:1216
	buffer_load_dword v243, off, s[0:3], 0 offset:652
	buffer_load_dword v242, off, s[0:3], 0 offset:648
	;; [unrolled: 1-line block ×4, first 2 shown]
	s_waitcnt vmcnt(18)
	v_mul_f64 v[116:117], v[98:99], v[222:223]
	s_waitcnt vmcnt(16)
	v_fmac_f64_e32 v[116:117], v[100:101], v[228:229]
	v_add_f64 v[114:115], v[114:115], v[116:117]
	s_waitcnt vmcnt(14) lgkmcnt(0)
	v_mul_f64 v[116:117], v[106:107], v[232:233]
	s_waitcnt vmcnt(12)
	v_fmac_f64_e32 v[116:117], v[108:109], v[234:235]
	v_add_f64 v[114:115], v[114:115], v[116:117]
	s_waitcnt vmcnt(9)
	v_mul_f64 v[116:117], v[102:103], v[238:239]
	s_waitcnt vmcnt(7)
	v_fmac_f64_e32 v[116:117], v[104:105], v[240:241]
	v_add_f64 v[114:115], v[114:115], v[116:117]
	s_waitcnt vmcnt(5)
	v_mul_f64 v[116:117], v[110:111], v[230:231]
	s_waitcnt vmcnt(4)
	v_fmac_f64_e32 v[116:117], v[112:113], v[236:237]
	v_add_f64 v[188:189], v[114:115], v[116:117]
	ds_read_b128 v[114:117], v1 offset:1264
	v_add_f64 v[2:3], v[2:3], v[4:5]
	v_mul_f64 v[4:5], v[20:21], v[144:145]
	v_fma_f64 v[4:5], v[18:19], v[146:147], -v[4:5]
	v_add_f64 v[2:3], v[2:3], v[4:5]
	v_mul_f64 v[4:5], v[24:25], v[136:137]
	v_fma_f64 v[4:5], v[22:23], v[138:139], -v[4:5]
	;; [unrolled: 3-line block ×21, first 2 shown]
	v_add_f64 v[2:3], v[2:3], v[4:5]
	s_waitcnt vmcnt(2) lgkmcnt(0)
	v_mul_f64 v[246:247], v[114:115], v[242:243]
	v_mul_f64 v[4:5], v[108:109], v[232:233]
	s_waitcnt vmcnt(0)
	v_fmac_f64_e32 v[246:247], v[116:117], v[244:245]
	v_add_f64 v[188:189], v[188:189], v[246:247]
	buffer_load_dword v248, off, s[0:3], 0 offset:64
	buffer_load_dword v249, off, s[0:3], 0 offset:68
	;; [unrolled: 1-line block ×4, first 2 shown]
	v_fma_f64 v[4:5], v[106:107], v[234:235], -v[4:5]
	v_add_f64 v[2:3], v[2:3], v[4:5]
	v_mul_f64 v[4:5], v[104:105], v[238:239]
	v_fma_f64 v[4:5], v[102:103], v[240:241], -v[4:5]
	v_add_f64 v[2:3], v[2:3], v[4:5]
	v_mul_f64 v[4:5], v[112:113], v[230:231]
	;; [unrolled: 3-line block ×3, first 2 shown]
	v_fma_f64 v[4:5], v[114:115], v[244:245], -v[4:5]
	v_add_f64 v[2:3], v[2:3], v[4:5]
	s_waitcnt vmcnt(2)
	v_add_f64 v[2:3], v[248:249], -v[2:3]
	s_waitcnt vmcnt(0)
	v_add_f64 v[4:5], v[246:247], -v[188:189]
	buffer_store_dword v3, off, s[0:3], 0 offset:68
	buffer_store_dword v2, off, s[0:3], 0 offset:64
	;; [unrolled: 1-line block ×4, first 2 shown]
	s_and_saveexec_b64 s[4:5], vcc
	s_cbranch_execz .LBB103_249
; %bb.248:
	v_accvgpr_read_b32 v1, a117
	buffer_load_dword v2, v1, s[0:3], 0 offen
	buffer_load_dword v3, v1, s[0:3], 0 offen offset:4
	buffer_load_dword v4, v1, s[0:3], 0 offen offset:8
	;; [unrolled: 1-line block ×3, first 2 shown]
	v_mov_b32_e32 v1, 0
	v_accvgpr_read_b32 v6, a119
	buffer_store_dword v1, off, s[0:3], 0 offset:48
	buffer_store_dword v1, off, s[0:3], 0 offset:52
	;; [unrolled: 1-line block ×4, first 2 shown]
	s_waitcnt vmcnt(4)
	ds_write_b128 v6, v[2:5]
.LBB103_249:
	s_or_b64 exec, exec, s[4:5]
	s_waitcnt lgkmcnt(0)
	; wave barrier
	s_waitcnt lgkmcnt(0)
	buffer_load_dword v66, off, s[0:3], 0 offset:64
	buffer_load_dword v67, off, s[0:3], 0 offset:68
	;; [unrolled: 1-line block ×55, first 2 shown]
	v_mov_b32_e32 v1, 0
	ds_read_b128 v[74:77], v1 offset:688
	ds_read_b128 v[86:89], v1 offset:704
	;; [unrolled: 1-line block ×9, first 2 shown]
	buffer_load_dword v138, off, s[0:3], 0 offset:288
	buffer_load_dword v157, off, s[0:3], 0 offset:284
	;; [unrolled: 1-line block ×61, first 2 shown]
	v_cmp_lt_u32_e32 vcc, 1, v0
	s_waitcnt vmcnt(62) lgkmcnt(8)
	v_mul_f64 v[6:7], v[74:75], v[68:69]
	v_fmac_f64_e32 v[6:7], v[76:77], v[66:67]
	v_add_f64 v[6:7], v[6:7], 0
	v_mul_f64 v[68:69], v[76:77], v[68:69]
	s_waitcnt lgkmcnt(7)
	v_mul_f64 v[8:9], v[86:87], v[72:73]
	v_fmac_f64_e32 v[8:9], v[88:89], v[70:71]
	s_waitcnt lgkmcnt(6)
	v_mul_f64 v[10:11], v[98:99], v[78:79]
	v_add_f64 v[6:7], v[6:7], v[8:9]
	s_waitcnt lgkmcnt(4)
	v_mul_f64 v[14:15], v[114:115], v[90:91]
	v_fma_f64 v[192:193], v[74:75], v[66:67], -v[68:69]
	v_fmac_f64_e32 v[14:15], v[116:117], v[92:93]
	v_mul_f64 v[72:73], v[88:89], v[72:73]
	v_mul_f64 v[12:13], v[110:111], v[82:83]
	;; [unrolled: 1-line block ×3, first 2 shown]
	s_waitcnt lgkmcnt(2)
	v_mul_f64 v[18:19], v[244:245], v[102:103]
	v_mul_f64 v[82:83], v[112:113], v[82:83]
	;; [unrolled: 1-line block ×4, first 2 shown]
	v_fma_f64 v[254:255], v[114:115], v[92:93], -v[90:91]
	s_waitcnt lgkmcnt(1)
	v_mul_f64 v[20:21], v[248:249], v[106:107]
	v_fmac_f64_e32 v[20:21], v[250:251], v[108:109]
	v_fmac_f64_e32 v[10:11], v[100:101], v[80:81]
	v_add_f64 v[6:7], v[6:7], v[10:11]
	v_fmac_f64_e32 v[12:13], v[112:113], v[84:85]
	v_add_f64 v[6:7], v[6:7], v[12:13]
	;; [unrolled: 2-line block ×4, first 2 shown]
	v_add_f64 v[6:7], v[6:7], v[18:19]
	v_add_f64 v[10:11], v[6:7], v[20:21]
	ds_read_b128 v[6:9], v1 offset:832
	s_waitcnt lgkmcnt(1)
	v_mul_f64 v[12:13], v[2:3], v[118:119]
	v_fmac_f64_e32 v[12:13], v[4:5], v[122:123]
	v_add_f64 v[14:15], v[10:11], v[12:13]
	ds_read_b128 v[10:13], v1 offset:848
	s_waitcnt lgkmcnt(1)
	v_mul_f64 v[16:17], v[6:7], v[128:129]
	v_fmac_f64_e32 v[16:17], v[8:9], v[130:131]
	;; [unrolled: 5-line block ×5, first 2 shown]
	v_add_f64 v[30:31], v[26:27], v[28:29]
	ds_read_b128 v[26:29], v1 offset:912
	s_waitcnt vmcnt(58) lgkmcnt(1)
	v_mul_f64 v[32:33], v[22:23], v[156:157]
	s_waitcnt vmcnt(56)
	v_fmac_f64_e32 v[32:33], v[24:25], v[160:161]
	v_add_f64 v[34:35], v[30:31], v[32:33]
	ds_read_b128 v[30:33], v1 offset:928
	s_waitcnt lgkmcnt(1)
	v_mul_f64 v[36:37], v[26:27], v[136:137]
	v_fmac_f64_e32 v[36:37], v[28:29], v[138:139]
	v_add_f64 v[38:39], v[34:35], v[36:37]
	ds_read_b128 v[34:37], v1 offset:944
	s_waitcnt vmcnt(50) lgkmcnt(1)
	v_mul_f64 v[40:41], v[30:31], v[164:165]
	s_waitcnt vmcnt(48)
	v_fmac_f64_e32 v[40:41], v[32:33], v[168:169]
	v_add_f64 v[42:43], v[38:39], v[40:41]
	ds_read_b128 v[38:41], v1 offset:960
	s_waitcnt lgkmcnt(1)
	v_mul_f64 v[44:45], v[34:35], v[144:145]
	v_fmac_f64_e32 v[44:45], v[36:37], v[146:147]
	v_add_f64 v[46:47], v[42:43], v[44:45]
	ds_read_b128 v[42:45], v1 offset:976
	s_waitcnt vmcnt(42) lgkmcnt(1)
	v_mul_f64 v[48:49], v[38:39], v[172:173]
	s_waitcnt vmcnt(40)
	v_fmac_f64_e32 v[48:49], v[40:41], v[176:177]
	v_add_f64 v[50:51], v[46:47], v[48:49]
	ds_read_b128 v[46:49], v1 offset:992
	buffer_load_dword v221, off, s[0:3], 0 offset:540
	buffer_load_dword v220, off, s[0:3], 0 offset:536
	;; [unrolled: 1-line block ×4, first 2 shown]
	s_waitcnt lgkmcnt(1)
	v_mul_f64 v[52:53], v[42:43], v[148:149]
	v_fmac_f64_e32 v[52:53], v[44:45], v[150:151]
	v_add_f64 v[54:55], v[50:51], v[52:53]
	ds_read_b128 v[50:53], v1 offset:1008
	buffer_load_dword v225, off, s[0:3], 0 offset:556
	buffer_load_dword v224, off, s[0:3], 0 offset:552
	;; [unrolled: 1-line block ×8, first 2 shown]
	s_waitcnt vmcnt(46) lgkmcnt(1)
	v_mul_f64 v[56:57], v[46:47], v[200:201]
	s_waitcnt vmcnt(44)
	v_fmac_f64_e32 v[56:57], v[48:49], v[180:181]
	v_add_f64 v[58:59], v[54:55], v[56:57]
	ds_read_b128 v[54:57], v1 offset:1024
	buffer_load_dword v233, off, s[0:3], 0 offset:588
	buffer_load_dword v232, off, s[0:3], 0 offset:584
	;; [unrolled: 1-line block ×12, first 2 shown]
	s_waitcnt lgkmcnt(1)
	v_mul_f64 v[60:61], v[50:51], v[152:153]
	v_fmac_f64_e32 v[60:61], v[52:53], v[154:155]
	v_add_f64 v[62:63], v[58:59], v[60:61]
	ds_read_b128 v[58:61], v1 offset:1040
	s_waitcnt vmcnt(50) lgkmcnt(1)
	v_mul_f64 v[64:65], v[54:55], v[204:205]
	s_waitcnt vmcnt(48)
	v_fmac_f64_e32 v[64:65], v[56:57], v[206:207]
	v_add_f64 v[62:63], v[62:63], v[64:65]
	buffer_load_dword v241, off, s[0:3], 0 offset:636
	buffer_load_dword v240, off, s[0:3], 0 offset:632
	;; [unrolled: 1-line block ×4, first 2 shown]
	s_waitcnt lgkmcnt(0)
	v_mul_f64 v[64:65], v[58:59], v[158:159]
	v_fmac_f64_e32 v[64:65], v[60:61], v[162:163]
	v_add_f64 v[190:191], v[62:63], v[64:65]
	ds_read_b128 v[62:65], v1 offset:1056
	ds_read_b128 v[66:69], v1 offset:1072
	v_fma_f64 v[194:195], v[98:99], v[80:81], -v[78:79]
	ds_read_b128 v[78:81], v1 offset:1120
	v_fma_f64 v[252:253], v[110:111], v[84:85], -v[82:83]
	ds_read_b128 v[82:85], v1 offset:1136
	s_waitcnt vmcnt(46) lgkmcnt(3)
	v_mul_f64 v[74:75], v[62:63], v[208:209]
	s_waitcnt vmcnt(44)
	v_fmac_f64_e32 v[74:75], v[64:65], v[210:211]
	v_add_f64 v[74:75], v[190:191], v[74:75]
	v_fma_f64 v[190:191], v[86:87], v[70:71], -v[72:73]
	ds_read_b128 v[70:73], v1 offset:1088
	s_waitcnt lgkmcnt(3)
	v_mul_f64 v[76:77], v[66:67], v[166:167]
	v_fmac_f64_e32 v[76:77], v[68:69], v[170:171]
	v_add_f64 v[86:87], v[74:75], v[76:77]
	ds_read_b128 v[74:77], v1 offset:1104
	s_waitcnt vmcnt(38) lgkmcnt(1)
	v_mul_f64 v[88:89], v[70:71], v[212:213]
	s_waitcnt vmcnt(36)
	v_fmac_f64_e32 v[88:89], v[72:73], v[214:215]
	v_add_f64 v[86:87], v[86:87], v[88:89]
	ds_read_b128 v[90:93], v1 offset:1168
	s_waitcnt lgkmcnt(1)
	v_mul_f64 v[88:89], v[74:75], v[174:175]
	v_fmac_f64_e32 v[88:89], v[76:77], v[198:199]
	v_add_f64 v[86:87], v[86:87], v[88:89]
	s_waitcnt vmcnt(30)
	v_mul_f64 v[88:89], v[78:79], v[216:217]
	s_waitcnt vmcnt(28)
	v_fmac_f64_e32 v[88:89], v[80:81], v[218:219]
	v_add_f64 v[86:87], v[86:87], v[88:89]
	v_mul_f64 v[88:89], v[82:83], v[178:179]
	v_fmac_f64_e32 v[88:89], v[84:85], v[202:203]
	v_add_f64 v[98:99], v[86:87], v[88:89]
	ds_read_b128 v[86:89], v1 offset:1152
	v_mul_f64 v[94:95], v[188:189], v[94:95]
	v_fma_f64 v[196:197], v[186:187], v[96:97], -v[94:95]
	ds_read_b128 v[94:97], v1 offset:1184
	v_mul_f64 v[102:103], v[246:247], v[102:103]
	v_fma_f64 v[120:121], v[244:245], v[104:105], -v[102:103]
	ds_read_b128 v[102:105], v1 offset:1216
	v_mul_f64 v[106:107], v[250:251], v[106:107]
	v_fma_f64 v[188:189], v[248:249], v[108:109], -v[106:107]
	v_add_f64 v[192:193], v[192:193], 0
	v_add_f64 v[190:191], v[192:193], v[190:191]
	;; [unrolled: 1-line block ×7, first 2 shown]
	v_mul_f64 v[4:5], v[4:5], v[118:119]
	v_add_f64 v[120:121], v[252:253], v[188:189]
	v_fma_f64 v[2:3], v[2:3], v[122:123], -v[4:5]
	v_mul_f64 v[4:5], v[8:9], v[128:129]
	v_add_f64 v[2:3], v[120:121], v[2:3]
	v_fma_f64 v[4:5], v[6:7], v[130:131], -v[4:5]
	v_add_f64 v[2:3], v[2:3], v[4:5]
	ds_read_b128 v[106:109], v1 offset:1232
	v_mul_f64 v[4:5], v[12:13], v[124:125]
	v_fma_f64 v[4:5], v[10:11], v[126:127], -v[4:5]
	v_add_f64 v[2:3], v[2:3], v[4:5]
	s_waitcnt vmcnt(26) lgkmcnt(3)
	v_mul_f64 v[100:101], v[86:87], v[220:221]
	v_mul_f64 v[4:5], v[16:17], v[140:141]
	s_waitcnt vmcnt(24)
	v_fmac_f64_e32 v[100:101], v[88:89], v[222:223]
	v_add_f64 v[98:99], v[98:99], v[100:101]
	s_waitcnt vmcnt(22)
	v_mul_f64 v[100:101], v[90:91], v[224:225]
	s_waitcnt vmcnt(20)
	v_fmac_f64_e32 v[100:101], v[92:93], v[228:229]
	v_add_f64 v[98:99], v[98:99], v[100:101]
	s_waitcnt vmcnt(18) lgkmcnt(2)
	v_mul_f64 v[100:101], v[94:95], v[226:227]
	s_waitcnt vmcnt(16)
	v_fmac_f64_e32 v[100:101], v[96:97], v[230:231]
	v_add_f64 v[110:111], v[98:99], v[100:101]
	ds_read_b128 v[98:101], v1 offset:1200
	v_fma_f64 v[4:5], v[14:15], v[142:143], -v[4:5]
	v_add_f64 v[2:3], v[2:3], v[4:5]
	v_mul_f64 v[4:5], v[20:21], v[132:133]
	v_fma_f64 v[4:5], v[18:19], v[134:135], -v[4:5]
	s_waitcnt vmcnt(14) lgkmcnt(0)
	v_mul_f64 v[112:113], v[98:99], v[232:233]
	s_waitcnt vmcnt(12)
	v_fmac_f64_e32 v[112:113], v[100:101], v[184:185]
	v_add_f64 v[110:111], v[110:111], v[112:113]
	s_waitcnt vmcnt(9)
	v_mul_f64 v[112:113], v[102:103], v[236:237]
	s_waitcnt vmcnt(7)
	v_fmac_f64_e32 v[112:113], v[104:105], v[238:239]
	v_add_f64 v[110:111], v[110:111], v[112:113]
	s_waitcnt vmcnt(5)
	v_mul_f64 v[112:113], v[106:107], v[182:183]
	s_waitcnt vmcnt(4)
	v_fmac_f64_e32 v[112:113], v[108:109], v[234:235]
	v_add_f64 v[114:115], v[110:111], v[112:113]
	ds_read_b128 v[110:113], v1 offset:1248
	buffer_load_dword v244, off, s[0:3], 0 offset:648
	buffer_load_dword v245, off, s[0:3], 0 offset:652
	;; [unrolled: 1-line block ×4, first 2 shown]
	v_add_f64 v[2:3], v[2:3], v[4:5]
	v_mul_f64 v[4:5], v[24:25], v[156:157]
	v_fma_f64 v[4:5], v[22:23], v[160:161], -v[4:5]
	s_waitcnt vmcnt(6) lgkmcnt(0)
	v_mul_f64 v[116:117], v[110:111], v[240:241]
	s_waitcnt vmcnt(4)
	v_fmac_f64_e32 v[116:117], v[112:113], v[242:243]
	v_add_f64 v[186:187], v[114:115], v[116:117]
	ds_read_b128 v[114:117], v1 offset:1264
	buffer_load_dword v250, off, s[0:3], 0 offset:48
	buffer_load_dword v251, off, s[0:3], 0 offset:52
	v_add_f64 v[2:3], v[2:3], v[4:5]
	v_mul_f64 v[4:5], v[28:29], v[136:137]
	v_fma_f64 v[4:5], v[26:27], v[138:139], -v[4:5]
	v_add_f64 v[2:3], v[2:3], v[4:5]
	v_mul_f64 v[4:5], v[32:33], v[164:165]
	v_fma_f64 v[4:5], v[30:31], v[168:169], -v[4:5]
	;; [unrolled: 3-line block ×22, first 2 shown]
	v_add_f64 v[2:3], v[2:3], v[4:5]
	s_waitcnt vmcnt(4) lgkmcnt(0)
	v_mul_f64 v[248:249], v[114:115], v[244:245]
	v_mul_f64 v[4:5], v[116:117], v[244:245]
	s_waitcnt vmcnt(2)
	v_fmac_f64_e32 v[248:249], v[116:117], v[246:247]
	v_add_f64 v[186:187], v[186:187], v[248:249]
	buffer_load_dword v248, off, s[0:3], 0 offset:56
	buffer_load_dword v249, off, s[0:3], 0 offset:60
	v_fma_f64 v[4:5], v[114:115], v[246:247], -v[4:5]
	v_add_f64 v[2:3], v[2:3], v[4:5]
	s_waitcnt vmcnt(2)
	v_add_f64 v[2:3], v[250:251], -v[2:3]
	s_waitcnt vmcnt(0)
	v_add_f64 v[4:5], v[248:249], -v[186:187]
	buffer_store_dword v3, off, s[0:3], 0 offset:52
	buffer_store_dword v2, off, s[0:3], 0 offset:48
	;; [unrolled: 1-line block ×4, first 2 shown]
	s_and_saveexec_b64 s[4:5], vcc
	s_cbranch_execz .LBB103_251
; %bb.250:
	v_accvgpr_read_b32 v5, a118
	buffer_load_dword v2, v5, s[0:3], 0 offen
	buffer_load_dword v3, v5, s[0:3], 0 offen offset:4
	buffer_load_dword v4, v5, s[0:3], 0 offen offset:8
	s_nop 0
	buffer_load_dword v5, v5, s[0:3], 0 offen offset:12
	v_accvgpr_read_b32 v6, a119
	buffer_store_dword v1, off, s[0:3], 0 offset:32
	buffer_store_dword v1, off, s[0:3], 0 offset:36
	buffer_store_dword v1, off, s[0:3], 0 offset:40
	buffer_store_dword v1, off, s[0:3], 0 offset:44
	s_waitcnt vmcnt(4)
	ds_write_b128 v6, v[2:5]
.LBB103_251:
	s_or_b64 exec, exec, s[4:5]
	s_waitcnt lgkmcnt(0)
	; wave barrier
	s_waitcnt lgkmcnt(0)
	buffer_load_dword v66, off, s[0:3], 0 offset:48
	buffer_load_dword v67, off, s[0:3], 0 offset:52
	;; [unrolled: 1-line block ×42, first 2 shown]
	ds_read_b128 v[78:81], v1 offset:672
	ds_read_b128 v[90:93], v1 offset:688
	;; [unrolled: 1-line block ×10, first 2 shown]
	buffer_load_dword v129, off, s[0:3], 0 offset:196
	buffer_load_dword v128, off, s[0:3], 0 offset:192
	ds_read_b128 v[6:9], v1 offset:832
	buffer_load_dword v119, off, s[0:3], 0 offset:252
	buffer_load_dword v118, off, s[0:3], 0 offset:248
	buffer_load_dword v127, off, s[0:3], 0 offset:244
	buffer_load_dword v126, off, s[0:3], 0 offset:240
	buffer_load_dword v131, off, s[0:3], 0 offset:236
	buffer_load_dword v130, off, s[0:3], 0 offset:232
	buffer_load_dword v147, off, s[0:3], 0 offset:228
	buffer_load_dword v146, off, s[0:3], 0 offset:224
	buffer_load_dword v133, off, s[0:3], 0 offset:284
	buffer_load_dword v132, off, s[0:3], 0 offset:280
	buffer_load_dword v135, off, s[0:3], 0 offset:276
	buffer_load_dword v134, off, s[0:3], 0 offset:272
	buffer_load_dword v151, off, s[0:3], 0 offset:268
	buffer_load_dword v150, off, s[0:3], 0 offset:264
	buffer_load_dword v155, off, s[0:3], 0 offset:260
	buffer_load_dword v154, off, s[0:3], 0 offset:256
	buffer_load_dword v137, off, s[0:3], 0 offset:316
	buffer_load_dword v136, off, s[0:3], 0 offset:312
	buffer_load_dword v139, off, s[0:3], 0 offset:308
	buffer_load_dword v138, off, s[0:3], 0 offset:304
	buffer_load_dword v159, off, s[0:3], 0 offset:300
	buffer_load_dword v158, off, s[0:3], 0 offset:296
	buffer_load_dword v163, off, s[0:3], 0 offset:292
	buffer_load_dword v162, off, s[0:3], 0 offset:288
	buffer_load_dword v141, off, s[0:3], 0 offset:348
	buffer_load_dword v140, off, s[0:3], 0 offset:344
	buffer_load_dword v143, off, s[0:3], 0 offset:340
	buffer_load_dword v142, off, s[0:3], 0 offset:336
	buffer_load_dword v167, off, s[0:3], 0 offset:332
	buffer_load_dword v166, off, s[0:3], 0 offset:328
	buffer_load_dword v171, off, s[0:3], 0 offset:324
	buffer_load_dword v170, off, s[0:3], 0 offset:320
	buffer_load_dword v145, off, s[0:3], 0 offset:380
	buffer_load_dword v144, off, s[0:3], 0 offset:376
	buffer_load_dword v149, off, s[0:3], 0 offset:372
	buffer_load_dword v148, off, s[0:3], 0 offset:368
	buffer_load_dword v203, off, s[0:3], 0 offset:364
	buffer_load_dword v202, off, s[0:3], 0 offset:360
	buffer_load_dword v207, off, s[0:3], 0 offset:356
	buffer_load_dword v206, off, s[0:3], 0 offset:352
	buffer_load_dword v153, off, s[0:3], 0 offset:412
	buffer_load_dword v152, off, s[0:3], 0 offset:408
	buffer_load_dword v157, off, s[0:3], 0 offset:404
	buffer_load_dword v156, off, s[0:3], 0 offset:400
	buffer_load_dword v211, off, s[0:3], 0 offset:396
	buffer_load_dword v210, off, s[0:3], 0 offset:392
	buffer_load_dword v215, off, s[0:3], 0 offset:388
	buffer_load_dword v214, off, s[0:3], 0 offset:384
	buffer_load_dword v161, off, s[0:3], 0 offset:444
	buffer_load_dword v160, off, s[0:3], 0 offset:440
	buffer_load_dword v165, off, s[0:3], 0 offset:436
	buffer_load_dword v164, off, s[0:3], 0 offset:432
	buffer_load_dword v219, off, s[0:3], 0 offset:428
	buffer_load_dword v218, off, s[0:3], 0 offset:424
	buffer_load_dword v221, off, s[0:3], 0 offset:420
	buffer_load_dword v220, off, s[0:3], 0 offset:416
	buffer_load_dword v169, off, s[0:3], 0 offset:476
	buffer_load_dword v168, off, s[0:3], 0 offset:472
	buffer_load_dword v201, off, s[0:3], 0 offset:468
	buffer_load_dword v200, off, s[0:3], 0 offset:464
	buffer_load_dword v223, off, s[0:3], 0 offset:460
	buffer_load_dword v222, off, s[0:3], 0 offset:456
	buffer_load_dword v225, off, s[0:3], 0 offset:452
	buffer_load_dword v224, off, s[0:3], 0 offset:448
	buffer_load_dword v205, off, s[0:3], 0 offset:508
	buffer_load_dword v204, off, s[0:3], 0 offset:504
	buffer_load_dword v209, off, s[0:3], 0 offset:500
	buffer_load_dword v208, off, s[0:3], 0 offset:496
	buffer_load_dword v227, off, s[0:3], 0 offset:492
	buffer_load_dword v226, off, s[0:3], 0 offset:488
	buffer_load_dword v229, off, s[0:3], 0 offset:484
	buffer_load_dword v228, off, s[0:3], 0 offset:480
	buffer_load_dword v213, off, s[0:3], 0 offset:540
	buffer_load_dword v212, off, s[0:3], 0 offset:536
	buffer_load_dword v217, off, s[0:3], 0 offset:532
	buffer_load_dword v216, off, s[0:3], 0 offset:528
	buffer_load_dword v231, off, s[0:3], 0 offset:524
	buffer_load_dword v230, off, s[0:3], 0 offset:520
	buffer_load_dword v233, off, s[0:3], 0 offset:516
	buffer_load_dword v232, off, s[0:3], 0 offset:512
	v_cmp_ne_u32_e32 vcc, 0, v0
	s_waitcnt vmcnt(62) lgkmcnt(10)
	v_mul_f64 v[10:11], v[78:79], v[68:69]
	v_fmac_f64_e32 v[10:11], v[80:81], v[66:67]
	v_add_f64 v[10:11], v[10:11], 0
	v_mul_f64 v[68:69], v[80:81], v[68:69]
	s_waitcnt lgkmcnt(9)
	v_mul_f64 v[12:13], v[90:91], v[64:65]
	v_fmac_f64_e32 v[12:13], v[92:93], v[62:63]
	s_waitcnt lgkmcnt(8)
	v_mul_f64 v[14:15], v[102:103], v[70:71]
	v_add_f64 v[10:11], v[10:11], v[12:13]
	s_waitcnt lgkmcnt(6)
	v_mul_f64 v[18:19], v[114:115], v[82:83]
	v_mul_f64 v[64:65], v[92:93], v[64:65]
	v_fmac_f64_e32 v[18:19], v[116:117], v[84:85]
	v_fma_f64 v[196:197], v[90:91], v[62:63], -v[64:65]
	v_mul_f64 v[16:17], v[110:111], v[74:75]
	v_fma_f64 v[194:195], v[78:79], v[66:67], -v[68:69]
	s_waitcnt lgkmcnt(4)
	v_mul_f64 v[22:23], v[186:187], v[94:95]
	v_mul_f64 v[70:71], v[104:105], v[70:71]
	v_fmac_f64_e32 v[22:23], v[188:189], v[96:97]
	v_mul_f64 v[74:75], v[112:113], v[74:75]
	v_mul_f64 v[20:21], v[182:183], v[86:87]
	;; [unrolled: 1-line block ×3, first 2 shown]
	s_waitcnt lgkmcnt(2)
	v_mul_f64 v[26:27], v[190:191], v[106:107]
	v_fma_f64 v[4:5], v[114:115], v[84:85], -v[82:83]
	v_mul_f64 v[86:87], v[184:185], v[86:87]
	v_mul_f64 v[24:25], v[248:249], v[98:99]
	;; [unrolled: 1-line block ×3, first 2 shown]
	s_waitcnt lgkmcnt(1)
	v_mul_f64 v[28:29], v[122:123], v[2:3]
	v_accvgpr_write_b32 a121, v3
	v_fmac_f64_e32 v[14:15], v[104:105], v[72:73]
	v_add_f64 v[10:11], v[10:11], v[14:15]
	v_fmac_f64_e32 v[16:17], v[112:113], v[76:77]
	v_add_f64 v[10:11], v[10:11], v[16:17]
	;; [unrolled: 2-line block ×3, first 2 shown]
	v_add_f64 v[10:11], v[10:11], v[20:21]
	v_fmac_f64_e32 v[24:25], v[250:251], v[100:101]
	v_add_f64 v[10:11], v[10:11], v[22:23]
	v_fmac_f64_e32 v[26:27], v[192:193], v[108:109]
	v_add_f64 v[10:11], v[10:11], v[24:25]
	v_add_f64 v[10:11], v[10:11], v[26:27]
	s_waitcnt lgkmcnt(0)
	v_mul_f64 v[16:17], v[6:7], v[252:253]
	v_fmac_f64_e32 v[28:29], v[124:125], v[128:129]
	v_add_f64 v[14:15], v[10:11], v[28:29]
	ds_read_b128 v[10:13], v1 offset:848
	v_fmac_f64_e32 v[16:17], v[8:9], v[198:199]
	v_add_f64 v[18:19], v[14:15], v[16:17]
	ds_read_b128 v[14:17], v1 offset:864
	v_fma_f64 v[254:255], v[110:111], v[76:77], -v[74:75]
	s_waitcnt lgkmcnt(1)
	v_mul_f64 v[20:21], v[10:11], v[130:131]
	v_fmac_f64_e32 v[20:21], v[12:13], v[146:147]
	v_add_f64 v[22:23], v[18:19], v[20:21]
	ds_read_b128 v[18:21], v1 offset:880
	s_waitcnt lgkmcnt(1)
	v_mul_f64 v[24:25], v[14:15], v[118:119]
	v_fmac_f64_e32 v[24:25], v[16:17], v[126:127]
	v_add_f64 v[26:27], v[22:23], v[24:25]
	ds_read_b128 v[22:25], v1 offset:896
	;; [unrolled: 5-line block ×4, first 2 shown]
	s_waitcnt vmcnt(58) lgkmcnt(1)
	v_mul_f64 v[36:37], v[26:27], v[158:159]
	s_waitcnt vmcnt(56)
	v_fmac_f64_e32 v[36:37], v[28:29], v[162:163]
	v_add_f64 v[38:39], v[34:35], v[36:37]
	ds_read_b128 v[34:37], v1 offset:944
	s_waitcnt lgkmcnt(1)
	v_mul_f64 v[40:41], v[30:31], v[136:137]
	v_fmac_f64_e32 v[40:41], v[32:33], v[138:139]
	v_add_f64 v[42:43], v[38:39], v[40:41]
	ds_read_b128 v[38:41], v1 offset:960
	s_waitcnt vmcnt(50) lgkmcnt(1)
	v_mul_f64 v[44:45], v[34:35], v[166:167]
	s_waitcnt vmcnt(48)
	v_fmac_f64_e32 v[44:45], v[36:37], v[170:171]
	v_add_f64 v[46:47], v[42:43], v[44:45]
	ds_read_b128 v[42:45], v1 offset:976
	s_waitcnt lgkmcnt(1)
	v_mul_f64 v[48:49], v[38:39], v[140:141]
	v_fmac_f64_e32 v[48:49], v[40:41], v[142:143]
	v_add_f64 v[50:51], v[46:47], v[48:49]
	ds_read_b128 v[46:49], v1 offset:992
	s_waitcnt vmcnt(42) lgkmcnt(1)
	v_mul_f64 v[52:53], v[42:43], v[202:203]
	s_waitcnt vmcnt(40)
	v_fmac_f64_e32 v[52:53], v[44:45], v[206:207]
	v_add_f64 v[54:55], v[50:51], v[52:53]
	ds_read_b128 v[50:53], v1 offset:1008
	s_waitcnt lgkmcnt(1)
	v_mul_f64 v[56:57], v[46:47], v[144:145]
	buffer_load_dword v173, off, s[0:3], 0 offset:556
	buffer_load_dword v172, off, s[0:3], 0 offset:552
	;; [unrolled: 1-line block ×4, first 2 shown]
	v_fmac_f64_e32 v[56:57], v[48:49], v[148:149]
	v_add_f64 v[58:59], v[54:55], v[56:57]
	ds_read_b128 v[54:57], v1 offset:1024
	buffer_load_dword v178, off, s[0:3], 0 offset:568
	buffer_load_dword v180, off, s[0:3], 0 offset:560
	;; [unrolled: 1-line block ×16, first 2 shown]
	s_waitcnt vmcnt(54) lgkmcnt(1)
	v_mul_f64 v[60:61], v[50:51], v[210:211]
	s_waitcnt vmcnt(52)
	v_fmac_f64_e32 v[60:61], v[52:53], v[214:215]
	v_add_f64 v[120:121], v[58:59], v[60:61]
	ds_read_b128 v[58:61], v1 offset:1040
	buffer_load_dword v244, off, s[0:3], 0 offset:632
	buffer_load_dword v246, off, s[0:3], 0 offset:624
	;; [unrolled: 1-line block ×4, first 2 shown]
	ds_read_b128 v[62:65], v1 offset:1056
	s_waitcnt lgkmcnt(2)
	v_mul_f64 v[66:67], v[54:55], v[152:153]
	v_fmac_f64_e32 v[66:67], v[56:57], v[156:157]
	s_waitcnt vmcnt(50) lgkmcnt(1)
	v_mul_f64 v[68:69], v[58:59], v[218:219]
	v_add_f64 v[66:67], v[120:121], v[66:67]
	s_waitcnt vmcnt(48)
	v_fmac_f64_e32 v[68:69], v[60:61], v[220:221]
	v_add_f64 v[66:67], v[66:67], v[68:69]
	v_fma_f64 v[120:121], v[102:103], v[72:73], -v[70:71]
	ds_read_b128 v[70:73], v1 offset:1088
	s_waitcnt lgkmcnt(1)
	v_mul_f64 v[68:69], v[62:63], v[160:161]
	v_fmac_f64_e32 v[68:69], v[64:65], v[164:165]
	v_add_f64 v[78:79], v[66:67], v[68:69]
	ds_read_b128 v[66:69], v1 offset:1072
	ds_read_b128 v[74:77], v1 offset:1104
	;; [unrolled: 1-line block ×3, first 2 shown]
	v_accvgpr_write_b32 a120, v2
	v_fma_f64 v[2:3], v[182:183], v[88:89], -v[86:87]
	s_waitcnt vmcnt(42) lgkmcnt(2)
	v_mul_f64 v[80:81], v[66:67], v[222:223]
	s_waitcnt vmcnt(40)
	v_fmac_f64_e32 v[80:81], v[68:69], v[224:225]
	v_add_f64 v[78:79], v[78:79], v[80:81]
	v_mul_f64 v[80:81], v[70:71], v[168:169]
	v_fmac_f64_e32 v[80:81], v[72:73], v[200:201]
	v_add_f64 v[90:91], v[78:79], v[80:81]
	ds_read_b128 v[78:81], v1 offset:1120
	s_waitcnt vmcnt(34) lgkmcnt(2)
	v_mul_f64 v[92:93], v[74:75], v[226:227]
	s_waitcnt vmcnt(32)
	v_fmac_f64_e32 v[92:93], v[76:77], v[228:229]
	ds_read_b128 v[86:89], v1 offset:1152
	v_add_f64 v[90:91], v[90:91], v[92:93]
	s_waitcnt lgkmcnt(1)
	v_mul_f64 v[92:93], v[78:79], v[204:205]
	v_fmac_f64_e32 v[92:93], v[80:81], v[208:209]
	v_add_f64 v[90:91], v[90:91], v[92:93]
	s_waitcnt vmcnt(26)
	v_mul_f64 v[92:93], v[82:83], v[230:231]
	s_waitcnt vmcnt(24)
	v_fmac_f64_e32 v[92:93], v[84:85], v[232:233]
	v_add_f64 v[90:91], v[90:91], v[92:93]
	v_fma_f64 v[188:189], v[186:187], v[96:97], -v[94:95]
	ds_read_b128 v[94:97], v1 offset:1184
	s_waitcnt lgkmcnt(1)
	v_mul_f64 v[92:93], v[86:87], v[212:213]
	v_fmac_f64_e32 v[92:93], v[88:89], v[216:217]
	v_add_f64 v[102:103], v[90:91], v[92:93]
	ds_read_b128 v[90:93], v1 offset:1168
	v_mul_f64 v[98:99], v[250:251], v[98:99]
	v_fma_f64 v[182:183], v[248:249], v[100:101], -v[98:99]
	ds_read_b128 v[98:101], v1 offset:1200
	v_mul_f64 v[106:107], v[192:193], v[106:107]
	v_fma_f64 v[190:191], v[190:191], v[108:109], -v[106:107]
	v_add_f64 v[194:195], v[194:195], 0
	v_add_f64 v[194:195], v[194:195], v[196:197]
	;; [unrolled: 1-line block ×6, first 2 shown]
	v_accvgpr_read_b32 v4, a120
	v_add_f64 v[188:189], v[2:3], v[188:189]
	v_accvgpr_read_b32 v5, a121
	v_add_f64 v[2:3], v[188:189], v[182:183]
	v_mul_f64 v[4:5], v[124:125], v[4:5]
	v_add_f64 v[2:3], v[2:3], v[190:191]
	v_fma_f64 v[4:5], v[122:123], v[128:129], -v[4:5]
	v_add_f64 v[2:3], v[2:3], v[4:5]
	v_mul_f64 v[4:5], v[8:9], v[252:253]
	ds_read_b128 v[106:109], v1 offset:1232
	v_fma_f64 v[4:5], v[6:7], v[198:199], -v[4:5]
	v_add_f64 v[2:3], v[2:3], v[4:5]
	v_mul_f64 v[4:5], v[12:13], v[130:131]
	v_fma_f64 v[4:5], v[10:11], v[146:147], -v[4:5]
	s_waitcnt vmcnt(13) lgkmcnt(1)
	v_mul_f64 v[112:113], v[98:99], v[234:235]
	v_add_f64 v[2:3], v[2:3], v[4:5]
	v_mul_f64 v[104:105], v[90:91], v[172:173]
	s_waitcnt vmcnt(11)
	v_fmac_f64_e32 v[112:113], v[100:101], v[240:241]
	v_fmac_f64_e32 v[104:105], v[92:93], v[174:175]
	v_add_f64 v[102:103], v[102:103], v[104:105]
	v_mul_f64 v[4:5], v[16:17], v[118:119]
	v_mul_f64 v[104:105], v[94:95], v[178:179]
	v_fmac_f64_e32 v[104:105], v[96:97], v[180:181]
	v_add_f64 v[110:111], v[102:103], v[104:105]
	ds_read_b128 v[102:105], v1 offset:1216
	v_add_f64 v[110:111], v[110:111], v[112:113]
	v_fma_f64 v[4:5], v[14:15], v[126:127], -v[4:5]
	v_add_f64 v[2:3], v[2:3], v[4:5]
	v_mul_f64 v[4:5], v[20:21], v[150:151]
	s_waitcnt vmcnt(10) lgkmcnt(0)
	v_mul_f64 v[112:113], v[102:103], v[176:177]
	s_waitcnt vmcnt(8)
	v_fmac_f64_e32 v[112:113], v[104:105], v[238:239]
	v_add_f64 v[110:111], v[110:111], v[112:113]
	s_waitcnt vmcnt(6)
	v_mul_f64 v[112:113], v[106:107], v[236:237]
	s_waitcnt vmcnt(4)
	v_fmac_f64_e32 v[112:113], v[108:109], v[242:243]
	v_add_f64 v[114:115], v[110:111], v[112:113]
	ds_read_b128 v[110:113], v1 offset:1248
	buffer_load_dword v185, off, s[0:3], 0 offset:652
	buffer_load_dword v184, off, s[0:3], 0 offset:648
	;; [unrolled: 1-line block ×4, first 2 shown]
	v_fma_f64 v[4:5], v[18:19], v[154:155], -v[4:5]
	v_add_f64 v[2:3], v[2:3], v[4:5]
	v_mul_f64 v[4:5], v[24:25], v[132:133]
	s_waitcnt vmcnt(5) lgkmcnt(0)
	v_mul_f64 v[116:117], v[110:111], v[244:245]
	s_waitcnt vmcnt(4)
	v_fmac_f64_e32 v[116:117], v[112:113], v[246:247]
	v_add_f64 v[192:193], v[114:115], v[116:117]
	ds_read_b128 v[114:117], v1 offset:1264
	v_fma_f64 v[4:5], v[22:23], v[134:135], -v[4:5]
	v_add_f64 v[2:3], v[2:3], v[4:5]
	v_mul_f64 v[4:5], v[28:29], v[158:159]
	v_fma_f64 v[4:5], v[26:27], v[162:163], -v[4:5]
	v_add_f64 v[2:3], v[2:3], v[4:5]
	v_mul_f64 v[4:5], v[32:33], v[136:137]
	;; [unrolled: 3-line block ×22, first 2 shown]
	v_fma_f64 v[4:5], v[110:111], v[246:247], -v[4:5]
	v_add_f64 v[2:3], v[2:3], v[4:5]
	s_waitcnt vmcnt(2) lgkmcnt(0)
	v_mul_f64 v[248:249], v[114:115], v[184:185]
	v_mul_f64 v[4:5], v[116:117], v[184:185]
	s_waitcnt vmcnt(0)
	v_fmac_f64_e32 v[248:249], v[116:117], v[186:187]
	v_add_f64 v[192:193], v[192:193], v[248:249]
	buffer_load_dword v250, off, s[0:3], 0 offset:32
	buffer_load_dword v251, off, s[0:3], 0 offset:36
	;; [unrolled: 1-line block ×4, first 2 shown]
	v_fma_f64 v[4:5], v[114:115], v[186:187], -v[4:5]
	v_add_f64 v[2:3], v[2:3], v[4:5]
	s_waitcnt vmcnt(2)
	v_add_f64 v[2:3], v[250:251], -v[2:3]
	s_waitcnt vmcnt(0)
	v_add_f64 v[4:5], v[248:249], -v[192:193]
	buffer_store_dword v3, off, s[0:3], 0 offset:36
	buffer_store_dword v2, off, s[0:3], 0 offset:32
	;; [unrolled: 1-line block ×4, first 2 shown]
	s_and_saveexec_b64 s[4:5], vcc
	s_cbranch_execz .LBB103_253
; %bb.252:
	buffer_load_dword v0, off, s[0:3], 0 offset:16
	buffer_load_dword v1, off, s[0:3], 0 offset:20
	;; [unrolled: 1-line block ×4, first 2 shown]
	v_mov_b32_e32 v4, 0
	v_accvgpr_read_b32 v5, a119
	buffer_store_dword v4, off, s[0:3], 0 offset:16
	buffer_store_dword v4, off, s[0:3], 0 offset:20
	;; [unrolled: 1-line block ×4, first 2 shown]
	s_waitcnt vmcnt(4)
	ds_write_b128 v5, v[0:3]
.LBB103_253:
	s_or_b64 exec, exec, s[4:5]
	s_waitcnt lgkmcnt(0)
	; wave barrier
	s_waitcnt lgkmcnt(0)
	buffer_load_dword v56, off, s[0:3], 0 offset:32
	buffer_load_dword v57, off, s[0:3], 0 offset:36
	;; [unrolled: 1-line block ×49, first 2 shown]
	s_and_b64 vcc, exec, s[16:17]
	s_waitcnt vmcnt(8)
	v_accvgpr_write_b32 a121, v3
	s_waitcnt vmcnt(7)
	v_pk_mov_b32 v[24:25], v[0:1], v[0:1] op_sel:[0,1]
	v_mov_b32_e32 v0, 0
	ds_read_b128 v[76:79], v0 offset:656
	ds_read_b128 v[88:91], v0 offset:672
	;; [unrolled: 1-line block ×11, first 2 shown]
	s_waitcnt lgkmcnt(10)
	v_mul_f64 v[4:5], v[76:77], v[58:59]
	s_waitcnt lgkmcnt(9)
	v_mul_f64 v[6:7], v[88:89], v[64:65]
	v_fmac_f64_e32 v[4:5], v[78:79], v[56:57]
	s_waitcnt lgkmcnt(8)
	v_mul_f64 v[8:9], v[100:101], v[60:61]
	v_fmac_f64_e32 v[6:7], v[90:91], v[62:63]
	v_add_f64 v[4:5], v[4:5], 0
	s_waitcnt lgkmcnt(7)
	v_mul_f64 v[10:11], v[108:109], v[68:69]
	v_fmac_f64_e32 v[8:9], v[102:103], v[66:67]
	v_add_f64 v[4:5], v[4:5], v[6:7]
	;; [unrolled: 4-line block ×3, first 2 shown]
	buffer_load_dword v204, off, s[0:3], 0 offset:216
	buffer_load_dword v221, off, s[0:3], 0 offset:212
	;; [unrolled: 1-line block ×75, first 2 shown]
	s_waitcnt lgkmcnt(5)
	v_mul_f64 v[14:15], v[172:173], v[80:81]
	v_fmac_f64_e32 v[12:13], v[114:115], v[74:75]
	v_add_f64 v[4:5], v[4:5], v[10:11]
	s_waitcnt lgkmcnt(4)
	v_mul_f64 v[16:17], v[176:177], v[84:85]
	v_fmac_f64_e32 v[14:15], v[174:175], v[82:83]
	v_add_f64 v[4:5], v[4:5], v[12:13]
	;; [unrolled: 4-line block ×5, first 2 shown]
	v_add_f64 v[4:5], v[4:5], v[20:21]
	s_waitcnt vmcnt(62)
	v_fmac_f64_e32 v[22:23], v[190:191], v[106:107]
	v_add_f64 v[8:9], v[4:5], v[22:23]
	ds_read_b128 v[4:7], v0 offset:832
	s_waitcnt lgkmcnt(1)
	v_mul_f64 v[10:11], v[198:199], v[24:25]
	v_fmac_f64_e32 v[10:11], v[200:201], v[2:3]
	v_add_f64 v[12:13], v[8:9], v[10:11]
	ds_read_b128 v[8:11], v0 offset:848
	s_waitcnt lgkmcnt(1)
	v_mul_f64 v[14:15], v[4:5], v[204:205]
	;; [unrolled: 5-line block ×4, first 2 shown]
	v_accvgpr_write_b32 a123, v25
	v_fmac_f64_e32 v[22:23], v[14:15], v[228:229]
	v_accvgpr_write_b32 a122, v24
	v_add_f64 v[24:25], v[20:21], v[22:23]
	ds_read_b128 v[20:23], v0 offset:896
	s_waitcnt lgkmcnt(1)
	v_mul_f64 v[26:27], v[16:17], v[206:207]
	v_fmac_f64_e32 v[26:27], v[18:19], v[208:209]
	v_add_f64 v[28:29], v[24:25], v[26:27]
	ds_read_b128 v[24:27], v0 offset:912
	s_waitcnt vmcnt(58) lgkmcnt(1)
	v_mul_f64 v[30:31], v[20:21], v[232:233]
	s_waitcnt vmcnt(56)
	v_fmac_f64_e32 v[30:31], v[22:23], v[236:237]
	v_add_f64 v[32:33], v[28:29], v[30:31]
	ds_read_b128 v[28:31], v0 offset:928
	s_waitcnt lgkmcnt(1)
	v_mul_f64 v[34:35], v[24:25], v[210:211]
	v_fmac_f64_e32 v[34:35], v[26:27], v[212:213]
	v_add_f64 v[36:37], v[32:33], v[34:35]
	ds_read_b128 v[32:35], v0 offset:944
	s_waitcnt vmcnt(50) lgkmcnt(1)
	v_mul_f64 v[38:39], v[28:29], v[240:241]
	s_waitcnt vmcnt(48)
	v_fmac_f64_e32 v[38:39], v[30:31], v[244:245]
	;; [unrolled: 11-line block ×4, first 2 shown]
	v_add_f64 v[120:121], v[52:53], v[54:55]
	ds_read_b128 v[52:55], v0 offset:1024
	buffer_load_dword v144, off, s[0:3], 0 offset:552
	buffer_load_dword v149, off, s[0:3], 0 offset:540
	;; [unrolled: 1-line block ×24, first 2 shown]
	v_mul_f64 v[58:59], v[78:79], v[58:59]
	s_waitcnt lgkmcnt(1)
	v_mul_f64 v[168:169], v[48:49], v[226:227]
	v_fma_f64 v[192:193], v[76:77], v[56:57], -v[58:59]
	ds_read_b128 v[56:59], v0 offset:1040
	v_fmac_f64_e32 v[168:169], v[50:51], v[230:231]
	v_mul_f64 v[64:65], v[90:91], v[64:65]
	v_mul_f64 v[60:61], v[102:103], v[60:61]
	v_add_f64 v[76:77], v[120:121], v[168:169]
	v_fma_f64 v[120:121], v[88:89], v[62:63], -v[64:65]
	buffer_load_dword v169, off, s[0:3], 0 offset:636
	buffer_load_dword v168, off, s[0:3], 0 offset:632
	;; [unrolled: 1-line block ×4, first 2 shown]
	v_fma_f64 v[194:195], v[100:101], v[66:67], -v[60:61]
	ds_read_b128 v[60:63], v0 offset:1056
	s_waitcnt vmcnt(54) lgkmcnt(2)
	v_mul_f64 v[64:65], v[52:53], v[128:129]
	s_waitcnt vmcnt(52)
	v_fmac_f64_e32 v[64:65], v[54:55], v[130:131]
	s_waitcnt lgkmcnt(1)
	v_mul_f64 v[66:67], v[56:57], v[234:235]
	v_add_f64 v[64:65], v[76:77], v[64:65]
	v_fmac_f64_e32 v[66:67], v[58:59], v[238:239]
	v_mul_f64 v[68:69], v[110:111], v[68:69]
	v_add_f64 v[64:65], v[64:65], v[66:67]
	v_fma_f64 v[196:197], v[108:109], v[70:71], -v[68:69]
	ds_read_b128 v[68:71], v0 offset:1088
	s_waitcnt vmcnt(46) lgkmcnt(1)
	v_mul_f64 v[66:67], v[60:61], v[132:133]
	s_waitcnt vmcnt(44)
	v_fmac_f64_e32 v[66:67], v[62:63], v[134:135]
	v_add_f64 v[76:77], v[64:65], v[66:67]
	ds_read_b128 v[64:67], v0 offset:1072
	v_mul_f64 v[72:73], v[114:115], v[72:73]
	v_accvgpr_write_b32 a120, v2
	v_fma_f64 v[2:3], v[112:113], v[74:75], -v[72:73]
	ds_read_b128 v[72:75], v0 offset:1104
	s_waitcnt lgkmcnt(1)
	v_mul_f64 v[78:79], v[64:65], v[242:243]
	v_fmac_f64_e32 v[78:79], v[66:67], v[246:247]
	v_add_f64 v[76:77], v[76:77], v[78:79]
	s_waitcnt vmcnt(38)
	v_mul_f64 v[78:79], v[68:69], v[136:137]
	s_waitcnt vmcnt(36)
	v_fmac_f64_e32 v[78:79], v[70:71], v[138:139]
	v_add_f64 v[76:77], v[76:77], v[78:79]
	s_waitcnt lgkmcnt(0)
	v_mul_f64 v[78:79], v[72:73], v[250:251]
	v_fmac_f64_e32 v[78:79], v[74:75], v[254:255]
	v_add_f64 v[88:89], v[76:77], v[78:79]
	ds_read_b128 v[76:79], v0 offset:1120
	v_mul_f64 v[80:81], v[174:175], v[80:81]
	v_fma_f64 v[172:173], v[172:173], v[82:83], -v[80:81]
	ds_read_b128 v[80:83], v0 offset:1136
	v_mul_f64 v[84:85], v[178:179], v[84:85]
	s_waitcnt vmcnt(30) lgkmcnt(1)
	v_mul_f64 v[90:91], v[76:77], v[140:141]
	s_waitcnt vmcnt(28)
	v_fmac_f64_e32 v[90:91], v[78:79], v[142:143]
	v_add_f64 v[88:89], v[88:89], v[90:91]
	v_fma_f64 v[178:179], v[176:177], v[86:87], -v[84:85]
	ds_read_b128 v[84:87], v0 offset:1152
	s_waitcnt lgkmcnt(1)
	v_mul_f64 v[90:91], v[80:81], v[122:123]
	v_fmac_f64_e32 v[90:91], v[82:83], v[126:127]
	v_add_f64 v[100:101], v[88:89], v[90:91]
	ds_read_b128 v[88:91], v0 offset:1168
	v_mul_f64 v[92:93], v[182:183], v[92:93]
	v_fma_f64 v[180:181], v[180:181], v[94:95], -v[92:93]
	ds_read_b128 v[92:95], v0 offset:1184
	v_mul_f64 v[96:97], v[186:187], v[96:97]
	v_fma_f64 v[182:183], v[184:185], v[98:99], -v[96:97]
	;; [unrolled: 3-line block ×4, first 2 shown]
	s_waitcnt vmcnt(25) lgkmcnt(4)
	v_mul_f64 v[102:103], v[84:85], v[148:149]
	s_waitcnt vmcnt(23)
	v_fmac_f64_e32 v[102:103], v[86:87], v[152:153]
	v_add_f64 v[100:101], v[100:101], v[102:103]
	s_waitcnt vmcnt(21) lgkmcnt(3)
	v_mul_f64 v[102:103], v[88:89], v[144:145]
	s_waitcnt vmcnt(20)
	v_fmac_f64_e32 v[102:103], v[90:91], v[146:147]
	v_add_f64 v[108:109], v[100:101], v[102:103]
	ds_read_b128 v[100:103], v0 offset:1200
	s_waitcnt vmcnt(18) lgkmcnt(3)
	v_mul_f64 v[110:111], v[92:93], v[150:151]
	s_waitcnt vmcnt(16)
	v_fmac_f64_e32 v[110:111], v[94:95], v[154:155]
	v_add_f64 v[108:109], v[108:109], v[110:111]
	s_waitcnt vmcnt(14) lgkmcnt(0)
	v_mul_f64 v[110:111], v[100:101], v[158:159]
	s_waitcnt vmcnt(12)
	v_fmac_f64_e32 v[110:111], v[102:103], v[160:161]
	v_add_f64 v[108:109], v[108:109], v[110:111]
	s_waitcnt vmcnt(9)
	v_mul_f64 v[110:111], v[96:97], v[164:165]
	s_waitcnt vmcnt(7)
	v_fmac_f64_e32 v[110:111], v[98:99], v[166:167]
	v_add_f64 v[108:109], v[108:109], v[110:111]
	s_waitcnt vmcnt(5)
	v_mul_f64 v[110:111], v[104:105], v[156:157]
	s_waitcnt vmcnt(4)
	v_fmac_f64_e32 v[110:111], v[106:107], v[162:163]
	v_add_f64 v[112:113], v[108:109], v[110:111]
	ds_read_b128 v[108:111], v0 offset:1248
	buffer_load_dword v174, off, s[0:3], 0 offset:648
	buffer_load_dword v175, off, s[0:3], 0 offset:652
	;; [unrolled: 1-line block ×4, first 2 shown]
	s_waitcnt vmcnt(6) lgkmcnt(0)
	v_mul_f64 v[114:115], v[108:109], v[168:169]
	s_waitcnt vmcnt(4)
	v_fmac_f64_e32 v[114:115], v[110:111], v[170:171]
	v_add_f64 v[186:187], v[112:113], v[114:115]
	ds_read_b128 v[112:115], v0 offset:1264
	s_waitcnt vmcnt(2) lgkmcnt(0)
	v_mul_f64 v[188:189], v[112:113], v[174:175]
	s_waitcnt vmcnt(0)
	v_fmac_f64_e32 v[188:189], v[114:115], v[176:177]
	v_add_f64 v[188:189], v[186:187], v[188:189]
	v_add_f64 v[186:187], v[192:193], 0
	;; [unrolled: 1-line block ×8, first 2 shown]
	buffer_load_dword v0, off, s[0:3], 0 offset:16
	buffer_load_dword v1, off, s[0:3], 0 offset:20
	;; [unrolled: 1-line block ×4, first 2 shown]
	v_accvgpr_read_b32 v2, a122
	v_accvgpr_read_b32 v3, a123
	v_add_f64 v[186:187], v[120:121], v[180:181]
	v_mul_f64 v[172:173], v[200:201], v[2:3]
	v_accvgpr_read_b32 v2, a120
	v_add_f64 v[120:121], v[186:187], v[182:183]
	v_accvgpr_read_b32 v3, a121
	v_add_f64 v[120:121], v[120:121], v[184:185]
	v_fma_f64 v[2:3], v[198:199], v[2:3], -v[172:173]
	v_add_f64 v[2:3], v[120:121], v[2:3]
	v_add_f64 v[2:3], v[2:3], v[4:5]
	v_mul_f64 v[4:5], v[10:11], v[116:117]
	v_fma_f64 v[4:5], v[8:9], v[202:203], -v[4:5]
	v_add_f64 v[2:3], v[2:3], v[4:5]
	v_mul_f64 v[4:5], v[14:15], v[224:225]
	v_fma_f64 v[4:5], v[12:13], v[228:229], -v[4:5]
	;; [unrolled: 3-line block ×27, first 2 shown]
	v_add_f64 v[2:3], v[2:3], v[4:5]
	s_waitcnt vmcnt(2)
	v_add_f64 v[0:1], v[0:1], -v[2:3]
	s_waitcnt vmcnt(0)
	v_add_f64 v[2:3], v[178:179], -v[188:189]
	buffer_store_dword v1, off, s[0:3], 0 offset:20
	buffer_store_dword v0, off, s[0:3], 0 offset:16
	;; [unrolled: 1-line block ×4, first 2 shown]
	s_cbranch_vccz .LBB103_333
; %bb.254:
	v_pk_mov_b32 v[0:1], s[10:11], s[10:11] op_sel:[0,1]
	flat_load_dword v0, v[0:1] offset:152
	s_waitcnt vmcnt(0) lgkmcnt(0)
	v_add_u32_e32 v0, -1, v0
	v_cmp_ne_u32_e32 vcc, 38, v0
	s_and_saveexec_b64 s[4:5], vcc
	s_cbranch_execz .LBB103_256
; %bb.255:
	v_mov_b32_e32 v1, 16
	v_accvgpr_read_b32 v9, a81
	v_lshl_add_u32 v0, v0, 4, v1
	buffer_load_dword v1, v9, s[0:3], 0 offen offset:4
	buffer_load_dword v2, v9, s[0:3], 0 offen offset:8
	buffer_load_dword v3, v9, s[0:3], 0 offen offset:12
	buffer_load_dword v4, v0, s[0:3], 0 offen
	buffer_load_dword v5, v0, s[0:3], 0 offen offset:4
	buffer_load_dword v6, v0, s[0:3], 0 offen offset:8
	buffer_load_dword v7, v0, s[0:3], 0 offen offset:12
	buffer_load_dword v8, v9, s[0:3], 0 offen
	s_waitcnt vmcnt(4)
	buffer_store_dword v4, v9, s[0:3], 0 offen
	s_waitcnt vmcnt(4)
	buffer_store_dword v5, v9, s[0:3], 0 offen offset:4
	s_waitcnt vmcnt(4)
	buffer_store_dword v6, v9, s[0:3], 0 offen offset:8
	s_waitcnt vmcnt(4)
	buffer_store_dword v7, v9, s[0:3], 0 offen offset:12
	buffer_store_dword v3, v0, s[0:3], 0 offen offset:12
	buffer_store_dword v2, v0, s[0:3], 0 offen offset:8
	buffer_store_dword v1, v0, s[0:3], 0 offen offset:4
	s_waitcnt vmcnt(7)
	buffer_store_dword v8, v0, s[0:3], 0 offen
.LBB103_256:
	s_or_b64 exec, exec, s[4:5]
	v_pk_mov_b32 v[0:1], s[10:11], s[10:11] op_sel:[0,1]
	flat_load_dword v0, v[0:1] offset:148
	s_waitcnt vmcnt(0) lgkmcnt(0)
	v_add_u32_e32 v0, -1, v0
	v_cmp_ne_u32_e32 vcc, 37, v0
	s_and_saveexec_b64 s[4:5], vcc
	s_cbranch_execz .LBB103_258
; %bb.257:
	v_mov_b32_e32 v1, 16
	v_accvgpr_read_b32 v9, a82
	v_lshl_add_u32 v0, v0, 4, v1
	buffer_load_dword v1, v9, s[0:3], 0 offen offset:4
	buffer_load_dword v2, v9, s[0:3], 0 offen offset:8
	buffer_load_dword v3, v9, s[0:3], 0 offen offset:12
	buffer_load_dword v4, v0, s[0:3], 0 offen
	buffer_load_dword v5, v0, s[0:3], 0 offen offset:4
	buffer_load_dword v6, v0, s[0:3], 0 offen offset:8
	buffer_load_dword v7, v0, s[0:3], 0 offen offset:12
	buffer_load_dword v8, v9, s[0:3], 0 offen
	s_waitcnt vmcnt(4)
	buffer_store_dword v4, v9, s[0:3], 0 offen
	s_waitcnt vmcnt(4)
	buffer_store_dword v5, v9, s[0:3], 0 offen offset:4
	s_waitcnt vmcnt(4)
	buffer_store_dword v6, v9, s[0:3], 0 offen offset:8
	s_waitcnt vmcnt(4)
	buffer_store_dword v7, v9, s[0:3], 0 offen offset:12
	buffer_store_dword v3, v0, s[0:3], 0 offen offset:12
	buffer_store_dword v2, v0, s[0:3], 0 offen offset:8
	buffer_store_dword v1, v0, s[0:3], 0 offen offset:4
	s_waitcnt vmcnt(7)
	buffer_store_dword v8, v0, s[0:3], 0 offen
.LBB103_258:
	s_or_b64 exec, exec, s[4:5]
	;; [unrolled: 34-line block ×38, first 2 shown]
	v_pk_mov_b32 v[0:1], s[10:11], s[10:11] op_sel:[0,1]
	flat_load_dword v0, v[0:1]
	s_waitcnt vmcnt(0) lgkmcnt(0)
	v_add_u32_e32 v0, -1, v0
	v_cmp_ne_u32_e32 vcc, 0, v0
	s_and_saveexec_b64 s[4:5], vcc
	s_cbranch_execz .LBB103_332
; %bb.331:
	v_mov_b32_e32 v1, 16
	v_lshl_add_u32 v0, v0, 4, v1
	buffer_load_dword v1, v0, s[0:3], 0 offen
	buffer_load_dword v2, v0, s[0:3], 0 offen offset:4
	buffer_load_dword v3, v0, s[0:3], 0 offen offset:8
	;; [unrolled: 1-line block ×3, first 2 shown]
	buffer_load_dword v5, off, s[0:3], 0 offset:28
	buffer_load_dword v6, off, s[0:3], 0 offset:24
	;; [unrolled: 1-line block ×4, first 2 shown]
	s_waitcnt vmcnt(7)
	buffer_store_dword v1, off, s[0:3], 0 offset:16
	s_waitcnt vmcnt(7)
	buffer_store_dword v2, off, s[0:3], 0 offset:20
	;; [unrolled: 2-line block ×4, first 2 shown]
	s_waitcnt vmcnt(7)
	buffer_store_dword v5, v0, s[0:3], 0 offen offset:12
	s_waitcnt vmcnt(7)
	buffer_store_dword v6, v0, s[0:3], 0 offen offset:8
	;; [unrolled: 2-line block ×3, first 2 shown]
	s_waitcnt vmcnt(7)
	buffer_store_dword v8, v0, s[0:3], 0 offen
.LBB103_332:
	s_or_b64 exec, exec, s[4:5]
.LBB103_333:
	buffer_load_dword v0, off, s[0:3], 0 offset:16
	buffer_load_dword v1, off, s[0:3], 0 offset:20
	;; [unrolled: 1-line block ×4, first 2 shown]
	v_accvgpr_read_b32 v4, a118
	buffer_load_dword v5, v4, s[0:3], 0 offen offset:4
	buffer_load_dword v6, v4, s[0:3], 0 offen offset:8
	buffer_load_dword v7, v4, s[0:3], 0 offen offset:12
	v_accvgpr_read_b32 v11, a117
	buffer_load_dword v8, v11, s[0:3], 0 offen
	buffer_load_dword v9, v11, s[0:3], 0 offen offset:4
	buffer_load_dword v10, v11, s[0:3], 0 offen offset:8
	s_nop 0
	buffer_load_dword v4, v4, s[0:3], 0 offen
	s_nop 0
	buffer_load_dword v11, v11, s[0:3], 0 offen offset:12
	v_accvgpr_read_b32 v12, a116
	buffer_load_dword v13, v12, s[0:3], 0 offen offset:4
	buffer_load_dword v14, v12, s[0:3], 0 offen offset:8
	buffer_load_dword v15, v12, s[0:3], 0 offen offset:12
	v_accvgpr_read_b32 v19, a115
	buffer_load_dword v16, v19, s[0:3], 0 offen
	buffer_load_dword v17, v19, s[0:3], 0 offen offset:4
	buffer_load_dword v18, v19, s[0:3], 0 offen offset:8
	s_nop 0
	buffer_load_dword v12, v12, s[0:3], 0 offen
	s_nop 0
	buffer_load_dword v19, v19, s[0:3], 0 offen offset:12
	;; [unrolled: 12-line block ×15, first 2 shown]
	v_accvgpr_read_b32 v121, a88
	buffer_load_dword v127, v121, s[0:3], 0 offen offset:4
	buffer_load_dword v128, v121, s[0:3], 0 offen offset:8
	buffer_load_dword v129, v121, s[0:3], 0 offen offset:12
	v_accvgpr_read_b32 v120, a87
	buffer_load_dword v130, v120, s[0:3], 0 offen
	buffer_load_dword v131, v120, s[0:3], 0 offen offset:4
	buffer_load_dword v132, v120, s[0:3], 0 offen offset:8
	buffer_load_dword v126, v121, s[0:3], 0 offen
	buffer_load_dword v133, v120, s[0:3], 0 offen offset:12
	v_accvgpr_read_b32 v121, a86
	buffer_load_dword v135, v121, s[0:3], 0 offen offset:4
	buffer_load_dword v136, v121, s[0:3], 0 offen offset:8
	buffer_load_dword v137, v121, s[0:3], 0 offen offset:12
	v_accvgpr_read_b32 v120, a85
	buffer_load_dword v138, v120, s[0:3], 0 offen
	buffer_load_dword v139, v120, s[0:3], 0 offen offset:4
	buffer_load_dword v140, v120, s[0:3], 0 offen offset:8
	buffer_load_dword v134, v121, s[0:3], 0 offen
	buffer_load_dword v141, v120, s[0:3], 0 offen offset:12
	;; [unrolled: 10-line block ×4, first 2 shown]
	v_accvgpr_read_b32 v120, a80
	buffer_load_dword v158, v120, s[0:3], 0 offen
	buffer_load_dword v159, v120, s[0:3], 0 offen offset:4
	buffer_load_dword v160, v120, s[0:3], 0 offen offset:8
	;; [unrolled: 1-line block ×3, first 2 shown]
	v_accvgpr_read_b32 v121, a3
	v_accvgpr_read_b32 v120, a2
	s_waitcnt vmcnt(62)
	global_store_dwordx4 v[120:121], v[0:3], off
	s_nop 0
	v_accvgpr_read_b32 v0, a4
	v_accvgpr_read_b32 v1, a5
	global_store_dwordx4 v[0:1], v[4:7], off
	v_accvgpr_read_b32 v0, a0
	v_accvgpr_read_b32 v1, a1
	global_store_dwordx4 v[0:1], v[8:11], off
	v_accvgpr_read_b32 v0, a6
	v_accvgpr_read_b32 v1, a7
	global_store_dwordx4 v[0:1], v[12:15], off
	v_accvgpr_read_b32 v0, a8
	v_accvgpr_read_b32 v1, a9
	global_store_dwordx4 v[0:1], v[16:19], off
	v_accvgpr_read_b32 v0, a10
	v_accvgpr_read_b32 v1, a11
	global_store_dwordx4 v[0:1], v[20:23], off
	v_accvgpr_read_b32 v0, a12
	v_accvgpr_read_b32 v1, a13
	global_store_dwordx4 v[0:1], v[24:27], off
	v_accvgpr_read_b32 v0, a14
	v_accvgpr_read_b32 v1, a15
	global_store_dwordx4 v[0:1], v[28:31], off
	v_accvgpr_read_b32 v0, a16
	v_accvgpr_read_b32 v1, a17
	global_store_dwordx4 v[0:1], v[32:35], off
	v_accvgpr_read_b32 v0, a18
	v_accvgpr_read_b32 v1, a19
	global_store_dwordx4 v[0:1], v[36:39], off
	v_accvgpr_read_b32 v0, a20
	v_accvgpr_read_b32 v1, a21
	global_store_dwordx4 v[0:1], v[40:43], off
	v_accvgpr_read_b32 v0, a22
	v_accvgpr_read_b32 v1, a23
	global_store_dwordx4 v[0:1], v[44:47], off
	v_accvgpr_read_b32 v0, a24
	v_accvgpr_read_b32 v1, a25
	global_store_dwordx4 v[0:1], v[48:51], off
	v_accvgpr_read_b32 v0, a26
	v_accvgpr_read_b32 v1, a27
	global_store_dwordx4 v[0:1], v[52:55], off
	v_accvgpr_read_b32 v0, a28
	v_accvgpr_read_b32 v1, a29
	global_store_dwordx4 v[0:1], v[56:59], off
	v_accvgpr_read_b32 v0, a30
	v_accvgpr_read_b32 v1, a31
	global_store_dwordx4 v[0:1], v[60:63], off
	v_accvgpr_read_b32 v0, a32
	v_accvgpr_read_b32 v1, a33
	global_store_dwordx4 v[0:1], v[64:67], off
	v_accvgpr_read_b32 v0, a36
	v_accvgpr_read_b32 v1, a37
	global_store_dwordx4 v[0:1], v[68:71], off
	v_accvgpr_read_b32 v0, a38
	v_accvgpr_read_b32 v1, a39
	global_store_dwordx4 v[0:1], v[72:75], off
	v_accvgpr_read_b32 v0, a40
	v_accvgpr_read_b32 v1, a41
	global_store_dwordx4 v[0:1], v[76:79], off
	v_accvgpr_read_b32 v0, a42
	v_accvgpr_read_b32 v1, a43
	global_store_dwordx4 v[0:1], v[80:83], off
	v_accvgpr_read_b32 v0, a44
	v_accvgpr_read_b32 v1, a45
	global_store_dwordx4 v[0:1], v[84:87], off
	v_accvgpr_read_b32 v0, a46
	v_accvgpr_read_b32 v1, a47
	global_store_dwordx4 v[0:1], v[88:91], off
	v_accvgpr_read_b32 v0, a48
	v_accvgpr_read_b32 v1, a49
	s_waitcnt vmcnt(62)
	global_store_dwordx4 v[0:1], v[92:95], off
	v_accvgpr_read_b32 v0, a50
	v_accvgpr_read_b32 v1, a51
	global_store_dwordx4 v[0:1], v[96:99], off
	v_accvgpr_read_b32 v0, a52
	v_accvgpr_read_b32 v1, a53
	global_store_dwordx4 v[0:1], v[100:103], off
	v_accvgpr_read_b32 v0, a54
	v_accvgpr_read_b32 v1, a55
	global_store_dwordx4 v[0:1], v[104:107], off
	v_accvgpr_read_b32 v0, a56
	v_accvgpr_read_b32 v1, a57
	global_store_dwordx4 v[0:1], v[108:111], off
	v_accvgpr_read_b32 v0, a58
	v_accvgpr_read_b32 v1, a59
	global_store_dwordx4 v[0:1], v[112:115], off
	v_accvgpr_read_b32 v0, a60
	v_accvgpr_read_b32 v1, a61
	s_waitcnt vmcnt(62)
	global_store_dwordx4 v[0:1], v[116:119], off
	v_accvgpr_read_b32 v0, a62
	v_accvgpr_read_b32 v1, a63
	global_store_dwordx4 v[0:1], v[122:125], off
	v_accvgpr_read_b32 v0, a64
	v_accvgpr_read_b32 v1, a65
	s_waitcnt vmcnt(60)
	global_store_dwordx4 v[0:1], v[126:129], off
	v_accvgpr_read_b32 v0, a66
	v_accvgpr_read_b32 v1, a67
	s_waitcnt vmcnt(60)
	;; [unrolled: 4-line block ×9, first 2 shown]
	global_store_dwordx4 v[0:1], v[158:161], off
	s_endpgm
	.section	.rodata,"a",@progbits
	.p2align	6, 0x0
	.amdhsa_kernel _ZN9rocsolver6v33100L18getri_kernel_smallILi40E19rocblas_complex_numIdEPKPS3_EEvT1_iilPiilS8_bb
		.amdhsa_group_segment_fixed_size 1288
		.amdhsa_private_segment_fixed_size 672
		.amdhsa_kernarg_size 60
		.amdhsa_user_sgpr_count 8
		.amdhsa_user_sgpr_private_segment_buffer 1
		.amdhsa_user_sgpr_dispatch_ptr 0
		.amdhsa_user_sgpr_queue_ptr 0
		.amdhsa_user_sgpr_kernarg_segment_ptr 1
		.amdhsa_user_sgpr_dispatch_id 0
		.amdhsa_user_sgpr_flat_scratch_init 1
		.amdhsa_user_sgpr_kernarg_preload_length 0
		.amdhsa_user_sgpr_kernarg_preload_offset 0
		.amdhsa_user_sgpr_private_segment_size 0
		.amdhsa_uses_dynamic_stack 0
		.amdhsa_system_sgpr_private_segment_wavefront_offset 1
		.amdhsa_system_sgpr_workgroup_id_x 1
		.amdhsa_system_sgpr_workgroup_id_y 0
		.amdhsa_system_sgpr_workgroup_id_z 0
		.amdhsa_system_sgpr_workgroup_info 0
		.amdhsa_system_vgpr_workitem_id 0
		.amdhsa_next_free_vgpr 380
		.amdhsa_next_free_sgpr 22
		.amdhsa_accum_offset 256
		.amdhsa_reserve_vcc 1
		.amdhsa_reserve_flat_scratch 1
		.amdhsa_float_round_mode_32 0
		.amdhsa_float_round_mode_16_64 0
		.amdhsa_float_denorm_mode_32 3
		.amdhsa_float_denorm_mode_16_64 3
		.amdhsa_dx10_clamp 1
		.amdhsa_ieee_mode 1
		.amdhsa_fp16_overflow 0
		.amdhsa_tg_split 0
		.amdhsa_exception_fp_ieee_invalid_op 0
		.amdhsa_exception_fp_denorm_src 0
		.amdhsa_exception_fp_ieee_div_zero 0
		.amdhsa_exception_fp_ieee_overflow 0
		.amdhsa_exception_fp_ieee_underflow 0
		.amdhsa_exception_fp_ieee_inexact 0
		.amdhsa_exception_int_div_zero 0
	.end_amdhsa_kernel
	.section	.text._ZN9rocsolver6v33100L18getri_kernel_smallILi40E19rocblas_complex_numIdEPKPS3_EEvT1_iilPiilS8_bb,"axG",@progbits,_ZN9rocsolver6v33100L18getri_kernel_smallILi40E19rocblas_complex_numIdEPKPS3_EEvT1_iilPiilS8_bb,comdat
.Lfunc_end103:
	.size	_ZN9rocsolver6v33100L18getri_kernel_smallILi40E19rocblas_complex_numIdEPKPS3_EEvT1_iilPiilS8_bb, .Lfunc_end103-_ZN9rocsolver6v33100L18getri_kernel_smallILi40E19rocblas_complex_numIdEPKPS3_EEvT1_iilPiilS8_bb
                                        ; -- End function
	.section	.AMDGPU.csdata,"",@progbits
; Kernel info:
; codeLenInByte = 106620
; NumSgprs: 28
; NumVgprs: 256
; NumAgprs: 124
; TotalNumVgprs: 380
; ScratchSize: 672
; MemoryBound: 0
; FloatMode: 240
; IeeeMode: 1
; LDSByteSize: 1288 bytes/workgroup (compile time only)
; SGPRBlocks: 3
; VGPRBlocks: 47
; NumSGPRsForWavesPerEU: 28
; NumVGPRsForWavesPerEU: 380
; AccumOffset: 256
; Occupancy: 1
; WaveLimiterHint : 1
; COMPUTE_PGM_RSRC2:SCRATCH_EN: 1
; COMPUTE_PGM_RSRC2:USER_SGPR: 8
; COMPUTE_PGM_RSRC2:TRAP_HANDLER: 0
; COMPUTE_PGM_RSRC2:TGID_X_EN: 1
; COMPUTE_PGM_RSRC2:TGID_Y_EN: 0
; COMPUTE_PGM_RSRC2:TGID_Z_EN: 0
; COMPUTE_PGM_RSRC2:TIDIG_COMP_CNT: 0
; COMPUTE_PGM_RSRC3_GFX90A:ACCUM_OFFSET: 63
; COMPUTE_PGM_RSRC3_GFX90A:TG_SPLIT: 0
	.section	.text._ZN9rocsolver6v33100L18getri_kernel_smallILi41E19rocblas_complex_numIdEPKPS3_EEvT1_iilPiilS8_bb,"axG",@progbits,_ZN9rocsolver6v33100L18getri_kernel_smallILi41E19rocblas_complex_numIdEPKPS3_EEvT1_iilPiilS8_bb,comdat
	.globl	_ZN9rocsolver6v33100L18getri_kernel_smallILi41E19rocblas_complex_numIdEPKPS3_EEvT1_iilPiilS8_bb ; -- Begin function _ZN9rocsolver6v33100L18getri_kernel_smallILi41E19rocblas_complex_numIdEPKPS3_EEvT1_iilPiilS8_bb
	.p2align	8
	.type	_ZN9rocsolver6v33100L18getri_kernel_smallILi41E19rocblas_complex_numIdEPKPS3_EEvT1_iilPiilS8_bb,@function
_ZN9rocsolver6v33100L18getri_kernel_smallILi41E19rocblas_complex_numIdEPKPS3_EEvT1_iilPiilS8_bb: ; @_ZN9rocsolver6v33100L18getri_kernel_smallILi41E19rocblas_complex_numIdEPKPS3_EEvT1_iilPiilS8_bb
; %bb.0:
	s_add_u32 flat_scratch_lo, s6, s9
	s_addc_u32 flat_scratch_hi, s7, 0
	s_add_u32 s0, s0, s9
	v_mov_b32_e32 v254, v0
	s_addc_u32 s1, s1, 0
	v_cmp_gt_u32_e32 vcc, 41, v254
	s_and_saveexec_b64 s[6:7], vcc
	s_cbranch_execz .LBB104_178
; %bb.1:
	s_load_dword s18, s[4:5], 0x38
	s_load_dwordx2 s[6:7], s[4:5], 0x0
	s_load_dwordx4 s[12:15], s[4:5], 0x28
	s_waitcnt lgkmcnt(0)
	s_bitcmp1_b32 s18, 8
	s_cselect_b64 s[16:17], -1, 0
	s_ashr_i32 s9, s8, 31
	s_lshl_b64 s[10:11], s[8:9], 3
	s_add_u32 s6, s6, s10
	s_addc_u32 s7, s7, s11
	s_load_dwordx2 s[6:7], s[6:7], 0x0
	s_bfe_u32 s10, s18, 0x10008
	s_cmp_eq_u32 s10, 0
                                        ; implicit-def: $sgpr10_sgpr11
	s_cbranch_scc1 .LBB104_3
; %bb.2:
	s_load_dword s10, s[4:5], 0x20
	s_load_dwordx2 s[20:21], s[4:5], 0x18
	s_mul_i32 s11, s8, s13
	s_mul_hi_u32 s13, s8, s12
	s_add_i32 s13, s13, s11
	s_mul_i32 s19, s9, s12
	s_add_i32 s13, s13, s19
	s_mul_i32 s12, s8, s12
	s_waitcnt lgkmcnt(0)
	s_ashr_i32 s11, s10, 31
	s_lshl_b64 s[12:13], s[12:13], 2
	s_add_u32 s12, s20, s12
	s_addc_u32 s13, s21, s13
	s_lshl_b64 s[10:11], s[10:11], 2
	s_add_u32 s10, s12, s10
	s_addc_u32 s11, s13, s11
.LBB104_3:
	s_load_dwordx2 s[4:5], s[4:5], 0x8
	v_lshlrev_b32_e32 v1, 4, v254
	s_waitcnt lgkmcnt(0)
	s_ashr_i32 s13, s4, 31
	s_mov_b32 s12, s4
	s_lshl_b64 s[12:13], s[12:13], 4
	s_add_u32 s6, s6, s12
	s_addc_u32 s7, s7, s13
	s_mov_b32 s20, s5
	s_ashr_i32 s21, s5, 31
	v_mov_b32_e32 v0, s7
	v_add_co_u32_e32 v12, vcc, s6, v1
	global_load_dwordx4 v[2:5], v1, s[6:7]
	s_lshl_b64 s[12:13], s[20:21], 4
	v_addc_co_u32_e32 v13, vcc, 0, v0, vcc
	s_add_i32 s4, s5, s5
	v_mov_b32_e32 v0, s13
	v_add_co_u32_e32 v14, vcc, s12, v12
	v_add_u32_e32 v6, s4, v254
	v_addc_co_u32_e32 v15, vcc, v13, v0, vcc
	v_accvgpr_write_b32 a2, v14
	v_ashrrev_i32_e32 v7, 31, v6
	v_accvgpr_write_b32 a3, v15
	global_load_dwordx4 v[14:17], v[14:15], off
	v_add_u32_e32 v8, s5, v6
	v_accvgpr_write_b32 a0, v12
	v_lshlrev_b64 v[6:7], 4, v[6:7]
	v_mov_b32_e32 v10, s7
	v_accvgpr_write_b32 a1, v13
	v_add_co_u32_e32 v12, vcc, s6, v6
	v_addc_co_u32_e32 v13, vcc, v10, v7, vcc
	v_accvgpr_write_b32 a4, v12
	v_ashrrev_i32_e32 v9, 31, v8
	v_accvgpr_write_b32 a5, v13
	global_load_dwordx4 v[10:13], v[12:13], off
	v_lshlrev_b64 v[6:7], 4, v[8:9]
	v_mov_b32_e32 v20, s7
	v_add_co_u32_e32 v22, vcc, s6, v6
	v_add_u32_e32 v18, s5, v8
	v_addc_co_u32_e32 v23, vcc, v20, v7, vcc
	v_accvgpr_write_b32 a6, v22
	v_ashrrev_i32_e32 v19, 31, v18
	v_accvgpr_write_b32 a7, v23
	global_load_dwordx4 v[22:25], v[22:23], off
	v_lshlrev_b64 v[6:7], 4, v[18:19]
	v_mov_b32_e32 v21, s7
	v_add_u32_e32 v8, s5, v18
	v_add_co_u32_e32 v18, vcc, s6, v6
	v_addc_co_u32_e32 v19, vcc, v21, v7, vcc
	v_accvgpr_write_b32 a8, v18
	v_ashrrev_i32_e32 v9, 31, v8
	v_accvgpr_write_b32 a9, v19
	global_load_dwordx4 v[18:21], v[18:19], off
	v_lshlrev_b64 v[6:7], 4, v[8:9]
	v_mov_b32_e32 v28, s7
	v_add_co_u32_e32 v30, vcc, s6, v6
	v_add_u32_e32 v26, s5, v8
	v_addc_co_u32_e32 v31, vcc, v28, v7, vcc
	v_accvgpr_write_b32 a10, v30
	v_ashrrev_i32_e32 v27, 31, v26
	v_accvgpr_write_b32 a11, v31
	global_load_dwordx4 v[30:33], v[30:31], off
	v_lshlrev_b64 v[6:7], 4, v[26:27]
	v_mov_b32_e32 v29, s7
	v_add_u32_e32 v8, s5, v26
	;; [unrolled: 18-line block ×3, first 2 shown]
	v_add_co_u32_e32 v34, vcc, s6, v6
	v_addc_co_u32_e32 v35, vcc, v37, v7, vcc
	v_accvgpr_write_b32 a16, v34
	v_ashrrev_i32_e32 v9, 31, v8
	v_accvgpr_write_b32 a17, v35
	global_load_dwordx4 v[34:37], v[34:35], off
	v_lshlrev_b64 v[6:7], 4, v[8:9]
	v_mov_b32_e32 v0, s7
	v_add_co_u32_e32 v42, vcc, s6, v6
	v_addc_co_u32_e32 v43, vcc, v0, v7, vcc
	v_add_u32_e32 v6, s5, v8
	v_accvgpr_write_b32 a18, v42
	v_ashrrev_i32_e32 v7, 31, v6
	v_accvgpr_write_b32 a19, v43
	global_load_dwordx4 v[42:45], v[42:43], off
	v_lshlrev_b64 v[8:9], 4, v[6:7]
	v_add_co_u32_e32 v8, vcc, s6, v8
	v_addc_co_u32_e32 v9, vcc, v0, v9, vcc
	v_add_u32_e32 v6, s5, v6
	v_accvgpr_write_b32 a21, v9
	global_load_dwordx4 v[46:49], v[8:9], off
	v_ashrrev_i32_e32 v7, 31, v6
	v_accvgpr_write_b32 a20, v8
	v_lshlrev_b64 v[8:9], 4, v[6:7]
	v_add_co_u32_e32 v50, vcc, s6, v8
	v_addc_co_u32_e32 v51, vcc, v0, v9, vcc
	v_add_u32_e32 v6, s5, v6
	v_accvgpr_write_b32 a22, v50
	v_ashrrev_i32_e32 v7, 31, v6
	v_accvgpr_write_b32 a23, v51
	global_load_dwordx4 v[50:53], v[50:51], off
	v_lshlrev_b64 v[8:9], 4, v[6:7]
	v_add_co_u32_e32 v8, vcc, s6, v8
	v_addc_co_u32_e32 v9, vcc, v0, v9, vcc
	v_add_u32_e32 v6, s5, v6
	v_accvgpr_write_b32 a25, v9
	global_load_dwordx4 v[54:57], v[8:9], off
	v_ashrrev_i32_e32 v7, 31, v6
	v_accvgpr_write_b32 a24, v8
	v_lshlrev_b64 v[8:9], 4, v[6:7]
	;; [unrolled: 16-line block ×5, first 2 shown]
	v_add_co_u32_e32 v8, vcc, s6, v8
	v_add_u32_e32 v86, s5, v6
	v_addc_co_u32_e32 v9, vcc, v0, v9, vcc
	v_ashrrev_i32_e32 v87, 31, v86
	global_load_dwordx4 v[82:85], v[8:9], off
	v_lshlrev_b64 v[6:7], 4, v[86:87]
	v_add_co_u32_e32 v6, vcc, s6, v6
	v_addc_co_u32_e32 v7, vcc, v0, v7, vcc
	v_accvgpr_write_b32 a39, v9
	v_accvgpr_write_b32 a41, v7
	;; [unrolled: 1-line block ×4, first 2 shown]
	global_load_dwordx4 v[6:9], v[6:7], off
	s_bitcmp0_b32 s18, 0
	s_waitcnt vmcnt(20)
	buffer_store_dword v5, off, s[0:3], 0 offset:28
	buffer_store_dword v4, off, s[0:3], 0 offset:24
	buffer_store_dword v3, off, s[0:3], 0 offset:20
	buffer_store_dword v2, off, s[0:3], 0 offset:16
	s_waitcnt vmcnt(23)
	buffer_store_dword v17, off, s[0:3], 0 offset:44
	buffer_store_dword v16, off, s[0:3], 0 offset:40
	buffer_store_dword v15, off, s[0:3], 0 offset:36
	buffer_store_dword v14, off, s[0:3], 0 offset:32
	;; [unrolled: 5-line block ×16, first 2 shown]
	buffer_store_dword v73, off, s[0:3], 0 offset:284
	buffer_store_dword v72, off, s[0:3], 0 offset:280
	;; [unrolled: 1-line block ×12, first 2 shown]
	s_waitcnt vmcnt(62)
	buffer_store_dword v85, off, s[0:3], 0 offset:332
	buffer_store_dword v84, off, s[0:3], 0 offset:328
	;; [unrolled: 1-line block ×5, first 2 shown]
	v_add_u32_e32 v2, s5, v86
	v_ashrrev_i32_e32 v3, 31, v2
	v_lshlrev_b64 v[4:5], 4, v[2:3]
	v_add_u32_e32 v14, s5, v2
	v_add_co_u32_e32 v4, vcc, s6, v4
	v_ashrrev_i32_e32 v15, 31, v14
	v_addc_co_u32_e32 v5, vcc, v0, v5, vcc
	v_lshlrev_b64 v[2:3], 4, v[14:15]
	v_add_co_u32_e32 v10, vcc, s6, v2
	v_accvgpr_write_b32 a43, v5
	v_addc_co_u32_e32 v11, vcc, v0, v3, vcc
	v_accvgpr_write_b32 a42, v4
	global_load_dwordx4 v[2:5], v[4:5], off
	v_add_u32_e32 v14, s5, v14
	v_accvgpr_write_b32 a45, v11
	v_ashrrev_i32_e32 v15, 31, v14
	v_accvgpr_write_b32 a44, v10
	global_load_dwordx4 v[10:13], v[10:11], off
	v_lshlrev_b64 v[16:17], 4, v[14:15]
	v_add_u32_e32 v22, s5, v14
	v_add_co_u32_e32 v16, vcc, s6, v16
	v_ashrrev_i32_e32 v23, 31, v22
	v_addc_co_u32_e32 v17, vcc, v0, v17, vcc
	v_lshlrev_b64 v[14:15], 4, v[22:23]
	v_add_co_u32_e32 v18, vcc, s6, v14
	v_accvgpr_write_b32 a47, v17
	v_addc_co_u32_e32 v19, vcc, v0, v15, vcc
	v_accvgpr_write_b32 a46, v16
	global_load_dwordx4 v[14:17], v[16:17], off
	v_add_u32_e32 v22, s5, v22
	v_accvgpr_write_b32 a49, v19
	v_ashrrev_i32_e32 v23, 31, v22
	v_accvgpr_write_b32 a48, v18
	global_load_dwordx4 v[18:21], v[18:19], off
	;; [unrolled: 16-line block ×8, first 2 shown]
	v_lshlrev_b64 v[72:73], 4, v[70:71]
	v_add_u32_e32 v78, s5, v70
	v_add_co_u32_e32 v72, vcc, s6, v72
	v_ashrrev_i32_e32 v79, 31, v78
	v_addc_co_u32_e32 v73, vcc, v0, v73, vcc
	v_lshlrev_b64 v[70:71], 4, v[78:79]
	v_add_co_u32_e32 v74, vcc, s6, v70
	v_accvgpr_write_b32 a75, v73
	v_addc_co_u32_e32 v75, vcc, v0, v71, vcc
	v_accvgpr_write_b32 a74, v72
	global_load_dwordx4 v[70:73], v[72:73], off
	v_accvgpr_write_b32 a77, v75
	v_add_u32_e32 v78, s5, v78
	v_accvgpr_write_b32 a76, v74
	global_load_dwordx4 v[74:77], v[74:75], off
	v_ashrrev_i32_e32 v79, 31, v78
	v_lshlrev_b64 v[80:81], 4, v[78:79]
	v_add_co_u32_e32 v80, vcc, s6, v80
	v_add_u32_e32 v78, s5, v78
	v_addc_co_u32_e32 v81, vcc, v0, v81, vcc
	v_ashrrev_i32_e32 v79, 31, v78
	v_accvgpr_write_b32 a78, v80
	v_lshlrev_b64 v[82:83], 4, v[78:79]
	v_accvgpr_write_b32 a79, v81
	global_load_dwordx4 v[78:81], v[80:81], off
	v_add_co_u32_e32 v82, vcc, s6, v82
	v_addc_co_u32_e32 v83, vcc, v0, v83, vcc
	v_accvgpr_write_b32 a80, v82
	v_accvgpr_write_b32 a81, v83
	global_load_dwordx4 v[82:85], v[82:83], off
	v_mov_b32_e32 v0, 16
	buffer_store_dword v8, off, s[0:3], 0 offset:344
	buffer_store_dword v7, off, s[0:3], 0 offset:340
	buffer_store_dword v6, off, s[0:3], 0 offset:336
	s_waitcnt vmcnt(22)
	buffer_store_dword v5, off, s[0:3], 0 offset:364
	buffer_store_dword v4, off, s[0:3], 0 offset:360
	buffer_store_dword v3, off, s[0:3], 0 offset:356
	buffer_store_dword v2, off, s[0:3], 0 offset:352
	s_waitcnt vmcnt(25)
	buffer_store_dword v13, off, s[0:3], 0 offset:380
	;; [unrolled: 5-line block ×15, first 2 shown]
	buffer_store_dword v64, off, s[0:3], 0 offset:584
	buffer_store_dword v63, off, s[0:3], 0 offset:580
	;; [unrolled: 1-line block ×11, first 2 shown]
	s_waitcnt vmcnt(62)
	buffer_store_dword v77, off, s[0:3], 0 offset:636
	buffer_store_dword v76, off, s[0:3], 0 offset:632
	;; [unrolled: 1-line block ×12, first 2 shown]
	v_add_u32_e32 v2, 16, v0
	v_accvgpr_write_b32 a121, v2
	v_add_u32_e32 v2, 32, v0
	v_accvgpr_write_b32 a120, v2
	;; [unrolled: 2-line block ×38, first 2 shown]
	v_add_u32_e32 v2, 0x270, v0
	v_add_u32_e32 v0, 0x280, v0
	v_accvgpr_write_b32 a83, v2
	v_accvgpr_write_b32 a82, v0
	s_mov_b64 s[6:7], -1
	s_cbranch_scc1 .LBB104_176
; %bb.4:
	v_cmp_eq_u32_e64 s[4:5], 0, v254
	s_and_saveexec_b64 s[6:7], s[4:5]
	s_cbranch_execz .LBB104_6
; %bb.5:
	v_mov_b32_e32 v0, 0
	ds_write_b32 v0, v0 offset:1312
.LBB104_6:
	s_or_b64 exec, exec, s[6:7]
	v_mov_b32_e32 v0, 16
	v_lshl_add_u32 v12, v254, 4, v0
	s_waitcnt lgkmcnt(0)
	; wave barrier
	s_waitcnt lgkmcnt(0)
	buffer_load_dword v2, v12, s[0:3], 0 offen
	buffer_load_dword v3, v12, s[0:3], 0 offen offset:4
	buffer_load_dword v4, v12, s[0:3], 0 offen offset:8
	;; [unrolled: 1-line block ×3, first 2 shown]
	s_waitcnt vmcnt(2)
	v_cmp_eq_f64_e32 vcc, 0, v[2:3]
	s_waitcnt vmcnt(0)
	v_cmp_eq_f64_e64 s[6:7], 0, v[4:5]
	s_and_b64 s[6:7], vcc, s[6:7]
	s_and_saveexec_b64 s[12:13], s[6:7]
	s_cbranch_execz .LBB104_10
; %bb.7:
	v_mov_b32_e32 v2, 0
	ds_read_b32 v0, v2 offset:1312
	v_add_u32_e32 v3, 1, v254
	s_waitcnt lgkmcnt(0)
	v_readfirstlane_b32 s6, v0
	s_cmp_eq_u32 s6, 0
	s_cselect_b64 s[18:19], -1, 0
	v_cmp_gt_i32_e32 vcc, s6, v3
	s_or_b64 s[18:19], s[18:19], vcc
	s_and_b64 exec, exec, s[18:19]
	s_cbranch_execz .LBB104_10
; %bb.8:
	s_mov_b64 s[18:19], 0
	v_mov_b32_e32 v4, s6
.LBB104_9:                              ; =>This Inner Loop Header: Depth=1
	ds_cmpst_rtn_b32 v4, v2, v4, v3 offset:1312
	s_waitcnt lgkmcnt(0)
	v_cmp_ne_u32_e32 vcc, 0, v4
	v_cmp_le_i32_e64 s[6:7], v4, v3
	s_and_b64 s[6:7], vcc, s[6:7]
	s_and_b64 s[6:7], exec, s[6:7]
	s_or_b64 s[18:19], s[6:7], s[18:19]
	s_andn2_b64 exec, exec, s[18:19]
	s_cbranch_execnz .LBB104_9
.LBB104_10:
	s_or_b64 exec, exec, s[12:13]
	v_mov_b32_e32 v3, 0
	s_waitcnt lgkmcnt(0)
	; wave barrier
	ds_read_b32 v2, v3 offset:1312
	s_and_saveexec_b64 s[6:7], s[4:5]
	s_cbranch_execz .LBB104_12
; %bb.11:
	s_lshl_b64 s[12:13], s[8:9], 2
	s_add_u32 s12, s14, s12
	s_addc_u32 s13, s15, s13
	s_waitcnt lgkmcnt(0)
	global_store_dword v3, v2, s[12:13]
.LBB104_12:
	s_or_b64 exec, exec, s[6:7]
	s_waitcnt lgkmcnt(0)
	v_cmp_ne_u32_e32 vcc, 0, v2
	s_mov_b64 s[6:7], 0
	s_cbranch_vccnz .LBB104_176
; %bb.13:
	buffer_load_dword v7, v12, s[0:3], 0 offen offset:4
	buffer_load_dword v6, v12, s[0:3], 0 offen
	buffer_load_dword v9, v12, s[0:3], 0 offen offset:12
	buffer_load_dword v8, v12, s[0:3], 0 offen offset:8
                                        ; implicit-def: $vgpr10_vgpr11
	s_waitcnt vmcnt(3)
	v_xor_b32_e32 v0, 0x80000000, v7
	s_waitcnt vmcnt(2)
	v_cmp_gt_f64_e32 vcc, 0, v[6:7]
	s_waitcnt vmcnt(1)
	v_xor_b32_e32 v4, 0x80000000, v9
	v_cndmask_b32_e32 v3, v7, v0, vcc
	s_waitcnt vmcnt(0)
	v_cmp_gt_f64_e32 vcc, 0, v[8:9]
	v_mov_b32_e32 v2, v6
	v_cndmask_b32_e32 v5, v9, v4, vcc
	v_mov_b32_e32 v4, v8
	v_cmp_ngt_f64_e32 vcc, v[2:3], v[4:5]
                                        ; implicit-def: $vgpr4_vgpr5
	s_and_saveexec_b64 s[6:7], vcc
	s_xor_b64 s[6:7], exec, s[6:7]
	s_cbranch_execz .LBB104_15
; %bb.14:
	v_div_scale_f64 v[2:3], s[12:13], v[8:9], v[8:9], v[6:7]
	v_rcp_f64_e32 v[4:5], v[2:3]
	v_div_scale_f64 v[10:11], vcc, v[6:7], v[8:9], v[6:7]
	v_fma_f64 v[14:15], -v[2:3], v[4:5], 1.0
	v_fmac_f64_e32 v[4:5], v[4:5], v[14:15]
	v_fma_f64 v[14:15], -v[2:3], v[4:5], 1.0
	v_fmac_f64_e32 v[4:5], v[4:5], v[14:15]
	v_mul_f64 v[14:15], v[10:11], v[4:5]
	v_fma_f64 v[2:3], -v[2:3], v[14:15], v[10:11]
	v_div_fmas_f64 v[2:3], v[2:3], v[4:5], v[14:15]
	v_div_fixup_f64 v[2:3], v[2:3], v[8:9], v[6:7]
	v_fmac_f64_e32 v[8:9], v[6:7], v[2:3]
	v_div_scale_f64 v[4:5], s[12:13], v[8:9], v[8:9], 1.0
	v_rcp_f64_e32 v[6:7], v[4:5]
	v_fma_f64 v[10:11], -v[4:5], v[6:7], 1.0
	v_fmac_f64_e32 v[6:7], v[6:7], v[10:11]
	v_fma_f64 v[10:11], -v[4:5], v[6:7], 1.0
	v_fmac_f64_e32 v[6:7], v[6:7], v[10:11]
	v_div_scale_f64 v[10:11], vcc, 1.0, v[8:9], 1.0
	v_mul_f64 v[14:15], v[10:11], v[6:7]
	v_fma_f64 v[4:5], -v[4:5], v[14:15], v[10:11]
	s_nop 1
	v_div_fmas_f64 v[4:5], v[4:5], v[6:7], v[14:15]
	v_div_fixup_f64 v[4:5], v[4:5], v[8:9], 1.0
	v_mul_f64 v[10:11], v[2:3], v[4:5]
	v_xor_b32_e32 v5, 0x80000000, v5
	v_xor_b32_e32 v3, 0x80000000, v11
	v_mov_b32_e32 v2, v10
                                        ; implicit-def: $vgpr6_vgpr7
                                        ; implicit-def: $vgpr8_vgpr9
.LBB104_15:
	s_andn2_saveexec_b64 s[6:7], s[6:7]
	s_cbranch_execz .LBB104_17
; %bb.16:
	v_div_scale_f64 v[2:3], s[12:13], v[6:7], v[6:7], v[8:9]
	v_rcp_f64_e32 v[4:5], v[2:3]
	v_div_scale_f64 v[10:11], vcc, v[8:9], v[6:7], v[8:9]
	v_fma_f64 v[14:15], -v[2:3], v[4:5], 1.0
	v_fmac_f64_e32 v[4:5], v[4:5], v[14:15]
	v_fma_f64 v[14:15], -v[2:3], v[4:5], 1.0
	v_fmac_f64_e32 v[4:5], v[4:5], v[14:15]
	v_mul_f64 v[14:15], v[10:11], v[4:5]
	v_fma_f64 v[2:3], -v[2:3], v[14:15], v[10:11]
	v_div_fmas_f64 v[2:3], v[2:3], v[4:5], v[14:15]
	v_div_fixup_f64 v[4:5], v[2:3], v[6:7], v[8:9]
	v_fmac_f64_e32 v[6:7], v[8:9], v[4:5]
	v_div_scale_f64 v[2:3], s[12:13], v[6:7], v[6:7], 1.0
	v_rcp_f64_e32 v[8:9], v[2:3]
	v_fma_f64 v[10:11], -v[2:3], v[8:9], 1.0
	v_fmac_f64_e32 v[8:9], v[8:9], v[10:11]
	v_fma_f64 v[10:11], -v[2:3], v[8:9], 1.0
	v_fmac_f64_e32 v[8:9], v[8:9], v[10:11]
	v_div_scale_f64 v[10:11], vcc, 1.0, v[6:7], 1.0
	v_mul_f64 v[14:15], v[10:11], v[8:9]
	v_fma_f64 v[2:3], -v[2:3], v[14:15], v[10:11]
	s_nop 1
	v_div_fmas_f64 v[2:3], v[2:3], v[8:9], v[14:15]
	v_div_fixup_f64 v[10:11], v[2:3], v[6:7], 1.0
	v_xor_b32_e32 v3, 0x80000000, v11
	v_mov_b32_e32 v2, v10
	v_mul_f64 v[4:5], v[4:5], -v[10:11]
.LBB104_17:
	s_or_b64 exec, exec, s[6:7]
	buffer_store_dword v11, v12, s[0:3], 0 offen offset:4
	buffer_store_dword v10, v12, s[0:3], 0 offen
	buffer_store_dword v5, v12, s[0:3], 0 offen offset:12
	buffer_store_dword v4, v12, s[0:3], 0 offen offset:8
	v_accvgpr_read_b32 v0, a121
	buffer_load_dword v11, v0, s[0:3], 0 offen offset:12
	buffer_load_dword v10, v0, s[0:3], 0 offen offset:8
	;; [unrolled: 1-line block ×3, first 2 shown]
	buffer_load_dword v8, v0, s[0:3], 0 offen
	v_xor_b32_e32 v5, 0x80000000, v5
	v_add_u32_e32 v6, 0x290, v1
	ds_write_b128 v1, v[2:5]
	s_waitcnt vmcnt(0)
	ds_write_b128 v1, v[8:11] offset:656
	s_waitcnt lgkmcnt(0)
	; wave barrier
	s_waitcnt lgkmcnt(0)
	s_and_saveexec_b64 s[6:7], s[4:5]
	s_cbranch_execz .LBB104_19
; %bb.18:
	buffer_load_dword v14, v12, s[0:3], 0 offen offset:8
	buffer_load_dword v15, v12, s[0:3], 0 offen offset:12
	buffer_load_dword v16, v12, s[0:3], 0 offen
	buffer_load_dword v17, v12, s[0:3], 0 offen offset:4
	ds_read_b128 v[2:5], v6
	v_mov_b32_e32 v0, 0
	ds_read_b128 v[8:11], v0 offset:16
	s_waitcnt vmcnt(2) lgkmcnt(1)
	v_mul_f64 v[18:19], v[4:5], v[14:15]
	v_mul_f64 v[14:15], v[2:3], v[14:15]
	s_waitcnt vmcnt(0)
	v_fmac_f64_e32 v[14:15], v[4:5], v[16:17]
	v_fma_f64 v[2:3], v[2:3], v[16:17], -v[18:19]
	v_add_f64 v[4:5], v[14:15], 0
	v_add_f64 v[2:3], v[2:3], 0
	s_waitcnt lgkmcnt(0)
	v_mul_f64 v[14:15], v[4:5], v[10:11]
	v_mul_f64 v[10:11], v[2:3], v[10:11]
	v_fma_f64 v[2:3], v[2:3], v[8:9], -v[14:15]
	v_fmac_f64_e32 v[10:11], v[4:5], v[8:9]
	buffer_store_dword v2, off, s[0:3], 0 offset:32
	buffer_store_dword v3, off, s[0:3], 0 offset:36
	;; [unrolled: 1-line block ×4, first 2 shown]
.LBB104_19:
	s_or_b64 exec, exec, s[6:7]
	v_accvgpr_read_b32 v0, a120
	s_waitcnt lgkmcnt(0)
	; wave barrier
	buffer_load_dword v2, v0, s[0:3], 0 offen
	buffer_load_dword v3, v0, s[0:3], 0 offen offset:4
	buffer_load_dword v4, v0, s[0:3], 0 offen offset:8
	buffer_load_dword v5, v0, s[0:3], 0 offen offset:12
	v_cmp_gt_u32_e32 vcc, 2, v254
	s_waitcnt vmcnt(0)
	ds_write_b128 v6, v[2:5]
	s_waitcnt lgkmcnt(0)
	; wave barrier
	s_waitcnt lgkmcnt(0)
	s_and_saveexec_b64 s[6:7], vcc
	s_cbranch_execz .LBB104_23
; %bb.20:
	buffer_load_dword v8, v12, s[0:3], 0 offen offset:8
	buffer_load_dword v9, v12, s[0:3], 0 offen offset:12
	buffer_load_dword v10, v12, s[0:3], 0 offen
	buffer_load_dword v11, v12, s[0:3], 0 offen offset:4
	ds_read_b128 v[2:5], v6
	s_waitcnt vmcnt(2) lgkmcnt(0)
	v_mul_f64 v[12:13], v[4:5], v[8:9]
	v_mul_f64 v[8:9], v[2:3], v[8:9]
	s_waitcnt vmcnt(0)
	v_fma_f64 v[2:3], v[2:3], v[10:11], -v[12:13]
	v_fmac_f64_e32 v[8:9], v[4:5], v[10:11]
	v_add_f64 v[4:5], v[2:3], 0
	v_add_f64 v[2:3], v[8:9], 0
	s_and_saveexec_b64 s[12:13], s[4:5]
	s_cbranch_execz .LBB104_22
; %bb.21:
	buffer_load_dword v12, off, s[0:3], 0 offset:40
	buffer_load_dword v13, off, s[0:3], 0 offset:44
	;; [unrolled: 1-line block ×4, first 2 shown]
	v_mov_b32_e32 v0, 0
	ds_read_b128 v[8:11], v0 offset:672
	s_waitcnt vmcnt(2) lgkmcnt(0)
	v_mul_f64 v[16:17], v[8:9], v[12:13]
	v_mul_f64 v[12:13], v[10:11], v[12:13]
	s_waitcnt vmcnt(0)
	v_fmac_f64_e32 v[16:17], v[10:11], v[14:15]
	v_fma_f64 v[8:9], v[8:9], v[14:15], -v[12:13]
	v_add_f64 v[2:3], v[2:3], v[16:17]
	v_add_f64 v[4:5], v[4:5], v[8:9]
.LBB104_22:
	s_or_b64 exec, exec, s[12:13]
	v_mov_b32_e32 v0, 0
	ds_read_b128 v[8:11], v0 offset:32
	s_waitcnt lgkmcnt(0)
	v_mul_f64 v[12:13], v[2:3], v[10:11]
	v_mul_f64 v[10:11], v[4:5], v[10:11]
	v_fma_f64 v[4:5], v[4:5], v[8:9], -v[12:13]
	v_fmac_f64_e32 v[10:11], v[2:3], v[8:9]
	buffer_store_dword v5, off, s[0:3], 0 offset:52
	buffer_store_dword v4, off, s[0:3], 0 offset:48
	;; [unrolled: 1-line block ×4, first 2 shown]
.LBB104_23:
	s_or_b64 exec, exec, s[6:7]
	v_accvgpr_read_b32 v0, a119
	s_waitcnt lgkmcnt(0)
	; wave barrier
	buffer_load_dword v2, v0, s[0:3], 0 offen
	buffer_load_dword v3, v0, s[0:3], 0 offen offset:4
	buffer_load_dword v4, v0, s[0:3], 0 offen offset:8
	buffer_load_dword v5, v0, s[0:3], 0 offen offset:12
	v_cmp_gt_u32_e32 vcc, 3, v254
	v_add_u32_e32 v7, -1, v254
	s_waitcnt vmcnt(0)
	ds_write_b128 v6, v[2:5]
	s_waitcnt lgkmcnt(0)
	; wave barrier
	s_waitcnt lgkmcnt(0)
	s_and_saveexec_b64 s[4:5], vcc
	s_cbranch_execz .LBB104_27
; %bb.24:
	v_pk_mov_b32 v[2:3], 0, 0
	v_add_u32_e32 v8, -1, v254
	v_add_u32_e32 v9, 0x290, v1
	v_add_u32_e32 v10, 16, v1
	s_mov_b64 s[6:7], 0
	v_pk_mov_b32 v[4:5], v[2:3], v[2:3] op_sel:[0,1]
.LBB104_25:                             ; =>This Inner Loop Header: Depth=1
	buffer_load_dword v16, v10, s[0:3], 0 offen offset:8
	buffer_load_dword v17, v10, s[0:3], 0 offen offset:12
	buffer_load_dword v18, v10, s[0:3], 0 offen
	buffer_load_dword v19, v10, s[0:3], 0 offen offset:4
	ds_read_b128 v[12:15], v9
	v_add_u32_e32 v8, 1, v8
	v_cmp_lt_u32_e32 vcc, 1, v8
	v_add_u32_e32 v9, 16, v9
	v_add_u32_e32 v10, 16, v10
	s_or_b64 s[6:7], vcc, s[6:7]
	s_waitcnt vmcnt(2) lgkmcnt(0)
	v_mul_f64 v[20:21], v[14:15], v[16:17]
	v_mul_f64 v[16:17], v[12:13], v[16:17]
	s_waitcnt vmcnt(0)
	v_fma_f64 v[12:13], v[12:13], v[18:19], -v[20:21]
	v_fmac_f64_e32 v[16:17], v[14:15], v[18:19]
	v_add_f64 v[4:5], v[4:5], v[12:13]
	v_add_f64 v[2:3], v[2:3], v[16:17]
	s_andn2_b64 exec, exec, s[6:7]
	s_cbranch_execnz .LBB104_25
; %bb.26:
	s_or_b64 exec, exec, s[6:7]
	v_mov_b32_e32 v0, 0
	ds_read_b128 v[8:11], v0 offset:48
	s_waitcnt lgkmcnt(0)
	v_mul_f64 v[12:13], v[2:3], v[10:11]
	v_mul_f64 v[10:11], v[4:5], v[10:11]
	v_fma_f64 v[4:5], v[4:5], v[8:9], -v[12:13]
	v_fmac_f64_e32 v[10:11], v[2:3], v[8:9]
	buffer_store_dword v5, off, s[0:3], 0 offset:68
	buffer_store_dword v4, off, s[0:3], 0 offset:64
	buffer_store_dword v11, off, s[0:3], 0 offset:76
	buffer_store_dword v10, off, s[0:3], 0 offset:72
.LBB104_27:
	s_or_b64 exec, exec, s[4:5]
	v_accvgpr_read_b32 v0, a118
	s_waitcnt lgkmcnt(0)
	; wave barrier
	buffer_load_dword v2, v0, s[0:3], 0 offen
	buffer_load_dword v3, v0, s[0:3], 0 offen offset:4
	buffer_load_dword v4, v0, s[0:3], 0 offen offset:8
	buffer_load_dword v5, v0, s[0:3], 0 offen offset:12
	v_cmp_gt_u32_e32 vcc, 4, v254
	s_waitcnt vmcnt(0)
	ds_write_b128 v6, v[2:5]
	s_waitcnt lgkmcnt(0)
	; wave barrier
	s_waitcnt lgkmcnt(0)
	s_and_saveexec_b64 s[4:5], vcc
	s_cbranch_execz .LBB104_31
; %bb.28:
	v_pk_mov_b32 v[2:3], 0, 0
	v_add_u32_e32 v8, -1, v254
	v_add_u32_e32 v9, 0x290, v1
	v_add_u32_e32 v10, 16, v1
	s_mov_b64 s[6:7], 0
	v_pk_mov_b32 v[4:5], v[2:3], v[2:3] op_sel:[0,1]
.LBB104_29:                             ; =>This Inner Loop Header: Depth=1
	buffer_load_dword v16, v10, s[0:3], 0 offen offset:8
	buffer_load_dword v17, v10, s[0:3], 0 offen offset:12
	buffer_load_dword v18, v10, s[0:3], 0 offen
	buffer_load_dword v19, v10, s[0:3], 0 offen offset:4
	ds_read_b128 v[12:15], v9
	v_add_u32_e32 v8, 1, v8
	v_cmp_lt_u32_e32 vcc, 2, v8
	v_add_u32_e32 v9, 16, v9
	v_add_u32_e32 v10, 16, v10
	s_or_b64 s[6:7], vcc, s[6:7]
	s_waitcnt vmcnt(2) lgkmcnt(0)
	v_mul_f64 v[20:21], v[14:15], v[16:17]
	v_mul_f64 v[16:17], v[12:13], v[16:17]
	s_waitcnt vmcnt(0)
	v_fma_f64 v[12:13], v[12:13], v[18:19], -v[20:21]
	v_fmac_f64_e32 v[16:17], v[14:15], v[18:19]
	v_add_f64 v[4:5], v[4:5], v[12:13]
	v_add_f64 v[2:3], v[2:3], v[16:17]
	s_andn2_b64 exec, exec, s[6:7]
	s_cbranch_execnz .LBB104_29
; %bb.30:
	s_or_b64 exec, exec, s[6:7]
	v_mov_b32_e32 v0, 0
	ds_read_b128 v[8:11], v0 offset:64
	s_waitcnt lgkmcnt(0)
	v_mul_f64 v[12:13], v[2:3], v[10:11]
	v_mul_f64 v[10:11], v[4:5], v[10:11]
	v_fma_f64 v[4:5], v[4:5], v[8:9], -v[12:13]
	v_fmac_f64_e32 v[10:11], v[2:3], v[8:9]
	buffer_store_dword v5, off, s[0:3], 0 offset:84
	buffer_store_dword v4, off, s[0:3], 0 offset:80
	buffer_store_dword v11, off, s[0:3], 0 offset:92
	buffer_store_dword v10, off, s[0:3], 0 offset:88
.LBB104_31:
	s_or_b64 exec, exec, s[4:5]
	v_accvgpr_read_b32 v0, a117
	s_waitcnt lgkmcnt(0)
	; wave barrier
	buffer_load_dword v2, v0, s[0:3], 0 offen
	buffer_load_dword v3, v0, s[0:3], 0 offen offset:4
	buffer_load_dword v4, v0, s[0:3], 0 offen offset:8
	buffer_load_dword v5, v0, s[0:3], 0 offen offset:12
	v_cmp_gt_u32_e32 vcc, 5, v254
	;; [unrolled: 58-line block ×19, first 2 shown]
	s_waitcnt vmcnt(0)
	ds_write_b128 v6, v[2:5]
	s_waitcnt lgkmcnt(0)
	; wave barrier
	s_waitcnt lgkmcnt(0)
	s_and_saveexec_b64 s[4:5], vcc
	s_cbranch_execz .LBB104_103
; %bb.100:
	v_pk_mov_b32 v[2:3], 0, 0
	v_add_u32_e32 v8, -1, v254
	v_add_u32_e32 v9, 0x290, v1
	v_add_u32_e32 v10, 16, v1
	s_mov_b64 s[6:7], 0
	v_pk_mov_b32 v[4:5], v[2:3], v[2:3] op_sel:[0,1]
.LBB104_101:                            ; =>This Inner Loop Header: Depth=1
	buffer_load_dword v16, v10, s[0:3], 0 offen offset:8
	buffer_load_dword v17, v10, s[0:3], 0 offen offset:12
	buffer_load_dword v18, v10, s[0:3], 0 offen
	buffer_load_dword v19, v10, s[0:3], 0 offen offset:4
	ds_read_b128 v[12:15], v9
	v_add_u32_e32 v8, 1, v8
	v_cmp_lt_u32_e32 vcc, 20, v8
	v_add_u32_e32 v9, 16, v9
	v_add_u32_e32 v10, 16, v10
	s_or_b64 s[6:7], vcc, s[6:7]
	s_waitcnt vmcnt(2) lgkmcnt(0)
	v_mul_f64 v[20:21], v[14:15], v[16:17]
	v_mul_f64 v[16:17], v[12:13], v[16:17]
	s_waitcnt vmcnt(0)
	v_fma_f64 v[12:13], v[12:13], v[18:19], -v[20:21]
	v_fmac_f64_e32 v[16:17], v[14:15], v[18:19]
	v_add_f64 v[4:5], v[4:5], v[12:13]
	v_add_f64 v[2:3], v[2:3], v[16:17]
	s_andn2_b64 exec, exec, s[6:7]
	s_cbranch_execnz .LBB104_101
; %bb.102:
	s_or_b64 exec, exec, s[6:7]
	v_mov_b32_e32 v0, 0
	ds_read_b128 v[8:11], v0 offset:352
	s_waitcnt lgkmcnt(0)
	v_mul_f64 v[12:13], v[2:3], v[10:11]
	v_mul_f64 v[10:11], v[4:5], v[10:11]
	v_fma_f64 v[4:5], v[4:5], v[8:9], -v[12:13]
	v_fmac_f64_e32 v[10:11], v[2:3], v[8:9]
	buffer_store_dword v5, off, s[0:3], 0 offset:372
	buffer_store_dword v4, off, s[0:3], 0 offset:368
	buffer_store_dword v11, off, s[0:3], 0 offset:380
	buffer_store_dword v10, off, s[0:3], 0 offset:376
.LBB104_103:
	s_or_b64 exec, exec, s[4:5]
	v_accvgpr_read_b32 v0, a99
	s_waitcnt lgkmcnt(0)
	; wave barrier
	buffer_load_dword v2, v0, s[0:3], 0 offen
	buffer_load_dword v3, v0, s[0:3], 0 offen offset:4
	buffer_load_dword v4, v0, s[0:3], 0 offen offset:8
	buffer_load_dword v5, v0, s[0:3], 0 offen offset:12
	v_cmp_gt_u32_e32 vcc, 23, v254
	s_waitcnt vmcnt(0)
	ds_write_b128 v6, v[2:5]
	s_waitcnt lgkmcnt(0)
	; wave barrier
	s_waitcnt lgkmcnt(0)
	s_and_saveexec_b64 s[4:5], vcc
	s_cbranch_execz .LBB104_107
; %bb.104:
	v_pk_mov_b32 v[2:3], 0, 0
	v_add_u32_e32 v8, -1, v254
	v_add_u32_e32 v9, 0x290, v1
	v_add_u32_e32 v10, 16, v1
	s_mov_b64 s[6:7], 0
	v_pk_mov_b32 v[4:5], v[2:3], v[2:3] op_sel:[0,1]
.LBB104_105:                            ; =>This Inner Loop Header: Depth=1
	buffer_load_dword v16, v10, s[0:3], 0 offen offset:8
	buffer_load_dword v17, v10, s[0:3], 0 offen offset:12
	buffer_load_dword v18, v10, s[0:3], 0 offen
	buffer_load_dword v19, v10, s[0:3], 0 offen offset:4
	ds_read_b128 v[12:15], v9
	v_add_u32_e32 v8, 1, v8
	v_cmp_lt_u32_e32 vcc, 21, v8
	v_add_u32_e32 v9, 16, v9
	v_add_u32_e32 v10, 16, v10
	s_or_b64 s[6:7], vcc, s[6:7]
	s_waitcnt vmcnt(2) lgkmcnt(0)
	v_mul_f64 v[20:21], v[14:15], v[16:17]
	v_mul_f64 v[16:17], v[12:13], v[16:17]
	s_waitcnt vmcnt(0)
	v_fma_f64 v[12:13], v[12:13], v[18:19], -v[20:21]
	v_fmac_f64_e32 v[16:17], v[14:15], v[18:19]
	v_add_f64 v[4:5], v[4:5], v[12:13]
	v_add_f64 v[2:3], v[2:3], v[16:17]
	s_andn2_b64 exec, exec, s[6:7]
	s_cbranch_execnz .LBB104_105
; %bb.106:
	s_or_b64 exec, exec, s[6:7]
	v_mov_b32_e32 v0, 0
	ds_read_b128 v[8:11], v0 offset:368
	s_waitcnt lgkmcnt(0)
	v_mul_f64 v[12:13], v[2:3], v[10:11]
	v_mul_f64 v[10:11], v[4:5], v[10:11]
	v_fma_f64 v[4:5], v[4:5], v[8:9], -v[12:13]
	v_fmac_f64_e32 v[10:11], v[2:3], v[8:9]
	buffer_store_dword v5, off, s[0:3], 0 offset:388
	buffer_store_dword v4, off, s[0:3], 0 offset:384
	buffer_store_dword v11, off, s[0:3], 0 offset:396
	buffer_store_dword v10, off, s[0:3], 0 offset:392
.LBB104_107:
	s_or_b64 exec, exec, s[4:5]
	v_accvgpr_read_b32 v0, a98
	s_waitcnt lgkmcnt(0)
	; wave barrier
	buffer_load_dword v2, v0, s[0:3], 0 offen
	buffer_load_dword v3, v0, s[0:3], 0 offen offset:4
	buffer_load_dword v4, v0, s[0:3], 0 offen offset:8
	buffer_load_dword v5, v0, s[0:3], 0 offen offset:12
	v_cmp_gt_u32_e32 vcc, 24, v254
	;; [unrolled: 58-line block ×17, first 2 shown]
	s_waitcnt vmcnt(0)
	ds_write_b128 v6, v[2:5]
	s_waitcnt lgkmcnt(0)
	; wave barrier
	s_waitcnt lgkmcnt(0)
	s_and_saveexec_b64 s[4:5], vcc
	s_cbranch_execz .LBB104_171
; %bb.168:
	v_pk_mov_b32 v[2:3], 0, 0
	v_add_u32_e32 v8, -1, v254
	v_add_u32_e32 v9, 0x290, v1
	v_add_u32_e32 v10, 16, v1
	s_mov_b64 s[6:7], 0
	v_pk_mov_b32 v[4:5], v[2:3], v[2:3] op_sel:[0,1]
.LBB104_169:                            ; =>This Inner Loop Header: Depth=1
	buffer_load_dword v16, v10, s[0:3], 0 offen offset:8
	buffer_load_dword v17, v10, s[0:3], 0 offen offset:12
	buffer_load_dword v18, v10, s[0:3], 0 offen
	buffer_load_dword v19, v10, s[0:3], 0 offen offset:4
	ds_read_b128 v[12:15], v9
	v_add_u32_e32 v8, 1, v8
	v_cmp_lt_u32_e32 vcc, 37, v8
	v_add_u32_e32 v9, 16, v9
	v_add_u32_e32 v10, 16, v10
	s_or_b64 s[6:7], vcc, s[6:7]
	s_waitcnt vmcnt(2) lgkmcnt(0)
	v_mul_f64 v[20:21], v[14:15], v[16:17]
	v_mul_f64 v[16:17], v[12:13], v[16:17]
	s_waitcnt vmcnt(0)
	v_fma_f64 v[12:13], v[12:13], v[18:19], -v[20:21]
	v_fmac_f64_e32 v[16:17], v[14:15], v[18:19]
	v_add_f64 v[4:5], v[4:5], v[12:13]
	v_add_f64 v[2:3], v[2:3], v[16:17]
	s_andn2_b64 exec, exec, s[6:7]
	s_cbranch_execnz .LBB104_169
; %bb.170:
	s_or_b64 exec, exec, s[6:7]
	v_mov_b32_e32 v0, 0
	ds_read_b128 v[8:11], v0 offset:624
	s_waitcnt lgkmcnt(0)
	v_mul_f64 v[12:13], v[2:3], v[10:11]
	v_mul_f64 v[10:11], v[4:5], v[10:11]
	v_fma_f64 v[4:5], v[4:5], v[8:9], -v[12:13]
	v_fmac_f64_e32 v[10:11], v[2:3], v[8:9]
	buffer_store_dword v5, off, s[0:3], 0 offset:644
	buffer_store_dword v4, off, s[0:3], 0 offset:640
	;; [unrolled: 1-line block ×4, first 2 shown]
.LBB104_171:
	s_or_b64 exec, exec, s[4:5]
	v_accvgpr_read_b32 v0, a82
	s_waitcnt lgkmcnt(0)
	; wave barrier
	buffer_load_dword v2, v0, s[0:3], 0 offen
	buffer_load_dword v3, v0, s[0:3], 0 offen offset:4
	buffer_load_dword v4, v0, s[0:3], 0 offen offset:8
	;; [unrolled: 1-line block ×3, first 2 shown]
	v_cmp_ne_u32_e32 vcc, 40, v254
	s_waitcnt vmcnt(0)
	ds_write_b128 v6, v[2:5]
	s_waitcnt lgkmcnt(0)
	; wave barrier
	s_waitcnt lgkmcnt(0)
	s_and_saveexec_b64 s[4:5], vcc
	s_cbranch_execz .LBB104_175
; %bb.172:
	v_pk_mov_b32 v[2:3], 0, 0
	v_add_u32_e32 v6, 0x290, v1
	v_add_u32_e32 v1, 16, v1
	s_mov_b64 s[6:7], 0
	v_pk_mov_b32 v[4:5], v[2:3], v[2:3] op_sel:[0,1]
.LBB104_173:                            ; =>This Inner Loop Header: Depth=1
	buffer_load_dword v12, v1, s[0:3], 0 offen offset:8
	buffer_load_dword v13, v1, s[0:3], 0 offen offset:12
	buffer_load_dword v14, v1, s[0:3], 0 offen
	buffer_load_dword v15, v1, s[0:3], 0 offen offset:4
	ds_read_b128 v[8:11], v6
	v_add_u32_e32 v7, 1, v7
	v_cmp_lt_u32_e32 vcc, 38, v7
	v_add_u32_e32 v6, 16, v6
	v_add_u32_e32 v1, 16, v1
	s_or_b64 s[6:7], vcc, s[6:7]
	s_waitcnt vmcnt(2) lgkmcnt(0)
	v_mul_f64 v[16:17], v[10:11], v[12:13]
	v_mul_f64 v[12:13], v[8:9], v[12:13]
	s_waitcnt vmcnt(0)
	v_fma_f64 v[8:9], v[8:9], v[14:15], -v[16:17]
	v_fmac_f64_e32 v[12:13], v[10:11], v[14:15]
	v_add_f64 v[4:5], v[4:5], v[8:9]
	v_add_f64 v[2:3], v[2:3], v[12:13]
	s_andn2_b64 exec, exec, s[6:7]
	s_cbranch_execnz .LBB104_173
; %bb.174:
	s_or_b64 exec, exec, s[6:7]
	v_mov_b32_e32 v0, 0
	ds_read_b128 v[6:9], v0 offset:640
	s_waitcnt lgkmcnt(0)
	v_mul_f64 v[10:11], v[2:3], v[8:9]
	v_mul_f64 v[8:9], v[4:5], v[8:9]
	v_fma_f64 v[4:5], v[4:5], v[6:7], -v[10:11]
	v_fmac_f64_e32 v[8:9], v[2:3], v[6:7]
	buffer_store_dword v5, off, s[0:3], 0 offset:660
	buffer_store_dword v4, off, s[0:3], 0 offset:656
	;; [unrolled: 1-line block ×4, first 2 shown]
.LBB104_175:
	s_or_b64 exec, exec, s[4:5]
	s_mov_b64 s[6:7], -1
	s_waitcnt lgkmcnt(0)
	; wave barrier
.LBB104_176:
	s_and_b64 vcc, exec, s[6:7]
	s_cbranch_vccz .LBB104_178
; %bb.177:
	s_lshl_b64 s[4:5], s[8:9], 2
	s_add_u32 s4, s14, s4
	s_addc_u32 s5, s15, s5
	v_mov_b32_e32 v0, 0
	global_load_dword v0, v0, s[4:5]
	s_waitcnt vmcnt(0)
	v_cmp_ne_u32_e32 vcc, 0, v0
	s_cbranch_vccz .LBB104_179
.LBB104_178:
	s_endpgm
.LBB104_179:
	v_mov_b32_e32 v0, 0x290
	v_lshl_add_u32 v0, v254, 4, v0
	v_accvgpr_write_b32 a123, v0
	v_cmp_eq_u32_e32 vcc, 40, v254
	s_and_saveexec_b64 s[4:5], vcc
	s_cbranch_execz .LBB104_181
; %bb.180:
	v_accvgpr_read_b32 v0, a83
	buffer_load_dword v2, v0, s[0:3], 0 offen
	buffer_load_dword v3, v0, s[0:3], 0 offen offset:4
	buffer_load_dword v4, v0, s[0:3], 0 offen offset:8
	;; [unrolled: 1-line block ×3, first 2 shown]
	v_mov_b32_e32 v0, 0
	v_accvgpr_read_b32 v1, a123
	buffer_store_dword v0, off, s[0:3], 0 offset:640
	buffer_store_dword v0, off, s[0:3], 0 offset:644
	;; [unrolled: 1-line block ×4, first 2 shown]
	s_waitcnt vmcnt(4)
	ds_write_b128 v1, v[2:5]
.LBB104_181:
	s_or_b64 exec, exec, s[4:5]
	s_waitcnt lgkmcnt(0)
	; wave barrier
	s_waitcnt lgkmcnt(0)
	buffer_load_dword v6, off, s[0:3], 0 offset:664
	buffer_load_dword v7, off, s[0:3], 0 offset:668
	;; [unrolled: 1-line block ×8, first 2 shown]
	v_mov_b32_e32 v1, 0
	ds_read_b128 v[2:5], v1 offset:1296
	v_cmp_lt_u32_e32 vcc, 38, v254
	s_waitcnt vmcnt(6) lgkmcnt(0)
	v_mul_f64 v[14:15], v[2:3], v[6:7]
	v_mul_f64 v[6:7], v[4:5], v[6:7]
	s_waitcnt vmcnt(4)
	v_fma_f64 v[2:3], v[2:3], v[8:9], -v[6:7]
	v_fmac_f64_e32 v[14:15], v[4:5], v[8:9]
	v_add_f64 v[2:3], v[2:3], 0
	v_add_f64 v[4:5], v[14:15], 0
	s_waitcnt vmcnt(2)
	v_add_f64 v[2:3], v[10:11], -v[2:3]
	s_waitcnt vmcnt(0)
	v_add_f64 v[4:5], v[12:13], -v[4:5]
	buffer_store_dword v2, off, s[0:3], 0 offset:640
	buffer_store_dword v3, off, s[0:3], 0 offset:644
	;; [unrolled: 1-line block ×4, first 2 shown]
	s_and_saveexec_b64 s[4:5], vcc
	s_cbranch_execz .LBB104_183
; %bb.182:
	v_accvgpr_read_b32 v0, a84
	buffer_load_dword v2, v0, s[0:3], 0 offen
	buffer_load_dword v3, v0, s[0:3], 0 offen offset:4
	buffer_load_dword v4, v0, s[0:3], 0 offen offset:8
	;; [unrolled: 1-line block ×3, first 2 shown]
	v_accvgpr_read_b32 v0, a123
	buffer_store_dword v1, off, s[0:3], 0 offset:624
	buffer_store_dword v1, off, s[0:3], 0 offset:628
	;; [unrolled: 1-line block ×4, first 2 shown]
	s_waitcnt vmcnt(4)
	ds_write_b128 v0, v[2:5]
.LBB104_183:
	s_or_b64 exec, exec, s[4:5]
	s_waitcnt lgkmcnt(0)
	; wave barrier
	s_waitcnt lgkmcnt(0)
	buffer_load_dword v10, off, s[0:3], 0 offset:648
	buffer_load_dword v11, off, s[0:3], 0 offset:652
	;; [unrolled: 1-line block ×12, first 2 shown]
	ds_read_b128 v[2:5], v1 offset:1280
	ds_read_b128 v[6:9], v1 offset:1296
	v_cmp_lt_u32_e32 vcc, 37, v254
	s_waitcnt vmcnt(10) lgkmcnt(1)
	v_mul_f64 v[22:23], v[2:3], v[10:11]
	v_mul_f64 v[10:11], v[4:5], v[10:11]
	s_waitcnt vmcnt(8) lgkmcnt(0)
	v_mul_f64 v[24:25], v[6:7], v[12:13]
	v_mul_f64 v[12:13], v[8:9], v[12:13]
	s_waitcnt vmcnt(6)
	v_fma_f64 v[2:3], v[2:3], v[14:15], -v[10:11]
	v_fmac_f64_e32 v[22:23], v[4:5], v[14:15]
	s_waitcnt vmcnt(4)
	v_fma_f64 v[4:5], v[6:7], v[16:17], -v[12:13]
	v_add_f64 v[2:3], v[2:3], 0
	v_fmac_f64_e32 v[24:25], v[8:9], v[16:17]
	v_add_f64 v[6:7], v[22:23], 0
	v_add_f64 v[2:3], v[2:3], v[4:5]
	;; [unrolled: 1-line block ×3, first 2 shown]
	s_waitcnt vmcnt(2)
	v_add_f64 v[2:3], v[18:19], -v[2:3]
	s_waitcnt vmcnt(0)
	v_add_f64 v[4:5], v[20:21], -v[6:7]
	buffer_store_dword v2, off, s[0:3], 0 offset:624
	buffer_store_dword v3, off, s[0:3], 0 offset:628
	;; [unrolled: 1-line block ×4, first 2 shown]
	s_and_saveexec_b64 s[4:5], vcc
	s_cbranch_execz .LBB104_185
; %bb.184:
	v_accvgpr_read_b32 v0, a85
	buffer_load_dword v2, v0, s[0:3], 0 offen
	buffer_load_dword v3, v0, s[0:3], 0 offen offset:4
	buffer_load_dword v4, v0, s[0:3], 0 offen offset:8
	;; [unrolled: 1-line block ×3, first 2 shown]
	v_mov_b32_e32 v0, 0
	v_accvgpr_read_b32 v1, a123
	buffer_store_dword v0, off, s[0:3], 0 offset:608
	buffer_store_dword v0, off, s[0:3], 0 offset:612
	;; [unrolled: 1-line block ×4, first 2 shown]
	s_waitcnt vmcnt(4)
	ds_write_b128 v1, v[2:5]
.LBB104_185:
	s_or_b64 exec, exec, s[4:5]
	s_waitcnt lgkmcnt(0)
	; wave barrier
	s_waitcnt lgkmcnt(0)
	buffer_load_dword v14, off, s[0:3], 0 offset:632
	buffer_load_dword v15, off, s[0:3], 0 offset:636
	buffer_load_dword v16, off, s[0:3], 0 offset:648
	buffer_load_dword v17, off, s[0:3], 0 offset:652
	buffer_load_dword v18, off, s[0:3], 0 offset:664
	buffer_load_dword v19, off, s[0:3], 0 offset:668
	buffer_load_dword v20, off, s[0:3], 0 offset:624
	buffer_load_dword v21, off, s[0:3], 0 offset:628
	buffer_load_dword v22, off, s[0:3], 0 offset:640
	buffer_load_dword v23, off, s[0:3], 0 offset:644
	buffer_load_dword v24, off, s[0:3], 0 offset:656
	buffer_load_dword v25, off, s[0:3], 0 offset:660
	buffer_load_dword v26, off, s[0:3], 0 offset:608
	buffer_load_dword v27, off, s[0:3], 0 offset:612
	buffer_load_dword v28, off, s[0:3], 0 offset:616
	buffer_load_dword v29, off, s[0:3], 0 offset:620
	v_mov_b32_e32 v1, 0
	ds_read_b128 v[2:5], v1 offset:1264
	ds_read_b128 v[6:9], v1 offset:1280
	;; [unrolled: 1-line block ×3, first 2 shown]
	v_cmp_lt_u32_e32 vcc, 36, v254
	s_waitcnt vmcnt(14) lgkmcnt(2)
	v_mul_f64 v[30:31], v[2:3], v[14:15]
	v_mul_f64 v[14:15], v[4:5], v[14:15]
	s_waitcnt vmcnt(12) lgkmcnt(1)
	v_mul_f64 v[32:33], v[6:7], v[16:17]
	v_mul_f64 v[16:17], v[8:9], v[16:17]
	;; [unrolled: 3-line block ×3, first 2 shown]
	s_waitcnt vmcnt(8)
	v_fma_f64 v[2:3], v[2:3], v[20:21], -v[14:15]
	v_fmac_f64_e32 v[30:31], v[4:5], v[20:21]
	s_waitcnt vmcnt(6)
	v_fma_f64 v[4:5], v[6:7], v[22:23], -v[16:17]
	v_add_f64 v[2:3], v[2:3], 0
	v_fmac_f64_e32 v[32:33], v[8:9], v[22:23]
	s_waitcnt vmcnt(4)
	v_fma_f64 v[6:7], v[10:11], v[24:25], -v[18:19]
	v_add_f64 v[8:9], v[30:31], 0
	v_add_f64 v[2:3], v[2:3], v[4:5]
	v_fmac_f64_e32 v[34:35], v[12:13], v[24:25]
	v_add_f64 v[8:9], v[8:9], v[32:33]
	v_add_f64 v[2:3], v[2:3], v[6:7]
	;; [unrolled: 1-line block ×3, first 2 shown]
	s_waitcnt vmcnt(2)
	v_add_f64 v[2:3], v[26:27], -v[2:3]
	s_waitcnt vmcnt(0)
	v_add_f64 v[4:5], v[28:29], -v[4:5]
	buffer_store_dword v2, off, s[0:3], 0 offset:608
	buffer_store_dword v3, off, s[0:3], 0 offset:612
	;; [unrolled: 1-line block ×4, first 2 shown]
	s_and_saveexec_b64 s[4:5], vcc
	s_cbranch_execz .LBB104_187
; %bb.186:
	v_accvgpr_read_b32 v0, a86
	buffer_load_dword v2, v0, s[0:3], 0 offen
	buffer_load_dword v3, v0, s[0:3], 0 offen offset:4
	buffer_load_dword v4, v0, s[0:3], 0 offen offset:8
	;; [unrolled: 1-line block ×3, first 2 shown]
	v_accvgpr_read_b32 v0, a123
	buffer_store_dword v1, off, s[0:3], 0 offset:592
	buffer_store_dword v1, off, s[0:3], 0 offset:596
	;; [unrolled: 1-line block ×4, first 2 shown]
	s_waitcnt vmcnt(4)
	ds_write_b128 v0, v[2:5]
.LBB104_187:
	s_or_b64 exec, exec, s[4:5]
	s_waitcnt lgkmcnt(0)
	; wave barrier
	s_waitcnt lgkmcnt(0)
	ds_read_b128 v[2:5], v1 offset:1248
	ds_read_b128 v[6:9], v1 offset:1264
	;; [unrolled: 1-line block ×4, first 2 shown]
	buffer_load_dword v18, off, s[0:3], 0 offset:592
	buffer_load_dword v19, off, s[0:3], 0 offset:596
	;; [unrolled: 1-line block ×16, first 2 shown]
	v_cmp_lt_u32_e32 vcc, 35, v254
	s_waitcnt vmcnt(8) lgkmcnt(3)
	v_mul_f64 v[34:35], v[2:3], v[24:25]
	v_fmac_f64_e32 v[34:35], v[4:5], v[22:23]
	v_add_f64 v[34:35], v[34:35], 0
	v_mul_f64 v[4:5], v[4:5], v[24:25]
	s_waitcnt vmcnt(4) lgkmcnt(2)
	v_mul_f64 v[36:37], v[6:7], v[28:29]
	v_fmac_f64_e32 v[36:37], v[8:9], v[26:27]
	v_add_f64 v[34:35], v[34:35], v[36:37]
	v_fma_f64 v[2:3], v[2:3], v[22:23], -v[4:5]
	s_waitcnt vmcnt(0) lgkmcnt(1)
	v_mul_f64 v[36:37], v[10:11], v[32:33]
	v_fmac_f64_e32 v[36:37], v[12:13], v[30:31]
	v_add_f64 v[34:35], v[34:35], v[36:37]
	buffer_load_dword v37, off, s[0:3], 0 offset:660
	buffer_load_dword v36, off, s[0:3], 0 offset:656
	;; [unrolled: 1-line block ×4, first 2 shown]
	v_mul_f64 v[4:5], v[8:9], v[28:29]
	v_add_f64 v[2:3], v[2:3], 0
	v_fma_f64 v[4:5], v[6:7], v[26:27], -v[4:5]
	v_add_f64 v[2:3], v[2:3], v[4:5]
	v_mul_f64 v[4:5], v[12:13], v[32:33]
	v_fma_f64 v[4:5], v[10:11], v[30:31], -v[4:5]
	v_add_f64 v[2:3], v[2:3], v[4:5]
	s_waitcnt vmcnt(0) lgkmcnt(0)
	v_mul_f64 v[4:5], v[16:17], v[38:39]
	v_mul_f64 v[40:41], v[14:15], v[38:39]
	v_fma_f64 v[4:5], v[14:15], v[36:37], -v[4:5]
	v_fmac_f64_e32 v[40:41], v[16:17], v[36:37]
	v_add_f64 v[2:3], v[2:3], v[4:5]
	v_add_f64 v[34:35], v[34:35], v[40:41]
	v_add_f64 v[2:3], v[18:19], -v[2:3]
	v_add_f64 v[4:5], v[20:21], -v[34:35]
	buffer_store_dword v2, off, s[0:3], 0 offset:592
	buffer_store_dword v3, off, s[0:3], 0 offset:596
	;; [unrolled: 1-line block ×4, first 2 shown]
	s_and_saveexec_b64 s[4:5], vcc
	s_cbranch_execz .LBB104_189
; %bb.188:
	v_accvgpr_read_b32 v0, a87
	buffer_load_dword v2, v0, s[0:3], 0 offen
	buffer_load_dword v3, v0, s[0:3], 0 offen offset:4
	buffer_load_dword v4, v0, s[0:3], 0 offen offset:8
	;; [unrolled: 1-line block ×3, first 2 shown]
	v_mov_b32_e32 v0, 0
	v_accvgpr_read_b32 v1, a123
	buffer_store_dword v0, off, s[0:3], 0 offset:576
	buffer_store_dword v0, off, s[0:3], 0 offset:580
	;; [unrolled: 1-line block ×4, first 2 shown]
	s_waitcnt vmcnt(4)
	ds_write_b128 v1, v[2:5]
.LBB104_189:
	s_or_b64 exec, exec, s[4:5]
	s_waitcnt lgkmcnt(0)
	; wave barrier
	s_waitcnt lgkmcnt(0)
	buffer_load_dword v22, off, s[0:3], 0 offset:600
	buffer_load_dword v23, off, s[0:3], 0 offset:604
	;; [unrolled: 1-line block ×24, first 2 shown]
	v_mov_b32_e32 v1, 0
	ds_read_b128 v[2:5], v1 offset:1232
	ds_read_b128 v[6:9], v1 offset:1248
	;; [unrolled: 1-line block ×5, first 2 shown]
	v_cmp_lt_u32_e32 vcc, 34, v254
	s_waitcnt vmcnt(22) lgkmcnt(4)
	v_mul_f64 v[46:47], v[2:3], v[22:23]
	v_mul_f64 v[22:23], v[4:5], v[22:23]
	s_waitcnt vmcnt(20) lgkmcnt(3)
	v_mul_f64 v[48:49], v[6:7], v[24:25]
	v_mul_f64 v[24:25], v[8:9], v[24:25]
	;; [unrolled: 3-line block ×4, first 2 shown]
	s_waitcnt vmcnt(13) lgkmcnt(0)
	v_mul_f64 v[54:55], v[18:19], v[28:29]
	s_waitcnt vmcnt(11)
	v_fma_f64 v[2:3], v[2:3], v[34:35], -v[22:23]
	v_fmac_f64_e32 v[46:47], v[4:5], v[34:35]
	s_waitcnt vmcnt(9)
	v_fma_f64 v[4:5], v[6:7], v[36:37], -v[24:25]
	v_add_f64 v[2:3], v[2:3], 0
	v_fmac_f64_e32 v[48:49], v[8:9], v[36:37]
	s_waitcnt vmcnt(7)
	v_fmac_f64_e32 v[50:51], v[12:13], v[38:39]
	v_fma_f64 v[6:7], v[10:11], v[38:39], -v[26:27]
	v_add_f64 v[12:13], v[46:47], 0
	v_add_f64 v[2:3], v[2:3], v[4:5]
	v_mul_f64 v[28:29], v[20:21], v[28:29]
	s_waitcnt vmcnt(5)
	v_fma_f64 v[8:9], v[14:15], v[40:41], -v[32:33]
	v_add_f64 v[12:13], v[12:13], v[48:49]
	v_add_f64 v[2:3], v[2:3], v[6:7]
	v_fmac_f64_e32 v[52:53], v[16:17], v[40:41]
	s_waitcnt vmcnt(4)
	v_fma_f64 v[10:11], v[18:19], v[30:31], -v[28:29]
	v_add_f64 v[4:5], v[12:13], v[50:51]
	v_add_f64 v[2:3], v[2:3], v[8:9]
	v_fmac_f64_e32 v[54:55], v[20:21], v[30:31]
	v_add_f64 v[4:5], v[4:5], v[52:53]
	v_add_f64 v[2:3], v[2:3], v[10:11]
	;; [unrolled: 1-line block ×3, first 2 shown]
	s_waitcnt vmcnt(2)
	v_add_f64 v[2:3], v[42:43], -v[2:3]
	s_waitcnt vmcnt(0)
	v_add_f64 v[4:5], v[44:45], -v[4:5]
	buffer_store_dword v3, off, s[0:3], 0 offset:580
	buffer_store_dword v2, off, s[0:3], 0 offset:576
	;; [unrolled: 1-line block ×4, first 2 shown]
	s_and_saveexec_b64 s[4:5], vcc
	s_cbranch_execz .LBB104_191
; %bb.190:
	v_accvgpr_read_b32 v0, a88
	buffer_load_dword v2, v0, s[0:3], 0 offen
	buffer_load_dword v3, v0, s[0:3], 0 offen offset:4
	buffer_load_dword v4, v0, s[0:3], 0 offen offset:8
	buffer_load_dword v5, v0, s[0:3], 0 offen offset:12
	v_accvgpr_read_b32 v0, a123
	buffer_store_dword v1, off, s[0:3], 0 offset:560
	buffer_store_dword v1, off, s[0:3], 0 offset:564
	;; [unrolled: 1-line block ×4, first 2 shown]
	s_waitcnt vmcnt(4)
	ds_write_b128 v0, v[2:5]
.LBB104_191:
	s_or_b64 exec, exec, s[4:5]
	s_waitcnt lgkmcnt(0)
	; wave barrier
	s_waitcnt lgkmcnt(0)
	buffer_load_dword v26, off, s[0:3], 0 offset:584
	buffer_load_dword v27, off, s[0:3], 0 offset:588
	;; [unrolled: 1-line block ×28, first 2 shown]
	ds_read_b128 v[2:5], v1 offset:1216
	ds_read_b128 v[6:9], v1 offset:1232
	ds_read_b128 v[10:13], v1 offset:1248
	ds_read_b128 v[14:17], v1 offset:1264
	ds_read_b128 v[18:21], v1 offset:1280
	ds_read_b128 v[22:25], v1 offset:1296
	v_cmp_lt_u32_e32 vcc, 33, v254
	s_waitcnt vmcnt(26) lgkmcnt(5)
	v_mul_f64 v[54:55], v[2:3], v[26:27]
	v_mul_f64 v[26:27], v[4:5], v[26:27]
	s_waitcnt vmcnt(24) lgkmcnt(4)
	v_mul_f64 v[56:57], v[6:7], v[28:29]
	v_mul_f64 v[28:29], v[8:9], v[28:29]
	;; [unrolled: 3-line block ×4, first 2 shown]
	s_waitcnt vmcnt(17)
	v_mul_f64 v[60:61], v[14:15], v[36:37]
	v_mul_f64 v[36:37], v[16:17], v[36:37]
	s_waitcnt vmcnt(15) lgkmcnt(0)
	v_mul_f64 v[64:65], v[22:23], v[38:39]
	v_mul_f64 v[38:39], v[24:25], v[38:39]
	s_waitcnt vmcnt(14)
	v_fmac_f64_e32 v[62:63], v[20:21], v[34:35]
	s_waitcnt vmcnt(12)
	v_fma_f64 v[2:3], v[2:3], v[40:41], -v[26:27]
	v_fmac_f64_e32 v[54:55], v[4:5], v[40:41]
	s_waitcnt vmcnt(10)
	v_fma_f64 v[4:5], v[6:7], v[42:43], -v[28:29]
	v_add_f64 v[2:3], v[2:3], 0
	v_fmac_f64_e32 v[56:57], v[8:9], v[42:43]
	s_waitcnt vmcnt(8)
	v_fma_f64 v[6:7], v[10:11], v[44:45], -v[30:31]
	s_waitcnt vmcnt(6)
	v_fma_f64 v[8:9], v[14:15], v[46:47], -v[36:37]
	v_add_f64 v[14:15], v[54:55], 0
	v_add_f64 v[2:3], v[2:3], v[4:5]
	v_fmac_f64_e32 v[58:59], v[12:13], v[44:45]
	v_add_f64 v[14:15], v[14:15], v[56:57]
	v_add_f64 v[2:3], v[2:3], v[6:7]
	v_fmac_f64_e32 v[60:61], v[16:17], v[46:47]
	v_fma_f64 v[10:11], v[18:19], v[34:35], -v[32:33]
	v_add_f64 v[4:5], v[14:15], v[58:59]
	v_add_f64 v[2:3], v[2:3], v[8:9]
	s_waitcnt vmcnt(4)
	v_fma_f64 v[12:13], v[22:23], v[48:49], -v[38:39]
	v_add_f64 v[4:5], v[4:5], v[60:61]
	v_add_f64 v[2:3], v[2:3], v[10:11]
	v_fmac_f64_e32 v[64:65], v[24:25], v[48:49]
	v_add_f64 v[4:5], v[4:5], v[62:63]
	v_add_f64 v[2:3], v[2:3], v[12:13]
	;; [unrolled: 1-line block ×3, first 2 shown]
	s_waitcnt vmcnt(2)
	v_add_f64 v[2:3], v[50:51], -v[2:3]
	s_waitcnt vmcnt(0)
	v_add_f64 v[4:5], v[52:53], -v[4:5]
	buffer_store_dword v3, off, s[0:3], 0 offset:564
	buffer_store_dword v2, off, s[0:3], 0 offset:560
	;; [unrolled: 1-line block ×4, first 2 shown]
	s_and_saveexec_b64 s[4:5], vcc
	s_cbranch_execz .LBB104_193
; %bb.192:
	v_accvgpr_read_b32 v0, a89
	buffer_load_dword v2, v0, s[0:3], 0 offen
	buffer_load_dword v3, v0, s[0:3], 0 offen offset:4
	buffer_load_dword v4, v0, s[0:3], 0 offen offset:8
	;; [unrolled: 1-line block ×3, first 2 shown]
	v_mov_b32_e32 v0, 0
	v_accvgpr_read_b32 v1, a123
	buffer_store_dword v0, off, s[0:3], 0 offset:544
	buffer_store_dword v0, off, s[0:3], 0 offset:548
	;; [unrolled: 1-line block ×4, first 2 shown]
	s_waitcnt vmcnt(4)
	ds_write_b128 v1, v[2:5]
.LBB104_193:
	s_or_b64 exec, exec, s[4:5]
	s_waitcnt lgkmcnt(0)
	; wave barrier
	s_waitcnt lgkmcnt(0)
	buffer_load_dword v30, off, s[0:3], 0 offset:568
	buffer_load_dword v31, off, s[0:3], 0 offset:572
	;; [unrolled: 1-line block ×32, first 2 shown]
	v_mov_b32_e32 v1, 0
	ds_read_b128 v[2:5], v1 offset:1200
	ds_read_b128 v[6:9], v1 offset:1216
	;; [unrolled: 1-line block ×7, first 2 shown]
	v_cmp_lt_u32_e32 vcc, 32, v254
	s_waitcnt vmcnt(30) lgkmcnt(6)
	v_mul_f64 v[62:63], v[2:3], v[30:31]
	v_mul_f64 v[30:31], v[4:5], v[30:31]
	s_waitcnt vmcnt(28) lgkmcnt(5)
	v_mul_f64 v[64:65], v[6:7], v[32:33]
	v_mul_f64 v[32:33], v[8:9], v[32:33]
	;; [unrolled: 3-line block ×4, first 2 shown]
	s_waitcnt vmcnt(21)
	v_mul_f64 v[68:69], v[14:15], v[40:41]
	v_mul_f64 v[40:41], v[16:17], v[40:41]
	s_waitcnt vmcnt(17) lgkmcnt(1)
	v_mul_f64 v[72:73], v[22:23], v[46:47]
	v_mul_f64 v[46:47], v[24:25], v[46:47]
	s_waitcnt vmcnt(16) lgkmcnt(0)
	v_mul_f64 v[74:75], v[26:27], v[42:43]
	v_mul_f64 v[42:43], v[28:29], v[42:43]
	s_waitcnt vmcnt(13)
	v_fma_f64 v[2:3], v[2:3], v[48:49], -v[30:31]
	v_fmac_f64_e32 v[62:63], v[4:5], v[48:49]
	s_waitcnt vmcnt(11)
	v_fma_f64 v[4:5], v[6:7], v[50:51], -v[32:33]
	v_add_f64 v[2:3], v[2:3], 0
	v_fmac_f64_e32 v[64:65], v[8:9], v[50:51]
	s_waitcnt vmcnt(9)
	v_fma_f64 v[6:7], v[10:11], v[52:53], -v[34:35]
	s_waitcnt vmcnt(7)
	v_fmac_f64_e32 v[68:69], v[16:17], v[54:55]
	v_add_f64 v[16:17], v[62:63], 0
	v_add_f64 v[2:3], v[2:3], v[4:5]
	v_fmac_f64_e32 v[66:67], v[12:13], v[52:53]
	v_fma_f64 v[8:9], v[14:15], v[54:55], -v[40:41]
	v_add_f64 v[16:17], v[16:17], v[64:65]
	v_add_f64 v[2:3], v[2:3], v[6:7]
	v_fma_f64 v[10:11], v[18:19], v[38:39], -v[36:37]
	v_add_f64 v[4:5], v[16:17], v[66:67]
	v_add_f64 v[2:3], v[2:3], v[8:9]
	v_fmac_f64_e32 v[70:71], v[20:21], v[38:39]
	s_waitcnt vmcnt(5)
	v_fma_f64 v[12:13], v[22:23], v[56:57], -v[46:47]
	v_add_f64 v[4:5], v[4:5], v[68:69]
	v_add_f64 v[2:3], v[2:3], v[10:11]
	v_fmac_f64_e32 v[72:73], v[24:25], v[56:57]
	s_waitcnt vmcnt(4)
	v_fma_f64 v[14:15], v[26:27], v[44:45], -v[42:43]
	v_add_f64 v[4:5], v[4:5], v[70:71]
	v_add_f64 v[2:3], v[2:3], v[12:13]
	v_fmac_f64_e32 v[74:75], v[28:29], v[44:45]
	v_add_f64 v[4:5], v[4:5], v[72:73]
	v_add_f64 v[2:3], v[2:3], v[14:15]
	;; [unrolled: 1-line block ×3, first 2 shown]
	s_waitcnt vmcnt(2)
	v_add_f64 v[2:3], v[58:59], -v[2:3]
	s_waitcnt vmcnt(0)
	v_add_f64 v[4:5], v[60:61], -v[4:5]
	buffer_store_dword v3, off, s[0:3], 0 offset:548
	buffer_store_dword v2, off, s[0:3], 0 offset:544
	;; [unrolled: 1-line block ×4, first 2 shown]
	s_and_saveexec_b64 s[4:5], vcc
	s_cbranch_execz .LBB104_195
; %bb.194:
	v_accvgpr_read_b32 v0, a90
	buffer_load_dword v2, v0, s[0:3], 0 offen
	buffer_load_dword v3, v0, s[0:3], 0 offen offset:4
	buffer_load_dword v4, v0, s[0:3], 0 offen offset:8
	;; [unrolled: 1-line block ×3, first 2 shown]
	v_accvgpr_read_b32 v0, a123
	buffer_store_dword v1, off, s[0:3], 0 offset:528
	buffer_store_dword v1, off, s[0:3], 0 offset:532
	;; [unrolled: 1-line block ×4, first 2 shown]
	s_waitcnt vmcnt(4)
	ds_write_b128 v0, v[2:5]
.LBB104_195:
	s_or_b64 exec, exec, s[4:5]
	s_waitcnt lgkmcnt(0)
	; wave barrier
	s_waitcnt lgkmcnt(0)
	buffer_load_dword v34, off, s[0:3], 0 offset:552
	buffer_load_dword v35, off, s[0:3], 0 offset:556
	;; [unrolled: 1-line block ×36, first 2 shown]
	ds_read_b128 v[2:5], v1 offset:1184
	ds_read_b128 v[6:9], v1 offset:1200
	;; [unrolled: 1-line block ×8, first 2 shown]
	v_cmp_lt_u32_e32 vcc, 31, v254
	s_waitcnt vmcnt(34) lgkmcnt(7)
	v_mul_f64 v[70:71], v[2:3], v[34:35]
	v_mul_f64 v[34:35], v[4:5], v[34:35]
	s_waitcnt vmcnt(32) lgkmcnt(6)
	v_mul_f64 v[72:73], v[6:7], v[36:37]
	v_mul_f64 v[36:37], v[8:9], v[36:37]
	;; [unrolled: 3-line block ×4, first 2 shown]
	s_waitcnt vmcnt(25)
	v_mul_f64 v[76:77], v[14:15], v[44:45]
	v_mul_f64 v[44:45], v[16:17], v[44:45]
	s_waitcnt vmcnt(23) lgkmcnt(1)
	v_mul_f64 v[82:83], v[26:27], v[46:47]
	v_mul_f64 v[46:47], v[28:29], v[46:47]
	s_waitcnt vmcnt(20)
	v_mul_f64 v[80:81], v[22:23], v[50:51]
	v_mul_f64 v[50:51], v[24:25], v[50:51]
	s_waitcnt vmcnt(18) lgkmcnt(0)
	v_mul_f64 v[84:85], v[30:31], v[52:53]
	s_waitcnt vmcnt(17)
	v_fmac_f64_e32 v[78:79], v[20:21], v[42:43]
	s_waitcnt vmcnt(16)
	v_fmac_f64_e32 v[82:83], v[28:29], v[48:49]
	s_waitcnt vmcnt(14)
	v_fma_f64 v[2:3], v[2:3], v[54:55], -v[34:35]
	v_fmac_f64_e32 v[70:71], v[4:5], v[54:55]
	s_waitcnt vmcnt(12)
	v_fma_f64 v[4:5], v[6:7], v[56:57], -v[36:37]
	v_add_f64 v[2:3], v[2:3], 0
	v_fmac_f64_e32 v[72:73], v[8:9], v[56:57]
	s_waitcnt vmcnt(10)
	v_fma_f64 v[6:7], v[10:11], v[58:59], -v[38:39]
	s_waitcnt vmcnt(8)
	v_fmac_f64_e32 v[76:77], v[16:17], v[60:61]
	v_add_f64 v[16:17], v[70:71], 0
	v_add_f64 v[2:3], v[2:3], v[4:5]
	v_fmac_f64_e32 v[74:75], v[12:13], v[58:59]
	v_fma_f64 v[8:9], v[14:15], v[60:61], -v[44:45]
	v_add_f64 v[16:17], v[16:17], v[72:73]
	v_add_f64 v[2:3], v[2:3], v[6:7]
	v_fma_f64 v[10:11], v[18:19], v[42:43], -v[40:41]
	v_add_f64 v[4:5], v[16:17], v[74:75]
	v_add_f64 v[2:3], v[2:3], v[8:9]
	s_waitcnt vmcnt(6)
	v_fma_f64 v[12:13], v[22:23], v[62:63], -v[50:51]
	v_add_f64 v[4:5], v[4:5], v[76:77]
	v_add_f64 v[2:3], v[2:3], v[10:11]
	v_fmac_f64_e32 v[80:81], v[24:25], v[62:63]
	v_fma_f64 v[14:15], v[26:27], v[48:49], -v[46:47]
	v_add_f64 v[4:5], v[4:5], v[78:79]
	v_add_f64 v[2:3], v[2:3], v[12:13]
	v_mul_f64 v[6:7], v[32:33], v[52:53]
	v_add_f64 v[4:5], v[4:5], v[80:81]
	v_add_f64 v[2:3], v[2:3], v[14:15]
	s_waitcnt vmcnt(4)
	v_fma_f64 v[6:7], v[30:31], v[64:65], -v[6:7]
	v_fmac_f64_e32 v[84:85], v[32:33], v[64:65]
	v_add_f64 v[4:5], v[4:5], v[82:83]
	v_add_f64 v[2:3], v[2:3], v[6:7]
	;; [unrolled: 1-line block ×3, first 2 shown]
	s_waitcnt vmcnt(2)
	v_add_f64 v[2:3], v[66:67], -v[2:3]
	s_waitcnt vmcnt(0)
	v_add_f64 v[4:5], v[68:69], -v[4:5]
	buffer_store_dword v3, off, s[0:3], 0 offset:532
	buffer_store_dword v2, off, s[0:3], 0 offset:528
	;; [unrolled: 1-line block ×4, first 2 shown]
	s_and_saveexec_b64 s[4:5], vcc
	s_cbranch_execz .LBB104_197
; %bb.196:
	v_accvgpr_read_b32 v0, a91
	buffer_load_dword v2, v0, s[0:3], 0 offen
	buffer_load_dword v3, v0, s[0:3], 0 offen offset:4
	buffer_load_dword v4, v0, s[0:3], 0 offen offset:8
	;; [unrolled: 1-line block ×3, first 2 shown]
	v_mov_b32_e32 v0, 0
	v_accvgpr_read_b32 v1, a123
	buffer_store_dword v0, off, s[0:3], 0 offset:512
	buffer_store_dword v0, off, s[0:3], 0 offset:516
	buffer_store_dword v0, off, s[0:3], 0 offset:520
	buffer_store_dword v0, off, s[0:3], 0 offset:524
	s_waitcnt vmcnt(4)
	ds_write_b128 v1, v[2:5]
.LBB104_197:
	s_or_b64 exec, exec, s[4:5]
	s_waitcnt lgkmcnt(0)
	; wave barrier
	s_waitcnt lgkmcnt(0)
	buffer_load_dword v38, off, s[0:3], 0 offset:536
	buffer_load_dword v39, off, s[0:3], 0 offset:540
	;; [unrolled: 1-line block ×40, first 2 shown]
	v_mov_b32_e32 v1, 0
	ds_read_b128 v[2:5], v1 offset:1168
	ds_read_b128 v[6:9], v1 offset:1184
	;; [unrolled: 1-line block ×9, first 2 shown]
	v_cmp_lt_u32_e32 vcc, 30, v254
	s_waitcnt vmcnt(38) lgkmcnt(8)
	v_mul_f64 v[78:79], v[2:3], v[38:39]
	v_mul_f64 v[38:39], v[4:5], v[38:39]
	s_waitcnt vmcnt(36) lgkmcnt(7)
	v_mul_f64 v[80:81], v[6:7], v[40:41]
	v_mul_f64 v[40:41], v[8:9], v[40:41]
	;; [unrolled: 3-line block ×3, first 2 shown]
	s_waitcnt vmcnt(32) lgkmcnt(4)
	v_mul_f64 v[86:87], v[18:19], v[44:45]
	s_waitcnt vmcnt(30)
	v_fmac_f64_e32 v[86:87], v[20:21], v[46:47]
	s_waitcnt vmcnt(28)
	v_mul_f64 v[84:85], v[14:15], v[48:49]
	v_mul_f64 v[48:49], v[16:17], v[48:49]
	s_waitcnt vmcnt(26) lgkmcnt(2)
	v_mul_f64 v[90:91], v[26:27], v[50:51]
	s_waitcnt vmcnt(24)
	v_fmac_f64_e32 v[90:91], v[28:29], v[52:53]
	s_waitcnt vmcnt(22)
	v_mul_f64 v[88:89], v[22:23], v[54:55]
	s_waitcnt vmcnt(18) lgkmcnt(1)
	v_mul_f64 v[92:93], v[30:31], v[60:61]
	s_waitcnt vmcnt(17) lgkmcnt(0)
	v_mul_f64 v[94:95], v[34:35], v[56:57]
	s_waitcnt vmcnt(15)
	v_fma_f64 v[2:3], v[2:3], v[62:63], -v[38:39]
	v_fmac_f64_e32 v[78:79], v[4:5], v[62:63]
	s_waitcnt vmcnt(13)
	v_fma_f64 v[4:5], v[6:7], v[64:65], -v[40:41]
	v_add_f64 v[2:3], v[2:3], 0
	s_waitcnt vmcnt(11)
	v_fma_f64 v[6:7], v[10:11], v[66:67], -v[42:43]
	v_add_f64 v[2:3], v[2:3], v[4:5]
	v_fmac_f64_e32 v[80:81], v[8:9], v[64:65]
	s_waitcnt vmcnt(9)
	v_fma_f64 v[8:9], v[14:15], v[68:69], -v[48:49]
	v_add_f64 v[2:3], v[2:3], v[6:7]
	v_mul_f64 v[6:7], v[20:21], v[44:45]
	v_add_f64 v[2:3], v[2:3], v[8:9]
	v_fma_f64 v[6:7], v[18:19], v[46:47], -v[6:7]
	v_add_f64 v[2:3], v[2:3], v[6:7]
	v_mul_f64 v[6:7], v[24:25], v[54:55]
	v_add_f64 v[10:11], v[78:79], 0
	s_waitcnt vmcnt(7)
	v_fma_f64 v[6:7], v[22:23], v[70:71], -v[6:7]
	v_fmac_f64_e32 v[82:83], v[12:13], v[66:67]
	v_add_f64 v[10:11], v[10:11], v[80:81]
	v_add_f64 v[2:3], v[2:3], v[6:7]
	v_mul_f64 v[6:7], v[28:29], v[50:51]
	v_fmac_f64_e32 v[84:85], v[16:17], v[68:69]
	v_add_f64 v[4:5], v[10:11], v[82:83]
	v_fma_f64 v[6:7], v[26:27], v[52:53], -v[6:7]
	v_add_f64 v[4:5], v[4:5], v[84:85]
	v_add_f64 v[2:3], v[2:3], v[6:7]
	v_mul_f64 v[6:7], v[32:33], v[60:61]
	v_fmac_f64_e32 v[88:89], v[24:25], v[70:71]
	v_add_f64 v[4:5], v[4:5], v[86:87]
	s_waitcnt vmcnt(5)
	v_fma_f64 v[6:7], v[30:31], v[72:73], -v[6:7]
	v_add_f64 v[4:5], v[4:5], v[88:89]
	v_add_f64 v[2:3], v[2:3], v[6:7]
	v_mul_f64 v[6:7], v[36:37], v[56:57]
	v_fmac_f64_e32 v[92:93], v[32:33], v[72:73]
	v_add_f64 v[4:5], v[4:5], v[90:91]
	s_waitcnt vmcnt(4)
	v_fma_f64 v[6:7], v[34:35], v[58:59], -v[6:7]
	v_fmac_f64_e32 v[94:95], v[36:37], v[58:59]
	v_add_f64 v[4:5], v[4:5], v[92:93]
	v_add_f64 v[2:3], v[2:3], v[6:7]
	;; [unrolled: 1-line block ×3, first 2 shown]
	s_waitcnt vmcnt(2)
	v_add_f64 v[2:3], v[74:75], -v[2:3]
	s_waitcnt vmcnt(0)
	v_add_f64 v[4:5], v[76:77], -v[4:5]
	buffer_store_dword v3, off, s[0:3], 0 offset:516
	buffer_store_dword v2, off, s[0:3], 0 offset:512
	;; [unrolled: 1-line block ×4, first 2 shown]
	s_and_saveexec_b64 s[4:5], vcc
	s_cbranch_execz .LBB104_199
; %bb.198:
	v_accvgpr_read_b32 v0, a92
	buffer_load_dword v2, v0, s[0:3], 0 offen
	buffer_load_dword v3, v0, s[0:3], 0 offen offset:4
	buffer_load_dword v4, v0, s[0:3], 0 offen offset:8
	;; [unrolled: 1-line block ×3, first 2 shown]
	v_accvgpr_read_b32 v0, a123
	buffer_store_dword v1, off, s[0:3], 0 offset:496
	buffer_store_dword v1, off, s[0:3], 0 offset:500
	;; [unrolled: 1-line block ×4, first 2 shown]
	s_waitcnt vmcnt(4)
	ds_write_b128 v0, v[2:5]
.LBB104_199:
	s_or_b64 exec, exec, s[4:5]
	s_waitcnt lgkmcnt(0)
	; wave barrier
	s_waitcnt lgkmcnt(0)
	buffer_load_dword v4, off, s[0:3], 0 offset:512
	buffer_load_dword v5, off, s[0:3], 0 offset:516
	;; [unrolled: 1-line block ×44, first 2 shown]
	ds_read_b128 v[6:9], v1 offset:1152
	ds_read_b128 v[10:13], v1 offset:1168
	;; [unrolled: 1-line block ×10, first 2 shown]
	v_cmp_lt_u32_e32 vcc, 29, v254
	s_waitcnt vmcnt(40) lgkmcnt(9)
	v_mul_f64 v[86:87], v[6:7], v[46:47]
	v_mul_f64 v[46:47], v[8:9], v[46:47]
	s_waitcnt vmcnt(38) lgkmcnt(8)
	v_mul_f64 v[88:89], v[10:11], v[48:49]
	v_mul_f64 v[48:49], v[12:13], v[48:49]
	v_fmac_f64_e32 v[86:87], v[8:9], v[4:5]
	v_fma_f64 v[4:5], v[6:7], v[4:5], -v[46:47]
	s_waitcnt vmcnt(36) lgkmcnt(7)
	v_mul_f64 v[90:91], v[14:15], v[2:3]
	v_add_f64 v[4:5], v[4:5], 0
	v_mul_f64 v[2:3], v[16:17], v[2:3]
	v_add_f64 v[8:9], v[86:87], 0
	s_waitcnt vmcnt(30) lgkmcnt(6)
	v_mul_f64 v[92:93], v[18:19], v[54:55]
	s_waitcnt lgkmcnt(5)
	v_mul_f64 v[94:95], v[22:23], v[50:51]
	v_fmac_f64_e32 v[94:95], v[24:25], v[52:53]
	s_waitcnt vmcnt(28) lgkmcnt(3)
	v_mul_f64 v[98:99], v[30:31], v[56:57]
	s_waitcnt vmcnt(26)
	v_fmac_f64_e32 v[98:99], v[32:33], v[58:59]
	s_waitcnt vmcnt(24)
	v_mul_f64 v[96:97], v[26:27], v[60:61]
	s_waitcnt vmcnt(22) lgkmcnt(1)
	v_mul_f64 v[102:103], v[38:39], v[62:63]
	s_waitcnt vmcnt(20)
	v_fmac_f64_e32 v[102:103], v[40:41], v[64:65]
	s_waitcnt vmcnt(18)
	v_mul_f64 v[100:101], v[34:35], v[66:67]
	s_waitcnt vmcnt(16) lgkmcnt(0)
	v_mul_f64 v[104:105], v[42:43], v[68:69]
	s_waitcnt vmcnt(14)
	v_fma_f64 v[6:7], v[10:11], v[70:71], -v[48:49]
	v_add_f64 v[4:5], v[4:5], v[6:7]
	s_waitcnt vmcnt(12)
	v_fma_f64 v[2:3], v[14:15], v[72:73], -v[2:3]
	v_add_f64 v[2:3], v[4:5], v[2:3]
	v_mul_f64 v[4:5], v[20:21], v[54:55]
	s_waitcnt vmcnt(10)
	v_fma_f64 v[4:5], v[18:19], v[74:75], -v[4:5]
	v_add_f64 v[2:3], v[2:3], v[4:5]
	v_mul_f64 v[4:5], v[24:25], v[50:51]
	v_fma_f64 v[4:5], v[22:23], v[52:53], -v[4:5]
	v_add_f64 v[2:3], v[2:3], v[4:5]
	v_mul_f64 v[4:5], v[28:29], v[60:61]
	s_waitcnt vmcnt(8)
	v_fma_f64 v[4:5], v[26:27], v[76:77], -v[4:5]
	v_fmac_f64_e32 v[88:89], v[12:13], v[70:71]
	v_add_f64 v[2:3], v[2:3], v[4:5]
	v_mul_f64 v[4:5], v[32:33], v[56:57]
	v_fmac_f64_e32 v[90:91], v[16:17], v[72:73]
	v_add_f64 v[8:9], v[8:9], v[88:89]
	v_fma_f64 v[4:5], v[30:31], v[58:59], -v[4:5]
	v_fmac_f64_e32 v[92:93], v[20:21], v[74:75]
	v_add_f64 v[6:7], v[8:9], v[90:91]
	v_add_f64 v[2:3], v[2:3], v[4:5]
	v_mul_f64 v[4:5], v[36:37], v[66:67]
	v_add_f64 v[6:7], v[6:7], v[92:93]
	s_waitcnt vmcnt(6)
	v_fma_f64 v[4:5], v[34:35], v[78:79], -v[4:5]
	v_fmac_f64_e32 v[96:97], v[28:29], v[76:77]
	v_add_f64 v[6:7], v[6:7], v[94:95]
	v_add_f64 v[2:3], v[2:3], v[4:5]
	v_mul_f64 v[4:5], v[40:41], v[62:63]
	v_add_f64 v[6:7], v[6:7], v[96:97]
	v_fma_f64 v[4:5], v[38:39], v[64:65], -v[4:5]
	v_fmac_f64_e32 v[100:101], v[36:37], v[78:79]
	v_add_f64 v[6:7], v[6:7], v[98:99]
	v_add_f64 v[2:3], v[2:3], v[4:5]
	v_mul_f64 v[4:5], v[44:45], v[68:69]
	v_add_f64 v[6:7], v[6:7], v[100:101]
	s_waitcnt vmcnt(4)
	v_fma_f64 v[4:5], v[42:43], v[80:81], -v[4:5]
	v_fmac_f64_e32 v[104:105], v[44:45], v[80:81]
	v_add_f64 v[6:7], v[6:7], v[102:103]
	v_add_f64 v[2:3], v[2:3], v[4:5]
	;; [unrolled: 1-line block ×3, first 2 shown]
	s_waitcnt vmcnt(2)
	v_add_f64 v[2:3], v[82:83], -v[2:3]
	s_waitcnt vmcnt(0)
	v_add_f64 v[4:5], v[84:85], -v[6:7]
	buffer_store_dword v3, off, s[0:3], 0 offset:500
	buffer_store_dword v2, off, s[0:3], 0 offset:496
	;; [unrolled: 1-line block ×4, first 2 shown]
	s_and_saveexec_b64 s[4:5], vcc
	s_cbranch_execz .LBB104_201
; %bb.200:
	v_accvgpr_read_b32 v0, a93
	buffer_load_dword v2, v0, s[0:3], 0 offen
	buffer_load_dword v3, v0, s[0:3], 0 offen offset:4
	buffer_load_dword v4, v0, s[0:3], 0 offen offset:8
	;; [unrolled: 1-line block ×3, first 2 shown]
	v_mov_b32_e32 v0, 0
	v_accvgpr_read_b32 v1, a123
	buffer_store_dword v0, off, s[0:3], 0 offset:480
	buffer_store_dword v0, off, s[0:3], 0 offset:484
	;; [unrolled: 1-line block ×4, first 2 shown]
	s_waitcnt vmcnt(4)
	ds_write_b128 v1, v[2:5]
.LBB104_201:
	s_or_b64 exec, exec, s[4:5]
	s_waitcnt lgkmcnt(0)
	; wave barrier
	s_waitcnt lgkmcnt(0)
	buffer_load_dword v2, off, s[0:3], 0 offset:496
	buffer_load_dword v3, off, s[0:3], 0 offset:500
	;; [unrolled: 1-line block ×48, first 2 shown]
	v_mov_b32_e32 v1, 0
	ds_read_b128 v[12:15], v1 offset:1136
	ds_read_b128 v[16:19], v1 offset:1152
	;; [unrolled: 1-line block ×11, first 2 shown]
	v_cmp_lt_u32_e32 vcc, 28, v254
	s_waitcnt vmcnt(44) lgkmcnt(10)
	v_mul_f64 v[94:95], v[12:13], v[6:7]
	v_mul_f64 v[6:7], v[14:15], v[6:7]
	v_fmac_f64_e32 v[94:95], v[14:15], v[2:3]
	v_fma_f64 v[2:3], v[12:13], v[2:3], -v[6:7]
	s_waitcnt vmcnt(40) lgkmcnt(9)
	v_mul_f64 v[96:97], v[16:17], v[8:9]
	v_mul_f64 v[6:7], v[18:19], v[8:9]
	v_fmac_f64_e32 v[96:97], v[18:19], v[4:5]
	v_add_f64 v[2:3], v[2:3], 0
	v_fma_f64 v[4:5], v[16:17], v[4:5], -v[6:7]
	v_add_f64 v[2:3], v[2:3], v[4:5]
	s_waitcnt vmcnt(38) lgkmcnt(8)
	v_mul_f64 v[4:5], v[22:23], v[10:11]
	v_mul_f64 v[98:99], v[20:21], v[10:11]
	v_add_f64 v[94:95], v[94:95], 0
	s_waitcnt vmcnt(32) lgkmcnt(7)
	v_mul_f64 v[100:101], v[24:25], v[60:61]
	v_add_f64 v[94:95], v[94:95], v[96:97]
	s_waitcnt lgkmcnt(6)
	v_mul_f64 v[102:103], v[28:29], v[56:57]
	v_fmac_f64_e32 v[102:103], v[30:31], v[58:59]
	s_waitcnt vmcnt(30) lgkmcnt(4)
	v_mul_f64 v[106:107], v[36:37], v[62:63]
	s_waitcnt vmcnt(26)
	v_mul_f64 v[104:105], v[32:33], v[66:67]
	v_fmac_f64_e32 v[106:107], v[38:39], v[64:65]
	s_waitcnt vmcnt(24) lgkmcnt(2)
	v_mul_f64 v[110:111], v[44:45], v[68:69]
	s_waitcnt vmcnt(22)
	v_fmac_f64_e32 v[110:111], v[46:47], v[70:71]
	s_waitcnt vmcnt(20)
	v_mul_f64 v[108:109], v[40:41], v[72:73]
	s_waitcnt vmcnt(16) lgkmcnt(1)
	v_mul_f64 v[112:113], v[48:49], v[78:79]
	s_waitcnt vmcnt(14)
	v_fma_f64 v[4:5], v[20:21], v[80:81], -v[4:5]
	v_add_f64 v[2:3], v[2:3], v[4:5]
	v_mul_f64 v[4:5], v[26:27], v[60:61]
	s_waitcnt vmcnt(12)
	v_fma_f64 v[4:5], v[24:25], v[82:83], -v[4:5]
	v_add_f64 v[2:3], v[2:3], v[4:5]
	v_mul_f64 v[4:5], v[30:31], v[56:57]
	v_fma_f64 v[4:5], v[28:29], v[58:59], -v[4:5]
	v_add_f64 v[2:3], v[2:3], v[4:5]
	v_mul_f64 v[4:5], v[34:35], v[66:67]
	s_waitcnt vmcnt(10)
	v_fma_f64 v[4:5], v[32:33], v[84:85], -v[4:5]
	v_add_f64 v[2:3], v[2:3], v[4:5]
	v_mul_f64 v[4:5], v[38:39], v[62:63]
	v_fma_f64 v[4:5], v[36:37], v[64:65], -v[4:5]
	v_fmac_f64_e32 v[98:99], v[22:23], v[80:81]
	v_add_f64 v[2:3], v[2:3], v[4:5]
	v_mul_f64 v[4:5], v[42:43], v[72:73]
	v_fmac_f64_e32 v[100:101], v[26:27], v[82:83]
	v_add_f64 v[94:95], v[94:95], v[98:99]
	s_waitcnt vmcnt(8)
	v_fma_f64 v[4:5], v[40:41], v[86:87], -v[4:5]
	v_add_f64 v[94:95], v[94:95], v[100:101]
	v_add_f64 v[2:3], v[2:3], v[4:5]
	v_mul_f64 v[4:5], v[46:47], v[68:69]
	v_fmac_f64_e32 v[104:105], v[34:35], v[84:85]
	v_add_f64 v[94:95], v[94:95], v[102:103]
	v_fma_f64 v[4:5], v[44:45], v[70:71], -v[4:5]
	v_add_f64 v[94:95], v[94:95], v[104:105]
	v_add_f64 v[2:3], v[2:3], v[4:5]
	v_mul_f64 v[4:5], v[50:51], v[78:79]
	v_fmac_f64_e32 v[108:109], v[42:43], v[86:87]
	v_add_f64 v[94:95], v[94:95], v[106:107]
	s_waitcnt vmcnt(6)
	v_fma_f64 v[4:5], v[48:49], v[88:89], -v[4:5]
	v_add_f64 v[94:95], v[94:95], v[108:109]
	v_add_f64 v[2:3], v[2:3], v[4:5]
	s_waitcnt vmcnt(5) lgkmcnt(0)
	v_mul_f64 v[4:5], v[54:55], v[74:75]
	v_fmac_f64_e32 v[112:113], v[50:51], v[88:89]
	v_add_f64 v[94:95], v[94:95], v[110:111]
	v_mul_f64 v[96:97], v[52:53], v[74:75]
	s_waitcnt vmcnt(4)
	v_fma_f64 v[4:5], v[52:53], v[76:77], -v[4:5]
	v_add_f64 v[94:95], v[94:95], v[112:113]
	v_fmac_f64_e32 v[96:97], v[54:55], v[76:77]
	v_add_f64 v[2:3], v[2:3], v[4:5]
	v_add_f64 v[94:95], v[94:95], v[96:97]
	s_waitcnt vmcnt(2)
	v_add_f64 v[2:3], v[90:91], -v[2:3]
	s_waitcnt vmcnt(0)
	v_add_f64 v[4:5], v[92:93], -v[94:95]
	buffer_store_dword v3, off, s[0:3], 0 offset:484
	buffer_store_dword v2, off, s[0:3], 0 offset:480
	;; [unrolled: 1-line block ×4, first 2 shown]
	s_and_saveexec_b64 s[4:5], vcc
	s_cbranch_execz .LBB104_203
; %bb.202:
	v_accvgpr_read_b32 v0, a94
	buffer_load_dword v2, v0, s[0:3], 0 offen
	buffer_load_dword v3, v0, s[0:3], 0 offen offset:4
	buffer_load_dword v4, v0, s[0:3], 0 offen offset:8
	;; [unrolled: 1-line block ×3, first 2 shown]
	v_accvgpr_read_b32 v0, a123
	buffer_store_dword v1, off, s[0:3], 0 offset:464
	buffer_store_dword v1, off, s[0:3], 0 offset:468
	;; [unrolled: 1-line block ×4, first 2 shown]
	s_waitcnt vmcnt(4)
	ds_write_b128 v0, v[2:5]
.LBB104_203:
	s_or_b64 exec, exec, s[4:5]
	s_waitcnt lgkmcnt(0)
	; wave barrier
	s_waitcnt lgkmcnt(0)
	buffer_load_dword v2, off, s[0:3], 0 offset:480
	buffer_load_dword v3, off, s[0:3], 0 offset:484
	;; [unrolled: 1-line block ×52, first 2 shown]
	ds_read_b128 v[12:15], v1 offset:1120
	ds_read_b128 v[16:19], v1 offset:1136
	;; [unrolled: 1-line block ×10, first 2 shown]
	v_cmp_lt_u32_e32 vcc, 27, v254
	s_waitcnt vmcnt(48) lgkmcnt(9)
	v_mul_f64 v[52:53], v[12:13], v[6:7]
	v_mul_f64 v[6:7], v[14:15], v[6:7]
	v_fmac_f64_e32 v[52:53], v[14:15], v[2:3]
	v_fma_f64 v[2:3], v[12:13], v[2:3], -v[6:7]
	s_waitcnt vmcnt(44) lgkmcnt(8)
	v_mul_f64 v[54:55], v[16:17], v[8:9]
	v_mul_f64 v[6:7], v[18:19], v[8:9]
	v_fmac_f64_e32 v[54:55], v[18:19], v[4:5]
	v_add_f64 v[2:3], v[2:3], 0
	v_fma_f64 v[4:5], v[16:17], v[4:5], -v[6:7]
	v_add_f64 v[2:3], v[2:3], v[4:5]
	s_waitcnt vmcnt(42) lgkmcnt(7)
	v_mul_f64 v[4:5], v[22:23], v[10:11]
	v_mul_f64 v[56:57], v[20:21], v[10:11]
	v_add_f64 v[52:53], v[52:53], 0
	s_waitcnt vmcnt(36) lgkmcnt(6)
	v_mul_f64 v[58:59], v[24:25], v[64:65]
	v_add_f64 v[52:53], v[52:53], v[54:55]
	s_waitcnt lgkmcnt(5)
	v_mul_f64 v[102:103], v[28:29], v[60:61]
	v_fmac_f64_e32 v[102:103], v[30:31], v[62:63]
	s_waitcnt vmcnt(34) lgkmcnt(3)
	v_mul_f64 v[106:107], v[36:37], v[66:67]
	s_waitcnt vmcnt(30)
	v_mul_f64 v[104:105], v[32:33], v[70:71]
	v_fmac_f64_e32 v[106:107], v[38:39], v[68:69]
	s_waitcnt vmcnt(26) lgkmcnt(2)
	v_mul_f64 v[108:109], v[40:41], v[76:77]
	s_waitcnt vmcnt(25) lgkmcnt(1)
	v_mul_f64 v[110:111], v[44:45], v[72:73]
	s_waitcnt vmcnt(23)
	v_fma_f64 v[4:5], v[20:21], v[78:79], -v[4:5]
	v_add_f64 v[2:3], v[2:3], v[4:5]
	v_mul_f64 v[4:5], v[26:27], v[64:65]
	s_waitcnt vmcnt(21)
	v_fma_f64 v[4:5], v[24:25], v[80:81], -v[4:5]
	v_fmac_f64_e32 v[56:57], v[22:23], v[78:79]
	v_add_f64 v[2:3], v[2:3], v[4:5]
	v_mul_f64 v[4:5], v[30:31], v[60:61]
	v_fmac_f64_e32 v[58:59], v[26:27], v[80:81]
	v_add_f64 v[52:53], v[52:53], v[56:57]
	v_fma_f64 v[4:5], v[28:29], v[62:63], -v[4:5]
	v_add_f64 v[52:53], v[52:53], v[58:59]
	v_add_f64 v[2:3], v[2:3], v[4:5]
	v_mul_f64 v[4:5], v[34:35], v[70:71]
	s_waitcnt vmcnt(19)
	v_fmac_f64_e32 v[104:105], v[34:35], v[82:83]
	v_add_f64 v[52:53], v[52:53], v[102:103]
	v_fma_f64 v[4:5], v[32:33], v[82:83], -v[4:5]
	v_add_f64 v[52:53], v[52:53], v[104:105]
	v_add_f64 v[2:3], v[2:3], v[4:5]
	v_mul_f64 v[4:5], v[38:39], v[66:67]
	s_waitcnt vmcnt(17)
	v_fmac_f64_e32 v[108:109], v[42:43], v[84:85]
	v_add_f64 v[52:53], v[52:53], v[106:107]
	v_fma_f64 v[4:5], v[36:37], v[68:69], -v[4:5]
	s_waitcnt vmcnt(16)
	v_fmac_f64_e32 v[110:111], v[46:47], v[74:75]
	v_add_f64 v[52:53], v[52:53], v[108:109]
	v_add_f64 v[2:3], v[2:3], v[4:5]
	v_mul_f64 v[4:5], v[42:43], v[76:77]
	v_add_f64 v[102:103], v[52:53], v[110:111]
	ds_read_b128 v[52:55], v1 offset:1280
	ds_read_b128 v[56:59], v1 offset:1296
	v_fma_f64 v[4:5], v[40:41], v[84:85], -v[4:5]
	v_add_f64 v[2:3], v[2:3], v[4:5]
	v_mul_f64 v[4:5], v[46:47], v[72:73]
	v_fma_f64 v[4:5], v[44:45], v[74:75], -v[4:5]
	v_add_f64 v[2:3], v[2:3], v[4:5]
	s_waitcnt vmcnt(12) lgkmcnt(2)
	v_mul_f64 v[4:5], v[50:51], v[90:91]
	v_mul_f64 v[104:105], v[48:49], v[90:91]
	s_waitcnt vmcnt(10)
	v_fma_f64 v[4:5], v[48:49], v[92:93], -v[4:5]
	v_fmac_f64_e32 v[104:105], v[50:51], v[92:93]
	v_add_f64 v[2:3], v[2:3], v[4:5]
	s_waitcnt vmcnt(8) lgkmcnt(1)
	v_mul_f64 v[4:5], v[54:55], v[86:87]
	v_add_f64 v[102:103], v[102:103], v[104:105]
	v_mul_f64 v[104:105], v[52:53], v[86:87]
	v_fma_f64 v[4:5], v[52:53], v[88:89], -v[4:5]
	v_fmac_f64_e32 v[104:105], v[54:55], v[88:89]
	v_add_f64 v[2:3], v[2:3], v[4:5]
	s_waitcnt vmcnt(6) lgkmcnt(0)
	v_mul_f64 v[4:5], v[58:59], v[94:95]
	v_add_f64 v[102:103], v[102:103], v[104:105]
	v_mul_f64 v[104:105], v[56:57], v[94:95]
	s_waitcnt vmcnt(4)
	v_fma_f64 v[4:5], v[56:57], v[96:97], -v[4:5]
	v_fmac_f64_e32 v[104:105], v[58:59], v[96:97]
	v_add_f64 v[2:3], v[2:3], v[4:5]
	v_add_f64 v[102:103], v[102:103], v[104:105]
	s_waitcnt vmcnt(2)
	v_add_f64 v[2:3], v[98:99], -v[2:3]
	s_waitcnt vmcnt(0)
	v_add_f64 v[4:5], v[100:101], -v[102:103]
	buffer_store_dword v3, off, s[0:3], 0 offset:468
	buffer_store_dword v2, off, s[0:3], 0 offset:464
	buffer_store_dword v5, off, s[0:3], 0 offset:476
	buffer_store_dword v4, off, s[0:3], 0 offset:472
	s_and_saveexec_b64 s[4:5], vcc
	s_cbranch_execz .LBB104_205
; %bb.204:
	v_accvgpr_read_b32 v0, a95
	buffer_load_dword v2, v0, s[0:3], 0 offen
	buffer_load_dword v3, v0, s[0:3], 0 offen offset:4
	buffer_load_dword v4, v0, s[0:3], 0 offen offset:8
	buffer_load_dword v5, v0, s[0:3], 0 offen offset:12
	v_mov_b32_e32 v0, 0
	v_accvgpr_read_b32 v1, a123
	buffer_store_dword v0, off, s[0:3], 0 offset:448
	buffer_store_dword v0, off, s[0:3], 0 offset:452
	;; [unrolled: 1-line block ×4, first 2 shown]
	s_waitcnt vmcnt(4)
	ds_write_b128 v1, v[2:5]
.LBB104_205:
	s_or_b64 exec, exec, s[4:5]
	s_waitcnt lgkmcnt(0)
	; wave barrier
	s_waitcnt lgkmcnt(0)
	buffer_load_dword v2, off, s[0:3], 0 offset:464
	buffer_load_dword v3, off, s[0:3], 0 offset:468
	;; [unrolled: 1-line block ×56, first 2 shown]
	v_mov_b32_e32 v1, 0
	ds_read_b128 v[18:21], v1 offset:1104
	ds_read_b128 v[22:25], v1 offset:1120
	;; [unrolled: 1-line block ×9, first 2 shown]
	v_cmp_lt_u32_e32 vcc, 26, v254
	s_waitcnt vmcnt(52) lgkmcnt(8)
	v_mul_f64 v[50:51], v[18:19], v[6:7]
	v_fmac_f64_e32 v[50:51], v[20:21], v[2:3]
	v_mul_f64 v[6:7], v[20:21], v[6:7]
	v_add_f64 v[50:51], v[50:51], 0
	s_waitcnt vmcnt(48) lgkmcnt(7)
	v_mul_f64 v[52:53], v[22:23], v[8:9]
	v_fmac_f64_e32 v[52:53], v[24:25], v[4:5]
	s_waitcnt vmcnt(46) lgkmcnt(6)
	v_mul_f64 v[54:55], v[26:27], v[10:11]
	v_fma_f64 v[2:3], v[18:19], v[2:3], -v[6:7]
	v_mul_f64 v[6:7], v[24:25], v[8:9]
	v_add_f64 v[50:51], v[50:51], v[52:53]
	v_add_f64 v[2:3], v[2:3], 0
	v_fma_f64 v[4:5], v[22:23], v[4:5], -v[6:7]
	s_waitcnt vmcnt(40) lgkmcnt(5)
	v_mul_f64 v[56:57], v[30:31], v[16:17]
	s_waitcnt lgkmcnt(4)
	v_mul_f64 v[58:59], v[34:35], v[12:13]
	v_add_f64 v[2:3], v[2:3], v[4:5]
	v_mul_f64 v[4:5], v[28:29], v[10:11]
	s_waitcnt vmcnt(36) lgkmcnt(3)
	v_mul_f64 v[60:61], v[38:39], v[74:75]
	v_fmac_f64_e32 v[58:59], v[36:37], v[14:15]
	s_waitcnt vmcnt(35) lgkmcnt(2)
	v_mul_f64 v[62:63], v[42:43], v[70:71]
	s_waitcnt vmcnt(33)
	v_fmac_f64_e32 v[54:55], v[28:29], v[76:77]
	v_add_f64 v[50:51], v[50:51], v[54:55]
	s_waitcnt vmcnt(31)
	v_fmac_f64_e32 v[56:57], v[32:33], v[78:79]
	v_add_f64 v[50:51], v[50:51], v[56:57]
	v_fma_f64 v[4:5], v[26:27], v[76:77], -v[4:5]
	s_waitcnt vmcnt(29)
	v_fmac_f64_e32 v[60:61], v[40:41], v[80:81]
	v_add_f64 v[50:51], v[50:51], v[58:59]
	v_add_f64 v[2:3], v[2:3], v[4:5]
	v_mul_f64 v[4:5], v[32:33], v[16:17]
	s_waitcnt vmcnt(28)
	v_fmac_f64_e32 v[62:63], v[44:45], v[72:73]
	v_add_f64 v[50:51], v[50:51], v[60:61]
	v_fma_f64 v[4:5], v[30:31], v[78:79], -v[4:5]
	v_add_f64 v[54:55], v[50:51], v[62:63]
	ds_read_b128 v[50:53], v1 offset:1232
	s_waitcnt vmcnt(24) lgkmcnt(2)
	v_mul_f64 v[56:57], v[46:47], v[86:87]
	v_add_f64 v[2:3], v[2:3], v[4:5]
	v_mul_f64 v[4:5], v[36:37], v[12:13]
	s_waitcnt vmcnt(22)
	v_fmac_f64_e32 v[56:57], v[48:49], v[88:89]
	v_fma_f64 v[4:5], v[34:35], v[14:15], -v[4:5]
	v_add_f64 v[58:59], v[54:55], v[56:57]
	ds_read_b128 v[54:57], v1 offset:1248
	v_add_f64 v[2:3], v[2:3], v[4:5]
	v_mul_f64 v[4:5], v[40:41], v[74:75]
	v_fma_f64 v[4:5], v[38:39], v[80:81], -v[4:5]
	v_add_f64 v[2:3], v[2:3], v[4:5]
	v_mul_f64 v[4:5], v[44:45], v[70:71]
	s_waitcnt vmcnt(20) lgkmcnt(1)
	v_mul_f64 v[60:61], v[50:51], v[82:83]
	v_fma_f64 v[4:5], v[42:43], v[72:73], -v[4:5]
	v_fmac_f64_e32 v[60:61], v[52:53], v[84:85]
	v_add_f64 v[2:3], v[2:3], v[4:5]
	v_mul_f64 v[4:5], v[48:49], v[86:87]
	v_add_f64 v[62:63], v[58:59], v[60:61]
	ds_read_b128 v[58:61], v1 offset:1264
	s_waitcnt vmcnt(16) lgkmcnt(1)
	v_mul_f64 v[64:65], v[54:55], v[94:95]
	v_fma_f64 v[4:5], v[46:47], v[88:89], -v[4:5]
	s_waitcnt vmcnt(14)
	v_fmac_f64_e32 v[64:65], v[56:57], v[96:97]
	v_add_f64 v[2:3], v[2:3], v[4:5]
	v_mul_f64 v[4:5], v[52:53], v[82:83]
	v_add_f64 v[110:111], v[62:63], v[64:65]
	ds_read_b128 v[62:65], v1 offset:1280
	v_fma_f64 v[4:5], v[50:51], v[84:85], -v[4:5]
	v_add_f64 v[2:3], v[2:3], v[4:5]
	v_mul_f64 v[4:5], v[56:57], v[94:95]
	v_fma_f64 v[4:5], v[54:55], v[96:97], -v[4:5]
	v_add_f64 v[2:3], v[2:3], v[4:5]
	s_waitcnt vmcnt(12) lgkmcnt(1)
	v_mul_f64 v[4:5], v[60:61], v[90:91]
	v_mul_f64 v[112:113], v[58:59], v[90:91]
	v_fma_f64 v[4:5], v[58:59], v[92:93], -v[4:5]
	v_fmac_f64_e32 v[112:113], v[60:61], v[92:93]
	v_add_f64 v[2:3], v[2:3], v[4:5]
	s_waitcnt vmcnt(8) lgkmcnt(0)
	v_mul_f64 v[4:5], v[64:65], v[102:103]
	v_add_f64 v[110:111], v[110:111], v[112:113]
	v_mul_f64 v[112:113], v[62:63], v[102:103]
	s_waitcnt vmcnt(6)
	v_fma_f64 v[4:5], v[62:63], v[104:105], -v[4:5]
	v_fmac_f64_e32 v[112:113], v[64:65], v[104:105]
	v_add_f64 v[2:3], v[2:3], v[4:5]
	s_waitcnt vmcnt(5)
	v_mul_f64 v[4:5], v[68:69], v[98:99]
	v_add_f64 v[110:111], v[110:111], v[112:113]
	v_mul_f64 v[112:113], v[66:67], v[98:99]
	s_waitcnt vmcnt(4)
	v_fma_f64 v[4:5], v[66:67], v[100:101], -v[4:5]
	v_fmac_f64_e32 v[112:113], v[68:69], v[100:101]
	v_add_f64 v[2:3], v[2:3], v[4:5]
	v_add_f64 v[110:111], v[110:111], v[112:113]
	s_waitcnt vmcnt(2)
	v_add_f64 v[2:3], v[106:107], -v[2:3]
	s_waitcnt vmcnt(0)
	v_add_f64 v[4:5], v[108:109], -v[110:111]
	buffer_store_dword v3, off, s[0:3], 0 offset:452
	buffer_store_dword v2, off, s[0:3], 0 offset:448
	buffer_store_dword v5, off, s[0:3], 0 offset:460
	buffer_store_dword v4, off, s[0:3], 0 offset:456
	s_and_saveexec_b64 s[4:5], vcc
	s_cbranch_execz .LBB104_207
; %bb.206:
	v_accvgpr_read_b32 v0, a96
	buffer_load_dword v2, v0, s[0:3], 0 offen
	buffer_load_dword v3, v0, s[0:3], 0 offen offset:4
	buffer_load_dword v4, v0, s[0:3], 0 offen offset:8
	;; [unrolled: 1-line block ×3, first 2 shown]
	v_accvgpr_read_b32 v0, a123
	buffer_store_dword v1, off, s[0:3], 0 offset:432
	buffer_store_dword v1, off, s[0:3], 0 offset:436
	;; [unrolled: 1-line block ×4, first 2 shown]
	s_waitcnt vmcnt(4)
	ds_write_b128 v0, v[2:5]
.LBB104_207:
	s_or_b64 exec, exec, s[4:5]
	s_waitcnt lgkmcnt(0)
	; wave barrier
	s_waitcnt lgkmcnt(0)
	buffer_load_dword v2, off, s[0:3], 0 offset:448
	buffer_load_dword v3, off, s[0:3], 0 offset:452
	;; [unrolled: 1-line block ×60, first 2 shown]
	ds_read_b128 v[24:27], v1 offset:1088
	ds_read_b128 v[28:31], v1 offset:1104
	;; [unrolled: 1-line block ×8, first 2 shown]
	v_cmp_lt_u32_e32 vcc, 25, v254
	ds_read_b128 v[76:79], v1 offset:1296
	s_waitcnt vmcnt(56) lgkmcnt(8)
	v_mul_f64 v[56:57], v[24:25], v[6:7]
	v_fmac_f64_e32 v[56:57], v[26:27], v[2:3]
	v_add_f64 v[56:57], v[56:57], 0
	v_mul_f64 v[6:7], v[26:27], v[6:7]
	s_waitcnt vmcnt(52) lgkmcnt(7)
	v_mul_f64 v[58:59], v[28:29], v[8:9]
	v_fmac_f64_e32 v[58:59], v[30:31], v[4:5]
	s_waitcnt vmcnt(50) lgkmcnt(6)
	v_mul_f64 v[60:61], v[32:33], v[10:11]
	v_add_f64 v[56:57], v[56:57], v[58:59]
	s_waitcnt vmcnt(48) lgkmcnt(4)
	v_mul_f64 v[64:65], v[40:41], v[12:13]
	v_fma_f64 v[2:3], v[24:25], v[2:3], -v[6:7]
	s_waitcnt vmcnt(46)
	v_fmac_f64_e32 v[64:65], v[42:43], v[14:15]
	v_mul_f64 v[6:7], v[30:31], v[8:9]
	s_waitcnt vmcnt(44)
	v_mul_f64 v[62:63], v[36:37], v[16:17]
	v_add_f64 v[2:3], v[2:3], 0
	v_fma_f64 v[4:5], v[28:29], v[4:5], -v[6:7]
	v_add_f64 v[2:3], v[2:3], v[4:5]
	s_waitcnt vmcnt(40) lgkmcnt(3)
	v_mul_f64 v[66:67], v[44:45], v[22:23]
	v_mul_f64 v[4:5], v[34:35], v[10:11]
	s_waitcnt vmcnt(38)
	v_fmac_f64_e32 v[60:61], v[34:35], v[80:81]
	v_add_f64 v[56:57], v[56:57], v[60:61]
	s_waitcnt vmcnt(36)
	v_fmac_f64_e32 v[62:63], v[38:39], v[82:83]
	v_add_f64 v[56:57], v[56:57], v[62:63]
	;; [unrolled: 3-line block ×3, first 2 shown]
	s_waitcnt vmcnt(32) lgkmcnt(2)
	v_mul_f64 v[58:59], v[48:49], v[18:19]
	v_add_f64 v[56:57], v[56:57], v[66:67]
	v_fmac_f64_e32 v[58:59], v[50:51], v[20:21]
	v_add_f64 v[60:61], v[56:57], v[58:59]
	ds_read_b128 v[56:59], v1 offset:1216
	v_fma_f64 v[4:5], v[32:33], v[80:81], -v[4:5]
	v_add_f64 v[2:3], v[2:3], v[4:5]
	v_mul_f64 v[4:5], v[38:39], v[16:17]
	v_fma_f64 v[4:5], v[36:37], v[82:83], -v[4:5]
	s_waitcnt vmcnt(28) lgkmcnt(2)
	v_mul_f64 v[62:63], v[52:53], v[90:91]
	v_add_f64 v[2:3], v[2:3], v[4:5]
	v_mul_f64 v[4:5], v[42:43], v[12:13]
	s_waitcnt vmcnt(26)
	v_fmac_f64_e32 v[62:63], v[54:55], v[92:93]
	v_fma_f64 v[4:5], v[40:41], v[14:15], -v[4:5]
	v_add_f64 v[64:65], v[60:61], v[62:63]
	ds_read_b128 v[60:63], v1 offset:1232
	s_waitcnt vmcnt(24) lgkmcnt(1)
	v_mul_f64 v[66:67], v[56:57], v[86:87]
	v_add_f64 v[2:3], v[2:3], v[4:5]
	v_mul_f64 v[4:5], v[46:47], v[22:23]
	v_fmac_f64_e32 v[66:67], v[58:59], v[88:89]
	v_fma_f64 v[4:5], v[44:45], v[84:85], -v[4:5]
	v_add_f64 v[68:69], v[64:65], v[66:67]
	ds_read_b128 v[64:67], v1 offset:1248
	v_add_f64 v[2:3], v[2:3], v[4:5]
	v_mul_f64 v[4:5], v[50:51], v[18:19]
	v_fma_f64 v[4:5], v[48:49], v[20:21], -v[4:5]
	v_add_f64 v[2:3], v[2:3], v[4:5]
	v_mul_f64 v[4:5], v[54:55], v[90:91]
	s_waitcnt vmcnt(20) lgkmcnt(1)
	v_mul_f64 v[70:71], v[60:61], v[98:99]
	v_fma_f64 v[4:5], v[52:53], v[92:93], -v[4:5]
	s_waitcnt vmcnt(18)
	v_fmac_f64_e32 v[70:71], v[62:63], v[100:101]
	v_add_f64 v[2:3], v[2:3], v[4:5]
	v_mul_f64 v[4:5], v[58:59], v[86:87]
	v_add_f64 v[72:73], v[68:69], v[70:71]
	ds_read_b128 v[68:71], v1 offset:1264
	s_waitcnt vmcnt(16) lgkmcnt(1)
	v_mul_f64 v[74:75], v[64:65], v[94:95]
	v_fma_f64 v[4:5], v[56:57], v[88:89], -v[4:5]
	v_fmac_f64_e32 v[74:75], v[66:67], v[96:97]
	v_add_f64 v[2:3], v[2:3], v[4:5]
	v_mul_f64 v[4:5], v[62:63], v[98:99]
	v_add_f64 v[118:119], v[72:73], v[74:75]
	ds_read_b128 v[72:75], v1 offset:1280
	v_fma_f64 v[4:5], v[60:61], v[100:101], -v[4:5]
	v_add_f64 v[2:3], v[2:3], v[4:5]
	v_mul_f64 v[4:5], v[66:67], v[94:95]
	v_fma_f64 v[4:5], v[64:65], v[96:97], -v[4:5]
	v_add_f64 v[2:3], v[2:3], v[4:5]
	s_waitcnt vmcnt(12) lgkmcnt(1)
	v_mul_f64 v[4:5], v[70:71], v[106:107]
	v_mul_f64 v[120:121], v[68:69], v[106:107]
	s_waitcnt vmcnt(10)
	v_fma_f64 v[4:5], v[68:69], v[108:109], -v[4:5]
	v_fmac_f64_e32 v[120:121], v[70:71], v[108:109]
	v_add_f64 v[2:3], v[2:3], v[4:5]
	s_waitcnt vmcnt(8) lgkmcnt(0)
	v_mul_f64 v[4:5], v[74:75], v[102:103]
	v_add_f64 v[118:119], v[118:119], v[120:121]
	v_mul_f64 v[120:121], v[72:73], v[102:103]
	v_fma_f64 v[4:5], v[72:73], v[104:105], -v[4:5]
	v_fmac_f64_e32 v[120:121], v[74:75], v[104:105]
	v_add_f64 v[2:3], v[2:3], v[4:5]
	s_waitcnt vmcnt(6)
	v_mul_f64 v[4:5], v[78:79], v[110:111]
	v_add_f64 v[118:119], v[118:119], v[120:121]
	v_mul_f64 v[120:121], v[76:77], v[110:111]
	s_waitcnt vmcnt(4)
	v_fma_f64 v[4:5], v[76:77], v[112:113], -v[4:5]
	v_fmac_f64_e32 v[120:121], v[78:79], v[112:113]
	v_add_f64 v[2:3], v[2:3], v[4:5]
	v_add_f64 v[118:119], v[118:119], v[120:121]
	s_waitcnt vmcnt(2)
	v_add_f64 v[2:3], v[114:115], -v[2:3]
	s_waitcnt vmcnt(0)
	v_add_f64 v[4:5], v[116:117], -v[118:119]
	buffer_store_dword v3, off, s[0:3], 0 offset:436
	buffer_store_dword v2, off, s[0:3], 0 offset:432
	buffer_store_dword v5, off, s[0:3], 0 offset:444
	buffer_store_dword v4, off, s[0:3], 0 offset:440
	s_and_saveexec_b64 s[4:5], vcc
	s_cbranch_execz .LBB104_209
; %bb.208:
	v_accvgpr_read_b32 v0, a97
	buffer_load_dword v2, v0, s[0:3], 0 offen
	buffer_load_dword v3, v0, s[0:3], 0 offen offset:4
	buffer_load_dword v4, v0, s[0:3], 0 offen offset:8
	;; [unrolled: 1-line block ×3, first 2 shown]
	v_mov_b32_e32 v0, 0
	v_accvgpr_read_b32 v1, a123
	buffer_store_dword v0, off, s[0:3], 0 offset:416
	buffer_store_dword v0, off, s[0:3], 0 offset:420
	;; [unrolled: 1-line block ×4, first 2 shown]
	s_waitcnt vmcnt(4)
	ds_write_b128 v1, v[2:5]
.LBB104_209:
	s_or_b64 exec, exec, s[4:5]
	s_waitcnt lgkmcnt(0)
	; wave barrier
	s_waitcnt lgkmcnt(0)
	buffer_load_dword v2, off, s[0:3], 0 offset:432
	buffer_load_dword v3, off, s[0:3], 0 offset:436
	;; [unrolled: 1-line block ×64, first 2 shown]
	v_mov_b32_e32 v1, 0
	ds_read_b128 v[30:33], v1 offset:1072
	ds_read_b128 v[34:37], v1 offset:1088
	;; [unrolled: 1-line block ×7, first 2 shown]
	v_cmp_lt_u32_e32 vcc, 24, v254
	s_waitcnt vmcnt(60) lgkmcnt(6)
	v_mul_f64 v[54:55], v[30:31], v[6:7]
	v_fmac_f64_e32 v[54:55], v[32:33], v[2:3]
	v_add_f64 v[54:55], v[54:55], 0
	v_mul_f64 v[6:7], v[32:33], v[6:7]
	s_waitcnt vmcnt(56) lgkmcnt(5)
	v_mul_f64 v[56:57], v[34:35], v[8:9]
	v_fmac_f64_e32 v[56:57], v[36:37], v[4:5]
	s_waitcnt vmcnt(54) lgkmcnt(4)
	v_mul_f64 v[58:59], v[38:39], v[10:11]
	v_add_f64 v[54:55], v[54:55], v[56:57]
	v_fma_f64 v[2:3], v[30:31], v[2:3], -v[6:7]
	v_mul_f64 v[6:7], v[36:37], v[8:9]
	s_waitcnt vmcnt(50) lgkmcnt(3)
	v_mul_f64 v[60:61], v[42:43], v[16:17]
	s_waitcnt vmcnt(49) lgkmcnt(2)
	v_mul_f64 v[62:63], v[46:47], v[12:13]
	v_add_f64 v[2:3], v[2:3], 0
	s_waitcnt vmcnt(47)
	v_fmac_f64_e32 v[58:59], v[40:41], v[20:21]
	v_add_f64 v[54:55], v[54:55], v[58:59]
	s_waitcnt vmcnt(45)
	v_fmac_f64_e32 v[60:61], v[44:45], v[18:19]
	;; [unrolled: 3-line block ×3, first 2 shown]
	v_add_f64 v[58:59], v[54:55], v[62:63]
	ds_read_b128 v[54:57], v1 offset:1168
	s_waitcnt vmcnt(40) lgkmcnt(2)
	v_mul_f64 v[60:61], v[50:51], v[26:27]
	v_fma_f64 v[4:5], v[34:35], v[4:5], -v[6:7]
	s_waitcnt vmcnt(38)
	v_fmac_f64_e32 v[60:61], v[52:53], v[28:29]
	v_add_f64 v[62:63], v[58:59], v[60:61]
	ds_read_b128 v[58:61], v1 offset:1184
	s_waitcnt vmcnt(36) lgkmcnt(1)
	v_mul_f64 v[64:65], v[54:55], v[22:23]
	v_fmac_f64_e32 v[64:65], v[56:57], v[24:25]
	v_add_f64 v[2:3], v[2:3], v[4:5]
	v_mul_f64 v[4:5], v[40:41], v[10:11]
	v_add_f64 v[66:67], v[62:63], v[64:65]
	ds_read_b128 v[62:65], v1 offset:1200
	s_waitcnt vmcnt(32) lgkmcnt(1)
	v_mul_f64 v[68:69], v[58:59], v[94:95]
	v_fma_f64 v[4:5], v[38:39], v[20:21], -v[4:5]
	s_waitcnt vmcnt(30)
	v_fmac_f64_e32 v[68:69], v[60:61], v[96:97]
	v_add_f64 v[2:3], v[2:3], v[4:5]
	v_mul_f64 v[4:5], v[44:45], v[16:17]
	v_add_f64 v[70:71], v[66:67], v[68:69]
	ds_read_b128 v[66:69], v1 offset:1216
	v_fma_f64 v[4:5], v[42:43], v[18:19], -v[4:5]
	v_add_f64 v[2:3], v[2:3], v[4:5]
	v_mul_f64 v[4:5], v[48:49], v[12:13]
	v_fma_f64 v[4:5], v[46:47], v[14:15], -v[4:5]
	s_waitcnt vmcnt(28) lgkmcnt(1)
	v_mul_f64 v[72:73], v[62:63], v[90:91]
	v_add_f64 v[2:3], v[2:3], v[4:5]
	v_mul_f64 v[4:5], v[52:53], v[26:27]
	v_fmac_f64_e32 v[72:73], v[64:65], v[92:93]
	v_fma_f64 v[4:5], v[50:51], v[28:29], -v[4:5]
	v_add_f64 v[74:75], v[70:71], v[72:73]
	ds_read_b128 v[70:73], v1 offset:1232
	s_waitcnt vmcnt(24) lgkmcnt(1)
	v_mul_f64 v[76:77], v[66:67], v[102:103]
	v_add_f64 v[2:3], v[2:3], v[4:5]
	v_mul_f64 v[4:5], v[56:57], v[22:23]
	s_waitcnt vmcnt(22)
	v_fmac_f64_e32 v[76:77], v[68:69], v[104:105]
	v_fma_f64 v[4:5], v[54:55], v[24:25], -v[4:5]
	v_add_f64 v[78:79], v[74:75], v[76:77]
	ds_read_b128 v[74:77], v1 offset:1248
	v_add_f64 v[2:3], v[2:3], v[4:5]
	v_mul_f64 v[4:5], v[60:61], v[94:95]
	v_fma_f64 v[4:5], v[58:59], v[96:97], -v[4:5]
	v_add_f64 v[2:3], v[2:3], v[4:5]
	v_mul_f64 v[4:5], v[64:65], v[90:91]
	s_waitcnt vmcnt(20) lgkmcnt(1)
	v_mul_f64 v[80:81], v[70:71], v[98:99]
	v_fma_f64 v[4:5], v[62:63], v[92:93], -v[4:5]
	v_fmac_f64_e32 v[80:81], v[72:73], v[100:101]
	v_add_f64 v[2:3], v[2:3], v[4:5]
	v_mul_f64 v[4:5], v[68:69], v[102:103]
	v_add_f64 v[82:83], v[78:79], v[80:81]
	ds_read_b128 v[78:81], v1 offset:1264
	s_waitcnt vmcnt(16) lgkmcnt(1)
	v_mul_f64 v[84:85], v[74:75], v[110:111]
	v_fma_f64 v[4:5], v[66:67], v[104:105], -v[4:5]
	s_waitcnt vmcnt(14)
	v_fmac_f64_e32 v[84:85], v[76:77], v[112:113]
	v_add_f64 v[2:3], v[2:3], v[4:5]
	v_mul_f64 v[4:5], v[72:73], v[98:99]
	v_add_f64 v[126:127], v[82:83], v[84:85]
	ds_read_b128 v[82:85], v1 offset:1280
	v_fma_f64 v[4:5], v[70:71], v[100:101], -v[4:5]
	v_add_f64 v[2:3], v[2:3], v[4:5]
	v_mul_f64 v[4:5], v[76:77], v[110:111]
	v_fma_f64 v[4:5], v[74:75], v[112:113], -v[4:5]
	v_add_f64 v[2:3], v[2:3], v[4:5]
	s_waitcnt vmcnt(12) lgkmcnt(1)
	v_mul_f64 v[4:5], v[80:81], v[106:107]
	v_mul_f64 v[128:129], v[78:79], v[106:107]
	v_fma_f64 v[4:5], v[78:79], v[108:109], -v[4:5]
	v_fmac_f64_e32 v[128:129], v[80:81], v[108:109]
	v_add_f64 v[2:3], v[2:3], v[4:5]
	s_waitcnt vmcnt(8) lgkmcnt(0)
	v_mul_f64 v[4:5], v[84:85], v[118:119]
	v_add_f64 v[126:127], v[126:127], v[128:129]
	v_mul_f64 v[128:129], v[82:83], v[118:119]
	s_waitcnt vmcnt(6)
	v_fma_f64 v[4:5], v[82:83], v[120:121], -v[4:5]
	v_fmac_f64_e32 v[128:129], v[84:85], v[120:121]
	v_add_f64 v[2:3], v[2:3], v[4:5]
	s_waitcnt vmcnt(5)
	v_mul_f64 v[4:5], v[88:89], v[114:115]
	v_add_f64 v[126:127], v[126:127], v[128:129]
	v_mul_f64 v[128:129], v[86:87], v[114:115]
	s_waitcnt vmcnt(4)
	v_fma_f64 v[4:5], v[86:87], v[116:117], -v[4:5]
	v_fmac_f64_e32 v[128:129], v[88:89], v[116:117]
	v_add_f64 v[2:3], v[2:3], v[4:5]
	v_add_f64 v[126:127], v[126:127], v[128:129]
	s_waitcnt vmcnt(2)
	v_add_f64 v[2:3], v[122:123], -v[2:3]
	s_waitcnt vmcnt(0)
	v_add_f64 v[4:5], v[124:125], -v[126:127]
	buffer_store_dword v3, off, s[0:3], 0 offset:420
	buffer_store_dword v2, off, s[0:3], 0 offset:416
	;; [unrolled: 1-line block ×4, first 2 shown]
	s_and_saveexec_b64 s[4:5], vcc
	s_cbranch_execz .LBB104_211
; %bb.210:
	v_accvgpr_read_b32 v0, a98
	buffer_load_dword v2, v0, s[0:3], 0 offen
	buffer_load_dword v3, v0, s[0:3], 0 offen offset:4
	buffer_load_dword v4, v0, s[0:3], 0 offen offset:8
	;; [unrolled: 1-line block ×3, first 2 shown]
	v_accvgpr_read_b32 v0, a123
	buffer_store_dword v1, off, s[0:3], 0 offset:400
	buffer_store_dword v1, off, s[0:3], 0 offset:404
	;; [unrolled: 1-line block ×4, first 2 shown]
	s_waitcnt vmcnt(4)
	ds_write_b128 v0, v[2:5]
.LBB104_211:
	s_or_b64 exec, exec, s[4:5]
	s_waitcnt lgkmcnt(0)
	; wave barrier
	s_waitcnt lgkmcnt(0)
	buffer_load_dword v2, off, s[0:3], 0 offset:416
	buffer_load_dword v3, off, s[0:3], 0 offset:420
	;; [unrolled: 1-line block ×64, first 2 shown]
	ds_read_b128 v[46:49], v1 offset:1056
	ds_read_b128 v[50:53], v1 offset:1072
	;; [unrolled: 1-line block ×4, first 2 shown]
	buffer_load_dword v130, off, s[0:3], 0 offset:400
	buffer_load_dword v131, off, s[0:3], 0 offset:404
	;; [unrolled: 1-line block ×4, first 2 shown]
	v_cmp_lt_u32_e32 vcc, 23, v254
	ds_read_b128 v[106:109], v1 offset:1296
	s_waitcnt vmcnt(62) lgkmcnt(4)
	v_mul_f64 v[62:63], v[46:47], v[4:5]
	v_fmac_f64_e32 v[62:63], v[48:49], v[2:3]
	v_add_f64 v[62:63], v[62:63], 0
	s_waitcnt lgkmcnt(2)
	v_mul_f64 v[66:67], v[54:55], v[6:7]
	v_mul_f64 v[4:5], v[48:49], v[4:5]
	v_fma_f64 v[2:3], v[46:47], v[2:3], -v[4:5]
	s_waitcnt vmcnt(58) lgkmcnt(1)
	v_mul_f64 v[68:69], v[58:59], v[12:13]
	v_add_f64 v[2:3], v[2:3], 0
	s_waitcnt vmcnt(56)
	v_mul_f64 v[64:65], v[50:51], v[18:19]
	v_mul_f64 v[4:5], v[52:53], v[18:19]
	s_waitcnt vmcnt(53)
	v_fmac_f64_e32 v[66:67], v[56:57], v[16:17]
	s_waitcnt vmcnt(52)
	v_fmac_f64_e32 v[64:65], v[52:53], v[20:21]
	v_add_f64 v[70:71], v[62:63], v[64:65]
	ds_read_b128 v[62:65], v1 offset:1120
	v_add_f64 v[66:67], v[70:71], v[66:67]
	s_waitcnt vmcnt(50)
	v_fmac_f64_e32 v[68:69], v[60:61], v[14:15]
	v_add_f64 v[70:71], v[66:67], v[68:69]
	ds_read_b128 v[66:69], v1 offset:1136
	s_waitcnt vmcnt(49) lgkmcnt(1)
	v_mul_f64 v[72:73], v[62:63], v[8:9]
	s_waitcnt vmcnt(48)
	v_fmac_f64_e32 v[72:73], v[64:65], v[10:11]
	v_add_f64 v[74:75], v[70:71], v[72:73]
	ds_read_b128 v[70:73], v1 offset:1152
	s_waitcnt vmcnt(44) lgkmcnt(1)
	v_mul_f64 v[76:77], v[66:67], v[26:27]
	;; [unrolled: 6-line block ×3, first 2 shown]
	s_waitcnt vmcnt(40)
	v_fmac_f64_e32 v[80:81], v[72:73], v[24:25]
	v_add_f64 v[82:83], v[78:79], v[80:81]
	ds_read_b128 v[78:81], v1 offset:1184
	v_fma_f64 v[4:5], v[50:51], v[20:21], -v[4:5]
	v_add_f64 v[2:3], v[2:3], v[4:5]
	v_mul_f64 v[4:5], v[56:57], v[6:7]
	s_waitcnt vmcnt(36) lgkmcnt(1)
	v_mul_f64 v[84:85], v[74:75], v[34:35]
	v_fma_f64 v[4:5], v[54:55], v[16:17], -v[4:5]
	s_waitcnt vmcnt(34)
	v_fmac_f64_e32 v[84:85], v[76:77], v[36:37]
	v_add_f64 v[2:3], v[2:3], v[4:5]
	v_mul_f64 v[4:5], v[60:61], v[12:13]
	v_add_f64 v[86:87], v[82:83], v[84:85]
	ds_read_b128 v[82:85], v1 offset:1200
	s_waitcnt vmcnt(33) lgkmcnt(1)
	v_mul_f64 v[88:89], v[78:79], v[30:31]
	v_fma_f64 v[4:5], v[58:59], v[14:15], -v[4:5]
	s_waitcnt vmcnt(32)
	v_fmac_f64_e32 v[88:89], v[80:81], v[32:33]
	v_add_f64 v[2:3], v[2:3], v[4:5]
	v_mul_f64 v[4:5], v[64:65], v[8:9]
	v_add_f64 v[90:91], v[86:87], v[88:89]
	ds_read_b128 v[86:89], v1 offset:1216
	v_fma_f64 v[4:5], v[62:63], v[10:11], -v[4:5]
	v_add_f64 v[2:3], v[2:3], v[4:5]
	v_mul_f64 v[4:5], v[68:69], v[26:27]
	v_fma_f64 v[4:5], v[66:67], v[28:29], -v[4:5]
	s_waitcnt vmcnt(28) lgkmcnt(1)
	v_mul_f64 v[92:93], v[82:83], v[42:43]
	v_add_f64 v[2:3], v[2:3], v[4:5]
	v_mul_f64 v[4:5], v[72:73], v[22:23]
	s_waitcnt vmcnt(26)
	v_fmac_f64_e32 v[92:93], v[84:85], v[44:45]
	v_fma_f64 v[4:5], v[70:71], v[24:25], -v[4:5]
	v_add_f64 v[94:95], v[90:91], v[92:93]
	ds_read_b128 v[90:93], v1 offset:1232
	s_waitcnt vmcnt(25) lgkmcnt(1)
	v_mul_f64 v[96:97], v[86:87], v[38:39]
	v_add_f64 v[2:3], v[2:3], v[4:5]
	v_mul_f64 v[4:5], v[76:77], v[34:35]
	s_waitcnt vmcnt(24)
	v_fmac_f64_e32 v[96:97], v[88:89], v[40:41]
	v_fma_f64 v[4:5], v[74:75], v[36:37], -v[4:5]
	v_add_f64 v[98:99], v[94:95], v[96:97]
	ds_read_b128 v[94:97], v1 offset:1248
	v_add_f64 v[2:3], v[2:3], v[4:5]
	v_mul_f64 v[4:5], v[80:81], v[30:31]
	v_fma_f64 v[4:5], v[78:79], v[32:33], -v[4:5]
	v_add_f64 v[2:3], v[2:3], v[4:5]
	v_mul_f64 v[4:5], v[84:85], v[42:43]
	s_waitcnt vmcnt(20) lgkmcnt(1)
	v_mul_f64 v[100:101], v[90:91], v[114:115]
	v_fma_f64 v[4:5], v[82:83], v[44:45], -v[4:5]
	s_waitcnt vmcnt(18)
	v_fmac_f64_e32 v[100:101], v[92:93], v[116:117]
	v_add_f64 v[2:3], v[2:3], v[4:5]
	v_mul_f64 v[4:5], v[88:89], v[38:39]
	v_add_f64 v[102:103], v[98:99], v[100:101]
	ds_read_b128 v[98:101], v1 offset:1264
	s_waitcnt vmcnt(17) lgkmcnt(1)
	v_mul_f64 v[104:105], v[94:95], v[110:111]
	v_fma_f64 v[4:5], v[86:87], v[40:41], -v[4:5]
	s_waitcnt vmcnt(16)
	v_fmac_f64_e32 v[104:105], v[96:97], v[112:113]
	v_add_f64 v[2:3], v[2:3], v[4:5]
	v_mul_f64 v[4:5], v[92:93], v[114:115]
	v_add_f64 v[134:135], v[102:103], v[104:105]
	ds_read_b128 v[102:105], v1 offset:1280
	v_fma_f64 v[4:5], v[90:91], v[116:117], -v[4:5]
	v_add_f64 v[2:3], v[2:3], v[4:5]
	v_mul_f64 v[4:5], v[96:97], v[110:111]
	v_fma_f64 v[4:5], v[94:95], v[112:113], -v[4:5]
	v_add_f64 v[2:3], v[2:3], v[4:5]
	s_waitcnt vmcnt(12) lgkmcnt(1)
	v_mul_f64 v[4:5], v[100:101], v[122:123]
	v_mul_f64 v[136:137], v[98:99], v[122:123]
	s_waitcnt vmcnt(10)
	v_fma_f64 v[4:5], v[98:99], v[124:125], -v[4:5]
	v_fmac_f64_e32 v[136:137], v[100:101], v[124:125]
	v_add_f64 v[2:3], v[2:3], v[4:5]
	s_waitcnt vmcnt(9) lgkmcnt(0)
	v_mul_f64 v[4:5], v[104:105], v[118:119]
	v_add_f64 v[134:135], v[134:135], v[136:137]
	v_mul_f64 v[136:137], v[102:103], v[118:119]
	s_waitcnt vmcnt(8)
	v_fma_f64 v[4:5], v[102:103], v[120:121], -v[4:5]
	v_fmac_f64_e32 v[136:137], v[104:105], v[120:121]
	v_add_f64 v[2:3], v[2:3], v[4:5]
	s_waitcnt vmcnt(6)
	v_mul_f64 v[4:5], v[108:109], v[126:127]
	v_add_f64 v[134:135], v[134:135], v[136:137]
	v_mul_f64 v[136:137], v[106:107], v[126:127]
	s_waitcnt vmcnt(4)
	v_fma_f64 v[4:5], v[106:107], v[128:129], -v[4:5]
	v_fmac_f64_e32 v[136:137], v[108:109], v[128:129]
	v_add_f64 v[2:3], v[2:3], v[4:5]
	v_add_f64 v[134:135], v[134:135], v[136:137]
	s_waitcnt vmcnt(2)
	v_add_f64 v[2:3], v[130:131], -v[2:3]
	s_waitcnt vmcnt(0)
	v_add_f64 v[4:5], v[132:133], -v[134:135]
	buffer_store_dword v3, off, s[0:3], 0 offset:404
	buffer_store_dword v2, off, s[0:3], 0 offset:400
	;; [unrolled: 1-line block ×4, first 2 shown]
	s_and_saveexec_b64 s[4:5], vcc
	s_cbranch_execz .LBB104_213
; %bb.212:
	v_accvgpr_read_b32 v0, a99
	buffer_load_dword v2, v0, s[0:3], 0 offen
	buffer_load_dword v3, v0, s[0:3], 0 offen offset:4
	buffer_load_dword v4, v0, s[0:3], 0 offen offset:8
	;; [unrolled: 1-line block ×3, first 2 shown]
	v_mov_b32_e32 v0, 0
	v_accvgpr_read_b32 v1, a123
	buffer_store_dword v0, off, s[0:3], 0 offset:384
	buffer_store_dword v0, off, s[0:3], 0 offset:388
	buffer_store_dword v0, off, s[0:3], 0 offset:392
	buffer_store_dword v0, off, s[0:3], 0 offset:396
	s_waitcnt vmcnt(4)
	ds_write_b128 v1, v[2:5]
.LBB104_213:
	s_or_b64 exec, exec, s[4:5]
	s_waitcnt lgkmcnt(0)
	; wave barrier
	s_waitcnt lgkmcnt(0)
	buffer_load_dword v2, off, s[0:3], 0 offset:400
	buffer_load_dword v3, off, s[0:3], 0 offset:404
	;; [unrolled: 1-line block ×68, first 2 shown]
	v_mov_b32_e32 v1, 0
	buffer_load_dword v138, off, s[0:3], 0 offset:384
	buffer_load_dword v139, off, s[0:3], 0 offset:388
	;; [unrolled: 1-line block ×3, first 2 shown]
	ds_read_b128 v[46:49], v1 offset:1040
	ds_read_b128 v[50:53], v1 offset:1056
	buffer_load_dword v141, off, s[0:3], 0 offset:396
	ds_read_b128 v[54:57], v1 offset:1072
	ds_read_b128 v[58:61], v1 offset:1088
	;; [unrolled: 1-line block ×3, first 2 shown]
	v_cmp_lt_u32_e32 vcc, 22, v254
	s_waitcnt vmcnt(62) lgkmcnt(4)
	v_mul_f64 v[62:63], v[46:47], v[6:7]
	v_fmac_f64_e32 v[62:63], v[48:49], v[2:3]
	v_add_f64 v[62:63], v[62:63], 0
	v_mul_f64 v[6:7], v[48:49], v[6:7]
	s_waitcnt lgkmcnt(3)
	v_mul_f64 v[64:65], v[50:51], v[10:11]
	v_fmac_f64_e32 v[64:65], v[52:53], v[4:5]
	v_add_f64 v[62:63], v[62:63], v[64:65]
	v_fma_f64 v[2:3], v[46:47], v[2:3], -v[6:7]
	s_waitcnt vmcnt(60) lgkmcnt(2)
	v_mul_f64 v[64:65], v[54:55], v[12:13]
	v_fmac_f64_e32 v[64:65], v[56:57], v[8:9]
	v_add_f64 v[66:67], v[62:63], v[64:65]
	ds_read_b128 v[62:65], v1 offset:1104
	s_waitcnt vmcnt(56) lgkmcnt(2)
	v_mul_f64 v[68:69], v[58:59], v[18:19]
	v_mul_f64 v[6:7], v[52:53], v[10:11]
	s_waitcnt vmcnt(54)
	v_fmac_f64_e32 v[68:69], v[60:61], v[20:21]
	v_add_f64 v[70:71], v[66:67], v[68:69]
	ds_read_b128 v[66:69], v1 offset:1120
	s_waitcnt vmcnt(53) lgkmcnt(1)
	v_mul_f64 v[72:73], v[62:63], v[14:15]
	s_waitcnt vmcnt(52)
	v_fmac_f64_e32 v[72:73], v[64:65], v[16:17]
	v_add_f64 v[74:75], v[70:71], v[72:73]
	ds_read_b128 v[70:73], v1 offset:1136
	s_waitcnt vmcnt(48) lgkmcnt(1)
	;; [unrolled: 6-line block ×4, first 2 shown]
	v_mul_f64 v[84:85], v[74:75], v[34:35]
	s_waitcnt vmcnt(38)
	v_fmac_f64_e32 v[84:85], v[76:77], v[36:37]
	v_add_f64 v[2:3], v[2:3], 0
	v_fma_f64 v[4:5], v[50:51], v[4:5], -v[6:7]
	v_add_f64 v[86:87], v[82:83], v[84:85]
	ds_read_b128 v[82:85], v1 offset:1184
	v_add_f64 v[2:3], v[2:3], v[4:5]
	v_mul_f64 v[4:5], v[56:57], v[12:13]
	v_fma_f64 v[4:5], v[54:55], v[8:9], -v[4:5]
	v_add_f64 v[2:3], v[2:3], v[4:5]
	v_mul_f64 v[4:5], v[60:61], v[18:19]
	s_waitcnt vmcnt(37) lgkmcnt(1)
	v_mul_f64 v[88:89], v[78:79], v[30:31]
	v_fma_f64 v[4:5], v[58:59], v[20:21], -v[4:5]
	s_waitcnt vmcnt(36)
	v_fmac_f64_e32 v[88:89], v[80:81], v[32:33]
	v_add_f64 v[2:3], v[2:3], v[4:5]
	v_mul_f64 v[4:5], v[64:65], v[14:15]
	v_add_f64 v[90:91], v[86:87], v[88:89]
	ds_read_b128 v[86:89], v1 offset:1200
	s_waitcnt vmcnt(32) lgkmcnt(1)
	v_mul_f64 v[92:93], v[82:83], v[42:43]
	v_fma_f64 v[4:5], v[62:63], v[16:17], -v[4:5]
	s_waitcnt vmcnt(30)
	v_fmac_f64_e32 v[92:93], v[84:85], v[44:45]
	v_add_f64 v[2:3], v[2:3], v[4:5]
	v_mul_f64 v[4:5], v[68:69], v[26:27]
	v_add_f64 v[94:95], v[90:91], v[92:93]
	ds_read_b128 v[90:93], v1 offset:1216
	v_fma_f64 v[4:5], v[66:67], v[28:29], -v[4:5]
	v_add_f64 v[2:3], v[2:3], v[4:5]
	v_mul_f64 v[4:5], v[72:73], v[22:23]
	v_fma_f64 v[4:5], v[70:71], v[24:25], -v[4:5]
	s_waitcnt vmcnt(29) lgkmcnt(1)
	v_mul_f64 v[96:97], v[86:87], v[38:39]
	v_add_f64 v[2:3], v[2:3], v[4:5]
	v_mul_f64 v[4:5], v[76:77], v[34:35]
	s_waitcnt vmcnt(28)
	v_fmac_f64_e32 v[96:97], v[88:89], v[40:41]
	v_fma_f64 v[4:5], v[74:75], v[36:37], -v[4:5]
	v_add_f64 v[98:99], v[94:95], v[96:97]
	ds_read_b128 v[94:97], v1 offset:1232
	s_waitcnt vmcnt(24) lgkmcnt(1)
	v_mul_f64 v[100:101], v[90:91], v[118:119]
	v_add_f64 v[2:3], v[2:3], v[4:5]
	v_mul_f64 v[4:5], v[80:81], v[30:31]
	s_waitcnt vmcnt(22)
	v_fmac_f64_e32 v[100:101], v[92:93], v[120:121]
	v_fma_f64 v[4:5], v[78:79], v[32:33], -v[4:5]
	v_add_f64 v[102:103], v[98:99], v[100:101]
	ds_read_b128 v[98:101], v1 offset:1248
	v_add_f64 v[2:3], v[2:3], v[4:5]
	v_mul_f64 v[4:5], v[84:85], v[42:43]
	v_fma_f64 v[4:5], v[82:83], v[44:45], -v[4:5]
	v_add_f64 v[2:3], v[2:3], v[4:5]
	v_mul_f64 v[4:5], v[88:89], v[38:39]
	s_waitcnt vmcnt(21) lgkmcnt(1)
	v_mul_f64 v[104:105], v[94:95], v[114:115]
	v_fma_f64 v[4:5], v[86:87], v[40:41], -v[4:5]
	s_waitcnt vmcnt(20)
	v_fmac_f64_e32 v[104:105], v[96:97], v[116:117]
	v_add_f64 v[2:3], v[2:3], v[4:5]
	v_mul_f64 v[4:5], v[92:93], v[118:119]
	v_add_f64 v[106:107], v[102:103], v[104:105]
	ds_read_b128 v[102:105], v1 offset:1264
	s_waitcnt vmcnt(16) lgkmcnt(1)
	v_mul_f64 v[108:109], v[98:99], v[126:127]
	v_fma_f64 v[4:5], v[90:91], v[120:121], -v[4:5]
	s_waitcnt vmcnt(14)
	v_fmac_f64_e32 v[108:109], v[100:101], v[128:129]
	v_add_f64 v[2:3], v[2:3], v[4:5]
	v_mul_f64 v[4:5], v[96:97], v[114:115]
	v_add_f64 v[142:143], v[106:107], v[108:109]
	ds_read_b128 v[106:109], v1 offset:1280
	v_fma_f64 v[4:5], v[94:95], v[116:117], -v[4:5]
	v_add_f64 v[2:3], v[2:3], v[4:5]
	v_mul_f64 v[4:5], v[100:101], v[126:127]
	v_fma_f64 v[4:5], v[98:99], v[128:129], -v[4:5]
	v_add_f64 v[2:3], v[2:3], v[4:5]
	s_waitcnt vmcnt(13) lgkmcnt(1)
	v_mul_f64 v[4:5], v[104:105], v[122:123]
	v_mul_f64 v[144:145], v[102:103], v[122:123]
	s_waitcnt vmcnt(12)
	v_fma_f64 v[4:5], v[102:103], v[124:125], -v[4:5]
	v_fmac_f64_e32 v[144:145], v[104:105], v[124:125]
	v_add_f64 v[2:3], v[2:3], v[4:5]
	s_waitcnt vmcnt(8) lgkmcnt(0)
	v_mul_f64 v[4:5], v[108:109], v[134:135]
	v_add_f64 v[142:143], v[142:143], v[144:145]
	v_mul_f64 v[144:145], v[106:107], v[134:135]
	s_waitcnt vmcnt(6)
	v_fma_f64 v[4:5], v[106:107], v[136:137], -v[4:5]
	v_fmac_f64_e32 v[144:145], v[108:109], v[136:137]
	v_add_f64 v[2:3], v[2:3], v[4:5]
	s_waitcnt vmcnt(5)
	v_mul_f64 v[4:5], v[112:113], v[130:131]
	v_add_f64 v[142:143], v[142:143], v[144:145]
	v_mul_f64 v[144:145], v[110:111], v[130:131]
	s_waitcnt vmcnt(4)
	v_fma_f64 v[4:5], v[110:111], v[132:133], -v[4:5]
	v_fmac_f64_e32 v[144:145], v[112:113], v[132:133]
	v_add_f64 v[2:3], v[2:3], v[4:5]
	v_add_f64 v[142:143], v[142:143], v[144:145]
	s_waitcnt vmcnt(2)
	v_add_f64 v[2:3], v[138:139], -v[2:3]
	s_waitcnt vmcnt(0)
	v_add_f64 v[4:5], v[140:141], -v[142:143]
	buffer_store_dword v3, off, s[0:3], 0 offset:388
	buffer_store_dword v2, off, s[0:3], 0 offset:384
	;; [unrolled: 1-line block ×4, first 2 shown]
	s_and_saveexec_b64 s[4:5], vcc
	s_cbranch_execz .LBB104_215
; %bb.214:
	v_accvgpr_read_b32 v0, a100
	buffer_load_dword v2, v0, s[0:3], 0 offen
	buffer_load_dword v3, v0, s[0:3], 0 offen offset:4
	buffer_load_dword v4, v0, s[0:3], 0 offen offset:8
	;; [unrolled: 1-line block ×3, first 2 shown]
	v_accvgpr_read_b32 v0, a123
	buffer_store_dword v1, off, s[0:3], 0 offset:368
	buffer_store_dword v1, off, s[0:3], 0 offset:372
	;; [unrolled: 1-line block ×4, first 2 shown]
	s_waitcnt vmcnt(4)
	ds_write_b128 v0, v[2:5]
.LBB104_215:
	s_or_b64 exec, exec, s[4:5]
	s_waitcnt lgkmcnt(0)
	; wave barrier
	s_waitcnt lgkmcnt(0)
	buffer_load_dword v2, off, s[0:3], 0 offset:384
	buffer_load_dword v3, off, s[0:3], 0 offset:388
	;; [unrolled: 1-line block ×72, first 2 shown]
	ds_read_b128 v[52:55], v1 offset:1024
	buffer_load_dword v146, off, s[0:3], 0 offset:368
	buffer_load_dword v147, off, s[0:3], 0 offset:372
	;; [unrolled: 1-line block ×4, first 2 shown]
	ds_read_b128 v[56:59], v1 offset:1040
	ds_read_b128 v[60:63], v1 offset:1056
	;; [unrolled: 1-line block ×3, first 2 shown]
	v_cmp_lt_u32_e32 vcc, 21, v254
	ds_read_b128 v[124:127], v1 offset:1296
	s_waitcnt vmcnt(62) lgkmcnt(4)
	v_mul_f64 v[68:69], v[52:53], v[8:9]
	v_fmac_f64_e32 v[68:69], v[54:55], v[2:3]
	v_add_f64 v[68:69], v[68:69], 0
	v_mul_f64 v[8:9], v[54:55], v[8:9]
	s_waitcnt lgkmcnt(3)
	v_mul_f64 v[70:71], v[56:57], v[10:11]
	v_fmac_f64_e32 v[70:71], v[58:59], v[4:5]
	v_add_f64 v[68:69], v[68:69], v[70:71]
	v_fma_f64 v[2:3], v[52:53], v[2:3], -v[8:9]
	s_waitcnt lgkmcnt(2)
	v_mul_f64 v[70:71], v[60:61], v[12:13]
	v_fmac_f64_e32 v[70:71], v[62:63], v[6:7]
	v_add_f64 v[72:73], v[68:69], v[70:71]
	ds_read_b128 v[68:71], v1 offset:1088
	s_waitcnt vmcnt(60) lgkmcnt(2)
	v_mul_f64 v[74:75], v[64:65], v[18:19]
	v_mul_f64 v[8:9], v[58:59], v[10:11]
	s_waitcnt vmcnt(58)
	v_fmac_f64_e32 v[74:75], v[66:67], v[20:21]
	v_add_f64 v[76:77], v[72:73], v[74:75]
	ds_read_b128 v[72:75], v1 offset:1104
	s_waitcnt vmcnt(57) lgkmcnt(1)
	v_mul_f64 v[78:79], v[68:69], v[14:15]
	s_waitcnt vmcnt(56)
	v_fmac_f64_e32 v[78:79], v[70:71], v[16:17]
	v_add_f64 v[80:81], v[76:77], v[78:79]
	ds_read_b128 v[76:79], v1 offset:1120
	s_waitcnt vmcnt(52) lgkmcnt(1)
	;; [unrolled: 6-line block ×4, first 2 shown]
	v_mul_f64 v[90:91], v[80:81], v[34:35]
	s_waitcnt vmcnt(42)
	v_fmac_f64_e32 v[90:91], v[82:83], v[36:37]
	v_add_f64 v[2:3], v[2:3], 0
	v_fma_f64 v[4:5], v[56:57], v[4:5], -v[8:9]
	v_add_f64 v[92:93], v[88:89], v[90:91]
	ds_read_b128 v[88:91], v1 offset:1168
	s_waitcnt vmcnt(41) lgkmcnt(1)
	v_mul_f64 v[94:95], v[84:85], v[30:31]
	v_add_f64 v[2:3], v[2:3], v[4:5]
	v_mul_f64 v[4:5], v[62:63], v[12:13]
	s_waitcnt vmcnt(40)
	v_fmac_f64_e32 v[94:95], v[86:87], v[32:33]
	v_fma_f64 v[4:5], v[60:61], v[6:7], -v[4:5]
	v_add_f64 v[96:97], v[92:93], v[94:95]
	ds_read_b128 v[92:95], v1 offset:1184
	v_add_f64 v[2:3], v[2:3], v[4:5]
	v_mul_f64 v[4:5], v[66:67], v[18:19]
	v_fma_f64 v[4:5], v[64:65], v[20:21], -v[4:5]
	v_add_f64 v[2:3], v[2:3], v[4:5]
	v_mul_f64 v[4:5], v[70:71], v[14:15]
	s_waitcnt vmcnt(36) lgkmcnt(1)
	v_mul_f64 v[98:99], v[88:89], v[42:43]
	v_fma_f64 v[4:5], v[68:69], v[16:17], -v[4:5]
	s_waitcnt vmcnt(34)
	v_fmac_f64_e32 v[98:99], v[90:91], v[44:45]
	v_add_f64 v[2:3], v[2:3], v[4:5]
	v_mul_f64 v[4:5], v[74:75], v[26:27]
	v_add_f64 v[100:101], v[96:97], v[98:99]
	ds_read_b128 v[96:99], v1 offset:1200
	s_waitcnt vmcnt(33) lgkmcnt(1)
	v_mul_f64 v[102:103], v[92:93], v[38:39]
	v_fma_f64 v[4:5], v[72:73], v[28:29], -v[4:5]
	s_waitcnt vmcnt(32)
	v_fmac_f64_e32 v[102:103], v[94:95], v[40:41]
	v_add_f64 v[2:3], v[2:3], v[4:5]
	v_mul_f64 v[4:5], v[78:79], v[22:23]
	v_add_f64 v[104:105], v[100:101], v[102:103]
	ds_read_b128 v[100:103], v1 offset:1216
	v_fma_f64 v[4:5], v[76:77], v[24:25], -v[4:5]
	v_add_f64 v[2:3], v[2:3], v[4:5]
	v_mul_f64 v[4:5], v[82:83], v[34:35]
	v_fma_f64 v[4:5], v[80:81], v[36:37], -v[4:5]
	s_waitcnt vmcnt(28) lgkmcnt(1)
	v_mul_f64 v[106:107], v[96:97], v[50:51]
	v_add_f64 v[2:3], v[2:3], v[4:5]
	v_mul_f64 v[4:5], v[86:87], v[30:31]
	s_waitcnt vmcnt(26)
	v_fmac_f64_e32 v[106:107], v[98:99], v[116:117]
	v_fma_f64 v[4:5], v[84:85], v[32:33], -v[4:5]
	v_add_f64 v[108:109], v[104:105], v[106:107]
	ds_read_b128 v[104:107], v1 offset:1232
	s_waitcnt vmcnt(25) lgkmcnt(1)
	v_mul_f64 v[110:111], v[100:101], v[46:47]
	v_add_f64 v[2:3], v[2:3], v[4:5]
	v_mul_f64 v[4:5], v[90:91], v[42:43]
	s_waitcnt vmcnt(24)
	v_fmac_f64_e32 v[110:111], v[102:103], v[48:49]
	v_fma_f64 v[4:5], v[88:89], v[44:45], -v[4:5]
	v_add_f64 v[112:113], v[108:109], v[110:111]
	ds_read_b128 v[108:111], v1 offset:1248
	v_add_f64 v[2:3], v[2:3], v[4:5]
	v_mul_f64 v[4:5], v[94:95], v[38:39]
	v_fma_f64 v[4:5], v[92:93], v[40:41], -v[4:5]
	v_add_f64 v[2:3], v[2:3], v[4:5]
	v_mul_f64 v[4:5], v[98:99], v[50:51]
	s_waitcnt vmcnt(20) lgkmcnt(1)
	v_mul_f64 v[114:115], v[104:105], v[130:131]
	v_fma_f64 v[4:5], v[96:97], v[116:117], -v[4:5]
	s_waitcnt vmcnt(18)
	v_fmac_f64_e32 v[114:115], v[106:107], v[132:133]
	v_add_f64 v[2:3], v[2:3], v[4:5]
	v_mul_f64 v[4:5], v[102:103], v[46:47]
	v_add_f64 v[120:121], v[112:113], v[114:115]
	ds_read_b128 v[112:115], v1 offset:1264
	s_waitcnt vmcnt(17) lgkmcnt(1)
	v_mul_f64 v[122:123], v[108:109], v[118:119]
	v_fma_f64 v[4:5], v[100:101], v[48:49], -v[4:5]
	s_waitcnt vmcnt(16)
	v_fmac_f64_e32 v[122:123], v[110:111], v[128:129]
	v_add_f64 v[2:3], v[2:3], v[4:5]
	v_mul_f64 v[4:5], v[106:107], v[130:131]
	v_add_f64 v[150:151], v[120:121], v[122:123]
	ds_read_b128 v[120:123], v1 offset:1280
	v_fma_f64 v[4:5], v[104:105], v[132:133], -v[4:5]
	v_add_f64 v[2:3], v[2:3], v[4:5]
	v_mul_f64 v[4:5], v[110:111], v[118:119]
	v_fma_f64 v[4:5], v[108:109], v[128:129], -v[4:5]
	v_add_f64 v[2:3], v[2:3], v[4:5]
	s_waitcnt vmcnt(12) lgkmcnt(1)
	v_mul_f64 v[4:5], v[114:115], v[138:139]
	v_mul_f64 v[152:153], v[112:113], v[138:139]
	s_waitcnt vmcnt(10)
	v_fma_f64 v[4:5], v[112:113], v[140:141], -v[4:5]
	v_fmac_f64_e32 v[152:153], v[114:115], v[140:141]
	v_add_f64 v[2:3], v[2:3], v[4:5]
	s_waitcnt vmcnt(9) lgkmcnt(0)
	v_mul_f64 v[4:5], v[122:123], v[134:135]
	v_add_f64 v[150:151], v[150:151], v[152:153]
	v_mul_f64 v[152:153], v[120:121], v[134:135]
	s_waitcnt vmcnt(8)
	v_fma_f64 v[4:5], v[120:121], v[136:137], -v[4:5]
	v_fmac_f64_e32 v[152:153], v[122:123], v[136:137]
	v_add_f64 v[2:3], v[2:3], v[4:5]
	s_waitcnt vmcnt(6)
	v_mul_f64 v[4:5], v[126:127], v[142:143]
	v_add_f64 v[150:151], v[150:151], v[152:153]
	v_mul_f64 v[152:153], v[124:125], v[142:143]
	s_waitcnt vmcnt(4)
	v_fma_f64 v[4:5], v[124:125], v[144:145], -v[4:5]
	v_fmac_f64_e32 v[152:153], v[126:127], v[144:145]
	v_add_f64 v[2:3], v[2:3], v[4:5]
	v_add_f64 v[150:151], v[150:151], v[152:153]
	s_waitcnt vmcnt(2)
	v_add_f64 v[2:3], v[146:147], -v[2:3]
	s_waitcnt vmcnt(0)
	v_add_f64 v[4:5], v[148:149], -v[150:151]
	buffer_store_dword v3, off, s[0:3], 0 offset:372
	buffer_store_dword v2, off, s[0:3], 0 offset:368
	;; [unrolled: 1-line block ×4, first 2 shown]
	s_and_saveexec_b64 s[4:5], vcc
	s_cbranch_execz .LBB104_217
; %bb.216:
	v_accvgpr_read_b32 v0, a101
	buffer_load_dword v2, v0, s[0:3], 0 offen
	buffer_load_dword v3, v0, s[0:3], 0 offen offset:4
	buffer_load_dword v4, v0, s[0:3], 0 offen offset:8
	;; [unrolled: 1-line block ×3, first 2 shown]
	v_mov_b32_e32 v0, 0
	v_accvgpr_read_b32 v1, a123
	buffer_store_dword v0, off, s[0:3], 0 offset:352
	buffer_store_dword v0, off, s[0:3], 0 offset:356
	;; [unrolled: 1-line block ×4, first 2 shown]
	s_waitcnt vmcnt(4)
	ds_write_b128 v1, v[2:5]
.LBB104_217:
	s_or_b64 exec, exec, s[4:5]
	s_waitcnt lgkmcnt(0)
	; wave barrier
	s_waitcnt lgkmcnt(0)
	buffer_load_dword v2, off, s[0:3], 0 offset:368
	buffer_load_dword v3, off, s[0:3], 0 offset:372
	;; [unrolled: 1-line block ×76, first 2 shown]
	v_mov_b32_e32 v1, 0
	ds_read_b128 v[54:57], v1 offset:1008
	buffer_load_dword v154, off, s[0:3], 0 offset:352
	buffer_load_dword v155, off, s[0:3], 0 offset:356
	;; [unrolled: 1-line block ×4, first 2 shown]
	ds_read_b128 v[58:61], v1 offset:1024
	ds_read_b128 v[62:65], v1 offset:1040
	;; [unrolled: 1-line block ×4, first 2 shown]
	v_cmp_lt_u32_e32 vcc, 20, v254
	s_waitcnt vmcnt(62) lgkmcnt(4)
	v_mul_f64 v[70:71], v[54:55], v[8:9]
	v_fmac_f64_e32 v[70:71], v[56:57], v[2:3]
	v_add_f64 v[70:71], v[70:71], 0
	v_mul_f64 v[8:9], v[56:57], v[8:9]
	s_waitcnt lgkmcnt(3)
	v_mul_f64 v[72:73], v[58:59], v[10:11]
	v_fmac_f64_e32 v[72:73], v[60:61], v[4:5]
	v_add_f64 v[70:71], v[70:71], v[72:73]
	v_fma_f64 v[2:3], v[54:55], v[2:3], -v[8:9]
	s_waitcnt lgkmcnt(2)
	v_mul_f64 v[72:73], v[62:63], v[12:13]
	v_fmac_f64_e32 v[72:73], v[64:65], v[6:7]
	v_add_f64 v[74:75], v[70:71], v[72:73]
	ds_read_b128 v[70:73], v1 offset:1072
	s_waitcnt lgkmcnt(2)
	v_mul_f64 v[76:77], v[66:67], v[18:19]
	v_mul_f64 v[8:9], v[60:61], v[10:11]
	v_fmac_f64_e32 v[76:77], v[68:69], v[20:21]
	v_add_f64 v[78:79], v[74:75], v[76:77]
	ds_read_b128 v[74:77], v1 offset:1088
	s_waitcnt vmcnt(61) lgkmcnt(1)
	v_mul_f64 v[80:81], v[70:71], v[14:15]
	s_waitcnt vmcnt(60)
	v_fmac_f64_e32 v[80:81], v[72:73], v[16:17]
	v_add_f64 v[82:83], v[78:79], v[80:81]
	ds_read_b128 v[78:81], v1 offset:1104
	s_waitcnt vmcnt(56) lgkmcnt(1)
	v_mul_f64 v[84:85], v[74:75], v[26:27]
	s_waitcnt vmcnt(54)
	;; [unrolled: 6-line block ×4, first 2 shown]
	v_fmac_f64_e32 v[92:93], v[84:85], v[36:37]
	v_add_f64 v[94:95], v[90:91], v[92:93]
	ds_read_b128 v[90:93], v1 offset:1152
	v_add_f64 v[2:3], v[2:3], 0
	v_fma_f64 v[4:5], v[58:59], v[4:5], -v[8:9]
	s_waitcnt vmcnt(45) lgkmcnt(1)
	v_mul_f64 v[96:97], v[86:87], v[30:31]
	v_add_f64 v[2:3], v[2:3], v[4:5]
	v_mul_f64 v[4:5], v[64:65], v[12:13]
	s_waitcnt vmcnt(44)
	v_fmac_f64_e32 v[96:97], v[88:89], v[32:33]
	v_fma_f64 v[4:5], v[62:63], v[6:7], -v[4:5]
	v_add_f64 v[98:99], v[94:95], v[96:97]
	ds_read_b128 v[94:97], v1 offset:1168
	s_waitcnt vmcnt(40) lgkmcnt(1)
	v_mul_f64 v[100:101], v[90:91], v[42:43]
	v_add_f64 v[2:3], v[2:3], v[4:5]
	v_mul_f64 v[4:5], v[68:69], v[18:19]
	s_waitcnt vmcnt(38)
	v_fmac_f64_e32 v[100:101], v[92:93], v[44:45]
	v_fma_f64 v[4:5], v[66:67], v[20:21], -v[4:5]
	v_add_f64 v[102:103], v[98:99], v[100:101]
	ds_read_b128 v[98:101], v1 offset:1184
	v_add_f64 v[2:3], v[2:3], v[4:5]
	v_mul_f64 v[4:5], v[72:73], v[14:15]
	v_fma_f64 v[4:5], v[70:71], v[16:17], -v[4:5]
	v_add_f64 v[2:3], v[2:3], v[4:5]
	v_mul_f64 v[4:5], v[76:77], v[26:27]
	s_waitcnt vmcnt(37) lgkmcnt(1)
	v_mul_f64 v[104:105], v[94:95], v[38:39]
	v_fma_f64 v[4:5], v[74:75], v[28:29], -v[4:5]
	s_waitcnt vmcnt(36)
	v_fmac_f64_e32 v[104:105], v[96:97], v[40:41]
	v_add_f64 v[2:3], v[2:3], v[4:5]
	v_mul_f64 v[4:5], v[80:81], v[22:23]
	v_add_f64 v[106:107], v[102:103], v[104:105]
	ds_read_b128 v[102:105], v1 offset:1200
	s_waitcnt vmcnt(32) lgkmcnt(1)
	v_mul_f64 v[108:109], v[98:99], v[50:51]
	v_fma_f64 v[4:5], v[78:79], v[24:25], -v[4:5]
	s_waitcnt vmcnt(30)
	v_fmac_f64_e32 v[108:109], v[100:101], v[52:53]
	v_add_f64 v[2:3], v[2:3], v[4:5]
	v_mul_f64 v[4:5], v[84:85], v[34:35]
	v_add_f64 v[110:111], v[106:107], v[108:109]
	ds_read_b128 v[106:109], v1 offset:1216
	v_fma_f64 v[4:5], v[82:83], v[36:37], -v[4:5]
	v_add_f64 v[2:3], v[2:3], v[4:5]
	v_mul_f64 v[4:5], v[88:89], v[30:31]
	v_fma_f64 v[4:5], v[86:87], v[32:33], -v[4:5]
	s_waitcnt vmcnt(29) lgkmcnt(1)
	v_mul_f64 v[112:113], v[102:103], v[46:47]
	v_add_f64 v[2:3], v[2:3], v[4:5]
	v_mul_f64 v[4:5], v[92:93], v[42:43]
	s_waitcnt vmcnt(28)
	v_fmac_f64_e32 v[112:113], v[104:105], v[48:49]
	v_fma_f64 v[4:5], v[90:91], v[44:45], -v[4:5]
	v_add_f64 v[114:115], v[110:111], v[112:113]
	ds_read_b128 v[110:113], v1 offset:1232
	s_waitcnt vmcnt(24) lgkmcnt(1)
	v_mul_f64 v[116:117], v[106:107], v[134:135]
	v_add_f64 v[2:3], v[2:3], v[4:5]
	v_mul_f64 v[4:5], v[96:97], v[38:39]
	s_waitcnt vmcnt(22)
	v_fmac_f64_e32 v[116:117], v[108:109], v[136:137]
	v_fma_f64 v[4:5], v[94:95], v[40:41], -v[4:5]
	v_add_f64 v[120:121], v[114:115], v[116:117]
	ds_read_b128 v[114:117], v1 offset:1248
	v_add_f64 v[2:3], v[2:3], v[4:5]
	v_mul_f64 v[4:5], v[100:101], v[50:51]
	v_fma_f64 v[4:5], v[98:99], v[52:53], -v[4:5]
	v_add_f64 v[2:3], v[2:3], v[4:5]
	v_mul_f64 v[4:5], v[104:105], v[46:47]
	s_waitcnt vmcnt(21) lgkmcnt(1)
	v_mul_f64 v[122:123], v[110:111], v[118:119]
	v_fma_f64 v[4:5], v[102:103], v[48:49], -v[4:5]
	s_waitcnt vmcnt(20)
	v_fmac_f64_e32 v[122:123], v[112:113], v[132:133]
	v_add_f64 v[2:3], v[2:3], v[4:5]
	v_mul_f64 v[4:5], v[108:109], v[134:135]
	v_add_f64 v[124:125], v[120:121], v[122:123]
	ds_read_b128 v[120:123], v1 offset:1264
	s_waitcnt vmcnt(16) lgkmcnt(1)
	v_mul_f64 v[126:127], v[114:115], v[142:143]
	v_fma_f64 v[4:5], v[106:107], v[136:137], -v[4:5]
	s_waitcnt vmcnt(14)
	v_fmac_f64_e32 v[126:127], v[116:117], v[144:145]
	v_add_f64 v[2:3], v[2:3], v[4:5]
	v_mul_f64 v[4:5], v[112:113], v[118:119]
	v_add_f64 v[158:159], v[124:125], v[126:127]
	ds_read_b128 v[124:127], v1 offset:1280
	v_fma_f64 v[4:5], v[110:111], v[132:133], -v[4:5]
	v_add_f64 v[2:3], v[2:3], v[4:5]
	v_mul_f64 v[4:5], v[116:117], v[142:143]
	v_fma_f64 v[4:5], v[114:115], v[144:145], -v[4:5]
	v_add_f64 v[2:3], v[2:3], v[4:5]
	s_waitcnt vmcnt(13) lgkmcnt(1)
	v_mul_f64 v[4:5], v[122:123], v[138:139]
	v_mul_f64 v[160:161], v[120:121], v[138:139]
	s_waitcnt vmcnt(12)
	v_fma_f64 v[4:5], v[120:121], v[140:141], -v[4:5]
	v_fmac_f64_e32 v[160:161], v[122:123], v[140:141]
	v_add_f64 v[2:3], v[2:3], v[4:5]
	s_waitcnt vmcnt(8) lgkmcnt(0)
	v_mul_f64 v[4:5], v[126:127], v[150:151]
	v_add_f64 v[158:159], v[158:159], v[160:161]
	v_mul_f64 v[160:161], v[124:125], v[150:151]
	s_waitcnt vmcnt(6)
	v_fma_f64 v[4:5], v[124:125], v[152:153], -v[4:5]
	v_fmac_f64_e32 v[160:161], v[126:127], v[152:153]
	v_add_f64 v[2:3], v[2:3], v[4:5]
	s_waitcnt vmcnt(5)
	v_mul_f64 v[4:5], v[130:131], v[146:147]
	v_add_f64 v[158:159], v[158:159], v[160:161]
	v_mul_f64 v[160:161], v[128:129], v[146:147]
	s_waitcnt vmcnt(4)
	v_fma_f64 v[4:5], v[128:129], v[148:149], -v[4:5]
	v_fmac_f64_e32 v[160:161], v[130:131], v[148:149]
	v_add_f64 v[2:3], v[2:3], v[4:5]
	v_add_f64 v[158:159], v[158:159], v[160:161]
	s_waitcnt vmcnt(2)
	v_add_f64 v[2:3], v[154:155], -v[2:3]
	s_waitcnt vmcnt(0)
	v_add_f64 v[4:5], v[156:157], -v[158:159]
	buffer_store_dword v3, off, s[0:3], 0 offset:356
	buffer_store_dword v2, off, s[0:3], 0 offset:352
	;; [unrolled: 1-line block ×4, first 2 shown]
	s_and_saveexec_b64 s[4:5], vcc
	s_cbranch_execz .LBB104_219
; %bb.218:
	v_accvgpr_read_b32 v0, a102
	buffer_load_dword v2, v0, s[0:3], 0 offen
	buffer_load_dword v3, v0, s[0:3], 0 offen offset:4
	buffer_load_dword v4, v0, s[0:3], 0 offen offset:8
	;; [unrolled: 1-line block ×3, first 2 shown]
	v_accvgpr_read_b32 v0, a123
	buffer_store_dword v1, off, s[0:3], 0 offset:336
	buffer_store_dword v1, off, s[0:3], 0 offset:340
	;; [unrolled: 1-line block ×4, first 2 shown]
	s_waitcnt vmcnt(4)
	ds_write_b128 v0, v[2:5]
.LBB104_219:
	s_or_b64 exec, exec, s[4:5]
	s_waitcnt lgkmcnt(0)
	; wave barrier
	s_waitcnt lgkmcnt(0)
	buffer_load_dword v2, off, s[0:3], 0 offset:352
	buffer_load_dword v3, off, s[0:3], 0 offset:356
	;; [unrolled: 1-line block ×76, first 2 shown]
	ds_read_b128 v[54:57], v1 offset:992
	buffer_load_dword v159, off, s[0:3], 0 offset:668
	buffer_load_dword v158, off, s[0:3], 0 offset:664
	;; [unrolled: 1-line block ×8, first 2 shown]
	ds_read_b128 v[58:61], v1 offset:1008
	ds_read_b128 v[62:65], v1 offset:1024
	;; [unrolled: 1-line block ×3, first 2 shown]
	v_cmp_lt_u32_e32 vcc, 19, v254
	ds_read_b128 v[132:135], v1 offset:1296
	s_waitcnt vmcnt(62) lgkmcnt(4)
	v_mul_f64 v[70:71], v[54:55], v[8:9]
	v_fmac_f64_e32 v[70:71], v[56:57], v[2:3]
	v_add_f64 v[70:71], v[70:71], 0
	v_mul_f64 v[8:9], v[56:57], v[8:9]
	s_waitcnt lgkmcnt(3)
	v_mul_f64 v[72:73], v[58:59], v[10:11]
	v_fmac_f64_e32 v[72:73], v[60:61], v[4:5]
	v_add_f64 v[70:71], v[70:71], v[72:73]
	v_fma_f64 v[2:3], v[54:55], v[2:3], -v[8:9]
	s_waitcnt lgkmcnt(2)
	v_mul_f64 v[72:73], v[62:63], v[12:13]
	v_fmac_f64_e32 v[72:73], v[64:65], v[6:7]
	v_add_f64 v[74:75], v[70:71], v[72:73]
	ds_read_b128 v[70:73], v1 offset:1056
	v_mul_f64 v[8:9], v[60:61], v[10:11]
	v_add_f64 v[2:3], v[2:3], 0
	s_waitcnt lgkmcnt(2)
	v_mul_f64 v[76:77], v[66:67], v[18:19]
	v_fma_f64 v[4:5], v[58:59], v[4:5], -v[8:9]
	v_fmac_f64_e32 v[76:77], v[68:69], v[20:21]
	v_add_f64 v[78:79], v[74:75], v[76:77]
	ds_read_b128 v[74:77], v1 offset:1072
	s_waitcnt lgkmcnt(1)
	v_mul_f64 v[80:81], v[70:71], v[14:15]
	v_fmac_f64_e32 v[80:81], v[72:73], v[16:17]
	v_add_f64 v[82:83], v[78:79], v[80:81]
	ds_read_b128 v[78:81], v1 offset:1088
	s_waitcnt vmcnt(58) lgkmcnt(1)
	v_mul_f64 v[84:85], v[74:75], v[26:27]
	s_waitcnt vmcnt(56)
	v_fmac_f64_e32 v[84:85], v[76:77], v[28:29]
	v_add_f64 v[86:87], v[82:83], v[84:85]
	ds_read_b128 v[82:85], v1 offset:1104
	s_waitcnt lgkmcnt(1)
	v_mul_f64 v[88:89], v[78:79], v[22:23]
	v_fmac_f64_e32 v[88:89], v[80:81], v[24:25]
	v_add_f64 v[90:91], v[86:87], v[88:89]
	ds_read_b128 v[86:89], v1 offset:1120
	s_waitcnt vmcnt(50) lgkmcnt(1)
	v_mul_f64 v[92:93], v[82:83], v[34:35]
	s_waitcnt vmcnt(48)
	v_fmac_f64_e32 v[92:93], v[84:85], v[36:37]
	v_add_f64 v[94:95], v[90:91], v[92:93]
	ds_read_b128 v[90:93], v1 offset:1136
	s_waitcnt lgkmcnt(1)
	v_mul_f64 v[96:97], v[86:87], v[30:31]
	v_fmac_f64_e32 v[96:97], v[88:89], v[32:33]
	v_add_f64 v[98:99], v[94:95], v[96:97]
	ds_read_b128 v[94:97], v1 offset:1152
	v_add_f64 v[2:3], v[2:3], v[4:5]
	v_mul_f64 v[4:5], v[64:65], v[12:13]
	v_fma_f64 v[4:5], v[62:63], v[6:7], -v[4:5]
	s_waitcnt vmcnt(42) lgkmcnt(1)
	v_mul_f64 v[100:101], v[90:91], v[42:43]
	v_add_f64 v[2:3], v[2:3], v[4:5]
	v_mul_f64 v[4:5], v[68:69], v[18:19]
	s_waitcnt vmcnt(40)
	v_fmac_f64_e32 v[100:101], v[92:93], v[44:45]
	v_fma_f64 v[4:5], v[66:67], v[20:21], -v[4:5]
	v_add_f64 v[102:103], v[98:99], v[100:101]
	ds_read_b128 v[98:101], v1 offset:1168
	s_waitcnt lgkmcnt(1)
	v_mul_f64 v[104:105], v[94:95], v[38:39]
	v_add_f64 v[2:3], v[2:3], v[4:5]
	v_mul_f64 v[4:5], v[72:73], v[14:15]
	v_fmac_f64_e32 v[104:105], v[96:97], v[40:41]
	v_fma_f64 v[4:5], v[70:71], v[16:17], -v[4:5]
	v_add_f64 v[106:107], v[102:103], v[104:105]
	ds_read_b128 v[102:105], v1 offset:1184
	v_add_f64 v[2:3], v[2:3], v[4:5]
	v_mul_f64 v[4:5], v[76:77], v[26:27]
	v_fma_f64 v[4:5], v[74:75], v[28:29], -v[4:5]
	v_add_f64 v[2:3], v[2:3], v[4:5]
	v_mul_f64 v[4:5], v[80:81], v[22:23]
	s_waitcnt vmcnt(34) lgkmcnt(1)
	v_mul_f64 v[108:109], v[98:99], v[50:51]
	v_fma_f64 v[4:5], v[78:79], v[24:25], -v[4:5]
	s_waitcnt vmcnt(32)
	v_fmac_f64_e32 v[108:109], v[100:101], v[52:53]
	v_add_f64 v[2:3], v[2:3], v[4:5]
	v_mul_f64 v[4:5], v[84:85], v[34:35]
	v_add_f64 v[110:111], v[106:107], v[108:109]
	ds_read_b128 v[106:109], v1 offset:1200
	s_waitcnt lgkmcnt(1)
	v_mul_f64 v[112:113], v[102:103], v[46:47]
	v_fma_f64 v[4:5], v[82:83], v[36:37], -v[4:5]
	v_fmac_f64_e32 v[112:113], v[104:105], v[48:49]
	v_add_f64 v[2:3], v[2:3], v[4:5]
	v_mul_f64 v[4:5], v[88:89], v[30:31]
	v_add_f64 v[114:115], v[110:111], v[112:113]
	ds_read_b128 v[110:113], v1 offset:1216
	v_fma_f64 v[4:5], v[86:87], v[32:33], -v[4:5]
	v_add_f64 v[2:3], v[2:3], v[4:5]
	v_mul_f64 v[4:5], v[92:93], v[42:43]
	v_fma_f64 v[4:5], v[90:91], v[44:45], -v[4:5]
	s_waitcnt vmcnt(26) lgkmcnt(1)
	v_mul_f64 v[116:117], v[106:107], v[138:139]
	v_add_f64 v[2:3], v[2:3], v[4:5]
	v_mul_f64 v[4:5], v[96:97], v[38:39]
	s_waitcnt vmcnt(24)
	v_fmac_f64_e32 v[116:117], v[108:109], v[140:141]
	v_fma_f64 v[4:5], v[94:95], v[40:41], -v[4:5]
	v_add_f64 v[120:121], v[114:115], v[116:117]
	ds_read_b128 v[114:117], v1 offset:1232
	s_waitcnt lgkmcnt(1)
	v_mul_f64 v[122:123], v[110:111], v[118:119]
	v_add_f64 v[2:3], v[2:3], v[4:5]
	v_mul_f64 v[4:5], v[100:101], v[50:51]
	v_fmac_f64_e32 v[122:123], v[112:113], v[136:137]
	v_fma_f64 v[4:5], v[98:99], v[52:53], -v[4:5]
	v_add_f64 v[124:125], v[120:121], v[122:123]
	ds_read_b128 v[120:123], v1 offset:1248
	v_add_f64 v[2:3], v[2:3], v[4:5]
	v_mul_f64 v[4:5], v[104:105], v[46:47]
	v_fma_f64 v[4:5], v[102:103], v[48:49], -v[4:5]
	v_add_f64 v[2:3], v[2:3], v[4:5]
	v_mul_f64 v[4:5], v[108:109], v[138:139]
	s_waitcnt vmcnt(18) lgkmcnt(1)
	v_mul_f64 v[126:127], v[114:115], v[146:147]
	v_fma_f64 v[4:5], v[106:107], v[140:141], -v[4:5]
	s_waitcnt vmcnt(16)
	v_fmac_f64_e32 v[126:127], v[116:117], v[148:149]
	v_add_f64 v[2:3], v[2:3], v[4:5]
	v_mul_f64 v[4:5], v[112:113], v[118:119]
	v_add_f64 v[128:129], v[124:125], v[126:127]
	ds_read_b128 v[124:127], v1 offset:1264
	s_waitcnt lgkmcnt(1)
	v_mul_f64 v[130:131], v[120:121], v[142:143]
	v_fma_f64 v[4:5], v[110:111], v[136:137], -v[4:5]
	v_fmac_f64_e32 v[130:131], v[122:123], v[144:145]
	v_add_f64 v[2:3], v[2:3], v[4:5]
	v_mul_f64 v[4:5], v[116:117], v[146:147]
	v_add_f64 v[166:167], v[128:129], v[130:131]
	ds_read_b128 v[128:131], v1 offset:1280
	v_fma_f64 v[4:5], v[114:115], v[148:149], -v[4:5]
	v_add_f64 v[2:3], v[2:3], v[4:5]
	v_mul_f64 v[4:5], v[122:123], v[142:143]
	v_fma_f64 v[4:5], v[120:121], v[144:145], -v[4:5]
	v_add_f64 v[2:3], v[2:3], v[4:5]
	s_waitcnt vmcnt(10) lgkmcnt(1)
	v_mul_f64 v[4:5], v[126:127], v[154:155]
	v_mul_f64 v[168:169], v[124:125], v[154:155]
	s_waitcnt vmcnt(8)
	v_fma_f64 v[4:5], v[124:125], v[156:157], -v[4:5]
	v_fmac_f64_e32 v[168:169], v[126:127], v[156:157]
	v_add_f64 v[2:3], v[2:3], v[4:5]
	s_waitcnt lgkmcnt(0)
	v_mul_f64 v[4:5], v[130:131], v[150:151]
	v_add_f64 v[166:167], v[166:167], v[168:169]
	v_mul_f64 v[168:169], v[128:129], v[150:151]
	v_fma_f64 v[4:5], v[128:129], v[152:153], -v[4:5]
	v_fmac_f64_e32 v[168:169], v[130:131], v[152:153]
	v_add_f64 v[2:3], v[2:3], v[4:5]
	s_waitcnt vmcnt(6)
	v_mul_f64 v[4:5], v[134:135], v[158:159]
	v_add_f64 v[166:167], v[166:167], v[168:169]
	v_mul_f64 v[168:169], v[132:133], v[158:159]
	s_waitcnt vmcnt(4)
	v_fma_f64 v[4:5], v[132:133], v[160:161], -v[4:5]
	v_fmac_f64_e32 v[168:169], v[134:135], v[160:161]
	v_add_f64 v[2:3], v[2:3], v[4:5]
	v_add_f64 v[166:167], v[166:167], v[168:169]
	s_waitcnt vmcnt(2)
	v_add_f64 v[2:3], v[162:163], -v[2:3]
	s_waitcnt vmcnt(0)
	v_add_f64 v[4:5], v[164:165], -v[166:167]
	buffer_store_dword v3, off, s[0:3], 0 offset:340
	buffer_store_dword v2, off, s[0:3], 0 offset:336
	;; [unrolled: 1-line block ×4, first 2 shown]
	s_and_saveexec_b64 s[4:5], vcc
	s_cbranch_execz .LBB104_221
; %bb.220:
	v_accvgpr_read_b32 v0, a103
	buffer_load_dword v2, v0, s[0:3], 0 offen
	buffer_load_dword v3, v0, s[0:3], 0 offen offset:4
	buffer_load_dword v4, v0, s[0:3], 0 offen offset:8
	;; [unrolled: 1-line block ×3, first 2 shown]
	v_mov_b32_e32 v0, 0
	v_accvgpr_read_b32 v1, a123
	buffer_store_dword v0, off, s[0:3], 0 offset:320
	buffer_store_dword v0, off, s[0:3], 0 offset:324
	;; [unrolled: 1-line block ×4, first 2 shown]
	s_waitcnt vmcnt(4)
	ds_write_b128 v1, v[2:5]
.LBB104_221:
	s_or_b64 exec, exec, s[4:5]
	s_waitcnt lgkmcnt(0)
	; wave barrier
	s_waitcnt lgkmcnt(0)
	buffer_load_dword v4, off, s[0:3], 0 offset:320
	buffer_load_dword v5, off, s[0:3], 0 offset:324
	;; [unrolled: 1-line block ×84, first 2 shown]
	v_mov_b32_e32 v1, 0
	ds_read_b128 v[66:69], v1 offset:976
	buffer_load_dword v171, off, s[0:3], 0 offset:668
	buffer_load_dword v170, off, s[0:3], 0 offset:664
	buffer_load_dword v173, off, s[0:3], 0 offset:660
	buffer_load_dword v172, off, s[0:3], 0 offset:656
	ds_read_b128 v[70:73], v1 offset:992
	ds_read_b128 v[74:77], v1 offset:1008
	;; [unrolled: 1-line block ×4, first 2 shown]
	v_cmp_lt_u32_e32 vcc, 18, v254
	s_waitcnt vmcnt(62) lgkmcnt(4)
	v_mul_f64 v[82:83], v[66:67], v[12:13]
	v_fmac_f64_e32 v[82:83], v[68:69], v[6:7]
	s_waitcnt lgkmcnt(3)
	v_mul_f64 v[84:85], v[70:71], v[14:15]
	v_add_f64 v[82:83], v[82:83], 0
	v_fmac_f64_e32 v[84:85], v[72:73], v[8:9]
	v_add_f64 v[82:83], v[82:83], v[84:85]
	s_waitcnt lgkmcnt(2)
	v_mul_f64 v[84:85], v[74:75], v[16:17]
	v_fmac_f64_e32 v[84:85], v[76:77], v[10:11]
	v_add_f64 v[86:87], v[82:83], v[84:85]
	ds_read_b128 v[82:85], v1 offset:1040
	v_mul_f64 v[12:13], v[68:69], v[12:13]
	s_waitcnt lgkmcnt(2)
	v_mul_f64 v[88:89], v[78:79], v[22:23]
	v_fma_f64 v[6:7], v[66:67], v[6:7], -v[12:13]
	v_fmac_f64_e32 v[88:89], v[80:81], v[24:25]
	v_add_f64 v[90:91], v[86:87], v[88:89]
	ds_read_b128 v[86:89], v1 offset:1056
	s_waitcnt lgkmcnt(1)
	v_mul_f64 v[92:93], v[82:83], v[18:19]
	v_fmac_f64_e32 v[92:93], v[84:85], v[20:21]
	v_add_f64 v[94:95], v[90:91], v[92:93]
	ds_read_b128 v[90:93], v1 offset:1072
	s_waitcnt vmcnt(58) lgkmcnt(1)
	v_mul_f64 v[96:97], v[86:87], v[30:31]
	s_waitcnt vmcnt(56)
	v_fmac_f64_e32 v[96:97], v[88:89], v[32:33]
	v_add_f64 v[98:99], v[94:95], v[96:97]
	ds_read_b128 v[94:97], v1 offset:1088
	s_waitcnt lgkmcnt(1)
	v_mul_f64 v[100:101], v[90:91], v[26:27]
	v_fmac_f64_e32 v[100:101], v[92:93], v[28:29]
	v_add_f64 v[102:103], v[98:99], v[100:101]
	ds_read_b128 v[98:101], v1 offset:1104
	s_waitcnt vmcnt(50) lgkmcnt(1)
	v_mul_f64 v[104:105], v[94:95], v[38:39]
	s_waitcnt vmcnt(48)
	v_fmac_f64_e32 v[104:105], v[96:97], v[40:41]
	v_add_f64 v[106:107], v[102:103], v[104:105]
	ds_read_b128 v[102:105], v1 offset:1120
	s_waitcnt lgkmcnt(1)
	v_mul_f64 v[108:109], v[98:99], v[34:35]
	v_fmac_f64_e32 v[108:109], v[100:101], v[36:37]
	v_mul_f64 v[12:13], v[72:73], v[14:15]
	v_add_f64 v[110:111], v[106:107], v[108:109]
	ds_read_b128 v[106:109], v1 offset:1136
	s_waitcnt vmcnt(42) lgkmcnt(1)
	v_mul_f64 v[112:113], v[102:103], v[46:47]
	v_add_f64 v[6:7], v[6:7], 0
	v_fma_f64 v[8:9], v[70:71], v[8:9], -v[12:13]
	s_waitcnt vmcnt(40)
	v_fmac_f64_e32 v[112:113], v[104:105], v[48:49]
	v_add_f64 v[6:7], v[6:7], v[8:9]
	v_mul_f64 v[8:9], v[76:77], v[16:17]
	v_add_f64 v[114:115], v[110:111], v[112:113]
	ds_read_b128 v[110:113], v1 offset:1152
	v_fma_f64 v[8:9], v[74:75], v[10:11], -v[8:9]
	v_add_f64 v[6:7], v[6:7], v[8:9]
	v_mul_f64 v[8:9], v[80:81], v[22:23]
	v_fma_f64 v[8:9], v[78:79], v[24:25], -v[8:9]
	s_waitcnt lgkmcnt(1)
	v_mul_f64 v[116:117], v[106:107], v[42:43]
	v_add_f64 v[6:7], v[6:7], v[8:9]
	v_mul_f64 v[8:9], v[84:85], v[18:19]
	v_fmac_f64_e32 v[116:117], v[108:109], v[44:45]
	v_fma_f64 v[8:9], v[82:83], v[20:21], -v[8:9]
	v_add_f64 v[120:121], v[114:115], v[116:117]
	ds_read_b128 v[114:117], v1 offset:1168
	s_waitcnt vmcnt(34) lgkmcnt(1)
	v_mul_f64 v[122:123], v[110:111], v[54:55]
	v_add_f64 v[6:7], v[6:7], v[8:9]
	v_mul_f64 v[8:9], v[88:89], v[30:31]
	s_waitcnt vmcnt(32)
	v_fmac_f64_e32 v[122:123], v[112:113], v[56:57]
	v_fma_f64 v[8:9], v[86:87], v[32:33], -v[8:9]
	v_add_f64 v[124:125], v[120:121], v[122:123]
	ds_read_b128 v[120:123], v1 offset:1184
	v_add_f64 v[6:7], v[6:7], v[8:9]
	v_mul_f64 v[8:9], v[92:93], v[26:27]
	v_fma_f64 v[8:9], v[90:91], v[28:29], -v[8:9]
	v_add_f64 v[6:7], v[6:7], v[8:9]
	v_mul_f64 v[8:9], v[96:97], v[38:39]
	s_waitcnt lgkmcnt(1)
	v_mul_f64 v[126:127], v[114:115], v[50:51]
	v_fma_f64 v[8:9], v[94:95], v[40:41], -v[8:9]
	v_fmac_f64_e32 v[126:127], v[116:117], v[52:53]
	v_add_f64 v[6:7], v[6:7], v[8:9]
	v_mul_f64 v[8:9], v[100:101], v[34:35]
	v_add_f64 v[128:129], v[124:125], v[126:127]
	ds_read_b128 v[124:127], v1 offset:1200
	s_waitcnt vmcnt(26) lgkmcnt(1)
	v_mul_f64 v[130:131], v[120:121], v[62:63]
	v_fma_f64 v[8:9], v[98:99], v[36:37], -v[8:9]
	s_waitcnt vmcnt(24)
	v_fmac_f64_e32 v[130:131], v[122:123], v[64:65]
	v_add_f64 v[6:7], v[6:7], v[8:9]
	v_mul_f64 v[8:9], v[104:105], v[46:47]
	v_add_f64 v[132:133], v[128:129], v[130:131]
	ds_read_b128 v[128:131], v1 offset:1216
	v_fma_f64 v[8:9], v[102:103], v[48:49], -v[8:9]
	v_add_f64 v[6:7], v[6:7], v[8:9]
	v_mul_f64 v[8:9], v[108:109], v[42:43]
	v_fma_f64 v[8:9], v[106:107], v[44:45], -v[8:9]
	s_waitcnt lgkmcnt(1)
	v_mul_f64 v[134:135], v[124:125], v[58:59]
	v_add_f64 v[6:7], v[6:7], v[8:9]
	v_mul_f64 v[8:9], v[112:113], v[54:55]
	v_fmac_f64_e32 v[134:135], v[126:127], v[60:61]
	v_fma_f64 v[8:9], v[110:111], v[56:57], -v[8:9]
	v_add_f64 v[136:137], v[132:133], v[134:135]
	ds_read_b128 v[132:135], v1 offset:1232
	s_waitcnt vmcnt(18) lgkmcnt(1)
	v_mul_f64 v[138:139], v[128:129], v[154:155]
	v_add_f64 v[6:7], v[6:7], v[8:9]
	v_mul_f64 v[8:9], v[116:117], v[50:51]
	s_waitcnt vmcnt(16)
	v_fmac_f64_e32 v[138:139], v[130:131], v[156:157]
	v_fma_f64 v[8:9], v[114:115], v[52:53], -v[8:9]
	v_add_f64 v[140:141], v[136:137], v[138:139]
	ds_read_b128 v[136:139], v1 offset:1248
	v_add_f64 v[6:7], v[6:7], v[8:9]
	v_mul_f64 v[8:9], v[122:123], v[62:63]
	v_fma_f64 v[8:9], v[120:121], v[64:65], -v[8:9]
	v_add_f64 v[6:7], v[6:7], v[8:9]
	v_mul_f64 v[8:9], v[126:127], v[58:59]
	s_waitcnt lgkmcnt(1)
	v_mul_f64 v[142:143], v[132:133], v[118:119]
	v_fma_f64 v[8:9], v[124:125], v[60:61], -v[8:9]
	v_fmac_f64_e32 v[142:143], v[134:135], v[152:153]
	v_add_f64 v[6:7], v[6:7], v[8:9]
	v_mul_f64 v[8:9], v[130:131], v[154:155]
	v_add_f64 v[144:145], v[140:141], v[142:143]
	ds_read_b128 v[140:143], v1 offset:1264
	s_waitcnt vmcnt(10) lgkmcnt(1)
	v_mul_f64 v[146:147], v[136:137], v[162:163]
	v_fma_f64 v[8:9], v[128:129], v[156:157], -v[8:9]
	s_waitcnt vmcnt(8)
	v_fmac_f64_e32 v[146:147], v[138:139], v[164:165]
	v_add_f64 v[6:7], v[6:7], v[8:9]
	v_mul_f64 v[8:9], v[134:135], v[118:119]
	v_add_f64 v[174:175], v[144:145], v[146:147]
	ds_read_b128 v[144:147], v1 offset:1280
	v_fma_f64 v[8:9], v[132:133], v[152:153], -v[8:9]
	v_add_f64 v[6:7], v[6:7], v[8:9]
	v_mul_f64 v[8:9], v[138:139], v[162:163]
	v_fma_f64 v[8:9], v[136:137], v[164:165], -v[8:9]
	v_add_f64 v[6:7], v[6:7], v[8:9]
	s_waitcnt lgkmcnt(1)
	v_mul_f64 v[8:9], v[142:143], v[158:159]
	v_mul_f64 v[176:177], v[140:141], v[158:159]
	v_fma_f64 v[8:9], v[140:141], v[160:161], -v[8:9]
	v_fmac_f64_e32 v[176:177], v[142:143], v[160:161]
	v_add_f64 v[6:7], v[6:7], v[8:9]
	s_waitcnt vmcnt(6) lgkmcnt(0)
	v_mul_f64 v[8:9], v[146:147], v[166:167]
	v_add_f64 v[174:175], v[174:175], v[176:177]
	v_mul_f64 v[176:177], v[144:145], v[166:167]
	s_waitcnt vmcnt(4)
	v_fma_f64 v[8:9], v[144:145], v[168:169], -v[8:9]
	v_fmac_f64_e32 v[176:177], v[146:147], v[168:169]
	v_add_f64 v[6:7], v[6:7], v[8:9]
	s_waitcnt vmcnt(2)
	v_mul_f64 v[8:9], v[150:151], v[170:171]
	v_add_f64 v[174:175], v[174:175], v[176:177]
	v_mul_f64 v[176:177], v[148:149], v[170:171]
	s_waitcnt vmcnt(0)
	v_fma_f64 v[8:9], v[148:149], v[172:173], -v[8:9]
	v_fmac_f64_e32 v[176:177], v[150:151], v[172:173]
	v_add_f64 v[6:7], v[6:7], v[8:9]
	v_add_f64 v[174:175], v[174:175], v[176:177]
	v_add_f64 v[4:5], v[4:5], -v[6:7]
	v_add_f64 v[2:3], v[2:3], -v[174:175]
	buffer_store_dword v5, off, s[0:3], 0 offset:324
	buffer_store_dword v4, off, s[0:3], 0 offset:320
	;; [unrolled: 1-line block ×4, first 2 shown]
	s_and_saveexec_b64 s[4:5], vcc
	s_cbranch_execz .LBB104_223
; %bb.222:
	v_accvgpr_read_b32 v0, a104
	buffer_load_dword v2, v0, s[0:3], 0 offen
	buffer_load_dword v3, v0, s[0:3], 0 offen offset:4
	buffer_load_dword v4, v0, s[0:3], 0 offen offset:8
	;; [unrolled: 1-line block ×3, first 2 shown]
	v_accvgpr_read_b32 v0, a123
	buffer_store_dword v1, off, s[0:3], 0 offset:304
	buffer_store_dword v1, off, s[0:3], 0 offset:308
	;; [unrolled: 1-line block ×4, first 2 shown]
	s_waitcnt vmcnt(4)
	ds_write_b128 v0, v[2:5]
.LBB104_223:
	s_or_b64 exec, exec, s[4:5]
	s_waitcnt lgkmcnt(0)
	; wave barrier
	s_waitcnt lgkmcnt(0)
	ds_read_b128 v[14:17], v1 offset:960
	ds_read_b128 v[10:13], v1 offset:976
	;; [unrolled: 1-line block ×4, first 2 shown]
	buffer_load_dword v20, off, s[0:3], 0 offset:304
	buffer_load_dword v21, off, s[0:3], 0 offset:308
	;; [unrolled: 1-line block ×92, first 2 shown]
	s_waitcnt vmcnt(62) lgkmcnt(3)
	v_mul_f64 v[86:87], v[14:15], v[28:29]
	v_fmac_f64_e32 v[86:87], v[16:17], v[22:23]
	s_waitcnt lgkmcnt(2)
	v_mul_f64 v[88:89], v[10:11], v[30:31]
	v_add_f64 v[86:87], v[86:87], 0
	v_fmac_f64_e32 v[88:89], v[12:13], v[24:25]
	v_add_f64 v[86:87], v[86:87], v[88:89]
	s_waitcnt lgkmcnt(1)
	v_mul_f64 v[88:89], v[6:7], v[32:33]
	v_fmac_f64_e32 v[88:89], v[8:9], v[26:27]
	v_add_f64 v[90:91], v[86:87], v[88:89]
	ds_read_b128 v[86:89], v1 offset:1024
	v_mul_f64 v[16:17], v[16:17], v[28:29]
	v_fma_f64 v[14:15], v[14:15], v[22:23], -v[16:17]
	s_waitcnt lgkmcnt(1)
	v_mul_f64 v[92:93], v[2:3], v[38:39]
	v_mul_f64 v[12:13], v[12:13], v[30:31]
	v_fmac_f64_e32 v[92:93], v[4:5], v[40:41]
	v_add_f64 v[94:95], v[90:91], v[92:93]
	ds_read_b128 v[90:93], v1 offset:1040
	s_waitcnt lgkmcnt(1)
	v_mul_f64 v[96:97], v[86:87], v[34:35]
	v_fmac_f64_e32 v[96:97], v[88:89], v[36:37]
	v_add_f64 v[98:99], v[94:95], v[96:97]
	ds_read_b128 v[94:97], v1 offset:1056
	s_waitcnt lgkmcnt(1)
	v_mul_f64 v[100:101], v[90:91], v[46:47]
	s_waitcnt vmcnt(60)
	v_fmac_f64_e32 v[100:101], v[92:93], v[48:49]
	v_add_f64 v[102:103], v[98:99], v[100:101]
	ds_read_b128 v[98:101], v1 offset:1072
	s_waitcnt lgkmcnt(1)
	v_mul_f64 v[104:105], v[94:95], v[42:43]
	v_fmac_f64_e32 v[104:105], v[96:97], v[44:45]
	v_add_f64 v[106:107], v[102:103], v[104:105]
	ds_read_b128 v[102:105], v1 offset:1088
	s_waitcnt vmcnt(54) lgkmcnt(1)
	v_mul_f64 v[108:109], v[98:99], v[54:55]
	s_waitcnt vmcnt(52)
	v_fmac_f64_e32 v[108:109], v[100:101], v[56:57]
	v_add_f64 v[110:111], v[106:107], v[108:109]
	ds_read_b128 v[106:109], v1 offset:1104
	s_waitcnt lgkmcnt(1)
	v_mul_f64 v[112:113], v[102:103], v[50:51]
	v_fmac_f64_e32 v[112:113], v[104:105], v[52:53]
	v_add_f64 v[114:115], v[110:111], v[112:113]
	ds_read_b128 v[110:113], v1 offset:1120
	s_waitcnt vmcnt(46) lgkmcnt(1)
	v_mul_f64 v[116:117], v[106:107], v[62:63]
	s_waitcnt vmcnt(44)
	v_fmac_f64_e32 v[116:117], v[108:109], v[64:65]
	v_add_f64 v[120:121], v[114:115], v[116:117]
	ds_read_b128 v[114:117], v1 offset:1136
	s_waitcnt lgkmcnt(1)
	v_mul_f64 v[122:123], v[110:111], v[58:59]
	v_fmac_f64_e32 v[122:123], v[112:113], v[60:61]
	v_add_f64 v[14:15], v[14:15], 0
	v_fma_f64 v[10:11], v[10:11], v[24:25], -v[12:13]
	v_mul_f64 v[8:9], v[8:9], v[32:33]
	v_add_f64 v[124:125], v[120:121], v[122:123]
	ds_read_b128 v[120:123], v1 offset:1152
	v_add_f64 v[10:11], v[14:15], v[10:11]
	v_fma_f64 v[6:7], v[6:7], v[26:27], -v[8:9]
	v_mul_f64 v[4:5], v[4:5], v[38:39]
	v_add_f64 v[6:7], v[10:11], v[6:7]
	v_fma_f64 v[2:3], v[2:3], v[40:41], -v[4:5]
	v_mul_f64 v[4:5], v[88:89], v[34:35]
	v_add_f64 v[2:3], v[6:7], v[2:3]
	v_fma_f64 v[4:5], v[86:87], v[36:37], -v[4:5]
	s_waitcnt vmcnt(38) lgkmcnt(1)
	v_mul_f64 v[126:127], v[114:115], v[70:71]
	v_add_f64 v[2:3], v[2:3], v[4:5]
	v_mul_f64 v[4:5], v[92:93], v[46:47]
	s_waitcnt vmcnt(36)
	v_fmac_f64_e32 v[126:127], v[116:117], v[72:73]
	v_fma_f64 v[4:5], v[90:91], v[48:49], -v[4:5]
	v_add_f64 v[128:129], v[124:125], v[126:127]
	ds_read_b128 v[124:127], v1 offset:1168
	s_waitcnt lgkmcnt(1)
	v_mul_f64 v[130:131], v[120:121], v[66:67]
	v_add_f64 v[2:3], v[2:3], v[4:5]
	v_mul_f64 v[4:5], v[96:97], v[42:43]
	v_fmac_f64_e32 v[130:131], v[122:123], v[68:69]
	v_fma_f64 v[4:5], v[94:95], v[44:45], -v[4:5]
	v_add_f64 v[132:133], v[128:129], v[130:131]
	ds_read_b128 v[128:131], v1 offset:1184
	v_add_f64 v[2:3], v[2:3], v[4:5]
	v_mul_f64 v[4:5], v[100:101], v[54:55]
	v_fma_f64 v[4:5], v[98:99], v[56:57], -v[4:5]
	v_add_f64 v[2:3], v[2:3], v[4:5]
	v_mul_f64 v[4:5], v[104:105], v[50:51]
	s_waitcnt vmcnt(30) lgkmcnt(1)
	v_mul_f64 v[134:135], v[124:125], v[78:79]
	v_fma_f64 v[4:5], v[102:103], v[52:53], -v[4:5]
	s_waitcnt vmcnt(28)
	v_fmac_f64_e32 v[134:135], v[126:127], v[80:81]
	v_add_f64 v[2:3], v[2:3], v[4:5]
	v_mul_f64 v[4:5], v[108:109], v[62:63]
	v_add_f64 v[136:137], v[132:133], v[134:135]
	ds_read_b128 v[132:135], v1 offset:1200
	s_waitcnt lgkmcnt(1)
	v_mul_f64 v[138:139], v[128:129], v[74:75]
	v_fma_f64 v[4:5], v[106:107], v[64:65], -v[4:5]
	v_fmac_f64_e32 v[138:139], v[130:131], v[76:77]
	v_add_f64 v[2:3], v[2:3], v[4:5]
	v_mul_f64 v[4:5], v[112:113], v[58:59]
	v_add_f64 v[140:141], v[136:137], v[138:139]
	ds_read_b128 v[136:139], v1 offset:1216
	v_fma_f64 v[4:5], v[110:111], v[60:61], -v[4:5]
	v_add_f64 v[2:3], v[2:3], v[4:5]
	v_mul_f64 v[4:5], v[116:117], v[70:71]
	v_fma_f64 v[4:5], v[114:115], v[72:73], -v[4:5]
	s_waitcnt vmcnt(22) lgkmcnt(1)
	v_mul_f64 v[142:143], v[132:133], v[118:119]
	v_add_f64 v[2:3], v[2:3], v[4:5]
	v_mul_f64 v[4:5], v[122:123], v[66:67]
	s_waitcnt vmcnt(20)
	v_fmac_f64_e32 v[142:143], v[134:135], v[160:161]
	v_fma_f64 v[4:5], v[120:121], v[68:69], -v[4:5]
	v_add_f64 v[144:145], v[140:141], v[142:143]
	ds_read_b128 v[140:143], v1 offset:1232
	s_waitcnt lgkmcnt(1)
	v_mul_f64 v[146:147], v[136:137], v[82:83]
	v_add_f64 v[2:3], v[2:3], v[4:5]
	v_mul_f64 v[4:5], v[126:127], v[78:79]
	v_fmac_f64_e32 v[146:147], v[138:139], v[84:85]
	v_fma_f64 v[4:5], v[124:125], v[80:81], -v[4:5]
	v_add_f64 v[148:149], v[144:145], v[146:147]
	ds_read_b128 v[144:147], v1 offset:1248
	v_add_f64 v[2:3], v[2:3], v[4:5]
	v_mul_f64 v[4:5], v[130:131], v[74:75]
	v_fma_f64 v[4:5], v[128:129], v[76:77], -v[4:5]
	v_add_f64 v[2:3], v[2:3], v[4:5]
	v_mul_f64 v[4:5], v[134:135], v[118:119]
	s_waitcnt vmcnt(14) lgkmcnt(1)
	v_mul_f64 v[150:151], v[140:141], v[166:167]
	v_fma_f64 v[4:5], v[132:133], v[160:161], -v[4:5]
	s_waitcnt vmcnt(12)
	v_fmac_f64_e32 v[150:151], v[142:143], v[168:169]
	v_add_f64 v[2:3], v[2:3], v[4:5]
	v_mul_f64 v[4:5], v[138:139], v[82:83]
	v_add_f64 v[152:153], v[148:149], v[150:151]
	ds_read_b128 v[148:151], v1 offset:1264
	s_waitcnt lgkmcnt(1)
	v_mul_f64 v[154:155], v[144:145], v[162:163]
	v_fma_f64 v[4:5], v[136:137], v[84:85], -v[4:5]
	v_fmac_f64_e32 v[154:155], v[146:147], v[164:165]
	v_add_f64 v[2:3], v[2:3], v[4:5]
	v_mul_f64 v[4:5], v[142:143], v[166:167]
	v_add_f64 v[182:183], v[152:153], v[154:155]
	ds_read_b128 v[152:155], v1 offset:1280
	ds_read_b128 v[156:159], v1 offset:1296
	v_fma_f64 v[4:5], v[140:141], v[168:169], -v[4:5]
	v_add_f64 v[2:3], v[2:3], v[4:5]
	v_mul_f64 v[4:5], v[146:147], v[162:163]
	v_fma_f64 v[4:5], v[144:145], v[164:165], -v[4:5]
	v_add_f64 v[2:3], v[2:3], v[4:5]
	s_waitcnt vmcnt(6) lgkmcnt(2)
	v_mul_f64 v[4:5], v[150:151], v[174:175]
	v_mul_f64 v[184:185], v[148:149], v[174:175]
	s_waitcnt vmcnt(4)
	v_fma_f64 v[4:5], v[148:149], v[176:177], -v[4:5]
	v_fmac_f64_e32 v[184:185], v[150:151], v[176:177]
	v_add_f64 v[2:3], v[2:3], v[4:5]
	s_waitcnt lgkmcnt(1)
	v_mul_f64 v[4:5], v[154:155], v[170:171]
	v_add_f64 v[182:183], v[182:183], v[184:185]
	v_mul_f64 v[184:185], v[152:153], v[170:171]
	v_fma_f64 v[4:5], v[152:153], v[172:173], -v[4:5]
	v_fmac_f64_e32 v[184:185], v[154:155], v[172:173]
	v_add_f64 v[2:3], v[2:3], v[4:5]
	s_waitcnt vmcnt(2) lgkmcnt(0)
	v_mul_f64 v[4:5], v[158:159], v[178:179]
	v_add_f64 v[182:183], v[182:183], v[184:185]
	v_mul_f64 v[184:185], v[156:157], v[178:179]
	s_waitcnt vmcnt(0)
	v_fma_f64 v[4:5], v[156:157], v[180:181], -v[4:5]
	v_fmac_f64_e32 v[184:185], v[158:159], v[180:181]
	v_add_f64 v[2:3], v[2:3], v[4:5]
	v_add_f64 v[182:183], v[182:183], v[184:185]
	v_add_f64 v[2:3], v[20:21], -v[2:3]
	v_cmp_lt_u32_e32 vcc, 17, v254
	v_add_f64 v[4:5], v[18:19], -v[182:183]
	buffer_store_dword v3, off, s[0:3], 0 offset:308
	buffer_store_dword v2, off, s[0:3], 0 offset:304
	;; [unrolled: 1-line block ×4, first 2 shown]
	s_and_saveexec_b64 s[4:5], vcc
	s_cbranch_execz .LBB104_225
; %bb.224:
	v_accvgpr_read_b32 v0, a105
	buffer_load_dword v2, v0, s[0:3], 0 offen
	buffer_load_dword v3, v0, s[0:3], 0 offen offset:4
	buffer_load_dword v4, v0, s[0:3], 0 offen offset:8
	;; [unrolled: 1-line block ×3, first 2 shown]
	v_mov_b32_e32 v0, 0
	v_accvgpr_read_b32 v1, a123
	buffer_store_dword v0, off, s[0:3], 0 offset:288
	buffer_store_dword v0, off, s[0:3], 0 offset:292
	;; [unrolled: 1-line block ×4, first 2 shown]
	s_waitcnt vmcnt(4)
	ds_write_b128 v1, v[2:5]
.LBB104_225:
	s_or_b64 exec, exec, s[4:5]
	s_waitcnt lgkmcnt(0)
	; wave barrier
	s_waitcnt lgkmcnt(0)
	buffer_load_dword v9, off, s[0:3], 0 offset:316
	buffer_load_dword v6, off, s[0:3], 0 offset:328
	;; [unrolled: 1-line block ×64, first 2 shown]
	v_mov_b32_e32 v1, 0
	ds_read_b128 v[74:77], v1 offset:944
	ds_read_b128 v[78:81], v1 offset:960
	buffer_load_dword v67, off, s[0:3], 0 offset:572
	buffer_load_dword v66, off, s[0:3], 0 offset:568
	;; [unrolled: 1-line block ×8, first 2 shown]
	ds_read_b128 v[82:85], v1 offset:976
	ds_read_b128 v[86:89], v1 offset:992
	buffer_load_dword v119, off, s[0:3], 0 offset:604
	buffer_load_dword v118, off, s[0:3], 0 offset:600
	buffer_load_dword v169, off, s[0:3], 0 offset:596
	buffer_load_dword v168, off, s[0:3], 0 offset:592
	buffer_load_dword v171, off, s[0:3], 0 offset:588
	buffer_load_dword v170, off, s[0:3], 0 offset:584
	buffer_load_dword v173, off, s[0:3], 0 offset:580
	buffer_load_dword v172, off, s[0:3], 0 offset:576
	buffer_load_dword v175, off, s[0:3], 0 offset:636
	buffer_load_dword v174, off, s[0:3], 0 offset:632
	buffer_load_dword v177, off, s[0:3], 0 offset:628
	buffer_load_dword v176, off, s[0:3], 0 offset:624
	buffer_load_dword v179, off, s[0:3], 0 offset:620
	buffer_load_dword v178, off, s[0:3], 0 offset:616
	buffer_load_dword v181, off, s[0:3], 0 offset:612
	buffer_load_dword v180, off, s[0:3], 0 offset:608
	buffer_load_dword v183, off, s[0:3], 0 offset:668
	buffer_load_dword v182, off, s[0:3], 0 offset:664
	buffer_load_dword v185, off, s[0:3], 0 offset:660
	buffer_load_dword v184, off, s[0:3], 0 offset:656
	buffer_load_dword v187, off, s[0:3], 0 offset:652
	buffer_load_dword v186, off, s[0:3], 0 offset:648
	buffer_load_dword v189, off, s[0:3], 0 offset:644
	buffer_load_dword v188, off, s[0:3], 0 offset:640
	ds_read_b128 v[164:167], v1 offset:1296
	v_cmp_lt_u32_e32 vcc, 16, v254
	s_waitcnt vmcnt(62) lgkmcnt(1)
	v_mul_f64 v[96:97], v[86:87], v[22:23]
	v_fmac_f64_e32 v[96:97], v[88:89], v[24:25]
	v_mul_f64 v[92:93], v[78:79], v[6:7]
	v_mul_f64 v[90:91], v[74:75], v[8:9]
	;; [unrolled: 1-line block ×3, first 2 shown]
	v_fmac_f64_e32 v[90:91], v[76:77], v[10:11]
	v_add_f64 v[90:91], v[90:91], 0
	v_fma_f64 v[8:9], v[74:75], v[10:11], -v[8:9]
	v_mul_f64 v[6:7], v[80:81], v[6:7]
	v_add_f64 v[8:9], v[8:9], 0
	v_fmac_f64_e32 v[92:93], v[80:81], v[14:15]
	v_add_f64 v[90:91], v[90:91], v[92:93]
	v_mul_f64 v[92:93], v[82:83], v[16:17]
	v_fmac_f64_e32 v[92:93], v[84:85], v[12:13]
	v_add_f64 v[94:95], v[90:91], v[92:93]
	ds_read_b128 v[90:93], v1 offset:1008
	v_add_f64 v[98:99], v[94:95], v[96:97]
	ds_read_b128 v[94:97], v1 offset:1024
	v_fma_f64 v[6:7], v[78:79], v[14:15], -v[6:7]
	v_add_f64 v[6:7], v[8:9], v[6:7]
	s_waitcnt lgkmcnt(1)
	v_mul_f64 v[100:101], v[90:91], v[18:19]
	v_fmac_f64_e32 v[100:101], v[92:93], v[20:21]
	v_add_f64 v[102:103], v[98:99], v[100:101]
	ds_read_b128 v[98:101], v1 offset:1040
	s_waitcnt lgkmcnt(1)
	v_mul_f64 v[104:105], v[94:95], v[30:31]
	v_fmac_f64_e32 v[104:105], v[96:97], v[32:33]
	v_add_f64 v[106:107], v[102:103], v[104:105]
	ds_read_b128 v[102:105], v1 offset:1056
	;; [unrolled: 5-line block ×3, first 2 shown]
	s_waitcnt vmcnt(58) lgkmcnt(1)
	v_mul_f64 v[112:113], v[102:103], v[38:39]
	s_waitcnt vmcnt(56)
	v_fmac_f64_e32 v[112:113], v[104:105], v[40:41]
	v_add_f64 v[114:115], v[110:111], v[112:113]
	ds_read_b128 v[110:113], v1 offset:1088
	s_waitcnt lgkmcnt(1)
	v_mul_f64 v[116:117], v[106:107], v[34:35]
	v_fmac_f64_e32 v[116:117], v[108:109], v[36:37]
	v_add_f64 v[120:121], v[114:115], v[116:117]
	ds_read_b128 v[114:117], v1 offset:1104
	s_waitcnt vmcnt(50) lgkmcnt(1)
	v_mul_f64 v[122:123], v[110:111], v[46:47]
	s_waitcnt vmcnt(48)
	v_fmac_f64_e32 v[122:123], v[112:113], v[48:49]
	v_add_f64 v[124:125], v[120:121], v[122:123]
	ds_read_b128 v[120:123], v1 offset:1120
	v_mul_f64 v[8:9], v[84:85], v[16:17]
	s_waitcnt lgkmcnt(1)
	v_mul_f64 v[126:127], v[114:115], v[42:43]
	v_fma_f64 v[8:9], v[82:83], v[12:13], -v[8:9]
	v_fmac_f64_e32 v[126:127], v[116:117], v[44:45]
	v_add_f64 v[6:7], v[6:7], v[8:9]
	v_mul_f64 v[8:9], v[88:89], v[22:23]
	v_add_f64 v[128:129], v[124:125], v[126:127]
	ds_read_b128 v[124:127], v1 offset:1136
	s_waitcnt vmcnt(42) lgkmcnt(1)
	v_mul_f64 v[130:131], v[120:121], v[54:55]
	v_fma_f64 v[8:9], v[86:87], v[24:25], -v[8:9]
	s_waitcnt vmcnt(40)
	v_fmac_f64_e32 v[130:131], v[122:123], v[56:57]
	v_add_f64 v[6:7], v[6:7], v[8:9]
	v_mul_f64 v[8:9], v[92:93], v[18:19]
	v_add_f64 v[132:133], v[128:129], v[130:131]
	ds_read_b128 v[128:131], v1 offset:1152
	v_fma_f64 v[8:9], v[90:91], v[20:21], -v[8:9]
	v_add_f64 v[6:7], v[6:7], v[8:9]
	v_mul_f64 v[8:9], v[96:97], v[30:31]
	v_fma_f64 v[8:9], v[94:95], v[32:33], -v[8:9]
	s_waitcnt lgkmcnt(1)
	v_mul_f64 v[134:135], v[124:125], v[50:51]
	v_add_f64 v[6:7], v[6:7], v[8:9]
	v_mul_f64 v[8:9], v[100:101], v[26:27]
	v_fmac_f64_e32 v[134:135], v[126:127], v[52:53]
	v_fma_f64 v[8:9], v[98:99], v[28:29], -v[8:9]
	v_add_f64 v[136:137], v[132:133], v[134:135]
	ds_read_b128 v[132:135], v1 offset:1168
	s_waitcnt vmcnt(34) lgkmcnt(1)
	v_mul_f64 v[138:139], v[128:129], v[62:63]
	v_add_f64 v[6:7], v[6:7], v[8:9]
	v_mul_f64 v[8:9], v[104:105], v[38:39]
	s_waitcnt vmcnt(32)
	v_fmac_f64_e32 v[138:139], v[130:131], v[64:65]
	v_fma_f64 v[8:9], v[102:103], v[40:41], -v[8:9]
	v_add_f64 v[140:141], v[136:137], v[138:139]
	ds_read_b128 v[136:139], v1 offset:1184
	v_add_f64 v[6:7], v[6:7], v[8:9]
	v_mul_f64 v[8:9], v[108:109], v[34:35]
	v_fma_f64 v[8:9], v[106:107], v[36:37], -v[8:9]
	v_add_f64 v[6:7], v[6:7], v[8:9]
	v_mul_f64 v[8:9], v[112:113], v[46:47]
	s_waitcnt lgkmcnt(1)
	v_mul_f64 v[142:143], v[132:133], v[58:59]
	v_fma_f64 v[8:9], v[110:111], v[48:49], -v[8:9]
	v_fmac_f64_e32 v[142:143], v[134:135], v[60:61]
	v_add_f64 v[6:7], v[6:7], v[8:9]
	v_mul_f64 v[8:9], v[116:117], v[42:43]
	v_add_f64 v[144:145], v[140:141], v[142:143]
	ds_read_b128 v[140:143], v1 offset:1200
	s_waitcnt vmcnt(26) lgkmcnt(1)
	v_mul_f64 v[146:147], v[136:137], v[70:71]
	v_fma_f64 v[8:9], v[114:115], v[44:45], -v[8:9]
	s_waitcnt vmcnt(24)
	v_fmac_f64_e32 v[146:147], v[138:139], v[72:73]
	v_add_f64 v[6:7], v[6:7], v[8:9]
	v_mul_f64 v[8:9], v[122:123], v[54:55]
	v_add_f64 v[148:149], v[144:145], v[146:147]
	ds_read_b128 v[144:147], v1 offset:1216
	v_fma_f64 v[8:9], v[120:121], v[56:57], -v[8:9]
	v_add_f64 v[6:7], v[6:7], v[8:9]
	v_mul_f64 v[8:9], v[126:127], v[50:51]
	v_fma_f64 v[8:9], v[124:125], v[52:53], -v[8:9]
	s_waitcnt lgkmcnt(1)
	v_mul_f64 v[150:151], v[140:141], v[66:67]
	v_add_f64 v[6:7], v[6:7], v[8:9]
	v_mul_f64 v[8:9], v[130:131], v[62:63]
	v_fmac_f64_e32 v[150:151], v[142:143], v[68:69]
	v_fma_f64 v[8:9], v[128:129], v[64:65], -v[8:9]
	v_add_f64 v[152:153], v[148:149], v[150:151]
	ds_read_b128 v[148:151], v1 offset:1232
	s_waitcnt vmcnt(18) lgkmcnt(1)
	v_mul_f64 v[154:155], v[144:145], v[170:171]
	v_add_f64 v[6:7], v[6:7], v[8:9]
	v_mul_f64 v[8:9], v[134:135], v[58:59]
	s_waitcnt vmcnt(16)
	v_fmac_f64_e32 v[154:155], v[146:147], v[172:173]
	v_fma_f64 v[8:9], v[132:133], v[60:61], -v[8:9]
	v_add_f64 v[156:157], v[152:153], v[154:155]
	ds_read_b128 v[152:155], v1 offset:1248
	v_add_f64 v[6:7], v[6:7], v[8:9]
	v_mul_f64 v[8:9], v[138:139], v[70:71]
	v_fma_f64 v[8:9], v[136:137], v[72:73], -v[8:9]
	v_add_f64 v[6:7], v[6:7], v[8:9]
	v_mul_f64 v[8:9], v[142:143], v[66:67]
	s_waitcnt lgkmcnt(1)
	v_mul_f64 v[158:159], v[148:149], v[118:119]
	v_fma_f64 v[8:9], v[140:141], v[68:69], -v[8:9]
	v_fmac_f64_e32 v[158:159], v[150:151], v[168:169]
	v_add_f64 v[6:7], v[6:7], v[8:9]
	v_mul_f64 v[8:9], v[146:147], v[170:171]
	v_add_f64 v[160:161], v[156:157], v[158:159]
	ds_read_b128 v[156:159], v1 offset:1264
	s_waitcnt vmcnt(10) lgkmcnt(1)
	v_mul_f64 v[162:163], v[152:153], v[178:179]
	v_fma_f64 v[8:9], v[144:145], v[172:173], -v[8:9]
	s_waitcnt vmcnt(8)
	v_fmac_f64_e32 v[162:163], v[154:155], v[180:181]
	v_add_f64 v[6:7], v[6:7], v[8:9]
	v_mul_f64 v[8:9], v[150:151], v[118:119]
	v_add_f64 v[190:191], v[160:161], v[162:163]
	ds_read_b128 v[160:163], v1 offset:1280
	v_fma_f64 v[8:9], v[148:149], v[168:169], -v[8:9]
	v_add_f64 v[6:7], v[6:7], v[8:9]
	v_mul_f64 v[8:9], v[154:155], v[178:179]
	v_fma_f64 v[8:9], v[152:153], v[180:181], -v[8:9]
	v_add_f64 v[6:7], v[6:7], v[8:9]
	s_waitcnt lgkmcnt(1)
	v_mul_f64 v[8:9], v[158:159], v[174:175]
	v_mul_f64 v[192:193], v[156:157], v[174:175]
	v_fma_f64 v[8:9], v[156:157], v[176:177], -v[8:9]
	v_fmac_f64_e32 v[192:193], v[158:159], v[176:177]
	v_add_f64 v[6:7], v[6:7], v[8:9]
	s_waitcnt vmcnt(2) lgkmcnt(0)
	v_mul_f64 v[8:9], v[162:163], v[186:187]
	v_add_f64 v[190:191], v[190:191], v[192:193]
	v_mul_f64 v[192:193], v[160:161], v[186:187]
	s_waitcnt vmcnt(0)
	v_fma_f64 v[8:9], v[160:161], v[188:189], -v[8:9]
	v_fmac_f64_e32 v[192:193], v[162:163], v[188:189]
	v_add_f64 v[6:7], v[6:7], v[8:9]
	v_mul_f64 v[8:9], v[166:167], v[182:183]
	v_add_f64 v[190:191], v[190:191], v[192:193]
	v_mul_f64 v[192:193], v[164:165], v[182:183]
	v_fma_f64 v[8:9], v[164:165], v[184:185], -v[8:9]
	v_fmac_f64_e32 v[192:193], v[166:167], v[184:185]
	v_add_f64 v[6:7], v[6:7], v[8:9]
	v_add_f64 v[190:191], v[190:191], v[192:193]
	v_add_f64 v[4:5], v[4:5], -v[6:7]
	v_add_f64 v[2:3], v[2:3], -v[190:191]
	buffer_store_dword v5, off, s[0:3], 0 offset:292
	buffer_store_dword v4, off, s[0:3], 0 offset:288
	;; [unrolled: 1-line block ×4, first 2 shown]
	s_and_saveexec_b64 s[4:5], vcc
	s_cbranch_execz .LBB104_227
; %bb.226:
	v_accvgpr_read_b32 v0, a106
	buffer_load_dword v2, v0, s[0:3], 0 offen
	buffer_load_dword v3, v0, s[0:3], 0 offen offset:4
	buffer_load_dword v4, v0, s[0:3], 0 offen offset:8
	;; [unrolled: 1-line block ×3, first 2 shown]
	v_accvgpr_read_b32 v0, a123
	buffer_store_dword v1, off, s[0:3], 0 offset:272
	buffer_store_dword v1, off, s[0:3], 0 offset:276
	;; [unrolled: 1-line block ×4, first 2 shown]
	s_waitcnt vmcnt(4)
	ds_write_b128 v0, v[2:5]
.LBB104_227:
	s_or_b64 exec, exec, s[4:5]
	s_waitcnt lgkmcnt(0)
	; wave barrier
	s_waitcnt lgkmcnt(0)
	buffer_load_dword v22, off, s[0:3], 0 offset:288
	buffer_load_dword v23, off, s[0:3], 0 offset:292
	;; [unrolled: 1-line block ×16, first 2 shown]
	ds_read_b128 v[2:5], v1 offset:928
	ds_read_b128 v[6:9], v1 offset:944
	;; [unrolled: 1-line block ×4, first 2 shown]
	buffer_load_dword v35, off, s[0:3], 0 offset:364
	buffer_load_dword v34, off, s[0:3], 0 offset:360
	buffer_load_dword v37, off, s[0:3], 0 offset:356
	buffer_load_dword v36, off, s[0:3], 0 offset:352
	buffer_load_dword v39, off, s[0:3], 0 offset:348
	buffer_load_dword v38, off, s[0:3], 0 offset:344
	buffer_load_dword v41, off, s[0:3], 0 offset:340
	buffer_load_dword v40, off, s[0:3], 0 offset:336
	buffer_load_dword v43, off, s[0:3], 0 offset:396
	buffer_load_dword v42, off, s[0:3], 0 offset:392
	buffer_load_dword v45, off, s[0:3], 0 offset:388
	buffer_load_dword v44, off, s[0:3], 0 offset:384
	buffer_load_dword v47, off, s[0:3], 0 offset:380
	buffer_load_dword v46, off, s[0:3], 0 offset:376
	buffer_load_dword v49, off, s[0:3], 0 offset:372
	buffer_load_dword v48, off, s[0:3], 0 offset:368
	buffer_load_dword v51, off, s[0:3], 0 offset:428
	buffer_load_dword v50, off, s[0:3], 0 offset:424
	buffer_load_dword v53, off, s[0:3], 0 offset:420
	buffer_load_dword v52, off, s[0:3], 0 offset:416
	buffer_load_dword v55, off, s[0:3], 0 offset:412
	buffer_load_dword v54, off, s[0:3], 0 offset:408
	buffer_load_dword v57, off, s[0:3], 0 offset:404
	buffer_load_dword v56, off, s[0:3], 0 offset:400
	buffer_load_dword v59, off, s[0:3], 0 offset:460
	buffer_load_dword v58, off, s[0:3], 0 offset:456
	buffer_load_dword v61, off, s[0:3], 0 offset:452
	buffer_load_dword v60, off, s[0:3], 0 offset:448
	buffer_load_dword v63, off, s[0:3], 0 offset:444
	buffer_load_dword v62, off, s[0:3], 0 offset:440
	buffer_load_dword v65, off, s[0:3], 0 offset:436
	buffer_load_dword v64, off, s[0:3], 0 offset:432
	buffer_load_dword v67, off, s[0:3], 0 offset:492
	buffer_load_dword v66, off, s[0:3], 0 offset:488
	buffer_load_dword v69, off, s[0:3], 0 offset:484
	buffer_load_dword v68, off, s[0:3], 0 offset:480
	buffer_load_dword v71, off, s[0:3], 0 offset:476
	buffer_load_dword v70, off, s[0:3], 0 offset:472
	buffer_load_dword v73, off, s[0:3], 0 offset:468
	buffer_load_dword v72, off, s[0:3], 0 offset:464
	buffer_load_dword v75, off, s[0:3], 0 offset:524
	buffer_load_dword v74, off, s[0:3], 0 offset:520
	buffer_load_dword v77, off, s[0:3], 0 offset:516
	buffer_load_dword v76, off, s[0:3], 0 offset:512
	buffer_load_dword v79, off, s[0:3], 0 offset:508
	buffer_load_dword v78, off, s[0:3], 0 offset:504
	buffer_load_dword v81, off, s[0:3], 0 offset:500
	buffer_load_dword v80, off, s[0:3], 0 offset:496
	v_cmp_lt_u32_e32 vcc, 15, v254
	s_waitcnt vmcnt(42) lgkmcnt(0)
	v_mul_f64 v[104:105], v[14:15], v[38:39]
	s_waitcnt vmcnt(40)
	v_fmac_f64_e32 v[104:105], v[16:17], v[40:41]
	v_mul_f64 v[82:83], v[2:3], v[24:25]
	v_fmac_f64_e32 v[82:83], v[4:5], v[22:23]
	v_add_f64 v[82:83], v[82:83], 0
	v_mul_f64 v[4:5], v[4:5], v[24:25]
	v_mul_f64 v[84:85], v[6:7], v[32:33]
	v_fma_f64 v[2:3], v[2:3], v[22:23], -v[4:5]
	v_mul_f64 v[98:99], v[10:11], v[26:27]
	v_fmac_f64_e32 v[98:99], v[12:13], v[30:31]
	v_fmac_f64_e32 v[84:85], v[8:9], v[28:29]
	v_add_f64 v[100:101], v[82:83], v[84:85]
	buffer_load_dword v83, off, s[0:3], 0 offset:556
	buffer_load_dword v82, off, s[0:3], 0 offset:552
	;; [unrolled: 1-line block ×32, first 2 shown]
	v_add_f64 v[102:103], v[100:101], v[98:99]
	ds_read_b128 v[98:101], v1 offset:992
	buffer_load_dword v195, off, s[0:3], 0 offset:668
	buffer_load_dword v194, off, s[0:3], 0 offset:664
	;; [unrolled: 1-line block ×4, first 2 shown]
	v_add_f64 v[106:107], v[102:103], v[104:105]
	ds_read_b128 v[102:105], v1 offset:1008
	v_mul_f64 v[4:5], v[8:9], v[32:33]
	s_waitcnt lgkmcnt(1)
	v_mul_f64 v[108:109], v[98:99], v[34:35]
	v_fmac_f64_e32 v[108:109], v[100:101], v[36:37]
	v_add_f64 v[110:111], v[106:107], v[108:109]
	ds_read_b128 v[106:109], v1 offset:1024
	s_waitcnt vmcnt(62) lgkmcnt(1)
	v_mul_f64 v[112:113], v[102:103], v[46:47]
	v_fmac_f64_e32 v[112:113], v[104:105], v[48:49]
	v_add_f64 v[114:115], v[110:111], v[112:113]
	ds_read_b128 v[110:113], v1 offset:1040
	s_waitcnt lgkmcnt(1)
	v_mul_f64 v[116:117], v[106:107], v[42:43]
	v_fmac_f64_e32 v[116:117], v[108:109], v[44:45]
	v_add_f64 v[120:121], v[114:115], v[116:117]
	ds_read_b128 v[114:117], v1 offset:1056
	s_waitcnt lgkmcnt(1)
	v_mul_f64 v[122:123], v[110:111], v[54:55]
	s_waitcnt vmcnt(60)
	v_fmac_f64_e32 v[122:123], v[112:113], v[56:57]
	v_add_f64 v[124:125], v[120:121], v[122:123]
	ds_read_b128 v[120:123], v1 offset:1072
	s_waitcnt lgkmcnt(1)
	v_mul_f64 v[126:127], v[114:115], v[50:51]
	v_fmac_f64_e32 v[126:127], v[116:117], v[52:53]
	v_add_f64 v[128:129], v[124:125], v[126:127]
	ds_read_b128 v[124:127], v1 offset:1088
	s_waitcnt vmcnt(54) lgkmcnt(1)
	v_mul_f64 v[130:131], v[120:121], v[62:63]
	s_waitcnt vmcnt(52)
	v_fmac_f64_e32 v[130:131], v[122:123], v[64:65]
	v_add_f64 v[132:133], v[128:129], v[130:131]
	ds_read_b128 v[128:131], v1 offset:1104
	s_waitcnt lgkmcnt(1)
	v_mul_f64 v[134:135], v[124:125], v[58:59]
	v_fmac_f64_e32 v[134:135], v[126:127], v[60:61]
	v_add_f64 v[2:3], v[2:3], 0
	v_fma_f64 v[4:5], v[6:7], v[28:29], -v[4:5]
	v_add_f64 v[136:137], v[132:133], v[134:135]
	ds_read_b128 v[132:135], v1 offset:1120
	v_add_f64 v[2:3], v[2:3], v[4:5]
	v_mul_f64 v[4:5], v[12:13], v[26:27]
	v_fma_f64 v[4:5], v[10:11], v[30:31], -v[4:5]
	v_add_f64 v[2:3], v[2:3], v[4:5]
	v_mul_f64 v[4:5], v[16:17], v[38:39]
	s_waitcnt vmcnt(46) lgkmcnt(1)
	v_mul_f64 v[138:139], v[128:129], v[70:71]
	v_fma_f64 v[4:5], v[14:15], v[40:41], -v[4:5]
	s_waitcnt vmcnt(44)
	v_fmac_f64_e32 v[138:139], v[130:131], v[72:73]
	v_add_f64 v[2:3], v[2:3], v[4:5]
	v_mul_f64 v[4:5], v[100:101], v[34:35]
	v_add_f64 v[140:141], v[136:137], v[138:139]
	ds_read_b128 v[136:139], v1 offset:1136
	s_waitcnt lgkmcnt(1)
	v_mul_f64 v[142:143], v[132:133], v[66:67]
	v_fma_f64 v[4:5], v[98:99], v[36:37], -v[4:5]
	v_fmac_f64_e32 v[142:143], v[134:135], v[68:69]
	v_add_f64 v[2:3], v[2:3], v[4:5]
	v_mul_f64 v[4:5], v[104:105], v[46:47]
	v_add_f64 v[144:145], v[140:141], v[142:143]
	ds_read_b128 v[140:143], v1 offset:1152
	v_fma_f64 v[4:5], v[102:103], v[48:49], -v[4:5]
	v_add_f64 v[2:3], v[2:3], v[4:5]
	v_mul_f64 v[4:5], v[108:109], v[42:43]
	v_fma_f64 v[4:5], v[106:107], v[44:45], -v[4:5]
	s_waitcnt vmcnt(38) lgkmcnt(1)
	v_mul_f64 v[146:147], v[136:137], v[78:79]
	v_add_f64 v[2:3], v[2:3], v[4:5]
	v_mul_f64 v[4:5], v[112:113], v[54:55]
	s_waitcnt vmcnt(36)
	v_fmac_f64_e32 v[146:147], v[138:139], v[80:81]
	v_fma_f64 v[4:5], v[110:111], v[56:57], -v[4:5]
	v_add_f64 v[148:149], v[144:145], v[146:147]
	ds_read_b128 v[144:147], v1 offset:1168
	s_waitcnt lgkmcnt(1)
	v_mul_f64 v[150:151], v[140:141], v[74:75]
	v_add_f64 v[2:3], v[2:3], v[4:5]
	v_mul_f64 v[4:5], v[116:117], v[50:51]
	v_fmac_f64_e32 v[150:151], v[142:143], v[76:77]
	v_fma_f64 v[4:5], v[114:115], v[52:53], -v[4:5]
	v_add_f64 v[152:153], v[148:149], v[150:151]
	ds_read_b128 v[148:151], v1 offset:1184
	v_add_f64 v[2:3], v[2:3], v[4:5]
	v_mul_f64 v[4:5], v[122:123], v[62:63]
	v_fma_f64 v[4:5], v[120:121], v[64:65], -v[4:5]
	v_add_f64 v[2:3], v[2:3], v[4:5]
	v_mul_f64 v[4:5], v[126:127], v[58:59]
	s_waitcnt vmcnt(30) lgkmcnt(1)
	v_mul_f64 v[154:155], v[144:145], v[86:87]
	v_fma_f64 v[4:5], v[124:125], v[60:61], -v[4:5]
	s_waitcnt vmcnt(28)
	v_fmac_f64_e32 v[154:155], v[146:147], v[88:89]
	v_add_f64 v[2:3], v[2:3], v[4:5]
	v_mul_f64 v[4:5], v[130:131], v[70:71]
	v_add_f64 v[156:157], v[152:153], v[154:155]
	ds_read_b128 v[152:155], v1 offset:1200
	s_waitcnt lgkmcnt(1)
	v_mul_f64 v[158:159], v[148:149], v[82:83]
	v_fma_f64 v[4:5], v[128:129], v[72:73], -v[4:5]
	v_fmac_f64_e32 v[158:159], v[150:151], v[84:85]
	v_add_f64 v[2:3], v[2:3], v[4:5]
	v_mul_f64 v[4:5], v[134:135], v[66:67]
	v_add_f64 v[160:161], v[156:157], v[158:159]
	ds_read_b128 v[156:159], v1 offset:1216
	v_fma_f64 v[4:5], v[132:133], v[68:69], -v[4:5]
	v_add_f64 v[2:3], v[2:3], v[4:5]
	v_mul_f64 v[4:5], v[138:139], v[78:79]
	v_fma_f64 v[4:5], v[136:137], v[80:81], -v[4:5]
	s_waitcnt vmcnt(22) lgkmcnt(1)
	v_mul_f64 v[162:163], v[152:153], v[94:95]
	v_add_f64 v[2:3], v[2:3], v[4:5]
	v_mul_f64 v[4:5], v[142:143], v[74:75]
	s_waitcnt vmcnt(20)
	v_fmac_f64_e32 v[162:163], v[154:155], v[96:97]
	v_fma_f64 v[4:5], v[140:141], v[76:77], -v[4:5]
	v_add_f64 v[164:165], v[160:161], v[162:163]
	ds_read_b128 v[160:163], v1 offset:1232
	s_waitcnt lgkmcnt(1)
	v_mul_f64 v[166:167], v[156:157], v[90:91]
	v_add_f64 v[2:3], v[2:3], v[4:5]
	v_mul_f64 v[4:5], v[146:147], v[86:87]
	v_fmac_f64_e32 v[166:167], v[158:159], v[92:93]
	v_fma_f64 v[4:5], v[144:145], v[88:89], -v[4:5]
	v_add_f64 v[168:169], v[164:165], v[166:167]
	ds_read_b128 v[164:167], v1 offset:1248
	v_add_f64 v[2:3], v[2:3], v[4:5]
	v_mul_f64 v[4:5], v[150:151], v[82:83]
	v_fma_f64 v[4:5], v[148:149], v[84:85], -v[4:5]
	v_add_f64 v[2:3], v[2:3], v[4:5]
	v_mul_f64 v[4:5], v[154:155], v[94:95]
	s_waitcnt vmcnt(14) lgkmcnt(1)
	v_mul_f64 v[170:171], v[160:161], v[182:183]
	v_fma_f64 v[4:5], v[152:153], v[96:97], -v[4:5]
	s_waitcnt vmcnt(12)
	v_fmac_f64_e32 v[170:171], v[162:163], v[184:185]
	v_add_f64 v[2:3], v[2:3], v[4:5]
	v_mul_f64 v[4:5], v[158:159], v[90:91]
	v_add_f64 v[172:173], v[168:169], v[170:171]
	ds_read_b128 v[168:171], v1 offset:1264
	s_waitcnt lgkmcnt(1)
	v_mul_f64 v[174:175], v[164:165], v[118:119]
	v_fma_f64 v[4:5], v[156:157], v[92:93], -v[4:5]
	v_fmac_f64_e32 v[174:175], v[166:167], v[180:181]
	v_add_f64 v[2:3], v[2:3], v[4:5]
	v_mul_f64 v[4:5], v[162:163], v[182:183]
	v_add_f64 v[198:199], v[172:173], v[174:175]
	ds_read_b128 v[172:175], v1 offset:1280
	v_fma_f64 v[4:5], v[160:161], v[184:185], -v[4:5]
	v_add_f64 v[2:3], v[2:3], v[4:5]
	v_mul_f64 v[4:5], v[166:167], v[118:119]
	ds_read_b128 v[176:179], v1 offset:1296
	v_fma_f64 v[4:5], v[164:165], v[180:181], -v[4:5]
	v_add_f64 v[2:3], v[2:3], v[4:5]
	s_waitcnt vmcnt(6) lgkmcnt(2)
	v_mul_f64 v[4:5], v[170:171], v[190:191]
	v_mul_f64 v[200:201], v[168:169], v[190:191]
	s_waitcnt vmcnt(4)
	v_fma_f64 v[4:5], v[168:169], v[192:193], -v[4:5]
	v_fmac_f64_e32 v[200:201], v[170:171], v[192:193]
	v_add_f64 v[2:3], v[2:3], v[4:5]
	s_waitcnt lgkmcnt(1)
	v_mul_f64 v[4:5], v[174:175], v[186:187]
	v_add_f64 v[198:199], v[198:199], v[200:201]
	v_mul_f64 v[200:201], v[172:173], v[186:187]
	v_fma_f64 v[4:5], v[172:173], v[188:189], -v[4:5]
	v_fmac_f64_e32 v[200:201], v[174:175], v[188:189]
	v_add_f64 v[2:3], v[2:3], v[4:5]
	s_waitcnt vmcnt(2) lgkmcnt(0)
	v_mul_f64 v[4:5], v[178:179], v[194:195]
	v_add_f64 v[198:199], v[198:199], v[200:201]
	v_mul_f64 v[200:201], v[176:177], v[194:195]
	s_waitcnt vmcnt(0)
	v_fma_f64 v[4:5], v[176:177], v[196:197], -v[4:5]
	v_fmac_f64_e32 v[200:201], v[178:179], v[196:197]
	v_add_f64 v[2:3], v[2:3], v[4:5]
	v_add_f64 v[198:199], v[198:199], v[200:201]
	v_add_f64 v[2:3], v[20:21], -v[2:3]
	v_add_f64 v[4:5], v[18:19], -v[198:199]
	buffer_store_dword v3, off, s[0:3], 0 offset:276
	buffer_store_dword v2, off, s[0:3], 0 offset:272
	;; [unrolled: 1-line block ×4, first 2 shown]
	s_and_saveexec_b64 s[4:5], vcc
	s_cbranch_execz .LBB104_229
; %bb.228:
	v_accvgpr_read_b32 v0, a107
	buffer_load_dword v2, v0, s[0:3], 0 offen
	buffer_load_dword v3, v0, s[0:3], 0 offen offset:4
	buffer_load_dword v4, v0, s[0:3], 0 offen offset:8
	buffer_load_dword v5, v0, s[0:3], 0 offen offset:12
	v_mov_b32_e32 v0, 0
	v_accvgpr_read_b32 v1, a123
	buffer_store_dword v0, off, s[0:3], 0 offset:256
	buffer_store_dword v0, off, s[0:3], 0 offset:260
	;; [unrolled: 1-line block ×4, first 2 shown]
	s_waitcnt vmcnt(4)
	ds_write_b128 v1, v[2:5]
.LBB104_229:
	s_or_b64 exec, exec, s[4:5]
	s_waitcnt lgkmcnt(0)
	; wave barrier
	s_waitcnt lgkmcnt(0)
	buffer_load_dword v22, off, s[0:3], 0 offset:272
	buffer_load_dword v23, off, s[0:3], 0 offset:276
	;; [unrolled: 1-line block ×64, first 2 shown]
	v_mov_b32_e32 v1, 0
	ds_read_b128 v[18:21], v1 offset:912
	ds_read_b128 v[14:17], v1 offset:928
	;; [unrolled: 1-line block ×5, first 2 shown]
	v_cmp_lt_u32_e32 vcc, 14, v254
	s_waitcnt vmcnt(60) lgkmcnt(4)
	v_mul_f64 v[86:87], v[18:19], v[26:27]
	v_fmac_f64_e32 v[86:87], v[20:21], v[22:23]
	v_add_f64 v[86:87], v[86:87], 0
	v_mul_f64 v[20:21], v[20:21], v[26:27]
	s_waitcnt vmcnt(56) lgkmcnt(3)
	v_mul_f64 v[88:89], v[14:15], v[28:29]
	v_fmac_f64_e32 v[88:89], v[16:17], v[24:25]
	s_waitcnt vmcnt(54) lgkmcnt(2)
	v_mul_f64 v[90:91], v[10:11], v[30:31]
	v_add_f64 v[86:87], v[86:87], v[88:89]
	v_fma_f64 v[18:19], v[18:19], v[22:23], -v[20:21]
	v_mul_f64 v[16:17], v[16:17], v[28:29]
	s_waitcnt vmcnt(50) lgkmcnt(1)
	v_mul_f64 v[102:103], v[6:7], v[40:41]
	v_add_f64 v[18:19], v[18:19], 0
	s_waitcnt vmcnt(48)
	v_fmac_f64_e32 v[90:91], v[12:13], v[44:45]
	v_add_f64 v[104:105], v[86:87], v[90:91]
	buffer_load_dword v87, off, s[0:3], 0 offset:540
	buffer_load_dword v86, off, s[0:3], 0 offset:536
	;; [unrolled: 1-line block ×40, first 2 shown]
	s_waitcnt vmcnt(62)
	v_fmac_f64_e32 v[102:103], v[8:9], v[42:43]
	v_add_f64 v[106:107], v[104:105], v[102:103]
	ds_read_b128 v[102:105], v1 offset:992
	s_waitcnt lgkmcnt(1)
	v_mul_f64 v[108:109], v[2:3], v[36:37]
	v_fmac_f64_e32 v[108:109], v[4:5], v[38:39]
	v_add_f64 v[110:111], v[106:107], v[108:109]
	ds_read_b128 v[106:109], v1 offset:1008
	s_waitcnt lgkmcnt(1)
	v_mul_f64 v[112:113], v[102:103], v[50:51]
	v_fmac_f64_e32 v[112:113], v[104:105], v[52:53]
	v_add_f64 v[114:115], v[110:111], v[112:113]
	ds_read_b128 v[110:113], v1 offset:1024
	s_waitcnt lgkmcnt(1)
	v_mul_f64 v[116:117], v[106:107], v[46:47]
	v_fmac_f64_e32 v[116:117], v[108:109], v[48:49]
	v_add_f64 v[120:121], v[114:115], v[116:117]
	ds_read_b128 v[114:117], v1 offset:1040
	s_waitcnt lgkmcnt(1)
	v_mul_f64 v[122:123], v[110:111], v[58:59]
	v_fmac_f64_e32 v[122:123], v[112:113], v[60:61]
	v_add_f64 v[124:125], v[120:121], v[122:123]
	ds_read_b128 v[120:123], v1 offset:1056
	s_waitcnt lgkmcnt(1)
	v_mul_f64 v[126:127], v[114:115], v[54:55]
	v_fmac_f64_e32 v[126:127], v[116:117], v[56:57]
	v_add_f64 v[128:129], v[124:125], v[126:127]
	ds_read_b128 v[124:127], v1 offset:1072
	s_waitcnt vmcnt(58) lgkmcnt(1)
	v_mul_f64 v[130:131], v[120:121], v[66:67]
	s_waitcnt vmcnt(56)
	v_fmac_f64_e32 v[130:131], v[122:123], v[68:69]
	v_add_f64 v[132:133], v[128:129], v[130:131]
	ds_read_b128 v[128:131], v1 offset:1088
	s_waitcnt lgkmcnt(1)
	v_mul_f64 v[134:135], v[124:125], v[62:63]
	v_fmac_f64_e32 v[134:135], v[126:127], v[64:65]
	v_add_f64 v[136:137], v[132:133], v[134:135]
	ds_read_b128 v[132:135], v1 offset:1104
	s_waitcnt vmcnt(50) lgkmcnt(1)
	v_mul_f64 v[138:139], v[128:129], v[74:75]
	s_waitcnt vmcnt(48)
	v_fmac_f64_e32 v[138:139], v[130:131], v[76:77]
	v_add_f64 v[140:141], v[136:137], v[138:139]
	ds_read_b128 v[136:139], v1 offset:1120
	v_fma_f64 v[14:15], v[14:15], v[24:25], -v[16:17]
	v_mul_f64 v[12:13], v[12:13], v[30:31]
	v_add_f64 v[14:15], v[18:19], v[14:15]
	v_fma_f64 v[10:11], v[10:11], v[44:45], -v[12:13]
	v_mul_f64 v[8:9], v[8:9], v[40:41]
	s_waitcnt lgkmcnt(1)
	v_mul_f64 v[142:143], v[132:133], v[70:71]
	v_add_f64 v[10:11], v[14:15], v[10:11]
	v_fma_f64 v[6:7], v[6:7], v[42:43], -v[8:9]
	v_mul_f64 v[4:5], v[4:5], v[36:37]
	v_fmac_f64_e32 v[142:143], v[134:135], v[72:73]
	v_add_f64 v[6:7], v[10:11], v[6:7]
	v_fma_f64 v[2:3], v[2:3], v[38:39], -v[4:5]
	v_mul_f64 v[4:5], v[104:105], v[50:51]
	v_add_f64 v[144:145], v[140:141], v[142:143]
	ds_read_b128 v[140:143], v1 offset:1136
	s_waitcnt vmcnt(42) lgkmcnt(1)
	v_mul_f64 v[146:147], v[136:137], v[82:83]
	v_add_f64 v[2:3], v[6:7], v[2:3]
	v_fma_f64 v[4:5], v[102:103], v[52:53], -v[4:5]
	s_waitcnt vmcnt(40)
	v_fmac_f64_e32 v[146:147], v[138:139], v[84:85]
	v_add_f64 v[2:3], v[2:3], v[4:5]
	v_mul_f64 v[4:5], v[108:109], v[46:47]
	v_add_f64 v[148:149], v[144:145], v[146:147]
	ds_read_b128 v[144:147], v1 offset:1152
	v_fma_f64 v[4:5], v[106:107], v[48:49], -v[4:5]
	v_add_f64 v[2:3], v[2:3], v[4:5]
	v_mul_f64 v[4:5], v[112:113], v[58:59]
	v_fma_f64 v[4:5], v[110:111], v[60:61], -v[4:5]
	s_waitcnt lgkmcnt(1)
	v_mul_f64 v[150:151], v[140:141], v[78:79]
	v_add_f64 v[2:3], v[2:3], v[4:5]
	v_mul_f64 v[4:5], v[116:117], v[54:55]
	v_fmac_f64_e32 v[150:151], v[142:143], v[80:81]
	v_fma_f64 v[4:5], v[114:115], v[56:57], -v[4:5]
	v_add_f64 v[152:153], v[148:149], v[150:151]
	ds_read_b128 v[148:151], v1 offset:1168
	s_waitcnt vmcnt(34) lgkmcnt(1)
	v_mul_f64 v[154:155], v[144:145], v[90:91]
	v_add_f64 v[2:3], v[2:3], v[4:5]
	v_mul_f64 v[4:5], v[122:123], v[66:67]
	s_waitcnt vmcnt(32)
	v_fmac_f64_e32 v[154:155], v[146:147], v[92:93]
	v_fma_f64 v[4:5], v[120:121], v[68:69], -v[4:5]
	v_add_f64 v[156:157], v[152:153], v[154:155]
	ds_read_b128 v[152:155], v1 offset:1184
	v_add_f64 v[2:3], v[2:3], v[4:5]
	v_mul_f64 v[4:5], v[126:127], v[62:63]
	v_fma_f64 v[4:5], v[124:125], v[64:65], -v[4:5]
	v_add_f64 v[2:3], v[2:3], v[4:5]
	v_mul_f64 v[4:5], v[130:131], v[74:75]
	s_waitcnt lgkmcnt(1)
	v_mul_f64 v[158:159], v[148:149], v[86:87]
	v_fma_f64 v[4:5], v[128:129], v[76:77], -v[4:5]
	v_fmac_f64_e32 v[158:159], v[150:151], v[88:89]
	v_add_f64 v[2:3], v[2:3], v[4:5]
	v_mul_f64 v[4:5], v[134:135], v[70:71]
	v_add_f64 v[160:161], v[156:157], v[158:159]
	ds_read_b128 v[156:159], v1 offset:1200
	s_waitcnt vmcnt(26) lgkmcnt(1)
	v_mul_f64 v[162:163], v[152:153], v[98:99]
	v_fma_f64 v[4:5], v[132:133], v[72:73], -v[4:5]
	s_waitcnt vmcnt(24)
	v_fmac_f64_e32 v[162:163], v[154:155], v[100:101]
	v_add_f64 v[2:3], v[2:3], v[4:5]
	v_mul_f64 v[4:5], v[138:139], v[82:83]
	v_add_f64 v[164:165], v[160:161], v[162:163]
	ds_read_b128 v[160:163], v1 offset:1216
	v_fma_f64 v[4:5], v[136:137], v[84:85], -v[4:5]
	v_add_f64 v[2:3], v[2:3], v[4:5]
	v_mul_f64 v[4:5], v[142:143], v[78:79]
	v_fma_f64 v[4:5], v[140:141], v[80:81], -v[4:5]
	s_waitcnt lgkmcnt(1)
	v_mul_f64 v[166:167], v[156:157], v[94:95]
	v_add_f64 v[2:3], v[2:3], v[4:5]
	v_mul_f64 v[4:5], v[146:147], v[90:91]
	v_fmac_f64_e32 v[166:167], v[158:159], v[96:97]
	v_fma_f64 v[4:5], v[144:145], v[92:93], -v[4:5]
	v_add_f64 v[168:169], v[164:165], v[166:167]
	ds_read_b128 v[164:167], v1 offset:1232
	s_waitcnt vmcnt(18) lgkmcnt(1)
	v_mul_f64 v[170:171], v[160:161], v[186:187]
	v_add_f64 v[2:3], v[2:3], v[4:5]
	v_mul_f64 v[4:5], v[150:151], v[86:87]
	s_waitcnt vmcnt(16)
	v_fmac_f64_e32 v[170:171], v[162:163], v[188:189]
	v_fma_f64 v[4:5], v[148:149], v[88:89], -v[4:5]
	v_add_f64 v[172:173], v[168:169], v[170:171]
	ds_read_b128 v[168:171], v1 offset:1248
	v_add_f64 v[2:3], v[2:3], v[4:5]
	v_mul_f64 v[4:5], v[154:155], v[98:99]
	v_fma_f64 v[4:5], v[152:153], v[100:101], -v[4:5]
	v_add_f64 v[2:3], v[2:3], v[4:5]
	v_mul_f64 v[4:5], v[158:159], v[94:95]
	s_waitcnt lgkmcnt(1)
	v_mul_f64 v[174:175], v[164:165], v[118:119]
	v_fma_f64 v[4:5], v[156:157], v[96:97], -v[4:5]
	v_fmac_f64_e32 v[174:175], v[166:167], v[184:185]
	v_add_f64 v[2:3], v[2:3], v[4:5]
	v_mul_f64 v[4:5], v[162:163], v[186:187]
	v_add_f64 v[176:177], v[172:173], v[174:175]
	ds_read_b128 v[172:175], v1 offset:1264
	s_waitcnt vmcnt(10) lgkmcnt(1)
	v_mul_f64 v[178:179], v[168:169], v[194:195]
	v_fma_f64 v[4:5], v[160:161], v[188:189], -v[4:5]
	s_waitcnt vmcnt(8)
	v_fmac_f64_e32 v[178:179], v[170:171], v[196:197]
	v_add_f64 v[2:3], v[2:3], v[4:5]
	v_mul_f64 v[4:5], v[166:167], v[118:119]
	v_add_f64 v[206:207], v[176:177], v[178:179]
	ds_read_b128 v[176:179], v1 offset:1280
	ds_read_b128 v[180:183], v1 offset:1296
	v_fma_f64 v[4:5], v[164:165], v[184:185], -v[4:5]
	v_add_f64 v[2:3], v[2:3], v[4:5]
	v_mul_f64 v[4:5], v[170:171], v[194:195]
	v_fma_f64 v[4:5], v[168:169], v[196:197], -v[4:5]
	v_add_f64 v[2:3], v[2:3], v[4:5]
	s_waitcnt lgkmcnt(2)
	v_mul_f64 v[4:5], v[174:175], v[190:191]
	v_mul_f64 v[208:209], v[172:173], v[190:191]
	v_fma_f64 v[4:5], v[172:173], v[192:193], -v[4:5]
	v_fmac_f64_e32 v[208:209], v[174:175], v[192:193]
	v_add_f64 v[2:3], v[2:3], v[4:5]
	s_waitcnt vmcnt(2) lgkmcnt(1)
	v_mul_f64 v[4:5], v[178:179], v[202:203]
	v_add_f64 v[206:207], v[206:207], v[208:209]
	v_mul_f64 v[208:209], v[176:177], v[202:203]
	s_waitcnt vmcnt(0)
	v_fma_f64 v[4:5], v[176:177], v[204:205], -v[4:5]
	v_fmac_f64_e32 v[208:209], v[178:179], v[204:205]
	v_add_f64 v[2:3], v[2:3], v[4:5]
	s_waitcnt lgkmcnt(0)
	v_mul_f64 v[4:5], v[182:183], v[198:199]
	v_add_f64 v[206:207], v[206:207], v[208:209]
	v_mul_f64 v[208:209], v[180:181], v[198:199]
	v_fma_f64 v[4:5], v[180:181], v[200:201], -v[4:5]
	v_fmac_f64_e32 v[208:209], v[182:183], v[200:201]
	v_add_f64 v[2:3], v[2:3], v[4:5]
	v_add_f64 v[206:207], v[206:207], v[208:209]
	v_add_f64 v[2:3], v[34:35], -v[2:3]
	v_add_f64 v[4:5], v[32:33], -v[206:207]
	buffer_store_dword v3, off, s[0:3], 0 offset:260
	buffer_store_dword v2, off, s[0:3], 0 offset:256
	;; [unrolled: 1-line block ×4, first 2 shown]
	s_and_saveexec_b64 s[4:5], vcc
	s_cbranch_execz .LBB104_231
; %bb.230:
	v_accvgpr_read_b32 v0, a108
	buffer_load_dword v2, v0, s[0:3], 0 offen
	buffer_load_dword v3, v0, s[0:3], 0 offen offset:4
	buffer_load_dword v4, v0, s[0:3], 0 offen offset:8
	;; [unrolled: 1-line block ×3, first 2 shown]
	v_accvgpr_read_b32 v0, a123
	buffer_store_dword v1, off, s[0:3], 0 offset:240
	buffer_store_dword v1, off, s[0:3], 0 offset:244
	;; [unrolled: 1-line block ×4, first 2 shown]
	s_waitcnt vmcnt(4)
	ds_write_b128 v0, v[2:5]
.LBB104_231:
	s_or_b64 exec, exec, s[4:5]
	s_waitcnt lgkmcnt(0)
	; wave barrier
	s_waitcnt lgkmcnt(0)
	buffer_load_dword v26, off, s[0:3], 0 offset:256
	buffer_load_dword v27, off, s[0:3], 0 offset:260
	;; [unrolled: 1-line block ×24, first 2 shown]
	ds_read_b128 v[22:25], v1 offset:896
	ds_read_b128 v[18:21], v1 offset:912
	;; [unrolled: 1-line block ×6, first 2 shown]
	buffer_load_dword v51, off, s[0:3], 0 offset:364
	buffer_load_dword v50, off, s[0:3], 0 offset:360
	;; [unrolled: 1-line block ×40, first 2 shown]
	v_cmp_lt_u32_e32 vcc, 13, v254
	s_waitcnt vmcnt(34) lgkmcnt(0)
	v_mul_f64 v[122:123], v[14:15], v[54:55]
	s_waitcnt vmcnt(32)
	v_fmac_f64_e32 v[122:123], v[16:17], v[56:57]
	v_mul_f64 v[90:91], v[22:23], v[28:29]
	v_fmac_f64_e32 v[90:91], v[24:25], v[26:27]
	v_mul_f64 v[92:93], v[18:19], v[30:31]
	v_add_f64 v[90:91], v[90:91], 0
	v_mul_f64 v[94:95], v[10:11], v[32:33]
	v_mul_f64 v[24:25], v[24:25], v[28:29]
	;; [unrolled: 1-line block ×3, first 2 shown]
	v_fma_f64 v[22:23], v[22:23], v[26:27], -v[24:25]
	v_add_f64 v[22:23], v[22:23], 0
	v_mul_f64 v[96:97], v[6:7], v[42:43]
	v_fmac_f64_e32 v[92:93], v[20:21], v[48:49]
	v_add_f64 v[90:91], v[90:91], v[92:93]
	v_fmac_f64_e32 v[94:95], v[12:13], v[46:47]
	v_add_f64 v[90:91], v[90:91], v[94:95]
	;; [unrolled: 2-line block ×3, first 2 shown]
	buffer_load_dword v91, off, s[0:3], 0 offset:524
	buffer_load_dword v90, off, s[0:3], 0 offset:520
	;; [unrolled: 1-line block ×40, first 2 shown]
	v_fmac_f64_e32 v[114:115], v[4:5], v[40:41]
	v_add_f64 v[120:121], v[116:117], v[114:115]
	ds_read_b128 v[114:117], v1 offset:992
	buffer_load_dword v211, off, s[0:3], 0 offset:668
	buffer_load_dword v210, off, s[0:3], 0 offset:664
	;; [unrolled: 1-line block ×4, first 2 shown]
	v_add_f64 v[124:125], v[120:121], v[122:123]
	ds_read_b128 v[120:123], v1 offset:1008
	v_mul_f64 v[20:21], v[20:21], v[30:31]
	s_waitcnt lgkmcnt(1)
	v_mul_f64 v[126:127], v[114:115], v[50:51]
	v_fmac_f64_e32 v[126:127], v[116:117], v[52:53]
	v_add_f64 v[128:129], v[124:125], v[126:127]
	ds_read_b128 v[124:127], v1 offset:1024
	s_waitcnt vmcnt(62) lgkmcnt(1)
	v_mul_f64 v[130:131], v[120:121], v[62:63]
	v_fmac_f64_e32 v[130:131], v[122:123], v[64:65]
	v_add_f64 v[132:133], v[128:129], v[130:131]
	ds_read_b128 v[128:131], v1 offset:1040
	s_waitcnt lgkmcnt(1)
	v_mul_f64 v[134:135], v[124:125], v[58:59]
	v_fmac_f64_e32 v[134:135], v[126:127], v[60:61]
	v_add_f64 v[136:137], v[132:133], v[134:135]
	ds_read_b128 v[132:135], v1 offset:1056
	s_waitcnt lgkmcnt(1)
	v_mul_f64 v[138:139], v[128:129], v[70:71]
	s_waitcnt vmcnt(60)
	v_fmac_f64_e32 v[138:139], v[130:131], v[72:73]
	v_add_f64 v[140:141], v[136:137], v[138:139]
	ds_read_b128 v[136:139], v1 offset:1072
	s_waitcnt lgkmcnt(1)
	v_mul_f64 v[142:143], v[132:133], v[66:67]
	v_fmac_f64_e32 v[142:143], v[134:135], v[68:69]
	v_add_f64 v[144:145], v[140:141], v[142:143]
	ds_read_b128 v[140:143], v1 offset:1088
	s_waitcnt vmcnt(54) lgkmcnt(1)
	v_mul_f64 v[146:147], v[136:137], v[78:79]
	s_waitcnt vmcnt(52)
	v_fmac_f64_e32 v[146:147], v[138:139], v[80:81]
	v_add_f64 v[148:149], v[144:145], v[146:147]
	ds_read_b128 v[144:147], v1 offset:1104
	s_waitcnt lgkmcnt(1)
	v_mul_f64 v[150:151], v[140:141], v[74:75]
	v_fmac_f64_e32 v[150:151], v[142:143], v[76:77]
	v_fma_f64 v[18:19], v[18:19], v[48:49], -v[20:21]
	v_mul_f64 v[12:13], v[12:13], v[32:33]
	v_add_f64 v[152:153], v[148:149], v[150:151]
	ds_read_b128 v[148:151], v1 offset:1120
	v_add_f64 v[18:19], v[22:23], v[18:19]
	v_fma_f64 v[10:11], v[10:11], v[46:47], -v[12:13]
	v_mul_f64 v[8:9], v[8:9], v[42:43]
	v_add_f64 v[10:11], v[18:19], v[10:11]
	v_fma_f64 v[6:7], v[6:7], v[44:45], -v[8:9]
	v_mul_f64 v[4:5], v[4:5], v[38:39]
	;; [unrolled: 3-line block ×3, first 2 shown]
	s_waitcnt vmcnt(46) lgkmcnt(1)
	v_mul_f64 v[154:155], v[144:145], v[86:87]
	v_add_f64 v[2:3], v[6:7], v[2:3]
	v_fma_f64 v[4:5], v[14:15], v[56:57], -v[4:5]
	s_waitcnt vmcnt(44)
	v_fmac_f64_e32 v[154:155], v[146:147], v[88:89]
	v_add_f64 v[2:3], v[2:3], v[4:5]
	v_mul_f64 v[4:5], v[116:117], v[50:51]
	v_add_f64 v[156:157], v[152:153], v[154:155]
	ds_read_b128 v[152:155], v1 offset:1136
	s_waitcnt lgkmcnt(1)
	v_mul_f64 v[158:159], v[148:149], v[82:83]
	v_fma_f64 v[4:5], v[114:115], v[52:53], -v[4:5]
	v_fmac_f64_e32 v[158:159], v[150:151], v[84:85]
	v_add_f64 v[2:3], v[2:3], v[4:5]
	v_mul_f64 v[4:5], v[122:123], v[62:63]
	v_add_f64 v[160:161], v[156:157], v[158:159]
	ds_read_b128 v[156:159], v1 offset:1152
	v_fma_f64 v[4:5], v[120:121], v[64:65], -v[4:5]
	v_add_f64 v[2:3], v[2:3], v[4:5]
	v_mul_f64 v[4:5], v[126:127], v[58:59]
	v_fma_f64 v[4:5], v[124:125], v[60:61], -v[4:5]
	s_waitcnt vmcnt(38) lgkmcnt(1)
	v_mul_f64 v[162:163], v[152:153], v[94:95]
	v_add_f64 v[2:3], v[2:3], v[4:5]
	v_mul_f64 v[4:5], v[130:131], v[70:71]
	s_waitcnt vmcnt(36)
	v_fmac_f64_e32 v[162:163], v[154:155], v[96:97]
	v_fma_f64 v[4:5], v[128:129], v[72:73], -v[4:5]
	v_add_f64 v[164:165], v[160:161], v[162:163]
	ds_read_b128 v[160:163], v1 offset:1168
	s_waitcnt lgkmcnt(1)
	v_mul_f64 v[166:167], v[156:157], v[90:91]
	v_add_f64 v[2:3], v[2:3], v[4:5]
	v_mul_f64 v[4:5], v[134:135], v[66:67]
	v_fmac_f64_e32 v[166:167], v[158:159], v[92:93]
	v_fma_f64 v[4:5], v[132:133], v[68:69], -v[4:5]
	v_add_f64 v[168:169], v[164:165], v[166:167]
	ds_read_b128 v[164:167], v1 offset:1184
	v_add_f64 v[2:3], v[2:3], v[4:5]
	v_mul_f64 v[4:5], v[138:139], v[78:79]
	v_fma_f64 v[4:5], v[136:137], v[80:81], -v[4:5]
	v_add_f64 v[2:3], v[2:3], v[4:5]
	v_mul_f64 v[4:5], v[142:143], v[74:75]
	s_waitcnt vmcnt(30) lgkmcnt(1)
	v_mul_f64 v[170:171], v[160:161], v[102:103]
	v_fma_f64 v[4:5], v[140:141], v[76:77], -v[4:5]
	s_waitcnt vmcnt(28)
	v_fmac_f64_e32 v[170:171], v[162:163], v[104:105]
	v_add_f64 v[2:3], v[2:3], v[4:5]
	v_mul_f64 v[4:5], v[146:147], v[86:87]
	v_add_f64 v[172:173], v[168:169], v[170:171]
	ds_read_b128 v[168:171], v1 offset:1200
	s_waitcnt lgkmcnt(1)
	v_mul_f64 v[174:175], v[164:165], v[98:99]
	v_fma_f64 v[4:5], v[144:145], v[88:89], -v[4:5]
	v_fmac_f64_e32 v[174:175], v[166:167], v[100:101]
	v_add_f64 v[2:3], v[2:3], v[4:5]
	v_mul_f64 v[4:5], v[150:151], v[82:83]
	v_add_f64 v[176:177], v[172:173], v[174:175]
	ds_read_b128 v[172:175], v1 offset:1216
	v_fma_f64 v[4:5], v[148:149], v[84:85], -v[4:5]
	v_add_f64 v[2:3], v[2:3], v[4:5]
	v_mul_f64 v[4:5], v[154:155], v[94:95]
	v_fma_f64 v[4:5], v[152:153], v[96:97], -v[4:5]
	s_waitcnt vmcnt(22) lgkmcnt(1)
	v_mul_f64 v[178:179], v[168:169], v[110:111]
	v_add_f64 v[2:3], v[2:3], v[4:5]
	v_mul_f64 v[4:5], v[158:159], v[90:91]
	s_waitcnt vmcnt(20)
	v_fmac_f64_e32 v[178:179], v[170:171], v[112:113]
	v_fma_f64 v[4:5], v[156:157], v[92:93], -v[4:5]
	v_add_f64 v[180:181], v[176:177], v[178:179]
	ds_read_b128 v[176:179], v1 offset:1232
	s_waitcnt lgkmcnt(1)
	v_mul_f64 v[182:183], v[172:173], v[106:107]
	v_add_f64 v[2:3], v[2:3], v[4:5]
	v_mul_f64 v[4:5], v[162:163], v[102:103]
	v_fmac_f64_e32 v[182:183], v[174:175], v[108:109]
	v_fma_f64 v[4:5], v[160:161], v[104:105], -v[4:5]
	v_add_f64 v[184:185], v[180:181], v[182:183]
	ds_read_b128 v[180:183], v1 offset:1248
	v_add_f64 v[2:3], v[2:3], v[4:5]
	v_mul_f64 v[4:5], v[166:167], v[98:99]
	v_fma_f64 v[4:5], v[164:165], v[100:101], -v[4:5]
	v_add_f64 v[2:3], v[2:3], v[4:5]
	v_mul_f64 v[4:5], v[170:171], v[110:111]
	s_waitcnt vmcnt(14) lgkmcnt(1)
	v_mul_f64 v[186:187], v[176:177], v[194:195]
	v_fma_f64 v[4:5], v[168:169], v[112:113], -v[4:5]
	s_waitcnt vmcnt(12)
	v_fmac_f64_e32 v[186:187], v[178:179], v[196:197]
	v_add_f64 v[2:3], v[2:3], v[4:5]
	v_mul_f64 v[4:5], v[174:175], v[106:107]
	v_add_f64 v[188:189], v[184:185], v[186:187]
	ds_read_b128 v[184:187], v1 offset:1264
	s_waitcnt lgkmcnt(1)
	v_mul_f64 v[190:191], v[180:181], v[118:119]
	v_fma_f64 v[4:5], v[172:173], v[108:109], -v[4:5]
	v_fmac_f64_e32 v[190:191], v[182:183], v[192:193]
	v_add_f64 v[2:3], v[2:3], v[4:5]
	v_mul_f64 v[4:5], v[178:179], v[194:195]
	v_add_f64 v[214:215], v[188:189], v[190:191]
	ds_read_b128 v[188:191], v1 offset:1280
	v_fma_f64 v[4:5], v[176:177], v[196:197], -v[4:5]
	v_add_f64 v[2:3], v[2:3], v[4:5]
	v_mul_f64 v[4:5], v[182:183], v[118:119]
	ds_read_b128 v[200:203], v1 offset:1296
	v_fma_f64 v[4:5], v[180:181], v[192:193], -v[4:5]
	v_add_f64 v[2:3], v[2:3], v[4:5]
	s_waitcnt vmcnt(6) lgkmcnt(2)
	v_mul_f64 v[4:5], v[186:187], v[206:207]
	v_mul_f64 v[216:217], v[184:185], v[206:207]
	s_waitcnt vmcnt(4)
	v_fma_f64 v[4:5], v[184:185], v[208:209], -v[4:5]
	v_fmac_f64_e32 v[216:217], v[186:187], v[208:209]
	v_add_f64 v[2:3], v[2:3], v[4:5]
	s_waitcnt lgkmcnt(1)
	v_mul_f64 v[4:5], v[190:191], v[198:199]
	v_add_f64 v[214:215], v[214:215], v[216:217]
	v_mul_f64 v[216:217], v[188:189], v[198:199]
	v_fma_f64 v[4:5], v[188:189], v[204:205], -v[4:5]
	v_fmac_f64_e32 v[216:217], v[190:191], v[204:205]
	v_add_f64 v[2:3], v[2:3], v[4:5]
	s_waitcnt vmcnt(2) lgkmcnt(0)
	v_mul_f64 v[4:5], v[202:203], v[210:211]
	v_add_f64 v[214:215], v[214:215], v[216:217]
	v_mul_f64 v[216:217], v[200:201], v[210:211]
	s_waitcnt vmcnt(0)
	v_fma_f64 v[4:5], v[200:201], v[212:213], -v[4:5]
	v_fmac_f64_e32 v[216:217], v[202:203], v[212:213]
	v_add_f64 v[2:3], v[2:3], v[4:5]
	v_add_f64 v[214:215], v[214:215], v[216:217]
	v_add_f64 v[2:3], v[36:37], -v[2:3]
	v_add_f64 v[4:5], v[34:35], -v[214:215]
	buffer_store_dword v3, off, s[0:3], 0 offset:244
	buffer_store_dword v2, off, s[0:3], 0 offset:240
	;; [unrolled: 1-line block ×4, first 2 shown]
	s_and_saveexec_b64 s[4:5], vcc
	s_cbranch_execz .LBB104_233
; %bb.232:
	v_accvgpr_read_b32 v0, a109
	buffer_load_dword v2, v0, s[0:3], 0 offen
	buffer_load_dword v3, v0, s[0:3], 0 offen offset:4
	buffer_load_dword v4, v0, s[0:3], 0 offen offset:8
	;; [unrolled: 1-line block ×3, first 2 shown]
	v_mov_b32_e32 v0, 0
	v_accvgpr_read_b32 v1, a123
	buffer_store_dword v0, off, s[0:3], 0 offset:224
	buffer_store_dword v0, off, s[0:3], 0 offset:228
	;; [unrolled: 1-line block ×4, first 2 shown]
	s_waitcnt vmcnt(4)
	ds_write_b128 v1, v[2:5]
.LBB104_233:
	s_or_b64 exec, exec, s[4:5]
	s_waitcnt lgkmcnt(0)
	; wave barrier
	s_waitcnt lgkmcnt(0)
	buffer_load_dword v30, off, s[0:3], 0 offset:240
	buffer_load_dword v31, off, s[0:3], 0 offset:244
	;; [unrolled: 1-line block ×56, first 2 shown]
	v_mov_b32_e32 v1, 0
	ds_read_b128 v[26:29], v1 offset:880
	ds_read_b128 v[22:25], v1 offset:896
	;; [unrolled: 1-line block ×7, first 2 shown]
	v_cmp_lt_u32_e32 vcc, 12, v254
	s_waitcnt vmcnt(52) lgkmcnt(6)
	v_mul_f64 v[86:87], v[26:27], v[34:35]
	v_fmac_f64_e32 v[86:87], v[28:29], v[30:31]
	v_add_f64 v[86:87], v[86:87], 0
	v_mul_f64 v[28:29], v[28:29], v[34:35]
	s_waitcnt vmcnt(48) lgkmcnt(5)
	v_mul_f64 v[88:89], v[22:23], v[36:37]
	v_fmac_f64_e32 v[88:89], v[24:25], v[32:33]
	s_waitcnt vmcnt(46) lgkmcnt(4)
	v_mul_f64 v[90:91], v[18:19], v[38:39]
	v_add_f64 v[86:87], v[86:87], v[88:89]
	s_waitcnt vmcnt(44) lgkmcnt(2)
	v_mul_f64 v[94:95], v[10:11], v[40:41]
	v_fma_f64 v[26:27], v[26:27], v[30:31], -v[28:29]
	s_waitcnt vmcnt(42)
	v_fmac_f64_e32 v[94:95], v[12:13], v[42:43]
	v_mul_f64 v[24:25], v[24:25], v[36:37]
	s_waitcnt vmcnt(40)
	v_mul_f64 v[92:93], v[14:15], v[48:49]
	v_add_f64 v[26:27], v[26:27], 0
	v_fma_f64 v[22:23], v[22:23], v[32:33], -v[24:25]
	v_add_f64 v[22:23], v[26:27], v[22:23]
	s_waitcnt vmcnt(36) lgkmcnt(1)
	v_mul_f64 v[110:111], v[6:7], v[54:55]
	v_mul_f64 v[12:13], v[12:13], v[40:41]
	s_waitcnt vmcnt(34)
	v_fmac_f64_e32 v[90:91], v[20:21], v[60:61]
	v_add_f64 v[86:87], v[86:87], v[90:91]
	s_waitcnt vmcnt(32)
	v_fmac_f64_e32 v[92:93], v[16:17], v[58:59]
	v_add_f64 v[86:87], v[86:87], v[92:93]
	v_add_f64 v[116:117], v[86:87], v[94:95]
	buffer_load_dword v87, off, s[0:3], 0 offset:476
	buffer_load_dword v86, off, s[0:3], 0 offset:472
	;; [unrolled: 1-line block ×56, first 2 shown]
	ds_read_b128 v[126:129], v1 offset:992
	ds_read_b128 v[130:133], v1 offset:1008
	v_mul_f64 v[20:21], v[20:21], v[38:39]
	v_fma_f64 v[18:19], v[18:19], v[60:61], -v[20:21]
	v_mul_f64 v[16:17], v[16:17], v[48:49]
	s_waitcnt vmcnt(62)
	v_fmac_f64_e32 v[110:111], v[8:9], v[56:57]
	v_add_f64 v[18:19], v[22:23], v[18:19]
	v_fma_f64 v[14:15], v[14:15], v[58:59], -v[16:17]
	v_add_f64 v[110:111], v[116:117], v[110:111]
	s_waitcnt lgkmcnt(2)
	v_mul_f64 v[116:117], v[2:3], v[50:51]
	v_add_f64 v[14:15], v[18:19], v[14:15]
	v_fma_f64 v[10:11], v[10:11], v[42:43], -v[12:13]
	v_mul_f64 v[8:9], v[8:9], v[54:55]
	v_fmac_f64_e32 v[116:117], v[4:5], v[52:53]
	ds_read_b128 v[134:137], v1 offset:1024
	ds_read_b128 v[138:141], v1 offset:1040
	v_add_f64 v[10:11], v[14:15], v[10:11]
	v_fma_f64 v[6:7], v[6:7], v[56:57], -v[8:9]
	v_mul_f64 v[4:5], v[4:5], v[50:51]
	v_add_f64 v[6:7], v[10:11], v[6:7]
	v_fma_f64 v[2:3], v[2:3], v[52:53], -v[4:5]
	s_waitcnt lgkmcnt(3)
	v_mul_f64 v[4:5], v[128:129], v[66:67]
	v_add_f64 v[110:111], v[110:111], v[116:117]
	v_mul_f64 v[116:117], v[126:127], v[66:67]
	v_add_f64 v[2:3], v[6:7], v[2:3]
	v_fma_f64 v[4:5], v[126:127], v[68:69], -v[4:5]
	v_fmac_f64_e32 v[116:117], v[128:129], v[68:69]
	v_add_f64 v[2:3], v[2:3], v[4:5]
	s_waitcnt lgkmcnt(2)
	v_mul_f64 v[4:5], v[132:133], v[62:63]
	v_add_f64 v[110:111], v[110:111], v[116:117]
	v_mul_f64 v[116:117], v[130:131], v[62:63]
	ds_read_b128 v[142:145], v1 offset:1056
	ds_read_b128 v[146:149], v1 offset:1072
	v_fma_f64 v[4:5], v[130:131], v[64:65], -v[4:5]
	v_fmac_f64_e32 v[116:117], v[132:133], v[64:65]
	v_add_f64 v[2:3], v[2:3], v[4:5]
	s_waitcnt lgkmcnt(3)
	v_mul_f64 v[4:5], v[136:137], v[74:75]
	v_add_f64 v[110:111], v[110:111], v[116:117]
	v_mul_f64 v[116:117], v[134:135], v[74:75]
	v_fma_f64 v[4:5], v[134:135], v[76:77], -v[4:5]
	v_fmac_f64_e32 v[116:117], v[136:137], v[76:77]
	v_add_f64 v[2:3], v[2:3], v[4:5]
	s_waitcnt lgkmcnt(2)
	v_mul_f64 v[4:5], v[140:141], v[70:71]
	v_add_f64 v[110:111], v[110:111], v[116:117]
	v_mul_f64 v[116:117], v[138:139], v[70:71]
	ds_read_b128 v[150:153], v1 offset:1088
	ds_read_b128 v[154:157], v1 offset:1104
	v_fma_f64 v[4:5], v[138:139], v[72:73], -v[4:5]
	v_fmac_f64_e32 v[116:117], v[140:141], v[72:73]
	v_add_f64 v[2:3], v[2:3], v[4:5]
	s_waitcnt vmcnt(58) lgkmcnt(3)
	v_mul_f64 v[4:5], v[144:145], v[82:83]
	v_add_f64 v[110:111], v[110:111], v[116:117]
	v_mul_f64 v[116:117], v[142:143], v[82:83]
	s_waitcnt vmcnt(56)
	v_fma_f64 v[4:5], v[142:143], v[84:85], -v[4:5]
	v_fmac_f64_e32 v[116:117], v[144:145], v[84:85]
	v_add_f64 v[2:3], v[2:3], v[4:5]
	s_waitcnt lgkmcnt(2)
	v_mul_f64 v[4:5], v[148:149], v[78:79]
	v_add_f64 v[110:111], v[110:111], v[116:117]
	v_mul_f64 v[116:117], v[146:147], v[78:79]
	ds_read_b128 v[158:161], v1 offset:1120
	ds_read_b128 v[162:165], v1 offset:1136
	v_fma_f64 v[4:5], v[146:147], v[80:81], -v[4:5]
	v_fmac_f64_e32 v[116:117], v[148:149], v[80:81]
	v_add_f64 v[2:3], v[2:3], v[4:5]
	s_waitcnt vmcnt(50) lgkmcnt(3)
	v_mul_f64 v[4:5], v[152:153], v[90:91]
	v_add_f64 v[110:111], v[110:111], v[116:117]
	v_mul_f64 v[116:117], v[150:151], v[90:91]
	s_waitcnt vmcnt(48)
	;; [unrolled: 17-line block ×7, first 2 shown]
	v_fma_f64 v[4:5], v[200:201], v[216:217], -v[4:5]
	v_fmac_f64_e32 v[116:117], v[202:203], v[216:217]
	v_add_f64 v[2:3], v[2:3], v[4:5]
	s_waitcnt lgkmcnt(2)
	v_mul_f64 v[4:5], v[206:207], v[194:195]
	v_add_f64 v[110:111], v[110:111], v[116:117]
	v_mul_f64 v[116:117], v[204:205], v[194:195]
	v_fma_f64 v[4:5], v[204:205], v[196:197], -v[4:5]
	v_fmac_f64_e32 v[116:117], v[206:207], v[196:197]
	v_add_f64 v[2:3], v[2:3], v[4:5]
	s_waitcnt vmcnt(2) lgkmcnt(1)
	v_mul_f64 v[4:5], v[210:211], v[222:223]
	v_add_f64 v[110:111], v[110:111], v[116:117]
	v_mul_f64 v[116:117], v[208:209], v[222:223]
	s_waitcnt vmcnt(0)
	v_fma_f64 v[4:5], v[208:209], v[224:225], -v[4:5]
	v_fmac_f64_e32 v[116:117], v[210:211], v[224:225]
	v_add_f64 v[2:3], v[2:3], v[4:5]
	s_waitcnt lgkmcnt(0)
	v_mul_f64 v[4:5], v[214:215], v[218:219]
	v_add_f64 v[110:111], v[110:111], v[116:117]
	v_mul_f64 v[116:117], v[212:213], v[218:219]
	v_fma_f64 v[4:5], v[212:213], v[220:221], -v[4:5]
	v_fmac_f64_e32 v[116:117], v[214:215], v[220:221]
	v_add_f64 v[2:3], v[2:3], v[4:5]
	v_add_f64 v[110:111], v[110:111], v[116:117]
	v_add_f64 v[2:3], v[46:47], -v[2:3]
	v_add_f64 v[4:5], v[44:45], -v[110:111]
	buffer_store_dword v3, off, s[0:3], 0 offset:228
	buffer_store_dword v2, off, s[0:3], 0 offset:224
	;; [unrolled: 1-line block ×4, first 2 shown]
	s_and_saveexec_b64 s[4:5], vcc
	s_cbranch_execz .LBB104_235
; %bb.234:
	v_accvgpr_read_b32 v0, a110
	buffer_load_dword v2, v0, s[0:3], 0 offen
	buffer_load_dword v3, v0, s[0:3], 0 offen offset:4
	buffer_load_dword v4, v0, s[0:3], 0 offen offset:8
	buffer_load_dword v5, v0, s[0:3], 0 offen offset:12
	v_accvgpr_read_b32 v0, a123
	buffer_store_dword v1, off, s[0:3], 0 offset:208
	buffer_store_dword v1, off, s[0:3], 0 offset:212
	;; [unrolled: 1-line block ×4, first 2 shown]
	s_waitcnt vmcnt(4)
	ds_write_b128 v0, v[2:5]
.LBB104_235:
	s_or_b64 exec, exec, s[4:5]
	s_waitcnt lgkmcnt(0)
	; wave barrier
	s_waitcnt lgkmcnt(0)
	buffer_load_dword v34, off, s[0:3], 0 offset:224
	buffer_load_dword v35, off, s[0:3], 0 offset:228
	;; [unrolled: 1-line block ×32, first 2 shown]
	ds_read_b128 v[30:33], v1 offset:864
	ds_read_b128 v[26:29], v1 offset:880
	;; [unrolled: 1-line block ×8, first 2 shown]
	buffer_load_dword v67, off, s[0:3], 0 offset:364
	buffer_load_dword v66, off, s[0:3], 0 offset:360
	;; [unrolled: 1-line block ×24, first 2 shown]
	v_cmp_lt_u32_e32 vcc, 11, v254
	s_waitcnt vmcnt(52) lgkmcnt(7)
	v_mul_f64 v[90:91], v[30:31], v[38:39]
	v_fmac_f64_e32 v[90:91], v[32:33], v[34:35]
	v_add_f64 v[90:91], v[90:91], 0
	v_mul_f64 v[32:33], v[32:33], v[38:39]
	s_waitcnt vmcnt(48) lgkmcnt(6)
	v_mul_f64 v[92:93], v[26:27], v[40:41]
	v_fmac_f64_e32 v[92:93], v[28:29], v[36:37]
	s_waitcnt vmcnt(46) lgkmcnt(5)
	v_mul_f64 v[94:95], v[22:23], v[42:43]
	v_add_f64 v[90:91], v[90:91], v[92:93]
	s_waitcnt vmcnt(44) lgkmcnt(4)
	v_mul_f64 v[96:97], v[18:19], v[48:49]
	v_fma_f64 v[30:31], v[30:31], v[34:35], -v[32:33]
	s_waitcnt vmcnt(42) lgkmcnt(1)
	v_mul_f64 v[124:125], v[2:3], v[50:51]
	v_mul_f64 v[28:29], v[28:29], v[40:41]
	s_waitcnt vmcnt(18) lgkmcnt(0)
	v_mul_f64 v[138:139], v[14:15], v[70:71]
	v_mul_f64 v[100:101], v[6:7], v[54:55]
	s_waitcnt vmcnt(16)
	v_fmac_f64_e32 v[138:139], v[16:17], v[72:73]
	v_mul_f64 v[98:99], v[10:11], v[56:57]
	v_add_f64 v[30:31], v[30:31], 0
	v_fmac_f64_e32 v[98:99], v[12:13], v[58:59]
	v_fma_f64 v[26:27], v[26:27], v[36:37], -v[28:29]
	v_fmac_f64_e32 v[94:95], v[24:25], v[64:65]
	v_add_f64 v[90:91], v[90:91], v[94:95]
	v_fmac_f64_e32 v[96:97], v[20:21], v[62:63]
	v_add_f64 v[90:91], v[90:91], v[96:97]
	;; [unrolled: 2-line block ×3, first 2 shown]
	v_add_f64 v[126:127], v[90:91], v[100:101]
	buffer_load_dword v91, off, s[0:3], 0 offset:460
	buffer_load_dword v90, off, s[0:3], 0 offset:456
	buffer_load_dword v93, off, s[0:3], 0 offset:452
	buffer_load_dword v92, off, s[0:3], 0 offset:448
	buffer_load_dword v95, off, s[0:3], 0 offset:444
	buffer_load_dword v94, off, s[0:3], 0 offset:440
	buffer_load_dword v97, off, s[0:3], 0 offset:436
	buffer_load_dword v96, off, s[0:3], 0 offset:432
	buffer_load_dword v99, off, s[0:3], 0 offset:492
	buffer_load_dword v98, off, s[0:3], 0 offset:488
	buffer_load_dword v101, off, s[0:3], 0 offset:484
	buffer_load_dword v100, off, s[0:3], 0 offset:480
	buffer_load_dword v103, off, s[0:3], 0 offset:476
	buffer_load_dword v102, off, s[0:3], 0 offset:472
	buffer_load_dword v105, off, s[0:3], 0 offset:468
	buffer_load_dword v104, off, s[0:3], 0 offset:464
	buffer_load_dword v107, off, s[0:3], 0 offset:524
	buffer_load_dword v106, off, s[0:3], 0 offset:520
	buffer_load_dword v109, off, s[0:3], 0 offset:516
	buffer_load_dword v108, off, s[0:3], 0 offset:512
	buffer_load_dword v111, off, s[0:3], 0 offset:508
	buffer_load_dword v110, off, s[0:3], 0 offset:504
	buffer_load_dword v113, off, s[0:3], 0 offset:500
	buffer_load_dword v112, off, s[0:3], 0 offset:496
	buffer_load_dword v115, off, s[0:3], 0 offset:556
	buffer_load_dword v114, off, s[0:3], 0 offset:552
	buffer_load_dword v117, off, s[0:3], 0 offset:548
	buffer_load_dword v116, off, s[0:3], 0 offset:544
	buffer_load_dword v121, off, s[0:3], 0 offset:540
	buffer_load_dword v120, off, s[0:3], 0 offset:536
	buffer_load_dword v123, off, s[0:3], 0 offset:532
	buffer_load_dword v122, off, s[0:3], 0 offset:528
	buffer_load_dword v129, off, s[0:3], 0 offset:588
	buffer_load_dword v128, off, s[0:3], 0 offset:584
	buffer_load_dword v131, off, s[0:3], 0 offset:580
	buffer_load_dword v130, off, s[0:3], 0 offset:576
	buffer_load_dword v133, off, s[0:3], 0 offset:572
	buffer_load_dword v132, off, s[0:3], 0 offset:568
	buffer_load_dword v135, off, s[0:3], 0 offset:564
	buffer_load_dword v134, off, s[0:3], 0 offset:560
	buffer_load_dword v119, off, s[0:3], 0 offset:620
	buffer_load_dword v118, off, s[0:3], 0 offset:616
	buffer_load_dword v193, off, s[0:3], 0 offset:612
	buffer_load_dword v192, off, s[0:3], 0 offset:608
	buffer_load_dword v195, off, s[0:3], 0 offset:604
	buffer_load_dword v194, off, s[0:3], 0 offset:600
	buffer_load_dword v197, off, s[0:3], 0 offset:596
	buffer_load_dword v196, off, s[0:3], 0 offset:592
	buffer_load_dword v199, off, s[0:3], 0 offset:652
	buffer_load_dword v198, off, s[0:3], 0 offset:648
	buffer_load_dword v221, off, s[0:3], 0 offset:644
	buffer_load_dword v220, off, s[0:3], 0 offset:640
	buffer_load_dword v223, off, s[0:3], 0 offset:636
	buffer_load_dword v222, off, s[0:3], 0 offset:632
	buffer_load_dword v225, off, s[0:3], 0 offset:628
	buffer_load_dword v224, off, s[0:3], 0 offset:624
	v_fmac_f64_e32 v[124:125], v[4:5], v[52:53]
	v_add_f64 v[136:137], v[126:127], v[124:125]
	ds_read_b128 v[124:127], v1 offset:992
	buffer_load_dword v227, off, s[0:3], 0 offset:668
	buffer_load_dword v226, off, s[0:3], 0 offset:664
	;; [unrolled: 1-line block ×4, first 2 shown]
	v_add_f64 v[140:141], v[136:137], v[138:139]
	ds_read_b128 v[136:139], v1 offset:1008
	v_mul_f64 v[24:25], v[24:25], v[42:43]
	s_waitcnt lgkmcnt(1)
	v_mul_f64 v[142:143], v[124:125], v[66:67]
	v_fmac_f64_e32 v[142:143], v[126:127], v[68:69]
	v_add_f64 v[144:145], v[140:141], v[142:143]
	ds_read_b128 v[140:143], v1 offset:1024
	s_waitcnt vmcnt(62) lgkmcnt(1)
	v_mul_f64 v[146:147], v[136:137], v[78:79]
	v_fmac_f64_e32 v[146:147], v[138:139], v[80:81]
	v_add_f64 v[148:149], v[144:145], v[146:147]
	ds_read_b128 v[144:147], v1 offset:1040
	s_waitcnt lgkmcnt(1)
	v_mul_f64 v[150:151], v[140:141], v[74:75]
	v_fmac_f64_e32 v[150:151], v[142:143], v[76:77]
	v_add_f64 v[152:153], v[148:149], v[150:151]
	ds_read_b128 v[148:151], v1 offset:1056
	s_waitcnt lgkmcnt(1)
	v_mul_f64 v[154:155], v[144:145], v[86:87]
	s_waitcnt vmcnt(60)
	v_fmac_f64_e32 v[154:155], v[146:147], v[88:89]
	v_add_f64 v[156:157], v[152:153], v[154:155]
	ds_read_b128 v[152:155], v1 offset:1072
	s_waitcnt lgkmcnt(1)
	v_mul_f64 v[158:159], v[148:149], v[82:83]
	v_fmac_f64_e32 v[158:159], v[150:151], v[84:85]
	v_add_f64 v[160:161], v[156:157], v[158:159]
	ds_read_b128 v[156:159], v1 offset:1088
	v_add_f64 v[26:27], v[30:31], v[26:27]
	v_fma_f64 v[22:23], v[22:23], v[64:65], -v[24:25]
	s_waitcnt vmcnt(54) lgkmcnt(1)
	v_mul_f64 v[162:163], v[152:153], v[94:95]
	v_mul_f64 v[20:21], v[20:21], v[48:49]
	s_waitcnt vmcnt(52)
	v_fmac_f64_e32 v[162:163], v[154:155], v[96:97]
	v_add_f64 v[164:165], v[160:161], v[162:163]
	ds_read_b128 v[160:163], v1 offset:1104
	s_waitcnt lgkmcnt(1)
	v_mul_f64 v[166:167], v[156:157], v[90:91]
	v_fmac_f64_e32 v[166:167], v[158:159], v[92:93]
	v_add_f64 v[22:23], v[26:27], v[22:23]
	v_fma_f64 v[18:19], v[18:19], v[62:63], -v[20:21]
	v_mul_f64 v[12:13], v[12:13], v[56:57]
	v_add_f64 v[168:169], v[164:165], v[166:167]
	ds_read_b128 v[164:167], v1 offset:1120
	v_add_f64 v[18:19], v[22:23], v[18:19]
	v_fma_f64 v[10:11], v[10:11], v[58:59], -v[12:13]
	v_mul_f64 v[8:9], v[8:9], v[54:55]
	v_add_f64 v[10:11], v[18:19], v[10:11]
	v_fma_f64 v[6:7], v[6:7], v[60:61], -v[8:9]
	v_mul_f64 v[4:5], v[4:5], v[50:51]
	;; [unrolled: 3-line block ×3, first 2 shown]
	s_waitcnt vmcnt(46) lgkmcnt(1)
	v_mul_f64 v[170:171], v[160:161], v[102:103]
	v_add_f64 v[2:3], v[6:7], v[2:3]
	v_fma_f64 v[4:5], v[14:15], v[72:73], -v[4:5]
	s_waitcnt vmcnt(44)
	v_fmac_f64_e32 v[170:171], v[162:163], v[104:105]
	v_add_f64 v[2:3], v[2:3], v[4:5]
	v_mul_f64 v[4:5], v[126:127], v[66:67]
	v_add_f64 v[172:173], v[168:169], v[170:171]
	ds_read_b128 v[168:171], v1 offset:1136
	s_waitcnt lgkmcnt(1)
	v_mul_f64 v[174:175], v[164:165], v[98:99]
	v_fma_f64 v[4:5], v[124:125], v[68:69], -v[4:5]
	v_fmac_f64_e32 v[174:175], v[166:167], v[100:101]
	v_add_f64 v[2:3], v[2:3], v[4:5]
	v_mul_f64 v[4:5], v[138:139], v[78:79]
	v_add_f64 v[176:177], v[172:173], v[174:175]
	ds_read_b128 v[172:175], v1 offset:1152
	v_fma_f64 v[4:5], v[136:137], v[80:81], -v[4:5]
	v_add_f64 v[2:3], v[2:3], v[4:5]
	v_mul_f64 v[4:5], v[142:143], v[74:75]
	v_fma_f64 v[4:5], v[140:141], v[76:77], -v[4:5]
	s_waitcnt vmcnt(38) lgkmcnt(1)
	v_mul_f64 v[178:179], v[168:169], v[110:111]
	v_add_f64 v[2:3], v[2:3], v[4:5]
	v_mul_f64 v[4:5], v[146:147], v[86:87]
	s_waitcnt vmcnt(36)
	v_fmac_f64_e32 v[178:179], v[170:171], v[112:113]
	v_fma_f64 v[4:5], v[144:145], v[88:89], -v[4:5]
	v_add_f64 v[180:181], v[176:177], v[178:179]
	ds_read_b128 v[176:179], v1 offset:1168
	s_waitcnt lgkmcnt(1)
	v_mul_f64 v[182:183], v[172:173], v[106:107]
	v_add_f64 v[2:3], v[2:3], v[4:5]
	v_mul_f64 v[4:5], v[150:151], v[82:83]
	v_fmac_f64_e32 v[182:183], v[174:175], v[108:109]
	v_fma_f64 v[4:5], v[148:149], v[84:85], -v[4:5]
	v_add_f64 v[184:185], v[180:181], v[182:183]
	ds_read_b128 v[180:183], v1 offset:1184
	v_add_f64 v[2:3], v[2:3], v[4:5]
	v_mul_f64 v[4:5], v[154:155], v[94:95]
	v_fma_f64 v[4:5], v[152:153], v[96:97], -v[4:5]
	v_add_f64 v[2:3], v[2:3], v[4:5]
	v_mul_f64 v[4:5], v[158:159], v[90:91]
	s_waitcnt vmcnt(30) lgkmcnt(1)
	v_mul_f64 v[186:187], v[176:177], v[120:121]
	v_fma_f64 v[4:5], v[156:157], v[92:93], -v[4:5]
	s_waitcnt vmcnt(28)
	v_fmac_f64_e32 v[186:187], v[178:179], v[122:123]
	v_add_f64 v[2:3], v[2:3], v[4:5]
	v_mul_f64 v[4:5], v[162:163], v[102:103]
	v_add_f64 v[188:189], v[184:185], v[186:187]
	ds_read_b128 v[184:187], v1 offset:1200
	s_waitcnt lgkmcnt(1)
	v_mul_f64 v[190:191], v[180:181], v[114:115]
	v_fma_f64 v[4:5], v[160:161], v[104:105], -v[4:5]
	v_fmac_f64_e32 v[190:191], v[182:183], v[116:117]
	v_add_f64 v[2:3], v[2:3], v[4:5]
	v_mul_f64 v[4:5], v[166:167], v[98:99]
	v_add_f64 v[200:201], v[188:189], v[190:191]
	ds_read_b128 v[188:191], v1 offset:1216
	v_fma_f64 v[4:5], v[164:165], v[100:101], -v[4:5]
	v_add_f64 v[2:3], v[2:3], v[4:5]
	v_mul_f64 v[4:5], v[170:171], v[110:111]
	v_fma_f64 v[4:5], v[168:169], v[112:113], -v[4:5]
	s_waitcnt vmcnt(22) lgkmcnt(1)
	v_mul_f64 v[202:203], v[184:185], v[132:133]
	v_add_f64 v[2:3], v[2:3], v[4:5]
	v_mul_f64 v[4:5], v[174:175], v[106:107]
	s_waitcnt vmcnt(20)
	v_fmac_f64_e32 v[202:203], v[186:187], v[134:135]
	v_fma_f64 v[4:5], v[172:173], v[108:109], -v[4:5]
	v_add_f64 v[204:205], v[200:201], v[202:203]
	ds_read_b128 v[200:203], v1 offset:1232
	s_waitcnt lgkmcnt(1)
	v_mul_f64 v[206:207], v[188:189], v[128:129]
	v_add_f64 v[2:3], v[2:3], v[4:5]
	v_mul_f64 v[4:5], v[178:179], v[120:121]
	v_fmac_f64_e32 v[206:207], v[190:191], v[130:131]
	v_fma_f64 v[4:5], v[176:177], v[122:123], -v[4:5]
	v_add_f64 v[208:209], v[204:205], v[206:207]
	ds_read_b128 v[204:207], v1 offset:1248
	v_add_f64 v[2:3], v[2:3], v[4:5]
	v_mul_f64 v[4:5], v[182:183], v[114:115]
	v_fma_f64 v[4:5], v[180:181], v[116:117], -v[4:5]
	v_add_f64 v[2:3], v[2:3], v[4:5]
	v_mul_f64 v[4:5], v[186:187], v[132:133]
	s_waitcnt vmcnt(14) lgkmcnt(1)
	v_mul_f64 v[210:211], v[200:201], v[194:195]
	v_fma_f64 v[4:5], v[184:185], v[134:135], -v[4:5]
	s_waitcnt vmcnt(12)
	v_fmac_f64_e32 v[210:211], v[202:203], v[196:197]
	v_add_f64 v[2:3], v[2:3], v[4:5]
	v_mul_f64 v[4:5], v[190:191], v[128:129]
	v_add_f64 v[212:213], v[208:209], v[210:211]
	ds_read_b128 v[208:211], v1 offset:1264
	s_waitcnt lgkmcnt(1)
	v_mul_f64 v[214:215], v[204:205], v[118:119]
	v_fma_f64 v[4:5], v[188:189], v[130:131], -v[4:5]
	v_fmac_f64_e32 v[214:215], v[206:207], v[192:193]
	v_add_f64 v[2:3], v[2:3], v[4:5]
	v_mul_f64 v[4:5], v[202:203], v[194:195]
	v_add_f64 v[230:231], v[212:213], v[214:215]
	ds_read_b128 v[212:215], v1 offset:1280
	v_fma_f64 v[4:5], v[200:201], v[196:197], -v[4:5]
	v_add_f64 v[2:3], v[2:3], v[4:5]
	v_mul_f64 v[4:5], v[206:207], v[118:119]
	ds_read_b128 v[216:219], v1 offset:1296
	v_fma_f64 v[4:5], v[204:205], v[192:193], -v[4:5]
	v_add_f64 v[2:3], v[2:3], v[4:5]
	s_waitcnt vmcnt(6) lgkmcnt(2)
	v_mul_f64 v[4:5], v[210:211], v[222:223]
	v_mul_f64 v[232:233], v[208:209], v[222:223]
	s_waitcnt vmcnt(4)
	v_fma_f64 v[4:5], v[208:209], v[224:225], -v[4:5]
	v_fmac_f64_e32 v[232:233], v[210:211], v[224:225]
	v_add_f64 v[2:3], v[2:3], v[4:5]
	s_waitcnt lgkmcnt(1)
	v_mul_f64 v[4:5], v[214:215], v[198:199]
	v_add_f64 v[230:231], v[230:231], v[232:233]
	v_mul_f64 v[232:233], v[212:213], v[198:199]
	v_fma_f64 v[4:5], v[212:213], v[220:221], -v[4:5]
	v_fmac_f64_e32 v[232:233], v[214:215], v[220:221]
	v_add_f64 v[2:3], v[2:3], v[4:5]
	s_waitcnt vmcnt(2) lgkmcnt(0)
	v_mul_f64 v[4:5], v[218:219], v[226:227]
	v_add_f64 v[230:231], v[230:231], v[232:233]
	v_mul_f64 v[232:233], v[216:217], v[226:227]
	s_waitcnt vmcnt(0)
	v_fma_f64 v[4:5], v[216:217], v[228:229], -v[4:5]
	v_fmac_f64_e32 v[232:233], v[218:219], v[228:229]
	v_add_f64 v[2:3], v[2:3], v[4:5]
	v_add_f64 v[230:231], v[230:231], v[232:233]
	v_add_f64 v[2:3], v[46:47], -v[2:3]
	v_add_f64 v[4:5], v[44:45], -v[230:231]
	buffer_store_dword v3, off, s[0:3], 0 offset:212
	buffer_store_dword v2, off, s[0:3], 0 offset:208
	;; [unrolled: 1-line block ×4, first 2 shown]
	s_and_saveexec_b64 s[4:5], vcc
	s_cbranch_execz .LBB104_237
; %bb.236:
	v_accvgpr_read_b32 v0, a111
	buffer_load_dword v2, v0, s[0:3], 0 offen
	buffer_load_dword v3, v0, s[0:3], 0 offen offset:4
	buffer_load_dword v4, v0, s[0:3], 0 offen offset:8
	;; [unrolled: 1-line block ×3, first 2 shown]
	v_mov_b32_e32 v0, 0
	v_accvgpr_read_b32 v1, a123
	buffer_store_dword v0, off, s[0:3], 0 offset:192
	buffer_store_dword v0, off, s[0:3], 0 offset:196
	;; [unrolled: 1-line block ×4, first 2 shown]
	s_waitcnt vmcnt(4)
	ds_write_b128 v1, v[2:5]
.LBB104_237:
	s_or_b64 exec, exec, s[4:5]
	s_waitcnt lgkmcnt(0)
	; wave barrier
	s_waitcnt lgkmcnt(0)
	buffer_load_dword v38, off, s[0:3], 0 offset:208
	buffer_load_dword v39, off, s[0:3], 0 offset:212
	;; [unrolled: 1-line block ×48, first 2 shown]
	v_mov_b32_e32 v1, 0
	ds_read_b128 v[34:37], v1 offset:848
	ds_read_b128 v[30:33], v1 offset:864
	;; [unrolled: 1-line block ×9, first 2 shown]
	v_cmp_lt_u32_e32 vcc, 10, v254
	s_waitcnt vmcnt(44) lgkmcnt(8)
	v_mul_f64 v[86:87], v[34:35], v[42:43]
	v_fmac_f64_e32 v[86:87], v[36:37], v[38:39]
	v_add_f64 v[86:87], v[86:87], 0
	v_mul_f64 v[36:37], v[36:37], v[42:43]
	s_waitcnt vmcnt(40) lgkmcnt(7)
	v_mul_f64 v[88:89], v[30:31], v[44:45]
	v_fmac_f64_e32 v[88:89], v[32:33], v[40:41]
	s_waitcnt vmcnt(38) lgkmcnt(6)
	v_mul_f64 v[90:91], v[26:27], v[46:47]
	v_add_f64 v[86:87], v[86:87], v[88:89]
	s_waitcnt vmcnt(36) lgkmcnt(4)
	v_mul_f64 v[94:95], v[18:19], v[48:49]
	v_fma_f64 v[34:35], v[34:35], v[38:39], -v[36:37]
	s_waitcnt vmcnt(34)
	v_fmac_f64_e32 v[94:95], v[20:21], v[50:51]
	v_mul_f64 v[32:33], v[32:33], v[44:45]
	s_waitcnt vmcnt(32)
	v_mul_f64 v[92:93], v[22:23], v[52:53]
	v_add_f64 v[34:35], v[34:35], 0
	s_waitcnt vmcnt(30) lgkmcnt(2)
	v_mul_f64 v[98:99], v[10:11], v[54:55]
	v_fma_f64 v[30:31], v[30:31], v[40:41], -v[32:33]
	s_waitcnt vmcnt(28)
	v_fmac_f64_e32 v[98:99], v[12:13], v[56:57]
	v_add_f64 v[30:31], v[34:35], v[30:31]
	s_waitcnt vmcnt(26)
	v_mul_f64 v[96:97], v[14:15], v[58:59]
	v_mul_f64 v[20:21], v[20:21], v[48:49]
	v_fma_f64 v[18:19], v[18:19], v[50:51], -v[20:21]
	v_mul_f64 v[12:13], v[12:13], v[54:55]
	s_waitcnt vmcnt(22) lgkmcnt(1)
	v_mul_f64 v[110:111], v[6:7], v[68:69]
	v_fma_f64 v[10:11], v[10:11], v[56:57], -v[12:13]
	s_waitcnt vmcnt(20)
	v_fmac_f64_e32 v[90:91], v[28:29], v[76:77]
	v_add_f64 v[86:87], v[86:87], v[90:91]
	s_waitcnt vmcnt(18)
	v_fmac_f64_e32 v[92:93], v[24:25], v[74:75]
	v_add_f64 v[86:87], v[86:87], v[92:93]
	;; [unrolled: 3-line block ×3, first 2 shown]
	v_add_f64 v[86:87], v[86:87], v[96:97]
	v_add_f64 v[112:113], v[86:87], v[98:99]
	buffer_load_dword v87, off, s[0:3], 0 offset:412
	buffer_load_dword v86, off, s[0:3], 0 offset:408
	;; [unrolled: 1-line block ×72, first 2 shown]
	s_waitcnt vmcnt(62)
	v_fmac_f64_e32 v[110:111], v[8:9], v[70:71]
	v_add_f64 v[144:145], v[112:113], v[110:111]
	ds_read_b128 v[110:113], v1 offset:992
	s_waitcnt lgkmcnt(1)
	v_mul_f64 v[146:147], v[2:3], v[64:65]
	v_fmac_f64_e32 v[146:147], v[4:5], v[66:67]
	v_add_f64 v[148:149], v[144:145], v[146:147]
	ds_read_b128 v[144:147], v1 offset:1008
	s_waitcnt lgkmcnt(1)
	v_mul_f64 v[150:151], v[110:111], v[82:83]
	;; [unrolled: 5-line block ×5, first 2 shown]
	v_fmac_f64_e32 v[162:163], v[154:155], v[88:89]
	v_add_f64 v[164:165], v[160:161], v[162:163]
	ds_read_b128 v[160:163], v1 offset:1072
	s_waitcnt vmcnt(58) lgkmcnt(1)
	v_mul_f64 v[166:167], v[156:157], v[98:99]
	s_waitcnt vmcnt(56)
	v_fmac_f64_e32 v[166:167], v[158:159], v[100:101]
	v_add_f64 v[168:169], v[164:165], v[166:167]
	ds_read_b128 v[164:167], v1 offset:1088
	s_waitcnt lgkmcnt(1)
	v_mul_f64 v[170:171], v[160:161], v[94:95]
	v_fmac_f64_e32 v[170:171], v[162:163], v[96:97]
	v_mul_f64 v[28:29], v[28:29], v[46:47]
	v_add_f64 v[172:173], v[168:169], v[170:171]
	ds_read_b128 v[168:171], v1 offset:1104
	s_waitcnt vmcnt(50) lgkmcnt(1)
	v_mul_f64 v[174:175], v[164:165], v[106:107]
	v_fma_f64 v[26:27], v[26:27], v[76:77], -v[28:29]
	v_mul_f64 v[24:25], v[24:25], v[52:53]
	s_waitcnt vmcnt(48)
	v_fmac_f64_e32 v[174:175], v[166:167], v[108:109]
	v_add_f64 v[26:27], v[30:31], v[26:27]
	v_fma_f64 v[22:23], v[22:23], v[74:75], -v[24:25]
	v_add_f64 v[176:177], v[172:173], v[174:175]
	ds_read_b128 v[172:175], v1 offset:1120
	v_add_f64 v[22:23], v[26:27], v[22:23]
	v_mul_f64 v[16:17], v[16:17], v[58:59]
	v_add_f64 v[18:19], v[22:23], v[18:19]
	v_fma_f64 v[14:15], v[14:15], v[72:73], -v[16:17]
	v_add_f64 v[14:15], v[18:19], v[14:15]
	v_mul_f64 v[8:9], v[8:9], v[68:69]
	s_waitcnt lgkmcnt(1)
	v_mul_f64 v[178:179], v[168:169], v[102:103]
	v_add_f64 v[10:11], v[14:15], v[10:11]
	v_fma_f64 v[6:7], v[6:7], v[70:71], -v[8:9]
	v_mul_f64 v[4:5], v[4:5], v[64:65]
	v_fmac_f64_e32 v[178:179], v[170:171], v[104:105]
	v_add_f64 v[6:7], v[10:11], v[6:7]
	v_fma_f64 v[2:3], v[2:3], v[66:67], -v[4:5]
	v_mul_f64 v[4:5], v[112:113], v[82:83]
	v_add_f64 v[180:181], v[176:177], v[178:179]
	ds_read_b128 v[176:179], v1 offset:1136
	s_waitcnt vmcnt(42) lgkmcnt(1)
	v_mul_f64 v[182:183], v[172:173], v[120:121]
	v_add_f64 v[2:3], v[6:7], v[2:3]
	v_fma_f64 v[4:5], v[110:111], v[84:85], -v[4:5]
	s_waitcnt vmcnt(40)
	v_fmac_f64_e32 v[182:183], v[174:175], v[122:123]
	v_add_f64 v[2:3], v[2:3], v[4:5]
	v_mul_f64 v[4:5], v[146:147], v[78:79]
	v_add_f64 v[184:185], v[180:181], v[182:183]
	ds_read_b128 v[180:183], v1 offset:1152
	v_fma_f64 v[4:5], v[144:145], v[80:81], -v[4:5]
	v_add_f64 v[2:3], v[2:3], v[4:5]
	v_mul_f64 v[4:5], v[150:151], v[90:91]
	v_fma_f64 v[4:5], v[148:149], v[92:93], -v[4:5]
	s_waitcnt lgkmcnt(1)
	v_mul_f64 v[186:187], v[176:177], v[114:115]
	v_add_f64 v[2:3], v[2:3], v[4:5]
	v_mul_f64 v[4:5], v[154:155], v[86:87]
	v_fmac_f64_e32 v[186:187], v[178:179], v[116:117]
	v_fma_f64 v[4:5], v[152:153], v[88:89], -v[4:5]
	v_add_f64 v[188:189], v[184:185], v[186:187]
	ds_read_b128 v[184:187], v1 offset:1168
	s_waitcnt vmcnt(34) lgkmcnt(1)
	v_mul_f64 v[190:191], v[180:181], v[128:129]
	v_add_f64 v[2:3], v[2:3], v[4:5]
	v_mul_f64 v[4:5], v[158:159], v[98:99]
	s_waitcnt vmcnt(32)
	v_fmac_f64_e32 v[190:191], v[182:183], v[130:131]
	v_fma_f64 v[4:5], v[156:157], v[100:101], -v[4:5]
	v_add_f64 v[200:201], v[188:189], v[190:191]
	ds_read_b128 v[188:191], v1 offset:1184
	v_add_f64 v[2:3], v[2:3], v[4:5]
	v_mul_f64 v[4:5], v[162:163], v[94:95]
	v_fma_f64 v[4:5], v[160:161], v[96:97], -v[4:5]
	v_add_f64 v[2:3], v[2:3], v[4:5]
	v_mul_f64 v[4:5], v[166:167], v[106:107]
	s_waitcnt lgkmcnt(1)
	v_mul_f64 v[202:203], v[184:185], v[124:125]
	v_fma_f64 v[4:5], v[164:165], v[108:109], -v[4:5]
	v_fmac_f64_e32 v[202:203], v[186:187], v[126:127]
	v_add_f64 v[2:3], v[2:3], v[4:5]
	v_mul_f64 v[4:5], v[170:171], v[102:103]
	v_add_f64 v[204:205], v[200:201], v[202:203]
	ds_read_b128 v[200:203], v1 offset:1200
	s_waitcnt vmcnt(26) lgkmcnt(1)
	v_mul_f64 v[206:207], v[188:189], v[136:137]
	v_fma_f64 v[4:5], v[168:169], v[104:105], -v[4:5]
	s_waitcnt vmcnt(24)
	v_fmac_f64_e32 v[206:207], v[190:191], v[138:139]
	v_add_f64 v[2:3], v[2:3], v[4:5]
	v_mul_f64 v[4:5], v[174:175], v[120:121]
	v_add_f64 v[208:209], v[204:205], v[206:207]
	ds_read_b128 v[204:207], v1 offset:1216
	v_fma_f64 v[4:5], v[172:173], v[122:123], -v[4:5]
	v_add_f64 v[2:3], v[2:3], v[4:5]
	v_mul_f64 v[4:5], v[178:179], v[114:115]
	v_fma_f64 v[4:5], v[176:177], v[116:117], -v[4:5]
	s_waitcnt lgkmcnt(1)
	v_mul_f64 v[210:211], v[200:201], v[132:133]
	v_add_f64 v[2:3], v[2:3], v[4:5]
	v_mul_f64 v[4:5], v[182:183], v[128:129]
	v_fmac_f64_e32 v[210:211], v[202:203], v[134:135]
	v_fma_f64 v[4:5], v[180:181], v[130:131], -v[4:5]
	v_add_f64 v[212:213], v[208:209], v[210:211]
	ds_read_b128 v[208:211], v1 offset:1232
	s_waitcnt vmcnt(18) lgkmcnt(1)
	v_mul_f64 v[214:215], v[204:205], v[118:119]
	v_add_f64 v[2:3], v[2:3], v[4:5]
	v_mul_f64 v[4:5], v[186:187], v[124:125]
	s_waitcnt vmcnt(16)
	v_fmac_f64_e32 v[214:215], v[206:207], v[192:193]
	v_fma_f64 v[4:5], v[184:185], v[126:127], -v[4:5]
	v_add_f64 v[216:217], v[212:213], v[214:215]
	ds_read_b128 v[212:215], v1 offset:1248
	v_add_f64 v[2:3], v[2:3], v[4:5]
	v_mul_f64 v[4:5], v[190:191], v[136:137]
	v_fma_f64 v[4:5], v[188:189], v[138:139], -v[4:5]
	v_add_f64 v[2:3], v[2:3], v[4:5]
	v_mul_f64 v[4:5], v[202:203], v[132:133]
	s_waitcnt lgkmcnt(1)
	v_mul_f64 v[218:219], v[208:209], v[140:141]
	v_fma_f64 v[4:5], v[200:201], v[134:135], -v[4:5]
	v_fmac_f64_e32 v[218:219], v[210:211], v[142:143]
	v_add_f64 v[2:3], v[2:3], v[4:5]
	v_mul_f64 v[4:5], v[206:207], v[118:119]
	v_add_f64 v[220:221], v[216:217], v[218:219]
	ds_read_b128 v[216:219], v1 offset:1264
	s_waitcnt vmcnt(10) lgkmcnt(1)
	v_mul_f64 v[222:223], v[212:213], v[198:199]
	v_fma_f64 v[4:5], v[204:205], v[192:193], -v[4:5]
	s_waitcnt vmcnt(8)
	v_fmac_f64_e32 v[222:223], v[214:215], v[228:229]
	v_add_f64 v[2:3], v[2:3], v[4:5]
	v_mul_f64 v[4:5], v[210:211], v[140:141]
	v_add_f64 v[238:239], v[220:221], v[222:223]
	ds_read_b128 v[220:223], v1 offset:1280
	ds_read_b128 v[224:227], v1 offset:1296
	v_fma_f64 v[4:5], v[208:209], v[142:143], -v[4:5]
	v_add_f64 v[2:3], v[2:3], v[4:5]
	v_mul_f64 v[4:5], v[214:215], v[198:199]
	v_fma_f64 v[4:5], v[212:213], v[228:229], -v[4:5]
	v_add_f64 v[2:3], v[2:3], v[4:5]
	s_waitcnt lgkmcnt(2)
	v_mul_f64 v[4:5], v[218:219], v[194:195]
	v_mul_f64 v[240:241], v[216:217], v[194:195]
	v_fma_f64 v[4:5], v[216:217], v[196:197], -v[4:5]
	v_fmac_f64_e32 v[240:241], v[218:219], v[196:197]
	v_add_f64 v[2:3], v[2:3], v[4:5]
	s_waitcnt vmcnt(2) lgkmcnt(1)
	v_mul_f64 v[4:5], v[222:223], v[234:235]
	v_add_f64 v[238:239], v[238:239], v[240:241]
	v_mul_f64 v[240:241], v[220:221], v[234:235]
	s_waitcnt vmcnt(0)
	v_fma_f64 v[4:5], v[220:221], v[236:237], -v[4:5]
	v_fmac_f64_e32 v[240:241], v[222:223], v[236:237]
	v_add_f64 v[2:3], v[2:3], v[4:5]
	s_waitcnt lgkmcnt(0)
	v_mul_f64 v[4:5], v[226:227], v[230:231]
	v_add_f64 v[238:239], v[238:239], v[240:241]
	v_mul_f64 v[240:241], v[224:225], v[230:231]
	v_fma_f64 v[4:5], v[224:225], v[232:233], -v[4:5]
	v_fmac_f64_e32 v[240:241], v[226:227], v[232:233]
	v_add_f64 v[2:3], v[2:3], v[4:5]
	v_add_f64 v[238:239], v[238:239], v[240:241]
	v_add_f64 v[2:3], v[62:63], -v[2:3]
	v_add_f64 v[4:5], v[60:61], -v[238:239]
	buffer_store_dword v3, off, s[0:3], 0 offset:196
	buffer_store_dword v2, off, s[0:3], 0 offset:192
	;; [unrolled: 1-line block ×4, first 2 shown]
	s_and_saveexec_b64 s[4:5], vcc
	s_cbranch_execz .LBB104_239
; %bb.238:
	v_accvgpr_read_b32 v0, a112
	buffer_load_dword v2, v0, s[0:3], 0 offen
	buffer_load_dword v3, v0, s[0:3], 0 offen offset:4
	buffer_load_dword v4, v0, s[0:3], 0 offen offset:8
	;; [unrolled: 1-line block ×3, first 2 shown]
	v_accvgpr_read_b32 v0, a123
	buffer_store_dword v1, off, s[0:3], 0 offset:176
	buffer_store_dword v1, off, s[0:3], 0 offset:180
	;; [unrolled: 1-line block ×4, first 2 shown]
	s_waitcnt vmcnt(4)
	ds_write_b128 v0, v[2:5]
.LBB104_239:
	s_or_b64 exec, exec, s[4:5]
	s_waitcnt lgkmcnt(0)
	; wave barrier
	s_waitcnt lgkmcnt(0)
	buffer_load_dword v48, off, s[0:3], 0 offset:192
	buffer_load_dword v49, off, s[0:3], 0 offset:196
	;; [unrolled: 1-line block ×40, first 2 shown]
	ds_read_b128 v[38:41], v1 offset:832
	ds_read_b128 v[34:37], v1 offset:848
	;; [unrolled: 1-line block ×10, first 2 shown]
	buffer_load_dword v83, off, s[0:3], 0 offset:364
	buffer_load_dword v82, off, s[0:3], 0 offset:360
	;; [unrolled: 1-line block ×8, first 2 shown]
	v_cmp_lt_u32_e32 vcc, 9, v254
	s_waitcnt vmcnt(44) lgkmcnt(9)
	v_mul_f64 v[90:91], v[38:39], v[50:51]
	v_fmac_f64_e32 v[90:91], v[40:41], v[48:49]
	v_add_f64 v[90:91], v[90:91], 0
	v_mul_f64 v[40:41], v[40:41], v[50:51]
	s_waitcnt vmcnt(40) lgkmcnt(8)
	v_mul_f64 v[92:93], v[34:35], v[44:45]
	v_fmac_f64_e32 v[92:93], v[36:37], v[42:43]
	s_waitcnt vmcnt(38) lgkmcnt(7)
	v_mul_f64 v[94:95], v[30:31], v[46:47]
	v_add_f64 v[90:91], v[90:91], v[92:93]
	s_waitcnt vmcnt(36) lgkmcnt(5)
	v_mul_f64 v[98:99], v[22:23], v[52:53]
	v_mul_f64 v[36:37], v[36:37], v[44:45]
	s_waitcnt vmcnt(34)
	v_fmac_f64_e32 v[98:99], v[24:25], v[54:55]
	v_fma_f64 v[34:35], v[34:35], v[42:43], -v[36:37]
	s_waitcnt vmcnt(32)
	v_mul_f64 v[96:97], v[26:27], v[56:57]
	v_mul_f64 v[24:25], v[24:25], v[52:53]
	s_waitcnt vmcnt(30) lgkmcnt(4)
	v_mul_f64 v[100:101], v[18:19], v[62:63]
	v_fma_f64 v[22:23], v[22:23], v[54:55], -v[24:25]
	s_waitcnt vmcnt(28) lgkmcnt(1)
	v_mul_f64 v[124:125], v[2:3], v[64:65]
	s_waitcnt vmcnt(25)
	v_mul_f64 v[104:105], v[6:7], v[68:69]
	s_waitcnt vmcnt(23)
	;; [unrolled: 2-line block ×3, first 2 shown]
	v_fmac_f64_e32 v[102:103], v[12:13], v[72:73]
	v_mul_f64 v[12:13], v[12:13], v[70:71]
	s_waitcnt vmcnt(19)
	v_fmac_f64_e32 v[94:95], v[32:33], v[80:81]
	v_add_f64 v[90:91], v[90:91], v[94:95]
	s_waitcnt vmcnt(17)
	v_fmac_f64_e32 v[96:97], v[28:29], v[78:79]
	v_add_f64 v[90:91], v[90:91], v[96:97]
	;; [unrolled: 3-line block ×3, first 2 shown]
	v_add_f64 v[90:91], v[90:91], v[100:101]
	s_waitcnt vmcnt(13)
	v_fmac_f64_e32 v[104:105], v[8:9], v[74:75]
	v_add_f64 v[90:91], v[90:91], v[102:103]
	v_add_f64 v[126:127], v[90:91], v[104:105]
	buffer_load_dword v91, off, s[0:3], 0 offset:396
	buffer_load_dword v90, off, s[0:3], 0 offset:392
	;; [unrolled: 1-line block ×72, first 2 shown]
	s_waitcnt vmcnt(62)
	v_fmac_f64_e32 v[124:125], v[4:5], v[66:67]
	v_add_f64 v[152:153], v[126:127], v[124:125]
	ds_read_b128 v[124:127], v1 offset:992
	s_waitcnt lgkmcnt(1)
	v_mul_f64 v[154:155], v[14:15], v[86:87]
	v_fmac_f64_e32 v[154:155], v[16:17], v[88:89]
	buffer_load_dword v235, off, s[0:3], 0 offset:668
	buffer_load_dword v234, off, s[0:3], 0 offset:664
	;; [unrolled: 1-line block ×4, first 2 shown]
	v_add_f64 v[156:157], v[152:153], v[154:155]
	s_waitcnt lgkmcnt(0)
	v_mul_f64 v[158:159], v[124:125], v[82:83]
	ds_read_b128 v[152:155], v1 offset:1008
	v_fmac_f64_e32 v[158:159], v[126:127], v[84:85]
	v_add_f64 v[160:161], v[156:157], v[158:159]
	ds_read_b128 v[156:159], v1 offset:1024
	v_mul_f64 v[32:33], v[32:33], v[46:47]
	s_waitcnt lgkmcnt(1)
	v_mul_f64 v[162:163], v[152:153], v[94:95]
	v_fma_f64 v[30:31], v[30:31], v[80:81], -v[32:33]
	v_fmac_f64_e32 v[162:163], v[154:155], v[96:97]
	s_waitcnt lgkmcnt(0)
	v_mul_f64 v[166:167], v[156:157], v[90:91]
	v_add_f64 v[164:165], v[160:161], v[162:163]
	ds_read_b128 v[160:163], v1 offset:1040
	v_fmac_f64_e32 v[166:167], v[158:159], v[92:93]
	v_add_f64 v[168:169], v[164:165], v[166:167]
	ds_read_b128 v[164:167], v1 offset:1056
	v_mul_f64 v[28:29], v[28:29], v[56:57]
	s_waitcnt vmcnt(62) lgkmcnt(1)
	v_mul_f64 v[170:171], v[160:161], v[102:103]
	s_waitcnt vmcnt(60)
	v_fmac_f64_e32 v[170:171], v[162:163], v[104:105]
	v_add_f64 v[172:173], v[168:169], v[170:171]
	s_waitcnt lgkmcnt(0)
	v_mul_f64 v[174:175], v[164:165], v[98:99]
	ds_read_b128 v[168:171], v1 offset:1072
	v_fmac_f64_e32 v[174:175], v[166:167], v[100:101]
	v_add_f64 v[176:177], v[172:173], v[174:175]
	ds_read_b128 v[172:175], v1 offset:1088
	v_fma_f64 v[26:27], v[26:27], v[78:79], -v[28:29]
	s_waitcnt vmcnt(54) lgkmcnt(1)
	v_mul_f64 v[178:179], v[168:169], v[110:111]
	s_waitcnt vmcnt(52)
	v_fmac_f64_e32 v[178:179], v[170:171], v[112:113]
	v_add_f64 v[180:181], v[176:177], v[178:179]
	s_waitcnt lgkmcnt(0)
	v_mul_f64 v[182:183], v[172:173], v[106:107]
	ds_read_b128 v[176:179], v1 offset:1104
	v_fmac_f64_e32 v[182:183], v[174:175], v[108:109]
	v_add_f64 v[184:185], v[180:181], v[182:183]
	ds_read_b128 v[180:183], v1 offset:1120
	v_mul_f64 v[20:21], v[20:21], v[62:63]
	s_waitcnt vmcnt(46) lgkmcnt(1)
	v_mul_f64 v[186:187], v[176:177], v[120:121]
	s_waitcnt vmcnt(44)
	v_fmac_f64_e32 v[186:187], v[178:179], v[122:123]
	v_add_f64 v[188:189], v[184:185], v[186:187]
	s_waitcnt lgkmcnt(0)
	v_mul_f64 v[190:191], v[180:181], v[114:115]
	ds_read_b128 v[184:187], v1 offset:1136
	v_fmac_f64_e32 v[190:191], v[182:183], v[116:117]
	v_add_f64 v[200:201], v[188:189], v[190:191]
	ds_read_b128 v[188:191], v1 offset:1152
	v_fma_f64 v[18:19], v[18:19], v[76:77], -v[20:21]
	s_waitcnt vmcnt(38) lgkmcnt(1)
	v_mul_f64 v[202:203], v[184:185], v[132:133]
	s_waitcnt vmcnt(36)
	v_fmac_f64_e32 v[202:203], v[186:187], v[134:135]
	v_add_f64 v[204:205], v[200:201], v[202:203]
	s_waitcnt lgkmcnt(0)
	v_mul_f64 v[206:207], v[188:189], v[128:129]
	ds_read_b128 v[200:203], v1 offset:1168
	v_fmac_f64_e32 v[206:207], v[190:191], v[130:131]
	v_add_f64 v[208:209], v[204:205], v[206:207]
	ds_read_b128 v[204:207], v1 offset:1184
	v_fma_f64 v[10:11], v[10:11], v[72:73], -v[12:13]
	s_waitcnt vmcnt(30) lgkmcnt(1)
	v_mul_f64 v[210:211], v[200:201], v[140:141]
	s_waitcnt vmcnt(28)
	v_fmac_f64_e32 v[210:211], v[202:203], v[142:143]
	v_add_f64 v[212:213], v[208:209], v[210:211]
	s_waitcnt lgkmcnt(0)
	v_mul_f64 v[214:215], v[204:205], v[136:137]
	ds_read_b128 v[208:211], v1 offset:1200
	v_fmac_f64_e32 v[214:215], v[206:207], v[138:139]
	v_add_f64 v[216:217], v[212:213], v[214:215]
	ds_read_b128 v[212:215], v1 offset:1216
	v_mul_f64 v[8:9], v[8:9], v[68:69]
	s_waitcnt vmcnt(22) lgkmcnt(1)
	v_mul_f64 v[218:219], v[208:209], v[148:149]
	s_waitcnt vmcnt(20)
	v_fmac_f64_e32 v[218:219], v[210:211], v[150:151]
	v_add_f64 v[220:221], v[216:217], v[218:219]
	s_waitcnt lgkmcnt(0)
	v_mul_f64 v[222:223], v[212:213], v[144:145]
	ds_read_b128 v[216:219], v1 offset:1232
	v_fmac_f64_e32 v[222:223], v[214:215], v[146:147]
	v_add_f64 v[224:225], v[220:221], v[222:223]
	ds_read_b128 v[220:223], v1 offset:1248
	v_fma_f64 v[6:7], v[6:7], v[74:75], -v[8:9]
	s_waitcnt vmcnt(14) lgkmcnt(1)
	v_mul_f64 v[226:227], v[216:217], v[194:195]
	s_waitcnt vmcnt(12)
	v_fmac_f64_e32 v[226:227], v[218:219], v[196:197]
	v_add_f64 v[238:239], v[224:225], v[226:227]
	s_waitcnt lgkmcnt(0)
	v_mul_f64 v[240:241], v[220:221], v[118:119]
	v_fmac_f64_e32 v[240:241], v[222:223], v[192:193]
	v_add_f64 v[238:239], v[238:239], v[240:241]
	v_fma_f64 v[240:241], v[38:39], v[48:49], -v[40:41]
	v_add_f64 v[240:241], v[240:241], 0
	v_add_f64 v[34:35], v[240:241], v[34:35]
	;; [unrolled: 1-line block ×7, first 2 shown]
	v_mul_f64 v[4:5], v[4:5], v[64:65]
	v_add_f64 v[6:7], v[10:11], v[6:7]
	v_fma_f64 v[2:3], v[2:3], v[66:67], -v[4:5]
	v_mul_f64 v[4:5], v[16:17], v[86:87]
	v_add_f64 v[2:3], v[6:7], v[2:3]
	v_fma_f64 v[4:5], v[14:15], v[88:89], -v[4:5]
	v_add_f64 v[2:3], v[2:3], v[4:5]
	v_mul_f64 v[4:5], v[126:127], v[82:83]
	v_fma_f64 v[4:5], v[124:125], v[84:85], -v[4:5]
	v_add_f64 v[2:3], v[2:3], v[4:5]
	v_mul_f64 v[4:5], v[154:155], v[94:95]
	v_fma_f64 v[4:5], v[152:153], v[96:97], -v[4:5]
	v_add_f64 v[2:3], v[2:3], v[4:5]
	v_mul_f64 v[4:5], v[158:159], v[90:91]
	v_fma_f64 v[4:5], v[156:157], v[92:93], -v[4:5]
	v_add_f64 v[2:3], v[2:3], v[4:5]
	v_mul_f64 v[4:5], v[162:163], v[102:103]
	v_fma_f64 v[4:5], v[160:161], v[104:105], -v[4:5]
	v_add_f64 v[2:3], v[2:3], v[4:5]
	v_mul_f64 v[4:5], v[166:167], v[98:99]
	v_fma_f64 v[4:5], v[164:165], v[100:101], -v[4:5]
	v_add_f64 v[2:3], v[2:3], v[4:5]
	v_mul_f64 v[4:5], v[170:171], v[110:111]
	v_fma_f64 v[4:5], v[168:169], v[112:113], -v[4:5]
	v_add_f64 v[2:3], v[2:3], v[4:5]
	v_mul_f64 v[4:5], v[174:175], v[106:107]
	v_fma_f64 v[4:5], v[172:173], v[108:109], -v[4:5]
	v_add_f64 v[2:3], v[2:3], v[4:5]
	v_mul_f64 v[4:5], v[178:179], v[120:121]
	v_fma_f64 v[4:5], v[176:177], v[122:123], -v[4:5]
	v_add_f64 v[2:3], v[2:3], v[4:5]
	v_mul_f64 v[4:5], v[182:183], v[114:115]
	v_fma_f64 v[4:5], v[180:181], v[116:117], -v[4:5]
	v_add_f64 v[2:3], v[2:3], v[4:5]
	v_mul_f64 v[4:5], v[186:187], v[132:133]
	v_fma_f64 v[4:5], v[184:185], v[134:135], -v[4:5]
	v_add_f64 v[2:3], v[2:3], v[4:5]
	v_mul_f64 v[4:5], v[190:191], v[128:129]
	v_fma_f64 v[4:5], v[188:189], v[130:131], -v[4:5]
	v_add_f64 v[2:3], v[2:3], v[4:5]
	v_mul_f64 v[4:5], v[202:203], v[140:141]
	v_fma_f64 v[4:5], v[200:201], v[142:143], -v[4:5]
	v_add_f64 v[2:3], v[2:3], v[4:5]
	v_mul_f64 v[4:5], v[206:207], v[136:137]
	v_fma_f64 v[4:5], v[204:205], v[138:139], -v[4:5]
	v_add_f64 v[2:3], v[2:3], v[4:5]
	v_mul_f64 v[4:5], v[210:211], v[148:149]
	v_fma_f64 v[4:5], v[208:209], v[150:151], -v[4:5]
	v_add_f64 v[2:3], v[2:3], v[4:5]
	v_mul_f64 v[4:5], v[214:215], v[144:145]
	ds_read_b128 v[224:227], v1 offset:1264
	ds_read_b128 v[38:41], v1 offset:1280
	v_fma_f64 v[4:5], v[212:213], v[146:147], -v[4:5]
	v_add_f64 v[2:3], v[2:3], v[4:5]
	v_mul_f64 v[4:5], v[218:219], v[194:195]
	v_fma_f64 v[4:5], v[216:217], v[196:197], -v[4:5]
	v_add_f64 v[2:3], v[2:3], v[4:5]
	v_mul_f64 v[4:5], v[222:223], v[118:119]
	ds_read_b128 v[48:51], v1 offset:1296
	v_fma_f64 v[4:5], v[220:221], v[192:193], -v[4:5]
	v_add_f64 v[2:3], v[2:3], v[4:5]
	s_waitcnt vmcnt(6) lgkmcnt(2)
	v_mul_f64 v[4:5], v[226:227], v[230:231]
	v_mul_f64 v[242:243], v[224:225], v[230:231]
	s_waitcnt vmcnt(4)
	v_fma_f64 v[4:5], v[224:225], v[232:233], -v[4:5]
	v_fmac_f64_e32 v[242:243], v[226:227], v[232:233]
	v_add_f64 v[2:3], v[2:3], v[4:5]
	s_waitcnt lgkmcnt(1)
	v_mul_f64 v[4:5], v[40:41], v[198:199]
	v_add_f64 v[238:239], v[238:239], v[242:243]
	v_mul_f64 v[242:243], v[38:39], v[198:199]
	v_fma_f64 v[4:5], v[38:39], v[228:229], -v[4:5]
	v_fmac_f64_e32 v[242:243], v[40:41], v[228:229]
	v_add_f64 v[2:3], v[2:3], v[4:5]
	s_waitcnt vmcnt(2) lgkmcnt(0)
	v_mul_f64 v[4:5], v[50:51], v[234:235]
	v_add_f64 v[238:239], v[238:239], v[242:243]
	v_mul_f64 v[242:243], v[48:49], v[234:235]
	s_waitcnt vmcnt(0)
	v_fma_f64 v[4:5], v[48:49], v[236:237], -v[4:5]
	v_fmac_f64_e32 v[242:243], v[50:51], v[236:237]
	v_add_f64 v[2:3], v[2:3], v[4:5]
	v_add_f64 v[238:239], v[238:239], v[242:243]
	v_add_f64 v[2:3], v[60:61], -v[2:3]
	v_add_f64 v[4:5], v[58:59], -v[238:239]
	buffer_store_dword v3, off, s[0:3], 0 offset:180
	buffer_store_dword v2, off, s[0:3], 0 offset:176
	;; [unrolled: 1-line block ×4, first 2 shown]
	s_and_saveexec_b64 s[4:5], vcc
	s_cbranch_execz .LBB104_241
; %bb.240:
	v_accvgpr_read_b32 v0, a113
	buffer_load_dword v2, v0, s[0:3], 0 offen
	buffer_load_dword v3, v0, s[0:3], 0 offen offset:4
	buffer_load_dword v4, v0, s[0:3], 0 offen offset:8
	;; [unrolled: 1-line block ×3, first 2 shown]
	v_mov_b32_e32 v0, 0
	v_accvgpr_read_b32 v1, a123
	buffer_store_dword v0, off, s[0:3], 0 offset:160
	buffer_store_dword v0, off, s[0:3], 0 offset:164
	;; [unrolled: 1-line block ×4, first 2 shown]
	s_waitcnt vmcnt(4)
	ds_write_b128 v1, v[2:5]
.LBB104_241:
	s_or_b64 exec, exec, s[4:5]
	s_waitcnt lgkmcnt(0)
	; wave barrier
	s_waitcnt lgkmcnt(0)
	buffer_load_dword v106, off, s[0:3], 0 offset:176
	buffer_load_dword v107, off, s[0:3], 0 offset:180
	;; [unrolled: 1-line block ×49, first 2 shown]
	v_mov_b32_e32 v1, 0
	ds_read_b128 v[110:113], v1 offset:816
	ds_read_b128 v[250:253], v1 offset:832
	;; [unrolled: 1-line block ×10, first 2 shown]
	buffer_load_dword v160, off, s[0:3], 0 offset:368
	buffer_load_dword v175, off, s[0:3], 0 offset:364
	buffer_load_dword v174, off, s[0:3], 0 offset:360
	buffer_load_dword v179, off, s[0:3], 0 offset:356
	buffer_load_dword v178, off, s[0:3], 0 offset:352
	buffer_load_dword v163, off, s[0:3], 0 offset:412
	buffer_load_dword v162, off, s[0:3], 0 offset:408
	buffer_load_dword v165, off, s[0:3], 0 offset:404
	buffer_load_dword v164, off, s[0:3], 0 offset:400
	buffer_load_dword v183, off, s[0:3], 0 offset:396
	buffer_load_dword v182, off, s[0:3], 0 offset:392
	buffer_load_dword v187, off, s[0:3], 0 offset:388
	buffer_load_dword v186, off, s[0:3], 0 offset:384
	buffer_load_dword v167, off, s[0:3], 0 offset:444
	buffer_load_dword v166, off, s[0:3], 0 offset:440
	buffer_load_dword v169, off, s[0:3], 0 offset:436
	buffer_load_dword v168, off, s[0:3], 0 offset:432
	buffer_load_dword v191, off, s[0:3], 0 offset:428
	buffer_load_dword v190, off, s[0:3], 0 offset:424
	buffer_load_dword v203, off, s[0:3], 0 offset:420
	buffer_load_dword v202, off, s[0:3], 0 offset:416
	buffer_load_dword v171, off, s[0:3], 0 offset:476
	buffer_load_dword v170, off, s[0:3], 0 offset:472
	buffer_load_dword v173, off, s[0:3], 0 offset:468
	buffer_load_dword v172, off, s[0:3], 0 offset:464
	buffer_load_dword v207, off, s[0:3], 0 offset:460
	buffer_load_dword v206, off, s[0:3], 0 offset:456
	buffer_load_dword v211, off, s[0:3], 0 offset:452
	buffer_load_dword v210, off, s[0:3], 0 offset:448
	buffer_load_dword v177, off, s[0:3], 0 offset:508
	buffer_load_dword v176, off, s[0:3], 0 offset:504
	buffer_load_dword v181, off, s[0:3], 0 offset:500
	buffer_load_dword v180, off, s[0:3], 0 offset:496
	buffer_load_dword v215, off, s[0:3], 0 offset:492
	buffer_load_dword v214, off, s[0:3], 0 offset:488
	buffer_load_dword v219, off, s[0:3], 0 offset:484
	buffer_load_dword v218, off, s[0:3], 0 offset:480
	buffer_load_dword v185, off, s[0:3], 0 offset:540
	buffer_load_dword v184, off, s[0:3], 0 offset:536
	buffer_load_dword v189, off, s[0:3], 0 offset:532
	buffer_load_dword v188, off, s[0:3], 0 offset:528
	buffer_load_dword v223, off, s[0:3], 0 offset:524
	buffer_load_dword v222, off, s[0:3], 0 offset:520
	buffer_load_dword v225, off, s[0:3], 0 offset:516
	buffer_load_dword v224, off, s[0:3], 0 offset:512
	buffer_load_dword v201, off, s[0:3], 0 offset:572
	buffer_load_dword v200, off, s[0:3], 0 offset:568
	buffer_load_dword v205, off, s[0:3], 0 offset:564
	buffer_load_dword v204, off, s[0:3], 0 offset:560
	buffer_load_dword v227, off, s[0:3], 0 offset:556
	buffer_load_dword v226, off, s[0:3], 0 offset:552
	buffer_load_dword v229, off, s[0:3], 0 offset:548
	buffer_load_dword v228, off, s[0:3], 0 offset:544
	buffer_load_dword v209, off, s[0:3], 0 offset:604
	buffer_load_dword v208, off, s[0:3], 0 offset:600
	buffer_load_dword v213, off, s[0:3], 0 offset:596
	buffer_load_dword v212, off, s[0:3], 0 offset:592
	buffer_load_dword v233, off, s[0:3], 0 offset:588
	buffer_load_dword v232, off, s[0:3], 0 offset:584
	buffer_load_dword v237, off, s[0:3], 0 offset:580
	buffer_load_dword v236, off, s[0:3], 0 offset:576
	buffer_load_dword v217, off, s[0:3], 0 offset:636
	buffer_load_dword v216, off, s[0:3], 0 offset:632
	buffer_load_dword v221, off, s[0:3], 0 offset:628
	buffer_load_dword v220, off, s[0:3], 0 offset:624
	buffer_load_dword v239, off, s[0:3], 0 offset:620
	buffer_load_dword v238, off, s[0:3], 0 offset:616
	buffer_load_dword v241, off, s[0:3], 0 offset:612
	buffer_load_dword v240, off, s[0:3], 0 offset:608
	v_accvgpr_write_b32 a122, v254
	v_cmp_lt_u32_e32 vcc, 8, v254
	s_waitcnt vmcnt(62) lgkmcnt(9)
	v_mul_f64 v[34:35], v[110:111], v[108:109]
	v_fmac_f64_e32 v[34:35], v[112:113], v[106:107]
	v_add_f64 v[34:35], v[34:35], 0
	v_mul_f64 v[108:109], v[112:113], v[108:109]
	s_waitcnt lgkmcnt(8)
	v_mul_f64 v[36:37], v[250:251], v[116:117]
	v_fmac_f64_e32 v[36:37], v[252:253], v[114:115]
	s_waitcnt lgkmcnt(7)
	v_mul_f64 v[38:39], v[30:31], v[120:121]
	v_add_f64 v[34:35], v[34:35], v[36:37]
	s_waitcnt lgkmcnt(5)
	v_mul_f64 v[42:43], v[22:23], v[122:123]
	v_mul_f64 v[116:117], v[252:253], v[116:117]
	v_fmac_f64_e32 v[42:43], v[24:25], v[124:125]
	v_fma_f64 v[248:249], v[110:111], v[106:107], -v[108:109]
	v_mul_f64 v[40:41], v[26:27], v[126:127]
	v_fma_f64 v[250:251], v[250:251], v[114:115], -v[116:117]
	s_waitcnt lgkmcnt(3)
	v_mul_f64 v[46:47], v[14:15], v[128:129]
	v_mul_f64 v[24:25], v[24:25], v[122:123]
	v_fmac_f64_e32 v[46:47], v[16:17], v[130:131]
	v_fma_f64 v[22:23], v[22:23], v[124:125], -v[24:25]
	v_mul_f64 v[44:45], v[18:19], v[132:133]
	v_mul_f64 v[16:17], v[16:17], v[128:129]
	s_waitcnt lgkmcnt(1)
	v_mul_f64 v[50:51], v[6:7], v[134:135]
	v_fma_f64 v[14:15], v[14:15], v[130:131], -v[16:17]
	v_fmac_f64_e32 v[50:51], v[8:9], v[136:137]
	v_mul_f64 v[8:9], v[8:9], v[134:135]
	v_mul_f64 v[48:49], v[10:11], v[142:143]
	v_fma_f64 v[6:7], v[6:7], v[136:137], -v[8:9]
	s_waitcnt lgkmcnt(0)
	v_mul_f64 v[52:53], v[2:3], v[138:139]
	v_fmac_f64_e32 v[38:39], v[32:33], v[154:155]
	v_add_f64 v[34:35], v[34:35], v[38:39]
	v_fmac_f64_e32 v[40:41], v[28:29], v[152:153]
	v_add_f64 v[34:35], v[34:35], v[40:41]
	v_fmac_f64_e32 v[44:45], v[20:21], v[150:151]
	v_add_f64 v[34:35], v[34:35], v[42:43]
	v_add_f64 v[34:35], v[34:35], v[44:45]
	v_fmac_f64_e32 v[48:49], v[12:13], v[148:149]
	v_add_f64 v[34:35], v[34:35], v[46:47]
	v_add_f64 v[34:35], v[34:35], v[48:49]
	v_fmac_f64_e32 v[52:53], v[4:5], v[146:147]
	v_add_f64 v[34:35], v[34:35], v[50:51]
	v_add_f64 v[42:43], v[34:35], v[52:53]
	ds_read_b128 v[38:41], v1 offset:976
	ds_read_b128 v[34:37], v1 offset:992
	buffer_load_dword v231, off, s[0:3], 0 offset:668
	buffer_load_dword v230, off, s[0:3], 0 offset:664
	;; [unrolled: 1-line block ×8, first 2 shown]
	ds_read_b128 v[110:113], v1 offset:1264
	ds_read_b128 v[106:109], v1 offset:1280
	s_waitcnt lgkmcnt(3)
	v_mul_f64 v[44:45], v[38:39], v[144:145]
	v_fmac_f64_e32 v[44:45], v[40:41], v[156:157]
	v_add_f64 v[46:47], v[42:43], v[44:45]
	ds_read_b128 v[42:45], v1 offset:1008
	s_waitcnt lgkmcnt(3)
	v_mul_f64 v[48:49], v[34:35], v[174:175]
	v_fmac_f64_e32 v[48:49], v[36:37], v[178:179]
	v_add_f64 v[50:51], v[46:47], v[48:49]
	;; [unrolled: 5-line block ×3, first 2 shown]
	ds_read_b128 v[50:53], v1 offset:1040
	s_waitcnt vmcnt(62) lgkmcnt(1)
	v_mul_f64 v[56:57], v[46:47], v[182:183]
	v_fmac_f64_e32 v[56:57], v[48:49], v[186:187]
	v_add_f64 v[58:59], v[54:55], v[56:57]
	ds_read_b128 v[54:57], v1 offset:1056
	s_waitcnt lgkmcnt(1)
	v_mul_f64 v[60:61], v[50:51], v[162:163]
	v_fmac_f64_e32 v[60:61], v[52:53], v[164:165]
	v_add_f64 v[62:63], v[58:59], v[60:61]
	ds_read_b128 v[58:61], v1 offset:1072
	s_waitcnt vmcnt(58) lgkmcnt(1)
	v_mul_f64 v[64:65], v[54:55], v[190:191]
	s_waitcnt vmcnt(56)
	v_fmac_f64_e32 v[64:65], v[56:57], v[202:203]
	v_add_f64 v[66:67], v[62:63], v[64:65]
	ds_read_b128 v[62:65], v1 offset:1088
	s_waitcnt lgkmcnt(1)
	v_mul_f64 v[68:69], v[58:59], v[166:167]
	v_fmac_f64_e32 v[68:69], v[60:61], v[168:169]
	v_add_f64 v[70:71], v[66:67], v[68:69]
	ds_read_b128 v[66:69], v1 offset:1104
	s_waitcnt vmcnt(50) lgkmcnt(1)
	v_mul_f64 v[72:73], v[62:63], v[206:207]
	s_waitcnt vmcnt(48)
	;; [unrolled: 11-line block ×5, first 2 shown]
	v_fmac_f64_e32 v[96:97], v[88:89], v[228:229]
	v_add_f64 v[98:99], v[94:95], v[96:97]
	ds_read_b128 v[94:97], v1 offset:1216
	s_waitcnt lgkmcnt(1)
	v_mul_f64 v[100:101], v[90:91], v[200:201]
	v_fmac_f64_e32 v[100:101], v[92:93], v[204:205]
	v_add_f64 v[118:119], v[98:99], v[100:101]
	ds_read_b128 v[98:101], v1 offset:1232
	ds_read_b128 v[102:105], v1 offset:1248
	;; [unrolled: 1-line block ×3, first 2 shown]
	buffer_load_dword v252, off, s[0:3], 0 offset:168
	buffer_load_dword v253, off, s[0:3], 0 offset:172
	s_waitcnt vmcnt(20) lgkmcnt(3)
	v_mul_f64 v[192:193], v[94:95], v[232:233]
	s_waitcnt vmcnt(18)
	v_fmac_f64_e32 v[192:193], v[96:97], v[236:237]
	v_add_f64 v[118:119], v[118:119], v[192:193]
	s_waitcnt lgkmcnt(2)
	v_mul_f64 v[192:193], v[98:99], v[208:209]
	v_fmac_f64_e32 v[192:193], v[100:101], v[212:213]
	v_add_f64 v[118:119], v[118:119], v[192:193]
	s_waitcnt vmcnt(12) lgkmcnt(1)
	v_mul_f64 v[192:193], v[102:103], v[238:239]
	s_waitcnt vmcnt(10)
	v_fmac_f64_e32 v[192:193], v[104:105], v[240:241]
	v_add_f64 v[118:119], v[118:119], v[192:193]
	v_mul_f64 v[192:193], v[110:111], v[216:217]
	v_fmac_f64_e32 v[192:193], v[112:113], v[220:221]
	v_add_f64 v[118:119], v[118:119], v[192:193]
	s_waitcnt vmcnt(4)
	v_mul_f64 v[192:193], v[106:107], v[242:243]
	v_mul_f64 v[32:33], v[32:33], v[120:121]
	s_waitcnt vmcnt(2)
	v_fmac_f64_e32 v[192:193], v[108:109], v[244:245]
	v_add_f64 v[118:119], v[118:119], v[192:193]
	s_waitcnt lgkmcnt(0)
	v_mul_f64 v[192:193], v[114:115], v[230:231]
	v_fmac_f64_e32 v[192:193], v[116:117], v[234:235]
	v_add_f64 v[246:247], v[118:119], v[192:193]
	v_add_f64 v[118:119], v[248:249], 0
	;; [unrolled: 1-line block ×3, first 2 shown]
	v_fma_f64 v[30:31], v[30:31], v[154:155], -v[32:33]
	v_mul_f64 v[28:29], v[28:29], v[126:127]
	v_add_f64 v[30:31], v[118:119], v[30:31]
	v_fma_f64 v[26:27], v[26:27], v[152:153], -v[28:29]
	v_add_f64 v[26:27], v[30:31], v[26:27]
	v_mul_f64 v[20:21], v[20:21], v[132:133]
	v_add_f64 v[22:23], v[26:27], v[22:23]
	v_fma_f64 v[18:19], v[18:19], v[150:151], -v[20:21]
	v_add_f64 v[18:19], v[22:23], v[18:19]
	;; [unrolled: 4-line block ×3, first 2 shown]
	v_mul_f64 v[4:5], v[4:5], v[138:139]
	v_add_f64 v[6:7], v[10:11], v[6:7]
	v_fma_f64 v[2:3], v[2:3], v[146:147], -v[4:5]
	v_mul_f64 v[4:5], v[40:41], v[144:145]
	v_add_f64 v[2:3], v[6:7], v[2:3]
	v_fma_f64 v[4:5], v[38:39], v[156:157], -v[4:5]
	v_add_f64 v[2:3], v[2:3], v[4:5]
	v_mul_f64 v[4:5], v[36:37], v[174:175]
	v_fma_f64 v[4:5], v[34:35], v[178:179], -v[4:5]
	v_add_f64 v[2:3], v[2:3], v[4:5]
	v_mul_f64 v[4:5], v[44:45], v[158:159]
	;; [unrolled: 3-line block ×20, first 2 shown]
	v_fma_f64 v[4:5], v[114:115], v[234:235], -v[4:5]
	v_add_f64 v[2:3], v[2:3], v[4:5]
	v_add_f64 v[2:3], v[140:141], -v[2:3]
	s_waitcnt vmcnt(0)
	v_add_f64 v[4:5], v[252:253], -v[246:247]
	buffer_store_dword v3, off, s[0:3], 0 offset:164
	buffer_store_dword v2, off, s[0:3], 0 offset:160
	;; [unrolled: 1-line block ×4, first 2 shown]
	s_and_saveexec_b64 s[4:5], vcc
	s_cbranch_execz .LBB104_243
; %bb.242:
	v_accvgpr_read_b32 v0, a114
	buffer_load_dword v2, v0, s[0:3], 0 offen
	buffer_load_dword v3, v0, s[0:3], 0 offen offset:4
	buffer_load_dword v4, v0, s[0:3], 0 offen offset:8
	;; [unrolled: 1-line block ×3, first 2 shown]
	v_accvgpr_read_b32 v0, a123
	buffer_store_dword v1, off, s[0:3], 0 offset:144
	buffer_store_dword v1, off, s[0:3], 0 offset:148
	buffer_store_dword v1, off, s[0:3], 0 offset:152
	buffer_store_dword v1, off, s[0:3], 0 offset:156
	s_waitcnt vmcnt(4)
	ds_write_b128 v0, v[2:5]
.LBB104_243:
	s_or_b64 exec, exec, s[4:5]
	s_waitcnt lgkmcnt(0)
	; wave barrier
	s_waitcnt lgkmcnt(0)
	buffer_load_dword v112, off, s[0:3], 0 offset:160
	buffer_load_dword v113, off, s[0:3], 0 offset:164
	;; [unrolled: 1-line block ×36, first 2 shown]
	ds_read_b128 v[102:105], v1 offset:800
	ds_read_b128 v[106:109], v1 offset:816
	;; [unrolled: 1-line block ×9, first 2 shown]
	buffer_load_dword v145, off, s[0:3], 0 offset:332
	buffer_load_dword v144, off, s[0:3], 0 offset:328
	;; [unrolled: 1-line block ×78, first 2 shown]
	v_accvgpr_read_b32 v198, a122
	v_cmp_lt_u32_e32 vcc, 7, v198
	s_waitcnt vmcnt(62) lgkmcnt(8)
	v_mul_f64 v[26:27], v[102:103], v[246:247]
	v_fmac_f64_e32 v[26:27], v[104:105], v[112:113]
	v_add_f64 v[26:27], v[26:27], 0
	v_mul_f64 v[104:105], v[104:105], v[246:247]
	s_waitcnt lgkmcnt(7)
	v_mul_f64 v[28:29], v[106:107], v[248:249]
	v_fmac_f64_e32 v[28:29], v[108:109], v[110:111]
	s_waitcnt lgkmcnt(6)
	v_mul_f64 v[30:31], v[114:115], v[244:245]
	v_add_f64 v[26:27], v[26:27], v[28:29]
	s_waitcnt lgkmcnt(4)
	v_mul_f64 v[34:35], v[18:19], v[120:121]
	v_fma_f64 v[246:247], v[102:103], v[112:113], -v[104:105]
	v_fmac_f64_e32 v[34:35], v[20:21], v[122:123]
	v_mul_f64 v[108:109], v[108:109], v[248:249]
	v_mul_f64 v[32:33], v[22:23], v[124:125]
	v_fma_f64 v[248:249], v[106:107], v[110:111], -v[108:109]
	s_waitcnt lgkmcnt(2)
	v_mul_f64 v[38:39], v[10:11], v[126:127]
	v_mul_f64 v[20:21], v[20:21], v[120:121]
	v_fmac_f64_e32 v[38:39], v[12:13], v[128:129]
	v_fma_f64 v[18:19], v[18:19], v[122:123], -v[20:21]
	v_mul_f64 v[36:37], v[14:15], v[132:133]
	v_mul_f64 v[12:13], v[12:13], v[126:127]
	s_waitcnt lgkmcnt(1)
	v_mul_f64 v[40:41], v[6:7], v[130:131]
	v_fma_f64 v[10:11], v[10:11], v[128:129], -v[12:13]
	v_fmac_f64_e32 v[30:31], v[116:117], v[250:251]
	v_add_f64 v[26:27], v[26:27], v[30:31]
	v_fmac_f64_e32 v[32:33], v[24:25], v[140:141]
	v_add_f64 v[26:27], v[26:27], v[32:33]
	v_fmac_f64_e32 v[36:37], v[16:17], v[138:139]
	v_add_f64 v[26:27], v[26:27], v[34:35]
	v_add_f64 v[26:27], v[26:27], v[36:37]
	v_fmac_f64_e32 v[40:41], v[8:9], v[136:137]
	v_add_f64 v[30:31], v[26:27], v[38:39]
	v_add_f64 v[30:31], v[30:31], v[40:41]
	s_waitcnt lgkmcnt(0)
	v_mul_f64 v[32:33], v[2:3], v[134:135]
	v_fmac_f64_e32 v[32:33], v[4:5], v[142:143]
	ds_read_b128 v[26:29], v1 offset:944
	v_add_f64 v[34:35], v[30:31], v[32:33]
	ds_read_b128 v[30:33], v1 offset:960
	buffer_load_dword v231, off, s[0:3], 0 offset:596
	buffer_load_dword v230, off, s[0:3], 0 offset:592
	v_mul_f64 v[116:117], v[116:117], v[244:245]
	s_waitcnt lgkmcnt(1)
	v_mul_f64 v[36:37], v[26:27], v[148:149]
	v_fmac_f64_e32 v[36:37], v[28:29], v[150:151]
	v_add_f64 v[38:39], v[34:35], v[36:37]
	ds_read_b128 v[34:37], v1 offset:976
	s_waitcnt lgkmcnt(1)
	v_mul_f64 v[40:41], v[30:31], v[144:145]
	v_fmac_f64_e32 v[40:41], v[32:33], v[146:147]
	v_add_f64 v[42:43], v[38:39], v[40:41]
	ds_read_b128 v[38:41], v1 offset:992
	;; [unrolled: 5-line block ×4, first 2 shown]
	buffer_load_dword v233, off, s[0:3], 0 offset:652
	buffer_load_dword v235, off, s[0:3], 0 offset:636
	;; [unrolled: 1-line block ×12, first 2 shown]
	s_waitcnt vmcnt(62) lgkmcnt(1)
	v_mul_f64 v[52:53], v[42:43], v[176:177]
	v_fmac_f64_e32 v[52:53], v[44:45], v[180:181]
	v_add_f64 v[54:55], v[50:51], v[52:53]
	ds_read_b128 v[50:53], v1 offset:1040
	s_waitcnt lgkmcnt(1)
	v_mul_f64 v[56:57], v[46:47], v[156:157]
	v_fmac_f64_e32 v[56:57], v[48:49], v[158:159]
	v_add_f64 v[58:59], v[54:55], v[56:57]
	ds_read_b128 v[54:57], v1 offset:1056
	s_waitcnt lgkmcnt(1)
	v_mul_f64 v[60:61], v[50:51], v[184:185]
	s_waitcnt vmcnt(60)
	v_fmac_f64_e32 v[60:61], v[52:53], v[188:189]
	v_add_f64 v[62:63], v[58:59], v[60:61]
	ds_read_b128 v[58:61], v1 offset:1072
	s_waitcnt lgkmcnt(1)
	v_mul_f64 v[64:65], v[54:55], v[164:165]
	v_fmac_f64_e32 v[64:65], v[56:57], v[166:167]
	v_add_f64 v[66:67], v[62:63], v[64:65]
	ds_read_b128 v[62:65], v1 offset:1088
	s_waitcnt vmcnt(54) lgkmcnt(1)
	v_mul_f64 v[68:69], v[58:59], v[200:201]
	s_waitcnt vmcnt(52)
	v_fmac_f64_e32 v[68:69], v[60:61], v[204:205]
	v_add_f64 v[70:71], v[66:67], v[68:69]
	ds_read_b128 v[66:69], v1 offset:1104
	s_waitcnt lgkmcnt(1)
	v_mul_f64 v[72:73], v[62:63], v[168:169]
	v_fmac_f64_e32 v[72:73], v[64:65], v[170:171]
	v_add_f64 v[74:75], v[70:71], v[72:73]
	ds_read_b128 v[70:73], v1 offset:1120
	s_waitcnt vmcnt(46) lgkmcnt(1)
	;; [unrolled: 11-line block ×4, first 2 shown]
	v_mul_f64 v[92:93], v[82:83], v[220:221]
	s_waitcnt vmcnt(28)
	v_fmac_f64_e32 v[92:93], v[84:85], v[222:223]
	v_add_f64 v[98:99], v[90:91], v[92:93]
	ds_read_b128 v[90:93], v1 offset:1200
	ds_read_b128 v[94:97], v1 offset:1216
	s_waitcnt lgkmcnt(2)
	v_mul_f64 v[100:101], v[86:87], v[186:187]
	v_fmac_f64_e32 v[100:101], v[88:89], v[190:191]
	v_add_f64 v[98:99], v[98:99], v[100:101]
	s_waitcnt vmcnt(22) lgkmcnt(1)
	v_mul_f64 v[100:101], v[90:91], v[224:225]
	s_waitcnt vmcnt(20)
	v_fmac_f64_e32 v[100:101], v[92:93], v[226:227]
	v_add_f64 v[98:99], v[98:99], v[100:101]
	s_waitcnt lgkmcnt(0)
	v_mul_f64 v[100:101], v[94:95], v[202:203]
	v_fmac_f64_e32 v[100:101], v[96:97], v[206:207]
	v_add_f64 v[118:119], v[98:99], v[100:101]
	ds_read_b128 v[98:101], v1 offset:1232
	ds_read_b128 v[102:105], v1 offset:1248
	ds_read_b128 v[106:109], v1 offset:1264
	v_fma_f64 v[250:251], v[114:115], v[250:251], -v[116:117]
	ds_read_b128 v[114:117], v1 offset:1296
	s_waitcnt vmcnt(14) lgkmcnt(3)
	v_mul_f64 v[112:113], v[98:99], v[228:229]
	s_waitcnt lgkmcnt(2)
	v_mul_f64 v[110:111], v[102:103], v[210:211]
	s_waitcnt vmcnt(12)
	v_fmac_f64_e32 v[112:113], v[100:101], v[230:231]
	v_add_f64 v[112:113], v[118:119], v[112:113]
	v_fmac_f64_e32 v[110:111], v[104:105], v[214:215]
	v_add_f64 v[118:119], v[112:113], v[110:111]
	ds_read_b128 v[110:113], v1 offset:1280
	buffer_load_dword v254, off, s[0:3], 0 offset:144
	buffer_load_dword v255, off, s[0:3], 0 offset:148
	;; [unrolled: 1-line block ×4, first 2 shown]
	v_mul_f64 v[24:25], v[24:25], v[124:125]
	v_fma_f64 v[22:23], v[22:23], v[140:141], -v[24:25]
	v_mul_f64 v[16:17], v[16:17], v[132:133]
	s_waitcnt vmcnt(13) lgkmcnt(2)
	v_mul_f64 v[192:193], v[106:107], v[234:235]
	v_fma_f64 v[14:15], v[14:15], v[138:139], -v[16:17]
	s_waitcnt vmcnt(11)
	v_fmac_f64_e32 v[192:193], v[108:109], v[240:241]
	v_add_f64 v[118:119], v[118:119], v[192:193]
	s_waitcnt vmcnt(10) lgkmcnt(0)
	v_mul_f64 v[192:193], v[110:111], v[232:233]
	s_waitcnt vmcnt(8)
	v_fmac_f64_e32 v[192:193], v[112:113], v[238:239]
	v_add_f64 v[118:119], v[118:119], v[192:193]
	s_waitcnt vmcnt(6)
	v_mul_f64 v[192:193], v[114:115], v[236:237]
	v_mul_f64 v[8:9], v[8:9], v[130:131]
	s_waitcnt vmcnt(4)
	v_fmac_f64_e32 v[192:193], v[116:117], v[242:243]
	v_add_f64 v[244:245], v[118:119], v[192:193]
	v_add_f64 v[118:119], v[246:247], 0
	;; [unrolled: 1-line block ×8, first 2 shown]
	v_fma_f64 v[6:7], v[6:7], v[136:137], -v[8:9]
	v_mul_f64 v[4:5], v[4:5], v[134:135]
	v_add_f64 v[6:7], v[10:11], v[6:7]
	v_fma_f64 v[2:3], v[2:3], v[142:143], -v[4:5]
	v_mul_f64 v[4:5], v[28:29], v[148:149]
	v_add_f64 v[2:3], v[6:7], v[2:3]
	v_fma_f64 v[4:5], v[26:27], v[150:151], -v[4:5]
	v_add_f64 v[2:3], v[2:3], v[4:5]
	v_mul_f64 v[4:5], v[32:33], v[144:145]
	v_fma_f64 v[4:5], v[30:31], v[146:147], -v[4:5]
	v_add_f64 v[2:3], v[2:3], v[4:5]
	v_mul_f64 v[4:5], v[36:37], v[160:161]
	;; [unrolled: 3-line block ×22, first 2 shown]
	v_fma_f64 v[4:5], v[114:115], v[242:243], -v[4:5]
	v_add_f64 v[2:3], v[2:3], v[4:5]
	s_waitcnt vmcnt(2)
	v_add_f64 v[2:3], v[254:255], -v[2:3]
	s_waitcnt vmcnt(0)
	v_add_f64 v[4:5], v[252:253], -v[244:245]
	buffer_store_dword v3, off, s[0:3], 0 offset:148
	buffer_store_dword v2, off, s[0:3], 0 offset:144
	;; [unrolled: 1-line block ×4, first 2 shown]
	s_and_saveexec_b64 s[4:5], vcc
	s_cbranch_execz .LBB104_245
; %bb.244:
	v_accvgpr_read_b32 v0, a115
	buffer_load_dword v2, v0, s[0:3], 0 offen
	buffer_load_dword v3, v0, s[0:3], 0 offen offset:4
	buffer_load_dword v4, v0, s[0:3], 0 offen offset:8
	;; [unrolled: 1-line block ×3, first 2 shown]
	v_mov_b32_e32 v0, 0
	v_accvgpr_read_b32 v1, a123
	buffer_store_dword v0, off, s[0:3], 0 offset:128
	buffer_store_dword v0, off, s[0:3], 0 offset:132
	;; [unrolled: 1-line block ×4, first 2 shown]
	s_waitcnt vmcnt(4)
	ds_write_b128 v1, v[2:5]
.LBB104_245:
	s_or_b64 exec, exec, s[4:5]
	s_waitcnt lgkmcnt(0)
	; wave barrier
	s_waitcnt lgkmcnt(0)
	buffer_load_dword v94, off, s[0:3], 0 offset:144
	buffer_load_dword v95, off, s[0:3], 0 offset:148
	;; [unrolled: 1-line block ×52, first 2 shown]
	v_mov_b32_e32 v1, 0
	ds_read_b128 v[102:105], v1 offset:784
	ds_read_b128 v[114:117], v1 offset:800
	;; [unrolled: 1-line block ×10, first 2 shown]
	v_cmp_lt_u32_e32 vcc, 6, v198
	s_waitcnt vmcnt(48) lgkmcnt(9)
	v_mul_f64 v[26:27], v[102:103], v[96:97]
	v_fmac_f64_e32 v[26:27], v[104:105], v[94:95]
	v_add_f64 v[26:27], v[26:27], 0
	v_mul_f64 v[96:97], v[104:105], v[96:97]
	s_waitcnt vmcnt(44) lgkmcnt(8)
	v_mul_f64 v[28:29], v[114:115], v[100:101]
	v_fmac_f64_e32 v[28:29], v[116:117], v[98:99]
	s_waitcnt vmcnt(42) lgkmcnt(7)
	v_mul_f64 v[30:31], v[244:245], v[106:107]
	v_add_f64 v[26:27], v[26:27], v[28:29]
	s_waitcnt vmcnt(40) lgkmcnt(5)
	v_mul_f64 v[34:35], v[22:23], v[122:123]
	v_fma_f64 v[192:193], v[102:103], v[94:95], -v[96:97]
	s_waitcnt vmcnt(38)
	v_fmac_f64_e32 v[34:35], v[24:25], v[126:127]
	v_mul_f64 v[100:101], v[116:117], v[100:101]
	s_waitcnt vmcnt(36)
	v_mul_f64 v[32:33], v[250:251], v[110:111]
	v_fma_f64 v[194:195], v[114:115], v[98:99], -v[100:101]
	s_waitcnt vmcnt(34) lgkmcnt(3)
	v_mul_f64 v[38:39], v[14:15], v[120:121]
	v_mul_f64 v[106:107], v[246:247], v[106:107]
	s_waitcnt vmcnt(32)
	v_fmac_f64_e32 v[38:39], v[16:17], v[124:125]
	v_mul_f64 v[110:111], v[252:253], v[110:111]
	s_waitcnt vmcnt(30)
	v_mul_f64 v[36:37], v[18:19], v[132:133]
	v_mul_f64 v[24:25], v[24:25], v[122:123]
	v_fma_f64 v[22:23], v[22:23], v[126:127], -v[24:25]
	s_waitcnt vmcnt(27) lgkmcnt(2)
	v_mul_f64 v[40:41], v[10:11], v[130:131]
	s_waitcnt vmcnt(26) lgkmcnt(1)
	v_mul_f64 v[42:43], v[6:7], v[128:129]
	v_mul_f64 v[16:17], v[16:17], v[120:121]
	s_waitcnt vmcnt(24)
	v_fmac_f64_e32 v[30:31], v[246:247], v[108:109]
	v_add_f64 v[26:27], v[26:27], v[30:31]
	s_waitcnt vmcnt(22)
	v_fmac_f64_e32 v[32:33], v[252:253], v[112:113]
	v_add_f64 v[26:27], v[26:27], v[32:33]
	;; [unrolled: 3-line block ×3, first 2 shown]
	v_add_f64 v[26:27], v[26:27], v[36:37]
	s_waitcnt vmcnt(18)
	v_fmac_f64_e32 v[40:41], v[12:13], v[134:135]
	v_add_f64 v[26:27], v[26:27], v[38:39]
	v_add_f64 v[26:27], v[26:27], v[40:41]
	s_waitcnt vmcnt(16)
	v_fmac_f64_e32 v[42:43], v[8:9], v[140:141]
	v_add_f64 v[34:35], v[26:27], v[42:43]
	ds_read_b128 v[26:29], v1 offset:944
	ds_read_b128 v[30:33], v1 offset:960
	buffer_load_dword v157, off, s[0:3], 0 offset:380
	buffer_load_dword v156, off, s[0:3], 0 offset:376
	;; [unrolled: 1-line block ×56, first 2 shown]
	s_waitcnt vmcnt(62) lgkmcnt(2)
	v_mul_f64 v[36:37], v[2:3], v[144:145]
	v_fmac_f64_e32 v[36:37], v[4:5], v[146:147]
	v_add_f64 v[34:35], v[34:35], v[36:37]
	s_waitcnt lgkmcnt(1)
	v_mul_f64 v[36:37], v[26:27], v[138:139]
	v_fmac_f64_e32 v[36:37], v[28:29], v[142:143]
	v_add_f64 v[34:35], v[34:35], v[36:37]
	s_waitcnt lgkmcnt(0)
	v_mul_f64 v[36:37], v[30:31], v[148:149]
	s_waitcnt vmcnt(60)
	v_fmac_f64_e32 v[36:37], v[32:33], v[152:153]
	v_add_f64 v[42:43], v[34:35], v[36:37]
	ds_read_b128 v[34:37], v1 offset:976
	buffer_load_dword v209, off, s[0:3], 0 offset:604
	buffer_load_dword v208, off, s[0:3], 0 offset:600
	;; [unrolled: 1-line block ×16, first 2 shown]
	ds_read_b128 v[38:41], v1 offset:992
	buffer_load_dword v231, off, s[0:3], 0 offset:668
	buffer_load_dword v230, off, s[0:3], 0 offset:664
	;; [unrolled: 1-line block ×8, first 2 shown]
	ds_read_b128 v[98:101], v1 offset:1232
	s_waitcnt vmcnt(62) lgkmcnt(2)
	v_mul_f64 v[44:45], v[34:35], v[150:151]
	v_fmac_f64_e32 v[44:45], v[36:37], v[154:155]
	v_add_f64 v[46:47], v[42:43], v[44:45]
	ds_read_b128 v[42:45], v1 offset:1008
	v_fma_f64 v[248:249], v[244:245], v[108:109], -v[106:107]
	ds_read_b128 v[106:109], v1 offset:1264
	v_fma_f64 v[246:247], v[250:251], v[112:113], -v[110:111]
	v_mul_f64 v[20:21], v[20:21], v[132:133]
	v_fma_f64 v[18:19], v[18:19], v[136:137], -v[20:21]
	v_fma_f64 v[14:15], v[14:15], v[124:125], -v[16:17]
	v_mul_f64 v[12:13], v[12:13], v[130:131]
	v_fma_f64 v[10:11], v[10:11], v[134:135], -v[12:13]
	v_mul_f64 v[8:9], v[8:9], v[128:129]
	;; [unrolled: 2-line block ×3, first 2 shown]
	s_waitcnt lgkmcnt(3)
	v_mul_f64 v[48:49], v[38:39], v[172:173]
	v_fma_f64 v[2:3], v[2:3], v[146:147], -v[4:5]
	v_fmac_f64_e32 v[48:49], v[40:41], v[176:177]
	v_add_f64 v[50:51], v[46:47], v[48:49]
	ds_read_b128 v[46:49], v1 offset:1024
	s_waitcnt lgkmcnt(2)
	v_mul_f64 v[52:53], v[42:43], v[156:157]
	v_fmac_f64_e32 v[52:53], v[44:45], v[158:159]
	v_add_f64 v[54:55], v[50:51], v[52:53]
	ds_read_b128 v[50:53], v1 offset:1040
	s_waitcnt lgkmcnt(1)
	v_mul_f64 v[56:57], v[46:47], v[180:181]
	;; [unrolled: 5-line block ×3, first 2 shown]
	v_fmac_f64_e32 v[60:61], v[52:53], v[162:163]
	v_add_f64 v[62:63], v[58:59], v[60:61]
	ds_read_b128 v[58:61], v1 offset:1072
	s_waitcnt vmcnt(58) lgkmcnt(1)
	v_mul_f64 v[64:65], v[54:55], v[188:189]
	s_waitcnt vmcnt(56)
	v_fmac_f64_e32 v[64:65], v[56:57], v[200:201]
	v_add_f64 v[66:67], v[62:63], v[64:65]
	ds_read_b128 v[62:65], v1 offset:1088
	s_waitcnt lgkmcnt(1)
	v_mul_f64 v[68:69], v[58:59], v[164:165]
	v_fmac_f64_e32 v[68:69], v[60:61], v[166:167]
	v_add_f64 v[70:71], v[66:67], v[68:69]
	ds_read_b128 v[66:69], v1 offset:1104
	s_waitcnt vmcnt(50) lgkmcnt(1)
	v_mul_f64 v[72:73], v[62:63], v[204:205]
	s_waitcnt vmcnt(48)
	v_fmac_f64_e32 v[72:73], v[64:65], v[206:207]
	v_add_f64 v[74:75], v[70:71], v[72:73]
	ds_read_b128 v[70:73], v1 offset:1120
	s_waitcnt lgkmcnt(1)
	v_mul_f64 v[76:77], v[66:67], v[168:169]
	;; [unrolled: 11-line block ×3, first 2 shown]
	v_fmac_f64_e32 v[84:85], v[76:77], v[178:179]
	v_add_f64 v[90:91], v[82:83], v[84:85]
	ds_read_b128 v[82:85], v1 offset:1168
	ds_read_b128 v[86:89], v1 offset:1184
	s_waitcnt vmcnt(34) lgkmcnt(2)
	v_mul_f64 v[92:93], v[78:79], v[218:219]
	s_waitcnt vmcnt(32)
	v_fmac_f64_e32 v[92:93], v[80:81], v[224:225]
	v_add_f64 v[90:91], v[90:91], v[92:93]
	s_waitcnt lgkmcnt(1)
	v_mul_f64 v[92:93], v[82:83], v[182:183]
	v_fmac_f64_e32 v[92:93], v[84:85], v[186:187]
	v_add_f64 v[90:91], v[90:91], v[92:93]
	s_waitcnt vmcnt(27) lgkmcnt(0)
	v_mul_f64 v[92:93], v[86:87], v[222:223]
	s_waitcnt vmcnt(25)
	v_fmac_f64_e32 v[92:93], v[88:89], v[226:227]
	v_add_f64 v[118:119], v[90:91], v[92:93]
	ds_read_b128 v[90:93], v1 offset:1200
	ds_read_b128 v[94:97], v1 offset:1216
	ds_read_b128 v[110:113], v1 offset:1280
	v_mul_f64 v[4:5], v[28:29], v[138:139]
	v_fma_f64 v[4:5], v[26:27], v[142:143], -v[4:5]
	s_waitcnt lgkmcnt(2)
	v_mul_f64 v[102:103], v[90:91], v[190:191]
	s_waitcnt vmcnt(24)
	v_fmac_f64_e32 v[102:103], v[92:93], v[202:203]
	s_waitcnt vmcnt(18) lgkmcnt(1)
	v_mul_f64 v[104:105], v[94:95], v[228:229]
	v_add_f64 v[102:103], v[118:119], v[102:103]
	s_waitcnt vmcnt(16)
	v_fmac_f64_e32 v[104:105], v[96:97], v[232:233]
	v_add_f64 v[102:103], v[102:103], v[104:105]
	v_mul_f64 v[104:105], v[98:99], v[208:209]
	v_fmac_f64_e32 v[104:105], v[100:101], v[212:213]
	v_add_f64 v[114:115], v[102:103], v[104:105]
	ds_read_b128 v[102:105], v1 offset:1248
	s_waitcnt vmcnt(10) lgkmcnt(0)
	v_mul_f64 v[116:117], v[102:103], v[236:237]
	s_waitcnt vmcnt(8)
	v_fmac_f64_e32 v[116:117], v[104:105], v[238:239]
	v_add_f64 v[114:115], v[114:115], v[116:117]
	v_mul_f64 v[116:117], v[106:107], v[216:217]
	v_fmac_f64_e32 v[116:117], v[108:109], v[220:221]
	v_add_f64 v[114:115], v[114:115], v[116:117]
	s_waitcnt vmcnt(2)
	v_mul_f64 v[116:117], v[110:111], v[240:241]
	s_waitcnt vmcnt(0)
	v_fmac_f64_e32 v[116:117], v[112:113], v[242:243]
	v_add_f64 v[118:119], v[114:115], v[116:117]
	ds_read_b128 v[114:117], v1 offset:1296
	buffer_load_dword v252, off, s[0:3], 0 offset:128
	buffer_load_dword v253, off, s[0:3], 0 offset:132
	s_waitcnt lgkmcnt(0)
	v_mul_f64 v[196:197], v[114:115], v[230:231]
	v_fmac_f64_e32 v[196:197], v[116:117], v[234:235]
	v_add_f64 v[244:245], v[118:119], v[196:197]
	v_add_f64 v[118:119], v[192:193], 0
	;; [unrolled: 1-line block ×4, first 2 shown]
	buffer_load_dword v248, off, s[0:3], 0 offset:136
	buffer_load_dword v249, off, s[0:3], 0 offset:140
	v_add_f64 v[118:119], v[118:119], v[246:247]
	v_add_f64 v[22:23], v[118:119], v[22:23]
	;; [unrolled: 1-line block ×8, first 2 shown]
	v_mul_f64 v[4:5], v[32:33], v[148:149]
	v_fma_f64 v[4:5], v[30:31], v[152:153], -v[4:5]
	v_add_f64 v[2:3], v[2:3], v[4:5]
	v_mul_f64 v[4:5], v[36:37], v[150:151]
	v_fma_f64 v[4:5], v[34:35], v[154:155], -v[4:5]
	v_add_f64 v[2:3], v[2:3], v[4:5]
	;; [unrolled: 3-line block ×22, first 2 shown]
	s_waitcnt vmcnt(2)
	v_add_f64 v[2:3], v[252:253], -v[2:3]
	s_waitcnt vmcnt(0)
	v_add_f64 v[4:5], v[248:249], -v[244:245]
	buffer_store_dword v3, off, s[0:3], 0 offset:132
	buffer_store_dword v2, off, s[0:3], 0 offset:128
	;; [unrolled: 1-line block ×4, first 2 shown]
	s_and_saveexec_b64 s[4:5], vcc
	s_cbranch_execz .LBB104_247
; %bb.246:
	v_accvgpr_read_b32 v0, a116
	buffer_load_dword v2, v0, s[0:3], 0 offen
	buffer_load_dword v3, v0, s[0:3], 0 offen offset:4
	buffer_load_dword v4, v0, s[0:3], 0 offen offset:8
	;; [unrolled: 1-line block ×3, first 2 shown]
	v_accvgpr_read_b32 v0, a123
	buffer_store_dword v1, off, s[0:3], 0 offset:112
	buffer_store_dword v1, off, s[0:3], 0 offset:116
	;; [unrolled: 1-line block ×4, first 2 shown]
	s_waitcnt vmcnt(4)
	ds_write_b128 v0, v[2:5]
.LBB104_247:
	s_or_b64 exec, exec, s[4:5]
	s_waitcnt lgkmcnt(0)
	; wave barrier
	s_waitcnt lgkmcnt(0)
	buffer_load_dword v86, off, s[0:3], 0 offset:128
	buffer_load_dword v87, off, s[0:3], 0 offset:132
	;; [unrolled: 1-line block ×42, first 2 shown]
	ds_read_b128 v[94:97], v1 offset:768
	ds_read_b128 v[106:109], v1 offset:784
	;; [unrolled: 1-line block ×10, first 2 shown]
	buffer_load_dword v147, off, s[0:3], 0 offset:276
	buffer_load_dword v146, off, s[0:3], 0 offset:272
	ds_read_b128 v[6:9], v1 offset:928
	buffer_load_dword v143, off, s[0:3], 0 offset:332
	buffer_load_dword v142, off, s[0:3], 0 offset:328
	;; [unrolled: 1-line block ×80, first 2 shown]
	s_waitcnt vmcnt(62) lgkmcnt(10)
	v_mul_f64 v[26:27], v[94:95], v[88:89]
	v_fmac_f64_e32 v[26:27], v[96:97], v[86:87]
	v_add_f64 v[26:27], v[26:27], 0
	v_mul_f64 v[88:89], v[96:97], v[88:89]
	s_waitcnt lgkmcnt(9)
	v_mul_f64 v[28:29], v[106:107], v[92:93]
	v_fmac_f64_e32 v[28:29], v[108:109], v[90:91]
	s_waitcnt lgkmcnt(8)
	v_mul_f64 v[30:31], v[114:115], v[98:99]
	v_add_f64 v[26:27], v[26:27], v[28:29]
	s_waitcnt lgkmcnt(6)
	v_mul_f64 v[34:35], v[248:249], v[110:111]
	v_fma_f64 v[192:193], v[94:95], v[86:87], -v[88:89]
	v_fmac_f64_e32 v[34:35], v[250:251], v[112:113]
	v_mul_f64 v[92:93], v[108:109], v[92:93]
	v_mul_f64 v[32:33], v[244:245], v[102:103]
	;; [unrolled: 1-line block ×3, first 2 shown]
	s_waitcnt lgkmcnt(4)
	v_mul_f64 v[38:39], v[18:19], v[120:121]
	v_mul_f64 v[102:103], v[246:247], v[102:103]
	v_fmac_f64_e32 v[38:39], v[20:21], v[122:123]
	v_mul_f64 v[110:111], v[250:251], v[110:111]
	v_mul_f64 v[36:37], v[22:23], v[124:125]
	v_fma_f64 v[248:249], v[248:249], v[112:113], -v[110:111]
	s_waitcnt lgkmcnt(2)
	v_mul_f64 v[42:43], v[10:11], v[126:127]
	v_add_f64 v[192:193], v[192:193], 0
	v_mul_f64 v[20:21], v[20:21], v[120:121]
	v_mul_f64 v[40:41], v[14:15], v[132:133]
	v_fma_f64 v[18:19], v[18:19], v[122:123], -v[20:21]
	s_waitcnt lgkmcnt(1)
	v_mul_f64 v[44:45], v[2:3], v[130:131]
	v_fmac_f64_e32 v[30:31], v[116:117], v[100:101]
	v_add_f64 v[26:27], v[26:27], v[30:31]
	v_fmac_f64_e32 v[32:33], v[246:247], v[104:105]
	v_add_f64 v[26:27], v[26:27], v[32:33]
	;; [unrolled: 2-line block ×3, first 2 shown]
	v_add_f64 v[26:27], v[26:27], v[36:37]
	v_fmac_f64_e32 v[40:41], v[16:17], v[134:135]
	v_add_f64 v[26:27], v[26:27], v[38:39]
	v_fmac_f64_e32 v[42:43], v[12:13], v[128:129]
	v_add_f64 v[26:27], v[26:27], v[40:41]
	v_add_f64 v[26:27], v[26:27], v[42:43]
	s_waitcnt lgkmcnt(0)
	v_mul_f64 v[32:33], v[6:7], v[138:139]
	v_fmac_f64_e32 v[44:45], v[4:5], v[146:147]
	v_add_f64 v[30:31], v[26:27], v[44:45]
	ds_read_b128 v[26:29], v1 offset:944
	v_fmac_f64_e32 v[32:33], v[8:9], v[140:141]
	v_add_f64 v[34:35], v[30:31], v[32:33]
	ds_read_b128 v[30:33], v1 offset:960
	v_fma_f64 v[194:195], v[114:115], v[100:101], -v[98:99]
	s_waitcnt lgkmcnt(1)
	v_mul_f64 v[36:37], v[26:27], v[148:149]
	v_fmac_f64_e32 v[36:37], v[28:29], v[164:165]
	v_add_f64 v[38:39], v[34:35], v[36:37]
	ds_read_b128 v[34:37], v1 offset:976
	s_waitcnt lgkmcnt(1)
	v_mul_f64 v[40:41], v[30:31], v[142:143]
	v_fmac_f64_e32 v[40:41], v[32:33], v[144:145]
	v_add_f64 v[42:43], v[38:39], v[40:41]
	ds_read_b128 v[38:41], v1 offset:992
	s_waitcnt lgkmcnt(1)
	v_mul_f64 v[44:45], v[34:35], v[168:169]
	v_fmac_f64_e32 v[44:45], v[36:37], v[172:173]
	v_add_f64 v[46:47], v[42:43], v[44:45]
	ds_read_b128 v[42:45], v1 offset:1008
	s_waitcnt lgkmcnt(1)
	v_mul_f64 v[48:49], v[38:39], v[150:151]
	v_fmac_f64_e32 v[48:49], v[40:41], v[152:153]
	v_add_f64 v[50:51], v[46:47], v[48:49]
	ds_read_b128 v[46:49], v1 offset:1024
	s_waitcnt vmcnt(58) lgkmcnt(1)
	v_mul_f64 v[52:53], v[42:43], v[176:177]
	s_waitcnt vmcnt(56)
	v_fmac_f64_e32 v[52:53], v[44:45], v[180:181]
	v_add_f64 v[54:55], v[50:51], v[52:53]
	ds_read_b128 v[50:53], v1 offset:1040
	buffer_load_dword v232, off, s[0:3], 0 offset:648
	buffer_load_dword v237, off, s[0:3], 0 offset:636
	buffer_load_dword v236, off, s[0:3], 0 offset:632
	buffer_load_dword v239, off, s[0:3], 0 offset:628
	buffer_load_dword v238, off, s[0:3], 0 offset:624
	buffer_load_dword v234, off, s[0:3], 0 offset:640
	buffer_load_dword v233, off, s[0:3], 0 offset:652
	buffer_load_dword v235, off, s[0:3], 0 offset:644
	s_waitcnt lgkmcnt(1)
	v_mul_f64 v[56:57], v[46:47], v[154:155]
	v_fmac_f64_e32 v[56:57], v[48:49], v[156:157]
	v_add_f64 v[58:59], v[54:55], v[56:57]
	ds_read_b128 v[54:57], v1 offset:1056
	s_waitcnt vmcnt(58) lgkmcnt(1)
	v_mul_f64 v[60:61], v[50:51], v[184:185]
	s_waitcnt vmcnt(56)
	v_fmac_f64_e32 v[60:61], v[52:53], v[188:189]
	buffer_load_dword v241, off, s[0:3], 0 offset:668
	buffer_load_dword v240, off, s[0:3], 0 offset:664
	;; [unrolled: 1-line block ×4, first 2 shown]
	v_add_f64 v[62:63], v[58:59], v[60:61]
	ds_read_b128 v[58:61], v1 offset:1072
	s_waitcnt lgkmcnt(1)
	v_mul_f64 v[64:65], v[54:55], v[158:159]
	v_fmac_f64_e32 v[64:65], v[56:57], v[160:161]
	v_add_f64 v[66:67], v[62:63], v[64:65]
	ds_read_b128 v[62:65], v1 offset:1088
	s_waitcnt vmcnt(54) lgkmcnt(1)
	v_mul_f64 v[68:69], v[58:59], v[202:203]
	s_waitcnt vmcnt(52)
	v_fmac_f64_e32 v[68:69], v[60:61], v[206:207]
	v_add_f64 v[70:71], v[66:67], v[68:69]
	ds_read_b128 v[66:69], v1 offset:1104
	s_waitcnt lgkmcnt(1)
	v_mul_f64 v[72:73], v[62:63], v[162:163]
	v_fmac_f64_e32 v[72:73], v[64:65], v[166:167]
	v_add_f64 v[74:75], v[70:71], v[72:73]
	ds_read_b128 v[70:73], v1 offset:1120
	s_waitcnt vmcnt(46) lgkmcnt(1)
	v_mul_f64 v[76:77], v[66:67], v[210:211]
	s_waitcnt vmcnt(44)
	v_fmac_f64_e32 v[76:77], v[68:69], v[214:215]
	v_add_f64 v[82:83], v[74:75], v[76:77]
	ds_read_b128 v[74:77], v1 offset:1136
	ds_read_b128 v[78:81], v1 offset:1152
	s_waitcnt lgkmcnt(2)
	v_mul_f64 v[84:85], v[70:71], v[170:171]
	v_fmac_f64_e32 v[84:85], v[72:73], v[174:175]
	v_add_f64 v[82:83], v[82:83], v[84:85]
	s_waitcnt vmcnt(38) lgkmcnt(1)
	v_mul_f64 v[84:85], v[74:75], v[218:219]
	s_waitcnt vmcnt(36)
	v_fmac_f64_e32 v[84:85], v[76:77], v[220:221]
	v_add_f64 v[82:83], v[82:83], v[84:85]
	s_waitcnt lgkmcnt(0)
	v_mul_f64 v[84:85], v[78:79], v[178:179]
	v_fmac_f64_e32 v[84:85], v[80:81], v[182:183]
	v_add_f64 v[118:119], v[82:83], v[84:85]
	ds_read_b128 v[82:85], v1 offset:1168
	ds_read_b128 v[86:89], v1 offset:1184
	ds_read_b128 v[98:101], v1 offset:1232
	v_fma_f64 v[246:247], v[244:245], v[104:105], -v[102:103]
	ds_read_b128 v[102:105], v1 offset:1264
	ds_read_b128 v[110:113], v1 offset:1280
	s_waitcnt vmcnt(30) lgkmcnt(4)
	v_mul_f64 v[94:95], v[82:83], v[222:223]
	s_waitcnt vmcnt(28)
	v_fmac_f64_e32 v[94:95], v[84:85], v[224:225]
	v_add_f64 v[94:95], v[118:119], v[94:95]
	v_fma_f64 v[118:119], v[106:107], v[90:91], -v[92:93]
	ds_read_b128 v[90:93], v1 offset:1200
	s_waitcnt lgkmcnt(4)
	v_mul_f64 v[96:97], v[86:87], v[186:187]
	v_fmac_f64_e32 v[96:97], v[88:89], v[200:201]
	v_add_f64 v[106:107], v[94:95], v[96:97]
	ds_read_b128 v[94:97], v1 offset:1216
	s_waitcnt vmcnt(22) lgkmcnt(1)
	v_mul_f64 v[108:109], v[90:91], v[226:227]
	s_waitcnt vmcnt(20)
	v_fmac_f64_e32 v[108:109], v[92:93], v[228:229]
	v_add_f64 v[106:107], v[106:107], v[108:109]
	v_add_f64 v[118:119], v[192:193], v[118:119]
	s_waitcnt lgkmcnt(0)
	v_mul_f64 v[108:109], v[94:95], v[204:205]
	v_fmac_f64_e32 v[108:109], v[96:97], v[208:209]
	v_add_f64 v[114:115], v[106:107], v[108:109]
	ds_read_b128 v[106:109], v1 offset:1248
	s_waitcnt vmcnt(14)
	v_mul_f64 v[116:117], v[98:99], v[230:231]
	s_waitcnt vmcnt(12)
	v_fmac_f64_e32 v[116:117], v[100:101], v[190:191]
	v_add_f64 v[114:115], v[114:115], v[116:117]
	v_add_f64 v[250:251], v[118:119], v[194:195]
	s_waitcnt lgkmcnt(0)
	v_mul_f64 v[116:117], v[106:107], v[212:213]
	v_fmac_f64_e32 v[116:117], v[108:109], v[216:217]
	v_add_f64 v[114:115], v[114:115], v[116:117]
	v_add_f64 v[118:119], v[250:251], v[246:247]
	v_mul_f64 v[24:25], v[24:25], v[124:125]
	v_add_f64 v[118:119], v[118:119], v[248:249]
	v_fma_f64 v[22:23], v[22:23], v[136:137], -v[24:25]
	v_add_f64 v[22:23], v[118:119], v[22:23]
	v_mul_f64 v[16:17], v[16:17], v[132:133]
	v_add_f64 v[18:19], v[22:23], v[18:19]
	v_fma_f64 v[14:15], v[14:15], v[134:135], -v[16:17]
	v_mul_f64 v[12:13], v[12:13], v[126:127]
	s_waitcnt vmcnt(9)
	v_mul_f64 v[116:117], v[102:103], v[236:237]
	v_add_f64 v[14:15], v[18:19], v[14:15]
	s_waitcnt vmcnt(7)
	v_fmac_f64_e32 v[116:117], v[104:105], v[238:239]
	v_add_f64 v[114:115], v[114:115], v[116:117]
	s_waitcnt vmcnt(5)
	v_mul_f64 v[116:117], v[110:111], v[232:233]
	s_waitcnt vmcnt(4)
	v_fmac_f64_e32 v[116:117], v[112:113], v[234:235]
	v_add_f64 v[196:197], v[114:115], v[116:117]
	ds_read_b128 v[114:117], v1 offset:1296
	buffer_load_dword v254, off, s[0:3], 0 offset:112
	buffer_load_dword v255, off, s[0:3], 0 offset:116
	;; [unrolled: 1-line block ×4, first 2 shown]
	v_fma_f64 v[10:11], v[10:11], v[128:129], -v[12:13]
	v_mul_f64 v[4:5], v[4:5], v[130:131]
	v_add_f64 v[10:11], v[14:15], v[10:11]
	v_fma_f64 v[2:3], v[2:3], v[146:147], -v[4:5]
	v_mul_f64 v[4:5], v[8:9], v[138:139]
	v_add_f64 v[2:3], v[10:11], v[2:3]
	v_fma_f64 v[4:5], v[6:7], v[140:141], -v[4:5]
	v_add_f64 v[2:3], v[2:3], v[4:5]
	v_mul_f64 v[4:5], v[28:29], v[148:149]
	v_fma_f64 v[4:5], v[26:27], v[164:165], -v[4:5]
	v_add_f64 v[2:3], v[2:3], v[4:5]
	v_mul_f64 v[4:5], v[32:33], v[142:143]
	;; [unrolled: 3-line block ×22, first 2 shown]
	v_fma_f64 v[4:5], v[110:111], v[234:235], -v[4:5]
	v_add_f64 v[2:3], v[2:3], v[4:5]
	s_waitcnt vmcnt(6) lgkmcnt(0)
	v_mul_f64 v[4:5], v[116:117], v[240:241]
	s_waitcnt vmcnt(4)
	v_fma_f64 v[4:5], v[114:115], v[242:243], -v[4:5]
	v_mul_f64 v[198:199], v[114:115], v[240:241]
	v_add_f64 v[2:3], v[2:3], v[4:5]
	v_fmac_f64_e32 v[198:199], v[116:117], v[242:243]
	s_waitcnt vmcnt(2)
	v_add_f64 v[2:3], v[254:255], -v[2:3]
	v_accvgpr_read_b32 v254, a122
	v_add_f64 v[244:245], v[196:197], v[198:199]
	v_cmp_lt_u32_e32 vcc, 5, v254
	s_waitcnt vmcnt(0)
	v_add_f64 v[4:5], v[252:253], -v[244:245]
	buffer_store_dword v3, off, s[0:3], 0 offset:116
	buffer_store_dword v2, off, s[0:3], 0 offset:112
	;; [unrolled: 1-line block ×4, first 2 shown]
	s_and_saveexec_b64 s[4:5], vcc
	s_cbranch_execz .LBB104_249
; %bb.248:
	v_accvgpr_read_b32 v0, a117
	buffer_load_dword v2, v0, s[0:3], 0 offen
	buffer_load_dword v3, v0, s[0:3], 0 offen offset:4
	buffer_load_dword v4, v0, s[0:3], 0 offen offset:8
	;; [unrolled: 1-line block ×3, first 2 shown]
	v_mov_b32_e32 v0, 0
	v_accvgpr_read_b32 v1, a123
	buffer_store_dword v0, off, s[0:3], 0 offset:96
	buffer_store_dword v0, off, s[0:3], 0 offset:100
	;; [unrolled: 1-line block ×4, first 2 shown]
	s_waitcnt vmcnt(4)
	ds_write_b128 v1, v[2:5]
.LBB104_249:
	s_or_b64 exec, exec, s[4:5]
	s_waitcnt lgkmcnt(0)
	; wave barrier
	s_waitcnt lgkmcnt(0)
	buffer_load_dword v82, off, s[0:3], 0 offset:112
	buffer_load_dword v83, off, s[0:3], 0 offset:116
	;; [unrolled: 1-line block ×54, first 2 shown]
	v_mov_b32_e32 v1, 0
	ds_read_b128 v[90:93], v1 offset:752
	ds_read_b128 v[106:109], v1 offset:768
	ds_read_b128 v[114:117], v1 offset:784
	ds_read_b128 v[242:245], v1 offset:800
	ds_read_b128 v[246:249], v1 offset:816
	ds_read_b128 v[250:253], v1 offset:832
	ds_read_b128 v[10:13], v1 offset:848
	ds_read_b128 v[6:9], v1 offset:864
	ds_read_b128 v[2:5], v1 offset:880
	buffer_load_dword v151, off, s[0:3], 0 offset:340
	buffer_load_dword v150, off, s[0:3], 0 offset:336
	;; [unrolled: 1-line block ×62, first 2 shown]
	v_cmp_lt_u32_e32 vcc, 4, v254
	s_waitcnt vmcnt(62) lgkmcnt(8)
	v_mul_f64 v[14:15], v[90:91], v[84:85]
	v_fmac_f64_e32 v[14:15], v[92:93], v[82:83]
	v_add_f64 v[14:15], v[14:15], 0
	v_mul_f64 v[84:85], v[92:93], v[84:85]
	s_waitcnt lgkmcnt(7)
	v_mul_f64 v[16:17], v[106:107], v[88:89]
	v_fmac_f64_e32 v[16:17], v[108:109], v[86:87]
	s_waitcnt lgkmcnt(6)
	v_mul_f64 v[18:19], v[114:115], v[94:95]
	v_add_f64 v[14:15], v[14:15], v[16:17]
	s_waitcnt lgkmcnt(4)
	v_mul_f64 v[22:23], v[246:247], v[102:103]
	v_fma_f64 v[192:193], v[90:91], v[82:83], -v[84:85]
	v_fmac_f64_e32 v[22:23], v[248:249], v[104:105]
	v_mul_f64 v[88:89], v[108:109], v[88:89]
	v_mul_f64 v[20:21], v[242:243], v[98:99]
	v_fma_f64 v[194:195], v[106:107], v[86:87], -v[88:89]
	s_waitcnt lgkmcnt(2)
	v_mul_f64 v[26:27], v[10:11], v[120:121]
	v_mul_f64 v[94:95], v[116:117], v[94:95]
	v_fmac_f64_e32 v[26:27], v[12:13], v[122:123]
	v_mul_f64 v[98:99], v[244:245], v[98:99]
	v_mul_f64 v[24:25], v[250:251], v[110:111]
	;; [unrolled: 1-line block ×3, first 2 shown]
	s_waitcnt lgkmcnt(1)
	v_mul_f64 v[28:29], v[6:7], v[124:125]
	v_mul_f64 v[110:111], v[252:253], v[110:111]
	v_fmac_f64_e32 v[18:19], v[116:117], v[96:97]
	v_add_f64 v[14:15], v[14:15], v[18:19]
	v_fmac_f64_e32 v[20:21], v[244:245], v[100:101]
	v_add_f64 v[14:15], v[14:15], v[20:21]
	;; [unrolled: 2-line block ×3, first 2 shown]
	v_add_f64 v[14:15], v[14:15], v[24:25]
	v_fmac_f64_e32 v[28:29], v[8:9], v[128:129]
	v_add_f64 v[14:15], v[14:15], v[26:27]
	v_add_f64 v[18:19], v[14:15], v[28:29]
	ds_read_b128 v[14:17], v1 offset:896
	s_waitcnt lgkmcnt(1)
	v_mul_f64 v[20:21], v[2:3], v[126:127]
	v_fmac_f64_e32 v[20:21], v[4:5], v[130:131]
	v_add_f64 v[22:23], v[18:19], v[20:21]
	ds_read_b128 v[18:21], v1 offset:912
	s_waitcnt lgkmcnt(1)
	v_mul_f64 v[24:25], v[14:15], v[136:137]
	v_fmac_f64_e32 v[24:25], v[16:17], v[138:139]
	v_add_f64 v[26:27], v[22:23], v[24:25]
	ds_read_b128 v[22:25], v1 offset:928
	s_waitcnt lgkmcnt(1)
	v_mul_f64 v[28:29], v[18:19], v[132:133]
	v_fmac_f64_e32 v[28:29], v[20:21], v[134:135]
	v_add_f64 v[30:31], v[26:27], v[28:29]
	ds_read_b128 v[26:29], v1 offset:944
	s_waitcnt lgkmcnt(1)
	v_mul_f64 v[32:33], v[22:23], v[146:147]
	v_fmac_f64_e32 v[32:33], v[24:25], v[148:149]
	v_add_f64 v[34:35], v[30:31], v[32:33]
	ds_read_b128 v[30:33], v1 offset:960
	s_waitcnt lgkmcnt(1)
	v_mul_f64 v[36:37], v[26:27], v[140:141]
	v_fmac_f64_e32 v[36:37], v[28:29], v[142:143]
	v_add_f64 v[38:39], v[34:35], v[36:37]
	ds_read_b128 v[34:37], v1 offset:976
	s_waitcnt vmcnt(58) lgkmcnt(1)
	v_mul_f64 v[40:41], v[30:31], v[164:165]
	s_waitcnt vmcnt(56)
	v_fmac_f64_e32 v[40:41], v[32:33], v[168:169]
	v_add_f64 v[42:43], v[38:39], v[40:41]
	ds_read_b128 v[38:41], v1 offset:992
	s_waitcnt lgkmcnt(1)
	v_mul_f64 v[44:45], v[34:35], v[144:145]
	v_fmac_f64_e32 v[44:45], v[36:37], v[150:151]
	v_add_f64 v[46:47], v[42:43], v[44:45]
	ds_read_b128 v[42:45], v1 offset:1008
	s_waitcnt vmcnt(50) lgkmcnt(1)
	v_mul_f64 v[48:49], v[38:39], v[172:173]
	s_waitcnt vmcnt(48)
	v_fmac_f64_e32 v[48:49], v[40:41], v[176:177]
	v_add_f64 v[50:51], v[46:47], v[48:49]
	ds_read_b128 v[46:49], v1 offset:1024
	buffer_load_dword v223, off, s[0:3], 0 offset:588
	buffer_load_dword v222, off, s[0:3], 0 offset:584
	;; [unrolled: 1-line block ×8, first 2 shown]
	s_waitcnt lgkmcnt(1)
	v_mul_f64 v[52:53], v[42:43], v[152:153]
	v_fmac_f64_e32 v[52:53], v[44:45], v[154:155]
	v_add_f64 v[54:55], v[50:51], v[52:53]
	ds_read_b128 v[50:53], v1 offset:1040
	s_waitcnt vmcnt(50) lgkmcnt(1)
	v_mul_f64 v[56:57], v[46:47], v[180:181]
	s_waitcnt vmcnt(48)
	v_fmac_f64_e32 v[56:57], v[48:49], v[184:185]
	buffer_load_dword v227, off, s[0:3], 0 offset:636
	buffer_load_dword v233, off, s[0:3], 0 offset:620
	;; [unrolled: 1-line block ×12, first 2 shown]
	v_add_f64 v[58:59], v[54:55], v[56:57]
	ds_read_b128 v[54:57], v1 offset:1056
	s_waitcnt lgkmcnt(1)
	v_mul_f64 v[60:61], v[50:51], v[156:157]
	v_fmac_f64_e32 v[60:61], v[52:53], v[158:159]
	v_add_f64 v[62:63], v[58:59], v[60:61]
	ds_read_b128 v[58:61], v1 offset:1072
	s_waitcnt vmcnt(54) lgkmcnt(1)
	v_mul_f64 v[64:65], v[54:55], v[188:189]
	s_waitcnt vmcnt(52)
	v_fmac_f64_e32 v[64:65], v[56:57], v[202:203]
	v_add_f64 v[66:67], v[62:63], v[64:65]
	ds_read_b128 v[62:65], v1 offset:1088
	s_waitcnt lgkmcnt(1)
	v_mul_f64 v[68:69], v[58:59], v[160:161]
	v_fmac_f64_e32 v[68:69], v[60:61], v[162:163]
	v_add_f64 v[70:71], v[66:67], v[68:69]
	ds_read_b128 v[66:69], v1 offset:1104
	s_waitcnt vmcnt(46) lgkmcnt(1)
	v_mul_f64 v[72:73], v[62:63], v[206:207]
	s_waitcnt vmcnt(44)
	v_fmac_f64_e32 v[72:73], v[64:65], v[208:209]
	v_add_f64 v[78:79], v[70:71], v[72:73]
	ds_read_b128 v[70:73], v1 offset:1120
	ds_read_b128 v[74:77], v1 offset:1136
	s_waitcnt lgkmcnt(2)
	v_mul_f64 v[80:81], v[66:67], v[166:167]
	v_fmac_f64_e32 v[80:81], v[68:69], v[170:171]
	v_add_f64 v[78:79], v[78:79], v[80:81]
	s_waitcnt vmcnt(38) lgkmcnt(1)
	v_mul_f64 v[80:81], v[70:71], v[210:211]
	s_waitcnt vmcnt(36)
	v_fmac_f64_e32 v[80:81], v[72:73], v[212:213]
	v_add_f64 v[78:79], v[78:79], v[80:81]
	s_waitcnt lgkmcnt(0)
	v_mul_f64 v[80:81], v[74:75], v[174:175]
	v_fmac_f64_e32 v[80:81], v[76:77], v[178:179]
	v_add_f64 v[118:119], v[78:79], v[80:81]
	ds_read_b128 v[78:81], v1 offset:1152
	ds_read_b128 v[82:85], v1 offset:1168
	;; [unrolled: 1-line block ×3, first 2 shown]
	v_fma_f64 v[196:197], v[242:243], v[100:101], -v[98:99]
	ds_read_b128 v[98:101], v1 offset:1232
	s_waitcnt vmcnt(30) lgkmcnt(3)
	v_mul_f64 v[90:91], v[78:79], v[214:215]
	s_waitcnt vmcnt(28)
	v_fmac_f64_e32 v[90:91], v[80:81], v[216:217]
	s_waitcnt lgkmcnt(2)
	v_mul_f64 v[92:93], v[82:83], v[182:183]
	v_add_f64 v[90:91], v[118:119], v[90:91]
	v_fmac_f64_e32 v[92:93], v[84:85], v[186:187]
	v_add_f64 v[90:91], v[90:91], v[92:93]
	v_fma_f64 v[118:119], v[114:115], v[96:97], -v[94:95]
	ds_read_b128 v[94:97], v1 offset:1216
	s_waitcnt vmcnt(22) lgkmcnt(2)
	v_mul_f64 v[92:93], v[86:87], v[218:219]
	s_waitcnt vmcnt(20)
	v_fmac_f64_e32 v[92:93], v[88:89], v[220:221]
	v_add_f64 v[106:107], v[90:91], v[92:93]
	ds_read_b128 v[90:93], v1 offset:1200
	buffer_load_dword v190, off, s[0:3], 0 offset:664
	v_fma_f64 v[198:199], v[246:247], v[104:105], -v[102:103]
	ds_read_b128 v[102:105], v1 offset:1248
	v_fma_f64 v[250:251], v[250:251], v[112:113], -v[110:111]
	s_waitcnt lgkmcnt(1)
	v_mul_f64 v[108:109], v[90:91], v[200:201]
	v_fmac_f64_e32 v[108:109], v[92:93], v[204:205]
	v_add_f64 v[106:107], v[106:107], v[108:109]
	ds_read_b128 v[110:113], v1 offset:1280
	v_add_f64 v[192:193], v[192:193], 0
	v_add_f64 v[192:193], v[192:193], v[194:195]
	;; [unrolled: 1-line block ×5, first 2 shown]
	v_mul_f64 v[12:13], v[12:13], v[120:121]
	v_add_f64 v[118:119], v[252:253], v[250:251]
	v_fma_f64 v[10:11], v[10:11], v[122:123], -v[12:13]
	v_mul_f64 v[8:9], v[8:9], v[124:125]
	v_add_f64 v[10:11], v[118:119], v[10:11]
	v_fma_f64 v[6:7], v[6:7], v[128:129], -v[8:9]
	v_mul_f64 v[4:5], v[4:5], v[126:127]
	v_add_f64 v[6:7], v[10:11], v[6:7]
	v_fma_f64 v[2:3], v[2:3], v[130:131], -v[4:5]
	v_mul_f64 v[4:5], v[16:17], v[136:137]
	v_add_f64 v[2:3], v[6:7], v[2:3]
	s_waitcnt vmcnt(19)
	v_mul_f64 v[108:109], v[94:95], v[222:223]
	v_fma_f64 v[4:5], v[14:15], v[138:139], -v[4:5]
	s_waitcnt vmcnt(17)
	v_fmac_f64_e32 v[108:109], v[96:97], v[224:225]
	v_add_f64 v[106:107], v[106:107], v[108:109]
	s_waitcnt vmcnt(15)
	v_mul_f64 v[108:109], v[98:99], v[228:229]
	s_waitcnt vmcnt(13)
	v_fmac_f64_e32 v[108:109], v[100:101], v[230:231]
	v_add_f64 v[114:115], v[106:107], v[108:109]
	ds_read_b128 v[106:109], v1 offset:1264
	buffer_load_dword v244, off, s[0:3], 0 offset:656
	buffer_load_dword v191, off, s[0:3], 0 offset:668
	;; [unrolled: 1-line block ×3, first 2 shown]
	s_waitcnt vmcnt(13) lgkmcnt(2)
	v_mul_f64 v[116:117], v[102:103], v[232:233]
	s_waitcnt vmcnt(11)
	v_fmac_f64_e32 v[116:117], v[104:105], v[238:239]
	v_add_f64 v[114:115], v[114:115], v[116:117]
	s_waitcnt vmcnt(10) lgkmcnt(0)
	v_mul_f64 v[116:117], v[106:107], v[226:227]
	s_waitcnt vmcnt(8)
	v_fmac_f64_e32 v[116:117], v[108:109], v[236:237]
	v_add_f64 v[114:115], v[114:115], v[116:117]
	s_waitcnt vmcnt(6)
	v_mul_f64 v[116:117], v[110:111], v[234:235]
	s_waitcnt vmcnt(4)
	v_fmac_f64_e32 v[116:117], v[112:113], v[240:241]
	v_add_f64 v[242:243], v[114:115], v[116:117]
	ds_read_b128 v[114:117], v1 offset:1296
	buffer_load_dword v248, off, s[0:3], 0 offset:96
	buffer_load_dword v249, off, s[0:3], 0 offset:100
	v_add_f64 v[2:3], v[2:3], v[4:5]
	v_mul_f64 v[4:5], v[20:21], v[132:133]
	v_fma_f64 v[4:5], v[18:19], v[134:135], -v[4:5]
	v_add_f64 v[2:3], v[2:3], v[4:5]
	v_mul_f64 v[4:5], v[24:25], v[146:147]
	v_fma_f64 v[4:5], v[22:23], v[148:149], -v[4:5]
	;; [unrolled: 3-line block ×22, first 2 shown]
	v_add_f64 v[2:3], v[2:3], v[4:5]
	s_waitcnt vmcnt(3) lgkmcnt(0)
	v_mul_f64 v[246:247], v[114:115], v[190:191]
	s_waitcnt vmcnt(2)
	v_fmac_f64_e32 v[246:247], v[116:117], v[244:245]
	v_add_f64 v[242:243], v[242:243], v[246:247]
	buffer_load_dword v246, off, s[0:3], 0 offset:104
	buffer_load_dword v247, off, s[0:3], 0 offset:108
	v_mul_f64 v[4:5], v[108:109], v[226:227]
	v_fma_f64 v[4:5], v[106:107], v[236:237], -v[4:5]
	v_add_f64 v[2:3], v[2:3], v[4:5]
	v_mul_f64 v[4:5], v[112:113], v[234:235]
	v_fma_f64 v[4:5], v[110:111], v[240:241], -v[4:5]
	v_add_f64 v[2:3], v[2:3], v[4:5]
	;; [unrolled: 3-line block ×3, first 2 shown]
	s_waitcnt vmcnt(2)
	v_add_f64 v[2:3], v[248:249], -v[2:3]
	s_waitcnt vmcnt(0)
	v_add_f64 v[4:5], v[246:247], -v[242:243]
	buffer_store_dword v3, off, s[0:3], 0 offset:100
	buffer_store_dword v2, off, s[0:3], 0 offset:96
	;; [unrolled: 1-line block ×4, first 2 shown]
	s_and_saveexec_b64 s[4:5], vcc
	s_cbranch_execz .LBB104_251
; %bb.250:
	v_accvgpr_read_b32 v0, a118
	buffer_load_dword v2, v0, s[0:3], 0 offen
	buffer_load_dword v3, v0, s[0:3], 0 offen offset:4
	buffer_load_dword v4, v0, s[0:3], 0 offen offset:8
	;; [unrolled: 1-line block ×3, first 2 shown]
	v_accvgpr_read_b32 v0, a123
	buffer_store_dword v1, off, s[0:3], 0 offset:80
	buffer_store_dword v1, off, s[0:3], 0 offset:84
	;; [unrolled: 1-line block ×4, first 2 shown]
	s_waitcnt vmcnt(4)
	ds_write_b128 v0, v[2:5]
.LBB104_251:
	s_or_b64 exec, exec, s[4:5]
	s_waitcnt lgkmcnt(0)
	; wave barrier
	s_waitcnt lgkmcnt(0)
	buffer_load_dword v84, off, s[0:3], 0 offset:96
	buffer_load_dword v85, off, s[0:3], 0 offset:100
	;; [unrolled: 1-line block ×34, first 2 shown]
	ds_read_b128 v[74:77], v1 offset:736
	ds_read_b128 v[78:81], v1 offset:752
	;; [unrolled: 1-line block ×8, first 2 shown]
	buffer_load_dword v127, off, s[0:3], 0 offset:212
	buffer_load_dword v126, off, s[0:3], 0 offset:208
	ds_read_b128 v[6:9], v1 offset:864
	buffer_load_dword v129, off, s[0:3], 0 offset:268
	buffer_load_dword v128, off, s[0:3], 0 offset:264
	;; [unrolled: 1-line block ×80, first 2 shown]
	v_accvgpr_read_b32 v0, a122
	v_cmp_lt_u32_e32 vcc, 3, v0
	s_waitcnt vmcnt(62) lgkmcnt(8)
	v_mul_f64 v[10:11], v[74:75], v[106:107]
	v_fmac_f64_e32 v[10:11], v[76:77], v[84:85]
	v_add_f64 v[10:11], v[10:11], 0
	v_mul_f64 v[76:77], v[76:77], v[106:107]
	s_waitcnt lgkmcnt(7)
	v_mul_f64 v[12:13], v[78:79], v[96:97]
	v_fmac_f64_e32 v[12:13], v[80:81], v[82:83]
	s_waitcnt lgkmcnt(6)
	v_mul_f64 v[14:15], v[86:87], v[94:95]
	v_add_f64 v[10:11], v[10:11], v[12:13]
	s_waitcnt lgkmcnt(4)
	v_mul_f64 v[18:19], v[98:99], v[108:109]
	v_fma_f64 v[192:193], v[74:75], v[84:85], -v[76:77]
	v_fmac_f64_e32 v[18:19], v[100:101], v[114:115]
	v_mul_f64 v[80:81], v[80:81], v[96:97]
	v_mul_f64 v[16:17], v[90:91], v[116:117]
	v_fma_f64 v[194:195], v[78:79], v[82:83], -v[80:81]
	s_waitcnt lgkmcnt(2)
	v_mul_f64 v[22:23], v[110:111], v[190:191]
	v_mul_f64 v[100:101], v[100:101], v[108:109]
	v_fma_f64 v[198:199], v[98:99], v[114:115], -v[100:101]
	v_mul_f64 v[20:21], v[102:103], v[244:245]
	v_add_f64 v[192:193], v[192:193], 0
	s_waitcnt lgkmcnt(1)
	v_mul_f64 v[24:25], v[2:3], v[120:121]
	v_add_f64 v[192:193], v[192:193], v[194:195]
	v_fmac_f64_e32 v[14:15], v[88:89], v[250:251]
	v_add_f64 v[10:11], v[10:11], v[14:15]
	v_fmac_f64_e32 v[16:17], v[92:93], v[248:249]
	v_add_f64 v[10:11], v[10:11], v[16:17]
	v_fmac_f64_e32 v[20:21], v[104:105], v[246:247]
	v_add_f64 v[10:11], v[10:11], v[18:19]
	v_fmac_f64_e32 v[22:23], v[112:113], v[242:243]
	v_add_f64 v[10:11], v[10:11], v[20:21]
	v_add_f64 v[10:11], v[10:11], v[22:23]
	s_waitcnt lgkmcnt(0)
	v_mul_f64 v[16:17], v[6:7], v[122:123]
	v_fmac_f64_e32 v[16:17], v[8:9], v[124:125]
	v_fmac_f64_e32 v[24:25], v[4:5], v[126:127]
	v_add_f64 v[14:15], v[10:11], v[24:25]
	ds_read_b128 v[10:13], v1 offset:880
	v_add_f64 v[18:19], v[14:15], v[16:17]
	ds_read_b128 v[14:17], v1 offset:896
	v_mul_f64 v[88:89], v[88:89], v[94:95]
	v_mul_f64 v[92:93], v[92:93], v[116:117]
	s_waitcnt lgkmcnt(1)
	v_mul_f64 v[20:21], v[10:11], v[132:133]
	v_fmac_f64_e32 v[20:21], v[12:13], v[134:135]
	s_waitcnt lgkmcnt(0)
	v_mul_f64 v[24:25], v[14:15], v[128:129]
	v_add_f64 v[22:23], v[18:19], v[20:21]
	ds_read_b128 v[18:21], v1 offset:912
	v_fmac_f64_e32 v[24:25], v[16:17], v[130:131]
	v_add_f64 v[26:27], v[22:23], v[24:25]
	ds_read_b128 v[22:25], v1 offset:928
	v_fma_f64 v[196:197], v[90:91], v[248:249], -v[92:93]
	s_waitcnt lgkmcnt(1)
	v_mul_f64 v[28:29], v[18:19], v[144:145]
	v_fmac_f64_e32 v[28:29], v[20:21], v[146:147]
	v_add_f64 v[30:31], v[26:27], v[28:29]
	s_waitcnt lgkmcnt(0)
	v_mul_f64 v[32:33], v[22:23], v[136:137]
	ds_read_b128 v[26:29], v1 offset:944
	v_fmac_f64_e32 v[32:33], v[24:25], v[138:139]
	v_add_f64 v[34:35], v[30:31], v[32:33]
	ds_read_b128 v[30:33], v1 offset:960
	v_mul_f64 v[104:105], v[104:105], v[244:245]
	s_waitcnt vmcnt(58) lgkmcnt(1)
	v_mul_f64 v[36:37], v[26:27], v[160:161]
	s_waitcnt vmcnt(56)
	v_fmac_f64_e32 v[36:37], v[28:29], v[164:165]
	v_add_f64 v[38:39], v[34:35], v[36:37]
	s_waitcnt lgkmcnt(0)
	v_mul_f64 v[40:41], v[30:31], v[140:141]
	ds_read_b128 v[34:37], v1 offset:976
	v_fmac_f64_e32 v[40:41], v[32:33], v[142:143]
	v_add_f64 v[42:43], v[38:39], v[40:41]
	ds_read_b128 v[38:41], v1 offset:992
	v_mul_f64 v[112:113], v[112:113], v[190:191]
	s_waitcnt vmcnt(50) lgkmcnt(1)
	v_mul_f64 v[44:45], v[34:35], v[168:169]
	s_waitcnt vmcnt(48)
	v_fmac_f64_e32 v[44:45], v[36:37], v[172:173]
	v_add_f64 v[46:47], v[42:43], v[44:45]
	s_waitcnt lgkmcnt(0)
	v_mul_f64 v[48:49], v[38:39], v[148:149]
	v_fmac_f64_e32 v[48:49], v[40:41], v[150:151]
	ds_read_b128 v[42:45], v1 offset:1008
	v_add_f64 v[50:51], v[46:47], v[48:49]
	ds_read_b128 v[46:49], v1 offset:1024
	buffer_load_dword v219, off, s[0:3], 0 offset:588
	buffer_load_dword v221, off, s[0:3], 0 offset:572
	;; [unrolled: 1-line block ×12, first 2 shown]
	v_fma_f64 v[252:253], v[110:111], v[242:243], -v[112:113]
	s_waitcnt vmcnt(54) lgkmcnt(1)
	v_mul_f64 v[52:53], v[42:43], v[176:177]
	s_waitcnt vmcnt(52)
	v_fmac_f64_e32 v[52:53], v[44:45], v[180:181]
	v_add_f64 v[54:55], v[50:51], v[52:53]
	ds_read_b128 v[50:53], v1 offset:1040
	s_waitcnt lgkmcnt(1)
	v_mul_f64 v[56:57], v[46:47], v[152:153]
	v_fmac_f64_e32 v[56:57], v[48:49], v[154:155]
	buffer_load_dword v233, off, s[0:3], 0 offset:620
	buffer_load_dword v232, off, s[0:3], 0 offset:616
	;; [unrolled: 1-line block ×12, first 2 shown]
	v_add_f64 v[58:59], v[54:55], v[56:57]
	ds_read_b128 v[54:57], v1 offset:1056
	s_waitcnt vmcnt(58) lgkmcnt(1)
	v_mul_f64 v[60:61], v[50:51], v[184:185]
	s_waitcnt vmcnt(56)
	v_fmac_f64_e32 v[60:61], v[52:53], v[188:189]
	v_add_f64 v[62:63], v[58:59], v[60:61]
	ds_read_b128 v[58:61], v1 offset:1072
	s_waitcnt lgkmcnt(1)
	v_mul_f64 v[64:65], v[54:55], v[156:157]
	v_fmac_f64_e32 v[64:65], v[56:57], v[158:159]
	v_add_f64 v[70:71], v[62:63], v[64:65]
	ds_read_b128 v[62:65], v1 offset:1088
	ds_read_b128 v[66:69], v1 offset:1104
	s_waitcnt vmcnt(50) lgkmcnt(2)
	v_mul_f64 v[72:73], v[58:59], v[202:203]
	s_waitcnt vmcnt(48)
	v_fmac_f64_e32 v[72:73], v[60:61], v[204:205]
	v_add_f64 v[70:71], v[70:71], v[72:73]
	s_waitcnt lgkmcnt(1)
	v_mul_f64 v[72:73], v[62:63], v[162:163]
	v_fmac_f64_e32 v[72:73], v[64:65], v[166:167]
	v_add_f64 v[70:71], v[70:71], v[72:73]
	s_waitcnt vmcnt(42) lgkmcnt(0)
	v_mul_f64 v[72:73], v[66:67], v[206:207]
	s_waitcnt vmcnt(40)
	v_fmac_f64_e32 v[72:73], v[68:69], v[208:209]
	v_add_f64 v[118:119], v[70:71], v[72:73]
	ds_read_b128 v[70:73], v1 offset:1120
	ds_read_b128 v[74:77], v1 offset:1136
	;; [unrolled: 1-line block ×5, first 2 shown]
	s_waitcnt lgkmcnt(4)
	v_mul_f64 v[84:85], v[70:71], v[170:171]
	v_fmac_f64_e32 v[84:85], v[72:73], v[174:175]
	v_add_f64 v[82:83], v[118:119], v[84:85]
	s_waitcnt vmcnt(34) lgkmcnt(3)
	v_mul_f64 v[84:85], v[74:75], v[210:211]
	s_waitcnt vmcnt(32)
	v_fmac_f64_e32 v[84:85], v[76:77], v[212:213]
	v_add_f64 v[82:83], v[82:83], v[84:85]
	v_fma_f64 v[118:119], v[86:87], v[250:251], -v[88:89]
	ds_read_b128 v[86:89], v1 offset:1184
	s_waitcnt lgkmcnt(3)
	v_mul_f64 v[84:85], v[78:79], v[178:179]
	v_fmac_f64_e32 v[84:85], v[80:81], v[182:183]
	v_add_f64 v[96:97], v[82:83], v[84:85]
	ds_read_b128 v[82:85], v1 offset:1168
	v_fma_f64 v[250:251], v[102:103], v[246:247], -v[104:105]
	ds_read_b128 v[110:113], v1 offset:1280
	v_add_f64 v[118:119], v[192:193], v[118:119]
	v_add_f64 v[118:119], v[118:119], v[196:197]
	s_waitcnt vmcnt(26) lgkmcnt(1)
	v_mul_f64 v[94:95], v[82:83], v[214:215]
	s_waitcnt vmcnt(24)
	v_fmac_f64_e32 v[94:95], v[84:85], v[216:217]
	v_add_f64 v[94:95], v[96:97], v[94:95]
	v_mul_f64 v[96:97], v[86:87], v[186:187]
	v_fmac_f64_e32 v[96:97], v[88:89], v[200:201]
	v_add_f64 v[106:107], v[94:95], v[96:97]
	ds_read_b128 v[94:97], v1 offset:1216
	v_add_f64 v[254:255], v[118:119], v[198:199]
	v_add_f64 v[118:119], v[254:255], v[250:251]
	v_mul_f64 v[4:5], v[4:5], v[120:121]
	v_add_f64 v[118:119], v[118:119], v[252:253]
	ds_read_b128 v[102:105], v1 offset:1264
	v_fma_f64 v[2:3], v[2:3], v[126:127], -v[4:5]
	v_mul_f64 v[4:5], v[8:9], v[122:123]
	v_add_f64 v[2:3], v[118:119], v[2:3]
	v_fma_f64 v[4:5], v[6:7], v[124:125], -v[4:5]
	v_add_f64 v[2:3], v[2:3], v[4:5]
	v_mul_f64 v[4:5], v[12:13], v[132:133]
	v_fma_f64 v[4:5], v[10:11], v[134:135], -v[4:5]
	v_add_f64 v[2:3], v[2:3], v[4:5]
	v_mul_f64 v[4:5], v[16:17], v[128:129]
	s_waitcnt vmcnt(21)
	v_mul_f64 v[108:109], v[90:91], v[220:221]
	v_fma_f64 v[4:5], v[14:15], v[130:131], -v[4:5]
	s_waitcnt vmcnt(19)
	v_fmac_f64_e32 v[108:109], v[92:93], v[226:227]
	v_add_f64 v[106:107], v[106:107], v[108:109]
	s_waitcnt vmcnt(18) lgkmcnt(1)
	v_mul_f64 v[108:109], v[94:95], v[218:219]
	s_waitcnt vmcnt(16)
	v_fmac_f64_e32 v[108:109], v[96:97], v[224:225]
	v_add_f64 v[114:115], v[106:107], v[108:109]
	ds_read_b128 v[106:109], v1 offset:1248
	buffer_load_dword v243, off, s[0:3], 0 offset:668
	buffer_load_dword v242, off, s[0:3], 0 offset:664
	;; [unrolled: 1-line block ×4, first 2 shown]
	s_waitcnt vmcnt(18)
	v_mul_f64 v[116:117], v[98:99], v[222:223]
	s_waitcnt vmcnt(16)
	v_fmac_f64_e32 v[116:117], v[100:101], v[228:229]
	v_add_f64 v[114:115], v[114:115], v[116:117]
	s_waitcnt vmcnt(14) lgkmcnt(0)
	v_mul_f64 v[116:117], v[106:107], v[232:233]
	s_waitcnt vmcnt(12)
	v_fmac_f64_e32 v[116:117], v[108:109], v[234:235]
	v_add_f64 v[114:115], v[114:115], v[116:117]
	s_waitcnt vmcnt(9)
	v_mul_f64 v[116:117], v[102:103], v[238:239]
	s_waitcnt vmcnt(7)
	v_fmac_f64_e32 v[116:117], v[104:105], v[240:241]
	v_add_f64 v[114:115], v[114:115], v[116:117]
	s_waitcnt vmcnt(5)
	v_mul_f64 v[116:117], v[110:111], v[230:231]
	s_waitcnt vmcnt(4)
	v_fmac_f64_e32 v[116:117], v[112:113], v[236:237]
	v_add_f64 v[190:191], v[114:115], v[116:117]
	ds_read_b128 v[114:117], v1 offset:1296
	v_add_f64 v[2:3], v[2:3], v[4:5]
	v_mul_f64 v[4:5], v[20:21], v[144:145]
	v_fma_f64 v[4:5], v[18:19], v[146:147], -v[4:5]
	v_add_f64 v[2:3], v[2:3], v[4:5]
	v_mul_f64 v[4:5], v[24:25], v[136:137]
	v_fma_f64 v[4:5], v[22:23], v[138:139], -v[4:5]
	;; [unrolled: 3-line block ×21, first 2 shown]
	v_add_f64 v[2:3], v[2:3], v[4:5]
	s_waitcnt vmcnt(2) lgkmcnt(0)
	v_mul_f64 v[246:247], v[114:115], v[242:243]
	v_mul_f64 v[4:5], v[108:109], v[232:233]
	s_waitcnt vmcnt(0)
	v_fmac_f64_e32 v[246:247], v[116:117], v[244:245]
	v_add_f64 v[190:191], v[190:191], v[246:247]
	buffer_load_dword v248, off, s[0:3], 0 offset:80
	buffer_load_dword v249, off, s[0:3], 0 offset:84
	;; [unrolled: 1-line block ×4, first 2 shown]
	v_fma_f64 v[4:5], v[106:107], v[234:235], -v[4:5]
	v_add_f64 v[2:3], v[2:3], v[4:5]
	v_mul_f64 v[4:5], v[104:105], v[238:239]
	v_fma_f64 v[4:5], v[102:103], v[240:241], -v[4:5]
	v_add_f64 v[2:3], v[2:3], v[4:5]
	v_mul_f64 v[4:5], v[112:113], v[230:231]
	;; [unrolled: 3-line block ×3, first 2 shown]
	v_fma_f64 v[4:5], v[114:115], v[244:245], -v[4:5]
	v_add_f64 v[2:3], v[2:3], v[4:5]
	s_waitcnt vmcnt(2)
	v_add_f64 v[2:3], v[248:249], -v[2:3]
	s_waitcnt vmcnt(0)
	v_add_f64 v[4:5], v[246:247], -v[190:191]
	buffer_store_dword v3, off, s[0:3], 0 offset:84
	buffer_store_dword v2, off, s[0:3], 0 offset:80
	buffer_store_dword v5, off, s[0:3], 0 offset:92
	buffer_store_dword v4, off, s[0:3], 0 offset:88
	s_and_saveexec_b64 s[4:5], vcc
	s_cbranch_execz .LBB104_253
; %bb.252:
	v_accvgpr_read_b32 v0, a119
	buffer_load_dword v2, v0, s[0:3], 0 offen
	buffer_load_dword v3, v0, s[0:3], 0 offen offset:4
	buffer_load_dword v4, v0, s[0:3], 0 offen offset:8
	;; [unrolled: 1-line block ×3, first 2 shown]
	v_mov_b32_e32 v0, 0
	v_accvgpr_read_b32 v1, a123
	buffer_store_dword v0, off, s[0:3], 0 offset:64
	buffer_store_dword v0, off, s[0:3], 0 offset:68
	;; [unrolled: 1-line block ×4, first 2 shown]
	s_waitcnt vmcnt(4)
	ds_write_b128 v1, v[2:5]
.LBB104_253:
	s_or_b64 exec, exec, s[4:5]
	s_waitcnt lgkmcnt(0)
	; wave barrier
	s_waitcnt lgkmcnt(0)
	buffer_load_dword v66, off, s[0:3], 0 offset:80
	buffer_load_dword v67, off, s[0:3], 0 offset:84
	;; [unrolled: 1-line block ×55, first 2 shown]
	v_mov_b32_e32 v1, 0
	ds_read_b128 v[74:77], v1 offset:720
	ds_read_b128 v[86:89], v1 offset:736
	;; [unrolled: 1-line block ×9, first 2 shown]
	buffer_load_dword v138, off, s[0:3], 0 offset:304
	buffer_load_dword v157, off, s[0:3], 0 offset:300
	;; [unrolled: 1-line block ×61, first 2 shown]
	v_accvgpr_read_b32 v0, a122
	v_cmp_lt_u32_e32 vcc, 2, v0
	s_waitcnt vmcnt(62) lgkmcnt(8)
	v_mul_f64 v[6:7], v[74:75], v[68:69]
	v_fmac_f64_e32 v[6:7], v[76:77], v[66:67]
	v_add_f64 v[6:7], v[6:7], 0
	v_mul_f64 v[68:69], v[76:77], v[68:69]
	s_waitcnt lgkmcnt(7)
	v_mul_f64 v[8:9], v[86:87], v[72:73]
	v_fmac_f64_e32 v[8:9], v[88:89], v[70:71]
	s_waitcnt lgkmcnt(6)
	v_mul_f64 v[10:11], v[98:99], v[78:79]
	v_add_f64 v[6:7], v[6:7], v[8:9]
	s_waitcnt lgkmcnt(4)
	v_mul_f64 v[14:15], v[114:115], v[90:91]
	v_fma_f64 v[192:193], v[74:75], v[66:67], -v[68:69]
	v_fmac_f64_e32 v[14:15], v[116:117], v[92:93]
	v_mul_f64 v[72:73], v[88:89], v[72:73]
	v_mul_f64 v[12:13], v[110:111], v[82:83]
	;; [unrolled: 1-line block ×3, first 2 shown]
	s_waitcnt lgkmcnt(2)
	v_mul_f64 v[18:19], v[244:245], v[102:103]
	v_mul_f64 v[82:83], v[112:113], v[82:83]
	;; [unrolled: 1-line block ×4, first 2 shown]
	v_fma_f64 v[198:199], v[114:115], v[92:93], -v[90:91]
	s_waitcnt lgkmcnt(1)
	v_mul_f64 v[20:21], v[248:249], v[106:107]
	v_fmac_f64_e32 v[20:21], v[250:251], v[108:109]
	v_fmac_f64_e32 v[10:11], v[100:101], v[80:81]
	v_add_f64 v[6:7], v[6:7], v[10:11]
	v_fmac_f64_e32 v[12:13], v[112:113], v[84:85]
	v_add_f64 v[6:7], v[6:7], v[12:13]
	;; [unrolled: 2-line block ×4, first 2 shown]
	v_add_f64 v[6:7], v[6:7], v[18:19]
	v_add_f64 v[10:11], v[6:7], v[20:21]
	ds_read_b128 v[6:9], v1 offset:864
	s_waitcnt lgkmcnt(1)
	v_mul_f64 v[12:13], v[2:3], v[120:121]
	v_fmac_f64_e32 v[12:13], v[4:5], v[122:123]
	v_add_f64 v[14:15], v[10:11], v[12:13]
	ds_read_b128 v[10:13], v1 offset:880
	s_waitcnt lgkmcnt(1)
	v_mul_f64 v[16:17], v[6:7], v[128:129]
	v_fmac_f64_e32 v[16:17], v[8:9], v[130:131]
	;; [unrolled: 5-line block ×5, first 2 shown]
	v_add_f64 v[30:31], v[26:27], v[28:29]
	ds_read_b128 v[26:29], v1 offset:944
	s_waitcnt vmcnt(58) lgkmcnt(1)
	v_mul_f64 v[32:33], v[22:23], v[156:157]
	s_waitcnt vmcnt(56)
	v_fmac_f64_e32 v[32:33], v[24:25], v[160:161]
	v_add_f64 v[34:35], v[30:31], v[32:33]
	ds_read_b128 v[30:33], v1 offset:960
	s_waitcnt lgkmcnt(1)
	v_mul_f64 v[36:37], v[26:27], v[136:137]
	v_fmac_f64_e32 v[36:37], v[28:29], v[138:139]
	v_add_f64 v[38:39], v[34:35], v[36:37]
	ds_read_b128 v[34:37], v1 offset:976
	s_waitcnt vmcnt(50) lgkmcnt(1)
	v_mul_f64 v[40:41], v[30:31], v[164:165]
	s_waitcnt vmcnt(48)
	v_fmac_f64_e32 v[40:41], v[32:33], v[168:169]
	v_add_f64 v[42:43], v[38:39], v[40:41]
	ds_read_b128 v[38:41], v1 offset:992
	s_waitcnt lgkmcnt(1)
	v_mul_f64 v[44:45], v[34:35], v[144:145]
	v_fmac_f64_e32 v[44:45], v[36:37], v[146:147]
	v_add_f64 v[46:47], v[42:43], v[44:45]
	ds_read_b128 v[42:45], v1 offset:1008
	s_waitcnt vmcnt(42) lgkmcnt(1)
	v_mul_f64 v[48:49], v[38:39], v[172:173]
	s_waitcnt vmcnt(40)
	v_fmac_f64_e32 v[48:49], v[40:41], v[176:177]
	v_add_f64 v[50:51], v[46:47], v[48:49]
	ds_read_b128 v[46:49], v1 offset:1024
	buffer_load_dword v219, off, s[0:3], 0 offset:556
	buffer_load_dword v218, off, s[0:3], 0 offset:552
	;; [unrolled: 1-line block ×4, first 2 shown]
	s_waitcnt lgkmcnt(1)
	v_mul_f64 v[52:53], v[42:43], v[148:149]
	v_fmac_f64_e32 v[52:53], v[44:45], v[150:151]
	v_add_f64 v[54:55], v[50:51], v[52:53]
	ds_read_b128 v[50:53], v1 offset:1040
	buffer_load_dword v221, off, s[0:3], 0 offset:572
	buffer_load_dword v220, off, s[0:3], 0 offset:568
	;; [unrolled: 1-line block ×8, first 2 shown]
	s_waitcnt vmcnt(46) lgkmcnt(1)
	v_mul_f64 v[56:57], v[46:47], v[180:181]
	s_waitcnt vmcnt(44)
	v_fmac_f64_e32 v[56:57], v[48:49], v[184:185]
	v_add_f64 v[58:59], v[54:55], v[56:57]
	ds_read_b128 v[54:57], v1 offset:1056
	buffer_load_dword v231, off, s[0:3], 0 offset:604
	buffer_load_dword v230, off, s[0:3], 0 offset:600
	;; [unrolled: 1-line block ×12, first 2 shown]
	s_waitcnt lgkmcnt(1)
	v_mul_f64 v[60:61], v[50:51], v[152:153]
	v_fmac_f64_e32 v[60:61], v[52:53], v[154:155]
	v_add_f64 v[62:63], v[58:59], v[60:61]
	ds_read_b128 v[58:61], v1 offset:1072
	s_waitcnt vmcnt(50) lgkmcnt(1)
	v_mul_f64 v[64:65], v[54:55], v[202:203]
	s_waitcnt vmcnt(48)
	v_fmac_f64_e32 v[64:65], v[56:57], v[204:205]
	v_add_f64 v[62:63], v[62:63], v[64:65]
	buffer_load_dword v241, off, s[0:3], 0 offset:652
	buffer_load_dword v240, off, s[0:3], 0 offset:648
	;; [unrolled: 1-line block ×4, first 2 shown]
	s_waitcnt lgkmcnt(0)
	v_mul_f64 v[64:65], v[58:59], v[158:159]
	v_fmac_f64_e32 v[64:65], v[60:61], v[162:163]
	v_add_f64 v[118:119], v[62:63], v[64:65]
	ds_read_b128 v[62:65], v1 offset:1088
	ds_read_b128 v[66:69], v1 offset:1104
	v_fma_f64 v[194:195], v[98:99], v[80:81], -v[78:79]
	ds_read_b128 v[78:81], v1 offset:1152
	v_fma_f64 v[196:197], v[110:111], v[84:85], -v[82:83]
	ds_read_b128 v[82:85], v1 offset:1168
	s_waitcnt vmcnt(46) lgkmcnt(3)
	v_mul_f64 v[74:75], v[62:63], v[206:207]
	s_waitcnt vmcnt(44)
	v_fmac_f64_e32 v[74:75], v[64:65], v[208:209]
	v_add_f64 v[74:75], v[118:119], v[74:75]
	v_fma_f64 v[118:119], v[86:87], v[70:71], -v[72:73]
	ds_read_b128 v[70:73], v1 offset:1120
	s_waitcnt lgkmcnt(3)
	v_mul_f64 v[76:77], v[66:67], v[166:167]
	v_fmac_f64_e32 v[76:77], v[68:69], v[170:171]
	v_add_f64 v[86:87], v[74:75], v[76:77]
	ds_read_b128 v[74:77], v1 offset:1136
	s_waitcnt vmcnt(38) lgkmcnt(1)
	v_mul_f64 v[88:89], v[70:71], v[210:211]
	s_waitcnt vmcnt(36)
	v_fmac_f64_e32 v[88:89], v[72:73], v[212:213]
	v_add_f64 v[86:87], v[86:87], v[88:89]
	ds_read_b128 v[90:93], v1 offset:1200
	s_waitcnt lgkmcnt(1)
	v_mul_f64 v[88:89], v[74:75], v[174:175]
	v_fmac_f64_e32 v[88:89], v[76:77], v[178:179]
	v_add_f64 v[86:87], v[86:87], v[88:89]
	s_waitcnt vmcnt(30)
	v_mul_f64 v[88:89], v[78:79], v[214:215]
	s_waitcnt vmcnt(28)
	v_fmac_f64_e32 v[88:89], v[80:81], v[216:217]
	v_add_f64 v[86:87], v[86:87], v[88:89]
	v_mul_f64 v[88:89], v[82:83], v[182:183]
	v_fmac_f64_e32 v[88:89], v[84:85], v[200:201]
	v_add_f64 v[98:99], v[86:87], v[88:89]
	ds_read_b128 v[86:89], v1 offset:1184
	v_mul_f64 v[94:95], v[190:191], v[94:95]
	v_fma_f64 v[252:253], v[188:189], v[96:97], -v[94:95]
	ds_read_b128 v[94:97], v1 offset:1216
	v_mul_f64 v[102:103], v[246:247], v[102:103]
	v_fma_f64 v[254:255], v[244:245], v[104:105], -v[102:103]
	ds_read_b128 v[102:105], v1 offset:1248
	v_mul_f64 v[106:107], v[250:251], v[106:107]
	v_fma_f64 v[190:191], v[248:249], v[108:109], -v[106:107]
	v_add_f64 v[192:193], v[192:193], 0
	v_add_f64 v[118:119], v[192:193], v[118:119]
	;; [unrolled: 1-line block ×7, first 2 shown]
	v_mul_f64 v[4:5], v[4:5], v[120:121]
	v_add_f64 v[118:119], v[252:253], v[190:191]
	v_fma_f64 v[2:3], v[2:3], v[122:123], -v[4:5]
	v_mul_f64 v[4:5], v[8:9], v[128:129]
	v_add_f64 v[2:3], v[118:119], v[2:3]
	v_fma_f64 v[4:5], v[6:7], v[130:131], -v[4:5]
	v_add_f64 v[2:3], v[2:3], v[4:5]
	ds_read_b128 v[106:109], v1 offset:1264
	v_mul_f64 v[4:5], v[12:13], v[124:125]
	v_fma_f64 v[4:5], v[10:11], v[126:127], -v[4:5]
	v_add_f64 v[2:3], v[2:3], v[4:5]
	s_waitcnt vmcnt(26) lgkmcnt(3)
	v_mul_f64 v[100:101], v[86:87], v[218:219]
	v_mul_f64 v[4:5], v[16:17], v[140:141]
	s_waitcnt vmcnt(24)
	v_fmac_f64_e32 v[100:101], v[88:89], v[186:187]
	v_add_f64 v[98:99], v[98:99], v[100:101]
	s_waitcnt vmcnt(22)
	v_mul_f64 v[100:101], v[90:91], v[220:221]
	s_waitcnt vmcnt(20)
	v_fmac_f64_e32 v[100:101], v[92:93], v[224:225]
	v_add_f64 v[98:99], v[98:99], v[100:101]
	s_waitcnt vmcnt(18) lgkmcnt(2)
	v_mul_f64 v[100:101], v[94:95], v[222:223]
	s_waitcnt vmcnt(16)
	v_fmac_f64_e32 v[100:101], v[96:97], v[226:227]
	v_add_f64 v[110:111], v[98:99], v[100:101]
	ds_read_b128 v[98:101], v1 offset:1232
	v_fma_f64 v[4:5], v[14:15], v[142:143], -v[4:5]
	v_add_f64 v[2:3], v[2:3], v[4:5]
	v_mul_f64 v[4:5], v[20:21], v[132:133]
	v_fma_f64 v[4:5], v[18:19], v[134:135], -v[4:5]
	s_waitcnt vmcnt(14) lgkmcnt(0)
	v_mul_f64 v[112:113], v[98:99], v[230:231]
	s_waitcnt vmcnt(12)
	v_fmac_f64_e32 v[112:113], v[100:101], v[232:233]
	v_add_f64 v[110:111], v[110:111], v[112:113]
	s_waitcnt vmcnt(9)
	v_mul_f64 v[112:113], v[102:103], v[236:237]
	s_waitcnt vmcnt(7)
	v_fmac_f64_e32 v[112:113], v[104:105], v[238:239]
	v_add_f64 v[110:111], v[110:111], v[112:113]
	s_waitcnt vmcnt(5)
	v_mul_f64 v[112:113], v[106:107], v[228:229]
	s_waitcnt vmcnt(4)
	v_fmac_f64_e32 v[112:113], v[108:109], v[234:235]
	v_add_f64 v[114:115], v[110:111], v[112:113]
	ds_read_b128 v[110:113], v1 offset:1280
	buffer_load_dword v244, off, s[0:3], 0 offset:664
	buffer_load_dword v245, off, s[0:3], 0 offset:668
	;; [unrolled: 1-line block ×4, first 2 shown]
	v_add_f64 v[2:3], v[2:3], v[4:5]
	v_mul_f64 v[4:5], v[24:25], v[156:157]
	v_fma_f64 v[4:5], v[22:23], v[160:161], -v[4:5]
	s_waitcnt vmcnt(6) lgkmcnt(0)
	v_mul_f64 v[116:117], v[110:111], v[240:241]
	s_waitcnt vmcnt(4)
	v_fmac_f64_e32 v[116:117], v[112:113], v[242:243]
	v_add_f64 v[188:189], v[114:115], v[116:117]
	ds_read_b128 v[114:117], v1 offset:1296
	buffer_load_dword v250, off, s[0:3], 0 offset:64
	buffer_load_dword v251, off, s[0:3], 0 offset:68
	v_add_f64 v[2:3], v[2:3], v[4:5]
	v_mul_f64 v[4:5], v[28:29], v[136:137]
	v_fma_f64 v[4:5], v[26:27], v[138:139], -v[4:5]
	v_add_f64 v[2:3], v[2:3], v[4:5]
	v_mul_f64 v[4:5], v[32:33], v[164:165]
	v_fma_f64 v[4:5], v[30:31], v[168:169], -v[4:5]
	;; [unrolled: 3-line block ×22, first 2 shown]
	v_add_f64 v[2:3], v[2:3], v[4:5]
	s_waitcnt vmcnt(4) lgkmcnt(0)
	v_mul_f64 v[248:249], v[114:115], v[244:245]
	v_mul_f64 v[4:5], v[116:117], v[244:245]
	s_waitcnt vmcnt(2)
	v_fmac_f64_e32 v[248:249], v[116:117], v[246:247]
	v_add_f64 v[188:189], v[188:189], v[248:249]
	buffer_load_dword v248, off, s[0:3], 0 offset:72
	buffer_load_dword v249, off, s[0:3], 0 offset:76
	v_fma_f64 v[4:5], v[114:115], v[246:247], -v[4:5]
	v_add_f64 v[2:3], v[2:3], v[4:5]
	s_waitcnt vmcnt(2)
	v_add_f64 v[2:3], v[250:251], -v[2:3]
	s_waitcnt vmcnt(0)
	v_add_f64 v[4:5], v[248:249], -v[188:189]
	buffer_store_dword v3, off, s[0:3], 0 offset:68
	buffer_store_dword v2, off, s[0:3], 0 offset:64
	;; [unrolled: 1-line block ×4, first 2 shown]
	s_and_saveexec_b64 s[4:5], vcc
	s_cbranch_execz .LBB104_255
; %bb.254:
	v_accvgpr_read_b32 v0, a120
	buffer_load_dword v2, v0, s[0:3], 0 offen
	buffer_load_dword v3, v0, s[0:3], 0 offen offset:4
	buffer_load_dword v4, v0, s[0:3], 0 offen offset:8
	buffer_load_dword v5, v0, s[0:3], 0 offen offset:12
	v_accvgpr_read_b32 v0, a123
	buffer_store_dword v1, off, s[0:3], 0 offset:48
	buffer_store_dword v1, off, s[0:3], 0 offset:52
	;; [unrolled: 1-line block ×4, first 2 shown]
	s_waitcnt vmcnt(4)
	ds_write_b128 v0, v[2:5]
.LBB104_255:
	s_or_b64 exec, exec, s[4:5]
	s_waitcnt lgkmcnt(0)
	; wave barrier
	s_waitcnt lgkmcnt(0)
	buffer_load_dword v66, off, s[0:3], 0 offset:64
	buffer_load_dword v67, off, s[0:3], 0 offset:68
	;; [unrolled: 1-line block ×42, first 2 shown]
	ds_read_b128 v[78:81], v1 offset:704
	ds_read_b128 v[90:93], v1 offset:720
	ds_read_b128 v[102:105], v1 offset:736
	ds_read_b128 v[110:113], v1 offset:752
	ds_read_b128 v[114:117], v1 offset:768
	ds_read_b128 v[186:189], v1 offset:784
	ds_read_b128 v[246:249], v1 offset:800
	ds_read_b128 v[250:253], v1 offset:816
	ds_read_b128 v[190:193], v1 offset:832
	ds_read_b128 v[120:123], v1 offset:848
	buffer_load_dword v129, off, s[0:3], 0 offset:212
	buffer_load_dword v128, off, s[0:3], 0 offset:208
	ds_read_b128 v[6:9], v1 offset:864
	buffer_load_dword v125, off, s[0:3], 0 offset:268
	buffer_load_dword v124, off, s[0:3], 0 offset:264
	;; [unrolled: 1-line block ×80, first 2 shown]
	s_waitcnt vmcnt(62) lgkmcnt(10)
	v_mul_f64 v[10:11], v[78:79], v[68:69]
	v_fmac_f64_e32 v[10:11], v[80:81], v[66:67]
	v_add_f64 v[10:11], v[10:11], 0
	v_mul_f64 v[68:69], v[80:81], v[68:69]
	s_waitcnt lgkmcnt(9)
	v_mul_f64 v[12:13], v[90:91], v[64:65]
	v_fmac_f64_e32 v[12:13], v[92:93], v[62:63]
	s_waitcnt lgkmcnt(8)
	v_mul_f64 v[14:15], v[102:103], v[70:71]
	v_add_f64 v[10:11], v[10:11], v[12:13]
	s_waitcnt lgkmcnt(6)
	v_mul_f64 v[18:19], v[114:115], v[82:83]
	v_mul_f64 v[64:65], v[92:93], v[64:65]
	v_fmac_f64_e32 v[18:19], v[116:117], v[84:85]
	v_fma_f64 v[196:197], v[90:91], v[62:63], -v[64:65]
	v_mul_f64 v[16:17], v[110:111], v[74:75]
	v_fma_f64 v[194:195], v[78:79], v[66:67], -v[68:69]
	s_waitcnt lgkmcnt(4)
	v_mul_f64 v[22:23], v[246:247], v[94:95]
	v_mul_f64 v[70:71], v[104:105], v[70:71]
	v_fmac_f64_e32 v[22:23], v[248:249], v[96:97]
	v_mul_f64 v[74:75], v[112:113], v[74:75]
	v_mul_f64 v[20:21], v[186:187], v[86:87]
	;; [unrolled: 1-line block ×3, first 2 shown]
	s_waitcnt lgkmcnt(2)
	v_mul_f64 v[26:27], v[190:191], v[106:107]
	v_fma_f64 v[254:255], v[114:115], v[84:85], -v[82:83]
	v_mul_f64 v[86:87], v[188:189], v[86:87]
	v_mul_f64 v[24:25], v[250:251], v[98:99]
	;; [unrolled: 1-line block ×3, first 2 shown]
	s_waitcnt lgkmcnt(1)
	v_mul_f64 v[28:29], v[120:121], v[2:3]
	v_accvgpr_write_b32 a125, v3
	v_fmac_f64_e32 v[14:15], v[104:105], v[72:73]
	v_add_f64 v[10:11], v[10:11], v[14:15]
	v_fmac_f64_e32 v[16:17], v[112:113], v[76:77]
	v_add_f64 v[10:11], v[10:11], v[16:17]
	;; [unrolled: 2-line block ×3, first 2 shown]
	v_add_f64 v[10:11], v[10:11], v[20:21]
	v_fmac_f64_e32 v[24:25], v[252:253], v[100:101]
	v_add_f64 v[10:11], v[10:11], v[22:23]
	v_fmac_f64_e32 v[26:27], v[192:193], v[108:109]
	v_add_f64 v[10:11], v[10:11], v[24:25]
	v_add_f64 v[10:11], v[10:11], v[26:27]
	s_waitcnt lgkmcnt(0)
	v_mul_f64 v[16:17], v[6:7], v[4:5]
	v_fmac_f64_e32 v[28:29], v[122:123], v[128:129]
	v_add_f64 v[14:15], v[10:11], v[28:29]
	ds_read_b128 v[10:13], v1 offset:880
	v_fmac_f64_e32 v[16:17], v[8:9], v[200:201]
	v_add_f64 v[18:19], v[14:15], v[16:17]
	ds_read_b128 v[14:17], v1 offset:896
	v_fma_f64 v[198:199], v[110:111], v[76:77], -v[74:75]
	s_waitcnt lgkmcnt(1)
	v_mul_f64 v[20:21], v[10:11], v[130:131]
	v_fmac_f64_e32 v[20:21], v[12:13], v[146:147]
	v_add_f64 v[22:23], v[18:19], v[20:21]
	ds_read_b128 v[18:21], v1 offset:912
	s_waitcnt lgkmcnt(1)
	v_mul_f64 v[24:25], v[14:15], v[124:125]
	v_fmac_f64_e32 v[24:25], v[16:17], v[126:127]
	v_add_f64 v[26:27], v[22:23], v[24:25]
	ds_read_b128 v[22:25], v1 offset:928
	;; [unrolled: 5-line block ×4, first 2 shown]
	s_waitcnt vmcnt(58) lgkmcnt(1)
	v_mul_f64 v[36:37], v[26:27], v[158:159]
	s_waitcnt vmcnt(56)
	v_fmac_f64_e32 v[36:37], v[28:29], v[162:163]
	v_add_f64 v[38:39], v[34:35], v[36:37]
	ds_read_b128 v[34:37], v1 offset:976
	s_waitcnt lgkmcnt(1)
	v_mul_f64 v[40:41], v[30:31], v[136:137]
	v_fmac_f64_e32 v[40:41], v[32:33], v[138:139]
	v_add_f64 v[42:43], v[38:39], v[40:41]
	ds_read_b128 v[38:41], v1 offset:992
	s_waitcnt vmcnt(50) lgkmcnt(1)
	v_mul_f64 v[44:45], v[34:35], v[166:167]
	s_waitcnt vmcnt(48)
	v_fmac_f64_e32 v[44:45], v[36:37], v[170:171]
	v_add_f64 v[46:47], v[42:43], v[44:45]
	ds_read_b128 v[42:45], v1 offset:1008
	s_waitcnt lgkmcnt(1)
	v_mul_f64 v[48:49], v[38:39], v[140:141]
	v_fmac_f64_e32 v[48:49], v[40:41], v[142:143]
	v_add_f64 v[50:51], v[46:47], v[48:49]
	ds_read_b128 v[46:49], v1 offset:1024
	s_waitcnt vmcnt(42) lgkmcnt(1)
	v_mul_f64 v[52:53], v[42:43], v[204:205]
	s_waitcnt vmcnt(40)
	v_fmac_f64_e32 v[52:53], v[44:45], v[208:209]
	v_add_f64 v[54:55], v[50:51], v[52:53]
	ds_read_b128 v[50:53], v1 offset:1040
	s_waitcnt lgkmcnt(1)
	v_mul_f64 v[56:57], v[46:47], v[144:145]
	buffer_load_dword v173, off, s[0:3], 0 offset:572
	buffer_load_dword v172, off, s[0:3], 0 offset:568
	;; [unrolled: 1-line block ×4, first 2 shown]
	v_fmac_f64_e32 v[56:57], v[48:49], v[148:149]
	v_add_f64 v[58:59], v[54:55], v[56:57]
	ds_read_b128 v[54:57], v1 offset:1056
	buffer_load_dword v178, off, s[0:3], 0 offset:584
	buffer_load_dword v180, off, s[0:3], 0 offset:576
	;; [unrolled: 1-line block ×16, first 2 shown]
	s_waitcnt vmcnt(54) lgkmcnt(1)
	v_mul_f64 v[60:61], v[50:51], v[212:213]
	s_waitcnt vmcnt(52)
	v_fmac_f64_e32 v[60:61], v[52:53], v[216:217]
	v_add_f64 v[118:119], v[58:59], v[60:61]
	ds_read_b128 v[58:61], v1 offset:1072
	buffer_load_dword v242, off, s[0:3], 0 offset:648
	buffer_load_dword v244, off, s[0:3], 0 offset:640
	;; [unrolled: 1-line block ×4, first 2 shown]
	ds_read_b128 v[62:65], v1 offset:1088
	s_waitcnt lgkmcnt(2)
	v_mul_f64 v[66:67], v[54:55], v[152:153]
	v_fmac_f64_e32 v[66:67], v[56:57], v[156:157]
	s_waitcnt vmcnt(50) lgkmcnt(1)
	v_mul_f64 v[68:69], v[58:59], v[220:221]
	v_add_f64 v[66:67], v[118:119], v[66:67]
	s_waitcnt vmcnt(48)
	v_fmac_f64_e32 v[68:69], v[60:61], v[222:223]
	v_add_f64 v[66:67], v[66:67], v[68:69]
	v_fma_f64 v[118:119], v[102:103], v[72:73], -v[70:71]
	ds_read_b128 v[70:73], v1 offset:1120
	s_waitcnt lgkmcnt(1)
	v_mul_f64 v[68:69], v[62:63], v[160:161]
	v_fmac_f64_e32 v[68:69], v[64:65], v[164:165]
	v_add_f64 v[78:79], v[66:67], v[68:69]
	ds_read_b128 v[66:69], v1 offset:1104
	ds_read_b128 v[74:77], v1 offset:1136
	;; [unrolled: 1-line block ×3, first 2 shown]
	v_accvgpr_write_b32 a124, v2
	v_fma_f64 v[2:3], v[186:187], v[88:89], -v[86:87]
	s_waitcnt vmcnt(42) lgkmcnt(2)
	v_mul_f64 v[80:81], v[66:67], v[224:225]
	s_waitcnt vmcnt(40)
	v_fmac_f64_e32 v[80:81], v[68:69], v[226:227]
	v_add_f64 v[78:79], v[78:79], v[80:81]
	v_mul_f64 v[80:81], v[70:71], v[168:169]
	v_fmac_f64_e32 v[80:81], v[72:73], v[202:203]
	v_add_f64 v[90:91], v[78:79], v[80:81]
	ds_read_b128 v[78:81], v1 offset:1152
	s_waitcnt vmcnt(34) lgkmcnt(2)
	v_mul_f64 v[92:93], v[74:75], v[228:229]
	s_waitcnt vmcnt(32)
	v_fmac_f64_e32 v[92:93], v[76:77], v[230:231]
	ds_read_b128 v[86:89], v1 offset:1184
	v_add_f64 v[90:91], v[90:91], v[92:93]
	s_waitcnt lgkmcnt(1)
	v_mul_f64 v[92:93], v[78:79], v[206:207]
	v_fmac_f64_e32 v[92:93], v[80:81], v[210:211]
	v_add_f64 v[90:91], v[90:91], v[92:93]
	s_waitcnt vmcnt(26)
	v_mul_f64 v[92:93], v[82:83], v[232:233]
	s_waitcnt vmcnt(24)
	v_fmac_f64_e32 v[92:93], v[84:85], v[234:235]
	v_add_f64 v[90:91], v[90:91], v[92:93]
	v_fma_f64 v[248:249], v[246:247], v[96:97], -v[94:95]
	ds_read_b128 v[94:97], v1 offset:1216
	s_waitcnt lgkmcnt(1)
	v_mul_f64 v[92:93], v[86:87], v[214:215]
	v_fmac_f64_e32 v[92:93], v[88:89], v[218:219]
	v_add_f64 v[102:103], v[90:91], v[92:93]
	ds_read_b128 v[90:93], v1 offset:1200
	v_mul_f64 v[98:99], v[252:253], v[98:99]
	v_fma_f64 v[252:253], v[250:251], v[100:101], -v[98:99]
	ds_read_b128 v[98:101], v1 offset:1232
	v_mul_f64 v[106:107], v[192:193], v[106:107]
	v_fma_f64 v[192:193], v[190:191], v[108:109], -v[106:107]
	v_mul_f64 v[4:5], v[8:9], v[4:5]
	v_fma_f64 v[4:5], v[6:7], v[200:201], -v[4:5]
	ds_read_b128 v[106:109], v1 offset:1264
	s_waitcnt vmcnt(13) lgkmcnt(1)
	v_mul_f64 v[112:113], v[98:99], v[182:183]
	v_mul_f64 v[104:105], v[90:91], v[172:173]
	s_waitcnt vmcnt(11)
	v_fmac_f64_e32 v[112:113], v[100:101], v[238:239]
	v_fmac_f64_e32 v[104:105], v[92:93], v[174:175]
	v_add_f64 v[102:103], v[102:103], v[104:105]
	v_mul_f64 v[104:105], v[94:95], v[178:179]
	v_fmac_f64_e32 v[104:105], v[96:97], v[180:181]
	v_add_f64 v[110:111], v[102:103], v[104:105]
	ds_read_b128 v[102:105], v1 offset:1248
	v_add_f64 v[110:111], v[110:111], v[112:113]
	s_waitcnt vmcnt(10) lgkmcnt(0)
	v_mul_f64 v[112:113], v[102:103], v[176:177]
	s_waitcnt vmcnt(8)
	v_fmac_f64_e32 v[112:113], v[104:105], v[236:237]
	v_add_f64 v[110:111], v[110:111], v[112:113]
	s_waitcnt vmcnt(6)
	v_mul_f64 v[112:113], v[106:107], v[184:185]
	s_waitcnt vmcnt(4)
	v_fmac_f64_e32 v[112:113], v[108:109], v[240:241]
	v_add_f64 v[114:115], v[110:111], v[112:113]
	ds_read_b128 v[110:113], v1 offset:1280
	buffer_load_dword v189, off, s[0:3], 0 offset:668
	buffer_load_dword v188, off, s[0:3], 0 offset:664
	;; [unrolled: 1-line block ×4, first 2 shown]
	s_waitcnt vmcnt(5) lgkmcnt(0)
	v_mul_f64 v[116:117], v[110:111], v[242:243]
	s_waitcnt vmcnt(4)
	v_fmac_f64_e32 v[116:117], v[112:113], v[244:245]
	v_add_f64 v[186:187], v[114:115], v[116:117]
	ds_read_b128 v[114:117], v1 offset:1296
	v_accvgpr_read_b32 v0, a124
	v_accvgpr_read_b32 v1, a125
	s_waitcnt vmcnt(2) lgkmcnt(0)
	v_mul_f64 v[190:191], v[114:115], v[188:189]
	s_waitcnt vmcnt(0)
	v_fmac_f64_e32 v[190:191], v[116:117], v[246:247]
	v_add_f64 v[186:187], v[186:187], v[190:191]
	v_add_f64 v[190:191], v[194:195], 0
	;; [unrolled: 1-line block ×8, first 2 shown]
	buffer_load_dword v250, off, s[0:3], 0 offset:48
	buffer_load_dword v251, off, s[0:3], 0 offset:52
	;; [unrolled: 1-line block ×4, first 2 shown]
	v_add_f64 v[2:3], v[190:191], v[252:253]
	v_mul_f64 v[118:119], v[122:123], v[0:1]
	v_add_f64 v[2:3], v[2:3], v[192:193]
	v_fma_f64 v[118:119], v[120:121], v[128:129], -v[118:119]
	v_add_f64 v[2:3], v[2:3], v[118:119]
	v_add_f64 v[2:3], v[2:3], v[4:5]
	v_mul_f64 v[4:5], v[12:13], v[130:131]
	v_fma_f64 v[4:5], v[10:11], v[146:147], -v[4:5]
	v_add_f64 v[2:3], v[2:3], v[4:5]
	v_mul_f64 v[4:5], v[16:17], v[124:125]
	v_fma_f64 v[4:5], v[14:15], v[126:127], -v[4:5]
	;; [unrolled: 3-line block ×27, first 2 shown]
	v_add_f64 v[2:3], v[2:3], v[4:5]
	v_accvgpr_read_b32 v0, a122
	s_waitcnt vmcnt(2)
	v_add_f64 v[2:3], v[250:251], -v[2:3]
	v_cmp_lt_u32_e32 vcc, 1, v0
	s_waitcnt vmcnt(0)
	v_add_f64 v[4:5], v[248:249], -v[186:187]
	buffer_store_dword v3, off, s[0:3], 0 offset:52
	buffer_store_dword v2, off, s[0:3], 0 offset:48
	buffer_store_dword v5, off, s[0:3], 0 offset:60
	buffer_store_dword v4, off, s[0:3], 0 offset:56
	s_and_saveexec_b64 s[4:5], vcc
	s_cbranch_execz .LBB104_257
; %bb.256:
	v_accvgpr_read_b32 v0, a121
	buffer_load_dword v2, v0, s[0:3], 0 offen
	buffer_load_dword v3, v0, s[0:3], 0 offen offset:4
	buffer_load_dword v4, v0, s[0:3], 0 offen offset:8
	;; [unrolled: 1-line block ×3, first 2 shown]
	v_mov_b32_e32 v0, 0
	v_accvgpr_read_b32 v1, a123
	buffer_store_dword v0, off, s[0:3], 0 offset:32
	buffer_store_dword v0, off, s[0:3], 0 offset:36
	;; [unrolled: 1-line block ×4, first 2 shown]
	s_waitcnt vmcnt(4)
	ds_write_b128 v1, v[2:5]
.LBB104_257:
	s_or_b64 exec, exec, s[4:5]
	s_waitcnt lgkmcnt(0)
	; wave barrier
	s_waitcnt lgkmcnt(0)
	buffer_load_dword v54, off, s[0:3], 0 offset:48
	buffer_load_dword v55, off, s[0:3], 0 offset:52
	;; [unrolled: 1-line block ×49, first 2 shown]
	v_mov_b32_e32 v190, 0
	ds_read_b128 v[62:65], v190 offset:688
	ds_read_b128 v[74:77], v190 offset:704
	;; [unrolled: 1-line block ×11, first 2 shown]
	buffer_load_dword v208, off, s[0:3], 0 offset:232
	buffer_load_dword v225, off, s[0:3], 0 offset:228
	;; [unrolled: 1-line block ×75, first 2 shown]
	s_waitcnt vmcnt(62) lgkmcnt(10)
	v_mul_f64 v[6:7], v[62:63], v[56:57]
	v_fmac_f64_e32 v[6:7], v[64:65], v[54:55]
	v_add_f64 v[6:7], v[6:7], 0
	v_mul_f64 v[56:57], v[64:65], v[56:57]
	s_waitcnt lgkmcnt(9)
	v_mul_f64 v[8:9], v[74:75], v[60:61]
	v_fmac_f64_e32 v[8:9], v[76:77], v[58:59]
	s_waitcnt lgkmcnt(8)
	v_mul_f64 v[10:11], v[86:87], v[66:67]
	v_add_f64 v[6:7], v[6:7], v[8:9]
	s_waitcnt lgkmcnt(6)
	v_mul_f64 v[14:15], v[110:111], v[78:79]
	v_fma_f64 v[188:189], v[62:63], v[54:55], -v[56:57]
	v_fmac_f64_e32 v[14:15], v[112:113], v[80:81]
	v_mul_f64 v[60:61], v[76:77], v[60:61]
	v_mul_f64 v[12:13], v[98:99], v[70:71]
	v_fma_f64 v[192:193], v[74:75], v[58:59], -v[60:61]
	s_waitcnt lgkmcnt(4)
	v_mul_f64 v[18:19], v[172:173], v[90:91]
	v_mul_f64 v[66:67], v[88:89], v[66:67]
	v_fmac_f64_e32 v[18:19], v[174:175], v[92:93]
	v_mul_f64 v[70:71], v[100:101], v[70:71]
	v_mul_f64 v[16:17], v[114:115], v[82:83]
	v_mul_f64 v[78:79], v[112:113], v[78:79]
	s_waitcnt lgkmcnt(2)
	v_mul_f64 v[22:23], v[180:181], v[102:103]
	v_fma_f64 v[196:197], v[110:111], v[80:81], -v[78:79]
	v_mul_f64 v[82:83], v[116:117], v[82:83]
	v_mul_f64 v[20:21], v[176:177], v[94:95]
	;; [unrolled: 1-line block ×3, first 2 shown]
	s_waitcnt lgkmcnt(1)
	v_mul_f64 v[24:25], v[184:185], v[106:107]
	v_fma_f64 v[2:3], v[172:173], v[92:93], -v[90:91]
	v_fmac_f64_e32 v[10:11], v[88:89], v[68:69]
	v_add_f64 v[6:7], v[6:7], v[10:11]
	v_fmac_f64_e32 v[12:13], v[100:101], v[72:73]
	v_add_f64 v[6:7], v[6:7], v[12:13]
	v_fmac_f64_e32 v[16:17], v[116:117], v[84:85]
	v_add_f64 v[6:7], v[6:7], v[14:15]
	v_add_f64 v[6:7], v[6:7], v[16:17]
	v_fmac_f64_e32 v[20:21], v[178:179], v[96:97]
	v_add_f64 v[6:7], v[6:7], v[18:19]
	v_fmac_f64_e32 v[22:23], v[182:183], v[104:105]
	v_add_f64 v[6:7], v[6:7], v[20:21]
	v_add_f64 v[6:7], v[6:7], v[22:23]
	v_fmac_f64_e32 v[24:25], v[186:187], v[108:109]
	v_add_f64 v[10:11], v[6:7], v[24:25]
	ds_read_b128 v[6:9], v190 offset:864
	s_waitcnt lgkmcnt(1)
	v_mul_f64 v[12:13], v[200:201], v[4:5]
	v_fmac_f64_e32 v[12:13], v[202:203], v[0:1]
	v_add_f64 v[14:15], v[10:11], v[12:13]
	ds_read_b128 v[10:13], v190 offset:880
	s_waitcnt lgkmcnt(1)
	v_mul_f64 v[16:17], v[6:7], v[208:209]
	;; [unrolled: 5-line block ×5, first 2 shown]
	v_fmac_f64_e32 v[28:29], v[20:21], v[212:213]
	v_add_f64 v[30:31], v[26:27], v[28:29]
	ds_read_b128 v[26:29], v190 offset:944
	s_waitcnt vmcnt(58) lgkmcnt(1)
	v_mul_f64 v[32:33], v[22:23], v[236:237]
	s_waitcnt vmcnt(56)
	v_fmac_f64_e32 v[32:33], v[24:25], v[240:241]
	v_add_f64 v[34:35], v[30:31], v[32:33]
	ds_read_b128 v[30:33], v190 offset:960
	s_waitcnt lgkmcnt(1)
	v_mul_f64 v[36:37], v[26:27], v[214:215]
	v_fmac_f64_e32 v[36:37], v[28:29], v[216:217]
	v_add_f64 v[38:39], v[34:35], v[36:37]
	ds_read_b128 v[34:37], v190 offset:976
	s_waitcnt vmcnt(50) lgkmcnt(1)
	v_mul_f64 v[40:41], v[30:31], v[244:245]
	s_waitcnt vmcnt(48)
	v_fmac_f64_e32 v[40:41], v[32:33], v[248:249]
	v_add_f64 v[42:43], v[38:39], v[40:41]
	ds_read_b128 v[38:41], v190 offset:992
	s_waitcnt lgkmcnt(1)
	v_mul_f64 v[44:45], v[34:35], v[218:219]
	;; [unrolled: 11-line block ×3, first 2 shown]
	buffer_load_dword v149, off, s[0:3], 0 offset:556
	buffer_load_dword v148, off, s[0:3], 0 offset:552
	;; [unrolled: 1-line block ×4, first 2 shown]
	v_fmac_f64_e32 v[52:53], v[44:45], v[226:227]
	v_add_f64 v[118:119], v[50:51], v[52:53]
	ds_read_b128 v[50:53], v190 offset:1040
	buffer_load_dword v152, off, s[0:3], 0 offset:568
	buffer_load_dword v154, off, s[0:3], 0 offset:560
	;; [unrolled: 1-line block ×12, first 2 shown]
	s_waitcnt vmcnt(50) lgkmcnt(1)
	v_mul_f64 v[156:157], v[46:47], v[124:125]
	s_waitcnt vmcnt(48)
	v_fmac_f64_e32 v[156:157], v[48:49], v[128:129]
	v_add_f64 v[118:119], v[118:119], v[156:157]
	buffer_load_dword v156, off, s[0:3], 0 offset:632
	buffer_load_dword v169, off, s[0:3], 0 offset:620
	;; [unrolled: 1-line block ×8, first 2 shown]
	ds_read_b128 v[54:57], v190 offset:1056
	ds_read_b128 v[58:61], v190 offset:1072
	s_waitcnt lgkmcnt(2)
	v_mul_f64 v[62:63], v[50:51], v[230:231]
	v_fmac_f64_e32 v[62:63], v[52:53], v[234:235]
	v_add_f64 v[62:63], v[118:119], v[62:63]
	s_waitcnt vmcnt(50) lgkmcnt(1)
	v_mul_f64 v[64:65], v[54:55], v[132:133]
	s_waitcnt vmcnt(48)
	v_fmac_f64_e32 v[64:65], v[56:57], v[134:135]
	v_add_f64 v[62:63], v[62:63], v[64:65]
	s_waitcnt lgkmcnt(0)
	v_mul_f64 v[64:65], v[58:59], v[238:239]
	v_fmac_f64_e32 v[64:65], v[60:61], v[242:243]
	v_add_f64 v[74:75], v[62:63], v[64:65]
	ds_read_b128 v[62:65], v190 offset:1088
	v_fma_f64 v[118:119], v[86:87], v[68:69], -v[66:67]
	ds_read_b128 v[66:69], v190 offset:1104
	v_fma_f64 v[194:195], v[98:99], v[72:73], -v[70:71]
	ds_read_b128 v[70:73], v190 offset:1120
	s_waitcnt vmcnt(42) lgkmcnt(2)
	v_mul_f64 v[76:77], v[62:63], v[136:137]
	s_waitcnt vmcnt(40)
	v_fmac_f64_e32 v[76:77], v[64:65], v[138:139]
	v_add_f64 v[74:75], v[74:75], v[76:77]
	s_waitcnt lgkmcnt(1)
	v_mul_f64 v[76:77], v[66:67], v[246:247]
	v_fmac_f64_e32 v[76:77], v[68:69], v[250:251]
	v_add_f64 v[86:87], v[74:75], v[76:77]
	ds_read_b128 v[74:77], v190 offset:1136
	ds_read_b128 v[78:81], v190 offset:1152
	s_waitcnt vmcnt(34) lgkmcnt(2)
	v_mul_f64 v[88:89], v[70:71], v[140:141]
	s_waitcnt vmcnt(32)
	v_fmac_f64_e32 v[88:89], v[72:73], v[142:143]
	v_fma_f64 v[198:199], v[114:115], v[84:85], -v[82:83]
	ds_read_b128 v[82:85], v190 offset:1168
	v_add_f64 v[86:87], v[86:87], v[88:89]
	s_waitcnt lgkmcnt(2)
	v_mul_f64 v[88:89], v[74:75], v[254:255]
	v_fmac_f64_e32 v[88:89], v[76:77], v[122:123]
	v_add_f64 v[86:87], v[86:87], v[88:89]
	s_waitcnt vmcnt(26) lgkmcnt(1)
	v_mul_f64 v[88:89], v[78:79], v[144:145]
	s_waitcnt vmcnt(24)
	v_fmac_f64_e32 v[88:89], v[80:81], v[146:147]
	v_add_f64 v[86:87], v[86:87], v[88:89]
	s_waitcnt lgkmcnt(0)
	v_mul_f64 v[88:89], v[82:83], v[126:127]
	v_fmac_f64_e32 v[88:89], v[84:85], v[130:131]
	v_add_f64 v[98:99], v[86:87], v[88:89]
	ds_read_b128 v[86:89], v190 offset:1184
	ds_read_b128 v[90:93], v190 offset:1200
	v_accvgpr_write_b32 a125, v1
	v_mul_f64 v[94:95], v[178:179], v[94:95]
	v_accvgpr_write_b32 a124, v0
	v_fma_f64 v[0:1], v[176:177], v[96:97], -v[94:95]
	ds_read_b128 v[94:97], v190 offset:1216
	v_mul_f64 v[102:103], v[182:183], v[102:103]
	v_fma_f64 v[182:183], v[180:181], v[104:105], -v[102:103]
	ds_read_b128 v[102:105], v190 offset:1248
	v_mul_f64 v[106:107], v[186:187], v[106:107]
	v_fma_f64 v[186:187], v[184:185], v[108:109], -v[106:107]
	ds_read_b128 v[106:109], v190 offset:1264
	s_waitcnt vmcnt(22) lgkmcnt(4)
	v_mul_f64 v[100:101], v[86:87], v[148:149]
	s_waitcnt vmcnt(20)
	v_fmac_f64_e32 v[100:101], v[88:89], v[150:151]
	v_add_f64 v[98:99], v[98:99], v[100:101]
	s_waitcnt vmcnt(17) lgkmcnt(3)
	v_mul_f64 v[100:101], v[90:91], v[152:153]
	s_waitcnt vmcnt(16)
	v_fmac_f64_e32 v[100:101], v[92:93], v[154:155]
	v_add_f64 v[110:111], v[98:99], v[100:101]
	ds_read_b128 v[98:101], v190 offset:1232
	s_waitcnt vmcnt(14) lgkmcnt(3)
	v_mul_f64 v[112:113], v[94:95], v[158:159]
	s_waitcnt vmcnt(12)
	v_fmac_f64_e32 v[112:113], v[96:97], v[162:163]
	buffer_load_dword v173, off, s[0:3], 0 offset:652
	buffer_load_dword v172, off, s[0:3], 0 offset:648
	;; [unrolled: 1-line block ×4, first 2 shown]
	v_add_f64 v[110:111], v[110:111], v[112:113]
	s_waitcnt vmcnt(14) lgkmcnt(0)
	v_mul_f64 v[112:113], v[98:99], v[160:161]
	s_waitcnt vmcnt(12)
	v_fmac_f64_e32 v[112:113], v[100:101], v[164:165]
	v_add_f64 v[110:111], v[110:111], v[112:113]
	s_waitcnt vmcnt(9)
	v_mul_f64 v[112:113], v[102:103], v[168:169]
	s_waitcnt vmcnt(7)
	v_fmac_f64_e32 v[112:113], v[104:105], v[170:171]
	v_add_f64 v[110:111], v[110:111], v[112:113]
	s_waitcnt vmcnt(5)
	v_mul_f64 v[112:113], v[106:107], v[156:157]
	s_waitcnt vmcnt(4)
	v_fmac_f64_e32 v[112:113], v[108:109], v[166:167]
	v_add_f64 v[114:115], v[110:111], v[112:113]
	ds_read_b128 v[110:113], v190 offset:1280
	buffer_load_dword v178, off, s[0:3], 0 offset:664
	buffer_load_dword v179, off, s[0:3], 0 offset:668
	;; [unrolled: 1-line block ×4, first 2 shown]
	s_waitcnt vmcnt(6) lgkmcnt(0)
	v_mul_f64 v[116:117], v[110:111], v[172:173]
	s_waitcnt vmcnt(4)
	v_fmac_f64_e32 v[116:117], v[112:113], v[174:175]
	v_add_f64 v[176:177], v[114:115], v[116:117]
	ds_read_b128 v[114:117], v190 offset:1296
	s_waitcnt vmcnt(2) lgkmcnt(0)
	v_mul_f64 v[184:185], v[114:115], v[178:179]
	s_waitcnt vmcnt(0)
	v_fmac_f64_e32 v[184:185], v[116:117], v[180:181]
	v_add_f64 v[176:177], v[176:177], v[184:185]
	v_add_f64 v[184:185], v[188:189], 0
	;; [unrolled: 1-line block ×9, first 2 shown]
	buffer_load_dword v184, off, s[0:3], 0 offset:32
	buffer_load_dword v185, off, s[0:3], 0 offset:36
	v_add_f64 v[188:189], v[0:1], v[182:183]
	buffer_load_dword v182, off, s[0:3], 0 offset:40
	buffer_load_dword v183, off, s[0:3], 0 offset:44
	v_mul_f64 v[2:3], v[202:203], v[4:5]
	v_accvgpr_read_b32 v4, a124
	v_accvgpr_read_b32 v5, a125
	v_add_f64 v[0:1], v[188:189], v[186:187]
	v_fma_f64 v[2:3], v[200:201], v[4:5], -v[2:3]
	v_add_f64 v[0:1], v[0:1], v[2:3]
	v_mul_f64 v[2:3], v[8:9], v[208:209]
	v_fma_f64 v[2:3], v[6:7], v[224:225], -v[2:3]
	v_add_f64 v[0:1], v[0:1], v[2:3]
	v_mul_f64 v[2:3], v[12:13], v[204:205]
	;; [unrolled: 3-line block ×28, first 2 shown]
	v_fma_f64 v[2:3], v[114:115], v[180:181], -v[2:3]
	v_add_f64 v[0:1], v[0:1], v[2:3]
	s_waitcnt vmcnt(2)
	v_add_f64 v[0:1], v[184:185], -v[0:1]
	s_waitcnt vmcnt(0)
	v_add_f64 v[2:3], v[182:183], -v[176:177]
	buffer_store_dword v1, off, s[0:3], 0 offset:36
	buffer_store_dword v0, off, s[0:3], 0 offset:32
	;; [unrolled: 1-line block ×4, first 2 shown]
	v_accvgpr_read_b32 v0, a122
	v_cmp_ne_u32_e32 vcc, 0, v0
	s_and_saveexec_b64 s[4:5], vcc
	s_cbranch_execz .LBB104_259
; %bb.258:
	buffer_load_dword v0, off, s[0:3], 0 offset:16
	buffer_load_dword v1, off, s[0:3], 0 offset:20
	;; [unrolled: 1-line block ×4, first 2 shown]
	v_accvgpr_read_b32 v4, a123
	buffer_store_dword v190, off, s[0:3], 0 offset:16
	buffer_store_dword v190, off, s[0:3], 0 offset:20
	;; [unrolled: 1-line block ×4, first 2 shown]
	s_waitcnt vmcnt(4)
	ds_write_b128 v4, v[0:3]
.LBB104_259:
	s_or_b64 exec, exec, s[4:5]
	s_waitcnt lgkmcnt(0)
	; wave barrier
	s_waitcnt lgkmcnt(0)
	buffer_load_dword v62, off, s[0:3], 0 offset:32
	buffer_load_dword v63, off, s[0:3], 0 offset:36
	;; [unrolled: 1-line block ×42, first 2 shown]
	ds_read_b128 v[84:87], v190 offset:672
	ds_read_b128 v[96:99], v190 offset:688
	;; [unrolled: 1-line block ×10, first 2 shown]
	buffer_load_dword v115, off, s[0:3], 0 offset:180
	buffer_load_dword v114, off, s[0:3], 0 offset:176
	ds_read_b128 v[104:107], v190 offset:832
	buffer_load_dword v5, off, s[0:3], 0 offset:236
	buffer_load_dword v4, off, s[0:3], 0 offset:232
	;; [unrolled: 1-line block ×80, first 2 shown]
	ds_read_b128 v[116:119], v190 offset:848
	ds_read_b128 v[148:151], v190 offset:864
	s_and_b64 vcc, exec, s[16:17]
	s_waitcnt vmcnt(62) lgkmcnt(11)
	v_mul_f64 v[6:7], v[96:97], v[168:169]
	v_fmac_f64_e32 v[6:7], v[98:99], v[58:59]
	s_waitcnt lgkmcnt(10)
	v_mul_f64 v[8:9], v[172:173], v[56:57]
	v_mul_f64 v[56:57], v[174:175], v[56:57]
	s_waitcnt lgkmcnt(8)
	v_mul_f64 v[12:13], v[180:181], v[68:69]
	v_mul_f64 v[68:69], v[182:183], v[68:69]
	v_fmac_f64_e32 v[12:13], v[182:183], v[70:71]
	v_fma_f64 v[182:183], v[180:181], v[70:71], -v[68:69]
	v_mul_f64 v[10:11], v[176:177], v[66:67]
	s_waitcnt lgkmcnt(6)
	v_mul_f64 v[16:17], v[192:193], v[80:81]
	v_mul_f64 v[80:81], v[194:195], v[80:81]
	v_fmac_f64_e32 v[16:17], v[194:195], v[82:83]
	v_mul_f64 v[14:15], v[184:185], v[76:77]
	v_mul_f64 v[76:77], v[186:187], v[76:77]
	s_waitcnt lgkmcnt(4)
	v_mul_f64 v[20:21], v[0:1], v[92:93]
	v_mul_f64 v[18:19], v[196:197], v[88:89]
	;; [unrolled: 1-line block ×3, first 2 shown]
	s_waitcnt lgkmcnt(3)
	v_mul_f64 v[22:23], v[100:101], v[108:109]
	v_fmac_f64_e32 v[8:9], v[174:175], v[74:75]
	v_fmac_f64_e32 v[10:11], v[178:179], v[72:73]
	;; [unrolled: 1-line block ×3, first 2 shown]
	v_fma_f64 v[184:185], v[184:185], v[78:79], -v[76:77]
	v_fmac_f64_e32 v[18:19], v[198:199], v[90:91]
	v_fmac_f64_e32 v[20:21], v[2:3], v[94:95]
	v_fma_f64 v[196:197], v[196:197], v[90:91], -v[88:89]
	v_mul_f64 v[2:3], v[2:3], v[92:93]
	v_fma_f64 v[198:199], v[0:1], v[94:95], -v[2:3]
	v_fmac_f64_e32 v[22:23], v[102:103], v[114:115]
	v_pk_mov_b32 v[24:25], v[4:5], v[4:5] op_sel:[0,1]
	v_mul_f64 v[4:5], v[84:85], v[64:65]
	v_fmac_f64_e32 v[4:5], v[86:87], v[62:63]
	v_add_f64 v[4:5], v[4:5], 0
	v_add_f64 v[4:5], v[4:5], v[6:7]
	;; [unrolled: 1-line block ×9, first 2 shown]
	s_waitcnt lgkmcnt(2)
	v_mul_f64 v[6:7], v[104:105], v[110:111]
	v_add_f64 v[4:5], v[4:5], v[22:23]
	v_fmac_f64_e32 v[6:7], v[106:107], v[112:113]
	s_waitcnt lgkmcnt(1)
	v_mul_f64 v[10:11], v[116:117], v[202:203]
	v_add_f64 v[8:9], v[4:5], v[6:7]
	v_fmac_f64_e32 v[10:11], v[118:119], v[218:219]
	v_add_f64 v[12:13], v[8:9], v[10:11]
	ds_read_b128 v[8:11], v190 offset:880
	s_waitcnt lgkmcnt(1)
	v_mul_f64 v[14:15], v[148:149], v[24:25]
	v_fmac_f64_e32 v[14:15], v[150:151], v[254:255]
	v_add_f64 v[16:17], v[12:13], v[14:15]
	ds_read_b128 v[12:15], v190 offset:896
	s_waitcnt lgkmcnt(1)
	v_mul_f64 v[18:19], v[8:9], v[222:223]
	;; [unrolled: 5-line block ×3, first 2 shown]
	v_accvgpr_write_b32 a123, v25
	v_fmac_f64_e32 v[22:23], v[14:15], v[206:207]
	v_accvgpr_write_b32 a122, v24
	v_add_f64 v[24:25], v[20:21], v[22:23]
	ds_read_b128 v[20:23], v190 offset:928
	s_waitcnt vmcnt(58) lgkmcnt(1)
	v_mul_f64 v[26:27], v[16:17], v[230:231]
	s_waitcnt vmcnt(56)
	v_fmac_f64_e32 v[26:27], v[18:19], v[234:235]
	v_add_f64 v[28:29], v[24:25], v[26:27]
	ds_read_b128 v[24:27], v190 offset:944
	s_waitcnt lgkmcnt(1)
	v_mul_f64 v[30:31], v[20:21], v[208:209]
	v_fmac_f64_e32 v[30:31], v[22:23], v[210:211]
	v_add_f64 v[32:33], v[28:29], v[30:31]
	ds_read_b128 v[28:31], v190 offset:960
	s_waitcnt vmcnt(50) lgkmcnt(1)
	v_mul_f64 v[34:35], v[24:25], v[238:239]
	s_waitcnt vmcnt(48)
	v_fmac_f64_e32 v[34:35], v[26:27], v[242:243]
	v_add_f64 v[36:37], v[32:33], v[34:35]
	ds_read_b128 v[32:35], v190 offset:976
	s_waitcnt lgkmcnt(1)
	v_mul_f64 v[38:39], v[28:29], v[212:213]
	v_fmac_f64_e32 v[38:39], v[30:31], v[214:215]
	;; [unrolled: 11-line block ×3, first 2 shown]
	v_add_f64 v[48:49], v[44:45], v[46:47]
	ds_read_b128 v[44:47], v190 offset:1024
	s_waitcnt vmcnt(34) lgkmcnt(1)
	v_mul_f64 v[50:51], v[40:41], v[128:129]
	buffer_load_dword v7, off, s[0:3], 0 offset:540
	buffer_load_dword v6, off, s[0:3], 0 offset:536
	buffer_load_dword v121, off, s[0:3], 0 offset:532
	buffer_load_dword v120, off, s[0:3], 0 offset:528
	s_waitcnt vmcnt(36)
	v_fmac_f64_e32 v[50:51], v[42:43], v[132:133]
	v_add_f64 v[52:53], v[48:49], v[50:51]
	ds_read_b128 v[48:51], v190 offset:1040
	buffer_load_dword v154, off, s[0:3], 0 offset:552
	buffer_load_dword v156, off, s[0:3], 0 offset:544
	;; [unrolled: 1-line block ×12, first 2 shown]
	s_waitcnt lgkmcnt(1)
	v_mul_f64 v[54:55], v[44:45], v[224:225]
	v_fmac_f64_e32 v[54:55], v[46:47], v[228:229]
	v_add_f64 v[188:189], v[52:53], v[54:55]
	ds_read_b128 v[52:55], v190 offset:1056
	buffer_load_dword v165, off, s[0:3], 0 offset:604
	buffer_load_dword v164, off, s[0:3], 0 offset:600
	;; [unrolled: 1-line block ×4, first 2 shown]
	v_mul_f64 v[64:65], v[86:87], v[64:65]
	v_fma_f64 v[4:5], v[84:85], v[62:63], -v[64:65]
	v_mul_f64 v[62:63], v[98:99], v[168:169]
	v_fma_f64 v[84:85], v[96:97], v[58:59], -v[62:63]
	buffer_load_dword v168, off, s[0:3], 0 offset:616
	buffer_load_dword v170, off, s[0:3], 0 offset:608
	;; [unrolled: 1-line block ×8, first 2 shown]
	v_fma_f64 v[86:87], v[172:173], v[74:75], -v[56:57]
	ds_read_b128 v[56:59], v190 offset:1072
	s_waitcnt vmcnt(54) lgkmcnt(2)
	v_mul_f64 v[60:61], v[48:49], v[246:247]
	s_waitcnt vmcnt(52)
	v_fmac_f64_e32 v[60:61], v[50:51], v[136:137]
	s_waitcnt lgkmcnt(1)
	v_mul_f64 v[62:63], v[52:53], v[232:233]
	v_add_f64 v[60:61], v[188:189], v[60:61]
	v_fmac_f64_e32 v[62:63], v[54:55], v[236:237]
	v_mul_f64 v[64:65], v[178:179], v[66:67]
	v_add_f64 v[60:61], v[60:61], v[62:63]
	v_fma_f64 v[188:189], v[176:177], v[72:73], -v[64:65]
	ds_read_b128 v[64:67], v190 offset:1104
	s_waitcnt vmcnt(46) lgkmcnt(1)
	v_mul_f64 v[62:63], v[56:57], v[138:139]
	s_waitcnt vmcnt(44)
	v_fmac_f64_e32 v[62:63], v[58:59], v[140:141]
	v_add_f64 v[74:75], v[60:61], v[62:63]
	ds_read_b128 v[60:63], v190 offset:1088
	ds_read_b128 v[68:71], v190 offset:1120
	ds_read_b128 v[76:79], v190 offset:1152
	v_fma_f64 v[176:177], v[192:193], v[82:83], -v[80:81]
	ds_read_b128 v[80:83], v190 offset:1168
	ds_read_b128 v[192:195], v190 offset:1184
	s_waitcnt lgkmcnt(4)
	v_mul_f64 v[72:73], v[60:61], v[240:241]
	v_fmac_f64_e32 v[72:73], v[62:63], v[200:201]
	v_add_f64 v[72:73], v[74:75], v[72:73]
	s_waitcnt vmcnt(38)
	v_mul_f64 v[74:75], v[64:65], v[142:143]
	s_waitcnt vmcnt(36)
	v_fmac_f64_e32 v[74:75], v[66:67], v[144:145]
	v_add_f64 v[72:73], v[72:73], v[74:75]
	s_waitcnt lgkmcnt(3)
	v_mul_f64 v[74:75], v[68:69], v[122:123]
	v_fmac_f64_e32 v[74:75], v[70:71], v[126:127]
	v_add_f64 v[96:97], v[72:73], v[74:75]
	ds_read_b128 v[72:75], v190 offset:1136
	ds_read_b128 v[88:91], v190 offset:1200
	;; [unrolled: 1-line block ×3, first 2 shown]
	buffer_load_dword v172, off, s[0:3], 0 offset:648
	v_add_f64 v[4:5], v[4:5], 0
	s_waitcnt vmcnt(31) lgkmcnt(2)
	v_mul_f64 v[98:99], v[72:73], v[146:147]
	s_waitcnt vmcnt(29)
	v_fmac_f64_e32 v[98:99], v[74:75], v[248:249]
	v_add_f64 v[96:97], v[96:97], v[98:99]
	v_mul_f64 v[98:99], v[76:77], v[130:131]
	v_fmac_f64_e32 v[98:99], v[78:79], v[134:135]
	v_add_f64 v[96:97], v[96:97], v[98:99]
	v_add_f64 v[4:5], v[4:5], v[84:85]
	;; [unrolled: 1-line block ×9, first 2 shown]
	s_waitcnt vmcnt(27)
	v_mul_f64 v[98:99], v[80:81], v[6:7]
	s_waitcnt vmcnt(25)
	v_fmac_f64_e32 v[98:99], v[82:83], v[120:121]
	v_add_f64 v[96:97], v[96:97], v[98:99]
	s_waitcnt vmcnt(18) lgkmcnt(1)
	v_mul_f64 v[2:3], v[88:89], v[158:159]
	v_mul_f64 v[98:99], v[192:193], v[154:155]
	v_fmac_f64_e32 v[98:99], v[194:195], v[156:157]
	v_add_f64 v[0:1], v[96:97], v[98:99]
	ds_read_b128 v[96:99], v190 offset:1232
	s_waitcnt vmcnt(16)
	v_fmac_f64_e32 v[2:3], v[90:91], v[162:163]
	v_add_f64 v[0:1], v[0:1], v[2:3]
	s_waitcnt vmcnt(15) lgkmcnt(1)
	v_mul_f64 v[2:3], v[92:93], v[152:153]
	s_waitcnt vmcnt(13)
	v_fmac_f64_e32 v[2:3], v[94:95], v[160:161]
	v_add_f64 v[0:1], v[0:1], v[2:3]
	v_mul_f64 v[2:3], v[102:103], v[108:109]
	v_fma_f64 v[186:187], v[100:101], v[114:115], -v[2:3]
	ds_read_b128 v[100:103], v190 offset:1248
	s_waitcnt vmcnt(11) lgkmcnt(1)
	v_mul_f64 v[2:3], v[96:97], v[164:165]
	s_waitcnt vmcnt(9)
	v_fmac_f64_e32 v[2:3], v[98:99], v[166:167]
	v_add_f64 v[2:3], v[0:1], v[2:3]
	v_mul_f64 v[0:1], v[106:107], v[110:111]
	v_fma_f64 v[0:1], v[104:105], v[112:113], -v[0:1]
	ds_read_b128 v[104:107], v190 offset:1264
	buffer_load_dword v174, off, s[0:3], 0 offset:640
	buffer_load_dword v173, off, s[0:3], 0 offset:652
	;; [unrolled: 1-line block ×3, first 2 shown]
	s_waitcnt vmcnt(9) lgkmcnt(1)
	v_mul_f64 v[108:109], v[100:101], v[168:169]
	s_waitcnt vmcnt(8)
	v_fmac_f64_e32 v[108:109], v[102:103], v[170:171]
	v_add_f64 v[2:3], v[2:3], v[108:109]
	s_waitcnt vmcnt(6) lgkmcnt(0)
	v_mul_f64 v[108:109], v[104:105], v[250:251]
	s_waitcnt vmcnt(4)
	v_fmac_f64_e32 v[108:109], v[106:107], v[252:253]
	v_add_f64 v[2:3], v[2:3], v[108:109]
	ds_read_b128 v[108:111], v190 offset:1280
	buffer_load_dword v179, off, s[0:3], 0 offset:668
	buffer_load_dword v178, off, s[0:3], 0 offset:664
	;; [unrolled: 1-line block ×4, first 2 shown]
	v_add_f64 v[4:5], v[188:189], v[186:187]
	v_add_f64 v[0:1], v[4:5], v[0:1]
	v_mul_f64 v[4:5], v[118:119], v[202:203]
	v_fma_f64 v[4:5], v[116:117], v[218:219], -v[4:5]
	v_add_f64 v[0:1], v[0:1], v[4:5]
	v_accvgpr_read_b32 v4, a122
	v_accvgpr_read_b32 v5, a123
	v_mul_f64 v[4:5], v[150:151], v[4:5]
	v_fma_f64 v[4:5], v[148:149], v[254:255], -v[4:5]
	v_add_f64 v[0:1], v[0:1], v[4:5]
	v_mul_f64 v[4:5], v[10:11], v[222:223]
	v_fma_f64 v[4:5], v[8:9], v[226:227], -v[4:5]
	v_add_f64 v[0:1], v[0:1], v[4:5]
	;; [unrolled: 3-line block ×21, first 2 shown]
	s_waitcnt vmcnt(5) lgkmcnt(0)
	v_mul_f64 v[112:113], v[108:109], v[172:173]
	s_waitcnt vmcnt(4)
	v_fmac_f64_e32 v[112:113], v[110:111], v[174:175]
	v_add_f64 v[2:3], v[2:3], v[112:113]
	ds_read_b128 v[112:115], v190 offset:1296
	buffer_load_dword v184, off, s[0:3], 0 offset:16
	buffer_load_dword v185, off, s[0:3], 0 offset:20
	;; [unrolled: 1-line block ×4, first 2 shown]
	v_mul_f64 v[4:5], v[90:91], v[158:159]
	v_fma_f64 v[4:5], v[88:89], v[162:163], -v[4:5]
	v_add_f64 v[0:1], v[0:1], v[4:5]
	v_mul_f64 v[4:5], v[94:95], v[152:153]
	v_fma_f64 v[4:5], v[92:93], v[160:161], -v[4:5]
	v_add_f64 v[0:1], v[0:1], v[4:5]
	;; [unrolled: 3-line block ×6, first 2 shown]
	s_waitcnt vmcnt(6) lgkmcnt(0)
	v_mul_f64 v[4:5], v[114:115], v[178:179]
	v_mul_f64 v[190:191], v[112:113], v[178:179]
	s_waitcnt vmcnt(4)
	v_fma_f64 v[4:5], v[112:113], v[180:181], -v[4:5]
	v_fmac_f64_e32 v[190:191], v[114:115], v[180:181]
	v_add_f64 v[0:1], v[0:1], v[4:5]
	v_add_f64 v[2:3], v[2:3], v[190:191]
	s_waitcnt vmcnt(2)
	v_add_f64 v[0:1], v[184:185], -v[0:1]
	s_waitcnt vmcnt(0)
	v_add_f64 v[2:3], v[182:183], -v[2:3]
	buffer_store_dword v1, off, s[0:3], 0 offset:20
	buffer_store_dword v0, off, s[0:3], 0 offset:16
	;; [unrolled: 1-line block ×4, first 2 shown]
	s_cbranch_vccz .LBB104_341
; %bb.260:
	v_pk_mov_b32 v[0:1], s[10:11], s[10:11] op_sel:[0,1]
	flat_load_dword v0, v[0:1] offset:156
	s_waitcnt vmcnt(0) lgkmcnt(0)
	v_add_u32_e32 v0, -1, v0
	v_cmp_ne_u32_e32 vcc, 39, v0
	s_and_saveexec_b64 s[4:5], vcc
	s_cbranch_execz .LBB104_262
; %bb.261:
	v_mov_b32_e32 v1, 16
	v_accvgpr_read_b32 v9, a83
	v_lshl_add_u32 v0, v0, 4, v1
	buffer_load_dword v1, v9, s[0:3], 0 offen offset:4
	buffer_load_dword v2, v9, s[0:3], 0 offen offset:8
	buffer_load_dword v3, v9, s[0:3], 0 offen offset:12
	buffer_load_dword v4, v0, s[0:3], 0 offen
	buffer_load_dword v5, v0, s[0:3], 0 offen offset:4
	buffer_load_dword v6, v0, s[0:3], 0 offen offset:8
	buffer_load_dword v7, v0, s[0:3], 0 offen offset:12
	buffer_load_dword v8, v9, s[0:3], 0 offen
	s_waitcnt vmcnt(4)
	buffer_store_dword v4, v9, s[0:3], 0 offen
	s_waitcnt vmcnt(4)
	buffer_store_dword v5, v9, s[0:3], 0 offen offset:4
	s_waitcnt vmcnt(4)
	buffer_store_dword v6, v9, s[0:3], 0 offen offset:8
	s_waitcnt vmcnt(4)
	buffer_store_dword v7, v9, s[0:3], 0 offen offset:12
	buffer_store_dword v3, v0, s[0:3], 0 offen offset:12
	buffer_store_dword v2, v0, s[0:3], 0 offen offset:8
	buffer_store_dword v1, v0, s[0:3], 0 offen offset:4
	s_waitcnt vmcnt(7)
	buffer_store_dword v8, v0, s[0:3], 0 offen
.LBB104_262:
	s_or_b64 exec, exec, s[4:5]
	v_pk_mov_b32 v[0:1], s[10:11], s[10:11] op_sel:[0,1]
	flat_load_dword v0, v[0:1] offset:152
	s_waitcnt vmcnt(0) lgkmcnt(0)
	v_add_u32_e32 v0, -1, v0
	v_cmp_ne_u32_e32 vcc, 38, v0
	s_and_saveexec_b64 s[4:5], vcc
	s_cbranch_execz .LBB104_264
; %bb.263:
	v_mov_b32_e32 v1, 16
	v_accvgpr_read_b32 v9, a84
	v_lshl_add_u32 v0, v0, 4, v1
	buffer_load_dword v1, v9, s[0:3], 0 offen offset:4
	buffer_load_dword v2, v9, s[0:3], 0 offen offset:8
	buffer_load_dword v3, v9, s[0:3], 0 offen offset:12
	buffer_load_dword v4, v0, s[0:3], 0 offen
	buffer_load_dword v5, v0, s[0:3], 0 offen offset:4
	buffer_load_dword v6, v0, s[0:3], 0 offen offset:8
	buffer_load_dword v7, v0, s[0:3], 0 offen offset:12
	buffer_load_dword v8, v9, s[0:3], 0 offen
	s_waitcnt vmcnt(4)
	buffer_store_dword v4, v9, s[0:3], 0 offen
	s_waitcnt vmcnt(4)
	buffer_store_dword v5, v9, s[0:3], 0 offen offset:4
	s_waitcnt vmcnt(4)
	buffer_store_dword v6, v9, s[0:3], 0 offen offset:8
	s_waitcnt vmcnt(4)
	buffer_store_dword v7, v9, s[0:3], 0 offen offset:12
	buffer_store_dword v3, v0, s[0:3], 0 offen offset:12
	buffer_store_dword v2, v0, s[0:3], 0 offen offset:8
	buffer_store_dword v1, v0, s[0:3], 0 offen offset:4
	s_waitcnt vmcnt(7)
	buffer_store_dword v8, v0, s[0:3], 0 offen
.LBB104_264:
	s_or_b64 exec, exec, s[4:5]
	;; [unrolled: 34-line block ×39, first 2 shown]
	v_pk_mov_b32 v[0:1], s[10:11], s[10:11] op_sel:[0,1]
	flat_load_dword v0, v[0:1]
	s_waitcnt vmcnt(0) lgkmcnt(0)
	v_add_u32_e32 v0, -1, v0
	v_cmp_ne_u32_e32 vcc, 0, v0
	s_and_saveexec_b64 s[4:5], vcc
	s_cbranch_execz .LBB104_340
; %bb.339:
	v_mov_b32_e32 v1, 16
	v_lshl_add_u32 v0, v0, 4, v1
	buffer_load_dword v1, v0, s[0:3], 0 offen
	buffer_load_dword v2, v0, s[0:3], 0 offen offset:4
	buffer_load_dword v3, v0, s[0:3], 0 offen offset:8
	;; [unrolled: 1-line block ×3, first 2 shown]
	buffer_load_dword v5, off, s[0:3], 0 offset:28
	buffer_load_dword v6, off, s[0:3], 0 offset:24
	;; [unrolled: 1-line block ×4, first 2 shown]
	s_waitcnt vmcnt(7)
	buffer_store_dword v1, off, s[0:3], 0 offset:16
	s_waitcnt vmcnt(7)
	buffer_store_dword v2, off, s[0:3], 0 offset:20
	;; [unrolled: 2-line block ×4, first 2 shown]
	s_waitcnt vmcnt(7)
	buffer_store_dword v5, v0, s[0:3], 0 offen offset:12
	s_waitcnt vmcnt(7)
	buffer_store_dword v6, v0, s[0:3], 0 offen offset:8
	;; [unrolled: 2-line block ×3, first 2 shown]
	s_waitcnt vmcnt(7)
	buffer_store_dword v8, v0, s[0:3], 0 offen
.LBB104_340:
	s_or_b64 exec, exec, s[4:5]
.LBB104_341:
	buffer_load_dword v0, off, s[0:3], 0 offset:16
	buffer_load_dword v1, off, s[0:3], 0 offset:20
	buffer_load_dword v2, off, s[0:3], 0 offset:24
	buffer_load_dword v3, off, s[0:3], 0 offset:28
	v_accvgpr_read_b32 v7, a121
	buffer_load_dword v4, v7, s[0:3], 0 offen
	buffer_load_dword v5, v7, s[0:3], 0 offen offset:4
	buffer_load_dword v6, v7, s[0:3], 0 offen offset:8
	s_nop 0
	buffer_load_dword v7, v7, s[0:3], 0 offen offset:12
	v_accvgpr_read_b32 v8, a120
	buffer_load_dword v9, v8, s[0:3], 0 offen offset:4
	buffer_load_dword v10, v8, s[0:3], 0 offen offset:8
	buffer_load_dword v11, v8, s[0:3], 0 offen offset:12
	v_accvgpr_read_b32 v15, a119
	buffer_load_dword v12, v15, s[0:3], 0 offen
	buffer_load_dword v13, v15, s[0:3], 0 offen offset:4
	buffer_load_dword v14, v15, s[0:3], 0 offen offset:8
	s_nop 0
	buffer_load_dword v8, v8, s[0:3], 0 offen
	s_nop 0
	buffer_load_dword v15, v15, s[0:3], 0 offen offset:12
	v_accvgpr_read_b32 v16, a118
	buffer_load_dword v17, v16, s[0:3], 0 offen offset:4
	buffer_load_dword v18, v16, s[0:3], 0 offen offset:8
	buffer_load_dword v19, v16, s[0:3], 0 offen offset:12
	v_accvgpr_read_b32 v23, a117
	buffer_load_dword v20, v23, s[0:3], 0 offen
	buffer_load_dword v21, v23, s[0:3], 0 offen offset:4
	buffer_load_dword v22, v23, s[0:3], 0 offen offset:8
	s_nop 0
	buffer_load_dword v16, v16, s[0:3], 0 offen
	;; [unrolled: 12-line block ×19, first 2 shown]
	s_nop 0
	buffer_load_dword v159, v159, s[0:3], 0 offen offset:12
	v_accvgpr_read_b32 v165, a1
	v_accvgpr_read_b32 v163, a82
	v_accvgpr_read_b32 v164, a0
	buffer_load_dword v160, v163, s[0:3], 0 offen
	buffer_load_dword v161, v163, s[0:3], 0 offen offset:4
	buffer_load_dword v162, v163, s[0:3], 0 offen offset:8
	s_nop 0
	buffer_load_dword v163, v163, s[0:3], 0 offen offset:12
	s_waitcnt vmcnt(62)
	global_store_dwordx4 v[164:165], v[0:3], off
	s_nop 0
	v_accvgpr_read_b32 v0, a2
	v_accvgpr_read_b32 v1, a3
	global_store_dwordx4 v[0:1], v[4:7], off
	v_accvgpr_read_b32 v0, a4
	v_accvgpr_read_b32 v1, a5
	global_store_dwordx4 v[0:1], v[8:11], off
	;; [unrolled: 3-line block ×23, first 2 shown]
	v_accvgpr_read_b32 v0, a48
	v_accvgpr_read_b32 v1, a49
	s_waitcnt vmcnt(62)
	global_store_dwordx4 v[0:1], v[96:99], off
	v_accvgpr_read_b32 v0, a50
	v_accvgpr_read_b32 v1, a51
	global_store_dwordx4 v[0:1], v[100:103], off
	v_accvgpr_read_b32 v0, a52
	v_accvgpr_read_b32 v1, a53
	global_store_dwordx4 v[0:1], v[104:107], off
	v_accvgpr_read_b32 v0, a54
	v_accvgpr_read_b32 v1, a55
	global_store_dwordx4 v[0:1], v[108:111], off
	v_accvgpr_read_b32 v0, a56
	v_accvgpr_read_b32 v1, a57
	global_store_dwordx4 v[0:1], v[112:115], off
	v_accvgpr_read_b32 v0, a58
	v_accvgpr_read_b32 v1, a59
	global_store_dwordx4 v[0:1], v[116:119], off
	v_accvgpr_read_b32 v0, a60
	v_accvgpr_read_b32 v1, a61
	s_waitcnt vmcnt(62)
	global_store_dwordx4 v[0:1], v[120:123], off
	v_accvgpr_read_b32 v0, a62
	v_accvgpr_read_b32 v1, a63
	global_store_dwordx4 v[0:1], v[124:127], off
	v_accvgpr_read_b32 v0, a64
	v_accvgpr_read_b32 v1, a65
	s_waitcnt vmcnt(61)
	global_store_dwordx4 v[0:1], v[128:131], off
	v_accvgpr_read_b32 v0, a66
	v_accvgpr_read_b32 v1, a67
	s_waitcnt vmcnt(61)
	;; [unrolled: 4-line block ×9, first 2 shown]
	global_store_dwordx4 v[0:1], v[160:163], off
	s_endpgm
	.section	.rodata,"a",@progbits
	.p2align	6, 0x0
	.amdhsa_kernel _ZN9rocsolver6v33100L18getri_kernel_smallILi41E19rocblas_complex_numIdEPKPS3_EEvT1_iilPiilS8_bb
		.amdhsa_group_segment_fixed_size 1320
		.amdhsa_private_segment_fixed_size 688
		.amdhsa_kernarg_size 60
		.amdhsa_user_sgpr_count 8
		.amdhsa_user_sgpr_private_segment_buffer 1
		.amdhsa_user_sgpr_dispatch_ptr 0
		.amdhsa_user_sgpr_queue_ptr 0
		.amdhsa_user_sgpr_kernarg_segment_ptr 1
		.amdhsa_user_sgpr_dispatch_id 0
		.amdhsa_user_sgpr_flat_scratch_init 1
		.amdhsa_user_sgpr_kernarg_preload_length 0
		.amdhsa_user_sgpr_kernarg_preload_offset 0
		.amdhsa_user_sgpr_private_segment_size 0
		.amdhsa_uses_dynamic_stack 0
		.amdhsa_system_sgpr_private_segment_wavefront_offset 1
		.amdhsa_system_sgpr_workgroup_id_x 1
		.amdhsa_system_sgpr_workgroup_id_y 0
		.amdhsa_system_sgpr_workgroup_id_z 0
		.amdhsa_system_sgpr_workgroup_info 0
		.amdhsa_system_vgpr_workitem_id 0
		.amdhsa_next_free_vgpr 382
		.amdhsa_next_free_sgpr 22
		.amdhsa_accum_offset 256
		.amdhsa_reserve_vcc 1
		.amdhsa_reserve_flat_scratch 1
		.amdhsa_float_round_mode_32 0
		.amdhsa_float_round_mode_16_64 0
		.amdhsa_float_denorm_mode_32 3
		.amdhsa_float_denorm_mode_16_64 3
		.amdhsa_dx10_clamp 1
		.amdhsa_ieee_mode 1
		.amdhsa_fp16_overflow 0
		.amdhsa_tg_split 0
		.amdhsa_exception_fp_ieee_invalid_op 0
		.amdhsa_exception_fp_denorm_src 0
		.amdhsa_exception_fp_ieee_div_zero 0
		.amdhsa_exception_fp_ieee_overflow 0
		.amdhsa_exception_fp_ieee_underflow 0
		.amdhsa_exception_fp_ieee_inexact 0
		.amdhsa_exception_int_div_zero 0
	.end_amdhsa_kernel
	.section	.text._ZN9rocsolver6v33100L18getri_kernel_smallILi41E19rocblas_complex_numIdEPKPS3_EEvT1_iilPiilS8_bb,"axG",@progbits,_ZN9rocsolver6v33100L18getri_kernel_smallILi41E19rocblas_complex_numIdEPKPS3_EEvT1_iilPiilS8_bb,comdat
.Lfunc_end104:
	.size	_ZN9rocsolver6v33100L18getri_kernel_smallILi41E19rocblas_complex_numIdEPKPS3_EEvT1_iilPiilS8_bb, .Lfunc_end104-_ZN9rocsolver6v33100L18getri_kernel_smallILi41E19rocblas_complex_numIdEPKPS3_EEvT1_iilPiilS8_bb
                                        ; -- End function
	.section	.AMDGPU.csdata,"",@progbits
; Kernel info:
; codeLenInByte = 110908
; NumSgprs: 28
; NumVgprs: 256
; NumAgprs: 126
; TotalNumVgprs: 382
; ScratchSize: 688
; MemoryBound: 0
; FloatMode: 240
; IeeeMode: 1
; LDSByteSize: 1320 bytes/workgroup (compile time only)
; SGPRBlocks: 3
; VGPRBlocks: 47
; NumSGPRsForWavesPerEU: 28
; NumVGPRsForWavesPerEU: 382
; AccumOffset: 256
; Occupancy: 1
; WaveLimiterHint : 1
; COMPUTE_PGM_RSRC2:SCRATCH_EN: 1
; COMPUTE_PGM_RSRC2:USER_SGPR: 8
; COMPUTE_PGM_RSRC2:TRAP_HANDLER: 0
; COMPUTE_PGM_RSRC2:TGID_X_EN: 1
; COMPUTE_PGM_RSRC2:TGID_Y_EN: 0
; COMPUTE_PGM_RSRC2:TGID_Z_EN: 0
; COMPUTE_PGM_RSRC2:TIDIG_COMP_CNT: 0
; COMPUTE_PGM_RSRC3_GFX90A:ACCUM_OFFSET: 63
; COMPUTE_PGM_RSRC3_GFX90A:TG_SPLIT: 0
	.section	.text._ZN9rocsolver6v33100L18getri_kernel_smallILi42E19rocblas_complex_numIdEPKPS3_EEvT1_iilPiilS8_bb,"axG",@progbits,_ZN9rocsolver6v33100L18getri_kernel_smallILi42E19rocblas_complex_numIdEPKPS3_EEvT1_iilPiilS8_bb,comdat
	.globl	_ZN9rocsolver6v33100L18getri_kernel_smallILi42E19rocblas_complex_numIdEPKPS3_EEvT1_iilPiilS8_bb ; -- Begin function _ZN9rocsolver6v33100L18getri_kernel_smallILi42E19rocblas_complex_numIdEPKPS3_EEvT1_iilPiilS8_bb
	.p2align	8
	.type	_ZN9rocsolver6v33100L18getri_kernel_smallILi42E19rocblas_complex_numIdEPKPS3_EEvT1_iilPiilS8_bb,@function
_ZN9rocsolver6v33100L18getri_kernel_smallILi42E19rocblas_complex_numIdEPKPS3_EEvT1_iilPiilS8_bb: ; @_ZN9rocsolver6v33100L18getri_kernel_smallILi42E19rocblas_complex_numIdEPKPS3_EEvT1_iilPiilS8_bb
; %bb.0:
	s_add_u32 flat_scratch_lo, s6, s9
	s_addc_u32 flat_scratch_hi, s7, 0
	s_add_u32 s0, s0, s9
	v_mov_b32_e32 v118, v0
	s_addc_u32 s1, s1, 0
	v_cmp_gt_u32_e32 vcc, 42, v118
	s_and_saveexec_b64 s[6:7], vcc
	s_cbranch_execz .LBB105_182
; %bb.1:
	s_load_dword s18, s[4:5], 0x38
	s_load_dwordx2 s[6:7], s[4:5], 0x0
	s_load_dwordx4 s[12:15], s[4:5], 0x28
	s_waitcnt lgkmcnt(0)
	s_bitcmp1_b32 s18, 8
	s_cselect_b64 s[16:17], -1, 0
	s_ashr_i32 s9, s8, 31
	s_lshl_b64 s[10:11], s[8:9], 3
	s_add_u32 s6, s6, s10
	s_addc_u32 s7, s7, s11
	s_load_dwordx2 s[6:7], s[6:7], 0x0
	s_bfe_u32 s10, s18, 0x10008
	s_cmp_eq_u32 s10, 0
                                        ; implicit-def: $sgpr10_sgpr11
	s_cbranch_scc1 .LBB105_3
; %bb.2:
	s_load_dword s10, s[4:5], 0x20
	s_load_dwordx2 s[20:21], s[4:5], 0x18
	s_mul_i32 s11, s8, s13
	s_mul_hi_u32 s13, s8, s12
	s_add_i32 s13, s13, s11
	s_mul_i32 s19, s9, s12
	s_add_i32 s13, s13, s19
	s_mul_i32 s12, s8, s12
	s_waitcnt lgkmcnt(0)
	s_ashr_i32 s11, s10, 31
	s_lshl_b64 s[12:13], s[12:13], 2
	s_add_u32 s12, s20, s12
	s_addc_u32 s13, s21, s13
	s_lshl_b64 s[10:11], s[10:11], 2
	s_add_u32 s10, s12, s10
	s_addc_u32 s11, s13, s11
.LBB105_3:
	s_load_dwordx2 s[4:5], s[4:5], 0x8
	v_lshlrev_b32_e32 v1, 4, v118
	s_waitcnt lgkmcnt(0)
	s_ashr_i32 s13, s4, 31
	s_mov_b32 s12, s4
	s_lshl_b64 s[12:13], s[12:13], 4
	s_add_u32 s6, s6, s12
	s_addc_u32 s7, s7, s13
	s_add_i32 s4, s5, s5
	v_add_u32_e32 v2, s4, v118
	v_add_u32_e32 v4, s5, v2
	;; [unrolled: 1-line block ×30, first 2 shown]
	s_mov_b32 s20, s5
	s_ashr_i32 s21, s5, 31
	v_mov_b32_e32 v5, s7
	v_add_co_u32_e32 v16, vcc, s6, v1
	v_add_u32_e32 v30, s5, v32
	global_load_dwordx4 v[10:13], v1, s[6:7]
	s_lshl_b64 s[12:13], s[20:21], 4
	v_addc_co_u32_e32 v17, vcc, 0, v5, vcc
	v_add_u32_e32 v28, s5, v30
	v_ashrrev_i32_e32 v3, 31, v2
	v_mov_b32_e32 v5, s13
	v_add_co_u32_e32 v18, vcc, s12, v16
	v_add_u32_e32 v26, s5, v28
	v_lshlrev_b64 v[2:3], 4, v[2:3]
	v_accvgpr_write_b32 a0, v16
	v_addc_co_u32_e32 v19, vcc, v17, v5, vcc
	v_add_u32_e32 v24, s5, v26
	v_mov_b32_e32 v7, s7
	v_accvgpr_write_b32 a1, v17
	v_add_co_u32_e32 v16, vcc, s6, v2
	global_load_dwordx4 v[54:57], v[18:19], off
	v_add_u32_e32 v22, s5, v24
	v_addc_co_u32_e32 v17, vcc, v7, v3, vcc
	global_load_dwordx4 v[58:61], v[16:17], off
	v_accvgpr_write_b32 a2, v18
	v_add_u32_e32 v20, s5, v22
	v_accvgpr_write_b32 a3, v19
	v_accvgpr_write_b32 a4, v16
	v_add_u32_e32 v18, s5, v20
	v_ashrrev_i32_e32 v5, 31, v4
	v_accvgpr_write_b32 a5, v17
	v_add_u32_e32 v16, s5, v18
	v_lshlrev_b64 v[2:3], 4, v[4:5]
	v_add_u32_e32 v14, s5, v16
	v_mov_b32_e32 v9, s7
	v_add_co_u32_e32 v62, vcc, s6, v2
	v_add_u32_e32 v2, s5, v14
	v_addc_co_u32_e32 v63, vcc, v9, v3, vcc
	v_ashrrev_i32_e32 v3, 31, v2
	v_lshlrev_b64 v[2:3], 4, v[2:3]
	v_accvgpr_write_b32 a8, v62
	v_mov_b32_e32 v0, s7
	v_ashrrev_i32_e32 v7, 31, v6
	v_add_co_u32_e32 v2, vcc, s6, v2
	v_accvgpr_write_b32 a9, v63
	global_load_dwordx4 v[62:65], v[62:63], off
	v_lshlrev_b64 v[6:7], 4, v[6:7]
	v_addc_co_u32_e32 v3, vcc, v0, v3, vcc
	v_mov_b32_e32 v15, s7
	v_add_co_u32_e32 v6, vcc, s6, v6
	v_addc_co_u32_e32 v7, vcc, v15, v7, vcc
	global_load_dwordx4 v[66:69], v[6:7], off
	v_accvgpr_write_b32 a11, v7
	v_ashrrev_i32_e32 v9, 31, v8
	v_accvgpr_write_b32 a10, v6
	v_lshlrev_b64 v[6:7], 4, v[8:9]
	v_add_co_u32_e32 v8, vcc, s6, v6
	v_addc_co_u32_e32 v9, vcc, v0, v7, vcc
	v_ashrrev_i32_e32 v71, 31, v70
	v_lshlrev_b64 v[6:7], 4, v[70:71]
	global_load_dwordx4 v[70:73], v[8:9], off
	v_add_co_u32_e32 v6, vcc, s6, v6
	v_addc_co_u32_e32 v7, vcc, v0, v7, vcc
	global_load_dwordx4 v[74:77], v[6:7], off
	v_accvgpr_write_b32 a15, v7
	v_ashrrev_i32_e32 v79, 31, v78
	v_accvgpr_write_b32 a13, v9
	v_accvgpr_write_b32 a14, v6
	v_lshlrev_b64 v[6:7], 4, v[78:79]
	v_accvgpr_write_b32 a12, v8
	v_add_co_u32_e32 v8, vcc, s6, v6
	v_addc_co_u32_e32 v9, vcc, v0, v7, vcc
	v_ashrrev_i32_e32 v81, 31, v80
	v_lshlrev_b64 v[6:7], 4, v[80:81]
	global_load_dwordx4 v[78:81], v[8:9], off
	v_add_co_u32_e32 v6, vcc, s6, v6
	v_addc_co_u32_e32 v7, vcc, v0, v7, vcc
	global_load_dwordx4 v[82:85], v[6:7], off
	v_accvgpr_write_b32 a19, v7
	v_ashrrev_i32_e32 v87, 31, v86
	v_accvgpr_write_b32 a17, v9
	v_accvgpr_write_b32 a18, v6
	v_lshlrev_b64 v[6:7], 4, v[86:87]
	v_accvgpr_write_b32 a16, v8
	;; [unrolled: 14-line block ×7, first 2 shown]
	v_add_co_u32_e32 v8, vcc, s6, v6
	v_addc_co_u32_e32 v9, vcc, v0, v7, vcc
	v_ashrrev_i32_e32 v131, 31, v130
	v_lshlrev_b64 v[6:7], 4, v[130:131]
	global_load_dwordx4 v[128:131], v[8:9], off
	v_add_co_u32_e32 v6, vcc, s6, v6
	v_addc_co_u32_e32 v7, vcc, v0, v7, vcc
	v_accvgpr_write_b32 a41, v9
	v_accvgpr_write_b32 a43, v7
	;; [unrolled: 1-line block ×5, first 2 shown]
	global_load_dwordx4 v[6:9], v[6:7], off
	v_ashrrev_i32_e32 v53, 31, v52
	v_accvgpr_write_b32 a6, v2
	global_load_dwordx4 v[2:5], v[2:3], off
	v_ashrrev_i32_e32 v51, 31, v50
	s_waitcnt vmcnt(21)
	buffer_store_dword v13, off, s[0:3], 0 offset:28
	buffer_store_dword v12, off, s[0:3], 0 offset:24
	buffer_store_dword v11, off, s[0:3], 0 offset:20
	buffer_store_dword v10, off, s[0:3], 0 offset:16
	s_waitcnt vmcnt(24)
	buffer_store_dword v57, off, s[0:3], 0 offset:44
	buffer_store_dword v56, off, s[0:3], 0 offset:40
	buffer_store_dword v55, off, s[0:3], 0 offset:36
	buffer_store_dword v54, off, s[0:3], 0 offset:32
	;; [unrolled: 5-line block ×15, first 2 shown]
	buffer_store_dword v113, off, s[0:3], 0 offset:268
	buffer_store_dword v112, off, s[0:3], 0 offset:264
	;; [unrolled: 1-line block ×4, first 2 shown]
	s_waitcnt vmcnt(62)
	buffer_store_dword v117, off, s[0:3], 0 offset:284
	buffer_store_dword v116, off, s[0:3], 0 offset:280
	buffer_store_dword v115, off, s[0:3], 0 offset:276
	buffer_store_dword v114, off, s[0:3], 0 offset:272
	buffer_store_dword v123, off, s[0:3], 0 offset:300
	buffer_store_dword v122, off, s[0:3], 0 offset:296
	buffer_store_dword v121, off, s[0:3], 0 offset:292
	buffer_store_dword v120, off, s[0:3], 0 offset:288
	buffer_store_dword v127, off, s[0:3], 0 offset:316
	buffer_store_dword v126, off, s[0:3], 0 offset:312
	buffer_store_dword v125, off, s[0:3], 0 offset:308
	buffer_store_dword v124, off, s[0:3], 0 offset:304
	buffer_store_dword v131, off, s[0:3], 0 offset:332
	buffer_store_dword v130, off, s[0:3], 0 offset:328
	buffer_store_dword v129, off, s[0:3], 0 offset:324
	buffer_store_dword v128, off, s[0:3], 0 offset:320
	buffer_store_dword v9, off, s[0:3], 0 offset:348
	v_lshlrev_b64 v[10:11], 4, v[52:53]
	v_add_co_u32_e32 v12, vcc, s6, v10
	v_addc_co_u32_e32 v13, vcc, v0, v11, vcc
	v_lshlrev_b64 v[10:11], 4, v[50:51]
	v_add_co_u32_e32 v50, vcc, s6, v10
	v_accvgpr_write_b32 a45, v13
	v_addc_co_u32_e32 v51, vcc, v0, v11, vcc
	v_accvgpr_write_b32 a44, v12
	global_load_dwordx4 v[10:13], v[12:13], off
	v_accvgpr_write_b32 a46, v50
	v_ashrrev_i32_e32 v49, 31, v48
	v_accvgpr_write_b32 a47, v51
	global_load_dwordx4 v[50:53], v[50:51], off
	v_lshlrev_b64 v[48:49], 4, v[48:49]
	v_add_co_u32_e32 v48, vcc, s6, v48
	v_ashrrev_i32_e32 v47, 31, v46
	v_addc_co_u32_e32 v49, vcc, v0, v49, vcc
	v_lshlrev_b64 v[46:47], 4, v[46:47]
	v_add_co_u32_e32 v54, vcc, s6, v46
	v_accvgpr_write_b32 a48, v48
	v_addc_co_u32_e32 v55, vcc, v0, v47, vcc
	v_accvgpr_write_b32 a49, v49
	global_load_dwordx4 v[46:49], v[48:49], off
	v_accvgpr_write_b32 a50, v54
	v_ashrrev_i32_e32 v45, 31, v44
	v_accvgpr_write_b32 a51, v55
	global_load_dwordx4 v[54:57], v[54:55], off
	v_lshlrev_b64 v[44:45], 4, v[44:45]
	v_add_co_u32_e32 v44, vcc, s6, v44
	v_ashrrev_i32_e32 v43, 31, v42
	;; [unrolled: 14-line block ×8, first 2 shown]
	v_addc_co_u32_e32 v21, vcc, v0, v21, vcc
	v_lshlrev_b64 v[18:19], 4, v[18:19]
	v_add_co_u32_e32 v82, vcc, s6, v18
	v_accvgpr_write_b32 a77, v21
	v_addc_co_u32_e32 v83, vcc, v0, v19, vcc
	v_accvgpr_write_b32 a76, v20
	global_load_dwordx4 v[18:21], v[20:21], off
	v_accvgpr_write_b32 a78, v82
	v_ashrrev_i32_e32 v17, 31, v16
	v_accvgpr_write_b32 a79, v83
	global_load_dwordx4 v[82:85], v[82:83], off
	v_lshlrev_b64 v[16:17], 4, v[16:17]
	v_add_co_u32_e32 v16, vcc, s6, v16
	v_addc_co_u32_e32 v17, vcc, v0, v17, vcc
	v_ashrrev_i32_e32 v15, 31, v14
	v_accvgpr_write_b32 a81, v17
	v_lshlrev_b64 v[86:87], 4, v[14:15]
	v_accvgpr_write_b32 a80, v16
	global_load_dwordx4 v[14:17], v[16:17], off
	v_add_co_u32_e32 v86, vcc, s6, v86
	v_addc_co_u32_e32 v87, vcc, v0, v87, vcc
	v_accvgpr_write_b32 a82, v86
	v_accvgpr_write_b32 a83, v87
	global_load_dwordx4 v[86:89], v[86:87], off
	v_mov_b32_e32 v0, 16
	buffer_store_dword v8, off, s[0:3], 0 offset:344
	buffer_store_dword v7, off, s[0:3], 0 offset:340
	buffer_store_dword v6, off, s[0:3], 0 offset:336
	s_waitcnt vmcnt(22)
	buffer_store_dword v13, off, s[0:3], 0 offset:364
	buffer_store_dword v12, off, s[0:3], 0 offset:360
	buffer_store_dword v11, off, s[0:3], 0 offset:356
	buffer_store_dword v10, off, s[0:3], 0 offset:352
	s_waitcnt vmcnt(25)
	buffer_store_dword v53, off, s[0:3], 0 offset:380
	;; [unrolled: 5-line block ×15, first 2 shown]
	buffer_store_dword v24, off, s[0:3], 0 offset:584
	buffer_store_dword v23, off, s[0:3], 0 offset:580
	;; [unrolled: 1-line block ×11, first 2 shown]
	s_waitcnt vmcnt(62)
	buffer_store_dword v85, off, s[0:3], 0 offset:636
	buffer_store_dword v84, off, s[0:3], 0 offset:632
	;; [unrolled: 1-line block ×16, first 2 shown]
	v_add_u32_e32 v2, 16, v0
	v_accvgpr_write_b32 a124, v2
	v_add_u32_e32 v2, 32, v0
	v_accvgpr_write_b32 a123, v2
	;; [unrolled: 2-line block ×39, first 2 shown]
	v_add_u32_e32 v2, 0x280, v0
	v_add_u32_e32 v0, 0x290, v0
	v_accvgpr_write_b32 a85, v2
	v_accvgpr_write_b32 a84, v0
	s_bitcmp0_b32 s18, 0
	s_mov_b64 s[6:7], -1
	s_cbranch_scc1 .LBB105_180
; %bb.4:
	v_cmp_eq_u32_e64 s[4:5], 0, v118
	s_and_saveexec_b64 s[6:7], s[4:5]
	s_cbranch_execz .LBB105_6
; %bb.5:
	v_mov_b32_e32 v0, 0
	ds_write_b32 v0, v0 offset:1344
.LBB105_6:
	s_or_b64 exec, exec, s[6:7]
	v_mov_b32_e32 v0, 16
	v_lshl_add_u32 v12, v118, 4, v0
	s_waitcnt lgkmcnt(0)
	; wave barrier
	s_waitcnt lgkmcnt(0)
	buffer_load_dword v2, v12, s[0:3], 0 offen
	buffer_load_dword v3, v12, s[0:3], 0 offen offset:4
	buffer_load_dword v4, v12, s[0:3], 0 offen offset:8
	;; [unrolled: 1-line block ×3, first 2 shown]
	s_waitcnt vmcnt(2)
	v_cmp_eq_f64_e32 vcc, 0, v[2:3]
	s_waitcnt vmcnt(0)
	v_cmp_eq_f64_e64 s[6:7], 0, v[4:5]
	s_and_b64 s[6:7], vcc, s[6:7]
	s_and_saveexec_b64 s[12:13], s[6:7]
	s_cbranch_execz .LBB105_10
; %bb.7:
	v_mov_b32_e32 v2, 0
	ds_read_b32 v0, v2 offset:1344
	v_add_u32_e32 v3, 1, v118
	s_waitcnt lgkmcnt(0)
	v_readfirstlane_b32 s6, v0
	s_cmp_eq_u32 s6, 0
	s_cselect_b64 s[18:19], -1, 0
	v_cmp_gt_i32_e32 vcc, s6, v3
	s_or_b64 s[18:19], s[18:19], vcc
	s_and_b64 exec, exec, s[18:19]
	s_cbranch_execz .LBB105_10
; %bb.8:
	s_mov_b64 s[18:19], 0
	v_mov_b32_e32 v4, s6
.LBB105_9:                              ; =>This Inner Loop Header: Depth=1
	ds_cmpst_rtn_b32 v4, v2, v4, v3 offset:1344
	s_waitcnt lgkmcnt(0)
	v_cmp_ne_u32_e32 vcc, 0, v4
	v_cmp_le_i32_e64 s[6:7], v4, v3
	s_and_b64 s[6:7], vcc, s[6:7]
	s_and_b64 s[6:7], exec, s[6:7]
	s_or_b64 s[18:19], s[6:7], s[18:19]
	s_andn2_b64 exec, exec, s[18:19]
	s_cbranch_execnz .LBB105_9
.LBB105_10:
	s_or_b64 exec, exec, s[12:13]
	v_mov_b32_e32 v3, 0
	s_waitcnt lgkmcnt(0)
	; wave barrier
	ds_read_b32 v2, v3 offset:1344
	s_and_saveexec_b64 s[6:7], s[4:5]
	s_cbranch_execz .LBB105_12
; %bb.11:
	s_lshl_b64 s[12:13], s[8:9], 2
	s_add_u32 s12, s14, s12
	s_addc_u32 s13, s15, s13
	s_waitcnt lgkmcnt(0)
	global_store_dword v3, v2, s[12:13]
.LBB105_12:
	s_or_b64 exec, exec, s[6:7]
	s_waitcnt lgkmcnt(0)
	v_cmp_ne_u32_e32 vcc, 0, v2
	s_mov_b64 s[6:7], 0
	s_cbranch_vccnz .LBB105_180
; %bb.13:
	buffer_load_dword v7, v12, s[0:3], 0 offen offset:4
	buffer_load_dword v6, v12, s[0:3], 0 offen
	buffer_load_dword v9, v12, s[0:3], 0 offen offset:12
	buffer_load_dword v8, v12, s[0:3], 0 offen offset:8
                                        ; implicit-def: $vgpr10_vgpr11
	s_waitcnt vmcnt(3)
	v_xor_b32_e32 v0, 0x80000000, v7
	s_waitcnt vmcnt(2)
	v_cmp_gt_f64_e32 vcc, 0, v[6:7]
	s_waitcnt vmcnt(1)
	v_xor_b32_e32 v4, 0x80000000, v9
	v_cndmask_b32_e32 v3, v7, v0, vcc
	s_waitcnt vmcnt(0)
	v_cmp_gt_f64_e32 vcc, 0, v[8:9]
	v_mov_b32_e32 v2, v6
	v_cndmask_b32_e32 v5, v9, v4, vcc
	v_mov_b32_e32 v4, v8
	v_cmp_ngt_f64_e32 vcc, v[2:3], v[4:5]
                                        ; implicit-def: $vgpr4_vgpr5
	s_and_saveexec_b64 s[6:7], vcc
	s_xor_b64 s[6:7], exec, s[6:7]
	s_cbranch_execz .LBB105_15
; %bb.14:
	v_div_scale_f64 v[2:3], s[12:13], v[8:9], v[8:9], v[6:7]
	v_rcp_f64_e32 v[4:5], v[2:3]
	v_div_scale_f64 v[10:11], vcc, v[6:7], v[8:9], v[6:7]
	v_fma_f64 v[14:15], -v[2:3], v[4:5], 1.0
	v_fmac_f64_e32 v[4:5], v[4:5], v[14:15]
	v_fma_f64 v[14:15], -v[2:3], v[4:5], 1.0
	v_fmac_f64_e32 v[4:5], v[4:5], v[14:15]
	v_mul_f64 v[14:15], v[10:11], v[4:5]
	v_fma_f64 v[2:3], -v[2:3], v[14:15], v[10:11]
	v_div_fmas_f64 v[2:3], v[2:3], v[4:5], v[14:15]
	v_div_fixup_f64 v[2:3], v[2:3], v[8:9], v[6:7]
	v_fmac_f64_e32 v[8:9], v[6:7], v[2:3]
	v_div_scale_f64 v[4:5], s[12:13], v[8:9], v[8:9], 1.0
	v_rcp_f64_e32 v[6:7], v[4:5]
	v_fma_f64 v[10:11], -v[4:5], v[6:7], 1.0
	v_fmac_f64_e32 v[6:7], v[6:7], v[10:11]
	v_fma_f64 v[10:11], -v[4:5], v[6:7], 1.0
	v_fmac_f64_e32 v[6:7], v[6:7], v[10:11]
	v_div_scale_f64 v[10:11], vcc, 1.0, v[8:9], 1.0
	v_mul_f64 v[14:15], v[10:11], v[6:7]
	v_fma_f64 v[4:5], -v[4:5], v[14:15], v[10:11]
	s_nop 1
	v_div_fmas_f64 v[4:5], v[4:5], v[6:7], v[14:15]
	v_div_fixup_f64 v[4:5], v[4:5], v[8:9], 1.0
	v_mul_f64 v[10:11], v[2:3], v[4:5]
	v_xor_b32_e32 v5, 0x80000000, v5
	v_xor_b32_e32 v3, 0x80000000, v11
	v_mov_b32_e32 v2, v10
                                        ; implicit-def: $vgpr6_vgpr7
                                        ; implicit-def: $vgpr8_vgpr9
.LBB105_15:
	s_andn2_saveexec_b64 s[6:7], s[6:7]
	s_cbranch_execz .LBB105_17
; %bb.16:
	v_div_scale_f64 v[2:3], s[12:13], v[6:7], v[6:7], v[8:9]
	v_rcp_f64_e32 v[4:5], v[2:3]
	v_div_scale_f64 v[10:11], vcc, v[8:9], v[6:7], v[8:9]
	v_fma_f64 v[14:15], -v[2:3], v[4:5], 1.0
	v_fmac_f64_e32 v[4:5], v[4:5], v[14:15]
	v_fma_f64 v[14:15], -v[2:3], v[4:5], 1.0
	v_fmac_f64_e32 v[4:5], v[4:5], v[14:15]
	v_mul_f64 v[14:15], v[10:11], v[4:5]
	v_fma_f64 v[2:3], -v[2:3], v[14:15], v[10:11]
	v_div_fmas_f64 v[2:3], v[2:3], v[4:5], v[14:15]
	v_div_fixup_f64 v[4:5], v[2:3], v[6:7], v[8:9]
	v_fmac_f64_e32 v[6:7], v[8:9], v[4:5]
	v_div_scale_f64 v[2:3], s[12:13], v[6:7], v[6:7], 1.0
	v_rcp_f64_e32 v[8:9], v[2:3]
	v_fma_f64 v[10:11], -v[2:3], v[8:9], 1.0
	v_fmac_f64_e32 v[8:9], v[8:9], v[10:11]
	v_fma_f64 v[10:11], -v[2:3], v[8:9], 1.0
	v_fmac_f64_e32 v[8:9], v[8:9], v[10:11]
	v_div_scale_f64 v[10:11], vcc, 1.0, v[6:7], 1.0
	v_mul_f64 v[14:15], v[10:11], v[8:9]
	v_fma_f64 v[2:3], -v[2:3], v[14:15], v[10:11]
	s_nop 1
	v_div_fmas_f64 v[2:3], v[2:3], v[8:9], v[14:15]
	v_div_fixup_f64 v[10:11], v[2:3], v[6:7], 1.0
	v_xor_b32_e32 v3, 0x80000000, v11
	v_mov_b32_e32 v2, v10
	v_mul_f64 v[4:5], v[4:5], -v[10:11]
.LBB105_17:
	s_or_b64 exec, exec, s[6:7]
	buffer_store_dword v11, v12, s[0:3], 0 offen offset:4
	buffer_store_dword v10, v12, s[0:3], 0 offen
	buffer_store_dword v5, v12, s[0:3], 0 offen offset:12
	buffer_store_dword v4, v12, s[0:3], 0 offen offset:8
	v_accvgpr_read_b32 v0, a124
	buffer_load_dword v11, v0, s[0:3], 0 offen offset:12
	buffer_load_dword v10, v0, s[0:3], 0 offen offset:8
	;; [unrolled: 1-line block ×3, first 2 shown]
	buffer_load_dword v8, v0, s[0:3], 0 offen
	v_xor_b32_e32 v5, 0x80000000, v5
	v_add_u32_e32 v6, 0x2a0, v1
	ds_write_b128 v1, v[2:5]
	s_waitcnt vmcnt(0)
	ds_write_b128 v1, v[8:11] offset:672
	s_waitcnt lgkmcnt(0)
	; wave barrier
	s_waitcnt lgkmcnt(0)
	s_and_saveexec_b64 s[6:7], s[4:5]
	s_cbranch_execz .LBB105_19
; %bb.18:
	buffer_load_dword v14, v12, s[0:3], 0 offen offset:8
	buffer_load_dword v15, v12, s[0:3], 0 offen offset:12
	buffer_load_dword v16, v12, s[0:3], 0 offen
	buffer_load_dword v17, v12, s[0:3], 0 offen offset:4
	ds_read_b128 v[2:5], v6
	v_mov_b32_e32 v0, 0
	ds_read_b128 v[8:11], v0 offset:16
	s_waitcnt vmcnt(2) lgkmcnt(1)
	v_mul_f64 v[18:19], v[4:5], v[14:15]
	v_mul_f64 v[14:15], v[2:3], v[14:15]
	s_waitcnt vmcnt(0)
	v_fmac_f64_e32 v[14:15], v[4:5], v[16:17]
	v_fma_f64 v[2:3], v[2:3], v[16:17], -v[18:19]
	v_add_f64 v[4:5], v[14:15], 0
	v_add_f64 v[2:3], v[2:3], 0
	s_waitcnt lgkmcnt(0)
	v_mul_f64 v[14:15], v[4:5], v[10:11]
	v_mul_f64 v[10:11], v[2:3], v[10:11]
	v_fma_f64 v[2:3], v[2:3], v[8:9], -v[14:15]
	v_fmac_f64_e32 v[10:11], v[4:5], v[8:9]
	buffer_store_dword v2, off, s[0:3], 0 offset:32
	buffer_store_dword v3, off, s[0:3], 0 offset:36
	;; [unrolled: 1-line block ×4, first 2 shown]
.LBB105_19:
	s_or_b64 exec, exec, s[6:7]
	v_accvgpr_read_b32 v0, a123
	s_waitcnt lgkmcnt(0)
	; wave barrier
	buffer_load_dword v2, v0, s[0:3], 0 offen
	buffer_load_dword v3, v0, s[0:3], 0 offen offset:4
	buffer_load_dword v4, v0, s[0:3], 0 offen offset:8
	;; [unrolled: 1-line block ×3, first 2 shown]
	v_cmp_gt_u32_e32 vcc, 2, v118
	s_waitcnt vmcnt(0)
	ds_write_b128 v6, v[2:5]
	s_waitcnt lgkmcnt(0)
	; wave barrier
	s_waitcnt lgkmcnt(0)
	s_and_saveexec_b64 s[6:7], vcc
	s_cbranch_execz .LBB105_23
; %bb.20:
	buffer_load_dword v8, v12, s[0:3], 0 offen offset:8
	buffer_load_dword v9, v12, s[0:3], 0 offen offset:12
	buffer_load_dword v10, v12, s[0:3], 0 offen
	buffer_load_dword v11, v12, s[0:3], 0 offen offset:4
	ds_read_b128 v[2:5], v6
	s_waitcnt vmcnt(2) lgkmcnt(0)
	v_mul_f64 v[12:13], v[4:5], v[8:9]
	v_mul_f64 v[8:9], v[2:3], v[8:9]
	s_waitcnt vmcnt(0)
	v_fma_f64 v[2:3], v[2:3], v[10:11], -v[12:13]
	v_fmac_f64_e32 v[8:9], v[4:5], v[10:11]
	v_add_f64 v[4:5], v[2:3], 0
	v_add_f64 v[2:3], v[8:9], 0
	s_and_saveexec_b64 s[12:13], s[4:5]
	s_cbranch_execz .LBB105_22
; %bb.21:
	buffer_load_dword v12, off, s[0:3], 0 offset:40
	buffer_load_dword v13, off, s[0:3], 0 offset:44
	;; [unrolled: 1-line block ×4, first 2 shown]
	v_mov_b32_e32 v0, 0
	ds_read_b128 v[8:11], v0 offset:688
	s_waitcnt vmcnt(2) lgkmcnt(0)
	v_mul_f64 v[16:17], v[8:9], v[12:13]
	v_mul_f64 v[12:13], v[10:11], v[12:13]
	s_waitcnt vmcnt(0)
	v_fmac_f64_e32 v[16:17], v[10:11], v[14:15]
	v_fma_f64 v[8:9], v[8:9], v[14:15], -v[12:13]
	v_add_f64 v[2:3], v[2:3], v[16:17]
	v_add_f64 v[4:5], v[4:5], v[8:9]
.LBB105_22:
	s_or_b64 exec, exec, s[12:13]
	v_mov_b32_e32 v0, 0
	ds_read_b128 v[8:11], v0 offset:32
	s_waitcnt lgkmcnt(0)
	v_mul_f64 v[12:13], v[2:3], v[10:11]
	v_mul_f64 v[10:11], v[4:5], v[10:11]
	v_fma_f64 v[4:5], v[4:5], v[8:9], -v[12:13]
	v_fmac_f64_e32 v[10:11], v[2:3], v[8:9]
	buffer_store_dword v5, off, s[0:3], 0 offset:52
	buffer_store_dword v4, off, s[0:3], 0 offset:48
	buffer_store_dword v11, off, s[0:3], 0 offset:60
	buffer_store_dword v10, off, s[0:3], 0 offset:56
.LBB105_23:
	s_or_b64 exec, exec, s[6:7]
	v_accvgpr_read_b32 v0, a122
	s_waitcnt lgkmcnt(0)
	; wave barrier
	buffer_load_dword v2, v0, s[0:3], 0 offen
	buffer_load_dword v3, v0, s[0:3], 0 offen offset:4
	buffer_load_dword v4, v0, s[0:3], 0 offen offset:8
	buffer_load_dword v5, v0, s[0:3], 0 offen offset:12
	v_cmp_gt_u32_e32 vcc, 3, v118
	v_add_u32_e32 v7, -1, v118
	s_waitcnt vmcnt(0)
	ds_write_b128 v6, v[2:5]
	s_waitcnt lgkmcnt(0)
	; wave barrier
	s_waitcnt lgkmcnt(0)
	s_and_saveexec_b64 s[4:5], vcc
	s_cbranch_execz .LBB105_27
; %bb.24:
	v_pk_mov_b32 v[2:3], 0, 0
	v_add_u32_e32 v8, -1, v118
	v_add_u32_e32 v9, 0x2a0, v1
	v_add_u32_e32 v10, 16, v1
	s_mov_b64 s[6:7], 0
	v_pk_mov_b32 v[4:5], v[2:3], v[2:3] op_sel:[0,1]
.LBB105_25:                             ; =>This Inner Loop Header: Depth=1
	buffer_load_dword v16, v10, s[0:3], 0 offen offset:8
	buffer_load_dword v17, v10, s[0:3], 0 offen offset:12
	buffer_load_dword v18, v10, s[0:3], 0 offen
	buffer_load_dword v19, v10, s[0:3], 0 offen offset:4
	ds_read_b128 v[12:15], v9
	v_add_u32_e32 v8, 1, v8
	v_cmp_lt_u32_e32 vcc, 1, v8
	v_add_u32_e32 v9, 16, v9
	v_add_u32_e32 v10, 16, v10
	s_or_b64 s[6:7], vcc, s[6:7]
	s_waitcnt vmcnt(2) lgkmcnt(0)
	v_mul_f64 v[20:21], v[14:15], v[16:17]
	v_mul_f64 v[16:17], v[12:13], v[16:17]
	s_waitcnt vmcnt(0)
	v_fma_f64 v[12:13], v[12:13], v[18:19], -v[20:21]
	v_fmac_f64_e32 v[16:17], v[14:15], v[18:19]
	v_add_f64 v[4:5], v[4:5], v[12:13]
	v_add_f64 v[2:3], v[2:3], v[16:17]
	s_andn2_b64 exec, exec, s[6:7]
	s_cbranch_execnz .LBB105_25
; %bb.26:
	s_or_b64 exec, exec, s[6:7]
	v_mov_b32_e32 v0, 0
	ds_read_b128 v[8:11], v0 offset:48
	s_waitcnt lgkmcnt(0)
	v_mul_f64 v[12:13], v[2:3], v[10:11]
	v_mul_f64 v[10:11], v[4:5], v[10:11]
	v_fma_f64 v[4:5], v[4:5], v[8:9], -v[12:13]
	v_fmac_f64_e32 v[10:11], v[2:3], v[8:9]
	buffer_store_dword v5, off, s[0:3], 0 offset:68
	buffer_store_dword v4, off, s[0:3], 0 offset:64
	buffer_store_dword v11, off, s[0:3], 0 offset:76
	buffer_store_dword v10, off, s[0:3], 0 offset:72
.LBB105_27:
	s_or_b64 exec, exec, s[4:5]
	v_accvgpr_read_b32 v0, a121
	s_waitcnt lgkmcnt(0)
	; wave barrier
	buffer_load_dword v2, v0, s[0:3], 0 offen
	buffer_load_dword v3, v0, s[0:3], 0 offen offset:4
	buffer_load_dword v4, v0, s[0:3], 0 offen offset:8
	buffer_load_dword v5, v0, s[0:3], 0 offen offset:12
	v_cmp_gt_u32_e32 vcc, 4, v118
	s_waitcnt vmcnt(0)
	ds_write_b128 v6, v[2:5]
	s_waitcnt lgkmcnt(0)
	; wave barrier
	s_waitcnt lgkmcnt(0)
	s_and_saveexec_b64 s[4:5], vcc
	s_cbranch_execz .LBB105_31
; %bb.28:
	v_pk_mov_b32 v[2:3], 0, 0
	v_add_u32_e32 v8, -1, v118
	v_add_u32_e32 v9, 0x2a0, v1
	v_add_u32_e32 v10, 16, v1
	s_mov_b64 s[6:7], 0
	v_pk_mov_b32 v[4:5], v[2:3], v[2:3] op_sel:[0,1]
.LBB105_29:                             ; =>This Inner Loop Header: Depth=1
	buffer_load_dword v16, v10, s[0:3], 0 offen offset:8
	buffer_load_dword v17, v10, s[0:3], 0 offen offset:12
	buffer_load_dword v18, v10, s[0:3], 0 offen
	buffer_load_dword v19, v10, s[0:3], 0 offen offset:4
	ds_read_b128 v[12:15], v9
	v_add_u32_e32 v8, 1, v8
	v_cmp_lt_u32_e32 vcc, 2, v8
	v_add_u32_e32 v9, 16, v9
	v_add_u32_e32 v10, 16, v10
	s_or_b64 s[6:7], vcc, s[6:7]
	s_waitcnt vmcnt(2) lgkmcnt(0)
	v_mul_f64 v[20:21], v[14:15], v[16:17]
	v_mul_f64 v[16:17], v[12:13], v[16:17]
	s_waitcnt vmcnt(0)
	v_fma_f64 v[12:13], v[12:13], v[18:19], -v[20:21]
	v_fmac_f64_e32 v[16:17], v[14:15], v[18:19]
	v_add_f64 v[4:5], v[4:5], v[12:13]
	v_add_f64 v[2:3], v[2:3], v[16:17]
	s_andn2_b64 exec, exec, s[6:7]
	s_cbranch_execnz .LBB105_29
; %bb.30:
	s_or_b64 exec, exec, s[6:7]
	v_mov_b32_e32 v0, 0
	ds_read_b128 v[8:11], v0 offset:64
	s_waitcnt lgkmcnt(0)
	v_mul_f64 v[12:13], v[2:3], v[10:11]
	v_mul_f64 v[10:11], v[4:5], v[10:11]
	v_fma_f64 v[4:5], v[4:5], v[8:9], -v[12:13]
	v_fmac_f64_e32 v[10:11], v[2:3], v[8:9]
	buffer_store_dword v5, off, s[0:3], 0 offset:84
	buffer_store_dword v4, off, s[0:3], 0 offset:80
	buffer_store_dword v11, off, s[0:3], 0 offset:92
	buffer_store_dword v10, off, s[0:3], 0 offset:88
.LBB105_31:
	s_or_b64 exec, exec, s[4:5]
	v_accvgpr_read_b32 v0, a120
	s_waitcnt lgkmcnt(0)
	; wave barrier
	buffer_load_dword v2, v0, s[0:3], 0 offen
	buffer_load_dword v3, v0, s[0:3], 0 offen offset:4
	buffer_load_dword v4, v0, s[0:3], 0 offen offset:8
	buffer_load_dword v5, v0, s[0:3], 0 offen offset:12
	v_cmp_gt_u32_e32 vcc, 5, v118
	;; [unrolled: 58-line block ×19, first 2 shown]
	s_waitcnt vmcnt(0)
	ds_write_b128 v6, v[2:5]
	s_waitcnt lgkmcnt(0)
	; wave barrier
	s_waitcnt lgkmcnt(0)
	s_and_saveexec_b64 s[4:5], vcc
	s_cbranch_execz .LBB105_103
; %bb.100:
	v_pk_mov_b32 v[2:3], 0, 0
	v_add_u32_e32 v8, -1, v118
	v_add_u32_e32 v9, 0x2a0, v1
	v_add_u32_e32 v10, 16, v1
	s_mov_b64 s[6:7], 0
	v_pk_mov_b32 v[4:5], v[2:3], v[2:3] op_sel:[0,1]
.LBB105_101:                            ; =>This Inner Loop Header: Depth=1
	buffer_load_dword v16, v10, s[0:3], 0 offen offset:8
	buffer_load_dword v17, v10, s[0:3], 0 offen offset:12
	buffer_load_dword v18, v10, s[0:3], 0 offen
	buffer_load_dword v19, v10, s[0:3], 0 offen offset:4
	ds_read_b128 v[12:15], v9
	v_add_u32_e32 v8, 1, v8
	v_cmp_lt_u32_e32 vcc, 20, v8
	v_add_u32_e32 v9, 16, v9
	v_add_u32_e32 v10, 16, v10
	s_or_b64 s[6:7], vcc, s[6:7]
	s_waitcnt vmcnt(2) lgkmcnt(0)
	v_mul_f64 v[20:21], v[14:15], v[16:17]
	v_mul_f64 v[16:17], v[12:13], v[16:17]
	s_waitcnt vmcnt(0)
	v_fma_f64 v[12:13], v[12:13], v[18:19], -v[20:21]
	v_fmac_f64_e32 v[16:17], v[14:15], v[18:19]
	v_add_f64 v[4:5], v[4:5], v[12:13]
	v_add_f64 v[2:3], v[2:3], v[16:17]
	s_andn2_b64 exec, exec, s[6:7]
	s_cbranch_execnz .LBB105_101
; %bb.102:
	s_or_b64 exec, exec, s[6:7]
	v_mov_b32_e32 v0, 0
	ds_read_b128 v[8:11], v0 offset:352
	s_waitcnt lgkmcnt(0)
	v_mul_f64 v[12:13], v[2:3], v[10:11]
	v_mul_f64 v[10:11], v[4:5], v[10:11]
	v_fma_f64 v[4:5], v[4:5], v[8:9], -v[12:13]
	v_fmac_f64_e32 v[10:11], v[2:3], v[8:9]
	buffer_store_dword v5, off, s[0:3], 0 offset:372
	buffer_store_dword v4, off, s[0:3], 0 offset:368
	buffer_store_dword v11, off, s[0:3], 0 offset:380
	buffer_store_dword v10, off, s[0:3], 0 offset:376
.LBB105_103:
	s_or_b64 exec, exec, s[4:5]
	v_accvgpr_read_b32 v0, a102
	s_waitcnt lgkmcnt(0)
	; wave barrier
	buffer_load_dword v2, v0, s[0:3], 0 offen
	buffer_load_dword v3, v0, s[0:3], 0 offen offset:4
	buffer_load_dword v4, v0, s[0:3], 0 offen offset:8
	buffer_load_dword v5, v0, s[0:3], 0 offen offset:12
	v_cmp_gt_u32_e32 vcc, 23, v118
	s_waitcnt vmcnt(0)
	ds_write_b128 v6, v[2:5]
	s_waitcnt lgkmcnt(0)
	; wave barrier
	s_waitcnt lgkmcnt(0)
	s_and_saveexec_b64 s[4:5], vcc
	s_cbranch_execz .LBB105_107
; %bb.104:
	v_pk_mov_b32 v[2:3], 0, 0
	v_add_u32_e32 v8, -1, v118
	v_add_u32_e32 v9, 0x2a0, v1
	v_add_u32_e32 v10, 16, v1
	s_mov_b64 s[6:7], 0
	v_pk_mov_b32 v[4:5], v[2:3], v[2:3] op_sel:[0,1]
.LBB105_105:                            ; =>This Inner Loop Header: Depth=1
	buffer_load_dword v16, v10, s[0:3], 0 offen offset:8
	buffer_load_dword v17, v10, s[0:3], 0 offen offset:12
	buffer_load_dword v18, v10, s[0:3], 0 offen
	buffer_load_dword v19, v10, s[0:3], 0 offen offset:4
	ds_read_b128 v[12:15], v9
	v_add_u32_e32 v8, 1, v8
	v_cmp_lt_u32_e32 vcc, 21, v8
	v_add_u32_e32 v9, 16, v9
	v_add_u32_e32 v10, 16, v10
	s_or_b64 s[6:7], vcc, s[6:7]
	s_waitcnt vmcnt(2) lgkmcnt(0)
	v_mul_f64 v[20:21], v[14:15], v[16:17]
	v_mul_f64 v[16:17], v[12:13], v[16:17]
	s_waitcnt vmcnt(0)
	v_fma_f64 v[12:13], v[12:13], v[18:19], -v[20:21]
	v_fmac_f64_e32 v[16:17], v[14:15], v[18:19]
	v_add_f64 v[4:5], v[4:5], v[12:13]
	v_add_f64 v[2:3], v[2:3], v[16:17]
	s_andn2_b64 exec, exec, s[6:7]
	s_cbranch_execnz .LBB105_105
; %bb.106:
	s_or_b64 exec, exec, s[6:7]
	v_mov_b32_e32 v0, 0
	ds_read_b128 v[8:11], v0 offset:368
	s_waitcnt lgkmcnt(0)
	v_mul_f64 v[12:13], v[2:3], v[10:11]
	v_mul_f64 v[10:11], v[4:5], v[10:11]
	v_fma_f64 v[4:5], v[4:5], v[8:9], -v[12:13]
	v_fmac_f64_e32 v[10:11], v[2:3], v[8:9]
	buffer_store_dword v5, off, s[0:3], 0 offset:388
	buffer_store_dword v4, off, s[0:3], 0 offset:384
	buffer_store_dword v11, off, s[0:3], 0 offset:396
	buffer_store_dword v10, off, s[0:3], 0 offset:392
.LBB105_107:
	s_or_b64 exec, exec, s[4:5]
	v_accvgpr_read_b32 v0, a101
	s_waitcnt lgkmcnt(0)
	; wave barrier
	buffer_load_dword v2, v0, s[0:3], 0 offen
	buffer_load_dword v3, v0, s[0:3], 0 offen offset:4
	buffer_load_dword v4, v0, s[0:3], 0 offen offset:8
	buffer_load_dword v5, v0, s[0:3], 0 offen offset:12
	v_cmp_gt_u32_e32 vcc, 24, v118
	;; [unrolled: 58-line block ×18, first 2 shown]
	s_waitcnt vmcnt(0)
	ds_write_b128 v6, v[2:5]
	s_waitcnt lgkmcnt(0)
	; wave barrier
	s_waitcnt lgkmcnt(0)
	s_and_saveexec_b64 s[4:5], vcc
	s_cbranch_execz .LBB105_175
; %bb.172:
	v_pk_mov_b32 v[2:3], 0, 0
	v_add_u32_e32 v8, -1, v118
	v_add_u32_e32 v9, 0x2a0, v1
	v_add_u32_e32 v10, 16, v1
	s_mov_b64 s[6:7], 0
	v_pk_mov_b32 v[4:5], v[2:3], v[2:3] op_sel:[0,1]
.LBB105_173:                            ; =>This Inner Loop Header: Depth=1
	buffer_load_dword v16, v10, s[0:3], 0 offen offset:8
	buffer_load_dword v17, v10, s[0:3], 0 offen offset:12
	buffer_load_dword v18, v10, s[0:3], 0 offen
	buffer_load_dword v19, v10, s[0:3], 0 offen offset:4
	ds_read_b128 v[12:15], v9
	v_add_u32_e32 v8, 1, v8
	v_cmp_lt_u32_e32 vcc, 38, v8
	v_add_u32_e32 v9, 16, v9
	v_add_u32_e32 v10, 16, v10
	s_or_b64 s[6:7], vcc, s[6:7]
	s_waitcnt vmcnt(2) lgkmcnt(0)
	v_mul_f64 v[20:21], v[14:15], v[16:17]
	v_mul_f64 v[16:17], v[12:13], v[16:17]
	s_waitcnt vmcnt(0)
	v_fma_f64 v[12:13], v[12:13], v[18:19], -v[20:21]
	v_fmac_f64_e32 v[16:17], v[14:15], v[18:19]
	v_add_f64 v[4:5], v[4:5], v[12:13]
	v_add_f64 v[2:3], v[2:3], v[16:17]
	s_andn2_b64 exec, exec, s[6:7]
	s_cbranch_execnz .LBB105_173
; %bb.174:
	s_or_b64 exec, exec, s[6:7]
	v_mov_b32_e32 v0, 0
	ds_read_b128 v[8:11], v0 offset:640
	s_waitcnt lgkmcnt(0)
	v_mul_f64 v[12:13], v[2:3], v[10:11]
	v_mul_f64 v[10:11], v[4:5], v[10:11]
	v_fma_f64 v[4:5], v[4:5], v[8:9], -v[12:13]
	v_fmac_f64_e32 v[10:11], v[2:3], v[8:9]
	buffer_store_dword v5, off, s[0:3], 0 offset:660
	buffer_store_dword v4, off, s[0:3], 0 offset:656
	;; [unrolled: 1-line block ×4, first 2 shown]
.LBB105_175:
	s_or_b64 exec, exec, s[4:5]
	v_accvgpr_read_b32 v0, a84
	s_waitcnt lgkmcnt(0)
	; wave barrier
	buffer_load_dword v2, v0, s[0:3], 0 offen
	buffer_load_dword v3, v0, s[0:3], 0 offen offset:4
	buffer_load_dword v4, v0, s[0:3], 0 offen offset:8
	;; [unrolled: 1-line block ×3, first 2 shown]
	v_cmp_ne_u32_e32 vcc, 41, v118
	s_waitcnt vmcnt(0)
	ds_write_b128 v6, v[2:5]
	s_waitcnt lgkmcnt(0)
	; wave barrier
	s_waitcnt lgkmcnt(0)
	s_and_saveexec_b64 s[4:5], vcc
	s_cbranch_execz .LBB105_179
; %bb.176:
	v_pk_mov_b32 v[2:3], 0, 0
	v_add_u32_e32 v6, 0x2a0, v1
	v_add_u32_e32 v1, 16, v1
	s_mov_b64 s[6:7], 0
	v_pk_mov_b32 v[4:5], v[2:3], v[2:3] op_sel:[0,1]
.LBB105_177:                            ; =>This Inner Loop Header: Depth=1
	buffer_load_dword v12, v1, s[0:3], 0 offen offset:8
	buffer_load_dword v13, v1, s[0:3], 0 offen offset:12
	buffer_load_dword v14, v1, s[0:3], 0 offen
	buffer_load_dword v15, v1, s[0:3], 0 offen offset:4
	ds_read_b128 v[8:11], v6
	v_add_u32_e32 v7, 1, v7
	v_cmp_lt_u32_e32 vcc, 39, v7
	v_add_u32_e32 v6, 16, v6
	v_add_u32_e32 v1, 16, v1
	s_or_b64 s[6:7], vcc, s[6:7]
	s_waitcnt vmcnt(2) lgkmcnt(0)
	v_mul_f64 v[16:17], v[10:11], v[12:13]
	v_mul_f64 v[12:13], v[8:9], v[12:13]
	s_waitcnt vmcnt(0)
	v_fma_f64 v[8:9], v[8:9], v[14:15], -v[16:17]
	v_fmac_f64_e32 v[12:13], v[10:11], v[14:15]
	v_add_f64 v[4:5], v[4:5], v[8:9]
	v_add_f64 v[2:3], v[2:3], v[12:13]
	s_andn2_b64 exec, exec, s[6:7]
	s_cbranch_execnz .LBB105_177
; %bb.178:
	s_or_b64 exec, exec, s[6:7]
	v_mov_b32_e32 v0, 0
	ds_read_b128 v[6:9], v0 offset:656
	s_waitcnt lgkmcnt(0)
	v_mul_f64 v[10:11], v[2:3], v[8:9]
	v_mul_f64 v[8:9], v[4:5], v[8:9]
	v_fma_f64 v[4:5], v[4:5], v[6:7], -v[10:11]
	v_fmac_f64_e32 v[8:9], v[2:3], v[6:7]
	buffer_store_dword v5, off, s[0:3], 0 offset:676
	buffer_store_dword v4, off, s[0:3], 0 offset:672
	;; [unrolled: 1-line block ×4, first 2 shown]
.LBB105_179:
	s_or_b64 exec, exec, s[4:5]
	s_mov_b64 s[6:7], -1
	s_waitcnt lgkmcnt(0)
	; wave barrier
.LBB105_180:
	s_and_b64 vcc, exec, s[6:7]
	s_cbranch_vccz .LBB105_182
; %bb.181:
	s_lshl_b64 s[4:5], s[8:9], 2
	s_add_u32 s4, s14, s4
	s_addc_u32 s5, s15, s5
	v_mov_b32_e32 v0, 0
	global_load_dword v0, v0, s[4:5]
	s_waitcnt vmcnt(0)
	v_cmp_ne_u32_e32 vcc, 0, v0
	s_cbranch_vccz .LBB105_183
.LBB105_182:
	s_endpgm
.LBB105_183:
	v_mov_b32_e32 v0, 0x2a0
	v_lshl_add_u32 v0, v118, 4, v0
	v_accvgpr_write_b32 a126, v0
	v_cmp_eq_u32_e32 vcc, 41, v118
	s_and_saveexec_b64 s[4:5], vcc
	s_cbranch_execz .LBB105_185
; %bb.184:
	v_accvgpr_read_b32 v0, a85
	buffer_load_dword v2, v0, s[0:3], 0 offen
	buffer_load_dword v3, v0, s[0:3], 0 offen offset:4
	buffer_load_dword v4, v0, s[0:3], 0 offen offset:8
	;; [unrolled: 1-line block ×3, first 2 shown]
	v_mov_b32_e32 v0, 0
	v_accvgpr_read_b32 v1, a126
	buffer_store_dword v0, off, s[0:3], 0 offset:656
	buffer_store_dword v0, off, s[0:3], 0 offset:660
	;; [unrolled: 1-line block ×4, first 2 shown]
	s_waitcnt vmcnt(4)
	ds_write_b128 v1, v[2:5]
.LBB105_185:
	s_or_b64 exec, exec, s[4:5]
	s_waitcnt lgkmcnt(0)
	; wave barrier
	s_waitcnt lgkmcnt(0)
	buffer_load_dword v8, off, s[0:3], 0 offset:680
	buffer_load_dword v9, off, s[0:3], 0 offset:684
	;; [unrolled: 1-line block ×8, first 2 shown]
	v_mov_b32_e32 v2, 0
	ds_read_b128 v[4:7], v2 offset:1328
	v_cmp_lt_u32_e32 vcc, 39, v118
	s_waitcnt vmcnt(6) lgkmcnt(0)
	v_mul_f64 v[16:17], v[4:5], v[8:9]
	v_mul_f64 v[8:9], v[6:7], v[8:9]
	s_waitcnt vmcnt(4)
	v_fma_f64 v[4:5], v[4:5], v[10:11], -v[8:9]
	v_fmac_f64_e32 v[16:17], v[6:7], v[10:11]
	v_add_f64 v[4:5], v[4:5], 0
	v_add_f64 v[6:7], v[16:17], 0
	s_waitcnt vmcnt(2)
	v_add_f64 v[4:5], v[12:13], -v[4:5]
	s_waitcnt vmcnt(0)
	v_add_f64 v[6:7], v[14:15], -v[6:7]
	buffer_store_dword v4, off, s[0:3], 0 offset:656
	buffer_store_dword v5, off, s[0:3], 0 offset:660
	;; [unrolled: 1-line block ×4, first 2 shown]
	s_and_saveexec_b64 s[4:5], vcc
	s_cbranch_execz .LBB105_187
; %bb.186:
	v_accvgpr_read_b32 v0, a86
	buffer_load_dword v4, v0, s[0:3], 0 offen
	buffer_load_dword v5, v0, s[0:3], 0 offen offset:4
	buffer_load_dword v6, v0, s[0:3], 0 offen offset:8
	;; [unrolled: 1-line block ×3, first 2 shown]
	v_accvgpr_read_b32 v0, a126
	buffer_store_dword v2, off, s[0:3], 0 offset:640
	buffer_store_dword v2, off, s[0:3], 0 offset:644
	;; [unrolled: 1-line block ×4, first 2 shown]
	s_waitcnt vmcnt(4)
	ds_write_b128 v0, v[4:7]
.LBB105_187:
	s_or_b64 exec, exec, s[4:5]
	s_waitcnt lgkmcnt(0)
	; wave barrier
	s_waitcnt lgkmcnt(0)
	buffer_load_dword v12, off, s[0:3], 0 offset:664
	buffer_load_dword v13, off, s[0:3], 0 offset:668
	;; [unrolled: 1-line block ×12, first 2 shown]
	ds_read_b128 v[4:7], v2 offset:1312
	ds_read_b128 v[8:11], v2 offset:1328
	v_cmp_lt_u32_e32 vcc, 38, v118
	s_waitcnt vmcnt(10) lgkmcnt(1)
	v_mul_f64 v[2:3], v[4:5], v[12:13]
	v_mul_f64 v[12:13], v[6:7], v[12:13]
	s_waitcnt vmcnt(8) lgkmcnt(0)
	v_mul_f64 v[24:25], v[8:9], v[14:15]
	v_mul_f64 v[14:15], v[10:11], v[14:15]
	s_waitcnt vmcnt(6)
	v_fma_f64 v[4:5], v[4:5], v[16:17], -v[12:13]
	v_fmac_f64_e32 v[2:3], v[6:7], v[16:17]
	s_waitcnt vmcnt(4)
	v_fma_f64 v[6:7], v[8:9], v[18:19], -v[14:15]
	v_add_f64 v[4:5], v[4:5], 0
	v_fmac_f64_e32 v[24:25], v[10:11], v[18:19]
	v_add_f64 v[2:3], v[2:3], 0
	v_add_f64 v[4:5], v[4:5], v[6:7]
	;; [unrolled: 1-line block ×3, first 2 shown]
	s_waitcnt vmcnt(2)
	v_add_f64 v[4:5], v[20:21], -v[4:5]
	s_waitcnt vmcnt(0)
	v_add_f64 v[2:3], v[22:23], -v[2:3]
	buffer_store_dword v4, off, s[0:3], 0 offset:640
	buffer_store_dword v5, off, s[0:3], 0 offset:644
	;; [unrolled: 1-line block ×4, first 2 shown]
	s_and_saveexec_b64 s[4:5], vcc
	s_cbranch_execz .LBB105_189
; %bb.188:
	v_accvgpr_read_b32 v0, a87
	buffer_load_dword v2, v0, s[0:3], 0 offen
	buffer_load_dword v3, v0, s[0:3], 0 offen offset:4
	buffer_load_dword v4, v0, s[0:3], 0 offen offset:8
	;; [unrolled: 1-line block ×3, first 2 shown]
	v_mov_b32_e32 v0, 0
	v_accvgpr_read_b32 v1, a126
	buffer_store_dword v0, off, s[0:3], 0 offset:624
	buffer_store_dword v0, off, s[0:3], 0 offset:628
	buffer_store_dword v0, off, s[0:3], 0 offset:632
	buffer_store_dword v0, off, s[0:3], 0 offset:636
	s_waitcnt vmcnt(4)
	ds_write_b128 v1, v[2:5]
.LBB105_189:
	s_or_b64 exec, exec, s[4:5]
	s_waitcnt lgkmcnt(0)
	; wave barrier
	s_waitcnt lgkmcnt(0)
	buffer_load_dword v16, off, s[0:3], 0 offset:648
	buffer_load_dword v17, off, s[0:3], 0 offset:652
	buffer_load_dword v18, off, s[0:3], 0 offset:664
	buffer_load_dword v19, off, s[0:3], 0 offset:668
	buffer_load_dword v20, off, s[0:3], 0 offset:680
	buffer_load_dword v21, off, s[0:3], 0 offset:684
	buffer_load_dword v22, off, s[0:3], 0 offset:640
	buffer_load_dword v23, off, s[0:3], 0 offset:644
	buffer_load_dword v24, off, s[0:3], 0 offset:656
	buffer_load_dword v25, off, s[0:3], 0 offset:660
	buffer_load_dword v26, off, s[0:3], 0 offset:672
	buffer_load_dword v27, off, s[0:3], 0 offset:676
	buffer_load_dword v28, off, s[0:3], 0 offset:624
	buffer_load_dword v29, off, s[0:3], 0 offset:628
	buffer_load_dword v30, off, s[0:3], 0 offset:632
	buffer_load_dword v31, off, s[0:3], 0 offset:636
	v_mov_b32_e32 v2, 0
	ds_read_b128 v[4:7], v2 offset:1296
	ds_read_b128 v[8:11], v2 offset:1312
	;; [unrolled: 1-line block ×3, first 2 shown]
	v_cmp_lt_u32_e32 vcc, 37, v118
	s_waitcnt vmcnt(14) lgkmcnt(2)
	v_mul_f64 v[32:33], v[4:5], v[16:17]
	v_mul_f64 v[16:17], v[6:7], v[16:17]
	s_waitcnt vmcnt(12) lgkmcnt(1)
	v_mul_f64 v[34:35], v[8:9], v[18:19]
	v_mul_f64 v[18:19], v[10:11], v[18:19]
	;; [unrolled: 3-line block ×3, first 2 shown]
	s_waitcnt vmcnt(8)
	v_fma_f64 v[4:5], v[4:5], v[22:23], -v[16:17]
	v_fmac_f64_e32 v[32:33], v[6:7], v[22:23]
	s_waitcnt vmcnt(6)
	v_fma_f64 v[6:7], v[8:9], v[24:25], -v[18:19]
	v_add_f64 v[4:5], v[4:5], 0
	v_fmac_f64_e32 v[34:35], v[10:11], v[24:25]
	s_waitcnt vmcnt(4)
	v_fma_f64 v[8:9], v[12:13], v[26:27], -v[20:21]
	v_add_f64 v[10:11], v[32:33], 0
	v_add_f64 v[4:5], v[4:5], v[6:7]
	v_fmac_f64_e32 v[36:37], v[14:15], v[26:27]
	v_add_f64 v[10:11], v[10:11], v[34:35]
	v_add_f64 v[4:5], v[4:5], v[8:9]
	v_add_f64 v[6:7], v[10:11], v[36:37]
	s_waitcnt vmcnt(2)
	v_add_f64 v[4:5], v[28:29], -v[4:5]
	s_waitcnt vmcnt(0)
	v_add_f64 v[6:7], v[30:31], -v[6:7]
	buffer_store_dword v4, off, s[0:3], 0 offset:624
	buffer_store_dword v5, off, s[0:3], 0 offset:628
	;; [unrolled: 1-line block ×4, first 2 shown]
	s_and_saveexec_b64 s[4:5], vcc
	s_cbranch_execz .LBB105_191
; %bb.190:
	v_accvgpr_read_b32 v0, a88
	buffer_load_dword v4, v0, s[0:3], 0 offen
	buffer_load_dword v5, v0, s[0:3], 0 offen offset:4
	buffer_load_dword v6, v0, s[0:3], 0 offen offset:8
	;; [unrolled: 1-line block ×3, first 2 shown]
	v_accvgpr_read_b32 v0, a126
	buffer_store_dword v2, off, s[0:3], 0 offset:608
	buffer_store_dword v2, off, s[0:3], 0 offset:612
	;; [unrolled: 1-line block ×4, first 2 shown]
	s_waitcnt vmcnt(4)
	ds_write_b128 v0, v[4:7]
.LBB105_191:
	s_or_b64 exec, exec, s[4:5]
	s_waitcnt lgkmcnt(0)
	; wave barrier
	s_waitcnt lgkmcnt(0)
	buffer_load_dword v20, off, s[0:3], 0 offset:632
	buffer_load_dword v21, off, s[0:3], 0 offset:636
	;; [unrolled: 1-line block ×20, first 2 shown]
	ds_read_b128 v[4:7], v2 offset:1280
	ds_read_b128 v[8:11], v2 offset:1296
	;; [unrolled: 1-line block ×4, first 2 shown]
	v_cmp_lt_u32_e32 vcc, 36, v118
	s_waitcnt vmcnt(18) lgkmcnt(3)
	v_mul_f64 v[2:3], v[4:5], v[20:21]
	v_mul_f64 v[20:21], v[6:7], v[20:21]
	s_waitcnt vmcnt(16) lgkmcnt(2)
	v_mul_f64 v[40:41], v[8:9], v[22:23]
	v_mul_f64 v[22:23], v[10:11], v[22:23]
	;; [unrolled: 3-line block ×4, first 2 shown]
	s_waitcnt vmcnt(10)
	v_fma_f64 v[4:5], v[4:5], v[28:29], -v[20:21]
	v_fmac_f64_e32 v[2:3], v[6:7], v[28:29]
	s_waitcnt vmcnt(8)
	v_fma_f64 v[6:7], v[8:9], v[30:31], -v[22:23]
	v_add_f64 v[4:5], v[4:5], 0
	v_fmac_f64_e32 v[40:41], v[10:11], v[30:31]
	s_waitcnt vmcnt(6)
	v_fma_f64 v[8:9], v[12:13], v[32:33], -v[24:25]
	v_add_f64 v[2:3], v[2:3], 0
	v_add_f64 v[4:5], v[4:5], v[6:7]
	v_fmac_f64_e32 v[42:43], v[14:15], v[32:33]
	s_waitcnt vmcnt(4)
	v_fma_f64 v[10:11], v[16:17], v[34:35], -v[26:27]
	v_add_f64 v[2:3], v[2:3], v[40:41]
	v_add_f64 v[4:5], v[4:5], v[8:9]
	v_fmac_f64_e32 v[44:45], v[18:19], v[34:35]
	v_add_f64 v[2:3], v[2:3], v[42:43]
	v_add_f64 v[4:5], v[4:5], v[10:11]
	;; [unrolled: 1-line block ×3, first 2 shown]
	s_waitcnt vmcnt(2)
	v_add_f64 v[4:5], v[36:37], -v[4:5]
	s_waitcnt vmcnt(0)
	v_add_f64 v[2:3], v[38:39], -v[2:3]
	buffer_store_dword v4, off, s[0:3], 0 offset:608
	buffer_store_dword v5, off, s[0:3], 0 offset:612
	;; [unrolled: 1-line block ×4, first 2 shown]
	s_and_saveexec_b64 s[4:5], vcc
	s_cbranch_execz .LBB105_193
; %bb.192:
	v_accvgpr_read_b32 v0, a89
	buffer_load_dword v2, v0, s[0:3], 0 offen
	buffer_load_dword v3, v0, s[0:3], 0 offen offset:4
	buffer_load_dword v4, v0, s[0:3], 0 offen offset:8
	buffer_load_dword v5, v0, s[0:3], 0 offen offset:12
	v_mov_b32_e32 v0, 0
	v_accvgpr_read_b32 v1, a126
	buffer_store_dword v0, off, s[0:3], 0 offset:592
	buffer_store_dword v0, off, s[0:3], 0 offset:596
	;; [unrolled: 1-line block ×4, first 2 shown]
	s_waitcnt vmcnt(4)
	ds_write_b128 v1, v[2:5]
.LBB105_193:
	s_or_b64 exec, exec, s[4:5]
	s_waitcnt lgkmcnt(0)
	; wave barrier
	s_waitcnt lgkmcnt(0)
	buffer_load_dword v24, off, s[0:3], 0 offset:616
	buffer_load_dword v25, off, s[0:3], 0 offset:620
	;; [unrolled: 1-line block ×24, first 2 shown]
	v_mov_b32_e32 v2, 0
	ds_read_b128 v[4:7], v2 offset:1264
	ds_read_b128 v[8:11], v2 offset:1280
	;; [unrolled: 1-line block ×5, first 2 shown]
	v_cmp_lt_u32_e32 vcc, 35, v118
	s_waitcnt vmcnt(22) lgkmcnt(4)
	v_mul_f64 v[48:49], v[4:5], v[24:25]
	v_mul_f64 v[24:25], v[6:7], v[24:25]
	s_waitcnt vmcnt(20) lgkmcnt(3)
	v_mul_f64 v[50:51], v[8:9], v[26:27]
	v_mul_f64 v[26:27], v[10:11], v[26:27]
	s_waitcnt vmcnt(18) lgkmcnt(2)
	v_mul_f64 v[52:53], v[12:13], v[28:29]
	v_mul_f64 v[28:29], v[14:15], v[28:29]
	s_waitcnt vmcnt(14) lgkmcnt(1)
	v_mul_f64 v[54:55], v[16:17], v[34:35]
	v_mul_f64 v[34:35], v[18:19], v[34:35]
	s_waitcnt vmcnt(13) lgkmcnt(0)
	v_mul_f64 v[56:57], v[20:21], v[30:31]
	s_waitcnt vmcnt(11)
	v_fma_f64 v[4:5], v[4:5], v[36:37], -v[24:25]
	v_fmac_f64_e32 v[48:49], v[6:7], v[36:37]
	s_waitcnt vmcnt(9)
	v_fma_f64 v[6:7], v[8:9], v[38:39], -v[26:27]
	v_add_f64 v[4:5], v[4:5], 0
	v_fmac_f64_e32 v[50:51], v[10:11], v[38:39]
	s_waitcnt vmcnt(7)
	v_fmac_f64_e32 v[52:53], v[14:15], v[40:41]
	v_fma_f64 v[8:9], v[12:13], v[40:41], -v[28:29]
	v_add_f64 v[14:15], v[48:49], 0
	v_add_f64 v[4:5], v[4:5], v[6:7]
	v_mul_f64 v[30:31], v[22:23], v[30:31]
	s_waitcnt vmcnt(5)
	v_fma_f64 v[10:11], v[16:17], v[42:43], -v[34:35]
	v_add_f64 v[14:15], v[14:15], v[50:51]
	v_add_f64 v[4:5], v[4:5], v[8:9]
	v_fmac_f64_e32 v[54:55], v[18:19], v[42:43]
	s_waitcnt vmcnt(4)
	v_fma_f64 v[12:13], v[20:21], v[32:33], -v[30:31]
	v_add_f64 v[6:7], v[14:15], v[52:53]
	v_add_f64 v[4:5], v[4:5], v[10:11]
	v_fmac_f64_e32 v[56:57], v[22:23], v[32:33]
	v_add_f64 v[6:7], v[6:7], v[54:55]
	v_add_f64 v[4:5], v[4:5], v[12:13]
	;; [unrolled: 1-line block ×3, first 2 shown]
	s_waitcnt vmcnt(2)
	v_add_f64 v[4:5], v[44:45], -v[4:5]
	s_waitcnt vmcnt(0)
	v_add_f64 v[6:7], v[46:47], -v[6:7]
	buffer_store_dword v5, off, s[0:3], 0 offset:596
	buffer_store_dword v4, off, s[0:3], 0 offset:592
	;; [unrolled: 1-line block ×4, first 2 shown]
	s_and_saveexec_b64 s[4:5], vcc
	s_cbranch_execz .LBB105_195
; %bb.194:
	v_accvgpr_read_b32 v0, a90
	buffer_load_dword v4, v0, s[0:3], 0 offen
	buffer_load_dword v5, v0, s[0:3], 0 offen offset:4
	buffer_load_dword v6, v0, s[0:3], 0 offen offset:8
	;; [unrolled: 1-line block ×3, first 2 shown]
	v_accvgpr_read_b32 v0, a126
	buffer_store_dword v2, off, s[0:3], 0 offset:576
	buffer_store_dword v2, off, s[0:3], 0 offset:580
	;; [unrolled: 1-line block ×4, first 2 shown]
	s_waitcnt vmcnt(4)
	ds_write_b128 v0, v[4:7]
.LBB105_195:
	s_or_b64 exec, exec, s[4:5]
	s_waitcnt lgkmcnt(0)
	; wave barrier
	s_waitcnt lgkmcnt(0)
	buffer_load_dword v28, off, s[0:3], 0 offset:600
	buffer_load_dword v29, off, s[0:3], 0 offset:604
	;; [unrolled: 1-line block ×28, first 2 shown]
	ds_read_b128 v[4:7], v2 offset:1248
	ds_read_b128 v[8:11], v2 offset:1264
	;; [unrolled: 1-line block ×6, first 2 shown]
	v_cmp_lt_u32_e32 vcc, 34, v118
	s_waitcnt vmcnt(26) lgkmcnt(5)
	v_mul_f64 v[2:3], v[4:5], v[28:29]
	v_mul_f64 v[28:29], v[6:7], v[28:29]
	s_waitcnt vmcnt(24) lgkmcnt(4)
	v_mul_f64 v[56:57], v[8:9], v[30:31]
	v_mul_f64 v[30:31], v[10:11], v[30:31]
	;; [unrolled: 3-line block ×4, first 2 shown]
	s_waitcnt vmcnt(17)
	v_mul_f64 v[60:61], v[16:17], v[38:39]
	v_mul_f64 v[38:39], v[18:19], v[38:39]
	s_waitcnt vmcnt(15) lgkmcnt(0)
	v_mul_f64 v[64:65], v[24:25], v[40:41]
	v_mul_f64 v[40:41], v[26:27], v[40:41]
	s_waitcnt vmcnt(14)
	v_fmac_f64_e32 v[62:63], v[22:23], v[36:37]
	s_waitcnt vmcnt(12)
	v_fma_f64 v[4:5], v[4:5], v[42:43], -v[28:29]
	v_fmac_f64_e32 v[2:3], v[6:7], v[42:43]
	s_waitcnt vmcnt(10)
	v_fma_f64 v[6:7], v[8:9], v[44:45], -v[30:31]
	v_add_f64 v[4:5], v[4:5], 0
	v_fmac_f64_e32 v[56:57], v[10:11], v[44:45]
	s_waitcnt vmcnt(8)
	v_fma_f64 v[8:9], v[12:13], v[46:47], -v[32:33]
	v_add_f64 v[2:3], v[2:3], 0
	v_add_f64 v[4:5], v[4:5], v[6:7]
	v_fmac_f64_e32 v[58:59], v[14:15], v[46:47]
	s_waitcnt vmcnt(6)
	v_fma_f64 v[10:11], v[16:17], v[48:49], -v[38:39]
	v_add_f64 v[2:3], v[2:3], v[56:57]
	v_add_f64 v[4:5], v[4:5], v[8:9]
	v_fmac_f64_e32 v[60:61], v[18:19], v[48:49]
	v_fma_f64 v[12:13], v[20:21], v[36:37], -v[34:35]
	v_add_f64 v[2:3], v[2:3], v[58:59]
	v_add_f64 v[4:5], v[4:5], v[10:11]
	s_waitcnt vmcnt(4)
	v_fma_f64 v[14:15], v[24:25], v[50:51], -v[40:41]
	v_add_f64 v[2:3], v[2:3], v[60:61]
	v_add_f64 v[4:5], v[4:5], v[12:13]
	v_fmac_f64_e32 v[64:65], v[26:27], v[50:51]
	v_add_f64 v[2:3], v[2:3], v[62:63]
	v_add_f64 v[4:5], v[4:5], v[14:15]
	;; [unrolled: 1-line block ×3, first 2 shown]
	s_waitcnt vmcnt(2)
	v_add_f64 v[4:5], v[52:53], -v[4:5]
	s_waitcnt vmcnt(0)
	v_add_f64 v[2:3], v[54:55], -v[2:3]
	buffer_store_dword v5, off, s[0:3], 0 offset:580
	buffer_store_dword v4, off, s[0:3], 0 offset:576
	;; [unrolled: 1-line block ×4, first 2 shown]
	s_and_saveexec_b64 s[4:5], vcc
	s_cbranch_execz .LBB105_197
; %bb.196:
	v_accvgpr_read_b32 v0, a91
	buffer_load_dword v2, v0, s[0:3], 0 offen
	buffer_load_dword v3, v0, s[0:3], 0 offen offset:4
	buffer_load_dword v4, v0, s[0:3], 0 offen offset:8
	;; [unrolled: 1-line block ×3, first 2 shown]
	v_mov_b32_e32 v0, 0
	v_accvgpr_read_b32 v1, a126
	buffer_store_dword v0, off, s[0:3], 0 offset:560
	buffer_store_dword v0, off, s[0:3], 0 offset:564
	;; [unrolled: 1-line block ×4, first 2 shown]
	s_waitcnt vmcnt(4)
	ds_write_b128 v1, v[2:5]
.LBB105_197:
	s_or_b64 exec, exec, s[4:5]
	s_waitcnt lgkmcnt(0)
	; wave barrier
	s_waitcnt lgkmcnt(0)
	buffer_load_dword v32, off, s[0:3], 0 offset:584
	buffer_load_dword v33, off, s[0:3], 0 offset:588
	;; [unrolled: 1-line block ×32, first 2 shown]
	v_mov_b32_e32 v2, 0
	ds_read_b128 v[4:7], v2 offset:1232
	ds_read_b128 v[8:11], v2 offset:1248
	;; [unrolled: 1-line block ×7, first 2 shown]
	v_cmp_lt_u32_e32 vcc, 33, v118
	s_waitcnt vmcnt(30) lgkmcnt(6)
	v_mul_f64 v[64:65], v[4:5], v[32:33]
	v_mul_f64 v[32:33], v[6:7], v[32:33]
	s_waitcnt vmcnt(28) lgkmcnt(5)
	v_mul_f64 v[66:67], v[8:9], v[34:35]
	v_mul_f64 v[34:35], v[10:11], v[34:35]
	;; [unrolled: 3-line block ×4, first 2 shown]
	s_waitcnt vmcnt(21)
	v_mul_f64 v[70:71], v[16:17], v[42:43]
	v_mul_f64 v[42:43], v[18:19], v[42:43]
	s_waitcnt vmcnt(17) lgkmcnt(1)
	v_mul_f64 v[74:75], v[24:25], v[48:49]
	v_mul_f64 v[48:49], v[26:27], v[48:49]
	s_waitcnt vmcnt(16) lgkmcnt(0)
	v_mul_f64 v[76:77], v[28:29], v[44:45]
	v_mul_f64 v[44:45], v[30:31], v[44:45]
	s_waitcnt vmcnt(13)
	v_fma_f64 v[4:5], v[4:5], v[50:51], -v[32:33]
	v_fmac_f64_e32 v[64:65], v[6:7], v[50:51]
	s_waitcnt vmcnt(11)
	v_fma_f64 v[6:7], v[8:9], v[52:53], -v[34:35]
	v_add_f64 v[4:5], v[4:5], 0
	v_fmac_f64_e32 v[66:67], v[10:11], v[52:53]
	s_waitcnt vmcnt(9)
	v_fma_f64 v[8:9], v[12:13], v[54:55], -v[36:37]
	s_waitcnt vmcnt(7)
	v_fmac_f64_e32 v[70:71], v[18:19], v[56:57]
	v_add_f64 v[18:19], v[64:65], 0
	v_add_f64 v[4:5], v[4:5], v[6:7]
	v_fmac_f64_e32 v[68:69], v[14:15], v[54:55]
	v_fma_f64 v[10:11], v[16:17], v[56:57], -v[42:43]
	v_add_f64 v[18:19], v[18:19], v[66:67]
	v_add_f64 v[4:5], v[4:5], v[8:9]
	v_fma_f64 v[12:13], v[20:21], v[40:41], -v[38:39]
	v_add_f64 v[6:7], v[18:19], v[68:69]
	v_add_f64 v[4:5], v[4:5], v[10:11]
	v_fmac_f64_e32 v[72:73], v[22:23], v[40:41]
	s_waitcnt vmcnt(5)
	v_fma_f64 v[14:15], v[24:25], v[58:59], -v[48:49]
	v_add_f64 v[6:7], v[6:7], v[70:71]
	v_add_f64 v[4:5], v[4:5], v[12:13]
	v_fmac_f64_e32 v[74:75], v[26:27], v[58:59]
	s_waitcnt vmcnt(4)
	v_fma_f64 v[16:17], v[28:29], v[46:47], -v[44:45]
	v_add_f64 v[6:7], v[6:7], v[72:73]
	v_add_f64 v[4:5], v[4:5], v[14:15]
	v_fmac_f64_e32 v[76:77], v[30:31], v[46:47]
	v_add_f64 v[6:7], v[6:7], v[74:75]
	v_add_f64 v[4:5], v[4:5], v[16:17]
	;; [unrolled: 1-line block ×3, first 2 shown]
	s_waitcnt vmcnt(2)
	v_add_f64 v[4:5], v[60:61], -v[4:5]
	s_waitcnt vmcnt(0)
	v_add_f64 v[6:7], v[62:63], -v[6:7]
	buffer_store_dword v5, off, s[0:3], 0 offset:564
	buffer_store_dword v4, off, s[0:3], 0 offset:560
	;; [unrolled: 1-line block ×4, first 2 shown]
	s_and_saveexec_b64 s[4:5], vcc
	s_cbranch_execz .LBB105_199
; %bb.198:
	v_accvgpr_read_b32 v0, a92
	buffer_load_dword v4, v0, s[0:3], 0 offen
	buffer_load_dword v5, v0, s[0:3], 0 offen offset:4
	buffer_load_dword v6, v0, s[0:3], 0 offen offset:8
	;; [unrolled: 1-line block ×3, first 2 shown]
	v_accvgpr_read_b32 v0, a126
	buffer_store_dword v2, off, s[0:3], 0 offset:544
	buffer_store_dword v2, off, s[0:3], 0 offset:548
	buffer_store_dword v2, off, s[0:3], 0 offset:552
	buffer_store_dword v2, off, s[0:3], 0 offset:556
	s_waitcnt vmcnt(4)
	ds_write_b128 v0, v[4:7]
.LBB105_199:
	s_or_b64 exec, exec, s[4:5]
	s_waitcnt lgkmcnt(0)
	; wave barrier
	s_waitcnt lgkmcnt(0)
	buffer_load_dword v36, off, s[0:3], 0 offset:568
	buffer_load_dword v37, off, s[0:3], 0 offset:572
	;; [unrolled: 1-line block ×36, first 2 shown]
	ds_read_b128 v[4:7], v2 offset:1216
	ds_read_b128 v[8:11], v2 offset:1232
	;; [unrolled: 1-line block ×8, first 2 shown]
	v_cmp_lt_u32_e32 vcc, 32, v118
	s_waitcnt vmcnt(34) lgkmcnt(7)
	v_mul_f64 v[2:3], v[4:5], v[36:37]
	v_mul_f64 v[36:37], v[6:7], v[36:37]
	s_waitcnt vmcnt(32) lgkmcnt(6)
	v_mul_f64 v[72:73], v[8:9], v[38:39]
	v_mul_f64 v[38:39], v[10:11], v[38:39]
	;; [unrolled: 3-line block ×4, first 2 shown]
	s_waitcnt vmcnt(25)
	v_mul_f64 v[76:77], v[16:17], v[46:47]
	v_mul_f64 v[46:47], v[18:19], v[46:47]
	s_waitcnt vmcnt(23) lgkmcnt(1)
	v_mul_f64 v[82:83], v[28:29], v[48:49]
	v_mul_f64 v[48:49], v[30:31], v[48:49]
	s_waitcnt vmcnt(20)
	v_mul_f64 v[80:81], v[24:25], v[52:53]
	v_mul_f64 v[52:53], v[26:27], v[52:53]
	s_waitcnt vmcnt(18) lgkmcnt(0)
	v_mul_f64 v[84:85], v[32:33], v[54:55]
	s_waitcnt vmcnt(17)
	v_fmac_f64_e32 v[78:79], v[22:23], v[44:45]
	s_waitcnt vmcnt(16)
	v_fmac_f64_e32 v[82:83], v[30:31], v[50:51]
	s_waitcnt vmcnt(14)
	v_fma_f64 v[4:5], v[4:5], v[56:57], -v[36:37]
	v_fmac_f64_e32 v[2:3], v[6:7], v[56:57]
	s_waitcnt vmcnt(12)
	v_fma_f64 v[6:7], v[8:9], v[58:59], -v[38:39]
	v_add_f64 v[4:5], v[4:5], 0
	v_fmac_f64_e32 v[72:73], v[10:11], v[58:59]
	s_waitcnt vmcnt(10)
	v_fma_f64 v[8:9], v[12:13], v[60:61], -v[40:41]
	v_add_f64 v[2:3], v[2:3], 0
	v_add_f64 v[4:5], v[4:5], v[6:7]
	v_fmac_f64_e32 v[74:75], v[14:15], v[60:61]
	s_waitcnt vmcnt(8)
	v_fma_f64 v[10:11], v[16:17], v[62:63], -v[46:47]
	v_add_f64 v[2:3], v[2:3], v[72:73]
	v_add_f64 v[4:5], v[4:5], v[8:9]
	v_fmac_f64_e32 v[76:77], v[18:19], v[62:63]
	v_fma_f64 v[12:13], v[20:21], v[44:45], -v[42:43]
	v_add_f64 v[2:3], v[2:3], v[74:75]
	v_add_f64 v[4:5], v[4:5], v[10:11]
	s_waitcnt vmcnt(6)
	v_fma_f64 v[14:15], v[24:25], v[64:65], -v[52:53]
	v_add_f64 v[2:3], v[2:3], v[76:77]
	v_add_f64 v[4:5], v[4:5], v[12:13]
	v_fmac_f64_e32 v[80:81], v[26:27], v[64:65]
	v_fma_f64 v[16:17], v[28:29], v[50:51], -v[48:49]
	v_add_f64 v[2:3], v[2:3], v[78:79]
	v_add_f64 v[4:5], v[4:5], v[14:15]
	v_mul_f64 v[6:7], v[34:35], v[54:55]
	v_add_f64 v[2:3], v[2:3], v[80:81]
	v_add_f64 v[4:5], v[4:5], v[16:17]
	s_waitcnt vmcnt(4)
	v_fma_f64 v[6:7], v[32:33], v[66:67], -v[6:7]
	v_fmac_f64_e32 v[84:85], v[34:35], v[66:67]
	v_add_f64 v[2:3], v[2:3], v[82:83]
	v_add_f64 v[4:5], v[4:5], v[6:7]
	v_add_f64 v[2:3], v[2:3], v[84:85]
	s_waitcnt vmcnt(2)
	v_add_f64 v[4:5], v[68:69], -v[4:5]
	s_waitcnt vmcnt(0)
	v_add_f64 v[2:3], v[70:71], -v[2:3]
	buffer_store_dword v5, off, s[0:3], 0 offset:548
	buffer_store_dword v4, off, s[0:3], 0 offset:544
	;; [unrolled: 1-line block ×4, first 2 shown]
	s_and_saveexec_b64 s[4:5], vcc
	s_cbranch_execz .LBB105_201
; %bb.200:
	v_accvgpr_read_b32 v0, a93
	buffer_load_dword v2, v0, s[0:3], 0 offen
	buffer_load_dword v3, v0, s[0:3], 0 offen offset:4
	buffer_load_dword v4, v0, s[0:3], 0 offen offset:8
	;; [unrolled: 1-line block ×3, first 2 shown]
	v_mov_b32_e32 v0, 0
	v_accvgpr_read_b32 v1, a126
	buffer_store_dword v0, off, s[0:3], 0 offset:528
	buffer_store_dword v0, off, s[0:3], 0 offset:532
	;; [unrolled: 1-line block ×4, first 2 shown]
	s_waitcnt vmcnt(4)
	ds_write_b128 v1, v[2:5]
.LBB105_201:
	s_or_b64 exec, exec, s[4:5]
	s_waitcnt lgkmcnt(0)
	; wave barrier
	s_waitcnt lgkmcnt(0)
	buffer_load_dword v40, off, s[0:3], 0 offset:552
	buffer_load_dword v41, off, s[0:3], 0 offset:556
	;; [unrolled: 1-line block ×40, first 2 shown]
	v_mov_b32_e32 v6, 0
	ds_read_b128 v[2:5], v6 offset:1200
	ds_read_b128 v[8:11], v6 offset:1216
	ds_read_b128 v[12:15], v6 offset:1232
	ds_read_b128 v[16:19], v6 offset:1248
	ds_read_b128 v[20:23], v6 offset:1264
	ds_read_b128 v[24:27], v6 offset:1280
	ds_read_b128 v[28:31], v6 offset:1296
	ds_read_b128 v[32:35], v6 offset:1312
	ds_read_b128 v[36:39], v6 offset:1328
	v_cmp_lt_u32_e32 vcc, 31, v118
	s_waitcnt vmcnt(38) lgkmcnt(8)
	v_mul_f64 v[80:81], v[2:3], v[40:41]
	v_mul_f64 v[40:41], v[4:5], v[40:41]
	s_waitcnt vmcnt(36) lgkmcnt(7)
	v_mul_f64 v[82:83], v[8:9], v[42:43]
	v_mul_f64 v[42:43], v[10:11], v[42:43]
	;; [unrolled: 3-line block ×3, first 2 shown]
	s_waitcnt vmcnt(32) lgkmcnt(4)
	v_mul_f64 v[88:89], v[20:21], v[46:47]
	s_waitcnt vmcnt(30)
	v_fmac_f64_e32 v[88:89], v[22:23], v[48:49]
	s_waitcnt vmcnt(28)
	v_mul_f64 v[86:87], v[16:17], v[50:51]
	v_mul_f64 v[50:51], v[18:19], v[50:51]
	s_waitcnt vmcnt(26) lgkmcnt(2)
	v_mul_f64 v[92:93], v[28:29], v[52:53]
	s_waitcnt vmcnt(24)
	v_fmac_f64_e32 v[92:93], v[30:31], v[54:55]
	s_waitcnt vmcnt(22)
	v_mul_f64 v[90:91], v[24:25], v[56:57]
	s_waitcnt vmcnt(18) lgkmcnt(1)
	v_mul_f64 v[94:95], v[32:33], v[62:63]
	s_waitcnt vmcnt(17) lgkmcnt(0)
	v_mul_f64 v[96:97], v[36:37], v[58:59]
	s_waitcnt vmcnt(15)
	v_fma_f64 v[2:3], v[2:3], v[64:65], -v[40:41]
	v_fmac_f64_e32 v[80:81], v[4:5], v[64:65]
	s_waitcnt vmcnt(13)
	v_fma_f64 v[4:5], v[8:9], v[66:67], -v[42:43]
	v_add_f64 v[2:3], v[2:3], 0
	s_waitcnt vmcnt(11)
	v_fma_f64 v[8:9], v[12:13], v[68:69], -v[44:45]
	v_add_f64 v[2:3], v[2:3], v[4:5]
	v_fmac_f64_e32 v[82:83], v[10:11], v[66:67]
	s_waitcnt vmcnt(9)
	v_fma_f64 v[10:11], v[16:17], v[70:71], -v[50:51]
	v_add_f64 v[2:3], v[2:3], v[8:9]
	v_mul_f64 v[8:9], v[22:23], v[46:47]
	v_add_f64 v[2:3], v[2:3], v[10:11]
	v_fma_f64 v[8:9], v[20:21], v[48:49], -v[8:9]
	v_add_f64 v[2:3], v[2:3], v[8:9]
	v_mul_f64 v[8:9], v[26:27], v[56:57]
	v_add_f64 v[12:13], v[80:81], 0
	s_waitcnt vmcnt(7)
	v_fma_f64 v[8:9], v[24:25], v[72:73], -v[8:9]
	v_fmac_f64_e32 v[84:85], v[14:15], v[68:69]
	v_add_f64 v[12:13], v[12:13], v[82:83]
	v_add_f64 v[2:3], v[2:3], v[8:9]
	v_mul_f64 v[8:9], v[30:31], v[52:53]
	v_fmac_f64_e32 v[86:87], v[18:19], v[70:71]
	v_add_f64 v[4:5], v[12:13], v[84:85]
	v_fma_f64 v[8:9], v[28:29], v[54:55], -v[8:9]
	v_add_f64 v[4:5], v[4:5], v[86:87]
	v_add_f64 v[2:3], v[2:3], v[8:9]
	v_mul_f64 v[8:9], v[34:35], v[62:63]
	v_fmac_f64_e32 v[90:91], v[26:27], v[72:73]
	v_add_f64 v[4:5], v[4:5], v[88:89]
	s_waitcnt vmcnt(5)
	v_fma_f64 v[8:9], v[32:33], v[74:75], -v[8:9]
	v_add_f64 v[4:5], v[4:5], v[90:91]
	v_add_f64 v[2:3], v[2:3], v[8:9]
	v_mul_f64 v[8:9], v[38:39], v[58:59]
	v_fmac_f64_e32 v[94:95], v[34:35], v[74:75]
	v_add_f64 v[4:5], v[4:5], v[92:93]
	s_waitcnt vmcnt(4)
	v_fma_f64 v[8:9], v[36:37], v[60:61], -v[8:9]
	v_fmac_f64_e32 v[96:97], v[38:39], v[60:61]
	v_add_f64 v[4:5], v[4:5], v[94:95]
	v_add_f64 v[2:3], v[2:3], v[8:9]
	v_add_f64 v[4:5], v[4:5], v[96:97]
	s_waitcnt vmcnt(2)
	v_add_f64 v[2:3], v[76:77], -v[2:3]
	s_waitcnt vmcnt(0)
	v_add_f64 v[4:5], v[78:79], -v[4:5]
	buffer_store_dword v3, off, s[0:3], 0 offset:532
	buffer_store_dword v2, off, s[0:3], 0 offset:528
	;; [unrolled: 1-line block ×4, first 2 shown]
	s_and_saveexec_b64 s[4:5], vcc
	s_cbranch_execz .LBB105_203
; %bb.202:
	v_accvgpr_read_b32 v0, a94
	buffer_load_dword v2, v0, s[0:3], 0 offen
	buffer_load_dword v3, v0, s[0:3], 0 offen offset:4
	buffer_load_dword v4, v0, s[0:3], 0 offen offset:8
	;; [unrolled: 1-line block ×3, first 2 shown]
	v_accvgpr_read_b32 v0, a126
	buffer_store_dword v6, off, s[0:3], 0 offset:512
	buffer_store_dword v6, off, s[0:3], 0 offset:516
	;; [unrolled: 1-line block ×4, first 2 shown]
	s_waitcnt vmcnt(4)
	ds_write_b128 v0, v[2:5]
.LBB105_203:
	s_or_b64 exec, exec, s[4:5]
	s_waitcnt lgkmcnt(0)
	; wave barrier
	s_waitcnt lgkmcnt(0)
	buffer_load_dword v4, off, s[0:3], 0 offset:528
	buffer_load_dword v5, off, s[0:3], 0 offset:532
	buffer_load_dword v48, off, s[0:3], 0 offset:536
	buffer_load_dword v49, off, s[0:3], 0 offset:540
	buffer_load_dword v50, off, s[0:3], 0 offset:552
	buffer_load_dword v51, off, s[0:3], 0 offset:556
	buffer_load_dword v2, off, s[0:3], 0 offset:568
	buffer_load_dword v3, off, s[0:3], 0 offset:572
	buffer_load_dword v53, off, s[0:3], 0 offset:604
	buffer_load_dword v52, off, s[0:3], 0 offset:600
	buffer_load_dword v55, off, s[0:3], 0 offset:596
	buffer_load_dword v54, off, s[0:3], 0 offset:592
	buffer_load_dword v57, off, s[0:3], 0 offset:588
	buffer_load_dword v56, off, s[0:3], 0 offset:584
	buffer_load_dword v59, off, s[0:3], 0 offset:636
	buffer_load_dword v58, off, s[0:3], 0 offset:632
	buffer_load_dword v61, off, s[0:3], 0 offset:628
	buffer_load_dword v60, off, s[0:3], 0 offset:624
	buffer_load_dword v63, off, s[0:3], 0 offset:620
	buffer_load_dword v62, off, s[0:3], 0 offset:616
	buffer_load_dword v65, off, s[0:3], 0 offset:668
	buffer_load_dword v64, off, s[0:3], 0 offset:664
	buffer_load_dword v67, off, s[0:3], 0 offset:660
	buffer_load_dword v66, off, s[0:3], 0 offset:656
	buffer_load_dword v69, off, s[0:3], 0 offset:652
	buffer_load_dword v68, off, s[0:3], 0 offset:648
	buffer_load_dword v71, off, s[0:3], 0 offset:684
	buffer_load_dword v70, off, s[0:3], 0 offset:680
	buffer_load_dword v72, off, s[0:3], 0 offset:544
	buffer_load_dword v73, off, s[0:3], 0 offset:548
	buffer_load_dword v74, off, s[0:3], 0 offset:560
	buffer_load_dword v75, off, s[0:3], 0 offset:564
	buffer_load_dword v77, off, s[0:3], 0 offset:580
	buffer_load_dword v76, off, s[0:3], 0 offset:576
	buffer_load_dword v79, off, s[0:3], 0 offset:612
	buffer_load_dword v78, off, s[0:3], 0 offset:608
	buffer_load_dword v81, off, s[0:3], 0 offset:644
	buffer_load_dword v80, off, s[0:3], 0 offset:640
	buffer_load_dword v83, off, s[0:3], 0 offset:676
	buffer_load_dword v82, off, s[0:3], 0 offset:672
	buffer_load_dword v84, off, s[0:3], 0 offset:512
	buffer_load_dword v85, off, s[0:3], 0 offset:516
	buffer_load_dword v86, off, s[0:3], 0 offset:520
	buffer_load_dword v87, off, s[0:3], 0 offset:524
	ds_read_b128 v[8:11], v6 offset:1184
	ds_read_b128 v[12:15], v6 offset:1200
	;; [unrolled: 1-line block ×10, first 2 shown]
	v_cmp_lt_u32_e32 vcc, 30, v118
	s_waitcnt vmcnt(40) lgkmcnt(9)
	v_mul_f64 v[6:7], v[8:9], v[48:49]
	v_mul_f64 v[48:49], v[10:11], v[48:49]
	s_waitcnt vmcnt(38) lgkmcnt(8)
	v_mul_f64 v[88:89], v[12:13], v[50:51]
	v_mul_f64 v[50:51], v[14:15], v[50:51]
	v_fmac_f64_e32 v[6:7], v[10:11], v[4:5]
	v_fma_f64 v[4:5], v[8:9], v[4:5], -v[48:49]
	s_waitcnt vmcnt(36) lgkmcnt(7)
	v_mul_f64 v[90:91], v[16:17], v[2:3]
	v_add_f64 v[4:5], v[4:5], 0
	v_mul_f64 v[2:3], v[18:19], v[2:3]
	v_add_f64 v[6:7], v[6:7], 0
	s_waitcnt vmcnt(30) lgkmcnt(6)
	v_mul_f64 v[92:93], v[20:21], v[56:57]
	s_waitcnt lgkmcnt(5)
	v_mul_f64 v[94:95], v[24:25], v[52:53]
	v_fmac_f64_e32 v[94:95], v[26:27], v[54:55]
	s_waitcnt vmcnt(28) lgkmcnt(3)
	v_mul_f64 v[98:99], v[32:33], v[58:59]
	s_waitcnt vmcnt(26)
	v_fmac_f64_e32 v[98:99], v[34:35], v[60:61]
	s_waitcnt vmcnt(24)
	v_mul_f64 v[96:97], v[28:29], v[62:63]
	s_waitcnt vmcnt(22) lgkmcnt(1)
	v_mul_f64 v[102:103], v[40:41], v[64:65]
	s_waitcnt vmcnt(20)
	v_fmac_f64_e32 v[102:103], v[42:43], v[66:67]
	s_waitcnt vmcnt(18)
	v_mul_f64 v[100:101], v[36:37], v[68:69]
	s_waitcnt vmcnt(16) lgkmcnt(0)
	v_mul_f64 v[104:105], v[44:45], v[70:71]
	s_waitcnt vmcnt(14)
	v_fma_f64 v[8:9], v[12:13], v[72:73], -v[50:51]
	v_add_f64 v[4:5], v[4:5], v[8:9]
	s_waitcnt vmcnt(12)
	v_fma_f64 v[2:3], v[16:17], v[74:75], -v[2:3]
	v_add_f64 v[2:3], v[4:5], v[2:3]
	v_mul_f64 v[4:5], v[22:23], v[56:57]
	s_waitcnt vmcnt(10)
	v_fma_f64 v[4:5], v[20:21], v[76:77], -v[4:5]
	v_add_f64 v[2:3], v[2:3], v[4:5]
	v_mul_f64 v[4:5], v[26:27], v[52:53]
	v_fma_f64 v[4:5], v[24:25], v[54:55], -v[4:5]
	v_add_f64 v[2:3], v[2:3], v[4:5]
	v_mul_f64 v[4:5], v[30:31], v[62:63]
	s_waitcnt vmcnt(8)
	v_fma_f64 v[4:5], v[28:29], v[78:79], -v[4:5]
	v_fmac_f64_e32 v[88:89], v[14:15], v[72:73]
	v_add_f64 v[2:3], v[2:3], v[4:5]
	v_mul_f64 v[4:5], v[34:35], v[58:59]
	v_fmac_f64_e32 v[90:91], v[18:19], v[74:75]
	v_add_f64 v[6:7], v[6:7], v[88:89]
	v_fma_f64 v[4:5], v[32:33], v[60:61], -v[4:5]
	v_fmac_f64_e32 v[92:93], v[22:23], v[76:77]
	v_add_f64 v[6:7], v[6:7], v[90:91]
	v_add_f64 v[2:3], v[2:3], v[4:5]
	v_mul_f64 v[4:5], v[38:39], v[68:69]
	v_add_f64 v[6:7], v[6:7], v[92:93]
	s_waitcnt vmcnt(6)
	v_fma_f64 v[4:5], v[36:37], v[80:81], -v[4:5]
	v_fmac_f64_e32 v[96:97], v[30:31], v[78:79]
	v_add_f64 v[6:7], v[6:7], v[94:95]
	v_add_f64 v[2:3], v[2:3], v[4:5]
	v_mul_f64 v[4:5], v[42:43], v[64:65]
	v_add_f64 v[6:7], v[6:7], v[96:97]
	v_fma_f64 v[4:5], v[40:41], v[66:67], -v[4:5]
	v_fmac_f64_e32 v[100:101], v[38:39], v[80:81]
	v_add_f64 v[6:7], v[6:7], v[98:99]
	v_add_f64 v[2:3], v[2:3], v[4:5]
	v_mul_f64 v[4:5], v[46:47], v[70:71]
	v_add_f64 v[6:7], v[6:7], v[100:101]
	s_waitcnt vmcnt(4)
	v_fma_f64 v[4:5], v[44:45], v[82:83], -v[4:5]
	v_fmac_f64_e32 v[104:105], v[46:47], v[82:83]
	v_add_f64 v[6:7], v[6:7], v[102:103]
	v_add_f64 v[2:3], v[2:3], v[4:5]
	v_add_f64 v[6:7], v[6:7], v[104:105]
	s_waitcnt vmcnt(2)
	v_add_f64 v[2:3], v[84:85], -v[2:3]
	s_waitcnt vmcnt(0)
	v_add_f64 v[4:5], v[86:87], -v[6:7]
	buffer_store_dword v3, off, s[0:3], 0 offset:516
	buffer_store_dword v2, off, s[0:3], 0 offset:512
	;; [unrolled: 1-line block ×4, first 2 shown]
	s_and_saveexec_b64 s[4:5], vcc
	s_cbranch_execz .LBB105_205
; %bb.204:
	v_accvgpr_read_b32 v0, a95
	buffer_load_dword v2, v0, s[0:3], 0 offen
	buffer_load_dword v3, v0, s[0:3], 0 offen offset:4
	buffer_load_dword v4, v0, s[0:3], 0 offen offset:8
	;; [unrolled: 1-line block ×3, first 2 shown]
	v_mov_b32_e32 v0, 0
	v_accvgpr_read_b32 v1, a126
	buffer_store_dword v0, off, s[0:3], 0 offset:496
	buffer_store_dword v0, off, s[0:3], 0 offset:500
	buffer_store_dword v0, off, s[0:3], 0 offset:504
	buffer_store_dword v0, off, s[0:3], 0 offset:508
	s_waitcnt vmcnt(4)
	ds_write_b128 v1, v[2:5]
.LBB105_205:
	s_or_b64 exec, exec, s[4:5]
	s_waitcnt lgkmcnt(0)
	; wave barrier
	s_waitcnt lgkmcnt(0)
	buffer_load_dword v2, off, s[0:3], 0 offset:512
	buffer_load_dword v3, off, s[0:3], 0 offset:516
	;; [unrolled: 1-line block ×48, first 2 shown]
	v_mov_b32_e32 v12, 0
	ds_read_b128 v[14:17], v12 offset:1168
	ds_read_b128 v[18:21], v12 offset:1184
	;; [unrolled: 1-line block ×11, first 2 shown]
	v_cmp_lt_u32_e32 vcc, 29, v118
	s_waitcnt vmcnt(44) lgkmcnt(10)
	v_mul_f64 v[96:97], v[14:15], v[6:7]
	v_mul_f64 v[6:7], v[16:17], v[6:7]
	v_fmac_f64_e32 v[96:97], v[16:17], v[2:3]
	v_fma_f64 v[2:3], v[14:15], v[2:3], -v[6:7]
	s_waitcnt vmcnt(40) lgkmcnt(9)
	v_mul_f64 v[98:99], v[18:19], v[8:9]
	v_mul_f64 v[6:7], v[20:21], v[8:9]
	v_fmac_f64_e32 v[98:99], v[20:21], v[4:5]
	v_add_f64 v[2:3], v[2:3], 0
	v_fma_f64 v[4:5], v[18:19], v[4:5], -v[6:7]
	v_add_f64 v[2:3], v[2:3], v[4:5]
	s_waitcnt vmcnt(38) lgkmcnt(8)
	v_mul_f64 v[4:5], v[24:25], v[10:11]
	v_mul_f64 v[100:101], v[22:23], v[10:11]
	v_add_f64 v[96:97], v[96:97], 0
	s_waitcnt vmcnt(32) lgkmcnt(7)
	v_mul_f64 v[102:103], v[26:27], v[62:63]
	v_add_f64 v[96:97], v[96:97], v[98:99]
	s_waitcnt lgkmcnt(6)
	v_mul_f64 v[104:105], v[30:31], v[58:59]
	v_fmac_f64_e32 v[104:105], v[32:33], v[60:61]
	s_waitcnt vmcnt(30) lgkmcnt(4)
	v_mul_f64 v[108:109], v[38:39], v[64:65]
	s_waitcnt vmcnt(26)
	v_mul_f64 v[106:107], v[34:35], v[68:69]
	v_fmac_f64_e32 v[108:109], v[40:41], v[66:67]
	s_waitcnt vmcnt(24) lgkmcnt(2)
	v_mul_f64 v[112:113], v[46:47], v[70:71]
	s_waitcnt vmcnt(22)
	v_fmac_f64_e32 v[112:113], v[48:49], v[72:73]
	s_waitcnt vmcnt(20)
	v_mul_f64 v[110:111], v[42:43], v[74:75]
	s_waitcnt vmcnt(16) lgkmcnt(1)
	v_mul_f64 v[114:115], v[50:51], v[80:81]
	s_waitcnt vmcnt(14)
	v_fma_f64 v[4:5], v[22:23], v[82:83], -v[4:5]
	v_add_f64 v[2:3], v[2:3], v[4:5]
	v_mul_f64 v[4:5], v[28:29], v[62:63]
	s_waitcnt vmcnt(12)
	v_fma_f64 v[4:5], v[26:27], v[84:85], -v[4:5]
	v_add_f64 v[2:3], v[2:3], v[4:5]
	v_mul_f64 v[4:5], v[32:33], v[58:59]
	v_fma_f64 v[4:5], v[30:31], v[60:61], -v[4:5]
	v_add_f64 v[2:3], v[2:3], v[4:5]
	v_mul_f64 v[4:5], v[36:37], v[68:69]
	s_waitcnt vmcnt(10)
	v_fma_f64 v[4:5], v[34:35], v[86:87], -v[4:5]
	v_add_f64 v[2:3], v[2:3], v[4:5]
	v_mul_f64 v[4:5], v[40:41], v[64:65]
	v_fma_f64 v[4:5], v[38:39], v[66:67], -v[4:5]
	v_fmac_f64_e32 v[100:101], v[24:25], v[82:83]
	v_add_f64 v[2:3], v[2:3], v[4:5]
	v_mul_f64 v[4:5], v[44:45], v[74:75]
	v_fmac_f64_e32 v[102:103], v[28:29], v[84:85]
	v_add_f64 v[96:97], v[96:97], v[100:101]
	s_waitcnt vmcnt(8)
	v_fma_f64 v[4:5], v[42:43], v[88:89], -v[4:5]
	v_add_f64 v[96:97], v[96:97], v[102:103]
	v_add_f64 v[2:3], v[2:3], v[4:5]
	v_mul_f64 v[4:5], v[48:49], v[70:71]
	v_fmac_f64_e32 v[106:107], v[36:37], v[86:87]
	v_add_f64 v[96:97], v[96:97], v[104:105]
	v_fma_f64 v[4:5], v[46:47], v[72:73], -v[4:5]
	v_add_f64 v[96:97], v[96:97], v[106:107]
	v_add_f64 v[2:3], v[2:3], v[4:5]
	v_mul_f64 v[4:5], v[52:53], v[80:81]
	v_fmac_f64_e32 v[110:111], v[44:45], v[88:89]
	v_add_f64 v[96:97], v[96:97], v[108:109]
	s_waitcnt vmcnt(6)
	v_fma_f64 v[4:5], v[50:51], v[90:91], -v[4:5]
	v_add_f64 v[96:97], v[96:97], v[110:111]
	v_add_f64 v[2:3], v[2:3], v[4:5]
	s_waitcnt vmcnt(5) lgkmcnt(0)
	v_mul_f64 v[4:5], v[56:57], v[76:77]
	v_fmac_f64_e32 v[114:115], v[52:53], v[90:91]
	v_add_f64 v[96:97], v[96:97], v[112:113]
	v_mul_f64 v[98:99], v[54:55], v[76:77]
	s_waitcnt vmcnt(4)
	v_fma_f64 v[4:5], v[54:55], v[78:79], -v[4:5]
	v_add_f64 v[96:97], v[96:97], v[114:115]
	v_fmac_f64_e32 v[98:99], v[56:57], v[78:79]
	v_add_f64 v[2:3], v[2:3], v[4:5]
	v_add_f64 v[96:97], v[96:97], v[98:99]
	s_waitcnt vmcnt(2)
	v_add_f64 v[2:3], v[92:93], -v[2:3]
	s_waitcnt vmcnt(0)
	v_add_f64 v[4:5], v[94:95], -v[96:97]
	buffer_store_dword v3, off, s[0:3], 0 offset:500
	buffer_store_dword v2, off, s[0:3], 0 offset:496
	buffer_store_dword v5, off, s[0:3], 0 offset:508
	buffer_store_dword v4, off, s[0:3], 0 offset:504
	s_and_saveexec_b64 s[4:5], vcc
	s_cbranch_execz .LBB105_207
; %bb.206:
	v_accvgpr_read_b32 v0, a96
	buffer_load_dword v2, v0, s[0:3], 0 offen
	buffer_load_dword v3, v0, s[0:3], 0 offen offset:4
	buffer_load_dword v4, v0, s[0:3], 0 offen offset:8
	;; [unrolled: 1-line block ×3, first 2 shown]
	v_accvgpr_read_b32 v0, a126
	buffer_store_dword v12, off, s[0:3], 0 offset:480
	buffer_store_dword v12, off, s[0:3], 0 offset:484
	;; [unrolled: 1-line block ×4, first 2 shown]
	s_waitcnt vmcnt(4)
	ds_write_b128 v0, v[2:5]
.LBB105_207:
	s_or_b64 exec, exec, s[4:5]
	s_waitcnt lgkmcnt(0)
	; wave barrier
	s_waitcnt lgkmcnt(0)
	buffer_load_dword v2, off, s[0:3], 0 offset:496
	buffer_load_dword v3, off, s[0:3], 0 offset:500
	;; [unrolled: 1-line block ×52, first 2 shown]
	ds_read_b128 v[14:17], v12 offset:1152
	ds_read_b128 v[18:21], v12 offset:1168
	;; [unrolled: 1-line block ×10, first 2 shown]
	v_cmp_lt_u32_e32 vcc, 28, v118
	s_waitcnt vmcnt(48) lgkmcnt(9)
	v_mul_f64 v[54:55], v[14:15], v[6:7]
	v_mul_f64 v[6:7], v[16:17], v[6:7]
	v_fmac_f64_e32 v[54:55], v[16:17], v[2:3]
	v_fma_f64 v[2:3], v[14:15], v[2:3], -v[6:7]
	s_waitcnt vmcnt(44) lgkmcnt(8)
	v_mul_f64 v[56:57], v[18:19], v[8:9]
	v_mul_f64 v[6:7], v[20:21], v[8:9]
	v_fmac_f64_e32 v[56:57], v[20:21], v[4:5]
	v_add_f64 v[2:3], v[2:3], 0
	v_fma_f64 v[4:5], v[18:19], v[4:5], -v[6:7]
	v_add_f64 v[2:3], v[2:3], v[4:5]
	s_waitcnt vmcnt(42) lgkmcnt(7)
	v_mul_f64 v[4:5], v[24:25], v[10:11]
	v_mul_f64 v[58:59], v[22:23], v[10:11]
	v_add_f64 v[54:55], v[54:55], 0
	s_waitcnt vmcnt(36) lgkmcnt(6)
	v_mul_f64 v[60:61], v[26:27], v[66:67]
	v_add_f64 v[54:55], v[54:55], v[56:57]
	s_waitcnt lgkmcnt(5)
	v_mul_f64 v[104:105], v[30:31], v[62:63]
	v_fmac_f64_e32 v[104:105], v[32:33], v[64:65]
	s_waitcnt vmcnt(34) lgkmcnt(3)
	v_mul_f64 v[108:109], v[38:39], v[68:69]
	s_waitcnt vmcnt(30)
	v_mul_f64 v[106:107], v[34:35], v[72:73]
	v_fmac_f64_e32 v[108:109], v[40:41], v[70:71]
	s_waitcnt vmcnt(26) lgkmcnt(2)
	v_mul_f64 v[110:111], v[42:43], v[78:79]
	s_waitcnt vmcnt(25) lgkmcnt(1)
	v_mul_f64 v[112:113], v[46:47], v[74:75]
	s_waitcnt vmcnt(23)
	v_fma_f64 v[4:5], v[22:23], v[80:81], -v[4:5]
	v_add_f64 v[2:3], v[2:3], v[4:5]
	v_mul_f64 v[4:5], v[28:29], v[66:67]
	s_waitcnt vmcnt(21)
	v_fma_f64 v[4:5], v[26:27], v[82:83], -v[4:5]
	v_fmac_f64_e32 v[58:59], v[24:25], v[80:81]
	v_add_f64 v[2:3], v[2:3], v[4:5]
	v_mul_f64 v[4:5], v[32:33], v[62:63]
	v_fmac_f64_e32 v[60:61], v[28:29], v[82:83]
	v_add_f64 v[54:55], v[54:55], v[58:59]
	v_fma_f64 v[4:5], v[30:31], v[64:65], -v[4:5]
	v_add_f64 v[54:55], v[54:55], v[60:61]
	v_add_f64 v[2:3], v[2:3], v[4:5]
	v_mul_f64 v[4:5], v[36:37], v[72:73]
	s_waitcnt vmcnt(19)
	v_fmac_f64_e32 v[106:107], v[36:37], v[84:85]
	v_add_f64 v[54:55], v[54:55], v[104:105]
	v_fma_f64 v[4:5], v[34:35], v[84:85], -v[4:5]
	v_add_f64 v[54:55], v[54:55], v[106:107]
	v_add_f64 v[2:3], v[2:3], v[4:5]
	v_mul_f64 v[4:5], v[40:41], v[68:69]
	s_waitcnt vmcnt(17)
	v_fmac_f64_e32 v[110:111], v[44:45], v[86:87]
	v_add_f64 v[54:55], v[54:55], v[108:109]
	v_fma_f64 v[4:5], v[38:39], v[70:71], -v[4:5]
	s_waitcnt vmcnt(16)
	v_fmac_f64_e32 v[112:113], v[48:49], v[76:77]
	v_add_f64 v[54:55], v[54:55], v[110:111]
	v_add_f64 v[2:3], v[2:3], v[4:5]
	v_mul_f64 v[4:5], v[44:45], v[78:79]
	v_add_f64 v[104:105], v[54:55], v[112:113]
	ds_read_b128 v[54:57], v12 offset:1312
	ds_read_b128 v[58:61], v12 offset:1328
	v_fma_f64 v[4:5], v[42:43], v[86:87], -v[4:5]
	v_add_f64 v[2:3], v[2:3], v[4:5]
	v_mul_f64 v[4:5], v[48:49], v[74:75]
	v_fma_f64 v[4:5], v[46:47], v[76:77], -v[4:5]
	v_add_f64 v[2:3], v[2:3], v[4:5]
	s_waitcnt vmcnt(12) lgkmcnt(2)
	v_mul_f64 v[4:5], v[52:53], v[92:93]
	v_mul_f64 v[106:107], v[50:51], v[92:93]
	s_waitcnt vmcnt(10)
	v_fma_f64 v[4:5], v[50:51], v[94:95], -v[4:5]
	v_fmac_f64_e32 v[106:107], v[52:53], v[94:95]
	v_add_f64 v[2:3], v[2:3], v[4:5]
	s_waitcnt vmcnt(8) lgkmcnt(1)
	v_mul_f64 v[4:5], v[56:57], v[88:89]
	v_add_f64 v[12:13], v[104:105], v[106:107]
	v_mul_f64 v[104:105], v[54:55], v[88:89]
	v_fma_f64 v[4:5], v[54:55], v[90:91], -v[4:5]
	v_fmac_f64_e32 v[104:105], v[56:57], v[90:91]
	v_add_f64 v[2:3], v[2:3], v[4:5]
	s_waitcnt vmcnt(6) lgkmcnt(0)
	v_mul_f64 v[4:5], v[60:61], v[96:97]
	v_add_f64 v[12:13], v[12:13], v[104:105]
	v_mul_f64 v[104:105], v[58:59], v[96:97]
	s_waitcnt vmcnt(4)
	v_fma_f64 v[4:5], v[58:59], v[98:99], -v[4:5]
	v_fmac_f64_e32 v[104:105], v[60:61], v[98:99]
	v_add_f64 v[2:3], v[2:3], v[4:5]
	v_add_f64 v[12:13], v[12:13], v[104:105]
	s_waitcnt vmcnt(2)
	v_add_f64 v[2:3], v[100:101], -v[2:3]
	s_waitcnt vmcnt(0)
	v_add_f64 v[4:5], v[102:103], -v[12:13]
	buffer_store_dword v3, off, s[0:3], 0 offset:484
	buffer_store_dword v2, off, s[0:3], 0 offset:480
	;; [unrolled: 1-line block ×4, first 2 shown]
	s_and_saveexec_b64 s[4:5], vcc
	s_cbranch_execz .LBB105_209
; %bb.208:
	v_accvgpr_read_b32 v0, a97
	buffer_load_dword v2, v0, s[0:3], 0 offen
	buffer_load_dword v3, v0, s[0:3], 0 offen offset:4
	buffer_load_dword v4, v0, s[0:3], 0 offen offset:8
	;; [unrolled: 1-line block ×3, first 2 shown]
	v_mov_b32_e32 v0, 0
	v_accvgpr_read_b32 v1, a126
	buffer_store_dword v0, off, s[0:3], 0 offset:464
	buffer_store_dword v0, off, s[0:3], 0 offset:468
	;; [unrolled: 1-line block ×4, first 2 shown]
	s_waitcnt vmcnt(4)
	ds_write_b128 v1, v[2:5]
.LBB105_209:
	s_or_b64 exec, exec, s[4:5]
	s_waitcnt lgkmcnt(0)
	; wave barrier
	s_waitcnt lgkmcnt(0)
	buffer_load_dword v2, off, s[0:3], 0 offset:480
	buffer_load_dword v3, off, s[0:3], 0 offset:484
	;; [unrolled: 1-line block ×56, first 2 shown]
	v_mov_b32_e32 v24, 0
	ds_read_b128 v[18:21], v24 offset:1136
	ds_read_b128 v[26:29], v24 offset:1152
	;; [unrolled: 1-line block ×9, first 2 shown]
	v_cmp_lt_u32_e32 vcc, 27, v118
	s_waitcnt vmcnt(52) lgkmcnt(8)
	v_mul_f64 v[54:55], v[18:19], v[6:7]
	v_fmac_f64_e32 v[54:55], v[20:21], v[2:3]
	v_mul_f64 v[6:7], v[20:21], v[6:7]
	v_add_f64 v[54:55], v[54:55], 0
	s_waitcnt vmcnt(48) lgkmcnt(7)
	v_mul_f64 v[56:57], v[26:27], v[8:9]
	v_fmac_f64_e32 v[56:57], v[28:29], v[4:5]
	s_waitcnt vmcnt(46) lgkmcnt(6)
	v_mul_f64 v[58:59], v[30:31], v[10:11]
	v_fma_f64 v[2:3], v[18:19], v[2:3], -v[6:7]
	v_mul_f64 v[6:7], v[28:29], v[8:9]
	v_add_f64 v[54:55], v[54:55], v[56:57]
	v_add_f64 v[2:3], v[2:3], 0
	v_fma_f64 v[4:5], v[26:27], v[4:5], -v[6:7]
	s_waitcnt vmcnt(40) lgkmcnt(5)
	v_mul_f64 v[60:61], v[34:35], v[16:17]
	s_waitcnt lgkmcnt(4)
	v_mul_f64 v[62:63], v[38:39], v[12:13]
	v_add_f64 v[2:3], v[2:3], v[4:5]
	v_mul_f64 v[4:5], v[32:33], v[10:11]
	s_waitcnt vmcnt(36) lgkmcnt(3)
	v_mul_f64 v[64:65], v[42:43], v[76:77]
	v_fmac_f64_e32 v[62:63], v[40:41], v[14:15]
	s_waitcnt vmcnt(35) lgkmcnt(2)
	v_mul_f64 v[66:67], v[46:47], v[22:23]
	s_waitcnt vmcnt(33)
	v_fmac_f64_e32 v[58:59], v[32:33], v[78:79]
	v_add_f64 v[54:55], v[54:55], v[58:59]
	s_waitcnt vmcnt(31)
	v_fmac_f64_e32 v[60:61], v[36:37], v[80:81]
	v_add_f64 v[54:55], v[54:55], v[60:61]
	v_fma_f64 v[4:5], v[30:31], v[78:79], -v[4:5]
	s_waitcnt vmcnt(29)
	v_fmac_f64_e32 v[64:65], v[44:45], v[82:83]
	v_add_f64 v[54:55], v[54:55], v[62:63]
	v_add_f64 v[2:3], v[2:3], v[4:5]
	v_mul_f64 v[4:5], v[36:37], v[16:17]
	s_waitcnt vmcnt(28)
	v_fmac_f64_e32 v[66:67], v[48:49], v[74:75]
	v_add_f64 v[54:55], v[54:55], v[64:65]
	v_fma_f64 v[4:5], v[34:35], v[80:81], -v[4:5]
	v_add_f64 v[58:59], v[54:55], v[66:67]
	ds_read_b128 v[54:57], v24 offset:1264
	s_waitcnt vmcnt(24) lgkmcnt(2)
	v_mul_f64 v[60:61], v[50:51], v[88:89]
	v_add_f64 v[2:3], v[2:3], v[4:5]
	v_mul_f64 v[4:5], v[40:41], v[12:13]
	s_waitcnt vmcnt(22)
	v_fmac_f64_e32 v[60:61], v[52:53], v[90:91]
	v_fma_f64 v[4:5], v[38:39], v[14:15], -v[4:5]
	v_add_f64 v[62:63], v[58:59], v[60:61]
	ds_read_b128 v[58:61], v24 offset:1280
	v_add_f64 v[2:3], v[2:3], v[4:5]
	v_mul_f64 v[4:5], v[44:45], v[76:77]
	v_fma_f64 v[4:5], v[42:43], v[82:83], -v[4:5]
	v_add_f64 v[2:3], v[2:3], v[4:5]
	v_mul_f64 v[4:5], v[48:49], v[22:23]
	s_waitcnt vmcnt(20) lgkmcnt(1)
	v_mul_f64 v[64:65], v[54:55], v[84:85]
	v_fma_f64 v[4:5], v[46:47], v[74:75], -v[4:5]
	v_fmac_f64_e32 v[64:65], v[56:57], v[86:87]
	v_add_f64 v[2:3], v[2:3], v[4:5]
	v_mul_f64 v[4:5], v[52:53], v[88:89]
	v_add_f64 v[66:67], v[62:63], v[64:65]
	ds_read_b128 v[62:65], v24 offset:1296
	s_waitcnt vmcnt(16) lgkmcnt(1)
	v_mul_f64 v[68:69], v[58:59], v[96:97]
	v_fma_f64 v[4:5], v[50:51], v[90:91], -v[4:5]
	s_waitcnt vmcnt(14)
	v_fmac_f64_e32 v[68:69], v[60:61], v[98:99]
	v_add_f64 v[2:3], v[2:3], v[4:5]
	v_mul_f64 v[4:5], v[56:57], v[84:85]
	v_add_f64 v[112:113], v[66:67], v[68:69]
	ds_read_b128 v[66:69], v24 offset:1312
	v_fma_f64 v[4:5], v[54:55], v[86:87], -v[4:5]
	v_add_f64 v[2:3], v[2:3], v[4:5]
	v_mul_f64 v[4:5], v[60:61], v[96:97]
	v_fma_f64 v[4:5], v[58:59], v[98:99], -v[4:5]
	v_add_f64 v[2:3], v[2:3], v[4:5]
	s_waitcnt vmcnt(12) lgkmcnt(1)
	v_mul_f64 v[4:5], v[64:65], v[92:93]
	v_mul_f64 v[114:115], v[62:63], v[92:93]
	v_fma_f64 v[4:5], v[62:63], v[94:95], -v[4:5]
	v_fmac_f64_e32 v[114:115], v[64:65], v[94:95]
	v_add_f64 v[2:3], v[2:3], v[4:5]
	s_waitcnt vmcnt(8) lgkmcnt(0)
	v_mul_f64 v[4:5], v[68:69], v[104:105]
	v_add_f64 v[112:113], v[112:113], v[114:115]
	v_mul_f64 v[114:115], v[66:67], v[104:105]
	s_waitcnt vmcnt(6)
	v_fma_f64 v[4:5], v[66:67], v[106:107], -v[4:5]
	v_fmac_f64_e32 v[114:115], v[68:69], v[106:107]
	v_add_f64 v[2:3], v[2:3], v[4:5]
	s_waitcnt vmcnt(5)
	v_mul_f64 v[4:5], v[72:73], v[100:101]
	v_add_f64 v[112:113], v[112:113], v[114:115]
	v_mul_f64 v[114:115], v[70:71], v[100:101]
	s_waitcnt vmcnt(4)
	v_fma_f64 v[4:5], v[70:71], v[102:103], -v[4:5]
	v_fmac_f64_e32 v[114:115], v[72:73], v[102:103]
	v_add_f64 v[2:3], v[2:3], v[4:5]
	v_add_f64 v[112:113], v[112:113], v[114:115]
	s_waitcnt vmcnt(2)
	v_add_f64 v[2:3], v[108:109], -v[2:3]
	s_waitcnt vmcnt(0)
	v_add_f64 v[4:5], v[110:111], -v[112:113]
	buffer_store_dword v3, off, s[0:3], 0 offset:468
	buffer_store_dword v2, off, s[0:3], 0 offset:464
	buffer_store_dword v5, off, s[0:3], 0 offset:476
	buffer_store_dword v4, off, s[0:3], 0 offset:472
	s_and_saveexec_b64 s[4:5], vcc
	s_cbranch_execz .LBB105_211
; %bb.210:
	v_accvgpr_read_b32 v0, a98
	buffer_load_dword v2, v0, s[0:3], 0 offen
	buffer_load_dword v3, v0, s[0:3], 0 offen offset:4
	buffer_load_dword v4, v0, s[0:3], 0 offen offset:8
	;; [unrolled: 1-line block ×3, first 2 shown]
	v_accvgpr_read_b32 v0, a126
	buffer_store_dword v24, off, s[0:3], 0 offset:448
	buffer_store_dword v24, off, s[0:3], 0 offset:452
	;; [unrolled: 1-line block ×4, first 2 shown]
	s_waitcnt vmcnt(4)
	ds_write_b128 v0, v[2:5]
.LBB105_211:
	s_or_b64 exec, exec, s[4:5]
	s_waitcnt lgkmcnt(0)
	; wave barrier
	s_waitcnt lgkmcnt(0)
	buffer_load_dword v2, off, s[0:3], 0 offset:464
	buffer_load_dword v3, off, s[0:3], 0 offset:468
	;; [unrolled: 1-line block ×60, first 2 shown]
	ds_read_b128 v[26:29], v24 offset:1120
	ds_read_b128 v[30:33], v24 offset:1136
	;; [unrolled: 1-line block ×8, first 2 shown]
	v_cmp_lt_u32_e32 vcc, 26, v118
	ds_read_b128 v[78:81], v24 offset:1328
	s_waitcnt vmcnt(56) lgkmcnt(8)
	v_mul_f64 v[58:59], v[26:27], v[6:7]
	v_fmac_f64_e32 v[58:59], v[28:29], v[2:3]
	v_add_f64 v[58:59], v[58:59], 0
	v_mul_f64 v[6:7], v[28:29], v[6:7]
	s_waitcnt vmcnt(52) lgkmcnt(7)
	v_mul_f64 v[60:61], v[30:31], v[8:9]
	v_fmac_f64_e32 v[60:61], v[32:33], v[4:5]
	s_waitcnt vmcnt(50) lgkmcnt(6)
	v_mul_f64 v[62:63], v[34:35], v[10:11]
	v_add_f64 v[58:59], v[58:59], v[60:61]
	s_waitcnt vmcnt(48) lgkmcnt(4)
	v_mul_f64 v[66:67], v[42:43], v[12:13]
	v_fma_f64 v[2:3], v[26:27], v[2:3], -v[6:7]
	s_waitcnt vmcnt(46)
	v_fmac_f64_e32 v[66:67], v[44:45], v[14:15]
	v_mul_f64 v[6:7], v[32:33], v[8:9]
	s_waitcnt vmcnt(44)
	v_mul_f64 v[64:65], v[38:39], v[16:17]
	v_add_f64 v[2:3], v[2:3], 0
	v_fma_f64 v[4:5], v[30:31], v[4:5], -v[6:7]
	v_add_f64 v[2:3], v[2:3], v[4:5]
	s_waitcnt vmcnt(40) lgkmcnt(3)
	v_mul_f64 v[68:69], v[46:47], v[22:23]
	v_mul_f64 v[4:5], v[36:37], v[10:11]
	s_waitcnt vmcnt(38)
	v_fmac_f64_e32 v[62:63], v[36:37], v[82:83]
	v_add_f64 v[58:59], v[58:59], v[62:63]
	s_waitcnt vmcnt(36)
	v_fmac_f64_e32 v[64:65], v[40:41], v[84:85]
	v_add_f64 v[58:59], v[58:59], v[64:65]
	;; [unrolled: 3-line block ×3, first 2 shown]
	s_waitcnt vmcnt(32) lgkmcnt(2)
	v_mul_f64 v[60:61], v[50:51], v[18:19]
	v_add_f64 v[58:59], v[58:59], v[68:69]
	v_fmac_f64_e32 v[60:61], v[52:53], v[20:21]
	v_add_f64 v[62:63], v[58:59], v[60:61]
	ds_read_b128 v[58:61], v24 offset:1248
	v_fma_f64 v[4:5], v[34:35], v[82:83], -v[4:5]
	v_add_f64 v[2:3], v[2:3], v[4:5]
	v_mul_f64 v[4:5], v[40:41], v[16:17]
	v_fma_f64 v[4:5], v[38:39], v[84:85], -v[4:5]
	s_waitcnt vmcnt(28) lgkmcnt(2)
	v_mul_f64 v[64:65], v[54:55], v[92:93]
	v_add_f64 v[2:3], v[2:3], v[4:5]
	v_mul_f64 v[4:5], v[44:45], v[12:13]
	s_waitcnt vmcnt(26)
	v_fmac_f64_e32 v[64:65], v[56:57], v[94:95]
	v_fma_f64 v[4:5], v[42:43], v[14:15], -v[4:5]
	v_add_f64 v[66:67], v[62:63], v[64:65]
	ds_read_b128 v[62:65], v24 offset:1264
	s_waitcnt vmcnt(24) lgkmcnt(1)
	v_mul_f64 v[68:69], v[58:59], v[88:89]
	v_add_f64 v[2:3], v[2:3], v[4:5]
	v_mul_f64 v[4:5], v[48:49], v[22:23]
	v_fmac_f64_e32 v[68:69], v[60:61], v[90:91]
	v_fma_f64 v[4:5], v[46:47], v[86:87], -v[4:5]
	v_add_f64 v[70:71], v[66:67], v[68:69]
	ds_read_b128 v[66:69], v24 offset:1280
	v_add_f64 v[2:3], v[2:3], v[4:5]
	v_mul_f64 v[4:5], v[52:53], v[18:19]
	v_fma_f64 v[4:5], v[50:51], v[20:21], -v[4:5]
	v_add_f64 v[2:3], v[2:3], v[4:5]
	v_mul_f64 v[4:5], v[56:57], v[92:93]
	s_waitcnt vmcnt(20) lgkmcnt(1)
	v_mul_f64 v[72:73], v[62:63], v[100:101]
	v_fma_f64 v[4:5], v[54:55], v[94:95], -v[4:5]
	s_waitcnt vmcnt(18)
	v_fmac_f64_e32 v[72:73], v[64:65], v[102:103]
	v_add_f64 v[2:3], v[2:3], v[4:5]
	v_mul_f64 v[4:5], v[60:61], v[88:89]
	v_add_f64 v[74:75], v[70:71], v[72:73]
	ds_read_b128 v[70:73], v24 offset:1296
	s_waitcnt vmcnt(16) lgkmcnt(1)
	v_mul_f64 v[76:77], v[66:67], v[96:97]
	v_fma_f64 v[4:5], v[58:59], v[90:91], -v[4:5]
	v_fmac_f64_e32 v[76:77], v[68:69], v[98:99]
	v_add_f64 v[2:3], v[2:3], v[4:5]
	v_mul_f64 v[4:5], v[64:65], v[100:101]
	v_add_f64 v[122:123], v[74:75], v[76:77]
	ds_read_b128 v[74:77], v24 offset:1312
	v_fma_f64 v[4:5], v[62:63], v[102:103], -v[4:5]
	v_add_f64 v[2:3], v[2:3], v[4:5]
	v_mul_f64 v[4:5], v[68:69], v[96:97]
	v_fma_f64 v[4:5], v[66:67], v[98:99], -v[4:5]
	v_add_f64 v[2:3], v[2:3], v[4:5]
	s_waitcnt vmcnt(12) lgkmcnt(1)
	v_mul_f64 v[4:5], v[72:73], v[108:109]
	v_mul_f64 v[124:125], v[70:71], v[108:109]
	s_waitcnt vmcnt(10)
	v_fma_f64 v[4:5], v[70:71], v[110:111], -v[4:5]
	v_fmac_f64_e32 v[124:125], v[72:73], v[110:111]
	v_add_f64 v[2:3], v[2:3], v[4:5]
	s_waitcnt vmcnt(8) lgkmcnt(0)
	v_mul_f64 v[4:5], v[76:77], v[104:105]
	v_add_f64 v[24:25], v[122:123], v[124:125]
	v_mul_f64 v[122:123], v[74:75], v[104:105]
	v_fma_f64 v[4:5], v[74:75], v[106:107], -v[4:5]
	v_fmac_f64_e32 v[122:123], v[76:77], v[106:107]
	v_add_f64 v[2:3], v[2:3], v[4:5]
	s_waitcnt vmcnt(6)
	v_mul_f64 v[4:5], v[80:81], v[112:113]
	v_add_f64 v[24:25], v[24:25], v[122:123]
	v_mul_f64 v[122:123], v[78:79], v[112:113]
	s_waitcnt vmcnt(4)
	v_fma_f64 v[4:5], v[78:79], v[114:115], -v[4:5]
	v_fmac_f64_e32 v[122:123], v[80:81], v[114:115]
	v_add_f64 v[2:3], v[2:3], v[4:5]
	v_add_f64 v[24:25], v[24:25], v[122:123]
	s_waitcnt vmcnt(2)
	v_add_f64 v[2:3], v[116:117], -v[2:3]
	s_waitcnt vmcnt(0)
	v_add_f64 v[4:5], v[120:121], -v[24:25]
	buffer_store_dword v3, off, s[0:3], 0 offset:452
	buffer_store_dword v2, off, s[0:3], 0 offset:448
	;; [unrolled: 1-line block ×4, first 2 shown]
	s_and_saveexec_b64 s[4:5], vcc
	s_cbranch_execz .LBB105_213
; %bb.212:
	v_accvgpr_read_b32 v0, a99
	buffer_load_dword v2, v0, s[0:3], 0 offen
	buffer_load_dword v3, v0, s[0:3], 0 offen offset:4
	buffer_load_dword v4, v0, s[0:3], 0 offen offset:8
	;; [unrolled: 1-line block ×3, first 2 shown]
	v_mov_b32_e32 v0, 0
	v_accvgpr_read_b32 v1, a126
	buffer_store_dword v0, off, s[0:3], 0 offset:432
	buffer_store_dword v0, off, s[0:3], 0 offset:436
	;; [unrolled: 1-line block ×4, first 2 shown]
	s_waitcnt vmcnt(4)
	ds_write_b128 v1, v[2:5]
.LBB105_213:
	s_or_b64 exec, exec, s[4:5]
	s_waitcnt lgkmcnt(0)
	; wave barrier
	s_waitcnt lgkmcnt(0)
	buffer_load_dword v2, off, s[0:3], 0 offset:448
	buffer_load_dword v3, off, s[0:3], 0 offset:452
	;; [unrolled: 1-line block ×64, first 2 shown]
	v_mov_b32_e32 v46, 0
	ds_read_b128 v[38:41], v46 offset:1104
	ds_read_b128 v[42:45], v46 offset:1120
	;; [unrolled: 1-line block ×7, first 2 shown]
	v_cmp_lt_u32_e32 vcc, 25, v118
	s_waitcnt vmcnt(60) lgkmcnt(6)
	v_mul_f64 v[64:65], v[38:39], v[4:5]
	v_fmac_f64_e32 v[64:65], v[40:41], v[2:3]
	s_waitcnt vmcnt(58) lgkmcnt(5)
	v_mul_f64 v[66:67], v[42:43], v[6:7]
	v_add_f64 v[64:65], v[64:65], 0
	s_waitcnt vmcnt(56) lgkmcnt(4)
	v_mul_f64 v[68:69], v[48:49], v[8:9]
	v_mul_f64 v[4:5], v[40:41], v[4:5]
	s_waitcnt vmcnt(54) lgkmcnt(2)
	v_mul_f64 v[72:73], v[56:57], v[10:11]
	v_fma_f64 v[2:3], v[38:39], v[2:3], -v[4:5]
	v_mul_f64 v[4:5], v[44:45], v[6:7]
	s_waitcnt vmcnt(51)
	v_mul_f64 v[70:71], v[52:53], v[14:15]
	v_add_f64 v[2:3], v[2:3], 0
	s_waitcnt vmcnt(49)
	v_fmac_f64_e32 v[66:67], v[44:45], v[20:21]
	v_add_f64 v[64:65], v[64:65], v[66:67]
	s_waitcnt vmcnt(47)
	v_fmac_f64_e32 v[68:69], v[50:51], v[18:19]
	;; [unrolled: 3-line block ×4, first 2 shown]
	v_add_f64 v[68:69], v[64:65], v[72:73]
	ds_read_b128 v[64:67], v46 offset:1200
	s_waitcnt vmcnt(40) lgkmcnt(2)
	v_mul_f64 v[70:71], v[60:61], v[26:27]
	v_fma_f64 v[4:5], v[42:43], v[20:21], -v[4:5]
	s_waitcnt vmcnt(38)
	v_fmac_f64_e32 v[70:71], v[62:63], v[28:29]
	v_add_f64 v[72:73], v[68:69], v[70:71]
	ds_read_b128 v[68:71], v46 offset:1216
	s_waitcnt vmcnt(37) lgkmcnt(1)
	v_mul_f64 v[74:75], v[64:65], v[22:23]
	s_waitcnt vmcnt(36)
	v_fmac_f64_e32 v[74:75], v[66:67], v[24:25]
	v_add_f64 v[2:3], v[2:3], v[4:5]
	v_mul_f64 v[4:5], v[50:51], v[8:9]
	v_add_f64 v[76:77], v[72:73], v[74:75]
	ds_read_b128 v[72:75], v46 offset:1232
	s_waitcnt vmcnt(32) lgkmcnt(1)
	v_mul_f64 v[78:79], v[68:69], v[34:35]
	v_fma_f64 v[4:5], v[48:49], v[18:19], -v[4:5]
	s_waitcnt vmcnt(30)
	v_fmac_f64_e32 v[78:79], v[70:71], v[36:37]
	v_add_f64 v[2:3], v[2:3], v[4:5]
	v_mul_f64 v[4:5], v[54:55], v[14:15]
	v_add_f64 v[80:81], v[76:77], v[78:79]
	ds_read_b128 v[76:79], v46 offset:1248
	v_fma_f64 v[4:5], v[52:53], v[16:17], -v[4:5]
	v_add_f64 v[2:3], v[2:3], v[4:5]
	v_mul_f64 v[4:5], v[58:59], v[10:11]
	v_fma_f64 v[4:5], v[56:57], v[12:13], -v[4:5]
	s_waitcnt vmcnt(29) lgkmcnt(1)
	v_mul_f64 v[82:83], v[72:73], v[30:31]
	v_add_f64 v[2:3], v[2:3], v[4:5]
	v_mul_f64 v[4:5], v[62:63], v[26:27]
	s_waitcnt vmcnt(28)
	v_fmac_f64_e32 v[82:83], v[74:75], v[32:33]
	v_fma_f64 v[4:5], v[60:61], v[28:29], -v[4:5]
	v_add_f64 v[84:85], v[80:81], v[82:83]
	ds_read_b128 v[80:83], v46 offset:1264
	s_waitcnt vmcnt(24) lgkmcnt(1)
	v_mul_f64 v[86:87], v[76:77], v[104:105]
	v_add_f64 v[2:3], v[2:3], v[4:5]
	v_mul_f64 v[4:5], v[66:67], v[22:23]
	s_waitcnt vmcnt(22)
	v_fmac_f64_e32 v[86:87], v[78:79], v[106:107]
	v_fma_f64 v[4:5], v[64:65], v[24:25], -v[4:5]
	v_add_f64 v[88:89], v[84:85], v[86:87]
	ds_read_b128 v[84:87], v46 offset:1280
	v_add_f64 v[2:3], v[2:3], v[4:5]
	v_mul_f64 v[4:5], v[70:71], v[34:35]
	v_fma_f64 v[4:5], v[68:69], v[36:37], -v[4:5]
	v_add_f64 v[2:3], v[2:3], v[4:5]
	v_mul_f64 v[4:5], v[74:75], v[30:31]
	s_waitcnt vmcnt(21) lgkmcnt(1)
	v_mul_f64 v[90:91], v[80:81], v[100:101]
	v_fma_f64 v[4:5], v[72:73], v[32:33], -v[4:5]
	s_waitcnt vmcnt(20)
	v_fmac_f64_e32 v[90:91], v[82:83], v[102:103]
	v_add_f64 v[2:3], v[2:3], v[4:5]
	v_mul_f64 v[4:5], v[78:79], v[104:105]
	v_add_f64 v[92:93], v[88:89], v[90:91]
	ds_read_b128 v[88:91], v46 offset:1296
	s_waitcnt vmcnt(16) lgkmcnt(1)
	v_mul_f64 v[94:95], v[84:85], v[112:113]
	v_fma_f64 v[4:5], v[76:77], v[106:107], -v[4:5]
	s_waitcnt vmcnt(14)
	v_fmac_f64_e32 v[94:95], v[86:87], v[114:115]
	v_add_f64 v[2:3], v[2:3], v[4:5]
	v_mul_f64 v[4:5], v[82:83], v[100:101]
	v_add_f64 v[130:131], v[92:93], v[94:95]
	ds_read_b128 v[92:95], v46 offset:1312
	v_fma_f64 v[4:5], v[80:81], v[102:103], -v[4:5]
	v_add_f64 v[2:3], v[2:3], v[4:5]
	v_mul_f64 v[4:5], v[86:87], v[112:113]
	v_fma_f64 v[4:5], v[84:85], v[114:115], -v[4:5]
	v_add_f64 v[2:3], v[2:3], v[4:5]
	s_waitcnt vmcnt(13) lgkmcnt(1)
	v_mul_f64 v[4:5], v[90:91], v[108:109]
	v_mul_f64 v[132:133], v[88:89], v[108:109]
	s_waitcnt vmcnt(12)
	v_fma_f64 v[4:5], v[88:89], v[110:111], -v[4:5]
	v_fmac_f64_e32 v[132:133], v[90:91], v[110:111]
	v_add_f64 v[2:3], v[2:3], v[4:5]
	s_waitcnt vmcnt(8) lgkmcnt(0)
	v_mul_f64 v[4:5], v[94:95], v[122:123]
	v_add_f64 v[130:131], v[130:131], v[132:133]
	v_mul_f64 v[132:133], v[92:93], v[122:123]
	s_waitcnt vmcnt(6)
	v_fma_f64 v[4:5], v[92:93], v[124:125], -v[4:5]
	v_fmac_f64_e32 v[132:133], v[94:95], v[124:125]
	v_add_f64 v[2:3], v[2:3], v[4:5]
	s_waitcnt vmcnt(5)
	v_mul_f64 v[4:5], v[98:99], v[116:117]
	v_add_f64 v[130:131], v[130:131], v[132:133]
	v_mul_f64 v[132:133], v[96:97], v[116:117]
	s_waitcnt vmcnt(4)
	v_fma_f64 v[4:5], v[96:97], v[120:121], -v[4:5]
	v_fmac_f64_e32 v[132:133], v[98:99], v[120:121]
	v_add_f64 v[2:3], v[2:3], v[4:5]
	v_add_f64 v[130:131], v[130:131], v[132:133]
	s_waitcnt vmcnt(2)
	v_add_f64 v[2:3], v[126:127], -v[2:3]
	s_waitcnt vmcnt(0)
	v_add_f64 v[4:5], v[128:129], -v[130:131]
	buffer_store_dword v3, off, s[0:3], 0 offset:436
	buffer_store_dword v2, off, s[0:3], 0 offset:432
	buffer_store_dword v5, off, s[0:3], 0 offset:444
	buffer_store_dword v4, off, s[0:3], 0 offset:440
	s_and_saveexec_b64 s[4:5], vcc
	s_cbranch_execz .LBB105_215
; %bb.214:
	v_accvgpr_read_b32 v0, a100
	buffer_load_dword v2, v0, s[0:3], 0 offen
	buffer_load_dword v3, v0, s[0:3], 0 offen offset:4
	buffer_load_dword v4, v0, s[0:3], 0 offen offset:8
	;; [unrolled: 1-line block ×3, first 2 shown]
	v_accvgpr_read_b32 v0, a126
	buffer_store_dword v46, off, s[0:3], 0 offset:416
	buffer_store_dword v46, off, s[0:3], 0 offset:420
	;; [unrolled: 1-line block ×4, first 2 shown]
	s_waitcnt vmcnt(4)
	ds_write_b128 v0, v[2:5]
.LBB105_215:
	s_or_b64 exec, exec, s[4:5]
	s_waitcnt lgkmcnt(0)
	; wave barrier
	s_waitcnt lgkmcnt(0)
	buffer_load_dword v2, off, s[0:3], 0 offset:432
	buffer_load_dword v3, off, s[0:3], 0 offset:436
	;; [unrolled: 1-line block ×64, first 2 shown]
	ds_read_b128 v[48:51], v46 offset:1088
	ds_read_b128 v[52:55], v46 offset:1104
	;; [unrolled: 1-line block ×4, first 2 shown]
	buffer_load_dword v134, off, s[0:3], 0 offset:416
	buffer_load_dword v135, off, s[0:3], 0 offset:420
	;; [unrolled: 1-line block ×4, first 2 shown]
	v_cmp_lt_u32_e32 vcc, 24, v118
	ds_read_b128 v[108:111], v46 offset:1328
	s_waitcnt vmcnt(62) lgkmcnt(4)
	v_mul_f64 v[64:65], v[48:49], v[4:5]
	v_fmac_f64_e32 v[64:65], v[50:51], v[2:3]
	v_add_f64 v[64:65], v[64:65], 0
	s_waitcnt lgkmcnt(2)
	v_mul_f64 v[68:69], v[56:57], v[6:7]
	v_mul_f64 v[4:5], v[50:51], v[4:5]
	v_fma_f64 v[2:3], v[48:49], v[2:3], -v[4:5]
	s_waitcnt vmcnt(58) lgkmcnt(1)
	v_mul_f64 v[70:71], v[60:61], v[12:13]
	v_add_f64 v[2:3], v[2:3], 0
	s_waitcnt vmcnt(56)
	v_mul_f64 v[66:67], v[52:53], v[18:19]
	v_mul_f64 v[4:5], v[54:55], v[18:19]
	s_waitcnt vmcnt(53)
	v_fmac_f64_e32 v[68:69], v[58:59], v[16:17]
	s_waitcnt vmcnt(52)
	v_fmac_f64_e32 v[66:67], v[54:55], v[20:21]
	v_add_f64 v[72:73], v[64:65], v[66:67]
	ds_read_b128 v[64:67], v46 offset:1152
	v_add_f64 v[68:69], v[72:73], v[68:69]
	s_waitcnt vmcnt(50)
	v_fmac_f64_e32 v[70:71], v[62:63], v[14:15]
	v_add_f64 v[72:73], v[68:69], v[70:71]
	ds_read_b128 v[68:71], v46 offset:1168
	s_waitcnt vmcnt(49) lgkmcnt(1)
	v_mul_f64 v[74:75], v[64:65], v[8:9]
	s_waitcnt vmcnt(48)
	v_fmac_f64_e32 v[74:75], v[66:67], v[10:11]
	v_add_f64 v[76:77], v[72:73], v[74:75]
	ds_read_b128 v[72:75], v46 offset:1184
	s_waitcnt vmcnt(44) lgkmcnt(1)
	v_mul_f64 v[78:79], v[68:69], v[26:27]
	;; [unrolled: 6-line block ×3, first 2 shown]
	s_waitcnt vmcnt(40)
	v_fmac_f64_e32 v[82:83], v[74:75], v[24:25]
	v_add_f64 v[84:85], v[80:81], v[82:83]
	ds_read_b128 v[80:83], v46 offset:1216
	v_fma_f64 v[4:5], v[52:53], v[20:21], -v[4:5]
	v_add_f64 v[2:3], v[2:3], v[4:5]
	v_mul_f64 v[4:5], v[58:59], v[6:7]
	s_waitcnt vmcnt(36) lgkmcnt(1)
	v_mul_f64 v[86:87], v[76:77], v[34:35]
	v_fma_f64 v[4:5], v[56:57], v[16:17], -v[4:5]
	s_waitcnt vmcnt(34)
	v_fmac_f64_e32 v[86:87], v[78:79], v[36:37]
	v_add_f64 v[2:3], v[2:3], v[4:5]
	v_mul_f64 v[4:5], v[62:63], v[12:13]
	v_add_f64 v[88:89], v[84:85], v[86:87]
	ds_read_b128 v[84:87], v46 offset:1232
	s_waitcnt vmcnt(33) lgkmcnt(1)
	v_mul_f64 v[90:91], v[80:81], v[30:31]
	v_fma_f64 v[4:5], v[60:61], v[14:15], -v[4:5]
	s_waitcnt vmcnt(32)
	v_fmac_f64_e32 v[90:91], v[82:83], v[32:33]
	v_add_f64 v[2:3], v[2:3], v[4:5]
	v_mul_f64 v[4:5], v[66:67], v[8:9]
	v_add_f64 v[92:93], v[88:89], v[90:91]
	ds_read_b128 v[88:91], v46 offset:1248
	v_fma_f64 v[4:5], v[64:65], v[10:11], -v[4:5]
	v_add_f64 v[2:3], v[2:3], v[4:5]
	v_mul_f64 v[4:5], v[70:71], v[26:27]
	v_fma_f64 v[4:5], v[68:69], v[28:29], -v[4:5]
	s_waitcnt vmcnt(28) lgkmcnt(1)
	v_mul_f64 v[94:95], v[84:85], v[42:43]
	v_add_f64 v[2:3], v[2:3], v[4:5]
	v_mul_f64 v[4:5], v[74:75], v[22:23]
	s_waitcnt vmcnt(26)
	v_fmac_f64_e32 v[94:95], v[86:87], v[44:45]
	v_fma_f64 v[4:5], v[72:73], v[24:25], -v[4:5]
	v_add_f64 v[96:97], v[92:93], v[94:95]
	ds_read_b128 v[92:95], v46 offset:1264
	s_waitcnt vmcnt(25) lgkmcnt(1)
	v_mul_f64 v[98:99], v[88:89], v[38:39]
	v_add_f64 v[2:3], v[2:3], v[4:5]
	v_mul_f64 v[4:5], v[78:79], v[34:35]
	s_waitcnt vmcnt(24)
	v_fmac_f64_e32 v[98:99], v[90:91], v[40:41]
	v_fma_f64 v[4:5], v[76:77], v[36:37], -v[4:5]
	v_add_f64 v[100:101], v[96:97], v[98:99]
	ds_read_b128 v[96:99], v46 offset:1280
	v_add_f64 v[2:3], v[2:3], v[4:5]
	v_mul_f64 v[4:5], v[82:83], v[30:31]
	v_fma_f64 v[4:5], v[80:81], v[32:33], -v[4:5]
	v_add_f64 v[2:3], v[2:3], v[4:5]
	v_mul_f64 v[4:5], v[86:87], v[42:43]
	s_waitcnt vmcnt(20) lgkmcnt(1)
	v_mul_f64 v[102:103], v[92:93], v[116:117]
	v_fma_f64 v[4:5], v[84:85], v[44:45], -v[4:5]
	s_waitcnt vmcnt(18)
	v_fmac_f64_e32 v[102:103], v[94:95], v[120:121]
	v_add_f64 v[2:3], v[2:3], v[4:5]
	v_mul_f64 v[4:5], v[90:91], v[38:39]
	v_add_f64 v[104:105], v[100:101], v[102:103]
	ds_read_b128 v[100:103], v46 offset:1296
	s_waitcnt vmcnt(17) lgkmcnt(1)
	v_mul_f64 v[106:107], v[96:97], v[112:113]
	v_fma_f64 v[4:5], v[88:89], v[40:41], -v[4:5]
	s_waitcnt vmcnt(16)
	v_fmac_f64_e32 v[106:107], v[98:99], v[114:115]
	v_add_f64 v[2:3], v[2:3], v[4:5]
	v_mul_f64 v[4:5], v[94:95], v[116:117]
	v_add_f64 v[138:139], v[104:105], v[106:107]
	ds_read_b128 v[104:107], v46 offset:1312
	v_fma_f64 v[4:5], v[92:93], v[120:121], -v[4:5]
	v_add_f64 v[2:3], v[2:3], v[4:5]
	v_mul_f64 v[4:5], v[98:99], v[112:113]
	v_fma_f64 v[4:5], v[96:97], v[114:115], -v[4:5]
	v_add_f64 v[2:3], v[2:3], v[4:5]
	s_waitcnt vmcnt(12) lgkmcnt(1)
	v_mul_f64 v[4:5], v[102:103], v[126:127]
	v_mul_f64 v[140:141], v[100:101], v[126:127]
	s_waitcnt vmcnt(10)
	v_fma_f64 v[4:5], v[100:101], v[128:129], -v[4:5]
	v_fmac_f64_e32 v[140:141], v[102:103], v[128:129]
	v_add_f64 v[2:3], v[2:3], v[4:5]
	s_waitcnt vmcnt(9) lgkmcnt(0)
	v_mul_f64 v[4:5], v[106:107], v[122:123]
	v_add_f64 v[46:47], v[138:139], v[140:141]
	v_mul_f64 v[138:139], v[104:105], v[122:123]
	s_waitcnt vmcnt(8)
	v_fma_f64 v[4:5], v[104:105], v[124:125], -v[4:5]
	v_fmac_f64_e32 v[138:139], v[106:107], v[124:125]
	v_add_f64 v[2:3], v[2:3], v[4:5]
	s_waitcnt vmcnt(6)
	v_mul_f64 v[4:5], v[110:111], v[130:131]
	v_add_f64 v[46:47], v[46:47], v[138:139]
	v_mul_f64 v[138:139], v[108:109], v[130:131]
	s_waitcnt vmcnt(4)
	v_fma_f64 v[4:5], v[108:109], v[132:133], -v[4:5]
	v_fmac_f64_e32 v[138:139], v[110:111], v[132:133]
	v_add_f64 v[2:3], v[2:3], v[4:5]
	v_add_f64 v[46:47], v[46:47], v[138:139]
	s_waitcnt vmcnt(2)
	v_add_f64 v[2:3], v[134:135], -v[2:3]
	s_waitcnt vmcnt(0)
	v_add_f64 v[4:5], v[136:137], -v[46:47]
	buffer_store_dword v3, off, s[0:3], 0 offset:420
	buffer_store_dword v2, off, s[0:3], 0 offset:416
	;; [unrolled: 1-line block ×4, first 2 shown]
	s_and_saveexec_b64 s[4:5], vcc
	s_cbranch_execz .LBB105_217
; %bb.216:
	v_accvgpr_read_b32 v0, a101
	buffer_load_dword v2, v0, s[0:3], 0 offen
	buffer_load_dword v3, v0, s[0:3], 0 offen offset:4
	buffer_load_dword v4, v0, s[0:3], 0 offen offset:8
	;; [unrolled: 1-line block ×3, first 2 shown]
	v_mov_b32_e32 v0, 0
	v_accvgpr_read_b32 v1, a126
	buffer_store_dword v0, off, s[0:3], 0 offset:400
	buffer_store_dword v0, off, s[0:3], 0 offset:404
	;; [unrolled: 1-line block ×4, first 2 shown]
	s_waitcnt vmcnt(4)
	ds_write_b128 v1, v[2:5]
.LBB105_217:
	s_or_b64 exec, exec, s[4:5]
	s_waitcnt lgkmcnt(0)
	; wave barrier
	s_waitcnt lgkmcnt(0)
	buffer_load_dword v2, off, s[0:3], 0 offset:416
	buffer_load_dword v3, off, s[0:3], 0 offset:420
	;; [unrolled: 1-line block ×68, first 2 shown]
	v_mov_b32_e32 v52, 0
	buffer_load_dword v142, off, s[0:3], 0 offset:400
	buffer_load_dword v143, off, s[0:3], 0 offset:404
	;; [unrolled: 1-line block ×3, first 2 shown]
	ds_read_b128 v[46:49], v52 offset:1072
	ds_read_b128 v[54:57], v52 offset:1088
	buffer_load_dword v145, off, s[0:3], 0 offset:412
	ds_read_b128 v[58:61], v52 offset:1104
	ds_read_b128 v[62:65], v52 offset:1120
	;; [unrolled: 1-line block ×3, first 2 shown]
	v_cmp_lt_u32_e32 vcc, 23, v118
	s_waitcnt vmcnt(62) lgkmcnt(4)
	v_mul_f64 v[66:67], v[46:47], v[6:7]
	v_fmac_f64_e32 v[66:67], v[48:49], v[2:3]
	v_add_f64 v[66:67], v[66:67], 0
	v_mul_f64 v[6:7], v[48:49], v[6:7]
	s_waitcnt lgkmcnt(3)
	v_mul_f64 v[68:69], v[54:55], v[10:11]
	v_fmac_f64_e32 v[68:69], v[56:57], v[4:5]
	v_add_f64 v[66:67], v[66:67], v[68:69]
	v_fma_f64 v[2:3], v[46:47], v[2:3], -v[6:7]
	s_waitcnt vmcnt(60) lgkmcnt(2)
	v_mul_f64 v[68:69], v[58:59], v[12:13]
	v_fmac_f64_e32 v[68:69], v[60:61], v[8:9]
	v_add_f64 v[70:71], v[66:67], v[68:69]
	ds_read_b128 v[66:69], v52 offset:1136
	s_waitcnt vmcnt(56) lgkmcnt(2)
	v_mul_f64 v[72:73], v[62:63], v[18:19]
	v_mul_f64 v[6:7], v[56:57], v[10:11]
	s_waitcnt vmcnt(54)
	v_fmac_f64_e32 v[72:73], v[64:65], v[20:21]
	v_add_f64 v[74:75], v[70:71], v[72:73]
	ds_read_b128 v[70:73], v52 offset:1152
	s_waitcnt vmcnt(53) lgkmcnt(1)
	v_mul_f64 v[76:77], v[66:67], v[14:15]
	s_waitcnt vmcnt(52)
	v_fmac_f64_e32 v[76:77], v[68:69], v[16:17]
	v_add_f64 v[78:79], v[74:75], v[76:77]
	ds_read_b128 v[74:77], v52 offset:1168
	s_waitcnt vmcnt(48) lgkmcnt(1)
	;; [unrolled: 6-line block ×4, first 2 shown]
	v_mul_f64 v[88:89], v[78:79], v[34:35]
	s_waitcnt vmcnt(38)
	v_fmac_f64_e32 v[88:89], v[80:81], v[36:37]
	v_add_f64 v[2:3], v[2:3], 0
	v_fma_f64 v[4:5], v[54:55], v[4:5], -v[6:7]
	v_add_f64 v[90:91], v[86:87], v[88:89]
	ds_read_b128 v[86:89], v52 offset:1216
	v_add_f64 v[2:3], v[2:3], v[4:5]
	v_mul_f64 v[4:5], v[60:61], v[12:13]
	v_fma_f64 v[4:5], v[58:59], v[8:9], -v[4:5]
	v_add_f64 v[2:3], v[2:3], v[4:5]
	v_mul_f64 v[4:5], v[64:65], v[18:19]
	s_waitcnt vmcnt(37) lgkmcnt(1)
	v_mul_f64 v[92:93], v[82:83], v[30:31]
	v_fma_f64 v[4:5], v[62:63], v[20:21], -v[4:5]
	s_waitcnt vmcnt(36)
	v_fmac_f64_e32 v[92:93], v[84:85], v[32:33]
	v_add_f64 v[2:3], v[2:3], v[4:5]
	v_mul_f64 v[4:5], v[68:69], v[14:15]
	v_add_f64 v[94:95], v[90:91], v[92:93]
	ds_read_b128 v[90:93], v52 offset:1232
	s_waitcnt vmcnt(32) lgkmcnt(1)
	v_mul_f64 v[96:97], v[86:87], v[42:43]
	v_fma_f64 v[4:5], v[66:67], v[16:17], -v[4:5]
	s_waitcnt vmcnt(30)
	v_fmac_f64_e32 v[96:97], v[88:89], v[44:45]
	v_add_f64 v[2:3], v[2:3], v[4:5]
	v_mul_f64 v[4:5], v[72:73], v[26:27]
	v_add_f64 v[98:99], v[94:95], v[96:97]
	ds_read_b128 v[94:97], v52 offset:1248
	v_fma_f64 v[4:5], v[70:71], v[28:29], -v[4:5]
	v_add_f64 v[2:3], v[2:3], v[4:5]
	v_mul_f64 v[4:5], v[76:77], v[22:23]
	v_fma_f64 v[4:5], v[74:75], v[24:25], -v[4:5]
	s_waitcnt vmcnt(29) lgkmcnt(1)
	v_mul_f64 v[100:101], v[90:91], v[38:39]
	v_add_f64 v[2:3], v[2:3], v[4:5]
	v_mul_f64 v[4:5], v[80:81], v[34:35]
	s_waitcnt vmcnt(28)
	v_fmac_f64_e32 v[100:101], v[92:93], v[40:41]
	v_fma_f64 v[4:5], v[78:79], v[36:37], -v[4:5]
	v_add_f64 v[102:103], v[98:99], v[100:101]
	ds_read_b128 v[98:101], v52 offset:1264
	s_waitcnt vmcnt(24) lgkmcnt(1)
	v_mul_f64 v[104:105], v[94:95], v[122:123]
	v_add_f64 v[2:3], v[2:3], v[4:5]
	v_mul_f64 v[4:5], v[84:85], v[30:31]
	s_waitcnt vmcnt(22)
	v_fmac_f64_e32 v[104:105], v[96:97], v[124:125]
	v_fma_f64 v[4:5], v[82:83], v[32:33], -v[4:5]
	v_add_f64 v[106:107], v[102:103], v[104:105]
	ds_read_b128 v[102:105], v52 offset:1280
	v_add_f64 v[2:3], v[2:3], v[4:5]
	v_mul_f64 v[4:5], v[88:89], v[42:43]
	v_fma_f64 v[4:5], v[86:87], v[44:45], -v[4:5]
	v_add_f64 v[2:3], v[2:3], v[4:5]
	v_mul_f64 v[4:5], v[92:93], v[38:39]
	s_waitcnt vmcnt(21) lgkmcnt(1)
	v_mul_f64 v[108:109], v[98:99], v[50:51]
	v_fma_f64 v[4:5], v[90:91], v[40:41], -v[4:5]
	s_waitcnt vmcnt(20)
	v_fmac_f64_e32 v[108:109], v[100:101], v[120:121]
	v_add_f64 v[2:3], v[2:3], v[4:5]
	v_mul_f64 v[4:5], v[96:97], v[122:123]
	v_add_f64 v[110:111], v[106:107], v[108:109]
	ds_read_b128 v[106:109], v52 offset:1296
	s_waitcnt vmcnt(16) lgkmcnt(1)
	v_mul_f64 v[112:113], v[102:103], v[130:131]
	v_fma_f64 v[4:5], v[94:95], v[124:125], -v[4:5]
	s_waitcnt vmcnt(14)
	v_fmac_f64_e32 v[112:113], v[104:105], v[132:133]
	v_add_f64 v[2:3], v[2:3], v[4:5]
	v_mul_f64 v[4:5], v[100:101], v[50:51]
	v_add_f64 v[146:147], v[110:111], v[112:113]
	ds_read_b128 v[110:113], v52 offset:1312
	v_fma_f64 v[4:5], v[98:99], v[120:121], -v[4:5]
	v_add_f64 v[2:3], v[2:3], v[4:5]
	v_mul_f64 v[4:5], v[104:105], v[130:131]
	v_fma_f64 v[4:5], v[102:103], v[132:133], -v[4:5]
	v_add_f64 v[2:3], v[2:3], v[4:5]
	s_waitcnt vmcnt(13) lgkmcnt(1)
	v_mul_f64 v[4:5], v[108:109], v[126:127]
	v_mul_f64 v[148:149], v[106:107], v[126:127]
	s_waitcnt vmcnt(12)
	v_fma_f64 v[4:5], v[106:107], v[128:129], -v[4:5]
	v_fmac_f64_e32 v[148:149], v[108:109], v[128:129]
	v_add_f64 v[2:3], v[2:3], v[4:5]
	s_waitcnt vmcnt(8) lgkmcnt(0)
	v_mul_f64 v[4:5], v[112:113], v[138:139]
	v_add_f64 v[146:147], v[146:147], v[148:149]
	v_mul_f64 v[148:149], v[110:111], v[138:139]
	s_waitcnt vmcnt(6)
	v_fma_f64 v[4:5], v[110:111], v[140:141], -v[4:5]
	v_fmac_f64_e32 v[148:149], v[112:113], v[140:141]
	v_add_f64 v[2:3], v[2:3], v[4:5]
	s_waitcnt vmcnt(5)
	v_mul_f64 v[4:5], v[116:117], v[134:135]
	v_add_f64 v[146:147], v[146:147], v[148:149]
	v_mul_f64 v[148:149], v[114:115], v[134:135]
	s_waitcnt vmcnt(4)
	v_fma_f64 v[4:5], v[114:115], v[136:137], -v[4:5]
	v_fmac_f64_e32 v[148:149], v[116:117], v[136:137]
	v_add_f64 v[2:3], v[2:3], v[4:5]
	v_add_f64 v[146:147], v[146:147], v[148:149]
	s_waitcnt vmcnt(2)
	v_add_f64 v[2:3], v[142:143], -v[2:3]
	s_waitcnt vmcnt(0)
	v_add_f64 v[4:5], v[144:145], -v[146:147]
	buffer_store_dword v3, off, s[0:3], 0 offset:404
	buffer_store_dword v2, off, s[0:3], 0 offset:400
	;; [unrolled: 1-line block ×4, first 2 shown]
	s_and_saveexec_b64 s[4:5], vcc
	s_cbranch_execz .LBB105_219
; %bb.218:
	v_accvgpr_read_b32 v0, a102
	buffer_load_dword v2, v0, s[0:3], 0 offen
	buffer_load_dword v3, v0, s[0:3], 0 offen offset:4
	buffer_load_dword v4, v0, s[0:3], 0 offen offset:8
	;; [unrolled: 1-line block ×3, first 2 shown]
	v_accvgpr_read_b32 v0, a126
	buffer_store_dword v52, off, s[0:3], 0 offset:384
	buffer_store_dword v52, off, s[0:3], 0 offset:388
	;; [unrolled: 1-line block ×4, first 2 shown]
	s_waitcnt vmcnt(4)
	ds_write_b128 v0, v[2:5]
.LBB105_219:
	s_or_b64 exec, exec, s[4:5]
	s_waitcnt lgkmcnt(0)
	; wave barrier
	s_waitcnt lgkmcnt(0)
	buffer_load_dword v2, off, s[0:3], 0 offset:400
	buffer_load_dword v3, off, s[0:3], 0 offset:404
	;; [unrolled: 1-line block ×72, first 2 shown]
	ds_read_b128 v[54:57], v52 offset:1056
	buffer_load_dword v150, off, s[0:3], 0 offset:384
	buffer_load_dword v151, off, s[0:3], 0 offset:388
	;; [unrolled: 1-line block ×4, first 2 shown]
	ds_read_b128 v[58:61], v52 offset:1072
	ds_read_b128 v[62:65], v52 offset:1088
	;; [unrolled: 1-line block ×3, first 2 shown]
	v_cmp_lt_u32_e32 vcc, 22, v118
	ds_read_b128 v[124:127], v52 offset:1328
	s_waitcnt vmcnt(62) lgkmcnt(4)
	v_mul_f64 v[70:71], v[54:55], v[8:9]
	v_fmac_f64_e32 v[70:71], v[56:57], v[2:3]
	v_add_f64 v[70:71], v[70:71], 0
	v_mul_f64 v[8:9], v[56:57], v[8:9]
	s_waitcnt lgkmcnt(3)
	v_mul_f64 v[72:73], v[58:59], v[10:11]
	v_fmac_f64_e32 v[72:73], v[60:61], v[4:5]
	v_add_f64 v[70:71], v[70:71], v[72:73]
	v_fma_f64 v[2:3], v[54:55], v[2:3], -v[8:9]
	s_waitcnt lgkmcnt(2)
	v_mul_f64 v[72:73], v[62:63], v[12:13]
	v_fmac_f64_e32 v[72:73], v[64:65], v[6:7]
	v_add_f64 v[74:75], v[70:71], v[72:73]
	ds_read_b128 v[70:73], v52 offset:1120
	s_waitcnt vmcnt(60) lgkmcnt(2)
	v_mul_f64 v[76:77], v[66:67], v[18:19]
	v_mul_f64 v[8:9], v[60:61], v[10:11]
	s_waitcnt vmcnt(58)
	v_fmac_f64_e32 v[76:77], v[68:69], v[20:21]
	v_add_f64 v[78:79], v[74:75], v[76:77]
	ds_read_b128 v[74:77], v52 offset:1136
	s_waitcnt vmcnt(57) lgkmcnt(1)
	v_mul_f64 v[80:81], v[70:71], v[14:15]
	s_waitcnt vmcnt(56)
	v_fmac_f64_e32 v[80:81], v[72:73], v[16:17]
	v_add_f64 v[82:83], v[78:79], v[80:81]
	ds_read_b128 v[78:81], v52 offset:1152
	s_waitcnt vmcnt(52) lgkmcnt(1)
	;; [unrolled: 6-line block ×4, first 2 shown]
	v_mul_f64 v[92:93], v[82:83], v[34:35]
	s_waitcnt vmcnt(42)
	v_fmac_f64_e32 v[92:93], v[84:85], v[36:37]
	v_add_f64 v[2:3], v[2:3], 0
	v_fma_f64 v[4:5], v[58:59], v[4:5], -v[8:9]
	v_add_f64 v[94:95], v[90:91], v[92:93]
	ds_read_b128 v[90:93], v52 offset:1200
	s_waitcnt vmcnt(41) lgkmcnt(1)
	v_mul_f64 v[96:97], v[86:87], v[30:31]
	v_add_f64 v[2:3], v[2:3], v[4:5]
	v_mul_f64 v[4:5], v[64:65], v[12:13]
	s_waitcnt vmcnt(40)
	v_fmac_f64_e32 v[96:97], v[88:89], v[32:33]
	v_fma_f64 v[4:5], v[62:63], v[6:7], -v[4:5]
	v_add_f64 v[98:99], v[94:95], v[96:97]
	ds_read_b128 v[94:97], v52 offset:1216
	v_add_f64 v[2:3], v[2:3], v[4:5]
	v_mul_f64 v[4:5], v[68:69], v[18:19]
	v_fma_f64 v[4:5], v[66:67], v[20:21], -v[4:5]
	v_add_f64 v[2:3], v[2:3], v[4:5]
	v_mul_f64 v[4:5], v[72:73], v[14:15]
	s_waitcnt vmcnt(36) lgkmcnt(1)
	v_mul_f64 v[100:101], v[90:91], v[42:43]
	v_fma_f64 v[4:5], v[70:71], v[16:17], -v[4:5]
	s_waitcnt vmcnt(34)
	v_fmac_f64_e32 v[100:101], v[92:93], v[44:45]
	v_add_f64 v[2:3], v[2:3], v[4:5]
	v_mul_f64 v[4:5], v[76:77], v[26:27]
	v_add_f64 v[102:103], v[98:99], v[100:101]
	ds_read_b128 v[98:101], v52 offset:1232
	s_waitcnt vmcnt(33) lgkmcnt(1)
	v_mul_f64 v[104:105], v[94:95], v[38:39]
	v_fma_f64 v[4:5], v[74:75], v[28:29], -v[4:5]
	s_waitcnt vmcnt(32)
	v_fmac_f64_e32 v[104:105], v[96:97], v[40:41]
	v_add_f64 v[2:3], v[2:3], v[4:5]
	v_mul_f64 v[4:5], v[80:81], v[22:23]
	v_add_f64 v[106:107], v[102:103], v[104:105]
	ds_read_b128 v[102:105], v52 offset:1248
	v_fma_f64 v[4:5], v[78:79], v[24:25], -v[4:5]
	v_add_f64 v[2:3], v[2:3], v[4:5]
	v_mul_f64 v[4:5], v[84:85], v[34:35]
	v_fma_f64 v[4:5], v[82:83], v[36:37], -v[4:5]
	s_waitcnt vmcnt(28) lgkmcnt(1)
	v_mul_f64 v[108:109], v[98:99], v[50:51]
	v_add_f64 v[2:3], v[2:3], v[4:5]
	v_mul_f64 v[4:5], v[88:89], v[30:31]
	s_waitcnt vmcnt(26)
	v_fmac_f64_e32 v[108:109], v[100:101], v[128:129]
	v_fma_f64 v[4:5], v[86:87], v[32:33], -v[4:5]
	v_add_f64 v[110:111], v[106:107], v[108:109]
	ds_read_b128 v[106:109], v52 offset:1264
	s_waitcnt vmcnt(25) lgkmcnt(1)
	v_mul_f64 v[112:113], v[102:103], v[46:47]
	v_add_f64 v[2:3], v[2:3], v[4:5]
	v_mul_f64 v[4:5], v[92:93], v[42:43]
	s_waitcnt vmcnt(24)
	v_fmac_f64_e32 v[112:113], v[104:105], v[48:49]
	v_fma_f64 v[4:5], v[90:91], v[44:45], -v[4:5]
	v_add_f64 v[114:115], v[110:111], v[112:113]
	ds_read_b128 v[110:113], v52 offset:1280
	v_add_f64 v[2:3], v[2:3], v[4:5]
	v_mul_f64 v[4:5], v[96:97], v[38:39]
	v_fma_f64 v[4:5], v[94:95], v[40:41], -v[4:5]
	v_add_f64 v[2:3], v[2:3], v[4:5]
	v_mul_f64 v[4:5], v[100:101], v[50:51]
	s_waitcnt vmcnt(20) lgkmcnt(1)
	v_mul_f64 v[116:117], v[106:107], v[134:135]
	v_fma_f64 v[4:5], v[98:99], v[128:129], -v[4:5]
	s_waitcnt vmcnt(18)
	v_fmac_f64_e32 v[116:117], v[108:109], v[136:137]
	v_add_f64 v[2:3], v[2:3], v[4:5]
	v_mul_f64 v[4:5], v[104:105], v[46:47]
	v_add_f64 v[120:121], v[114:115], v[116:117]
	ds_read_b128 v[114:117], v52 offset:1296
	s_waitcnt vmcnt(17) lgkmcnt(1)
	v_mul_f64 v[122:123], v[110:111], v[130:131]
	v_fma_f64 v[4:5], v[102:103], v[48:49], -v[4:5]
	s_waitcnt vmcnt(16)
	v_fmac_f64_e32 v[122:123], v[112:113], v[132:133]
	v_add_f64 v[2:3], v[2:3], v[4:5]
	v_mul_f64 v[4:5], v[108:109], v[134:135]
	v_add_f64 v[154:155], v[120:121], v[122:123]
	ds_read_b128 v[120:123], v52 offset:1312
	v_fma_f64 v[4:5], v[106:107], v[136:137], -v[4:5]
	v_add_f64 v[2:3], v[2:3], v[4:5]
	v_mul_f64 v[4:5], v[112:113], v[130:131]
	v_fma_f64 v[4:5], v[110:111], v[132:133], -v[4:5]
	v_add_f64 v[2:3], v[2:3], v[4:5]
	s_waitcnt vmcnt(12) lgkmcnt(1)
	v_mul_f64 v[4:5], v[116:117], v[142:143]
	v_mul_f64 v[156:157], v[114:115], v[142:143]
	s_waitcnt vmcnt(10)
	v_fma_f64 v[4:5], v[114:115], v[144:145], -v[4:5]
	v_fmac_f64_e32 v[156:157], v[116:117], v[144:145]
	v_add_f64 v[2:3], v[2:3], v[4:5]
	s_waitcnt vmcnt(9) lgkmcnt(0)
	v_mul_f64 v[4:5], v[122:123], v[138:139]
	v_add_f64 v[52:53], v[154:155], v[156:157]
	v_mul_f64 v[154:155], v[120:121], v[138:139]
	s_waitcnt vmcnt(8)
	v_fma_f64 v[4:5], v[120:121], v[140:141], -v[4:5]
	v_fmac_f64_e32 v[154:155], v[122:123], v[140:141]
	v_add_f64 v[2:3], v[2:3], v[4:5]
	s_waitcnt vmcnt(6)
	v_mul_f64 v[4:5], v[126:127], v[146:147]
	v_add_f64 v[52:53], v[52:53], v[154:155]
	v_mul_f64 v[154:155], v[124:125], v[146:147]
	s_waitcnt vmcnt(4)
	v_fma_f64 v[4:5], v[124:125], v[148:149], -v[4:5]
	v_fmac_f64_e32 v[154:155], v[126:127], v[148:149]
	v_add_f64 v[2:3], v[2:3], v[4:5]
	v_add_f64 v[52:53], v[52:53], v[154:155]
	s_waitcnt vmcnt(2)
	v_add_f64 v[2:3], v[150:151], -v[2:3]
	s_waitcnt vmcnt(0)
	v_add_f64 v[4:5], v[152:153], -v[52:53]
	buffer_store_dword v3, off, s[0:3], 0 offset:388
	buffer_store_dword v2, off, s[0:3], 0 offset:384
	;; [unrolled: 1-line block ×4, first 2 shown]
	s_and_saveexec_b64 s[4:5], vcc
	s_cbranch_execz .LBB105_221
; %bb.220:
	v_accvgpr_read_b32 v0, a103
	buffer_load_dword v2, v0, s[0:3], 0 offen
	buffer_load_dword v3, v0, s[0:3], 0 offen offset:4
	buffer_load_dword v4, v0, s[0:3], 0 offen offset:8
	;; [unrolled: 1-line block ×3, first 2 shown]
	v_mov_b32_e32 v0, 0
	v_accvgpr_read_b32 v1, a126
	buffer_store_dword v0, off, s[0:3], 0 offset:368
	buffer_store_dword v0, off, s[0:3], 0 offset:372
	;; [unrolled: 1-line block ×4, first 2 shown]
	s_waitcnt vmcnt(4)
	ds_write_b128 v1, v[2:5]
.LBB105_221:
	s_or_b64 exec, exec, s[4:5]
	s_waitcnt lgkmcnt(0)
	; wave barrier
	s_waitcnt lgkmcnt(0)
	buffer_load_dword v2, off, s[0:3], 0 offset:384
	buffer_load_dword v3, off, s[0:3], 0 offset:388
	;; [unrolled: 1-line block ×76, first 2 shown]
	v_mov_b32_e32 v54, 0
	ds_read_b128 v[56:59], v54 offset:1040
	buffer_load_dword v158, off, s[0:3], 0 offset:368
	buffer_load_dword v159, off, s[0:3], 0 offset:372
	;; [unrolled: 1-line block ×4, first 2 shown]
	ds_read_b128 v[60:63], v54 offset:1056
	ds_read_b128 v[64:67], v54 offset:1072
	;; [unrolled: 1-line block ×4, first 2 shown]
	v_cmp_lt_u32_e32 vcc, 21, v118
	s_waitcnt vmcnt(62) lgkmcnt(4)
	v_mul_f64 v[72:73], v[56:57], v[8:9]
	v_fmac_f64_e32 v[72:73], v[58:59], v[2:3]
	v_add_f64 v[72:73], v[72:73], 0
	v_mul_f64 v[8:9], v[58:59], v[8:9]
	s_waitcnt lgkmcnt(3)
	v_mul_f64 v[74:75], v[60:61], v[10:11]
	v_fmac_f64_e32 v[74:75], v[62:63], v[4:5]
	v_add_f64 v[72:73], v[72:73], v[74:75]
	v_fma_f64 v[2:3], v[56:57], v[2:3], -v[8:9]
	s_waitcnt lgkmcnt(2)
	v_mul_f64 v[74:75], v[64:65], v[12:13]
	v_fmac_f64_e32 v[74:75], v[66:67], v[6:7]
	v_add_f64 v[76:77], v[72:73], v[74:75]
	ds_read_b128 v[72:75], v54 offset:1104
	s_waitcnt lgkmcnt(2)
	v_mul_f64 v[78:79], v[68:69], v[18:19]
	v_mul_f64 v[8:9], v[62:63], v[10:11]
	v_fmac_f64_e32 v[78:79], v[70:71], v[20:21]
	v_add_f64 v[80:81], v[76:77], v[78:79]
	ds_read_b128 v[76:79], v54 offset:1120
	s_waitcnt vmcnt(61) lgkmcnt(1)
	v_mul_f64 v[82:83], v[72:73], v[14:15]
	s_waitcnt vmcnt(60)
	v_fmac_f64_e32 v[82:83], v[74:75], v[16:17]
	v_add_f64 v[84:85], v[80:81], v[82:83]
	ds_read_b128 v[80:83], v54 offset:1136
	s_waitcnt vmcnt(56) lgkmcnt(1)
	v_mul_f64 v[86:87], v[76:77], v[26:27]
	s_waitcnt vmcnt(54)
	;; [unrolled: 6-line block ×4, first 2 shown]
	v_fmac_f64_e32 v[94:95], v[86:87], v[36:37]
	v_add_f64 v[96:97], v[92:93], v[94:95]
	ds_read_b128 v[92:95], v54 offset:1184
	v_add_f64 v[2:3], v[2:3], 0
	v_fma_f64 v[4:5], v[60:61], v[4:5], -v[8:9]
	s_waitcnt vmcnt(45) lgkmcnt(1)
	v_mul_f64 v[98:99], v[88:89], v[30:31]
	v_add_f64 v[2:3], v[2:3], v[4:5]
	v_mul_f64 v[4:5], v[66:67], v[12:13]
	s_waitcnt vmcnt(44)
	v_fmac_f64_e32 v[98:99], v[90:91], v[32:33]
	v_fma_f64 v[4:5], v[64:65], v[6:7], -v[4:5]
	v_add_f64 v[100:101], v[96:97], v[98:99]
	ds_read_b128 v[96:99], v54 offset:1200
	s_waitcnt vmcnt(40) lgkmcnt(1)
	v_mul_f64 v[102:103], v[92:93], v[42:43]
	v_add_f64 v[2:3], v[2:3], v[4:5]
	v_mul_f64 v[4:5], v[70:71], v[18:19]
	s_waitcnt vmcnt(38)
	v_fmac_f64_e32 v[102:103], v[94:95], v[44:45]
	v_fma_f64 v[4:5], v[68:69], v[20:21], -v[4:5]
	v_add_f64 v[104:105], v[100:101], v[102:103]
	ds_read_b128 v[100:103], v54 offset:1216
	v_add_f64 v[2:3], v[2:3], v[4:5]
	v_mul_f64 v[4:5], v[74:75], v[14:15]
	v_fma_f64 v[4:5], v[72:73], v[16:17], -v[4:5]
	v_add_f64 v[2:3], v[2:3], v[4:5]
	v_mul_f64 v[4:5], v[78:79], v[26:27]
	s_waitcnt vmcnt(37) lgkmcnt(1)
	v_mul_f64 v[106:107], v[96:97], v[38:39]
	v_fma_f64 v[4:5], v[76:77], v[28:29], -v[4:5]
	s_waitcnt vmcnt(36)
	v_fmac_f64_e32 v[106:107], v[98:99], v[40:41]
	v_add_f64 v[2:3], v[2:3], v[4:5]
	v_mul_f64 v[4:5], v[82:83], v[22:23]
	v_add_f64 v[108:109], v[104:105], v[106:107]
	ds_read_b128 v[104:107], v54 offset:1232
	s_waitcnt vmcnt(32) lgkmcnt(1)
	v_mul_f64 v[110:111], v[100:101], v[50:51]
	v_fma_f64 v[4:5], v[80:81], v[24:25], -v[4:5]
	s_waitcnt vmcnt(30)
	v_fmac_f64_e32 v[110:111], v[102:103], v[52:53]
	v_add_f64 v[2:3], v[2:3], v[4:5]
	v_mul_f64 v[4:5], v[86:87], v[34:35]
	v_add_f64 v[112:113], v[108:109], v[110:111]
	ds_read_b128 v[108:111], v54 offset:1248
	v_fma_f64 v[4:5], v[84:85], v[36:37], -v[4:5]
	v_add_f64 v[2:3], v[2:3], v[4:5]
	v_mul_f64 v[4:5], v[90:91], v[30:31]
	v_fma_f64 v[4:5], v[88:89], v[32:33], -v[4:5]
	s_waitcnt vmcnt(29) lgkmcnt(1)
	v_mul_f64 v[114:115], v[104:105], v[46:47]
	v_add_f64 v[2:3], v[2:3], v[4:5]
	v_mul_f64 v[4:5], v[94:95], v[42:43]
	s_waitcnt vmcnt(28)
	v_fmac_f64_e32 v[114:115], v[106:107], v[48:49]
	v_fma_f64 v[4:5], v[92:93], v[44:45], -v[4:5]
	v_add_f64 v[120:121], v[112:113], v[114:115]
	ds_read_b128 v[112:115], v54 offset:1264
	s_waitcnt vmcnt(24) lgkmcnt(1)
	v_mul_f64 v[122:123], v[108:109], v[138:139]
	v_add_f64 v[2:3], v[2:3], v[4:5]
	v_mul_f64 v[4:5], v[98:99], v[38:39]
	s_waitcnt vmcnt(22)
	v_fmac_f64_e32 v[122:123], v[110:111], v[140:141]
	v_fma_f64 v[4:5], v[96:97], v[40:41], -v[4:5]
	v_add_f64 v[124:125], v[120:121], v[122:123]
	ds_read_b128 v[120:123], v54 offset:1280
	v_add_f64 v[2:3], v[2:3], v[4:5]
	v_mul_f64 v[4:5], v[102:103], v[50:51]
	v_fma_f64 v[4:5], v[100:101], v[52:53], -v[4:5]
	v_add_f64 v[2:3], v[2:3], v[4:5]
	v_mul_f64 v[4:5], v[106:107], v[46:47]
	s_waitcnt vmcnt(21) lgkmcnt(1)
	v_mul_f64 v[126:127], v[112:113], v[116:117]
	v_fma_f64 v[4:5], v[104:105], v[48:49], -v[4:5]
	s_waitcnt vmcnt(20)
	v_fmac_f64_e32 v[126:127], v[114:115], v[136:137]
	v_add_f64 v[2:3], v[2:3], v[4:5]
	v_mul_f64 v[4:5], v[110:111], v[138:139]
	v_add_f64 v[128:129], v[124:125], v[126:127]
	ds_read_b128 v[124:127], v54 offset:1296
	s_waitcnt vmcnt(16) lgkmcnt(1)
	v_mul_f64 v[130:131], v[120:121], v[146:147]
	v_fma_f64 v[4:5], v[108:109], v[140:141], -v[4:5]
	s_waitcnt vmcnt(14)
	v_fmac_f64_e32 v[130:131], v[122:123], v[148:149]
	v_add_f64 v[2:3], v[2:3], v[4:5]
	v_mul_f64 v[4:5], v[114:115], v[116:117]
	v_add_f64 v[162:163], v[128:129], v[130:131]
	ds_read_b128 v[128:131], v54 offset:1312
	v_fma_f64 v[4:5], v[112:113], v[136:137], -v[4:5]
	v_add_f64 v[2:3], v[2:3], v[4:5]
	v_mul_f64 v[4:5], v[122:123], v[146:147]
	v_fma_f64 v[4:5], v[120:121], v[148:149], -v[4:5]
	v_add_f64 v[2:3], v[2:3], v[4:5]
	s_waitcnt vmcnt(13) lgkmcnt(1)
	v_mul_f64 v[4:5], v[126:127], v[142:143]
	v_mul_f64 v[164:165], v[124:125], v[142:143]
	s_waitcnt vmcnt(12)
	v_fma_f64 v[4:5], v[124:125], v[144:145], -v[4:5]
	v_fmac_f64_e32 v[164:165], v[126:127], v[144:145]
	v_add_f64 v[2:3], v[2:3], v[4:5]
	s_waitcnt vmcnt(8) lgkmcnt(0)
	v_mul_f64 v[4:5], v[130:131], v[154:155]
	v_add_f64 v[162:163], v[162:163], v[164:165]
	v_mul_f64 v[164:165], v[128:129], v[154:155]
	s_waitcnt vmcnt(6)
	v_fma_f64 v[4:5], v[128:129], v[156:157], -v[4:5]
	v_fmac_f64_e32 v[164:165], v[130:131], v[156:157]
	v_add_f64 v[2:3], v[2:3], v[4:5]
	s_waitcnt vmcnt(5)
	v_mul_f64 v[4:5], v[134:135], v[150:151]
	v_add_f64 v[162:163], v[162:163], v[164:165]
	v_mul_f64 v[164:165], v[132:133], v[150:151]
	s_waitcnt vmcnt(4)
	v_fma_f64 v[4:5], v[132:133], v[152:153], -v[4:5]
	v_fmac_f64_e32 v[164:165], v[134:135], v[152:153]
	v_add_f64 v[2:3], v[2:3], v[4:5]
	v_add_f64 v[162:163], v[162:163], v[164:165]
	s_waitcnt vmcnt(2)
	v_add_f64 v[2:3], v[158:159], -v[2:3]
	s_waitcnt vmcnt(0)
	v_add_f64 v[4:5], v[160:161], -v[162:163]
	buffer_store_dword v3, off, s[0:3], 0 offset:372
	buffer_store_dword v2, off, s[0:3], 0 offset:368
	;; [unrolled: 1-line block ×4, first 2 shown]
	s_and_saveexec_b64 s[4:5], vcc
	s_cbranch_execz .LBB105_223
; %bb.222:
	v_accvgpr_read_b32 v0, a104
	buffer_load_dword v2, v0, s[0:3], 0 offen
	buffer_load_dword v3, v0, s[0:3], 0 offen offset:4
	buffer_load_dword v4, v0, s[0:3], 0 offen offset:8
	;; [unrolled: 1-line block ×3, first 2 shown]
	v_accvgpr_read_b32 v0, a126
	buffer_store_dword v54, off, s[0:3], 0 offset:352
	buffer_store_dword v54, off, s[0:3], 0 offset:356
	;; [unrolled: 1-line block ×4, first 2 shown]
	s_waitcnt vmcnt(4)
	ds_write_b128 v0, v[2:5]
.LBB105_223:
	s_or_b64 exec, exec, s[4:5]
	s_waitcnt lgkmcnt(0)
	; wave barrier
	s_waitcnt lgkmcnt(0)
	buffer_load_dword v2, off, s[0:3], 0 offset:368
	buffer_load_dword v3, off, s[0:3], 0 offset:372
	;; [unrolled: 1-line block ×76, first 2 shown]
	ds_read_b128 v[56:59], v54 offset:1024
	buffer_load_dword v163, off, s[0:3], 0 offset:684
	buffer_load_dword v162, off, s[0:3], 0 offset:680
	;; [unrolled: 1-line block ×8, first 2 shown]
	ds_read_b128 v[60:63], v54 offset:1040
	ds_read_b128 v[64:67], v54 offset:1056
	;; [unrolled: 1-line block ×3, first 2 shown]
	v_cmp_lt_u32_e32 vcc, 20, v118
	ds_read_b128 v[136:139], v54 offset:1328
	s_waitcnt vmcnt(62) lgkmcnt(4)
	v_mul_f64 v[72:73], v[56:57], v[8:9]
	v_fmac_f64_e32 v[72:73], v[58:59], v[2:3]
	v_add_f64 v[72:73], v[72:73], 0
	v_mul_f64 v[8:9], v[58:59], v[8:9]
	s_waitcnt lgkmcnt(3)
	v_mul_f64 v[74:75], v[60:61], v[10:11]
	v_fmac_f64_e32 v[74:75], v[62:63], v[4:5]
	v_add_f64 v[72:73], v[72:73], v[74:75]
	v_fma_f64 v[2:3], v[56:57], v[2:3], -v[8:9]
	s_waitcnt lgkmcnt(2)
	v_mul_f64 v[74:75], v[64:65], v[12:13]
	v_fmac_f64_e32 v[74:75], v[66:67], v[6:7]
	v_add_f64 v[76:77], v[72:73], v[74:75]
	ds_read_b128 v[72:75], v54 offset:1088
	v_mul_f64 v[8:9], v[62:63], v[10:11]
	v_add_f64 v[2:3], v[2:3], 0
	s_waitcnt lgkmcnt(2)
	v_mul_f64 v[78:79], v[68:69], v[18:19]
	v_fma_f64 v[4:5], v[60:61], v[4:5], -v[8:9]
	v_fmac_f64_e32 v[78:79], v[70:71], v[20:21]
	v_add_f64 v[80:81], v[76:77], v[78:79]
	ds_read_b128 v[76:79], v54 offset:1104
	s_waitcnt lgkmcnt(1)
	v_mul_f64 v[82:83], v[72:73], v[14:15]
	v_fmac_f64_e32 v[82:83], v[74:75], v[16:17]
	v_add_f64 v[84:85], v[80:81], v[82:83]
	ds_read_b128 v[80:83], v54 offset:1120
	s_waitcnt vmcnt(58) lgkmcnt(1)
	v_mul_f64 v[86:87], v[76:77], v[26:27]
	s_waitcnt vmcnt(56)
	v_fmac_f64_e32 v[86:87], v[78:79], v[28:29]
	v_add_f64 v[88:89], v[84:85], v[86:87]
	ds_read_b128 v[84:87], v54 offset:1136
	s_waitcnt lgkmcnt(1)
	v_mul_f64 v[90:91], v[80:81], v[22:23]
	v_fmac_f64_e32 v[90:91], v[82:83], v[24:25]
	v_add_f64 v[92:93], v[88:89], v[90:91]
	ds_read_b128 v[88:91], v54 offset:1152
	s_waitcnt vmcnt(50) lgkmcnt(1)
	v_mul_f64 v[94:95], v[84:85], v[34:35]
	s_waitcnt vmcnt(48)
	v_fmac_f64_e32 v[94:95], v[86:87], v[36:37]
	v_add_f64 v[96:97], v[92:93], v[94:95]
	ds_read_b128 v[92:95], v54 offset:1168
	s_waitcnt lgkmcnt(1)
	v_mul_f64 v[98:99], v[88:89], v[30:31]
	v_fmac_f64_e32 v[98:99], v[90:91], v[32:33]
	v_add_f64 v[100:101], v[96:97], v[98:99]
	ds_read_b128 v[96:99], v54 offset:1184
	v_add_f64 v[2:3], v[2:3], v[4:5]
	v_mul_f64 v[4:5], v[66:67], v[12:13]
	v_fma_f64 v[4:5], v[64:65], v[6:7], -v[4:5]
	s_waitcnt vmcnt(42) lgkmcnt(1)
	v_mul_f64 v[102:103], v[92:93], v[42:43]
	v_add_f64 v[2:3], v[2:3], v[4:5]
	v_mul_f64 v[4:5], v[70:71], v[18:19]
	s_waitcnt vmcnt(40)
	v_fmac_f64_e32 v[102:103], v[94:95], v[44:45]
	v_fma_f64 v[4:5], v[68:69], v[20:21], -v[4:5]
	v_add_f64 v[104:105], v[100:101], v[102:103]
	ds_read_b128 v[100:103], v54 offset:1200
	s_waitcnt lgkmcnt(1)
	v_mul_f64 v[106:107], v[96:97], v[38:39]
	v_add_f64 v[2:3], v[2:3], v[4:5]
	v_mul_f64 v[4:5], v[74:75], v[14:15]
	v_fmac_f64_e32 v[106:107], v[98:99], v[40:41]
	v_fma_f64 v[4:5], v[72:73], v[16:17], -v[4:5]
	v_add_f64 v[108:109], v[104:105], v[106:107]
	ds_read_b128 v[104:107], v54 offset:1216
	v_add_f64 v[2:3], v[2:3], v[4:5]
	v_mul_f64 v[4:5], v[78:79], v[26:27]
	v_fma_f64 v[4:5], v[76:77], v[28:29], -v[4:5]
	v_add_f64 v[2:3], v[2:3], v[4:5]
	v_mul_f64 v[4:5], v[82:83], v[22:23]
	s_waitcnt vmcnt(34) lgkmcnt(1)
	v_mul_f64 v[110:111], v[100:101], v[50:51]
	v_fma_f64 v[4:5], v[80:81], v[24:25], -v[4:5]
	s_waitcnt vmcnt(32)
	v_fmac_f64_e32 v[110:111], v[102:103], v[52:53]
	v_add_f64 v[2:3], v[2:3], v[4:5]
	v_mul_f64 v[4:5], v[86:87], v[34:35]
	v_add_f64 v[112:113], v[108:109], v[110:111]
	ds_read_b128 v[108:111], v54 offset:1232
	s_waitcnt lgkmcnt(1)
	v_mul_f64 v[114:115], v[104:105], v[46:47]
	v_fma_f64 v[4:5], v[84:85], v[36:37], -v[4:5]
	v_fmac_f64_e32 v[114:115], v[106:107], v[48:49]
	v_add_f64 v[2:3], v[2:3], v[4:5]
	v_mul_f64 v[4:5], v[90:91], v[30:31]
	v_add_f64 v[120:121], v[112:113], v[114:115]
	ds_read_b128 v[112:115], v54 offset:1248
	v_fma_f64 v[4:5], v[88:89], v[32:33], -v[4:5]
	v_add_f64 v[2:3], v[2:3], v[4:5]
	v_mul_f64 v[4:5], v[94:95], v[42:43]
	v_fma_f64 v[4:5], v[92:93], v[44:45], -v[4:5]
	s_waitcnt vmcnt(26) lgkmcnt(1)
	v_mul_f64 v[122:123], v[108:109], v[142:143]
	v_add_f64 v[2:3], v[2:3], v[4:5]
	v_mul_f64 v[4:5], v[98:99], v[38:39]
	s_waitcnt vmcnt(24)
	v_fmac_f64_e32 v[122:123], v[110:111], v[144:145]
	v_fma_f64 v[4:5], v[96:97], v[40:41], -v[4:5]
	v_add_f64 v[124:125], v[120:121], v[122:123]
	ds_read_b128 v[120:123], v54 offset:1264
	s_waitcnt lgkmcnt(1)
	v_mul_f64 v[126:127], v[112:113], v[116:117]
	v_add_f64 v[2:3], v[2:3], v[4:5]
	v_mul_f64 v[4:5], v[102:103], v[50:51]
	v_fmac_f64_e32 v[126:127], v[114:115], v[140:141]
	v_fma_f64 v[4:5], v[100:101], v[52:53], -v[4:5]
	v_add_f64 v[128:129], v[124:125], v[126:127]
	ds_read_b128 v[124:127], v54 offset:1280
	v_add_f64 v[2:3], v[2:3], v[4:5]
	v_mul_f64 v[4:5], v[106:107], v[46:47]
	v_fma_f64 v[4:5], v[104:105], v[48:49], -v[4:5]
	v_add_f64 v[2:3], v[2:3], v[4:5]
	v_mul_f64 v[4:5], v[110:111], v[142:143]
	s_waitcnt vmcnt(18) lgkmcnt(1)
	v_mul_f64 v[130:131], v[120:121], v[150:151]
	v_fma_f64 v[4:5], v[108:109], v[144:145], -v[4:5]
	s_waitcnt vmcnt(16)
	v_fmac_f64_e32 v[130:131], v[122:123], v[152:153]
	v_add_f64 v[2:3], v[2:3], v[4:5]
	v_mul_f64 v[4:5], v[114:115], v[116:117]
	v_add_f64 v[132:133], v[128:129], v[130:131]
	ds_read_b128 v[128:131], v54 offset:1296
	s_waitcnt lgkmcnt(1)
	v_mul_f64 v[134:135], v[124:125], v[146:147]
	v_fma_f64 v[4:5], v[112:113], v[140:141], -v[4:5]
	v_fmac_f64_e32 v[134:135], v[126:127], v[148:149]
	v_add_f64 v[2:3], v[2:3], v[4:5]
	v_mul_f64 v[4:5], v[122:123], v[150:151]
	v_add_f64 v[170:171], v[132:133], v[134:135]
	ds_read_b128 v[132:135], v54 offset:1312
	v_fma_f64 v[4:5], v[120:121], v[152:153], -v[4:5]
	v_add_f64 v[2:3], v[2:3], v[4:5]
	v_mul_f64 v[4:5], v[126:127], v[146:147]
	v_fma_f64 v[4:5], v[124:125], v[148:149], -v[4:5]
	v_add_f64 v[2:3], v[2:3], v[4:5]
	s_waitcnt vmcnt(10) lgkmcnt(1)
	v_mul_f64 v[4:5], v[130:131], v[158:159]
	v_mul_f64 v[172:173], v[128:129], v[158:159]
	s_waitcnt vmcnt(8)
	v_fma_f64 v[4:5], v[128:129], v[160:161], -v[4:5]
	v_fmac_f64_e32 v[172:173], v[130:131], v[160:161]
	v_add_f64 v[2:3], v[2:3], v[4:5]
	s_waitcnt lgkmcnt(0)
	v_mul_f64 v[4:5], v[134:135], v[154:155]
	v_add_f64 v[54:55], v[170:171], v[172:173]
	v_mul_f64 v[170:171], v[132:133], v[154:155]
	v_fma_f64 v[4:5], v[132:133], v[156:157], -v[4:5]
	v_fmac_f64_e32 v[170:171], v[134:135], v[156:157]
	v_add_f64 v[2:3], v[2:3], v[4:5]
	s_waitcnt vmcnt(6)
	v_mul_f64 v[4:5], v[138:139], v[162:163]
	v_add_f64 v[54:55], v[54:55], v[170:171]
	v_mul_f64 v[170:171], v[136:137], v[162:163]
	s_waitcnt vmcnt(4)
	v_fma_f64 v[4:5], v[136:137], v[164:165], -v[4:5]
	v_fmac_f64_e32 v[170:171], v[138:139], v[164:165]
	v_add_f64 v[2:3], v[2:3], v[4:5]
	v_add_f64 v[54:55], v[54:55], v[170:171]
	s_waitcnt vmcnt(2)
	v_add_f64 v[2:3], v[166:167], -v[2:3]
	s_waitcnt vmcnt(0)
	v_add_f64 v[4:5], v[168:169], -v[54:55]
	buffer_store_dword v3, off, s[0:3], 0 offset:356
	buffer_store_dword v2, off, s[0:3], 0 offset:352
	;; [unrolled: 1-line block ×4, first 2 shown]
	s_and_saveexec_b64 s[4:5], vcc
	s_cbranch_execz .LBB105_225
; %bb.224:
	v_accvgpr_read_b32 v0, a105
	buffer_load_dword v2, v0, s[0:3], 0 offen
	buffer_load_dword v3, v0, s[0:3], 0 offen offset:4
	buffer_load_dword v4, v0, s[0:3], 0 offen offset:8
	;; [unrolled: 1-line block ×3, first 2 shown]
	v_mov_b32_e32 v0, 0
	v_accvgpr_read_b32 v1, a126
	buffer_store_dword v0, off, s[0:3], 0 offset:336
	buffer_store_dword v0, off, s[0:3], 0 offset:340
	;; [unrolled: 1-line block ×4, first 2 shown]
	s_waitcnt vmcnt(4)
	ds_write_b128 v1, v[2:5]
.LBB105_225:
	s_or_b64 exec, exec, s[4:5]
	s_waitcnt lgkmcnt(0)
	; wave barrier
	s_waitcnt lgkmcnt(0)
	buffer_load_dword v4, off, s[0:3], 0 offset:336
	buffer_load_dword v5, off, s[0:3], 0 offset:340
	;; [unrolled: 1-line block ×84, first 2 shown]
	v_mov_b32_e32 v86, 0
	ds_read_b128 v[66:69], v86 offset:1008
	buffer_load_dword v175, off, s[0:3], 0 offset:684
	buffer_load_dword v174, off, s[0:3], 0 offset:680
	;; [unrolled: 1-line block ×4, first 2 shown]
	ds_read_b128 v[70:73], v86 offset:1024
	ds_read_b128 v[74:77], v86 offset:1040
	;; [unrolled: 1-line block ×4, first 2 shown]
	v_cmp_lt_u32_e32 vcc, 19, v118
	s_waitcnt vmcnt(62) lgkmcnt(4)
	v_mul_f64 v[82:83], v[66:67], v[12:13]
	v_fmac_f64_e32 v[82:83], v[68:69], v[6:7]
	s_waitcnt lgkmcnt(3)
	v_mul_f64 v[84:85], v[70:71], v[14:15]
	v_add_f64 v[82:83], v[82:83], 0
	v_fmac_f64_e32 v[84:85], v[72:73], v[8:9]
	v_add_f64 v[82:83], v[82:83], v[84:85]
	s_waitcnt lgkmcnt(2)
	v_mul_f64 v[84:85], v[74:75], v[16:17]
	v_fmac_f64_e32 v[84:85], v[76:77], v[10:11]
	v_add_f64 v[88:89], v[82:83], v[84:85]
	ds_read_b128 v[82:85], v86 offset:1072
	v_mul_f64 v[12:13], v[68:69], v[12:13]
	s_waitcnt lgkmcnt(2)
	v_mul_f64 v[90:91], v[78:79], v[22:23]
	v_fma_f64 v[6:7], v[66:67], v[6:7], -v[12:13]
	v_fmac_f64_e32 v[90:91], v[80:81], v[24:25]
	v_add_f64 v[92:93], v[88:89], v[90:91]
	ds_read_b128 v[88:91], v86 offset:1088
	s_waitcnt lgkmcnt(1)
	v_mul_f64 v[94:95], v[82:83], v[18:19]
	v_fmac_f64_e32 v[94:95], v[84:85], v[20:21]
	v_add_f64 v[96:97], v[92:93], v[94:95]
	ds_read_b128 v[92:95], v86 offset:1104
	s_waitcnt vmcnt(58) lgkmcnt(1)
	v_mul_f64 v[98:99], v[88:89], v[30:31]
	s_waitcnt vmcnt(56)
	v_fmac_f64_e32 v[98:99], v[90:91], v[32:33]
	v_add_f64 v[100:101], v[96:97], v[98:99]
	ds_read_b128 v[96:99], v86 offset:1120
	s_waitcnt lgkmcnt(1)
	v_mul_f64 v[102:103], v[92:93], v[26:27]
	v_fmac_f64_e32 v[102:103], v[94:95], v[28:29]
	v_add_f64 v[104:105], v[100:101], v[102:103]
	ds_read_b128 v[100:103], v86 offset:1136
	s_waitcnt vmcnt(50) lgkmcnt(1)
	v_mul_f64 v[106:107], v[96:97], v[38:39]
	s_waitcnt vmcnt(48)
	v_fmac_f64_e32 v[106:107], v[98:99], v[40:41]
	v_add_f64 v[108:109], v[104:105], v[106:107]
	ds_read_b128 v[104:107], v86 offset:1152
	s_waitcnt lgkmcnt(1)
	v_mul_f64 v[110:111], v[100:101], v[34:35]
	v_fmac_f64_e32 v[110:111], v[102:103], v[36:37]
	v_mul_f64 v[12:13], v[72:73], v[14:15]
	v_add_f64 v[112:113], v[108:109], v[110:111]
	ds_read_b128 v[108:111], v86 offset:1168
	s_waitcnt vmcnt(42) lgkmcnt(1)
	v_mul_f64 v[114:115], v[104:105], v[46:47]
	v_add_f64 v[6:7], v[6:7], 0
	v_fma_f64 v[8:9], v[70:71], v[8:9], -v[12:13]
	s_waitcnt vmcnt(40)
	v_fmac_f64_e32 v[114:115], v[106:107], v[48:49]
	v_add_f64 v[6:7], v[6:7], v[8:9]
	v_mul_f64 v[8:9], v[76:77], v[16:17]
	v_add_f64 v[120:121], v[112:113], v[114:115]
	ds_read_b128 v[112:115], v86 offset:1184
	v_fma_f64 v[8:9], v[74:75], v[10:11], -v[8:9]
	v_add_f64 v[6:7], v[6:7], v[8:9]
	v_mul_f64 v[8:9], v[80:81], v[22:23]
	v_fma_f64 v[8:9], v[78:79], v[24:25], -v[8:9]
	s_waitcnt lgkmcnt(1)
	v_mul_f64 v[122:123], v[108:109], v[42:43]
	v_add_f64 v[6:7], v[6:7], v[8:9]
	v_mul_f64 v[8:9], v[84:85], v[18:19]
	v_fmac_f64_e32 v[122:123], v[110:111], v[44:45]
	v_fma_f64 v[8:9], v[82:83], v[20:21], -v[8:9]
	v_add_f64 v[124:125], v[120:121], v[122:123]
	ds_read_b128 v[120:123], v86 offset:1200
	s_waitcnt vmcnt(34) lgkmcnt(1)
	v_mul_f64 v[126:127], v[112:113], v[54:55]
	v_add_f64 v[6:7], v[6:7], v[8:9]
	v_mul_f64 v[8:9], v[90:91], v[30:31]
	s_waitcnt vmcnt(32)
	v_fmac_f64_e32 v[126:127], v[114:115], v[56:57]
	v_fma_f64 v[8:9], v[88:89], v[32:33], -v[8:9]
	v_add_f64 v[128:129], v[124:125], v[126:127]
	ds_read_b128 v[124:127], v86 offset:1216
	v_add_f64 v[6:7], v[6:7], v[8:9]
	v_mul_f64 v[8:9], v[94:95], v[26:27]
	v_fma_f64 v[8:9], v[92:93], v[28:29], -v[8:9]
	v_add_f64 v[6:7], v[6:7], v[8:9]
	v_mul_f64 v[8:9], v[98:99], v[38:39]
	s_waitcnt lgkmcnt(1)
	v_mul_f64 v[130:131], v[120:121], v[50:51]
	v_fma_f64 v[8:9], v[96:97], v[40:41], -v[8:9]
	v_fmac_f64_e32 v[130:131], v[122:123], v[52:53]
	v_add_f64 v[6:7], v[6:7], v[8:9]
	v_mul_f64 v[8:9], v[102:103], v[34:35]
	v_add_f64 v[132:133], v[128:129], v[130:131]
	ds_read_b128 v[128:131], v86 offset:1232
	s_waitcnt vmcnt(26) lgkmcnt(1)
	v_mul_f64 v[134:135], v[124:125], v[62:63]
	v_fma_f64 v[8:9], v[100:101], v[36:37], -v[8:9]
	s_waitcnt vmcnt(24)
	v_fmac_f64_e32 v[134:135], v[126:127], v[64:65]
	v_add_f64 v[6:7], v[6:7], v[8:9]
	v_mul_f64 v[8:9], v[106:107], v[46:47]
	v_add_f64 v[136:137], v[132:133], v[134:135]
	ds_read_b128 v[132:135], v86 offset:1248
	v_fma_f64 v[8:9], v[104:105], v[48:49], -v[8:9]
	v_add_f64 v[6:7], v[6:7], v[8:9]
	v_mul_f64 v[8:9], v[110:111], v[42:43]
	v_fma_f64 v[8:9], v[108:109], v[44:45], -v[8:9]
	s_waitcnt lgkmcnt(1)
	v_mul_f64 v[138:139], v[128:129], v[58:59]
	v_add_f64 v[6:7], v[6:7], v[8:9]
	v_mul_f64 v[8:9], v[114:115], v[54:55]
	v_fmac_f64_e32 v[138:139], v[130:131], v[60:61]
	v_fma_f64 v[8:9], v[112:113], v[56:57], -v[8:9]
	v_add_f64 v[140:141], v[136:137], v[138:139]
	ds_read_b128 v[136:139], v86 offset:1264
	s_waitcnt vmcnt(18) lgkmcnt(1)
	v_mul_f64 v[142:143], v[132:133], v[158:159]
	v_add_f64 v[6:7], v[6:7], v[8:9]
	v_mul_f64 v[8:9], v[122:123], v[50:51]
	s_waitcnt vmcnt(16)
	v_fmac_f64_e32 v[142:143], v[134:135], v[160:161]
	v_fma_f64 v[8:9], v[120:121], v[52:53], -v[8:9]
	v_add_f64 v[144:145], v[140:141], v[142:143]
	ds_read_b128 v[140:143], v86 offset:1280
	v_add_f64 v[6:7], v[6:7], v[8:9]
	v_mul_f64 v[8:9], v[126:127], v[62:63]
	v_fma_f64 v[8:9], v[124:125], v[64:65], -v[8:9]
	v_add_f64 v[6:7], v[6:7], v[8:9]
	v_mul_f64 v[8:9], v[130:131], v[58:59]
	s_waitcnt lgkmcnt(1)
	v_mul_f64 v[146:147], v[136:137], v[116:117]
	v_fma_f64 v[8:9], v[128:129], v[60:61], -v[8:9]
	v_fmac_f64_e32 v[146:147], v[138:139], v[156:157]
	v_add_f64 v[6:7], v[6:7], v[8:9]
	v_mul_f64 v[8:9], v[134:135], v[158:159]
	v_add_f64 v[148:149], v[144:145], v[146:147]
	ds_read_b128 v[144:147], v86 offset:1296
	s_waitcnt vmcnt(10) lgkmcnt(1)
	v_mul_f64 v[150:151], v[140:141], v[166:167]
	v_fma_f64 v[8:9], v[132:133], v[160:161], -v[8:9]
	s_waitcnt vmcnt(8)
	v_fmac_f64_e32 v[150:151], v[142:143], v[168:169]
	v_add_f64 v[6:7], v[6:7], v[8:9]
	v_mul_f64 v[8:9], v[138:139], v[116:117]
	v_add_f64 v[178:179], v[148:149], v[150:151]
	ds_read_b128 v[148:151], v86 offset:1312
	v_fma_f64 v[8:9], v[136:137], v[156:157], -v[8:9]
	v_add_f64 v[6:7], v[6:7], v[8:9]
	v_mul_f64 v[8:9], v[142:143], v[166:167]
	v_fma_f64 v[8:9], v[140:141], v[168:169], -v[8:9]
	v_add_f64 v[6:7], v[6:7], v[8:9]
	s_waitcnt lgkmcnt(1)
	v_mul_f64 v[8:9], v[146:147], v[162:163]
	v_mul_f64 v[180:181], v[144:145], v[162:163]
	v_fma_f64 v[8:9], v[144:145], v[164:165], -v[8:9]
	v_fmac_f64_e32 v[180:181], v[146:147], v[164:165]
	v_add_f64 v[6:7], v[6:7], v[8:9]
	s_waitcnt vmcnt(6) lgkmcnt(0)
	v_mul_f64 v[8:9], v[150:151], v[170:171]
	v_add_f64 v[178:179], v[178:179], v[180:181]
	v_mul_f64 v[180:181], v[148:149], v[170:171]
	s_waitcnt vmcnt(4)
	v_fma_f64 v[8:9], v[148:149], v[172:173], -v[8:9]
	v_fmac_f64_e32 v[180:181], v[150:151], v[172:173]
	v_add_f64 v[6:7], v[6:7], v[8:9]
	s_waitcnt vmcnt(2)
	v_mul_f64 v[8:9], v[154:155], v[174:175]
	v_add_f64 v[178:179], v[178:179], v[180:181]
	v_mul_f64 v[180:181], v[152:153], v[174:175]
	s_waitcnt vmcnt(0)
	v_fma_f64 v[8:9], v[152:153], v[176:177], -v[8:9]
	v_fmac_f64_e32 v[180:181], v[154:155], v[176:177]
	v_add_f64 v[6:7], v[6:7], v[8:9]
	v_add_f64 v[178:179], v[178:179], v[180:181]
	v_add_f64 v[4:5], v[4:5], -v[6:7]
	v_add_f64 v[2:3], v[2:3], -v[178:179]
	buffer_store_dword v5, off, s[0:3], 0 offset:340
	buffer_store_dword v4, off, s[0:3], 0 offset:336
	;; [unrolled: 1-line block ×4, first 2 shown]
	s_and_saveexec_b64 s[4:5], vcc
	s_cbranch_execz .LBB105_227
; %bb.226:
	v_accvgpr_read_b32 v0, a106
	buffer_load_dword v2, v0, s[0:3], 0 offen
	buffer_load_dword v3, v0, s[0:3], 0 offen offset:4
	buffer_load_dword v4, v0, s[0:3], 0 offen offset:8
	;; [unrolled: 1-line block ×3, first 2 shown]
	v_accvgpr_read_b32 v0, a126
	buffer_store_dword v86, off, s[0:3], 0 offset:320
	buffer_store_dword v86, off, s[0:3], 0 offset:324
	;; [unrolled: 1-line block ×4, first 2 shown]
	s_waitcnt vmcnt(4)
	ds_write_b128 v0, v[2:5]
.LBB105_227:
	s_or_b64 exec, exec, s[4:5]
	s_waitcnt lgkmcnt(0)
	; wave barrier
	s_waitcnt lgkmcnt(0)
	ds_read_b128 v[14:17], v86 offset:992
	ds_read_b128 v[10:13], v86 offset:1008
	;; [unrolled: 1-line block ×4, first 2 shown]
	buffer_load_dword v20, off, s[0:3], 0 offset:320
	buffer_load_dword v21, off, s[0:3], 0 offset:324
	;; [unrolled: 1-line block ×92, first 2 shown]
	s_waitcnt vmcnt(62) lgkmcnt(3)
	v_mul_f64 v[88:89], v[14:15], v[28:29]
	v_fmac_f64_e32 v[88:89], v[16:17], v[22:23]
	s_waitcnt lgkmcnt(2)
	v_mul_f64 v[90:91], v[10:11], v[30:31]
	v_add_f64 v[88:89], v[88:89], 0
	v_fmac_f64_e32 v[90:91], v[12:13], v[24:25]
	v_add_f64 v[88:89], v[88:89], v[90:91]
	s_waitcnt lgkmcnt(1)
	v_mul_f64 v[90:91], v[6:7], v[32:33]
	v_fmac_f64_e32 v[90:91], v[8:9], v[26:27]
	v_add_f64 v[92:93], v[88:89], v[90:91]
	ds_read_b128 v[88:91], v86 offset:1056
	v_mul_f64 v[16:17], v[16:17], v[28:29]
	v_fma_f64 v[14:15], v[14:15], v[22:23], -v[16:17]
	s_waitcnt lgkmcnt(1)
	v_mul_f64 v[94:95], v[2:3], v[38:39]
	v_mul_f64 v[12:13], v[12:13], v[30:31]
	v_fmac_f64_e32 v[94:95], v[4:5], v[40:41]
	v_add_f64 v[96:97], v[92:93], v[94:95]
	ds_read_b128 v[92:95], v86 offset:1072
	s_waitcnt lgkmcnt(1)
	v_mul_f64 v[98:99], v[88:89], v[34:35]
	v_fmac_f64_e32 v[98:99], v[90:91], v[36:37]
	v_add_f64 v[100:101], v[96:97], v[98:99]
	ds_read_b128 v[96:99], v86 offset:1088
	s_waitcnt lgkmcnt(1)
	v_mul_f64 v[102:103], v[92:93], v[46:47]
	s_waitcnt vmcnt(60)
	v_fmac_f64_e32 v[102:103], v[94:95], v[48:49]
	v_add_f64 v[104:105], v[100:101], v[102:103]
	ds_read_b128 v[100:103], v86 offset:1104
	s_waitcnt lgkmcnt(1)
	v_mul_f64 v[106:107], v[96:97], v[42:43]
	v_fmac_f64_e32 v[106:107], v[98:99], v[44:45]
	v_add_f64 v[108:109], v[104:105], v[106:107]
	ds_read_b128 v[104:107], v86 offset:1120
	s_waitcnt vmcnt(54) lgkmcnt(1)
	v_mul_f64 v[110:111], v[100:101], v[54:55]
	s_waitcnt vmcnt(52)
	v_fmac_f64_e32 v[110:111], v[102:103], v[56:57]
	v_add_f64 v[112:113], v[108:109], v[110:111]
	ds_read_b128 v[108:111], v86 offset:1136
	s_waitcnt lgkmcnt(1)
	v_mul_f64 v[114:115], v[104:105], v[50:51]
	v_fmac_f64_e32 v[114:115], v[106:107], v[52:53]
	v_add_f64 v[120:121], v[112:113], v[114:115]
	ds_read_b128 v[112:115], v86 offset:1152
	s_waitcnt vmcnt(46) lgkmcnt(1)
	v_mul_f64 v[122:123], v[108:109], v[62:63]
	s_waitcnt vmcnt(44)
	v_fmac_f64_e32 v[122:123], v[110:111], v[64:65]
	v_add_f64 v[124:125], v[120:121], v[122:123]
	ds_read_b128 v[120:123], v86 offset:1168
	s_waitcnt lgkmcnt(1)
	v_mul_f64 v[126:127], v[112:113], v[58:59]
	v_fmac_f64_e32 v[126:127], v[114:115], v[60:61]
	v_add_f64 v[14:15], v[14:15], 0
	v_fma_f64 v[10:11], v[10:11], v[24:25], -v[12:13]
	v_mul_f64 v[8:9], v[8:9], v[32:33]
	v_add_f64 v[128:129], v[124:125], v[126:127]
	ds_read_b128 v[124:127], v86 offset:1184
	v_add_f64 v[10:11], v[14:15], v[10:11]
	v_fma_f64 v[6:7], v[6:7], v[26:27], -v[8:9]
	v_mul_f64 v[4:5], v[4:5], v[38:39]
	v_add_f64 v[6:7], v[10:11], v[6:7]
	v_fma_f64 v[2:3], v[2:3], v[40:41], -v[4:5]
	v_mul_f64 v[4:5], v[90:91], v[34:35]
	v_add_f64 v[2:3], v[6:7], v[2:3]
	v_fma_f64 v[4:5], v[88:89], v[36:37], -v[4:5]
	s_waitcnt vmcnt(38) lgkmcnt(1)
	v_mul_f64 v[130:131], v[120:121], v[70:71]
	v_add_f64 v[2:3], v[2:3], v[4:5]
	v_mul_f64 v[4:5], v[94:95], v[46:47]
	s_waitcnt vmcnt(36)
	v_fmac_f64_e32 v[130:131], v[122:123], v[72:73]
	v_fma_f64 v[4:5], v[92:93], v[48:49], -v[4:5]
	v_add_f64 v[132:133], v[128:129], v[130:131]
	ds_read_b128 v[128:131], v86 offset:1200
	s_waitcnt lgkmcnt(1)
	v_mul_f64 v[134:135], v[124:125], v[66:67]
	v_add_f64 v[2:3], v[2:3], v[4:5]
	v_mul_f64 v[4:5], v[98:99], v[42:43]
	v_fmac_f64_e32 v[134:135], v[126:127], v[68:69]
	v_fma_f64 v[4:5], v[96:97], v[44:45], -v[4:5]
	v_add_f64 v[136:137], v[132:133], v[134:135]
	ds_read_b128 v[132:135], v86 offset:1216
	v_add_f64 v[2:3], v[2:3], v[4:5]
	v_mul_f64 v[4:5], v[102:103], v[54:55]
	v_fma_f64 v[4:5], v[100:101], v[56:57], -v[4:5]
	v_add_f64 v[2:3], v[2:3], v[4:5]
	v_mul_f64 v[4:5], v[106:107], v[50:51]
	s_waitcnt vmcnt(30) lgkmcnt(1)
	v_mul_f64 v[138:139], v[128:129], v[78:79]
	v_fma_f64 v[4:5], v[104:105], v[52:53], -v[4:5]
	s_waitcnt vmcnt(28)
	v_fmac_f64_e32 v[138:139], v[130:131], v[80:81]
	v_add_f64 v[2:3], v[2:3], v[4:5]
	v_mul_f64 v[4:5], v[110:111], v[62:63]
	v_add_f64 v[140:141], v[136:137], v[138:139]
	ds_read_b128 v[136:139], v86 offset:1232
	s_waitcnt lgkmcnt(1)
	v_mul_f64 v[142:143], v[132:133], v[74:75]
	v_fma_f64 v[4:5], v[108:109], v[64:65], -v[4:5]
	v_fmac_f64_e32 v[142:143], v[134:135], v[76:77]
	v_add_f64 v[2:3], v[2:3], v[4:5]
	v_mul_f64 v[4:5], v[114:115], v[58:59]
	v_add_f64 v[144:145], v[140:141], v[142:143]
	ds_read_b128 v[140:143], v86 offset:1248
	v_fma_f64 v[4:5], v[112:113], v[60:61], -v[4:5]
	v_add_f64 v[2:3], v[2:3], v[4:5]
	v_mul_f64 v[4:5], v[122:123], v[70:71]
	v_fma_f64 v[4:5], v[120:121], v[72:73], -v[4:5]
	s_waitcnt vmcnt(22) lgkmcnt(1)
	v_mul_f64 v[146:147], v[136:137], v[116:117]
	v_add_f64 v[2:3], v[2:3], v[4:5]
	v_mul_f64 v[4:5], v[126:127], v[66:67]
	s_waitcnt vmcnt(20)
	v_fmac_f64_e32 v[146:147], v[138:139], v[164:165]
	v_fma_f64 v[4:5], v[124:125], v[68:69], -v[4:5]
	v_add_f64 v[148:149], v[144:145], v[146:147]
	ds_read_b128 v[144:147], v86 offset:1264
	s_waitcnt lgkmcnt(1)
	v_mul_f64 v[150:151], v[140:141], v[82:83]
	v_add_f64 v[2:3], v[2:3], v[4:5]
	v_mul_f64 v[4:5], v[130:131], v[78:79]
	v_fmac_f64_e32 v[150:151], v[142:143], v[84:85]
	v_fma_f64 v[4:5], v[128:129], v[80:81], -v[4:5]
	v_add_f64 v[152:153], v[148:149], v[150:151]
	ds_read_b128 v[148:151], v86 offset:1280
	v_add_f64 v[2:3], v[2:3], v[4:5]
	v_mul_f64 v[4:5], v[134:135], v[74:75]
	v_fma_f64 v[4:5], v[132:133], v[76:77], -v[4:5]
	v_add_f64 v[2:3], v[2:3], v[4:5]
	v_mul_f64 v[4:5], v[138:139], v[116:117]
	s_waitcnt vmcnt(14) lgkmcnt(1)
	v_mul_f64 v[154:155], v[144:145], v[170:171]
	v_fma_f64 v[4:5], v[136:137], v[164:165], -v[4:5]
	s_waitcnt vmcnt(12)
	v_fmac_f64_e32 v[154:155], v[146:147], v[172:173]
	v_add_f64 v[2:3], v[2:3], v[4:5]
	v_mul_f64 v[4:5], v[142:143], v[82:83]
	v_add_f64 v[156:157], v[152:153], v[154:155]
	ds_read_b128 v[152:155], v86 offset:1296
	s_waitcnt lgkmcnt(1)
	v_mul_f64 v[158:159], v[148:149], v[166:167]
	v_fma_f64 v[4:5], v[140:141], v[84:85], -v[4:5]
	v_fmac_f64_e32 v[158:159], v[150:151], v[168:169]
	v_add_f64 v[2:3], v[2:3], v[4:5]
	v_mul_f64 v[4:5], v[146:147], v[170:171]
	v_add_f64 v[186:187], v[156:157], v[158:159]
	ds_read_b128 v[156:159], v86 offset:1312
	ds_read_b128 v[160:163], v86 offset:1328
	v_fma_f64 v[4:5], v[144:145], v[172:173], -v[4:5]
	v_add_f64 v[2:3], v[2:3], v[4:5]
	v_mul_f64 v[4:5], v[150:151], v[166:167]
	v_fma_f64 v[4:5], v[148:149], v[168:169], -v[4:5]
	v_add_f64 v[2:3], v[2:3], v[4:5]
	s_waitcnt vmcnt(6) lgkmcnt(2)
	v_mul_f64 v[4:5], v[154:155], v[178:179]
	v_mul_f64 v[188:189], v[152:153], v[178:179]
	s_waitcnt vmcnt(4)
	v_fma_f64 v[4:5], v[152:153], v[180:181], -v[4:5]
	v_fmac_f64_e32 v[188:189], v[154:155], v[180:181]
	v_add_f64 v[2:3], v[2:3], v[4:5]
	s_waitcnt lgkmcnt(1)
	v_mul_f64 v[4:5], v[158:159], v[174:175]
	v_add_f64 v[86:87], v[186:187], v[188:189]
	v_mul_f64 v[186:187], v[156:157], v[174:175]
	v_fma_f64 v[4:5], v[156:157], v[176:177], -v[4:5]
	v_fmac_f64_e32 v[186:187], v[158:159], v[176:177]
	v_add_f64 v[2:3], v[2:3], v[4:5]
	s_waitcnt vmcnt(2) lgkmcnt(0)
	v_mul_f64 v[4:5], v[162:163], v[182:183]
	v_add_f64 v[86:87], v[86:87], v[186:187]
	v_mul_f64 v[186:187], v[160:161], v[182:183]
	s_waitcnt vmcnt(0)
	v_fma_f64 v[4:5], v[160:161], v[184:185], -v[4:5]
	v_fmac_f64_e32 v[186:187], v[162:163], v[184:185]
	v_add_f64 v[2:3], v[2:3], v[4:5]
	v_add_f64 v[86:87], v[86:87], v[186:187]
	v_add_f64 v[2:3], v[20:21], -v[2:3]
	v_cmp_lt_u32_e32 vcc, 18, v118
	v_add_f64 v[4:5], v[18:19], -v[86:87]
	buffer_store_dword v3, off, s[0:3], 0 offset:324
	buffer_store_dword v2, off, s[0:3], 0 offset:320
	;; [unrolled: 1-line block ×4, first 2 shown]
	s_and_saveexec_b64 s[4:5], vcc
	s_cbranch_execz .LBB105_229
; %bb.228:
	v_accvgpr_read_b32 v0, a107
	buffer_load_dword v2, v0, s[0:3], 0 offen
	buffer_load_dword v3, v0, s[0:3], 0 offen offset:4
	buffer_load_dword v4, v0, s[0:3], 0 offen offset:8
	;; [unrolled: 1-line block ×3, first 2 shown]
	v_mov_b32_e32 v0, 0
	v_accvgpr_read_b32 v1, a126
	buffer_store_dword v0, off, s[0:3], 0 offset:304
	buffer_store_dword v0, off, s[0:3], 0 offset:308
	;; [unrolled: 1-line block ×4, first 2 shown]
	s_waitcnt vmcnt(4)
	ds_write_b128 v1, v[2:5]
.LBB105_229:
	s_or_b64 exec, exec, s[4:5]
	s_waitcnt lgkmcnt(0)
	; wave barrier
	s_waitcnt lgkmcnt(0)
	buffer_load_dword v9, off, s[0:3], 0 offset:332
	buffer_load_dword v6, off, s[0:3], 0 offset:344
	;; [unrolled: 1-line block ×64, first 2 shown]
	v_mov_b32_e32 v98, 0
	ds_read_b128 v[74:77], v98 offset:976
	ds_read_b128 v[78:81], v98 offset:992
	buffer_load_dword v67, off, s[0:3], 0 offset:588
	buffer_load_dword v66, off, s[0:3], 0 offset:584
	;; [unrolled: 1-line block ×8, first 2 shown]
	ds_read_b128 v[82:85], v98 offset:1008
	ds_read_b128 v[86:89], v98 offset:1024
	buffer_load_dword v117, off, s[0:3], 0 offset:620
	buffer_load_dword v116, off, s[0:3], 0 offset:616
	;; [unrolled: 1-line block ×24, first 2 shown]
	ds_read_b128 v[168:171], v98 offset:1328
	v_cmp_lt_u32_e32 vcc, 17, v118
	s_waitcnt vmcnt(62) lgkmcnt(1)
	v_mul_f64 v[96:97], v[86:87], v[22:23]
	v_fmac_f64_e32 v[96:97], v[88:89], v[24:25]
	v_mul_f64 v[92:93], v[78:79], v[6:7]
	v_mul_f64 v[90:91], v[74:75], v[8:9]
	;; [unrolled: 1-line block ×3, first 2 shown]
	v_fmac_f64_e32 v[90:91], v[76:77], v[10:11]
	v_add_f64 v[90:91], v[90:91], 0
	v_fma_f64 v[8:9], v[74:75], v[10:11], -v[8:9]
	v_mul_f64 v[6:7], v[80:81], v[6:7]
	v_add_f64 v[8:9], v[8:9], 0
	v_fmac_f64_e32 v[92:93], v[80:81], v[14:15]
	v_add_f64 v[90:91], v[90:91], v[92:93]
	v_mul_f64 v[92:93], v[82:83], v[16:17]
	v_fmac_f64_e32 v[92:93], v[84:85], v[12:13]
	v_add_f64 v[94:95], v[90:91], v[92:93]
	ds_read_b128 v[90:93], v98 offset:1040
	v_add_f64 v[100:101], v[94:95], v[96:97]
	ds_read_b128 v[94:97], v98 offset:1056
	v_fma_f64 v[6:7], v[78:79], v[14:15], -v[6:7]
	v_add_f64 v[6:7], v[8:9], v[6:7]
	s_waitcnt lgkmcnt(1)
	v_mul_f64 v[102:103], v[90:91], v[18:19]
	v_fmac_f64_e32 v[102:103], v[92:93], v[20:21]
	v_add_f64 v[104:105], v[100:101], v[102:103]
	ds_read_b128 v[100:103], v98 offset:1072
	s_waitcnt lgkmcnt(1)
	v_mul_f64 v[106:107], v[94:95], v[30:31]
	v_fmac_f64_e32 v[106:107], v[96:97], v[32:33]
	v_add_f64 v[108:109], v[104:105], v[106:107]
	ds_read_b128 v[104:107], v98 offset:1088
	s_waitcnt lgkmcnt(1)
	v_mul_f64 v[110:111], v[100:101], v[26:27]
	v_fmac_f64_e32 v[110:111], v[102:103], v[28:29]
	v_add_f64 v[112:113], v[108:109], v[110:111]
	ds_read_b128 v[108:111], v98 offset:1104
	s_waitcnt vmcnt(58) lgkmcnt(1)
	v_mul_f64 v[114:115], v[104:105], v[38:39]
	s_waitcnt vmcnt(56)
	v_fmac_f64_e32 v[114:115], v[106:107], v[40:41]
	v_add_f64 v[120:121], v[112:113], v[114:115]
	ds_read_b128 v[112:115], v98 offset:1120
	s_waitcnt lgkmcnt(1)
	v_mul_f64 v[122:123], v[108:109], v[34:35]
	v_fmac_f64_e32 v[122:123], v[110:111], v[36:37]
	v_add_f64 v[124:125], v[120:121], v[122:123]
	ds_read_b128 v[120:123], v98 offset:1136
	s_waitcnt vmcnt(50) lgkmcnt(1)
	v_mul_f64 v[126:127], v[112:113], v[46:47]
	s_waitcnt vmcnt(48)
	v_fmac_f64_e32 v[126:127], v[114:115], v[48:49]
	v_add_f64 v[128:129], v[124:125], v[126:127]
	ds_read_b128 v[124:127], v98 offset:1152
	v_mul_f64 v[8:9], v[84:85], v[16:17]
	s_waitcnt lgkmcnt(1)
	v_mul_f64 v[130:131], v[120:121], v[42:43]
	v_fma_f64 v[8:9], v[82:83], v[12:13], -v[8:9]
	v_fmac_f64_e32 v[130:131], v[122:123], v[44:45]
	v_add_f64 v[6:7], v[6:7], v[8:9]
	v_mul_f64 v[8:9], v[88:89], v[22:23]
	v_add_f64 v[132:133], v[128:129], v[130:131]
	ds_read_b128 v[128:131], v98 offset:1168
	s_waitcnt vmcnt(42) lgkmcnt(1)
	v_mul_f64 v[134:135], v[124:125], v[54:55]
	v_fma_f64 v[8:9], v[86:87], v[24:25], -v[8:9]
	s_waitcnt vmcnt(40)
	v_fmac_f64_e32 v[134:135], v[126:127], v[56:57]
	v_add_f64 v[6:7], v[6:7], v[8:9]
	v_mul_f64 v[8:9], v[92:93], v[18:19]
	v_add_f64 v[136:137], v[132:133], v[134:135]
	ds_read_b128 v[132:135], v98 offset:1184
	v_fma_f64 v[8:9], v[90:91], v[20:21], -v[8:9]
	v_add_f64 v[6:7], v[6:7], v[8:9]
	v_mul_f64 v[8:9], v[96:97], v[30:31]
	v_fma_f64 v[8:9], v[94:95], v[32:33], -v[8:9]
	s_waitcnt lgkmcnt(1)
	v_mul_f64 v[138:139], v[128:129], v[50:51]
	v_add_f64 v[6:7], v[6:7], v[8:9]
	v_mul_f64 v[8:9], v[102:103], v[26:27]
	v_fmac_f64_e32 v[138:139], v[130:131], v[52:53]
	v_fma_f64 v[8:9], v[100:101], v[28:29], -v[8:9]
	v_add_f64 v[140:141], v[136:137], v[138:139]
	ds_read_b128 v[136:139], v98 offset:1200
	s_waitcnt vmcnt(34) lgkmcnt(1)
	v_mul_f64 v[142:143], v[132:133], v[62:63]
	v_add_f64 v[6:7], v[6:7], v[8:9]
	v_mul_f64 v[8:9], v[106:107], v[38:39]
	s_waitcnt vmcnt(32)
	v_fmac_f64_e32 v[142:143], v[134:135], v[64:65]
	v_fma_f64 v[8:9], v[104:105], v[40:41], -v[8:9]
	v_add_f64 v[144:145], v[140:141], v[142:143]
	ds_read_b128 v[140:143], v98 offset:1216
	v_add_f64 v[6:7], v[6:7], v[8:9]
	v_mul_f64 v[8:9], v[110:111], v[34:35]
	v_fma_f64 v[8:9], v[108:109], v[36:37], -v[8:9]
	v_add_f64 v[6:7], v[6:7], v[8:9]
	v_mul_f64 v[8:9], v[114:115], v[46:47]
	s_waitcnt lgkmcnt(1)
	v_mul_f64 v[146:147], v[136:137], v[58:59]
	v_fma_f64 v[8:9], v[112:113], v[48:49], -v[8:9]
	v_fmac_f64_e32 v[146:147], v[138:139], v[60:61]
	v_add_f64 v[6:7], v[6:7], v[8:9]
	v_mul_f64 v[8:9], v[122:123], v[42:43]
	v_add_f64 v[148:149], v[144:145], v[146:147]
	ds_read_b128 v[144:147], v98 offset:1232
	s_waitcnt vmcnt(26) lgkmcnt(1)
	v_mul_f64 v[150:151], v[140:141], v[70:71]
	v_fma_f64 v[8:9], v[120:121], v[44:45], -v[8:9]
	s_waitcnt vmcnt(24)
	v_fmac_f64_e32 v[150:151], v[142:143], v[72:73]
	v_add_f64 v[6:7], v[6:7], v[8:9]
	v_mul_f64 v[8:9], v[126:127], v[54:55]
	v_add_f64 v[152:153], v[148:149], v[150:151]
	ds_read_b128 v[148:151], v98 offset:1248
	v_fma_f64 v[8:9], v[124:125], v[56:57], -v[8:9]
	v_add_f64 v[6:7], v[6:7], v[8:9]
	v_mul_f64 v[8:9], v[130:131], v[50:51]
	v_fma_f64 v[8:9], v[128:129], v[52:53], -v[8:9]
	s_waitcnt lgkmcnt(1)
	v_mul_f64 v[154:155], v[144:145], v[66:67]
	v_add_f64 v[6:7], v[6:7], v[8:9]
	v_mul_f64 v[8:9], v[134:135], v[62:63]
	v_fmac_f64_e32 v[154:155], v[146:147], v[68:69]
	v_fma_f64 v[8:9], v[132:133], v[64:65], -v[8:9]
	v_add_f64 v[156:157], v[152:153], v[154:155]
	ds_read_b128 v[152:155], v98 offset:1264
	s_waitcnt vmcnt(18) lgkmcnt(1)
	v_mul_f64 v[158:159], v[148:149], v[174:175]
	v_add_f64 v[6:7], v[6:7], v[8:9]
	v_mul_f64 v[8:9], v[138:139], v[58:59]
	s_waitcnt vmcnt(16)
	v_fmac_f64_e32 v[158:159], v[150:151], v[176:177]
	v_fma_f64 v[8:9], v[136:137], v[60:61], -v[8:9]
	v_add_f64 v[160:161], v[156:157], v[158:159]
	ds_read_b128 v[156:159], v98 offset:1280
	v_add_f64 v[6:7], v[6:7], v[8:9]
	v_mul_f64 v[8:9], v[142:143], v[70:71]
	v_fma_f64 v[8:9], v[140:141], v[72:73], -v[8:9]
	v_add_f64 v[6:7], v[6:7], v[8:9]
	v_mul_f64 v[8:9], v[146:147], v[66:67]
	s_waitcnt lgkmcnt(1)
	v_mul_f64 v[162:163], v[152:153], v[116:117]
	v_fma_f64 v[8:9], v[144:145], v[68:69], -v[8:9]
	v_fmac_f64_e32 v[162:163], v[154:155], v[172:173]
	v_add_f64 v[6:7], v[6:7], v[8:9]
	v_mul_f64 v[8:9], v[150:151], v[174:175]
	v_add_f64 v[164:165], v[160:161], v[162:163]
	ds_read_b128 v[160:163], v98 offset:1296
	s_waitcnt vmcnt(10) lgkmcnt(1)
	v_mul_f64 v[166:167], v[156:157], v[182:183]
	v_fma_f64 v[8:9], v[148:149], v[176:177], -v[8:9]
	s_waitcnt vmcnt(8)
	v_fmac_f64_e32 v[166:167], v[158:159], v[184:185]
	v_add_f64 v[6:7], v[6:7], v[8:9]
	v_mul_f64 v[8:9], v[154:155], v[116:117]
	v_add_f64 v[194:195], v[164:165], v[166:167]
	ds_read_b128 v[164:167], v98 offset:1312
	v_fma_f64 v[8:9], v[152:153], v[172:173], -v[8:9]
	v_add_f64 v[6:7], v[6:7], v[8:9]
	v_mul_f64 v[8:9], v[158:159], v[182:183]
	v_fma_f64 v[8:9], v[156:157], v[184:185], -v[8:9]
	v_add_f64 v[6:7], v[6:7], v[8:9]
	s_waitcnt lgkmcnt(1)
	v_mul_f64 v[8:9], v[162:163], v[178:179]
	v_mul_f64 v[196:197], v[160:161], v[178:179]
	v_fma_f64 v[8:9], v[160:161], v[180:181], -v[8:9]
	v_fmac_f64_e32 v[196:197], v[162:163], v[180:181]
	v_add_f64 v[6:7], v[6:7], v[8:9]
	s_waitcnt vmcnt(2) lgkmcnt(0)
	v_mul_f64 v[8:9], v[166:167], v[190:191]
	v_add_f64 v[194:195], v[194:195], v[196:197]
	v_mul_f64 v[196:197], v[164:165], v[190:191]
	s_waitcnt vmcnt(0)
	v_fma_f64 v[8:9], v[164:165], v[192:193], -v[8:9]
	v_fmac_f64_e32 v[196:197], v[166:167], v[192:193]
	v_add_f64 v[6:7], v[6:7], v[8:9]
	v_mul_f64 v[8:9], v[170:171], v[186:187]
	v_add_f64 v[194:195], v[194:195], v[196:197]
	v_mul_f64 v[196:197], v[168:169], v[186:187]
	v_fma_f64 v[8:9], v[168:169], v[188:189], -v[8:9]
	v_fmac_f64_e32 v[196:197], v[170:171], v[188:189]
	v_add_f64 v[6:7], v[6:7], v[8:9]
	v_add_f64 v[194:195], v[194:195], v[196:197]
	v_add_f64 v[4:5], v[4:5], -v[6:7]
	v_add_f64 v[2:3], v[2:3], -v[194:195]
	buffer_store_dword v5, off, s[0:3], 0 offset:308
	buffer_store_dword v4, off, s[0:3], 0 offset:304
	buffer_store_dword v3, off, s[0:3], 0 offset:316
	buffer_store_dword v2, off, s[0:3], 0 offset:312
	s_and_saveexec_b64 s[4:5], vcc
	s_cbranch_execz .LBB105_231
; %bb.230:
	v_accvgpr_read_b32 v0, a108
	buffer_load_dword v2, v0, s[0:3], 0 offen
	buffer_load_dword v3, v0, s[0:3], 0 offen offset:4
	buffer_load_dword v4, v0, s[0:3], 0 offen offset:8
	;; [unrolled: 1-line block ×3, first 2 shown]
	v_accvgpr_read_b32 v0, a126
	buffer_store_dword v98, off, s[0:3], 0 offset:288
	buffer_store_dword v98, off, s[0:3], 0 offset:292
	;; [unrolled: 1-line block ×4, first 2 shown]
	s_waitcnt vmcnt(4)
	ds_write_b128 v0, v[2:5]
.LBB105_231:
	s_or_b64 exec, exec, s[4:5]
	s_waitcnt lgkmcnt(0)
	; wave barrier
	s_waitcnt lgkmcnt(0)
	buffer_load_dword v22, off, s[0:3], 0 offset:304
	buffer_load_dword v23, off, s[0:3], 0 offset:308
	;; [unrolled: 1-line block ×16, first 2 shown]
	ds_read_b128 v[2:5], v98 offset:960
	ds_read_b128 v[6:9], v98 offset:976
	;; [unrolled: 1-line block ×4, first 2 shown]
	buffer_load_dword v35, off, s[0:3], 0 offset:380
	buffer_load_dword v34, off, s[0:3], 0 offset:376
	;; [unrolled: 1-line block ×48, first 2 shown]
	v_cmp_lt_u32_e32 vcc, 16, v118
	s_waitcnt vmcnt(42) lgkmcnt(0)
	v_mul_f64 v[106:107], v[14:15], v[38:39]
	s_waitcnt vmcnt(40)
	v_fmac_f64_e32 v[106:107], v[16:17], v[40:41]
	v_mul_f64 v[82:83], v[2:3], v[24:25]
	v_fmac_f64_e32 v[82:83], v[4:5], v[22:23]
	v_add_f64 v[82:83], v[82:83], 0
	v_mul_f64 v[4:5], v[4:5], v[24:25]
	v_mul_f64 v[84:85], v[6:7], v[32:33]
	v_fma_f64 v[2:3], v[2:3], v[22:23], -v[4:5]
	v_mul_f64 v[100:101], v[10:11], v[26:27]
	v_fmac_f64_e32 v[100:101], v[12:13], v[30:31]
	v_fmac_f64_e32 v[84:85], v[8:9], v[28:29]
	v_add_f64 v[102:103], v[82:83], v[84:85]
	buffer_load_dword v83, off, s[0:3], 0 offset:572
	buffer_load_dword v82, off, s[0:3], 0 offset:568
	;; [unrolled: 1-line block ×32, first 2 shown]
	v_add_f64 v[104:105], v[102:103], v[100:101]
	ds_read_b128 v[100:103], v98 offset:1024
	buffer_load_dword v199, off, s[0:3], 0 offset:684
	buffer_load_dword v198, off, s[0:3], 0 offset:680
	;; [unrolled: 1-line block ×4, first 2 shown]
	v_add_f64 v[108:109], v[104:105], v[106:107]
	ds_read_b128 v[104:107], v98 offset:1040
	v_mul_f64 v[4:5], v[8:9], v[32:33]
	s_waitcnt lgkmcnt(1)
	v_mul_f64 v[110:111], v[100:101], v[34:35]
	v_fmac_f64_e32 v[110:111], v[102:103], v[36:37]
	v_add_f64 v[112:113], v[108:109], v[110:111]
	ds_read_b128 v[108:111], v98 offset:1056
	s_waitcnt vmcnt(62) lgkmcnt(1)
	v_mul_f64 v[114:115], v[104:105], v[46:47]
	v_fmac_f64_e32 v[114:115], v[106:107], v[48:49]
	v_add_f64 v[120:121], v[112:113], v[114:115]
	ds_read_b128 v[112:115], v98 offset:1072
	s_waitcnt lgkmcnt(1)
	v_mul_f64 v[122:123], v[108:109], v[42:43]
	v_fmac_f64_e32 v[122:123], v[110:111], v[44:45]
	v_add_f64 v[124:125], v[120:121], v[122:123]
	ds_read_b128 v[120:123], v98 offset:1088
	s_waitcnt lgkmcnt(1)
	v_mul_f64 v[126:127], v[112:113], v[54:55]
	s_waitcnt vmcnt(60)
	v_fmac_f64_e32 v[126:127], v[114:115], v[56:57]
	v_add_f64 v[128:129], v[124:125], v[126:127]
	ds_read_b128 v[124:127], v98 offset:1104
	s_waitcnt lgkmcnt(1)
	v_mul_f64 v[130:131], v[120:121], v[50:51]
	v_fmac_f64_e32 v[130:131], v[122:123], v[52:53]
	v_add_f64 v[132:133], v[128:129], v[130:131]
	ds_read_b128 v[128:131], v98 offset:1120
	s_waitcnt vmcnt(54) lgkmcnt(1)
	v_mul_f64 v[134:135], v[124:125], v[62:63]
	s_waitcnt vmcnt(52)
	v_fmac_f64_e32 v[134:135], v[126:127], v[64:65]
	v_add_f64 v[136:137], v[132:133], v[134:135]
	ds_read_b128 v[132:135], v98 offset:1136
	s_waitcnt lgkmcnt(1)
	v_mul_f64 v[138:139], v[128:129], v[58:59]
	v_fmac_f64_e32 v[138:139], v[130:131], v[60:61]
	v_add_f64 v[2:3], v[2:3], 0
	v_fma_f64 v[4:5], v[6:7], v[28:29], -v[4:5]
	v_add_f64 v[140:141], v[136:137], v[138:139]
	ds_read_b128 v[136:139], v98 offset:1152
	v_add_f64 v[2:3], v[2:3], v[4:5]
	v_mul_f64 v[4:5], v[12:13], v[26:27]
	v_fma_f64 v[4:5], v[10:11], v[30:31], -v[4:5]
	v_add_f64 v[2:3], v[2:3], v[4:5]
	v_mul_f64 v[4:5], v[16:17], v[38:39]
	s_waitcnt vmcnt(46) lgkmcnt(1)
	v_mul_f64 v[142:143], v[132:133], v[70:71]
	v_fma_f64 v[4:5], v[14:15], v[40:41], -v[4:5]
	s_waitcnt vmcnt(44)
	v_fmac_f64_e32 v[142:143], v[134:135], v[72:73]
	v_add_f64 v[2:3], v[2:3], v[4:5]
	v_mul_f64 v[4:5], v[102:103], v[34:35]
	v_add_f64 v[144:145], v[140:141], v[142:143]
	ds_read_b128 v[140:143], v98 offset:1168
	s_waitcnt lgkmcnt(1)
	v_mul_f64 v[146:147], v[136:137], v[66:67]
	v_fma_f64 v[4:5], v[100:101], v[36:37], -v[4:5]
	v_fmac_f64_e32 v[146:147], v[138:139], v[68:69]
	v_add_f64 v[2:3], v[2:3], v[4:5]
	v_mul_f64 v[4:5], v[106:107], v[46:47]
	v_add_f64 v[148:149], v[144:145], v[146:147]
	ds_read_b128 v[144:147], v98 offset:1184
	v_fma_f64 v[4:5], v[104:105], v[48:49], -v[4:5]
	v_add_f64 v[2:3], v[2:3], v[4:5]
	v_mul_f64 v[4:5], v[110:111], v[42:43]
	v_fma_f64 v[4:5], v[108:109], v[44:45], -v[4:5]
	s_waitcnt vmcnt(38) lgkmcnt(1)
	v_mul_f64 v[150:151], v[140:141], v[78:79]
	v_add_f64 v[2:3], v[2:3], v[4:5]
	v_mul_f64 v[4:5], v[114:115], v[54:55]
	s_waitcnt vmcnt(36)
	v_fmac_f64_e32 v[150:151], v[142:143], v[80:81]
	v_fma_f64 v[4:5], v[112:113], v[56:57], -v[4:5]
	v_add_f64 v[152:153], v[148:149], v[150:151]
	ds_read_b128 v[148:151], v98 offset:1200
	s_waitcnt lgkmcnt(1)
	v_mul_f64 v[154:155], v[144:145], v[74:75]
	v_add_f64 v[2:3], v[2:3], v[4:5]
	v_mul_f64 v[4:5], v[122:123], v[50:51]
	v_fmac_f64_e32 v[154:155], v[146:147], v[76:77]
	v_fma_f64 v[4:5], v[120:121], v[52:53], -v[4:5]
	v_add_f64 v[156:157], v[152:153], v[154:155]
	ds_read_b128 v[152:155], v98 offset:1216
	v_add_f64 v[2:3], v[2:3], v[4:5]
	v_mul_f64 v[4:5], v[126:127], v[62:63]
	v_fma_f64 v[4:5], v[124:125], v[64:65], -v[4:5]
	v_add_f64 v[2:3], v[2:3], v[4:5]
	v_mul_f64 v[4:5], v[130:131], v[58:59]
	s_waitcnt vmcnt(30) lgkmcnt(1)
	v_mul_f64 v[158:159], v[148:149], v[86:87]
	v_fma_f64 v[4:5], v[128:129], v[60:61], -v[4:5]
	s_waitcnt vmcnt(28)
	v_fmac_f64_e32 v[158:159], v[150:151], v[88:89]
	v_add_f64 v[2:3], v[2:3], v[4:5]
	v_mul_f64 v[4:5], v[134:135], v[70:71]
	v_add_f64 v[160:161], v[156:157], v[158:159]
	ds_read_b128 v[156:159], v98 offset:1232
	s_waitcnt lgkmcnt(1)
	v_mul_f64 v[162:163], v[152:153], v[82:83]
	v_fma_f64 v[4:5], v[132:133], v[72:73], -v[4:5]
	v_fmac_f64_e32 v[162:163], v[154:155], v[84:85]
	v_add_f64 v[2:3], v[2:3], v[4:5]
	v_mul_f64 v[4:5], v[138:139], v[66:67]
	v_add_f64 v[164:165], v[160:161], v[162:163]
	ds_read_b128 v[160:163], v98 offset:1248
	v_fma_f64 v[4:5], v[136:137], v[68:69], -v[4:5]
	v_add_f64 v[2:3], v[2:3], v[4:5]
	v_mul_f64 v[4:5], v[142:143], v[78:79]
	v_fma_f64 v[4:5], v[140:141], v[80:81], -v[4:5]
	s_waitcnt vmcnt(22) lgkmcnt(1)
	v_mul_f64 v[166:167], v[156:157], v[94:95]
	v_add_f64 v[2:3], v[2:3], v[4:5]
	v_mul_f64 v[4:5], v[146:147], v[74:75]
	s_waitcnt vmcnt(20)
	v_fmac_f64_e32 v[166:167], v[158:159], v[96:97]
	v_fma_f64 v[4:5], v[144:145], v[76:77], -v[4:5]
	v_add_f64 v[168:169], v[164:165], v[166:167]
	ds_read_b128 v[164:167], v98 offset:1264
	s_waitcnt lgkmcnt(1)
	v_mul_f64 v[170:171], v[160:161], v[90:91]
	v_add_f64 v[2:3], v[2:3], v[4:5]
	v_mul_f64 v[4:5], v[150:151], v[86:87]
	v_fmac_f64_e32 v[170:171], v[162:163], v[92:93]
	v_fma_f64 v[4:5], v[148:149], v[88:89], -v[4:5]
	v_add_f64 v[172:173], v[168:169], v[170:171]
	ds_read_b128 v[168:171], v98 offset:1280
	v_add_f64 v[2:3], v[2:3], v[4:5]
	v_mul_f64 v[4:5], v[154:155], v[82:83]
	v_fma_f64 v[4:5], v[152:153], v[84:85], -v[4:5]
	v_add_f64 v[2:3], v[2:3], v[4:5]
	v_mul_f64 v[4:5], v[158:159], v[94:95]
	s_waitcnt vmcnt(14) lgkmcnt(1)
	v_mul_f64 v[174:175], v[164:165], v[186:187]
	v_fma_f64 v[4:5], v[156:157], v[96:97], -v[4:5]
	s_waitcnt vmcnt(12)
	v_fmac_f64_e32 v[174:175], v[166:167], v[188:189]
	v_add_f64 v[2:3], v[2:3], v[4:5]
	v_mul_f64 v[4:5], v[162:163], v[90:91]
	v_add_f64 v[176:177], v[172:173], v[174:175]
	ds_read_b128 v[172:175], v98 offset:1296
	s_waitcnt lgkmcnt(1)
	v_mul_f64 v[178:179], v[168:169], v[116:117]
	v_fma_f64 v[4:5], v[160:161], v[92:93], -v[4:5]
	v_fmac_f64_e32 v[178:179], v[170:171], v[184:185]
	v_add_f64 v[2:3], v[2:3], v[4:5]
	v_mul_f64 v[4:5], v[166:167], v[186:187]
	v_add_f64 v[202:203], v[176:177], v[178:179]
	ds_read_b128 v[176:179], v98 offset:1312
	v_fma_f64 v[4:5], v[164:165], v[188:189], -v[4:5]
	v_add_f64 v[2:3], v[2:3], v[4:5]
	v_mul_f64 v[4:5], v[170:171], v[116:117]
	ds_read_b128 v[180:183], v98 offset:1328
	v_fma_f64 v[4:5], v[168:169], v[184:185], -v[4:5]
	v_add_f64 v[2:3], v[2:3], v[4:5]
	s_waitcnt vmcnt(6) lgkmcnt(2)
	v_mul_f64 v[4:5], v[174:175], v[194:195]
	v_mul_f64 v[204:205], v[172:173], v[194:195]
	s_waitcnt vmcnt(4)
	v_fma_f64 v[4:5], v[172:173], v[196:197], -v[4:5]
	v_fmac_f64_e32 v[204:205], v[174:175], v[196:197]
	v_add_f64 v[2:3], v[2:3], v[4:5]
	s_waitcnt lgkmcnt(1)
	v_mul_f64 v[4:5], v[178:179], v[190:191]
	v_add_f64 v[98:99], v[202:203], v[204:205]
	v_mul_f64 v[202:203], v[176:177], v[190:191]
	v_fma_f64 v[4:5], v[176:177], v[192:193], -v[4:5]
	v_fmac_f64_e32 v[202:203], v[178:179], v[192:193]
	v_add_f64 v[2:3], v[2:3], v[4:5]
	s_waitcnt vmcnt(2) lgkmcnt(0)
	v_mul_f64 v[4:5], v[182:183], v[198:199]
	v_add_f64 v[98:99], v[98:99], v[202:203]
	v_mul_f64 v[202:203], v[180:181], v[198:199]
	s_waitcnt vmcnt(0)
	v_fma_f64 v[4:5], v[180:181], v[200:201], -v[4:5]
	v_fmac_f64_e32 v[202:203], v[182:183], v[200:201]
	v_add_f64 v[2:3], v[2:3], v[4:5]
	v_add_f64 v[98:99], v[98:99], v[202:203]
	v_add_f64 v[2:3], v[20:21], -v[2:3]
	v_add_f64 v[4:5], v[18:19], -v[98:99]
	buffer_store_dword v3, off, s[0:3], 0 offset:292
	buffer_store_dword v2, off, s[0:3], 0 offset:288
	;; [unrolled: 1-line block ×4, first 2 shown]
	s_and_saveexec_b64 s[4:5], vcc
	s_cbranch_execz .LBB105_233
; %bb.232:
	v_accvgpr_read_b32 v0, a109
	buffer_load_dword v2, v0, s[0:3], 0 offen
	buffer_load_dword v3, v0, s[0:3], 0 offen offset:4
	buffer_load_dword v4, v0, s[0:3], 0 offen offset:8
	;; [unrolled: 1-line block ×3, first 2 shown]
	v_mov_b32_e32 v0, 0
	v_accvgpr_read_b32 v1, a126
	buffer_store_dword v0, off, s[0:3], 0 offset:272
	buffer_store_dword v0, off, s[0:3], 0 offset:276
	;; [unrolled: 1-line block ×4, first 2 shown]
	s_waitcnt vmcnt(4)
	ds_write_b128 v1, v[2:5]
.LBB105_233:
	s_or_b64 exec, exec, s[4:5]
	s_waitcnt lgkmcnt(0)
	; wave barrier
	s_waitcnt lgkmcnt(0)
	buffer_load_dword v22, off, s[0:3], 0 offset:288
	buffer_load_dword v23, off, s[0:3], 0 offset:292
	;; [unrolled: 1-line block ×64, first 2 shown]
	v_mov_b32_e32 v114, 0
	ds_read_b128 v[18:21], v114 offset:944
	ds_read_b128 v[14:17], v114 offset:960
	;; [unrolled: 1-line block ×5, first 2 shown]
	v_cmp_lt_u32_e32 vcc, 15, v118
	s_waitcnt vmcnt(60) lgkmcnt(4)
	v_mul_f64 v[86:87], v[18:19], v[26:27]
	v_fmac_f64_e32 v[86:87], v[20:21], v[22:23]
	v_add_f64 v[86:87], v[86:87], 0
	v_mul_f64 v[20:21], v[20:21], v[26:27]
	s_waitcnt vmcnt(56) lgkmcnt(3)
	v_mul_f64 v[88:89], v[14:15], v[28:29]
	v_fmac_f64_e32 v[88:89], v[16:17], v[24:25]
	s_waitcnt vmcnt(54) lgkmcnt(2)
	v_mul_f64 v[90:91], v[10:11], v[30:31]
	v_add_f64 v[86:87], v[86:87], v[88:89]
	v_fma_f64 v[18:19], v[18:19], v[22:23], -v[20:21]
	v_mul_f64 v[16:17], v[16:17], v[28:29]
	s_waitcnt vmcnt(50) lgkmcnt(1)
	v_mul_f64 v[102:103], v[6:7], v[40:41]
	v_add_f64 v[18:19], v[18:19], 0
	s_waitcnt vmcnt(48)
	v_fmac_f64_e32 v[90:91], v[12:13], v[44:45]
	v_add_f64 v[104:105], v[86:87], v[90:91]
	buffer_load_dword v87, off, s[0:3], 0 offset:556
	buffer_load_dword v86, off, s[0:3], 0 offset:552
	;; [unrolled: 1-line block ×40, first 2 shown]
	s_waitcnt vmcnt(62)
	v_fmac_f64_e32 v[102:103], v[8:9], v[42:43]
	v_add_f64 v[106:107], v[104:105], v[102:103]
	ds_read_b128 v[102:105], v114 offset:1024
	s_waitcnt lgkmcnt(1)
	v_mul_f64 v[108:109], v[2:3], v[36:37]
	v_fmac_f64_e32 v[108:109], v[4:5], v[38:39]
	v_add_f64 v[110:111], v[106:107], v[108:109]
	ds_read_b128 v[106:109], v114 offset:1040
	s_waitcnt lgkmcnt(1)
	v_mul_f64 v[112:113], v[102:103], v[50:51]
	;; [unrolled: 5-line block ×5, first 2 shown]
	v_fmac_f64_e32 v[130:131], v[122:123], v[56:57]
	v_add_f64 v[132:133], v[128:129], v[130:131]
	ds_read_b128 v[128:131], v114 offset:1104
	s_waitcnt vmcnt(58) lgkmcnt(1)
	v_mul_f64 v[134:135], v[124:125], v[66:67]
	s_waitcnt vmcnt(56)
	v_fmac_f64_e32 v[134:135], v[126:127], v[68:69]
	v_add_f64 v[136:137], v[132:133], v[134:135]
	ds_read_b128 v[132:135], v114 offset:1120
	s_waitcnt lgkmcnt(1)
	v_mul_f64 v[138:139], v[128:129], v[62:63]
	v_fmac_f64_e32 v[138:139], v[130:131], v[64:65]
	v_add_f64 v[140:141], v[136:137], v[138:139]
	ds_read_b128 v[136:139], v114 offset:1136
	s_waitcnt vmcnt(50) lgkmcnt(1)
	v_mul_f64 v[142:143], v[132:133], v[74:75]
	s_waitcnt vmcnt(48)
	v_fmac_f64_e32 v[142:143], v[134:135], v[76:77]
	v_add_f64 v[144:145], v[140:141], v[142:143]
	ds_read_b128 v[140:143], v114 offset:1152
	v_fma_f64 v[14:15], v[14:15], v[24:25], -v[16:17]
	v_mul_f64 v[12:13], v[12:13], v[30:31]
	v_add_f64 v[14:15], v[18:19], v[14:15]
	v_fma_f64 v[10:11], v[10:11], v[44:45], -v[12:13]
	v_mul_f64 v[8:9], v[8:9], v[40:41]
	s_waitcnt lgkmcnt(1)
	v_mul_f64 v[146:147], v[136:137], v[70:71]
	v_add_f64 v[10:11], v[14:15], v[10:11]
	v_fma_f64 v[6:7], v[6:7], v[42:43], -v[8:9]
	v_mul_f64 v[4:5], v[4:5], v[36:37]
	v_fmac_f64_e32 v[146:147], v[138:139], v[72:73]
	v_add_f64 v[6:7], v[10:11], v[6:7]
	v_fma_f64 v[2:3], v[2:3], v[38:39], -v[4:5]
	v_mul_f64 v[4:5], v[104:105], v[50:51]
	v_add_f64 v[148:149], v[144:145], v[146:147]
	ds_read_b128 v[144:147], v114 offset:1168
	s_waitcnt vmcnt(42) lgkmcnt(1)
	v_mul_f64 v[150:151], v[140:141], v[82:83]
	v_add_f64 v[2:3], v[6:7], v[2:3]
	v_fma_f64 v[4:5], v[102:103], v[52:53], -v[4:5]
	s_waitcnt vmcnt(40)
	v_fmac_f64_e32 v[150:151], v[142:143], v[84:85]
	v_add_f64 v[2:3], v[2:3], v[4:5]
	v_mul_f64 v[4:5], v[108:109], v[46:47]
	v_add_f64 v[152:153], v[148:149], v[150:151]
	ds_read_b128 v[148:151], v114 offset:1184
	v_fma_f64 v[4:5], v[106:107], v[48:49], -v[4:5]
	v_add_f64 v[2:3], v[2:3], v[4:5]
	v_mul_f64 v[4:5], v[112:113], v[58:59]
	v_fma_f64 v[4:5], v[110:111], v[60:61], -v[4:5]
	s_waitcnt lgkmcnt(1)
	v_mul_f64 v[154:155], v[144:145], v[78:79]
	v_add_f64 v[2:3], v[2:3], v[4:5]
	v_mul_f64 v[4:5], v[122:123], v[54:55]
	v_fmac_f64_e32 v[154:155], v[146:147], v[80:81]
	v_fma_f64 v[4:5], v[120:121], v[56:57], -v[4:5]
	v_add_f64 v[156:157], v[152:153], v[154:155]
	ds_read_b128 v[152:155], v114 offset:1200
	s_waitcnt vmcnt(34) lgkmcnt(1)
	v_mul_f64 v[158:159], v[148:149], v[90:91]
	v_add_f64 v[2:3], v[2:3], v[4:5]
	v_mul_f64 v[4:5], v[126:127], v[66:67]
	s_waitcnt vmcnt(32)
	v_fmac_f64_e32 v[158:159], v[150:151], v[92:93]
	v_fma_f64 v[4:5], v[124:125], v[68:69], -v[4:5]
	v_add_f64 v[160:161], v[156:157], v[158:159]
	ds_read_b128 v[156:159], v114 offset:1216
	v_add_f64 v[2:3], v[2:3], v[4:5]
	v_mul_f64 v[4:5], v[130:131], v[62:63]
	v_fma_f64 v[4:5], v[128:129], v[64:65], -v[4:5]
	v_add_f64 v[2:3], v[2:3], v[4:5]
	v_mul_f64 v[4:5], v[134:135], v[74:75]
	s_waitcnt lgkmcnt(1)
	v_mul_f64 v[162:163], v[152:153], v[86:87]
	v_fma_f64 v[4:5], v[132:133], v[76:77], -v[4:5]
	v_fmac_f64_e32 v[162:163], v[154:155], v[88:89]
	v_add_f64 v[2:3], v[2:3], v[4:5]
	v_mul_f64 v[4:5], v[138:139], v[70:71]
	v_add_f64 v[164:165], v[160:161], v[162:163]
	ds_read_b128 v[160:163], v114 offset:1232
	s_waitcnt vmcnt(26) lgkmcnt(1)
	v_mul_f64 v[166:167], v[156:157], v[98:99]
	v_fma_f64 v[4:5], v[136:137], v[72:73], -v[4:5]
	s_waitcnt vmcnt(24)
	v_fmac_f64_e32 v[166:167], v[158:159], v[100:101]
	v_add_f64 v[2:3], v[2:3], v[4:5]
	v_mul_f64 v[4:5], v[142:143], v[82:83]
	v_add_f64 v[168:169], v[164:165], v[166:167]
	ds_read_b128 v[164:167], v114 offset:1248
	v_fma_f64 v[4:5], v[140:141], v[84:85], -v[4:5]
	v_add_f64 v[2:3], v[2:3], v[4:5]
	v_mul_f64 v[4:5], v[146:147], v[78:79]
	v_fma_f64 v[4:5], v[144:145], v[80:81], -v[4:5]
	s_waitcnt lgkmcnt(1)
	v_mul_f64 v[170:171], v[160:161], v[94:95]
	v_add_f64 v[2:3], v[2:3], v[4:5]
	v_mul_f64 v[4:5], v[150:151], v[90:91]
	v_fmac_f64_e32 v[170:171], v[162:163], v[96:97]
	v_fma_f64 v[4:5], v[148:149], v[92:93], -v[4:5]
	v_add_f64 v[172:173], v[168:169], v[170:171]
	ds_read_b128 v[168:171], v114 offset:1264
	s_waitcnt vmcnt(18) lgkmcnt(1)
	v_mul_f64 v[174:175], v[164:165], v[190:191]
	v_add_f64 v[2:3], v[2:3], v[4:5]
	v_mul_f64 v[4:5], v[154:155], v[86:87]
	s_waitcnt vmcnt(16)
	v_fmac_f64_e32 v[174:175], v[166:167], v[192:193]
	v_fma_f64 v[4:5], v[152:153], v[88:89], -v[4:5]
	v_add_f64 v[176:177], v[172:173], v[174:175]
	ds_read_b128 v[172:175], v114 offset:1280
	v_add_f64 v[2:3], v[2:3], v[4:5]
	v_mul_f64 v[4:5], v[158:159], v[98:99]
	v_fma_f64 v[4:5], v[156:157], v[100:101], -v[4:5]
	v_add_f64 v[2:3], v[2:3], v[4:5]
	v_mul_f64 v[4:5], v[162:163], v[94:95]
	s_waitcnt lgkmcnt(1)
	v_mul_f64 v[178:179], v[168:169], v[116:117]
	v_fma_f64 v[4:5], v[160:161], v[96:97], -v[4:5]
	v_fmac_f64_e32 v[178:179], v[170:171], v[188:189]
	v_add_f64 v[2:3], v[2:3], v[4:5]
	v_mul_f64 v[4:5], v[166:167], v[190:191]
	v_add_f64 v[180:181], v[176:177], v[178:179]
	ds_read_b128 v[176:179], v114 offset:1296
	s_waitcnt vmcnt(10) lgkmcnt(1)
	v_mul_f64 v[182:183], v[172:173], v[198:199]
	v_fma_f64 v[4:5], v[164:165], v[192:193], -v[4:5]
	s_waitcnt vmcnt(8)
	v_fmac_f64_e32 v[182:183], v[174:175], v[200:201]
	v_add_f64 v[2:3], v[2:3], v[4:5]
	v_mul_f64 v[4:5], v[170:171], v[116:117]
	v_add_f64 v[210:211], v[180:181], v[182:183]
	ds_read_b128 v[180:183], v114 offset:1312
	ds_read_b128 v[184:187], v114 offset:1328
	v_fma_f64 v[4:5], v[168:169], v[188:189], -v[4:5]
	v_add_f64 v[2:3], v[2:3], v[4:5]
	v_mul_f64 v[4:5], v[174:175], v[198:199]
	v_fma_f64 v[4:5], v[172:173], v[200:201], -v[4:5]
	v_add_f64 v[2:3], v[2:3], v[4:5]
	s_waitcnt lgkmcnt(2)
	v_mul_f64 v[4:5], v[178:179], v[194:195]
	v_mul_f64 v[212:213], v[176:177], v[194:195]
	v_fma_f64 v[4:5], v[176:177], v[196:197], -v[4:5]
	v_fmac_f64_e32 v[212:213], v[178:179], v[196:197]
	v_add_f64 v[2:3], v[2:3], v[4:5]
	s_waitcnt vmcnt(2) lgkmcnt(1)
	v_mul_f64 v[4:5], v[182:183], v[206:207]
	v_add_f64 v[210:211], v[210:211], v[212:213]
	v_mul_f64 v[212:213], v[180:181], v[206:207]
	s_waitcnt vmcnt(0)
	v_fma_f64 v[4:5], v[180:181], v[208:209], -v[4:5]
	v_fmac_f64_e32 v[212:213], v[182:183], v[208:209]
	v_add_f64 v[2:3], v[2:3], v[4:5]
	s_waitcnt lgkmcnt(0)
	v_mul_f64 v[4:5], v[186:187], v[202:203]
	v_add_f64 v[210:211], v[210:211], v[212:213]
	v_mul_f64 v[212:213], v[184:185], v[202:203]
	v_fma_f64 v[4:5], v[184:185], v[204:205], -v[4:5]
	v_fmac_f64_e32 v[212:213], v[186:187], v[204:205]
	v_add_f64 v[2:3], v[2:3], v[4:5]
	v_add_f64 v[210:211], v[210:211], v[212:213]
	v_add_f64 v[2:3], v[34:35], -v[2:3]
	v_add_f64 v[4:5], v[32:33], -v[210:211]
	buffer_store_dword v3, off, s[0:3], 0 offset:276
	buffer_store_dword v2, off, s[0:3], 0 offset:272
	;; [unrolled: 1-line block ×4, first 2 shown]
	s_and_saveexec_b64 s[4:5], vcc
	s_cbranch_execz .LBB105_235
; %bb.234:
	v_accvgpr_read_b32 v0, a110
	buffer_load_dword v2, v0, s[0:3], 0 offen
	buffer_load_dword v3, v0, s[0:3], 0 offen offset:4
	buffer_load_dword v4, v0, s[0:3], 0 offen offset:8
	buffer_load_dword v5, v0, s[0:3], 0 offen offset:12
	v_accvgpr_read_b32 v0, a126
	buffer_store_dword v114, off, s[0:3], 0 offset:256
	buffer_store_dword v114, off, s[0:3], 0 offset:260
	;; [unrolled: 1-line block ×4, first 2 shown]
	s_waitcnt vmcnt(4)
	ds_write_b128 v0, v[2:5]
.LBB105_235:
	s_or_b64 exec, exec, s[4:5]
	s_waitcnt lgkmcnt(0)
	; wave barrier
	s_waitcnt lgkmcnt(0)
	buffer_load_dword v26, off, s[0:3], 0 offset:272
	buffer_load_dword v27, off, s[0:3], 0 offset:276
	;; [unrolled: 1-line block ×24, first 2 shown]
	ds_read_b128 v[22:25], v114 offset:928
	ds_read_b128 v[18:21], v114 offset:944
	;; [unrolled: 1-line block ×6, first 2 shown]
	buffer_load_dword v51, off, s[0:3], 0 offset:380
	buffer_load_dword v50, off, s[0:3], 0 offset:376
	;; [unrolled: 1-line block ×40, first 2 shown]
	v_cmp_lt_u32_e32 vcc, 14, v118
	s_waitcnt vmcnt(34) lgkmcnt(0)
	v_mul_f64 v[124:125], v[14:15], v[54:55]
	s_waitcnt vmcnt(32)
	v_fmac_f64_e32 v[124:125], v[16:17], v[56:57]
	v_mul_f64 v[90:91], v[22:23], v[28:29]
	v_fmac_f64_e32 v[90:91], v[24:25], v[26:27]
	v_mul_f64 v[92:93], v[18:19], v[30:31]
	v_add_f64 v[90:91], v[90:91], 0
	v_mul_f64 v[94:95], v[10:11], v[32:33]
	v_mul_f64 v[24:25], v[24:25], v[28:29]
	;; [unrolled: 1-line block ×3, first 2 shown]
	v_fma_f64 v[22:23], v[22:23], v[26:27], -v[24:25]
	v_add_f64 v[22:23], v[22:23], 0
	v_mul_f64 v[96:97], v[6:7], v[42:43]
	v_fmac_f64_e32 v[92:93], v[20:21], v[48:49]
	v_add_f64 v[90:91], v[90:91], v[92:93]
	v_fmac_f64_e32 v[94:95], v[12:13], v[46:47]
	v_add_f64 v[90:91], v[90:91], v[94:95]
	;; [unrolled: 2-line block ×3, first 2 shown]
	buffer_load_dword v91, off, s[0:3], 0 offset:540
	buffer_load_dword v90, off, s[0:3], 0 offset:536
	;; [unrolled: 1-line block ×40, first 2 shown]
	v_fmac_f64_e32 v[116:117], v[4:5], v[40:41]
	v_add_f64 v[116:117], v[120:121], v[116:117]
	ds_read_b128 v[120:123], v114 offset:1024
	buffer_load_dword v213, off, s[0:3], 0 offset:684
	buffer_load_dword v212, off, s[0:3], 0 offset:680
	;; [unrolled: 1-line block ×4, first 2 shown]
	v_add_f64 v[116:117], v[116:117], v[124:125]
	ds_read_b128 v[124:127], v114 offset:1040
	v_mul_f64 v[20:21], v[20:21], v[30:31]
	s_waitcnt lgkmcnt(1)
	v_mul_f64 v[128:129], v[120:121], v[50:51]
	v_fmac_f64_e32 v[128:129], v[122:123], v[52:53]
	v_add_f64 v[116:117], v[116:117], v[128:129]
	ds_read_b128 v[128:131], v114 offset:1056
	s_waitcnt vmcnt(62) lgkmcnt(1)
	v_mul_f64 v[132:133], v[124:125], v[62:63]
	v_fmac_f64_e32 v[132:133], v[126:127], v[64:65]
	v_add_f64 v[116:117], v[116:117], v[132:133]
	ds_read_b128 v[132:135], v114 offset:1072
	s_waitcnt lgkmcnt(1)
	v_mul_f64 v[136:137], v[128:129], v[58:59]
	v_fmac_f64_e32 v[136:137], v[130:131], v[60:61]
	v_add_f64 v[116:117], v[116:117], v[136:137]
	ds_read_b128 v[136:139], v114 offset:1088
	s_waitcnt lgkmcnt(1)
	v_mul_f64 v[140:141], v[132:133], v[70:71]
	s_waitcnt vmcnt(60)
	v_fmac_f64_e32 v[140:141], v[134:135], v[72:73]
	v_add_f64 v[116:117], v[116:117], v[140:141]
	ds_read_b128 v[140:143], v114 offset:1104
	s_waitcnt lgkmcnt(1)
	v_mul_f64 v[144:145], v[136:137], v[66:67]
	v_fmac_f64_e32 v[144:145], v[138:139], v[68:69]
	v_add_f64 v[116:117], v[116:117], v[144:145]
	ds_read_b128 v[144:147], v114 offset:1120
	s_waitcnt vmcnt(54) lgkmcnt(1)
	v_mul_f64 v[148:149], v[140:141], v[78:79]
	s_waitcnt vmcnt(52)
	v_fmac_f64_e32 v[148:149], v[142:143], v[80:81]
	v_add_f64 v[116:117], v[116:117], v[148:149]
	ds_read_b128 v[148:151], v114 offset:1136
	s_waitcnt lgkmcnt(1)
	v_mul_f64 v[152:153], v[144:145], v[74:75]
	v_fmac_f64_e32 v[152:153], v[146:147], v[76:77]
	v_fma_f64 v[18:19], v[18:19], v[48:49], -v[20:21]
	v_mul_f64 v[12:13], v[12:13], v[32:33]
	v_add_f64 v[116:117], v[116:117], v[152:153]
	ds_read_b128 v[152:155], v114 offset:1152
	v_add_f64 v[18:19], v[22:23], v[18:19]
	v_fma_f64 v[10:11], v[10:11], v[46:47], -v[12:13]
	v_mul_f64 v[8:9], v[8:9], v[42:43]
	v_add_f64 v[10:11], v[18:19], v[10:11]
	v_fma_f64 v[6:7], v[6:7], v[44:45], -v[8:9]
	v_mul_f64 v[4:5], v[4:5], v[38:39]
	;; [unrolled: 3-line block ×3, first 2 shown]
	s_waitcnt vmcnt(46) lgkmcnt(1)
	v_mul_f64 v[156:157], v[148:149], v[86:87]
	v_add_f64 v[2:3], v[6:7], v[2:3]
	v_fma_f64 v[4:5], v[14:15], v[56:57], -v[4:5]
	s_waitcnt vmcnt(44)
	v_fmac_f64_e32 v[156:157], v[150:151], v[88:89]
	v_add_f64 v[2:3], v[2:3], v[4:5]
	v_mul_f64 v[4:5], v[122:123], v[50:51]
	v_add_f64 v[116:117], v[116:117], v[156:157]
	ds_read_b128 v[156:159], v114 offset:1168
	s_waitcnt lgkmcnt(1)
	v_mul_f64 v[160:161], v[152:153], v[82:83]
	v_fma_f64 v[4:5], v[120:121], v[52:53], -v[4:5]
	v_fmac_f64_e32 v[160:161], v[154:155], v[84:85]
	v_add_f64 v[2:3], v[2:3], v[4:5]
	v_mul_f64 v[4:5], v[126:127], v[62:63]
	v_add_f64 v[116:117], v[116:117], v[160:161]
	ds_read_b128 v[160:163], v114 offset:1184
	v_fma_f64 v[4:5], v[124:125], v[64:65], -v[4:5]
	v_add_f64 v[2:3], v[2:3], v[4:5]
	v_mul_f64 v[4:5], v[130:131], v[58:59]
	v_fma_f64 v[4:5], v[128:129], v[60:61], -v[4:5]
	s_waitcnt vmcnt(38) lgkmcnt(1)
	v_mul_f64 v[164:165], v[156:157], v[94:95]
	v_add_f64 v[2:3], v[2:3], v[4:5]
	v_mul_f64 v[4:5], v[134:135], v[70:71]
	s_waitcnt vmcnt(36)
	v_fmac_f64_e32 v[164:165], v[158:159], v[96:97]
	v_fma_f64 v[4:5], v[132:133], v[72:73], -v[4:5]
	v_add_f64 v[116:117], v[116:117], v[164:165]
	ds_read_b128 v[164:167], v114 offset:1200
	s_waitcnt lgkmcnt(1)
	v_mul_f64 v[168:169], v[160:161], v[90:91]
	v_add_f64 v[2:3], v[2:3], v[4:5]
	v_mul_f64 v[4:5], v[138:139], v[66:67]
	v_fmac_f64_e32 v[168:169], v[162:163], v[92:93]
	v_fma_f64 v[4:5], v[136:137], v[68:69], -v[4:5]
	v_add_f64 v[116:117], v[116:117], v[168:169]
	ds_read_b128 v[168:171], v114 offset:1216
	v_add_f64 v[2:3], v[2:3], v[4:5]
	v_mul_f64 v[4:5], v[142:143], v[78:79]
	v_fma_f64 v[4:5], v[140:141], v[80:81], -v[4:5]
	v_add_f64 v[2:3], v[2:3], v[4:5]
	v_mul_f64 v[4:5], v[146:147], v[74:75]
	s_waitcnt vmcnt(30) lgkmcnt(1)
	v_mul_f64 v[172:173], v[164:165], v[102:103]
	v_fma_f64 v[4:5], v[144:145], v[76:77], -v[4:5]
	s_waitcnt vmcnt(28)
	v_fmac_f64_e32 v[172:173], v[166:167], v[104:105]
	v_add_f64 v[2:3], v[2:3], v[4:5]
	v_mul_f64 v[4:5], v[150:151], v[86:87]
	v_add_f64 v[116:117], v[116:117], v[172:173]
	ds_read_b128 v[172:175], v114 offset:1232
	s_waitcnt lgkmcnt(1)
	v_mul_f64 v[176:177], v[168:169], v[98:99]
	v_fma_f64 v[4:5], v[148:149], v[88:89], -v[4:5]
	v_fmac_f64_e32 v[176:177], v[170:171], v[100:101]
	v_add_f64 v[2:3], v[2:3], v[4:5]
	v_mul_f64 v[4:5], v[154:155], v[82:83]
	v_add_f64 v[116:117], v[116:117], v[176:177]
	ds_read_b128 v[176:179], v114 offset:1248
	v_fma_f64 v[4:5], v[152:153], v[84:85], -v[4:5]
	v_add_f64 v[2:3], v[2:3], v[4:5]
	v_mul_f64 v[4:5], v[158:159], v[94:95]
	v_fma_f64 v[4:5], v[156:157], v[96:97], -v[4:5]
	s_waitcnt vmcnt(22) lgkmcnt(1)
	v_mul_f64 v[180:181], v[172:173], v[110:111]
	v_add_f64 v[2:3], v[2:3], v[4:5]
	v_mul_f64 v[4:5], v[162:163], v[90:91]
	s_waitcnt vmcnt(20)
	v_fmac_f64_e32 v[180:181], v[174:175], v[112:113]
	v_fma_f64 v[4:5], v[160:161], v[92:93], -v[4:5]
	v_add_f64 v[116:117], v[116:117], v[180:181]
	ds_read_b128 v[180:183], v114 offset:1264
	s_waitcnt lgkmcnt(1)
	v_mul_f64 v[184:185], v[176:177], v[106:107]
	v_add_f64 v[2:3], v[2:3], v[4:5]
	v_mul_f64 v[4:5], v[166:167], v[102:103]
	v_fmac_f64_e32 v[184:185], v[178:179], v[108:109]
	v_fma_f64 v[4:5], v[164:165], v[104:105], -v[4:5]
	v_add_f64 v[116:117], v[116:117], v[184:185]
	ds_read_b128 v[184:187], v114 offset:1280
	v_add_f64 v[2:3], v[2:3], v[4:5]
	v_mul_f64 v[4:5], v[170:171], v[98:99]
	v_fma_f64 v[4:5], v[168:169], v[100:101], -v[4:5]
	v_add_f64 v[2:3], v[2:3], v[4:5]
	v_mul_f64 v[4:5], v[174:175], v[110:111]
	s_waitcnt vmcnt(14) lgkmcnt(1)
	v_mul_f64 v[188:189], v[180:181], v[196:197]
	v_fma_f64 v[4:5], v[172:173], v[112:113], -v[4:5]
	s_waitcnt vmcnt(12)
	v_fmac_f64_e32 v[188:189], v[182:183], v[198:199]
	v_add_f64 v[2:3], v[2:3], v[4:5]
	v_mul_f64 v[4:5], v[178:179], v[106:107]
	v_add_f64 v[116:117], v[116:117], v[188:189]
	ds_read_b128 v[188:191], v114 offset:1296
	s_waitcnt lgkmcnt(1)
	v_mul_f64 v[202:203], v[184:185], v[192:193]
	v_fma_f64 v[4:5], v[176:177], v[108:109], -v[4:5]
	v_fmac_f64_e32 v[202:203], v[186:187], v[194:195]
	v_add_f64 v[2:3], v[2:3], v[4:5]
	v_mul_f64 v[4:5], v[182:183], v[196:197]
	v_add_f64 v[216:217], v[116:117], v[202:203]
	ds_read_b128 v[202:205], v114 offset:1312
	v_fma_f64 v[4:5], v[180:181], v[198:199], -v[4:5]
	v_add_f64 v[2:3], v[2:3], v[4:5]
	v_mul_f64 v[4:5], v[186:187], v[192:193]
	ds_read_b128 v[114:117], v114 offset:1328
	v_fma_f64 v[4:5], v[184:185], v[194:195], -v[4:5]
	v_add_f64 v[2:3], v[2:3], v[4:5]
	s_waitcnt vmcnt(6) lgkmcnt(2)
	v_mul_f64 v[4:5], v[190:191], v[208:209]
	v_mul_f64 v[218:219], v[188:189], v[208:209]
	s_waitcnt vmcnt(4)
	v_fma_f64 v[4:5], v[188:189], v[210:211], -v[4:5]
	v_fmac_f64_e32 v[218:219], v[190:191], v[210:211]
	v_add_f64 v[2:3], v[2:3], v[4:5]
	s_waitcnt lgkmcnt(1)
	v_mul_f64 v[4:5], v[204:205], v[200:201]
	v_add_f64 v[216:217], v[216:217], v[218:219]
	v_mul_f64 v[218:219], v[202:203], v[200:201]
	v_fma_f64 v[4:5], v[202:203], v[206:207], -v[4:5]
	v_fmac_f64_e32 v[218:219], v[204:205], v[206:207]
	v_add_f64 v[2:3], v[2:3], v[4:5]
	s_waitcnt vmcnt(2) lgkmcnt(0)
	v_mul_f64 v[4:5], v[116:117], v[212:213]
	v_add_f64 v[216:217], v[216:217], v[218:219]
	v_mul_f64 v[218:219], v[114:115], v[212:213]
	s_waitcnt vmcnt(0)
	v_fma_f64 v[4:5], v[114:115], v[214:215], -v[4:5]
	v_fmac_f64_e32 v[218:219], v[116:117], v[214:215]
	v_add_f64 v[2:3], v[2:3], v[4:5]
	v_add_f64 v[216:217], v[216:217], v[218:219]
	v_add_f64 v[2:3], v[36:37], -v[2:3]
	v_add_f64 v[4:5], v[34:35], -v[216:217]
	buffer_store_dword v3, off, s[0:3], 0 offset:260
	buffer_store_dword v2, off, s[0:3], 0 offset:256
	;; [unrolled: 1-line block ×4, first 2 shown]
	s_and_saveexec_b64 s[4:5], vcc
	s_cbranch_execz .LBB105_237
; %bb.236:
	v_accvgpr_read_b32 v0, a111
	buffer_load_dword v2, v0, s[0:3], 0 offen
	buffer_load_dword v3, v0, s[0:3], 0 offen offset:4
	buffer_load_dword v4, v0, s[0:3], 0 offen offset:8
	;; [unrolled: 1-line block ×3, first 2 shown]
	v_mov_b32_e32 v0, 0
	v_accvgpr_read_b32 v1, a126
	buffer_store_dword v0, off, s[0:3], 0 offset:240
	buffer_store_dword v0, off, s[0:3], 0 offset:244
	;; [unrolled: 1-line block ×4, first 2 shown]
	s_waitcnt vmcnt(4)
	ds_write_b128 v1, v[2:5]
.LBB105_237:
	s_or_b64 exec, exec, s[4:5]
	s_waitcnt lgkmcnt(0)
	; wave barrier
	s_waitcnt lgkmcnt(0)
	buffer_load_dword v30, off, s[0:3], 0 offset:256
	buffer_load_dword v31, off, s[0:3], 0 offset:260
	;; [unrolled: 1-line block ×56, first 2 shown]
	v_mov_b32_e32 v136, 0
	ds_read_b128 v[26:29], v136 offset:912
	ds_read_b128 v[22:25], v136 offset:928
	;; [unrolled: 1-line block ×7, first 2 shown]
	v_cmp_lt_u32_e32 vcc, 13, v118
	s_waitcnt vmcnt(52) lgkmcnt(6)
	v_mul_f64 v[86:87], v[26:27], v[34:35]
	v_fmac_f64_e32 v[86:87], v[28:29], v[30:31]
	v_add_f64 v[86:87], v[86:87], 0
	v_mul_f64 v[28:29], v[28:29], v[34:35]
	s_waitcnt vmcnt(48) lgkmcnt(5)
	v_mul_f64 v[88:89], v[22:23], v[36:37]
	v_fmac_f64_e32 v[88:89], v[24:25], v[32:33]
	s_waitcnt vmcnt(46) lgkmcnt(4)
	v_mul_f64 v[90:91], v[18:19], v[38:39]
	v_add_f64 v[86:87], v[86:87], v[88:89]
	s_waitcnt vmcnt(44) lgkmcnt(2)
	v_mul_f64 v[94:95], v[10:11], v[40:41]
	v_fma_f64 v[26:27], v[26:27], v[30:31], -v[28:29]
	s_waitcnt vmcnt(42)
	v_fmac_f64_e32 v[94:95], v[12:13], v[42:43]
	v_mul_f64 v[24:25], v[24:25], v[36:37]
	s_waitcnt vmcnt(40)
	v_mul_f64 v[92:93], v[14:15], v[48:49]
	v_add_f64 v[26:27], v[26:27], 0
	v_fma_f64 v[22:23], v[22:23], v[32:33], -v[24:25]
	v_add_f64 v[22:23], v[26:27], v[22:23]
	s_waitcnt vmcnt(36) lgkmcnt(1)
	v_mul_f64 v[110:111], v[6:7], v[54:55]
	v_mul_f64 v[12:13], v[12:13], v[40:41]
	s_waitcnt vmcnt(34)
	v_fmac_f64_e32 v[90:91], v[20:21], v[60:61]
	v_add_f64 v[86:87], v[86:87], v[90:91]
	s_waitcnt vmcnt(32)
	v_fmac_f64_e32 v[92:93], v[16:17], v[58:59]
	v_add_f64 v[86:87], v[86:87], v[92:93]
	v_add_f64 v[116:117], v[86:87], v[94:95]
	buffer_load_dword v87, off, s[0:3], 0 offset:492
	buffer_load_dword v86, off, s[0:3], 0 offset:488
	;; [unrolled: 1-line block ×56, first 2 shown]
	ds_read_b128 v[126:129], v136 offset:1024
	ds_read_b128 v[130:133], v136 offset:1040
	v_mul_f64 v[20:21], v[20:21], v[38:39]
	v_fma_f64 v[18:19], v[18:19], v[60:61], -v[20:21]
	v_mul_f64 v[16:17], v[16:17], v[48:49]
	s_waitcnt vmcnt(62)
	v_fmac_f64_e32 v[110:111], v[8:9], v[56:57]
	v_add_f64 v[18:19], v[22:23], v[18:19]
	v_fma_f64 v[14:15], v[14:15], v[58:59], -v[16:17]
	v_add_f64 v[110:111], v[116:117], v[110:111]
	s_waitcnt lgkmcnt(2)
	v_mul_f64 v[116:117], v[2:3], v[50:51]
	v_add_f64 v[14:15], v[18:19], v[14:15]
	v_fma_f64 v[10:11], v[10:11], v[42:43], -v[12:13]
	v_mul_f64 v[8:9], v[8:9], v[54:55]
	v_fmac_f64_e32 v[116:117], v[4:5], v[52:53]
	ds_read_b128 v[138:141], v136 offset:1056
	ds_read_b128 v[142:145], v136 offset:1072
	v_add_f64 v[10:11], v[14:15], v[10:11]
	v_fma_f64 v[6:7], v[6:7], v[56:57], -v[8:9]
	v_mul_f64 v[4:5], v[4:5], v[50:51]
	v_add_f64 v[6:7], v[10:11], v[6:7]
	v_fma_f64 v[2:3], v[2:3], v[52:53], -v[4:5]
	s_waitcnt lgkmcnt(3)
	v_mul_f64 v[4:5], v[128:129], v[66:67]
	v_add_f64 v[110:111], v[110:111], v[116:117]
	v_mul_f64 v[116:117], v[126:127], v[66:67]
	v_add_f64 v[2:3], v[6:7], v[2:3]
	v_fma_f64 v[4:5], v[126:127], v[68:69], -v[4:5]
	v_fmac_f64_e32 v[116:117], v[128:129], v[68:69]
	v_add_f64 v[2:3], v[2:3], v[4:5]
	s_waitcnt lgkmcnt(2)
	v_mul_f64 v[4:5], v[132:133], v[62:63]
	v_add_f64 v[110:111], v[110:111], v[116:117]
	v_mul_f64 v[116:117], v[130:131], v[62:63]
	ds_read_b128 v[146:149], v136 offset:1088
	ds_read_b128 v[150:153], v136 offset:1104
	v_fma_f64 v[4:5], v[130:131], v[64:65], -v[4:5]
	v_fmac_f64_e32 v[116:117], v[132:133], v[64:65]
	v_add_f64 v[2:3], v[2:3], v[4:5]
	s_waitcnt lgkmcnt(3)
	v_mul_f64 v[4:5], v[140:141], v[74:75]
	v_add_f64 v[110:111], v[110:111], v[116:117]
	v_mul_f64 v[116:117], v[138:139], v[74:75]
	v_fma_f64 v[4:5], v[138:139], v[76:77], -v[4:5]
	v_fmac_f64_e32 v[116:117], v[140:141], v[76:77]
	v_add_f64 v[2:3], v[2:3], v[4:5]
	s_waitcnt lgkmcnt(2)
	v_mul_f64 v[4:5], v[144:145], v[70:71]
	v_add_f64 v[110:111], v[110:111], v[116:117]
	v_mul_f64 v[116:117], v[142:143], v[70:71]
	ds_read_b128 v[154:157], v136 offset:1120
	ds_read_b128 v[158:161], v136 offset:1136
	v_fma_f64 v[4:5], v[142:143], v[72:73], -v[4:5]
	v_fmac_f64_e32 v[116:117], v[144:145], v[72:73]
	v_add_f64 v[2:3], v[2:3], v[4:5]
	s_waitcnt vmcnt(58) lgkmcnt(3)
	v_mul_f64 v[4:5], v[148:149], v[82:83]
	v_add_f64 v[110:111], v[110:111], v[116:117]
	v_mul_f64 v[116:117], v[146:147], v[82:83]
	s_waitcnt vmcnt(56)
	v_fma_f64 v[4:5], v[146:147], v[84:85], -v[4:5]
	v_fmac_f64_e32 v[116:117], v[148:149], v[84:85]
	v_add_f64 v[2:3], v[2:3], v[4:5]
	s_waitcnt lgkmcnt(2)
	v_mul_f64 v[4:5], v[152:153], v[78:79]
	v_add_f64 v[110:111], v[110:111], v[116:117]
	v_mul_f64 v[116:117], v[150:151], v[78:79]
	ds_read_b128 v[162:165], v136 offset:1152
	ds_read_b128 v[166:169], v136 offset:1168
	v_fma_f64 v[4:5], v[150:151], v[80:81], -v[4:5]
	v_fmac_f64_e32 v[116:117], v[152:153], v[80:81]
	v_add_f64 v[2:3], v[2:3], v[4:5]
	s_waitcnt vmcnt(50) lgkmcnt(3)
	v_mul_f64 v[4:5], v[156:157], v[90:91]
	v_add_f64 v[110:111], v[110:111], v[116:117]
	v_mul_f64 v[116:117], v[154:155], v[90:91]
	s_waitcnt vmcnt(48)
	;; [unrolled: 17-line block ×7, first 2 shown]
	v_fma_f64 v[4:5], v[202:203], v[220:221], -v[4:5]
	v_fmac_f64_e32 v[116:117], v[204:205], v[220:221]
	v_add_f64 v[2:3], v[2:3], v[4:5]
	s_waitcnt lgkmcnt(2)
	v_mul_f64 v[4:5], v[208:209], v[198:199]
	v_add_f64 v[110:111], v[110:111], v[116:117]
	v_mul_f64 v[116:117], v[206:207], v[198:199]
	v_fma_f64 v[4:5], v[206:207], v[200:201], -v[4:5]
	v_fmac_f64_e32 v[116:117], v[208:209], v[200:201]
	v_add_f64 v[2:3], v[2:3], v[4:5]
	s_waitcnt vmcnt(2) lgkmcnt(1)
	v_mul_f64 v[4:5], v[212:213], v[226:227]
	v_add_f64 v[110:111], v[110:111], v[116:117]
	v_mul_f64 v[116:117], v[210:211], v[226:227]
	s_waitcnt vmcnt(0)
	v_fma_f64 v[4:5], v[210:211], v[228:229], -v[4:5]
	v_fmac_f64_e32 v[116:117], v[212:213], v[228:229]
	v_add_f64 v[2:3], v[2:3], v[4:5]
	s_waitcnt lgkmcnt(0)
	v_mul_f64 v[4:5], v[216:217], v[222:223]
	v_add_f64 v[110:111], v[110:111], v[116:117]
	v_mul_f64 v[116:117], v[214:215], v[222:223]
	v_fma_f64 v[4:5], v[214:215], v[224:225], -v[4:5]
	v_fmac_f64_e32 v[116:117], v[216:217], v[224:225]
	v_add_f64 v[2:3], v[2:3], v[4:5]
	v_add_f64 v[110:111], v[110:111], v[116:117]
	v_add_f64 v[2:3], v[46:47], -v[2:3]
	v_add_f64 v[4:5], v[44:45], -v[110:111]
	buffer_store_dword v3, off, s[0:3], 0 offset:244
	buffer_store_dword v2, off, s[0:3], 0 offset:240
	;; [unrolled: 1-line block ×4, first 2 shown]
	s_and_saveexec_b64 s[4:5], vcc
	s_cbranch_execz .LBB105_239
; %bb.238:
	v_accvgpr_read_b32 v0, a112
	buffer_load_dword v2, v0, s[0:3], 0 offen
	buffer_load_dword v3, v0, s[0:3], 0 offen offset:4
	buffer_load_dword v4, v0, s[0:3], 0 offen offset:8
	;; [unrolled: 1-line block ×3, first 2 shown]
	v_accvgpr_read_b32 v0, a126
	buffer_store_dword v136, off, s[0:3], 0 offset:224
	buffer_store_dword v136, off, s[0:3], 0 offset:228
	;; [unrolled: 1-line block ×4, first 2 shown]
	s_waitcnt vmcnt(4)
	ds_write_b128 v0, v[2:5]
.LBB105_239:
	s_or_b64 exec, exec, s[4:5]
	s_waitcnt lgkmcnt(0)
	; wave barrier
	s_waitcnt lgkmcnt(0)
	buffer_load_dword v34, off, s[0:3], 0 offset:240
	buffer_load_dword v35, off, s[0:3], 0 offset:244
	;; [unrolled: 1-line block ×32, first 2 shown]
	ds_read_b128 v[30:33], v136 offset:896
	ds_read_b128 v[26:29], v136 offset:912
	;; [unrolled: 1-line block ×8, first 2 shown]
	buffer_load_dword v67, off, s[0:3], 0 offset:380
	buffer_load_dword v66, off, s[0:3], 0 offset:376
	;; [unrolled: 1-line block ×24, first 2 shown]
	v_cmp_lt_u32_e32 vcc, 12, v118
	s_waitcnt vmcnt(52) lgkmcnt(7)
	v_mul_f64 v[90:91], v[30:31], v[38:39]
	v_fmac_f64_e32 v[90:91], v[32:33], v[34:35]
	v_add_f64 v[90:91], v[90:91], 0
	v_mul_f64 v[32:33], v[32:33], v[38:39]
	s_waitcnt vmcnt(48) lgkmcnt(6)
	v_mul_f64 v[92:93], v[26:27], v[40:41]
	v_fmac_f64_e32 v[92:93], v[28:29], v[36:37]
	s_waitcnt vmcnt(46) lgkmcnt(5)
	v_mul_f64 v[94:95], v[22:23], v[42:43]
	v_add_f64 v[90:91], v[90:91], v[92:93]
	s_waitcnt vmcnt(44) lgkmcnt(4)
	v_mul_f64 v[96:97], v[18:19], v[48:49]
	v_fma_f64 v[30:31], v[30:31], v[34:35], -v[32:33]
	s_waitcnt vmcnt(42) lgkmcnt(1)
	v_mul_f64 v[124:125], v[2:3], v[50:51]
	v_mul_f64 v[28:29], v[28:29], v[40:41]
	s_waitcnt vmcnt(18) lgkmcnt(0)
	v_mul_f64 v[140:141], v[14:15], v[70:71]
	v_mul_f64 v[100:101], v[6:7], v[54:55]
	s_waitcnt vmcnt(16)
	v_fmac_f64_e32 v[140:141], v[16:17], v[72:73]
	v_mul_f64 v[98:99], v[10:11], v[56:57]
	v_add_f64 v[30:31], v[30:31], 0
	v_fmac_f64_e32 v[98:99], v[12:13], v[58:59]
	v_fma_f64 v[26:27], v[26:27], v[36:37], -v[28:29]
	v_fmac_f64_e32 v[94:95], v[24:25], v[64:65]
	v_add_f64 v[90:91], v[90:91], v[94:95]
	v_fmac_f64_e32 v[96:97], v[20:21], v[62:63]
	v_add_f64 v[90:91], v[90:91], v[96:97]
	;; [unrolled: 2-line block ×3, first 2 shown]
	v_add_f64 v[126:127], v[90:91], v[100:101]
	buffer_load_dword v91, off, s[0:3], 0 offset:476
	buffer_load_dword v90, off, s[0:3], 0 offset:472
	;; [unrolled: 1-line block ×56, first 2 shown]
	v_fmac_f64_e32 v[124:125], v[4:5], v[52:53]
	v_add_f64 v[138:139], v[126:127], v[124:125]
	ds_read_b128 v[124:127], v136 offset:1024
	buffer_load_dword v231, off, s[0:3], 0 offset:684
	buffer_load_dword v230, off, s[0:3], 0 offset:680
	;; [unrolled: 1-line block ×4, first 2 shown]
	v_add_f64 v[142:143], v[138:139], v[140:141]
	ds_read_b128 v[138:141], v136 offset:1040
	v_mul_f64 v[24:25], v[24:25], v[42:43]
	s_waitcnt lgkmcnt(1)
	v_mul_f64 v[144:145], v[124:125], v[66:67]
	v_fmac_f64_e32 v[144:145], v[126:127], v[68:69]
	v_add_f64 v[146:147], v[142:143], v[144:145]
	ds_read_b128 v[142:145], v136 offset:1056
	s_waitcnt vmcnt(62) lgkmcnt(1)
	v_mul_f64 v[148:149], v[138:139], v[78:79]
	v_fmac_f64_e32 v[148:149], v[140:141], v[80:81]
	v_add_f64 v[150:151], v[146:147], v[148:149]
	ds_read_b128 v[146:149], v136 offset:1072
	s_waitcnt lgkmcnt(1)
	v_mul_f64 v[152:153], v[142:143], v[74:75]
	v_fmac_f64_e32 v[152:153], v[144:145], v[76:77]
	v_add_f64 v[154:155], v[150:151], v[152:153]
	ds_read_b128 v[150:153], v136 offset:1088
	s_waitcnt lgkmcnt(1)
	v_mul_f64 v[156:157], v[146:147], v[86:87]
	s_waitcnt vmcnt(60)
	v_fmac_f64_e32 v[156:157], v[148:149], v[88:89]
	v_add_f64 v[158:159], v[154:155], v[156:157]
	ds_read_b128 v[154:157], v136 offset:1104
	s_waitcnt lgkmcnt(1)
	v_mul_f64 v[160:161], v[150:151], v[82:83]
	v_fmac_f64_e32 v[160:161], v[152:153], v[84:85]
	v_add_f64 v[162:163], v[158:159], v[160:161]
	ds_read_b128 v[158:161], v136 offset:1120
	v_add_f64 v[26:27], v[30:31], v[26:27]
	v_fma_f64 v[22:23], v[22:23], v[64:65], -v[24:25]
	s_waitcnt vmcnt(54) lgkmcnt(1)
	v_mul_f64 v[164:165], v[154:155], v[94:95]
	v_mul_f64 v[20:21], v[20:21], v[48:49]
	s_waitcnt vmcnt(52)
	v_fmac_f64_e32 v[164:165], v[156:157], v[96:97]
	v_add_f64 v[166:167], v[162:163], v[164:165]
	ds_read_b128 v[162:165], v136 offset:1136
	s_waitcnt lgkmcnt(1)
	v_mul_f64 v[168:169], v[158:159], v[90:91]
	v_fmac_f64_e32 v[168:169], v[160:161], v[92:93]
	v_add_f64 v[22:23], v[26:27], v[22:23]
	v_fma_f64 v[18:19], v[18:19], v[62:63], -v[20:21]
	v_mul_f64 v[12:13], v[12:13], v[56:57]
	v_add_f64 v[170:171], v[166:167], v[168:169]
	ds_read_b128 v[166:169], v136 offset:1152
	v_add_f64 v[18:19], v[22:23], v[18:19]
	v_fma_f64 v[10:11], v[10:11], v[58:59], -v[12:13]
	v_mul_f64 v[8:9], v[8:9], v[54:55]
	v_add_f64 v[10:11], v[18:19], v[10:11]
	v_fma_f64 v[6:7], v[6:7], v[60:61], -v[8:9]
	v_mul_f64 v[4:5], v[4:5], v[50:51]
	;; [unrolled: 3-line block ×3, first 2 shown]
	s_waitcnt vmcnt(46) lgkmcnt(1)
	v_mul_f64 v[172:173], v[162:163], v[102:103]
	v_add_f64 v[2:3], v[6:7], v[2:3]
	v_fma_f64 v[4:5], v[14:15], v[72:73], -v[4:5]
	s_waitcnt vmcnt(44)
	v_fmac_f64_e32 v[172:173], v[164:165], v[104:105]
	v_add_f64 v[2:3], v[2:3], v[4:5]
	v_mul_f64 v[4:5], v[126:127], v[66:67]
	v_add_f64 v[174:175], v[170:171], v[172:173]
	ds_read_b128 v[170:173], v136 offset:1168
	s_waitcnt lgkmcnt(1)
	v_mul_f64 v[176:177], v[166:167], v[98:99]
	v_fma_f64 v[4:5], v[124:125], v[68:69], -v[4:5]
	v_fmac_f64_e32 v[176:177], v[168:169], v[100:101]
	v_add_f64 v[2:3], v[2:3], v[4:5]
	v_mul_f64 v[4:5], v[140:141], v[78:79]
	v_add_f64 v[178:179], v[174:175], v[176:177]
	ds_read_b128 v[174:177], v136 offset:1184
	v_fma_f64 v[4:5], v[138:139], v[80:81], -v[4:5]
	v_add_f64 v[2:3], v[2:3], v[4:5]
	v_mul_f64 v[4:5], v[144:145], v[74:75]
	v_fma_f64 v[4:5], v[142:143], v[76:77], -v[4:5]
	s_waitcnt vmcnt(38) lgkmcnt(1)
	v_mul_f64 v[180:181], v[170:171], v[110:111]
	v_add_f64 v[2:3], v[2:3], v[4:5]
	v_mul_f64 v[4:5], v[148:149], v[86:87]
	s_waitcnt vmcnt(36)
	v_fmac_f64_e32 v[180:181], v[172:173], v[112:113]
	v_fma_f64 v[4:5], v[146:147], v[88:89], -v[4:5]
	v_add_f64 v[182:183], v[178:179], v[180:181]
	ds_read_b128 v[178:181], v136 offset:1200
	s_waitcnt lgkmcnt(1)
	v_mul_f64 v[184:185], v[174:175], v[106:107]
	v_add_f64 v[2:3], v[2:3], v[4:5]
	v_mul_f64 v[4:5], v[152:153], v[82:83]
	v_fmac_f64_e32 v[184:185], v[176:177], v[108:109]
	v_fma_f64 v[4:5], v[150:151], v[84:85], -v[4:5]
	v_add_f64 v[186:187], v[182:183], v[184:185]
	ds_read_b128 v[182:185], v136 offset:1216
	v_add_f64 v[2:3], v[2:3], v[4:5]
	v_mul_f64 v[4:5], v[156:157], v[94:95]
	v_fma_f64 v[4:5], v[154:155], v[96:97], -v[4:5]
	v_add_f64 v[2:3], v[2:3], v[4:5]
	v_mul_f64 v[4:5], v[160:161], v[90:91]
	s_waitcnt vmcnt(30) lgkmcnt(1)
	v_mul_f64 v[188:189], v[178:179], v[120:121]
	v_fma_f64 v[4:5], v[158:159], v[92:93], -v[4:5]
	s_waitcnt vmcnt(28)
	v_fmac_f64_e32 v[188:189], v[180:181], v[122:123]
	v_add_f64 v[2:3], v[2:3], v[4:5]
	v_mul_f64 v[4:5], v[164:165], v[102:103]
	v_add_f64 v[190:191], v[186:187], v[188:189]
	ds_read_b128 v[186:189], v136 offset:1232
	s_waitcnt lgkmcnt(1)
	v_mul_f64 v[192:193], v[182:183], v[114:115]
	v_fma_f64 v[4:5], v[162:163], v[104:105], -v[4:5]
	v_fmac_f64_e32 v[192:193], v[184:185], v[116:117]
	v_add_f64 v[2:3], v[2:3], v[4:5]
	v_mul_f64 v[4:5], v[168:169], v[98:99]
	v_add_f64 v[202:203], v[190:191], v[192:193]
	ds_read_b128 v[190:193], v136 offset:1248
	v_fma_f64 v[4:5], v[166:167], v[100:101], -v[4:5]
	v_add_f64 v[2:3], v[2:3], v[4:5]
	v_mul_f64 v[4:5], v[172:173], v[110:111]
	v_fma_f64 v[4:5], v[170:171], v[112:113], -v[4:5]
	s_waitcnt vmcnt(22) lgkmcnt(1)
	v_mul_f64 v[204:205], v[186:187], v[132:133]
	v_add_f64 v[2:3], v[2:3], v[4:5]
	v_mul_f64 v[4:5], v[176:177], v[106:107]
	s_waitcnt vmcnt(20)
	v_fmac_f64_e32 v[204:205], v[188:189], v[134:135]
	v_fma_f64 v[4:5], v[174:175], v[108:109], -v[4:5]
	v_add_f64 v[206:207], v[202:203], v[204:205]
	ds_read_b128 v[202:205], v136 offset:1264
	s_waitcnt lgkmcnt(1)
	v_mul_f64 v[208:209], v[190:191], v[128:129]
	v_add_f64 v[2:3], v[2:3], v[4:5]
	v_mul_f64 v[4:5], v[180:181], v[120:121]
	v_fmac_f64_e32 v[208:209], v[192:193], v[130:131]
	v_fma_f64 v[4:5], v[178:179], v[122:123], -v[4:5]
	v_add_f64 v[210:211], v[206:207], v[208:209]
	ds_read_b128 v[206:209], v136 offset:1280
	v_add_f64 v[2:3], v[2:3], v[4:5]
	v_mul_f64 v[4:5], v[184:185], v[114:115]
	v_fma_f64 v[4:5], v[182:183], v[116:117], -v[4:5]
	v_add_f64 v[2:3], v[2:3], v[4:5]
	v_mul_f64 v[4:5], v[188:189], v[132:133]
	s_waitcnt vmcnt(14) lgkmcnt(1)
	v_mul_f64 v[212:213], v[202:203], v[198:199]
	v_fma_f64 v[4:5], v[186:187], v[134:135], -v[4:5]
	s_waitcnt vmcnt(12)
	v_fmac_f64_e32 v[212:213], v[204:205], v[200:201]
	v_add_f64 v[2:3], v[2:3], v[4:5]
	v_mul_f64 v[4:5], v[192:193], v[128:129]
	v_add_f64 v[214:215], v[210:211], v[212:213]
	ds_read_b128 v[210:213], v136 offset:1296
	s_waitcnt lgkmcnt(1)
	v_mul_f64 v[216:217], v[206:207], v[194:195]
	v_fma_f64 v[4:5], v[190:191], v[130:131], -v[4:5]
	v_fmac_f64_e32 v[216:217], v[208:209], v[196:197]
	v_add_f64 v[2:3], v[2:3], v[4:5]
	v_mul_f64 v[4:5], v[204:205], v[198:199]
	v_add_f64 v[234:235], v[214:215], v[216:217]
	ds_read_b128 v[214:217], v136 offset:1312
	v_fma_f64 v[4:5], v[202:203], v[200:201], -v[4:5]
	v_add_f64 v[2:3], v[2:3], v[4:5]
	v_mul_f64 v[4:5], v[208:209], v[194:195]
	ds_read_b128 v[218:221], v136 offset:1328
	v_fma_f64 v[4:5], v[206:207], v[196:197], -v[4:5]
	v_add_f64 v[2:3], v[2:3], v[4:5]
	s_waitcnt vmcnt(6) lgkmcnt(2)
	v_mul_f64 v[4:5], v[212:213], v[226:227]
	v_mul_f64 v[236:237], v[210:211], v[226:227]
	s_waitcnt vmcnt(4)
	v_fma_f64 v[4:5], v[210:211], v[228:229], -v[4:5]
	v_fmac_f64_e32 v[236:237], v[212:213], v[228:229]
	v_add_f64 v[2:3], v[2:3], v[4:5]
	s_waitcnt lgkmcnt(1)
	v_mul_f64 v[4:5], v[216:217], v[222:223]
	v_add_f64 v[136:137], v[234:235], v[236:237]
	v_mul_f64 v[234:235], v[214:215], v[222:223]
	v_fma_f64 v[4:5], v[214:215], v[224:225], -v[4:5]
	v_fmac_f64_e32 v[234:235], v[216:217], v[224:225]
	v_add_f64 v[2:3], v[2:3], v[4:5]
	s_waitcnt vmcnt(2) lgkmcnt(0)
	v_mul_f64 v[4:5], v[220:221], v[230:231]
	v_add_f64 v[136:137], v[136:137], v[234:235]
	v_mul_f64 v[234:235], v[218:219], v[230:231]
	s_waitcnt vmcnt(0)
	v_fma_f64 v[4:5], v[218:219], v[232:233], -v[4:5]
	v_fmac_f64_e32 v[234:235], v[220:221], v[232:233]
	v_add_f64 v[2:3], v[2:3], v[4:5]
	v_add_f64 v[136:137], v[136:137], v[234:235]
	v_add_f64 v[2:3], v[46:47], -v[2:3]
	v_add_f64 v[4:5], v[44:45], -v[136:137]
	buffer_store_dword v3, off, s[0:3], 0 offset:228
	buffer_store_dword v2, off, s[0:3], 0 offset:224
	;; [unrolled: 1-line block ×4, first 2 shown]
	s_and_saveexec_b64 s[4:5], vcc
	s_cbranch_execz .LBB105_241
; %bb.240:
	v_accvgpr_read_b32 v0, a113
	buffer_load_dword v2, v0, s[0:3], 0 offen
	buffer_load_dword v3, v0, s[0:3], 0 offen offset:4
	buffer_load_dword v4, v0, s[0:3], 0 offen offset:8
	;; [unrolled: 1-line block ×3, first 2 shown]
	v_mov_b32_e32 v0, 0
	v_accvgpr_read_b32 v1, a126
	buffer_store_dword v0, off, s[0:3], 0 offset:208
	buffer_store_dword v0, off, s[0:3], 0 offset:212
	;; [unrolled: 1-line block ×4, first 2 shown]
	s_waitcnt vmcnt(4)
	ds_write_b128 v1, v[2:5]
.LBB105_241:
	s_or_b64 exec, exec, s[4:5]
	s_waitcnt lgkmcnt(0)
	; wave barrier
	s_waitcnt lgkmcnt(0)
	buffer_load_dword v38, off, s[0:3], 0 offset:224
	buffer_load_dword v39, off, s[0:3], 0 offset:228
	;; [unrolled: 1-line block ×48, first 2 shown]
	v_mov_b32_e32 v152, 0
	ds_read_b128 v[34:37], v152 offset:880
	ds_read_b128 v[30:33], v152 offset:896
	;; [unrolled: 1-line block ×9, first 2 shown]
	v_cmp_lt_u32_e32 vcc, 11, v118
	s_waitcnt vmcnt(44) lgkmcnt(8)
	v_mul_f64 v[86:87], v[34:35], v[42:43]
	v_fmac_f64_e32 v[86:87], v[36:37], v[38:39]
	v_add_f64 v[86:87], v[86:87], 0
	v_mul_f64 v[36:37], v[36:37], v[42:43]
	s_waitcnt vmcnt(40) lgkmcnt(7)
	v_mul_f64 v[88:89], v[30:31], v[44:45]
	v_fmac_f64_e32 v[88:89], v[32:33], v[40:41]
	s_waitcnt vmcnt(38) lgkmcnt(6)
	v_mul_f64 v[90:91], v[26:27], v[46:47]
	v_add_f64 v[86:87], v[86:87], v[88:89]
	s_waitcnt vmcnt(36) lgkmcnt(4)
	v_mul_f64 v[94:95], v[18:19], v[48:49]
	v_fma_f64 v[34:35], v[34:35], v[38:39], -v[36:37]
	s_waitcnt vmcnt(34)
	v_fmac_f64_e32 v[94:95], v[20:21], v[50:51]
	v_mul_f64 v[32:33], v[32:33], v[44:45]
	s_waitcnt vmcnt(32)
	v_mul_f64 v[92:93], v[22:23], v[52:53]
	v_add_f64 v[34:35], v[34:35], 0
	s_waitcnt vmcnt(30) lgkmcnt(2)
	v_mul_f64 v[98:99], v[10:11], v[54:55]
	v_fma_f64 v[30:31], v[30:31], v[40:41], -v[32:33]
	s_waitcnt vmcnt(28)
	v_fmac_f64_e32 v[98:99], v[12:13], v[56:57]
	v_add_f64 v[30:31], v[34:35], v[30:31]
	s_waitcnt vmcnt(26)
	v_mul_f64 v[96:97], v[14:15], v[58:59]
	v_mul_f64 v[20:21], v[20:21], v[48:49]
	v_fma_f64 v[18:19], v[18:19], v[50:51], -v[20:21]
	v_mul_f64 v[12:13], v[12:13], v[54:55]
	s_waitcnt vmcnt(22) lgkmcnt(1)
	v_mul_f64 v[110:111], v[6:7], v[68:69]
	v_fma_f64 v[10:11], v[10:11], v[56:57], -v[12:13]
	s_waitcnt vmcnt(20)
	v_fmac_f64_e32 v[90:91], v[28:29], v[76:77]
	v_add_f64 v[86:87], v[86:87], v[90:91]
	s_waitcnt vmcnt(18)
	v_fmac_f64_e32 v[92:93], v[24:25], v[74:75]
	v_add_f64 v[86:87], v[86:87], v[92:93]
	;; [unrolled: 3-line block ×3, first 2 shown]
	v_add_f64 v[86:87], v[86:87], v[96:97]
	v_add_f64 v[112:113], v[86:87], v[98:99]
	buffer_load_dword v87, off, s[0:3], 0 offset:428
	buffer_load_dword v86, off, s[0:3], 0 offset:424
	;; [unrolled: 1-line block ×72, first 2 shown]
	s_waitcnt vmcnt(62)
	v_fmac_f64_e32 v[110:111], v[8:9], v[70:71]
	v_add_f64 v[144:145], v[112:113], v[110:111]
	ds_read_b128 v[110:113], v152 offset:1024
	s_waitcnt lgkmcnt(1)
	v_mul_f64 v[146:147], v[2:3], v[64:65]
	v_fmac_f64_e32 v[146:147], v[4:5], v[66:67]
	v_add_f64 v[148:149], v[144:145], v[146:147]
	ds_read_b128 v[144:147], v152 offset:1040
	s_waitcnt lgkmcnt(1)
	v_mul_f64 v[150:151], v[110:111], v[82:83]
	;; [unrolled: 5-line block ×5, first 2 shown]
	v_fmac_f64_e32 v[164:165], v[156:157], v[88:89]
	v_add_f64 v[166:167], v[162:163], v[164:165]
	ds_read_b128 v[162:165], v152 offset:1104
	s_waitcnt vmcnt(58) lgkmcnt(1)
	v_mul_f64 v[168:169], v[158:159], v[98:99]
	s_waitcnt vmcnt(56)
	v_fmac_f64_e32 v[168:169], v[160:161], v[100:101]
	v_add_f64 v[170:171], v[166:167], v[168:169]
	ds_read_b128 v[166:169], v152 offset:1120
	s_waitcnt lgkmcnt(1)
	v_mul_f64 v[172:173], v[162:163], v[94:95]
	v_fmac_f64_e32 v[172:173], v[164:165], v[96:97]
	v_mul_f64 v[28:29], v[28:29], v[46:47]
	v_add_f64 v[174:175], v[170:171], v[172:173]
	ds_read_b128 v[170:173], v152 offset:1136
	s_waitcnt vmcnt(50) lgkmcnt(1)
	v_mul_f64 v[176:177], v[166:167], v[106:107]
	v_fma_f64 v[26:27], v[26:27], v[76:77], -v[28:29]
	v_mul_f64 v[24:25], v[24:25], v[52:53]
	s_waitcnt vmcnt(48)
	v_fmac_f64_e32 v[176:177], v[168:169], v[108:109]
	v_add_f64 v[26:27], v[30:31], v[26:27]
	v_fma_f64 v[22:23], v[22:23], v[74:75], -v[24:25]
	v_add_f64 v[178:179], v[174:175], v[176:177]
	ds_read_b128 v[174:177], v152 offset:1152
	v_add_f64 v[22:23], v[26:27], v[22:23]
	v_mul_f64 v[16:17], v[16:17], v[58:59]
	v_add_f64 v[18:19], v[22:23], v[18:19]
	v_fma_f64 v[14:15], v[14:15], v[72:73], -v[16:17]
	v_add_f64 v[14:15], v[18:19], v[14:15]
	v_mul_f64 v[8:9], v[8:9], v[68:69]
	s_waitcnt lgkmcnt(1)
	v_mul_f64 v[180:181], v[170:171], v[102:103]
	v_add_f64 v[10:11], v[14:15], v[10:11]
	v_fma_f64 v[6:7], v[6:7], v[70:71], -v[8:9]
	v_mul_f64 v[4:5], v[4:5], v[64:65]
	v_fmac_f64_e32 v[180:181], v[172:173], v[104:105]
	v_add_f64 v[6:7], v[10:11], v[6:7]
	v_fma_f64 v[2:3], v[2:3], v[66:67], -v[4:5]
	v_mul_f64 v[4:5], v[112:113], v[82:83]
	v_add_f64 v[182:183], v[178:179], v[180:181]
	ds_read_b128 v[178:181], v152 offset:1168
	s_waitcnt vmcnt(42) lgkmcnt(1)
	v_mul_f64 v[184:185], v[174:175], v[120:121]
	v_add_f64 v[2:3], v[6:7], v[2:3]
	v_fma_f64 v[4:5], v[110:111], v[84:85], -v[4:5]
	s_waitcnt vmcnt(40)
	v_fmac_f64_e32 v[184:185], v[176:177], v[122:123]
	v_add_f64 v[2:3], v[2:3], v[4:5]
	v_mul_f64 v[4:5], v[146:147], v[78:79]
	v_add_f64 v[186:187], v[182:183], v[184:185]
	ds_read_b128 v[182:185], v152 offset:1184
	v_fma_f64 v[4:5], v[144:145], v[80:81], -v[4:5]
	v_add_f64 v[2:3], v[2:3], v[4:5]
	v_mul_f64 v[4:5], v[150:151], v[90:91]
	v_fma_f64 v[4:5], v[148:149], v[92:93], -v[4:5]
	s_waitcnt lgkmcnt(1)
	v_mul_f64 v[188:189], v[178:179], v[114:115]
	v_add_f64 v[2:3], v[2:3], v[4:5]
	v_mul_f64 v[4:5], v[156:157], v[86:87]
	v_fmac_f64_e32 v[188:189], v[180:181], v[116:117]
	v_fma_f64 v[4:5], v[154:155], v[88:89], -v[4:5]
	v_add_f64 v[190:191], v[186:187], v[188:189]
	ds_read_b128 v[186:189], v152 offset:1200
	s_waitcnt vmcnt(34) lgkmcnt(1)
	v_mul_f64 v[192:193], v[182:183], v[128:129]
	v_add_f64 v[2:3], v[2:3], v[4:5]
	v_mul_f64 v[4:5], v[160:161], v[98:99]
	s_waitcnt vmcnt(32)
	v_fmac_f64_e32 v[192:193], v[184:185], v[130:131]
	v_fma_f64 v[4:5], v[158:159], v[100:101], -v[4:5]
	v_add_f64 v[202:203], v[190:191], v[192:193]
	ds_read_b128 v[190:193], v152 offset:1216
	v_add_f64 v[2:3], v[2:3], v[4:5]
	v_mul_f64 v[4:5], v[164:165], v[94:95]
	v_fma_f64 v[4:5], v[162:163], v[96:97], -v[4:5]
	v_add_f64 v[2:3], v[2:3], v[4:5]
	v_mul_f64 v[4:5], v[168:169], v[106:107]
	s_waitcnt lgkmcnt(1)
	v_mul_f64 v[204:205], v[186:187], v[124:125]
	v_fma_f64 v[4:5], v[166:167], v[108:109], -v[4:5]
	v_fmac_f64_e32 v[204:205], v[188:189], v[126:127]
	v_add_f64 v[2:3], v[2:3], v[4:5]
	v_mul_f64 v[4:5], v[172:173], v[102:103]
	v_add_f64 v[206:207], v[202:203], v[204:205]
	ds_read_b128 v[202:205], v152 offset:1232
	s_waitcnt vmcnt(26) lgkmcnt(1)
	v_mul_f64 v[208:209], v[190:191], v[136:137]
	v_fma_f64 v[4:5], v[170:171], v[104:105], -v[4:5]
	s_waitcnt vmcnt(24)
	v_fmac_f64_e32 v[208:209], v[192:193], v[138:139]
	v_add_f64 v[2:3], v[2:3], v[4:5]
	v_mul_f64 v[4:5], v[176:177], v[120:121]
	v_add_f64 v[210:211], v[206:207], v[208:209]
	ds_read_b128 v[206:209], v152 offset:1248
	v_fma_f64 v[4:5], v[174:175], v[122:123], -v[4:5]
	v_add_f64 v[2:3], v[2:3], v[4:5]
	v_mul_f64 v[4:5], v[180:181], v[114:115]
	v_fma_f64 v[4:5], v[178:179], v[116:117], -v[4:5]
	s_waitcnt lgkmcnt(1)
	v_mul_f64 v[212:213], v[202:203], v[132:133]
	v_add_f64 v[2:3], v[2:3], v[4:5]
	v_mul_f64 v[4:5], v[184:185], v[128:129]
	v_fmac_f64_e32 v[212:213], v[204:205], v[134:135]
	v_fma_f64 v[4:5], v[182:183], v[130:131], -v[4:5]
	v_add_f64 v[214:215], v[210:211], v[212:213]
	ds_read_b128 v[210:213], v152 offset:1264
	s_waitcnt vmcnt(18) lgkmcnt(1)
	v_mul_f64 v[216:217], v[206:207], v[194:195]
	v_add_f64 v[2:3], v[2:3], v[4:5]
	v_mul_f64 v[4:5], v[188:189], v[124:125]
	s_waitcnt vmcnt(16)
	v_fmac_f64_e32 v[216:217], v[208:209], v[196:197]
	v_fma_f64 v[4:5], v[186:187], v[126:127], -v[4:5]
	v_add_f64 v[218:219], v[214:215], v[216:217]
	ds_read_b128 v[214:217], v152 offset:1280
	v_add_f64 v[2:3], v[2:3], v[4:5]
	v_mul_f64 v[4:5], v[192:193], v[136:137]
	v_fma_f64 v[4:5], v[190:191], v[138:139], -v[4:5]
	v_add_f64 v[2:3], v[2:3], v[4:5]
	v_mul_f64 v[4:5], v[204:205], v[132:133]
	s_waitcnt lgkmcnt(1)
	v_mul_f64 v[220:221], v[210:211], v[140:141]
	v_fma_f64 v[4:5], v[202:203], v[134:135], -v[4:5]
	v_fmac_f64_e32 v[220:221], v[212:213], v[142:143]
	v_add_f64 v[2:3], v[2:3], v[4:5]
	v_mul_f64 v[4:5], v[208:209], v[194:195]
	v_add_f64 v[222:223], v[218:219], v[220:221]
	ds_read_b128 v[218:221], v152 offset:1296
	s_waitcnt vmcnt(10) lgkmcnt(1)
	v_mul_f64 v[224:225], v[214:215], v[230:231]
	v_fma_f64 v[4:5], v[206:207], v[196:197], -v[4:5]
	s_waitcnt vmcnt(8)
	v_fmac_f64_e32 v[224:225], v[216:217], v[232:233]
	v_add_f64 v[2:3], v[2:3], v[4:5]
	v_mul_f64 v[4:5], v[212:213], v[140:141]
	v_add_f64 v[242:243], v[222:223], v[224:225]
	ds_read_b128 v[222:225], v152 offset:1312
	ds_read_b128 v[226:229], v152 offset:1328
	v_fma_f64 v[4:5], v[210:211], v[142:143], -v[4:5]
	v_add_f64 v[2:3], v[2:3], v[4:5]
	v_mul_f64 v[4:5], v[216:217], v[230:231]
	v_fma_f64 v[4:5], v[214:215], v[232:233], -v[4:5]
	v_add_f64 v[2:3], v[2:3], v[4:5]
	s_waitcnt lgkmcnt(2)
	v_mul_f64 v[4:5], v[220:221], v[198:199]
	v_mul_f64 v[244:245], v[218:219], v[198:199]
	v_fma_f64 v[4:5], v[218:219], v[200:201], -v[4:5]
	v_fmac_f64_e32 v[244:245], v[220:221], v[200:201]
	v_add_f64 v[2:3], v[2:3], v[4:5]
	s_waitcnt vmcnt(2) lgkmcnt(1)
	v_mul_f64 v[4:5], v[224:225], v[238:239]
	v_add_f64 v[242:243], v[242:243], v[244:245]
	v_mul_f64 v[244:245], v[222:223], v[238:239]
	s_waitcnt vmcnt(0)
	v_fma_f64 v[4:5], v[222:223], v[240:241], -v[4:5]
	v_fmac_f64_e32 v[244:245], v[224:225], v[240:241]
	v_add_f64 v[2:3], v[2:3], v[4:5]
	s_waitcnt lgkmcnt(0)
	v_mul_f64 v[4:5], v[228:229], v[234:235]
	v_add_f64 v[242:243], v[242:243], v[244:245]
	v_mul_f64 v[244:245], v[226:227], v[234:235]
	v_fma_f64 v[4:5], v[226:227], v[236:237], -v[4:5]
	v_fmac_f64_e32 v[244:245], v[228:229], v[236:237]
	v_add_f64 v[2:3], v[2:3], v[4:5]
	v_add_f64 v[242:243], v[242:243], v[244:245]
	v_add_f64 v[2:3], v[62:63], -v[2:3]
	v_add_f64 v[4:5], v[60:61], -v[242:243]
	buffer_store_dword v3, off, s[0:3], 0 offset:212
	buffer_store_dword v2, off, s[0:3], 0 offset:208
	;; [unrolled: 1-line block ×4, first 2 shown]
	s_and_saveexec_b64 s[4:5], vcc
	s_cbranch_execz .LBB105_243
; %bb.242:
	v_accvgpr_read_b32 v0, a114
	buffer_load_dword v2, v0, s[0:3], 0 offen
	buffer_load_dword v3, v0, s[0:3], 0 offen offset:4
	buffer_load_dword v4, v0, s[0:3], 0 offen offset:8
	buffer_load_dword v5, v0, s[0:3], 0 offen offset:12
	v_accvgpr_read_b32 v0, a126
	buffer_store_dword v152, off, s[0:3], 0 offset:192
	buffer_store_dword v152, off, s[0:3], 0 offset:196
	;; [unrolled: 1-line block ×4, first 2 shown]
	s_waitcnt vmcnt(4)
	ds_write_b128 v0, v[2:5]
.LBB105_243:
	s_or_b64 exec, exec, s[4:5]
	s_waitcnt lgkmcnt(0)
	; wave barrier
	s_waitcnt lgkmcnt(0)
	buffer_load_dword v48, off, s[0:3], 0 offset:208
	buffer_load_dword v49, off, s[0:3], 0 offset:212
	;; [unrolled: 1-line block ×40, first 2 shown]
	ds_read_b128 v[38:41], v152 offset:864
	ds_read_b128 v[34:37], v152 offset:880
	;; [unrolled: 1-line block ×10, first 2 shown]
	buffer_load_dword v83, off, s[0:3], 0 offset:380
	buffer_load_dword v82, off, s[0:3], 0 offset:376
	;; [unrolled: 1-line block ×8, first 2 shown]
	v_cmp_lt_u32_e32 vcc, 10, v118
	s_waitcnt vmcnt(44) lgkmcnt(9)
	v_mul_f64 v[90:91], v[38:39], v[50:51]
	v_fmac_f64_e32 v[90:91], v[40:41], v[48:49]
	v_add_f64 v[90:91], v[90:91], 0
	v_mul_f64 v[40:41], v[40:41], v[50:51]
	s_waitcnt vmcnt(40) lgkmcnt(8)
	v_mul_f64 v[92:93], v[34:35], v[44:45]
	v_fmac_f64_e32 v[92:93], v[36:37], v[42:43]
	s_waitcnt vmcnt(38) lgkmcnt(7)
	v_mul_f64 v[94:95], v[30:31], v[46:47]
	v_add_f64 v[90:91], v[90:91], v[92:93]
	s_waitcnt vmcnt(36) lgkmcnt(5)
	v_mul_f64 v[98:99], v[22:23], v[52:53]
	v_mul_f64 v[36:37], v[36:37], v[44:45]
	s_waitcnt vmcnt(34)
	v_fmac_f64_e32 v[98:99], v[24:25], v[54:55]
	v_fma_f64 v[34:35], v[34:35], v[42:43], -v[36:37]
	s_waitcnt vmcnt(32)
	v_mul_f64 v[96:97], v[26:27], v[56:57]
	v_mul_f64 v[24:25], v[24:25], v[52:53]
	s_waitcnt vmcnt(30) lgkmcnt(4)
	v_mul_f64 v[100:101], v[18:19], v[62:63]
	v_fma_f64 v[22:23], v[22:23], v[54:55], -v[24:25]
	s_waitcnt vmcnt(28) lgkmcnt(1)
	v_mul_f64 v[124:125], v[2:3], v[64:65]
	s_waitcnt vmcnt(25)
	v_mul_f64 v[104:105], v[6:7], v[68:69]
	s_waitcnt vmcnt(23)
	;; [unrolled: 2-line block ×3, first 2 shown]
	v_fmac_f64_e32 v[102:103], v[12:13], v[72:73]
	v_mul_f64 v[12:13], v[12:13], v[70:71]
	s_waitcnt vmcnt(19)
	v_fmac_f64_e32 v[94:95], v[32:33], v[80:81]
	v_add_f64 v[90:91], v[90:91], v[94:95]
	s_waitcnt vmcnt(17)
	v_fmac_f64_e32 v[96:97], v[28:29], v[78:79]
	v_add_f64 v[90:91], v[90:91], v[96:97]
	;; [unrolled: 3-line block ×3, first 2 shown]
	v_add_f64 v[90:91], v[90:91], v[100:101]
	s_waitcnt vmcnt(13)
	v_fmac_f64_e32 v[104:105], v[8:9], v[74:75]
	v_add_f64 v[90:91], v[90:91], v[102:103]
	v_add_f64 v[126:127], v[90:91], v[104:105]
	buffer_load_dword v91, off, s[0:3], 0 offset:412
	buffer_load_dword v90, off, s[0:3], 0 offset:408
	;; [unrolled: 1-line block ×72, first 2 shown]
	s_waitcnt vmcnt(62)
	v_fmac_f64_e32 v[124:125], v[4:5], v[66:67]
	v_add_f64 v[154:155], v[126:127], v[124:125]
	ds_read_b128 v[124:127], v152 offset:1024
	buffer_load_dword v239, off, s[0:3], 0 offset:684
	buffer_load_dword v238, off, s[0:3], 0 offset:680
	;; [unrolled: 1-line block ×4, first 2 shown]
	s_waitcnt lgkmcnt(1)
	v_mul_f64 v[156:157], v[14:15], v[86:87]
	v_fmac_f64_e32 v[156:157], v[16:17], v[88:89]
	v_add_f64 v[158:159], v[154:155], v[156:157]
	ds_read_b128 v[154:157], v152 offset:1040
	s_waitcnt lgkmcnt(1)
	v_mul_f64 v[160:161], v[124:125], v[82:83]
	v_fmac_f64_e32 v[160:161], v[126:127], v[84:85]
	v_add_f64 v[162:163], v[158:159], v[160:161]
	ds_read_b128 v[158:161], v152 offset:1056
	v_mul_f64 v[32:33], v[32:33], v[46:47]
	s_waitcnt lgkmcnt(1)
	v_mul_f64 v[164:165], v[154:155], v[94:95]
	v_fma_f64 v[30:31], v[30:31], v[80:81], -v[32:33]
	v_fmac_f64_e32 v[164:165], v[156:157], v[96:97]
	v_add_f64 v[166:167], v[162:163], v[164:165]
	ds_read_b128 v[162:165], v152 offset:1072
	s_waitcnt lgkmcnt(1)
	v_mul_f64 v[168:169], v[158:159], v[90:91]
	v_fmac_f64_e32 v[168:169], v[160:161], v[92:93]
	v_add_f64 v[170:171], v[166:167], v[168:169]
	ds_read_b128 v[166:169], v152 offset:1088
	s_waitcnt vmcnt(62) lgkmcnt(1)
	v_mul_f64 v[172:173], v[162:163], v[102:103]
	s_waitcnt vmcnt(60)
	v_fmac_f64_e32 v[172:173], v[164:165], v[104:105]
	v_add_f64 v[174:175], v[170:171], v[172:173]
	ds_read_b128 v[170:173], v152 offset:1104
	s_waitcnt lgkmcnt(1)
	v_mul_f64 v[176:177], v[166:167], v[98:99]
	v_fmac_f64_e32 v[176:177], v[168:169], v[100:101]
	v_add_f64 v[178:179], v[174:175], v[176:177]
	ds_read_b128 v[174:177], v152 offset:1120
	s_waitcnt vmcnt(54) lgkmcnt(1)
	v_mul_f64 v[180:181], v[170:171], v[110:111]
	s_waitcnt vmcnt(52)
	;; [unrolled: 11-line block ×7, first 2 shown]
	v_fmac_f64_e32 v[228:229], v[220:221], v[200:201]
	v_add_f64 v[242:243], v[226:227], v[228:229]
	ds_read_b128 v[226:229], v152 offset:1296
	s_waitcnt lgkmcnt(1)
	v_mul_f64 v[244:245], v[222:223], v[194:195]
	v_fmac_f64_e32 v[244:245], v[224:225], v[196:197]
	v_add_f64 v[242:243], v[242:243], v[244:245]
	v_fma_f64 v[244:245], v[38:39], v[48:49], -v[40:41]
	ds_read_b128 v[38:41], v152 offset:1312
	ds_read_b128 v[48:51], v152 offset:1328
	s_waitcnt vmcnt(6) lgkmcnt(2)
	v_mul_f64 v[246:247], v[226:227], v[234:235]
	s_waitcnt vmcnt(4)
	v_fmac_f64_e32 v[246:247], v[228:229], v[236:237]
	v_add_f64 v[152:153], v[242:243], v[246:247]
	s_waitcnt lgkmcnt(1)
	v_mul_f64 v[242:243], v[38:39], v[230:231]
	v_fmac_f64_e32 v[242:243], v[40:41], v[232:233]
	v_add_f64 v[152:153], v[152:153], v[242:243]
	s_waitcnt vmcnt(2) lgkmcnt(0)
	v_mul_f64 v[242:243], v[48:49], v[238:239]
	s_waitcnt vmcnt(0)
	v_fmac_f64_e32 v[242:243], v[50:51], v[240:241]
	v_add_f64 v[152:153], v[152:153], v[242:243]
	v_add_f64 v[242:243], v[244:245], 0
	;; [unrolled: 1-line block ×3, first 2 shown]
	v_mul_f64 v[28:29], v[28:29], v[56:57]
	v_add_f64 v[30:31], v[34:35], v[30:31]
	v_fma_f64 v[26:27], v[26:27], v[78:79], -v[28:29]
	v_add_f64 v[26:27], v[30:31], v[26:27]
	v_mul_f64 v[20:21], v[20:21], v[62:63]
	v_add_f64 v[22:23], v[26:27], v[22:23]
	v_fma_f64 v[18:19], v[18:19], v[76:77], -v[20:21]
	v_add_f64 v[18:19], v[22:23], v[18:19]
	v_fma_f64 v[10:11], v[10:11], v[72:73], -v[12:13]
	v_mul_f64 v[8:9], v[8:9], v[68:69]
	v_add_f64 v[10:11], v[18:19], v[10:11]
	v_fma_f64 v[6:7], v[6:7], v[74:75], -v[8:9]
	v_mul_f64 v[4:5], v[4:5], v[64:65]
	;; [unrolled: 3-line block ×3, first 2 shown]
	v_add_f64 v[2:3], v[6:7], v[2:3]
	v_fma_f64 v[4:5], v[14:15], v[88:89], -v[4:5]
	v_add_f64 v[2:3], v[2:3], v[4:5]
	v_mul_f64 v[4:5], v[126:127], v[82:83]
	v_fma_f64 v[4:5], v[124:125], v[84:85], -v[4:5]
	v_add_f64 v[2:3], v[2:3], v[4:5]
	v_mul_f64 v[4:5], v[156:157], v[94:95]
	;; [unrolled: 3-line block ×20, first 2 shown]
	v_fma_f64 v[4:5], v[48:49], v[240:241], -v[4:5]
	v_add_f64 v[2:3], v[2:3], v[4:5]
	v_add_f64 v[2:3], v[60:61], -v[2:3]
	v_add_f64 v[4:5], v[58:59], -v[152:153]
	buffer_store_dword v3, off, s[0:3], 0 offset:196
	buffer_store_dword v2, off, s[0:3], 0 offset:192
	;; [unrolled: 1-line block ×4, first 2 shown]
	s_and_saveexec_b64 s[4:5], vcc
	s_cbranch_execz .LBB105_245
; %bb.244:
	v_accvgpr_read_b32 v0, a115
	buffer_load_dword v2, v0, s[0:3], 0 offen
	buffer_load_dword v3, v0, s[0:3], 0 offen offset:4
	buffer_load_dword v4, v0, s[0:3], 0 offen offset:8
	;; [unrolled: 1-line block ×3, first 2 shown]
	v_mov_b32_e32 v0, 0
	v_accvgpr_read_b32 v1, a126
	buffer_store_dword v0, off, s[0:3], 0 offset:176
	buffer_store_dword v0, off, s[0:3], 0 offset:180
	;; [unrolled: 1-line block ×4, first 2 shown]
	s_waitcnt vmcnt(4)
	ds_write_b128 v1, v[2:5]
.LBB105_245:
	s_or_b64 exec, exec, s[4:5]
	s_waitcnt lgkmcnt(0)
	; wave barrier
	s_waitcnt lgkmcnt(0)
	buffer_load_dword v106, off, s[0:3], 0 offset:192
	buffer_load_dword v107, off, s[0:3], 0 offset:196
	;; [unrolled: 1-line block ×49, first 2 shown]
	v_mov_b32_e32 v254, 0
	ds_read_b128 v[110:113], v254 offset:848
	ds_read_b128 v[250:253], v254 offset:864
	;; [unrolled: 1-line block ×10, first 2 shown]
	buffer_load_dword v160, off, s[0:3], 0 offset:384
	buffer_load_dword v175, off, s[0:3], 0 offset:380
	;; [unrolled: 1-line block ×69, first 2 shown]
	v_cmp_lt_u32_e32 vcc, 9, v118
	s_waitcnt vmcnt(62) lgkmcnt(9)
	v_mul_f64 v[34:35], v[110:111], v[108:109]
	v_fmac_f64_e32 v[34:35], v[112:113], v[106:107]
	v_add_f64 v[34:35], v[34:35], 0
	v_mul_f64 v[108:109], v[112:113], v[108:109]
	s_waitcnt lgkmcnt(8)
	v_mul_f64 v[36:37], v[250:251], v[116:117]
	v_fmac_f64_e32 v[36:37], v[252:253], v[114:115]
	s_waitcnt lgkmcnt(7)
	v_mul_f64 v[38:39], v[30:31], v[120:121]
	v_add_f64 v[34:35], v[34:35], v[36:37]
	s_waitcnt lgkmcnt(5)
	v_mul_f64 v[42:43], v[22:23], v[122:123]
	v_mul_f64 v[116:117], v[252:253], v[116:117]
	v_fmac_f64_e32 v[42:43], v[24:25], v[124:125]
	v_fma_f64 v[248:249], v[110:111], v[106:107], -v[108:109]
	v_mul_f64 v[40:41], v[26:27], v[126:127]
	v_fma_f64 v[250:251], v[250:251], v[114:115], -v[116:117]
	s_waitcnt lgkmcnt(3)
	v_mul_f64 v[46:47], v[14:15], v[128:129]
	v_mul_f64 v[24:25], v[24:25], v[122:123]
	v_fmac_f64_e32 v[46:47], v[16:17], v[130:131]
	v_fma_f64 v[22:23], v[22:23], v[124:125], -v[24:25]
	v_mul_f64 v[44:45], v[18:19], v[132:133]
	v_mul_f64 v[16:17], v[16:17], v[128:129]
	s_waitcnt lgkmcnt(1)
	v_mul_f64 v[50:51], v[6:7], v[134:135]
	v_fma_f64 v[14:15], v[14:15], v[130:131], -v[16:17]
	v_fmac_f64_e32 v[50:51], v[8:9], v[136:137]
	v_mul_f64 v[8:9], v[8:9], v[134:135]
	v_mul_f64 v[48:49], v[10:11], v[142:143]
	v_fma_f64 v[6:7], v[6:7], v[136:137], -v[8:9]
	s_waitcnt lgkmcnt(0)
	v_mul_f64 v[52:53], v[2:3], v[138:139]
	v_fmac_f64_e32 v[38:39], v[32:33], v[154:155]
	v_add_f64 v[34:35], v[34:35], v[38:39]
	v_fmac_f64_e32 v[40:41], v[28:29], v[152:153]
	v_add_f64 v[34:35], v[34:35], v[40:41]
	;; [unrolled: 2-line block ×3, first 2 shown]
	v_add_f64 v[34:35], v[34:35], v[44:45]
	v_fmac_f64_e32 v[48:49], v[12:13], v[148:149]
	v_add_f64 v[34:35], v[34:35], v[46:47]
	v_add_f64 v[34:35], v[34:35], v[48:49]
	v_fmac_f64_e32 v[52:53], v[4:5], v[146:147]
	v_add_f64 v[34:35], v[34:35], v[50:51]
	v_add_f64 v[42:43], v[34:35], v[52:53]
	ds_read_b128 v[38:41], v254 offset:1008
	ds_read_b128 v[34:37], v254 offset:1024
	buffer_load_dword v231, off, s[0:3], 0 offset:684
	buffer_load_dword v230, off, s[0:3], 0 offset:680
	;; [unrolled: 1-line block ×8, first 2 shown]
	ds_read_b128 v[110:113], v254 offset:1296
	ds_read_b128 v[106:109], v254 offset:1312
	s_waitcnt lgkmcnt(3)
	v_mul_f64 v[44:45], v[38:39], v[144:145]
	v_fmac_f64_e32 v[44:45], v[40:41], v[156:157]
	v_add_f64 v[46:47], v[42:43], v[44:45]
	ds_read_b128 v[42:45], v254 offset:1040
	s_waitcnt lgkmcnt(3)
	v_mul_f64 v[48:49], v[34:35], v[174:175]
	v_fmac_f64_e32 v[48:49], v[36:37], v[178:179]
	v_add_f64 v[50:51], v[46:47], v[48:49]
	;; [unrolled: 5-line block ×3, first 2 shown]
	ds_read_b128 v[50:53], v254 offset:1072
	s_waitcnt vmcnt(62) lgkmcnt(1)
	v_mul_f64 v[56:57], v[46:47], v[182:183]
	v_fmac_f64_e32 v[56:57], v[48:49], v[186:187]
	v_add_f64 v[58:59], v[54:55], v[56:57]
	ds_read_b128 v[54:57], v254 offset:1088
	s_waitcnt lgkmcnt(1)
	v_mul_f64 v[60:61], v[50:51], v[162:163]
	v_fmac_f64_e32 v[60:61], v[52:53], v[164:165]
	v_add_f64 v[62:63], v[58:59], v[60:61]
	ds_read_b128 v[58:61], v254 offset:1104
	s_waitcnt vmcnt(58) lgkmcnt(1)
	v_mul_f64 v[64:65], v[54:55], v[190:191]
	s_waitcnt vmcnt(56)
	v_fmac_f64_e32 v[64:65], v[56:57], v[202:203]
	v_add_f64 v[66:67], v[62:63], v[64:65]
	ds_read_b128 v[62:65], v254 offset:1120
	s_waitcnt lgkmcnt(1)
	v_mul_f64 v[68:69], v[58:59], v[166:167]
	v_fmac_f64_e32 v[68:69], v[60:61], v[168:169]
	v_add_f64 v[70:71], v[66:67], v[68:69]
	ds_read_b128 v[66:69], v254 offset:1136
	s_waitcnt vmcnt(50) lgkmcnt(1)
	v_mul_f64 v[72:73], v[62:63], v[206:207]
	s_waitcnt vmcnt(48)
	;; [unrolled: 11-line block ×5, first 2 shown]
	v_fmac_f64_e32 v[96:97], v[88:89], v[228:229]
	v_add_f64 v[98:99], v[94:95], v[96:97]
	ds_read_b128 v[94:97], v254 offset:1248
	s_waitcnt lgkmcnt(1)
	v_mul_f64 v[100:101], v[90:91], v[192:193]
	v_fmac_f64_e32 v[100:101], v[92:93], v[204:205]
	v_add_f64 v[194:195], v[98:99], v[100:101]
	ds_read_b128 v[98:101], v254 offset:1264
	ds_read_b128 v[102:105], v254 offset:1280
	;; [unrolled: 1-line block ×3, first 2 shown]
	buffer_load_dword v252, off, s[0:3], 0 offset:184
	buffer_load_dword v253, off, s[0:3], 0 offset:188
	s_waitcnt vmcnt(20) lgkmcnt(3)
	v_mul_f64 v[196:197], v[94:95], v[232:233]
	s_waitcnt vmcnt(18)
	v_fmac_f64_e32 v[196:197], v[96:97], v[236:237]
	v_add_f64 v[194:195], v[194:195], v[196:197]
	s_waitcnt lgkmcnt(2)
	v_mul_f64 v[196:197], v[98:99], v[208:209]
	v_fmac_f64_e32 v[196:197], v[100:101], v[212:213]
	v_add_f64 v[194:195], v[194:195], v[196:197]
	s_waitcnt vmcnt(12) lgkmcnt(1)
	v_mul_f64 v[196:197], v[102:103], v[238:239]
	s_waitcnt vmcnt(10)
	v_fmac_f64_e32 v[196:197], v[104:105], v[240:241]
	v_add_f64 v[194:195], v[194:195], v[196:197]
	v_mul_f64 v[196:197], v[110:111], v[216:217]
	v_fmac_f64_e32 v[196:197], v[112:113], v[220:221]
	v_add_f64 v[194:195], v[194:195], v[196:197]
	s_waitcnt vmcnt(4)
	v_mul_f64 v[196:197], v[106:107], v[242:243]
	v_mul_f64 v[32:33], v[32:33], v[120:121]
	s_waitcnt vmcnt(2)
	v_fmac_f64_e32 v[196:197], v[108:109], v[244:245]
	v_add_f64 v[194:195], v[194:195], v[196:197]
	s_waitcnt lgkmcnt(0)
	v_mul_f64 v[196:197], v[114:115], v[230:231]
	v_fmac_f64_e32 v[196:197], v[116:117], v[234:235]
	v_add_f64 v[246:247], v[194:195], v[196:197]
	v_add_f64 v[194:195], v[248:249], 0
	;; [unrolled: 1-line block ×3, first 2 shown]
	v_fma_f64 v[30:31], v[30:31], v[154:155], -v[32:33]
	v_mul_f64 v[28:29], v[28:29], v[126:127]
	v_add_f64 v[30:31], v[194:195], v[30:31]
	v_fma_f64 v[26:27], v[26:27], v[152:153], -v[28:29]
	v_add_f64 v[26:27], v[30:31], v[26:27]
	v_mul_f64 v[20:21], v[20:21], v[132:133]
	v_add_f64 v[22:23], v[26:27], v[22:23]
	v_fma_f64 v[18:19], v[18:19], v[150:151], -v[20:21]
	v_add_f64 v[18:19], v[22:23], v[18:19]
	;; [unrolled: 4-line block ×3, first 2 shown]
	v_mul_f64 v[4:5], v[4:5], v[138:139]
	v_add_f64 v[6:7], v[10:11], v[6:7]
	v_fma_f64 v[2:3], v[2:3], v[146:147], -v[4:5]
	v_mul_f64 v[4:5], v[40:41], v[144:145]
	v_add_f64 v[2:3], v[6:7], v[2:3]
	v_fma_f64 v[4:5], v[38:39], v[156:157], -v[4:5]
	v_add_f64 v[2:3], v[2:3], v[4:5]
	v_mul_f64 v[4:5], v[36:37], v[174:175]
	v_fma_f64 v[4:5], v[34:35], v[178:179], -v[4:5]
	v_add_f64 v[2:3], v[2:3], v[4:5]
	v_mul_f64 v[4:5], v[44:45], v[158:159]
	;; [unrolled: 3-line block ×20, first 2 shown]
	v_fma_f64 v[4:5], v[114:115], v[234:235], -v[4:5]
	v_add_f64 v[2:3], v[2:3], v[4:5]
	v_add_f64 v[2:3], v[140:141], -v[2:3]
	s_waitcnt vmcnt(0)
	v_add_f64 v[4:5], v[252:253], -v[246:247]
	buffer_store_dword v3, off, s[0:3], 0 offset:180
	buffer_store_dword v2, off, s[0:3], 0 offset:176
	;; [unrolled: 1-line block ×4, first 2 shown]
	s_and_saveexec_b64 s[4:5], vcc
	s_cbranch_execz .LBB105_247
; %bb.246:
	v_accvgpr_read_b32 v0, a116
	buffer_load_dword v2, v0, s[0:3], 0 offen
	buffer_load_dword v3, v0, s[0:3], 0 offen offset:4
	buffer_load_dword v4, v0, s[0:3], 0 offen offset:8
	;; [unrolled: 1-line block ×3, first 2 shown]
	v_accvgpr_read_b32 v0, a126
	buffer_store_dword v254, off, s[0:3], 0 offset:160
	buffer_store_dword v254, off, s[0:3], 0 offset:164
	;; [unrolled: 1-line block ×4, first 2 shown]
	s_waitcnt vmcnt(4)
	ds_write_b128 v0, v[2:5]
.LBB105_247:
	s_or_b64 exec, exec, s[4:5]
	s_waitcnt lgkmcnt(0)
	; wave barrier
	s_waitcnt lgkmcnt(0)
	buffer_load_dword v112, off, s[0:3], 0 offset:176
	buffer_load_dword v113, off, s[0:3], 0 offset:180
	;; [unrolled: 1-line block ×36, first 2 shown]
	ds_read_b128 v[102:105], v254 offset:832
	ds_read_b128 v[106:109], v254 offset:848
	;; [unrolled: 1-line block ×9, first 2 shown]
	buffer_load_dword v145, off, s[0:3], 0 offset:348
	buffer_load_dword v144, off, s[0:3], 0 offset:344
	;; [unrolled: 1-line block ×78, first 2 shown]
	v_cmp_lt_u32_e32 vcc, 8, v118
	s_waitcnt vmcnt(62) lgkmcnt(8)
	v_mul_f64 v[26:27], v[102:103], v[246:247]
	v_fmac_f64_e32 v[26:27], v[104:105], v[112:113]
	v_add_f64 v[26:27], v[26:27], 0
	v_mul_f64 v[104:105], v[104:105], v[246:247]
	s_waitcnt lgkmcnt(7)
	v_mul_f64 v[28:29], v[106:107], v[248:249]
	v_fmac_f64_e32 v[28:29], v[108:109], v[110:111]
	s_waitcnt lgkmcnt(6)
	v_mul_f64 v[30:31], v[114:115], v[244:245]
	v_add_f64 v[26:27], v[26:27], v[28:29]
	s_waitcnt lgkmcnt(4)
	v_mul_f64 v[34:35], v[18:19], v[120:121]
	v_fma_f64 v[246:247], v[102:103], v[112:113], -v[104:105]
	v_fmac_f64_e32 v[34:35], v[20:21], v[122:123]
	v_mul_f64 v[108:109], v[108:109], v[248:249]
	v_mul_f64 v[32:33], v[22:23], v[124:125]
	v_fma_f64 v[248:249], v[106:107], v[110:111], -v[108:109]
	s_waitcnt lgkmcnt(2)
	v_mul_f64 v[38:39], v[10:11], v[126:127]
	v_mul_f64 v[20:21], v[20:21], v[120:121]
	v_fmac_f64_e32 v[38:39], v[12:13], v[128:129]
	v_fma_f64 v[18:19], v[18:19], v[122:123], -v[20:21]
	v_mul_f64 v[36:37], v[14:15], v[132:133]
	v_mul_f64 v[12:13], v[12:13], v[126:127]
	s_waitcnt lgkmcnt(1)
	v_mul_f64 v[40:41], v[6:7], v[130:131]
	v_fma_f64 v[10:11], v[10:11], v[128:129], -v[12:13]
	v_fmac_f64_e32 v[30:31], v[116:117], v[250:251]
	v_add_f64 v[26:27], v[26:27], v[30:31]
	v_fmac_f64_e32 v[32:33], v[24:25], v[140:141]
	v_add_f64 v[26:27], v[26:27], v[32:33]
	;; [unrolled: 2-line block ×3, first 2 shown]
	v_add_f64 v[26:27], v[26:27], v[36:37]
	v_fmac_f64_e32 v[40:41], v[8:9], v[136:137]
	v_add_f64 v[30:31], v[26:27], v[38:39]
	v_add_f64 v[30:31], v[30:31], v[40:41]
	s_waitcnt lgkmcnt(0)
	v_mul_f64 v[32:33], v[2:3], v[134:135]
	v_fmac_f64_e32 v[32:33], v[4:5], v[142:143]
	ds_read_b128 v[26:29], v254 offset:976
	v_add_f64 v[34:35], v[30:31], v[32:33]
	ds_read_b128 v[30:33], v254 offset:992
	buffer_load_dword v231, off, s[0:3], 0 offset:612
	buffer_load_dword v230, off, s[0:3], 0 offset:608
	v_mul_f64 v[116:117], v[116:117], v[244:245]
	s_waitcnt lgkmcnt(1)
	v_mul_f64 v[36:37], v[26:27], v[148:149]
	v_fmac_f64_e32 v[36:37], v[28:29], v[150:151]
	v_add_f64 v[38:39], v[34:35], v[36:37]
	ds_read_b128 v[34:37], v254 offset:1008
	s_waitcnt lgkmcnt(1)
	v_mul_f64 v[40:41], v[30:31], v[144:145]
	v_fmac_f64_e32 v[40:41], v[32:33], v[146:147]
	v_add_f64 v[42:43], v[38:39], v[40:41]
	ds_read_b128 v[38:41], v254 offset:1024
	;; [unrolled: 5-line block ×4, first 2 shown]
	buffer_load_dword v233, off, s[0:3], 0 offset:668
	buffer_load_dword v235, off, s[0:3], 0 offset:652
	;; [unrolled: 1-line block ×12, first 2 shown]
	s_waitcnt vmcnt(62) lgkmcnt(1)
	v_mul_f64 v[52:53], v[42:43], v[176:177]
	v_fmac_f64_e32 v[52:53], v[44:45], v[180:181]
	v_add_f64 v[54:55], v[50:51], v[52:53]
	ds_read_b128 v[50:53], v254 offset:1072
	s_waitcnt lgkmcnt(1)
	v_mul_f64 v[56:57], v[46:47], v[156:157]
	v_fmac_f64_e32 v[56:57], v[48:49], v[158:159]
	v_add_f64 v[58:59], v[54:55], v[56:57]
	ds_read_b128 v[54:57], v254 offset:1088
	s_waitcnt lgkmcnt(1)
	v_mul_f64 v[60:61], v[50:51], v[184:185]
	s_waitcnt vmcnt(60)
	v_fmac_f64_e32 v[60:61], v[52:53], v[188:189]
	v_add_f64 v[62:63], v[58:59], v[60:61]
	ds_read_b128 v[58:61], v254 offset:1104
	s_waitcnt lgkmcnt(1)
	v_mul_f64 v[64:65], v[54:55], v[164:165]
	v_fmac_f64_e32 v[64:65], v[56:57], v[166:167]
	v_add_f64 v[66:67], v[62:63], v[64:65]
	ds_read_b128 v[62:65], v254 offset:1120
	s_waitcnt vmcnt(54) lgkmcnt(1)
	v_mul_f64 v[68:69], v[58:59], v[192:193]
	s_waitcnt vmcnt(52)
	v_fmac_f64_e32 v[68:69], v[60:61], v[204:205]
	v_add_f64 v[70:71], v[66:67], v[68:69]
	ds_read_b128 v[66:69], v254 offset:1136
	s_waitcnt lgkmcnt(1)
	v_mul_f64 v[72:73], v[62:63], v[168:169]
	v_fmac_f64_e32 v[72:73], v[64:65], v[170:171]
	v_add_f64 v[74:75], v[70:71], v[72:73]
	ds_read_b128 v[70:73], v254 offset:1152
	s_waitcnt vmcnt(46) lgkmcnt(1)
	;; [unrolled: 11-line block ×4, first 2 shown]
	v_mul_f64 v[92:93], v[82:83], v[220:221]
	s_waitcnt vmcnt(28)
	v_fmac_f64_e32 v[92:93], v[84:85], v[222:223]
	v_add_f64 v[98:99], v[90:91], v[92:93]
	ds_read_b128 v[90:93], v254 offset:1232
	ds_read_b128 v[94:97], v254 offset:1248
	s_waitcnt lgkmcnt(2)
	v_mul_f64 v[100:101], v[86:87], v[186:187]
	v_fmac_f64_e32 v[100:101], v[88:89], v[190:191]
	v_add_f64 v[98:99], v[98:99], v[100:101]
	s_waitcnt vmcnt(22) lgkmcnt(1)
	v_mul_f64 v[100:101], v[90:91], v[224:225]
	s_waitcnt vmcnt(20)
	v_fmac_f64_e32 v[100:101], v[92:93], v[226:227]
	v_add_f64 v[98:99], v[98:99], v[100:101]
	s_waitcnt lgkmcnt(0)
	v_mul_f64 v[100:101], v[94:95], v[202:203]
	v_fmac_f64_e32 v[100:101], v[96:97], v[206:207]
	v_add_f64 v[194:195], v[98:99], v[100:101]
	ds_read_b128 v[98:101], v254 offset:1264
	ds_read_b128 v[102:105], v254 offset:1280
	;; [unrolled: 1-line block ×3, first 2 shown]
	v_fma_f64 v[250:251], v[114:115], v[250:251], -v[116:117]
	ds_read_b128 v[114:117], v254 offset:1328
	s_waitcnt vmcnt(14) lgkmcnt(3)
	v_mul_f64 v[112:113], v[98:99], v[228:229]
	s_waitcnt lgkmcnt(2)
	v_mul_f64 v[110:111], v[102:103], v[210:211]
	s_waitcnt vmcnt(12)
	v_fmac_f64_e32 v[112:113], v[100:101], v[230:231]
	v_add_f64 v[112:113], v[194:195], v[112:113]
	v_fmac_f64_e32 v[110:111], v[104:105], v[214:215]
	v_add_f64 v[194:195], v[112:113], v[110:111]
	ds_read_b128 v[110:113], v254 offset:1312
	buffer_load_dword v254, off, s[0:3], 0 offset:160
	buffer_load_dword v255, off, s[0:3], 0 offset:164
	;; [unrolled: 1-line block ×4, first 2 shown]
	v_mul_f64 v[24:25], v[24:25], v[124:125]
	v_fma_f64 v[22:23], v[22:23], v[140:141], -v[24:25]
	v_mul_f64 v[16:17], v[16:17], v[132:133]
	s_waitcnt vmcnt(13) lgkmcnt(2)
	v_mul_f64 v[196:197], v[106:107], v[234:235]
	v_fma_f64 v[14:15], v[14:15], v[138:139], -v[16:17]
	s_waitcnt vmcnt(11)
	v_fmac_f64_e32 v[196:197], v[108:109], v[240:241]
	v_add_f64 v[194:195], v[194:195], v[196:197]
	s_waitcnt vmcnt(10) lgkmcnt(0)
	v_mul_f64 v[196:197], v[110:111], v[232:233]
	s_waitcnt vmcnt(8)
	v_fmac_f64_e32 v[196:197], v[112:113], v[238:239]
	v_add_f64 v[194:195], v[194:195], v[196:197]
	s_waitcnt vmcnt(6)
	v_mul_f64 v[196:197], v[114:115], v[236:237]
	v_mul_f64 v[8:9], v[8:9], v[130:131]
	s_waitcnt vmcnt(4)
	v_fmac_f64_e32 v[196:197], v[116:117], v[242:243]
	v_add_f64 v[244:245], v[194:195], v[196:197]
	v_add_f64 v[194:195], v[246:247], 0
	;; [unrolled: 1-line block ×8, first 2 shown]
	v_fma_f64 v[6:7], v[6:7], v[136:137], -v[8:9]
	v_mul_f64 v[4:5], v[4:5], v[134:135]
	v_add_f64 v[6:7], v[10:11], v[6:7]
	v_fma_f64 v[2:3], v[2:3], v[142:143], -v[4:5]
	v_mul_f64 v[4:5], v[28:29], v[148:149]
	v_add_f64 v[2:3], v[6:7], v[2:3]
	v_fma_f64 v[4:5], v[26:27], v[150:151], -v[4:5]
	v_add_f64 v[2:3], v[2:3], v[4:5]
	v_mul_f64 v[4:5], v[32:33], v[144:145]
	v_fma_f64 v[4:5], v[30:31], v[146:147], -v[4:5]
	v_add_f64 v[2:3], v[2:3], v[4:5]
	v_mul_f64 v[4:5], v[36:37], v[160:161]
	;; [unrolled: 3-line block ×22, first 2 shown]
	v_fma_f64 v[4:5], v[114:115], v[242:243], -v[4:5]
	v_add_f64 v[2:3], v[2:3], v[4:5]
	s_waitcnt vmcnt(2)
	v_add_f64 v[2:3], v[254:255], -v[2:3]
	s_waitcnt vmcnt(0)
	v_add_f64 v[4:5], v[252:253], -v[244:245]
	buffer_store_dword v3, off, s[0:3], 0 offset:164
	buffer_store_dword v2, off, s[0:3], 0 offset:160
	;; [unrolled: 1-line block ×4, first 2 shown]
	s_and_saveexec_b64 s[4:5], vcc
	s_cbranch_execz .LBB105_249
; %bb.248:
	v_accvgpr_read_b32 v0, a117
	buffer_load_dword v2, v0, s[0:3], 0 offen
	buffer_load_dword v3, v0, s[0:3], 0 offen offset:4
	buffer_load_dword v4, v0, s[0:3], 0 offen offset:8
	;; [unrolled: 1-line block ×3, first 2 shown]
	v_mov_b32_e32 v0, 0
	v_accvgpr_read_b32 v1, a126
	buffer_store_dword v0, off, s[0:3], 0 offset:144
	buffer_store_dword v0, off, s[0:3], 0 offset:148
	;; [unrolled: 1-line block ×4, first 2 shown]
	s_waitcnt vmcnt(4)
	ds_write_b128 v1, v[2:5]
.LBB105_249:
	s_or_b64 exec, exec, s[4:5]
	s_waitcnt lgkmcnt(0)
	; wave barrier
	s_waitcnt lgkmcnt(0)
	buffer_load_dword v94, off, s[0:3], 0 offset:160
	buffer_load_dword v95, off, s[0:3], 0 offset:164
	;; [unrolled: 1-line block ×52, first 2 shown]
	v_mov_b32_e32 v254, 0
	ds_read_b128 v[102:105], v254 offset:816
	ds_read_b128 v[114:117], v254 offset:832
	;; [unrolled: 1-line block ×10, first 2 shown]
	v_cmp_lt_u32_e32 vcc, 7, v118
	s_waitcnt vmcnt(48) lgkmcnt(9)
	v_mul_f64 v[26:27], v[102:103], v[96:97]
	v_fmac_f64_e32 v[26:27], v[104:105], v[94:95]
	v_add_f64 v[26:27], v[26:27], 0
	v_mul_f64 v[96:97], v[104:105], v[96:97]
	s_waitcnt vmcnt(44) lgkmcnt(8)
	v_mul_f64 v[28:29], v[114:115], v[100:101]
	v_fmac_f64_e32 v[28:29], v[116:117], v[98:99]
	s_waitcnt vmcnt(42) lgkmcnt(7)
	v_mul_f64 v[30:31], v[244:245], v[106:107]
	v_add_f64 v[26:27], v[26:27], v[28:29]
	s_waitcnt vmcnt(40) lgkmcnt(5)
	v_mul_f64 v[34:35], v[22:23], v[122:123]
	v_fma_f64 v[196:197], v[102:103], v[94:95], -v[96:97]
	s_waitcnt vmcnt(38)
	v_fmac_f64_e32 v[34:35], v[24:25], v[126:127]
	v_mul_f64 v[100:101], v[116:117], v[100:101]
	s_waitcnt vmcnt(36)
	v_mul_f64 v[32:33], v[250:251], v[110:111]
	v_fma_f64 v[198:199], v[114:115], v[98:99], -v[100:101]
	s_waitcnt vmcnt(34) lgkmcnt(3)
	v_mul_f64 v[38:39], v[14:15], v[120:121]
	v_mul_f64 v[106:107], v[246:247], v[106:107]
	s_waitcnt vmcnt(32)
	v_fmac_f64_e32 v[38:39], v[16:17], v[124:125]
	v_mul_f64 v[110:111], v[252:253], v[110:111]
	s_waitcnt vmcnt(30)
	v_mul_f64 v[36:37], v[18:19], v[132:133]
	v_mul_f64 v[24:25], v[24:25], v[122:123]
	v_fma_f64 v[22:23], v[22:23], v[126:127], -v[24:25]
	s_waitcnt vmcnt(27) lgkmcnt(2)
	v_mul_f64 v[40:41], v[10:11], v[130:131]
	s_waitcnt vmcnt(26) lgkmcnt(1)
	v_mul_f64 v[42:43], v[6:7], v[128:129]
	v_mul_f64 v[16:17], v[16:17], v[120:121]
	s_waitcnt vmcnt(24)
	v_fmac_f64_e32 v[30:31], v[246:247], v[108:109]
	v_add_f64 v[26:27], v[26:27], v[30:31]
	s_waitcnt vmcnt(22)
	v_fmac_f64_e32 v[32:33], v[252:253], v[112:113]
	v_add_f64 v[26:27], v[26:27], v[32:33]
	;; [unrolled: 3-line block ×3, first 2 shown]
	v_add_f64 v[26:27], v[26:27], v[36:37]
	s_waitcnt vmcnt(18)
	v_fmac_f64_e32 v[40:41], v[12:13], v[134:135]
	v_add_f64 v[26:27], v[26:27], v[38:39]
	v_add_f64 v[26:27], v[26:27], v[40:41]
	s_waitcnt vmcnt(16)
	v_fmac_f64_e32 v[42:43], v[8:9], v[140:141]
	v_add_f64 v[34:35], v[26:27], v[42:43]
	ds_read_b128 v[26:29], v254 offset:976
	ds_read_b128 v[30:33], v254 offset:992
	buffer_load_dword v157, off, s[0:3], 0 offset:396
	buffer_load_dword v156, off, s[0:3], 0 offset:392
	buffer_load_dword v159, off, s[0:3], 0 offset:388
	buffer_load_dword v158, off, s[0:3], 0 offset:384
	buffer_load_dword v173, off, s[0:3], 0 offset:380
	buffer_load_dword v172, off, s[0:3], 0 offset:376
	buffer_load_dword v177, off, s[0:3], 0 offset:372
	buffer_load_dword v176, off, s[0:3], 0 offset:368
	buffer_load_dword v161, off, s[0:3], 0 offset:428
	buffer_load_dword v160, off, s[0:3], 0 offset:424
	buffer_load_dword v163, off, s[0:3], 0 offset:420
	buffer_load_dword v162, off, s[0:3], 0 offset:416
	buffer_load_dword v181, off, s[0:3], 0 offset:412
	buffer_load_dword v180, off, s[0:3], 0 offset:408
	buffer_load_dword v185, off, s[0:3], 0 offset:404
	buffer_load_dword v184, off, s[0:3], 0 offset:400
	buffer_load_dword v165, off, s[0:3], 0 offset:460
	buffer_load_dword v164, off, s[0:3], 0 offset:456
	buffer_load_dword v167, off, s[0:3], 0 offset:452
	buffer_load_dword v166, off, s[0:3], 0 offset:448
	buffer_load_dword v189, off, s[0:3], 0 offset:444
	buffer_load_dword v188, off, s[0:3], 0 offset:440
	buffer_load_dword v193, off, s[0:3], 0 offset:436
	buffer_load_dword v192, off, s[0:3], 0 offset:432
	buffer_load_dword v169, off, s[0:3], 0 offset:492
	buffer_load_dword v168, off, s[0:3], 0 offset:488
	buffer_load_dword v171, off, s[0:3], 0 offset:484
	buffer_load_dword v170, off, s[0:3], 0 offset:480
	buffer_load_dword v205, off, s[0:3], 0 offset:476
	buffer_load_dword v204, off, s[0:3], 0 offset:472
	buffer_load_dword v207, off, s[0:3], 0 offset:468
	buffer_load_dword v206, off, s[0:3], 0 offset:464
	buffer_load_dword v175, off, s[0:3], 0 offset:524
	buffer_load_dword v174, off, s[0:3], 0 offset:520
	buffer_load_dword v179, off, s[0:3], 0 offset:516
	buffer_load_dword v178, off, s[0:3], 0 offset:512
	buffer_load_dword v211, off, s[0:3], 0 offset:508
	buffer_load_dword v210, off, s[0:3], 0 offset:504
	buffer_load_dword v215, off, s[0:3], 0 offset:500
	buffer_load_dword v214, off, s[0:3], 0 offset:496
	buffer_load_dword v183, off, s[0:3], 0 offset:556
	buffer_load_dword v182, off, s[0:3], 0 offset:552
	buffer_load_dword v187, off, s[0:3], 0 offset:548
	buffer_load_dword v186, off, s[0:3], 0 offset:544
	buffer_load_dword v219, off, s[0:3], 0 offset:540
	buffer_load_dword v218, off, s[0:3], 0 offset:536
	buffer_load_dword v225, off, s[0:3], 0 offset:532
	buffer_load_dword v224, off, s[0:3], 0 offset:528
	buffer_load_dword v191, off, s[0:3], 0 offset:588
	buffer_load_dword v190, off, s[0:3], 0 offset:584
	buffer_load_dword v203, off, s[0:3], 0 offset:580
	buffer_load_dword v223, off, s[0:3], 0 offset:572
	buffer_load_dword v222, off, s[0:3], 0 offset:568
	buffer_load_dword v227, off, s[0:3], 0 offset:564
	buffer_load_dword v226, off, s[0:3], 0 offset:560
	buffer_load_dword v202, off, s[0:3], 0 offset:576
	s_waitcnt vmcnt(62) lgkmcnt(2)
	v_mul_f64 v[36:37], v[2:3], v[144:145]
	v_fmac_f64_e32 v[36:37], v[4:5], v[146:147]
	v_add_f64 v[34:35], v[34:35], v[36:37]
	s_waitcnt lgkmcnt(1)
	v_mul_f64 v[36:37], v[26:27], v[138:139]
	v_fmac_f64_e32 v[36:37], v[28:29], v[142:143]
	v_add_f64 v[34:35], v[34:35], v[36:37]
	s_waitcnt lgkmcnt(0)
	v_mul_f64 v[36:37], v[30:31], v[148:149]
	s_waitcnt vmcnt(60)
	v_fmac_f64_e32 v[36:37], v[32:33], v[152:153]
	v_add_f64 v[42:43], v[34:35], v[36:37]
	ds_read_b128 v[34:37], v254 offset:1008
	buffer_load_dword v209, off, s[0:3], 0 offset:620
	buffer_load_dword v208, off, s[0:3], 0 offset:616
	;; [unrolled: 1-line block ×16, first 2 shown]
	ds_read_b128 v[38:41], v254 offset:1024
	buffer_load_dword v231, off, s[0:3], 0 offset:684
	buffer_load_dword v230, off, s[0:3], 0 offset:680
	;; [unrolled: 1-line block ×8, first 2 shown]
	ds_read_b128 v[98:101], v254 offset:1264
	s_waitcnt vmcnt(62) lgkmcnt(2)
	v_mul_f64 v[44:45], v[34:35], v[150:151]
	v_fmac_f64_e32 v[44:45], v[36:37], v[154:155]
	v_add_f64 v[46:47], v[42:43], v[44:45]
	ds_read_b128 v[42:45], v254 offset:1040
	v_fma_f64 v[248:249], v[244:245], v[108:109], -v[106:107]
	ds_read_b128 v[106:109], v254 offset:1296
	v_fma_f64 v[246:247], v[250:251], v[112:113], -v[110:111]
	v_mul_f64 v[20:21], v[20:21], v[132:133]
	v_fma_f64 v[18:19], v[18:19], v[136:137], -v[20:21]
	v_fma_f64 v[14:15], v[14:15], v[124:125], -v[16:17]
	v_mul_f64 v[12:13], v[12:13], v[130:131]
	v_fma_f64 v[10:11], v[10:11], v[134:135], -v[12:13]
	v_mul_f64 v[8:9], v[8:9], v[128:129]
	;; [unrolled: 2-line block ×3, first 2 shown]
	s_waitcnt lgkmcnt(3)
	v_mul_f64 v[48:49], v[38:39], v[172:173]
	v_fma_f64 v[2:3], v[2:3], v[146:147], -v[4:5]
	v_fmac_f64_e32 v[48:49], v[40:41], v[176:177]
	v_add_f64 v[50:51], v[46:47], v[48:49]
	ds_read_b128 v[46:49], v254 offset:1056
	s_waitcnt lgkmcnt(2)
	v_mul_f64 v[52:53], v[42:43], v[156:157]
	v_fmac_f64_e32 v[52:53], v[44:45], v[158:159]
	v_add_f64 v[54:55], v[50:51], v[52:53]
	ds_read_b128 v[50:53], v254 offset:1072
	s_waitcnt lgkmcnt(1)
	v_mul_f64 v[56:57], v[46:47], v[180:181]
	;; [unrolled: 5-line block ×3, first 2 shown]
	v_fmac_f64_e32 v[60:61], v[52:53], v[162:163]
	v_add_f64 v[62:63], v[58:59], v[60:61]
	ds_read_b128 v[58:61], v254 offset:1104
	s_waitcnt vmcnt(58) lgkmcnt(1)
	v_mul_f64 v[64:65], v[54:55], v[188:189]
	s_waitcnt vmcnt(56)
	v_fmac_f64_e32 v[64:65], v[56:57], v[192:193]
	v_add_f64 v[66:67], v[62:63], v[64:65]
	ds_read_b128 v[62:65], v254 offset:1120
	s_waitcnt lgkmcnt(1)
	v_mul_f64 v[68:69], v[58:59], v[164:165]
	v_fmac_f64_e32 v[68:69], v[60:61], v[166:167]
	v_add_f64 v[70:71], v[66:67], v[68:69]
	ds_read_b128 v[66:69], v254 offset:1136
	s_waitcnt vmcnt(50) lgkmcnt(1)
	v_mul_f64 v[72:73], v[62:63], v[204:205]
	s_waitcnt vmcnt(48)
	v_fmac_f64_e32 v[72:73], v[64:65], v[206:207]
	v_add_f64 v[74:75], v[70:71], v[72:73]
	ds_read_b128 v[70:73], v254 offset:1152
	s_waitcnt lgkmcnt(1)
	v_mul_f64 v[76:77], v[66:67], v[168:169]
	;; [unrolled: 11-line block ×3, first 2 shown]
	v_fmac_f64_e32 v[84:85], v[76:77], v[178:179]
	v_add_f64 v[90:91], v[82:83], v[84:85]
	ds_read_b128 v[82:85], v254 offset:1200
	ds_read_b128 v[86:89], v254 offset:1216
	s_waitcnt vmcnt(34) lgkmcnt(2)
	v_mul_f64 v[92:93], v[78:79], v[218:219]
	s_waitcnt vmcnt(32)
	v_fmac_f64_e32 v[92:93], v[80:81], v[224:225]
	v_add_f64 v[90:91], v[90:91], v[92:93]
	s_waitcnt lgkmcnt(1)
	v_mul_f64 v[92:93], v[82:83], v[182:183]
	v_fmac_f64_e32 v[92:93], v[84:85], v[186:187]
	v_add_f64 v[90:91], v[90:91], v[92:93]
	s_waitcnt vmcnt(27) lgkmcnt(0)
	v_mul_f64 v[92:93], v[86:87], v[222:223]
	s_waitcnt vmcnt(25)
	v_fmac_f64_e32 v[92:93], v[88:89], v[226:227]
	v_add_f64 v[194:195], v[90:91], v[92:93]
	ds_read_b128 v[90:93], v254 offset:1232
	ds_read_b128 v[94:97], v254 offset:1248
	;; [unrolled: 1-line block ×3, first 2 shown]
	v_mul_f64 v[4:5], v[28:29], v[138:139]
	v_fma_f64 v[4:5], v[26:27], v[142:143], -v[4:5]
	s_waitcnt lgkmcnt(2)
	v_mul_f64 v[102:103], v[90:91], v[190:191]
	s_waitcnt vmcnt(24)
	v_fmac_f64_e32 v[102:103], v[92:93], v[202:203]
	s_waitcnt vmcnt(18) lgkmcnt(1)
	v_mul_f64 v[104:105], v[94:95], v[228:229]
	v_add_f64 v[102:103], v[194:195], v[102:103]
	s_waitcnt vmcnt(16)
	v_fmac_f64_e32 v[104:105], v[96:97], v[232:233]
	v_add_f64 v[102:103], v[102:103], v[104:105]
	v_mul_f64 v[104:105], v[98:99], v[208:209]
	v_fmac_f64_e32 v[104:105], v[100:101], v[212:213]
	v_add_f64 v[114:115], v[102:103], v[104:105]
	ds_read_b128 v[102:105], v254 offset:1280
	s_waitcnt vmcnt(10) lgkmcnt(0)
	v_mul_f64 v[116:117], v[102:103], v[236:237]
	s_waitcnt vmcnt(8)
	v_fmac_f64_e32 v[116:117], v[104:105], v[238:239]
	v_add_f64 v[114:115], v[114:115], v[116:117]
	v_mul_f64 v[116:117], v[106:107], v[216:217]
	v_fmac_f64_e32 v[116:117], v[108:109], v[220:221]
	v_add_f64 v[114:115], v[114:115], v[116:117]
	s_waitcnt vmcnt(2)
	v_mul_f64 v[116:117], v[110:111], v[240:241]
	s_waitcnt vmcnt(0)
	v_fmac_f64_e32 v[116:117], v[112:113], v[242:243]
	v_add_f64 v[194:195], v[114:115], v[116:117]
	ds_read_b128 v[114:117], v254 offset:1328
	buffer_load_dword v252, off, s[0:3], 0 offset:144
	buffer_load_dword v253, off, s[0:3], 0 offset:148
	s_waitcnt lgkmcnt(0)
	v_mul_f64 v[200:201], v[114:115], v[230:231]
	v_fmac_f64_e32 v[200:201], v[116:117], v[234:235]
	v_add_f64 v[244:245], v[194:195], v[200:201]
	v_add_f64 v[194:195], v[196:197], 0
	;; [unrolled: 1-line block ×4, first 2 shown]
	buffer_load_dword v248, off, s[0:3], 0 offset:152
	buffer_load_dword v249, off, s[0:3], 0 offset:156
	v_add_f64 v[194:195], v[194:195], v[246:247]
	v_add_f64 v[22:23], v[194:195], v[22:23]
	;; [unrolled: 1-line block ×8, first 2 shown]
	v_mul_f64 v[4:5], v[32:33], v[148:149]
	v_fma_f64 v[4:5], v[30:31], v[152:153], -v[4:5]
	v_add_f64 v[2:3], v[2:3], v[4:5]
	v_mul_f64 v[4:5], v[36:37], v[150:151]
	v_fma_f64 v[4:5], v[34:35], v[154:155], -v[4:5]
	v_add_f64 v[2:3], v[2:3], v[4:5]
	;; [unrolled: 3-line block ×22, first 2 shown]
	s_waitcnt vmcnt(2)
	v_add_f64 v[2:3], v[252:253], -v[2:3]
	s_waitcnt vmcnt(0)
	v_add_f64 v[4:5], v[248:249], -v[244:245]
	buffer_store_dword v3, off, s[0:3], 0 offset:148
	buffer_store_dword v2, off, s[0:3], 0 offset:144
	;; [unrolled: 1-line block ×4, first 2 shown]
	s_and_saveexec_b64 s[4:5], vcc
	s_cbranch_execz .LBB105_251
; %bb.250:
	v_accvgpr_read_b32 v0, a118
	buffer_load_dword v2, v0, s[0:3], 0 offen
	buffer_load_dword v3, v0, s[0:3], 0 offen offset:4
	buffer_load_dword v4, v0, s[0:3], 0 offen offset:8
	;; [unrolled: 1-line block ×3, first 2 shown]
	v_accvgpr_read_b32 v0, a126
	buffer_store_dword v254, off, s[0:3], 0 offset:128
	buffer_store_dword v254, off, s[0:3], 0 offset:132
	;; [unrolled: 1-line block ×4, first 2 shown]
	s_waitcnt vmcnt(4)
	ds_write_b128 v0, v[2:5]
.LBB105_251:
	s_or_b64 exec, exec, s[4:5]
	s_waitcnt lgkmcnt(0)
	; wave barrier
	s_waitcnt lgkmcnt(0)
	buffer_load_dword v86, off, s[0:3], 0 offset:144
	buffer_load_dword v87, off, s[0:3], 0 offset:148
	;; [unrolled: 1-line block ×42, first 2 shown]
	ds_read_b128 v[94:97], v254 offset:800
	ds_read_b128 v[106:109], v254 offset:816
	;; [unrolled: 1-line block ×10, first 2 shown]
	buffer_load_dword v147, off, s[0:3], 0 offset:292
	buffer_load_dword v146, off, s[0:3], 0 offset:288
	ds_read_b128 v[6:9], v254 offset:960
	buffer_load_dword v143, off, s[0:3], 0 offset:348
	buffer_load_dword v142, off, s[0:3], 0 offset:344
	;; [unrolled: 1-line block ×80, first 2 shown]
	v_cmp_lt_u32_e32 vcc, 6, v118
	s_waitcnt vmcnt(62) lgkmcnt(10)
	v_mul_f64 v[26:27], v[94:95], v[88:89]
	v_fmac_f64_e32 v[26:27], v[96:97], v[86:87]
	v_add_f64 v[26:27], v[26:27], 0
	v_mul_f64 v[88:89], v[96:97], v[88:89]
	s_waitcnt lgkmcnt(9)
	v_mul_f64 v[28:29], v[106:107], v[92:93]
	v_fmac_f64_e32 v[28:29], v[108:109], v[90:91]
	s_waitcnt lgkmcnt(8)
	v_mul_f64 v[30:31], v[114:115], v[98:99]
	v_add_f64 v[26:27], v[26:27], v[28:29]
	s_waitcnt lgkmcnt(6)
	v_mul_f64 v[34:35], v[248:249], v[110:111]
	v_fma_f64 v[196:197], v[94:95], v[86:87], -v[88:89]
	v_fmac_f64_e32 v[34:35], v[250:251], v[112:113]
	v_mul_f64 v[92:93], v[108:109], v[92:93]
	v_mul_f64 v[32:33], v[244:245], v[102:103]
	;; [unrolled: 1-line block ×3, first 2 shown]
	s_waitcnt lgkmcnt(4)
	v_mul_f64 v[38:39], v[18:19], v[120:121]
	v_mul_f64 v[102:103], v[246:247], v[102:103]
	v_fmac_f64_e32 v[38:39], v[20:21], v[122:123]
	v_mul_f64 v[110:111], v[250:251], v[110:111]
	v_mul_f64 v[36:37], v[22:23], v[124:125]
	v_fma_f64 v[248:249], v[248:249], v[112:113], -v[110:111]
	s_waitcnt lgkmcnt(2)
	v_mul_f64 v[42:43], v[10:11], v[126:127]
	v_add_f64 v[196:197], v[196:197], 0
	v_mul_f64 v[20:21], v[20:21], v[120:121]
	v_mul_f64 v[40:41], v[14:15], v[132:133]
	v_fma_f64 v[18:19], v[18:19], v[122:123], -v[20:21]
	s_waitcnt lgkmcnt(1)
	v_mul_f64 v[44:45], v[2:3], v[130:131]
	v_fmac_f64_e32 v[30:31], v[116:117], v[100:101]
	v_add_f64 v[26:27], v[26:27], v[30:31]
	v_fmac_f64_e32 v[32:33], v[246:247], v[104:105]
	v_add_f64 v[26:27], v[26:27], v[32:33]
	;; [unrolled: 2-line block ×3, first 2 shown]
	v_add_f64 v[26:27], v[26:27], v[36:37]
	v_fmac_f64_e32 v[40:41], v[16:17], v[134:135]
	v_add_f64 v[26:27], v[26:27], v[38:39]
	v_fmac_f64_e32 v[42:43], v[12:13], v[128:129]
	v_add_f64 v[26:27], v[26:27], v[40:41]
	v_add_f64 v[26:27], v[26:27], v[42:43]
	s_waitcnt lgkmcnt(0)
	v_mul_f64 v[32:33], v[6:7], v[138:139]
	v_fmac_f64_e32 v[44:45], v[4:5], v[146:147]
	v_add_f64 v[30:31], v[26:27], v[44:45]
	ds_read_b128 v[26:29], v254 offset:976
	v_fmac_f64_e32 v[32:33], v[8:9], v[140:141]
	v_add_f64 v[34:35], v[30:31], v[32:33]
	ds_read_b128 v[30:33], v254 offset:992
	v_fma_f64 v[198:199], v[114:115], v[100:101], -v[98:99]
	s_waitcnt lgkmcnt(1)
	v_mul_f64 v[36:37], v[26:27], v[148:149]
	v_fmac_f64_e32 v[36:37], v[28:29], v[164:165]
	v_add_f64 v[38:39], v[34:35], v[36:37]
	ds_read_b128 v[34:37], v254 offset:1008
	s_waitcnt lgkmcnt(1)
	v_mul_f64 v[40:41], v[30:31], v[142:143]
	v_fmac_f64_e32 v[40:41], v[32:33], v[144:145]
	v_add_f64 v[42:43], v[38:39], v[40:41]
	ds_read_b128 v[38:41], v254 offset:1024
	;; [unrolled: 5-line block ×4, first 2 shown]
	s_waitcnt vmcnt(58) lgkmcnt(1)
	v_mul_f64 v[52:53], v[42:43], v[176:177]
	s_waitcnt vmcnt(56)
	v_fmac_f64_e32 v[52:53], v[44:45], v[180:181]
	v_add_f64 v[54:55], v[50:51], v[52:53]
	ds_read_b128 v[50:53], v254 offset:1072
	buffer_load_dword v232, off, s[0:3], 0 offset:664
	buffer_load_dword v237, off, s[0:3], 0 offset:652
	;; [unrolled: 1-line block ×8, first 2 shown]
	s_waitcnt lgkmcnt(1)
	v_mul_f64 v[56:57], v[46:47], v[154:155]
	v_fmac_f64_e32 v[56:57], v[48:49], v[156:157]
	v_add_f64 v[58:59], v[54:55], v[56:57]
	ds_read_b128 v[54:57], v254 offset:1088
	s_waitcnt vmcnt(58) lgkmcnt(1)
	v_mul_f64 v[60:61], v[50:51], v[184:185]
	s_waitcnt vmcnt(56)
	v_fmac_f64_e32 v[60:61], v[52:53], v[188:189]
	buffer_load_dword v241, off, s[0:3], 0 offset:684
	buffer_load_dword v240, off, s[0:3], 0 offset:680
	;; [unrolled: 1-line block ×4, first 2 shown]
	v_add_f64 v[62:63], v[58:59], v[60:61]
	ds_read_b128 v[58:61], v254 offset:1104
	s_waitcnt lgkmcnt(1)
	v_mul_f64 v[64:65], v[54:55], v[158:159]
	v_fmac_f64_e32 v[64:65], v[56:57], v[160:161]
	v_add_f64 v[66:67], v[62:63], v[64:65]
	ds_read_b128 v[62:65], v254 offset:1120
	s_waitcnt vmcnt(54) lgkmcnt(1)
	v_mul_f64 v[68:69], v[58:59], v[192:193]
	s_waitcnt vmcnt(52)
	v_fmac_f64_e32 v[68:69], v[60:61], v[204:205]
	v_add_f64 v[70:71], v[66:67], v[68:69]
	ds_read_b128 v[66:69], v254 offset:1136
	s_waitcnt lgkmcnt(1)
	v_mul_f64 v[72:73], v[62:63], v[162:163]
	v_fmac_f64_e32 v[72:73], v[64:65], v[166:167]
	v_add_f64 v[74:75], v[70:71], v[72:73]
	ds_read_b128 v[70:73], v254 offset:1152
	s_waitcnt vmcnt(46) lgkmcnt(1)
	v_mul_f64 v[76:77], v[66:67], v[208:209]
	s_waitcnt vmcnt(44)
	v_fmac_f64_e32 v[76:77], v[68:69], v[212:213]
	v_add_f64 v[82:83], v[74:75], v[76:77]
	ds_read_b128 v[74:77], v254 offset:1168
	ds_read_b128 v[78:81], v254 offset:1184
	s_waitcnt lgkmcnt(2)
	v_mul_f64 v[84:85], v[70:71], v[170:171]
	v_fmac_f64_e32 v[84:85], v[72:73], v[174:175]
	v_add_f64 v[82:83], v[82:83], v[84:85]
	s_waitcnt vmcnt(38) lgkmcnt(1)
	v_mul_f64 v[84:85], v[74:75], v[216:217]
	s_waitcnt vmcnt(36)
	v_fmac_f64_e32 v[84:85], v[76:77], v[218:219]
	v_add_f64 v[82:83], v[82:83], v[84:85]
	s_waitcnt lgkmcnt(0)
	v_mul_f64 v[84:85], v[78:79], v[178:179]
	v_fmac_f64_e32 v[84:85], v[80:81], v[182:183]
	v_add_f64 v[194:195], v[82:83], v[84:85]
	ds_read_b128 v[82:85], v254 offset:1200
	ds_read_b128 v[86:89], v254 offset:1216
	;; [unrolled: 1-line block ×3, first 2 shown]
	v_fma_f64 v[246:247], v[244:245], v[104:105], -v[102:103]
	ds_read_b128 v[102:105], v254 offset:1296
	ds_read_b128 v[110:113], v254 offset:1312
	s_waitcnt vmcnt(30) lgkmcnt(4)
	v_mul_f64 v[94:95], v[82:83], v[220:221]
	s_waitcnt vmcnt(28)
	v_fmac_f64_e32 v[94:95], v[84:85], v[222:223]
	v_add_f64 v[94:95], v[194:195], v[94:95]
	v_fma_f64 v[194:195], v[106:107], v[90:91], -v[92:93]
	ds_read_b128 v[90:93], v254 offset:1232
	s_waitcnt lgkmcnt(4)
	v_mul_f64 v[96:97], v[86:87], v[186:187]
	v_fmac_f64_e32 v[96:97], v[88:89], v[190:191]
	v_add_f64 v[106:107], v[94:95], v[96:97]
	ds_read_b128 v[94:97], v254 offset:1248
	s_waitcnt vmcnt(22) lgkmcnt(1)
	v_mul_f64 v[108:109], v[90:91], v[224:225]
	s_waitcnt vmcnt(20)
	v_fmac_f64_e32 v[108:109], v[92:93], v[226:227]
	v_add_f64 v[106:107], v[106:107], v[108:109]
	v_add_f64 v[194:195], v[196:197], v[194:195]
	s_waitcnt lgkmcnt(0)
	v_mul_f64 v[108:109], v[94:95], v[202:203]
	v_fmac_f64_e32 v[108:109], v[96:97], v[206:207]
	v_add_f64 v[114:115], v[106:107], v[108:109]
	ds_read_b128 v[106:109], v254 offset:1280
	s_waitcnt vmcnt(14)
	v_mul_f64 v[116:117], v[98:99], v[228:229]
	s_waitcnt vmcnt(12)
	v_fmac_f64_e32 v[116:117], v[100:101], v[230:231]
	v_add_f64 v[114:115], v[114:115], v[116:117]
	v_add_f64 v[250:251], v[194:195], v[198:199]
	s_waitcnt lgkmcnt(0)
	v_mul_f64 v[116:117], v[106:107], v[210:211]
	v_fmac_f64_e32 v[116:117], v[108:109], v[214:215]
	v_add_f64 v[114:115], v[114:115], v[116:117]
	v_add_f64 v[194:195], v[250:251], v[246:247]
	v_mul_f64 v[24:25], v[24:25], v[124:125]
	v_add_f64 v[194:195], v[194:195], v[248:249]
	v_fma_f64 v[22:23], v[22:23], v[136:137], -v[24:25]
	v_add_f64 v[22:23], v[194:195], v[22:23]
	v_mul_f64 v[16:17], v[16:17], v[132:133]
	v_add_f64 v[18:19], v[22:23], v[18:19]
	v_fma_f64 v[14:15], v[14:15], v[134:135], -v[16:17]
	v_mul_f64 v[12:13], v[12:13], v[126:127]
	s_waitcnt vmcnt(9)
	v_mul_f64 v[116:117], v[102:103], v[236:237]
	v_add_f64 v[14:15], v[18:19], v[14:15]
	s_waitcnt vmcnt(7)
	v_fmac_f64_e32 v[116:117], v[104:105], v[238:239]
	v_add_f64 v[114:115], v[114:115], v[116:117]
	s_waitcnt vmcnt(5)
	v_mul_f64 v[116:117], v[110:111], v[232:233]
	s_waitcnt vmcnt(4)
	v_fmac_f64_e32 v[116:117], v[112:113], v[234:235]
	v_add_f64 v[200:201], v[114:115], v[116:117]
	ds_read_b128 v[114:117], v254 offset:1328
	buffer_load_dword v254, off, s[0:3], 0 offset:128
	buffer_load_dword v255, off, s[0:3], 0 offset:132
	;; [unrolled: 1-line block ×4, first 2 shown]
	v_fma_f64 v[10:11], v[10:11], v[128:129], -v[12:13]
	v_mul_f64 v[4:5], v[4:5], v[130:131]
	v_add_f64 v[10:11], v[14:15], v[10:11]
	v_fma_f64 v[2:3], v[2:3], v[146:147], -v[4:5]
	v_mul_f64 v[4:5], v[8:9], v[138:139]
	v_add_f64 v[2:3], v[10:11], v[2:3]
	v_fma_f64 v[4:5], v[6:7], v[140:141], -v[4:5]
	v_add_f64 v[2:3], v[2:3], v[4:5]
	v_mul_f64 v[4:5], v[28:29], v[148:149]
	v_fma_f64 v[4:5], v[26:27], v[164:165], -v[4:5]
	v_add_f64 v[2:3], v[2:3], v[4:5]
	v_mul_f64 v[4:5], v[32:33], v[142:143]
	;; [unrolled: 3-line block ×22, first 2 shown]
	v_fma_f64 v[4:5], v[110:111], v[234:235], -v[4:5]
	v_add_f64 v[2:3], v[2:3], v[4:5]
	s_waitcnt vmcnt(6) lgkmcnt(0)
	v_mul_f64 v[4:5], v[116:117], v[240:241]
	v_mul_f64 v[244:245], v[114:115], v[240:241]
	s_waitcnt vmcnt(4)
	v_fma_f64 v[4:5], v[114:115], v[242:243], -v[4:5]
	v_fmac_f64_e32 v[244:245], v[116:117], v[242:243]
	v_add_f64 v[2:3], v[2:3], v[4:5]
	v_add_f64 v[244:245], v[200:201], v[244:245]
	s_waitcnt vmcnt(2)
	v_add_f64 v[2:3], v[254:255], -v[2:3]
	s_waitcnt vmcnt(0)
	v_add_f64 v[4:5], v[252:253], -v[244:245]
	buffer_store_dword v3, off, s[0:3], 0 offset:132
	buffer_store_dword v2, off, s[0:3], 0 offset:128
	;; [unrolled: 1-line block ×4, first 2 shown]
	s_and_saveexec_b64 s[4:5], vcc
	s_cbranch_execz .LBB105_253
; %bb.252:
	v_accvgpr_read_b32 v0, a119
	buffer_load_dword v2, v0, s[0:3], 0 offen
	buffer_load_dword v3, v0, s[0:3], 0 offen offset:4
	buffer_load_dword v4, v0, s[0:3], 0 offen offset:8
	;; [unrolled: 1-line block ×3, first 2 shown]
	v_mov_b32_e32 v0, 0
	v_accvgpr_read_b32 v1, a126
	buffer_store_dword v0, off, s[0:3], 0 offset:112
	buffer_store_dword v0, off, s[0:3], 0 offset:116
	;; [unrolled: 1-line block ×4, first 2 shown]
	s_waitcnt vmcnt(4)
	ds_write_b128 v1, v[2:5]
.LBB105_253:
	s_or_b64 exec, exec, s[4:5]
	s_waitcnt lgkmcnt(0)
	; wave barrier
	s_waitcnt lgkmcnt(0)
	buffer_load_dword v82, off, s[0:3], 0 offset:128
	buffer_load_dword v83, off, s[0:3], 0 offset:132
	;; [unrolled: 1-line block ×54, first 2 shown]
	v_mov_b32_e32 v254, 0
	ds_read_b128 v[90:93], v254 offset:784
	ds_read_b128 v[106:109], v254 offset:800
	;; [unrolled: 1-line block ×9, first 2 shown]
	buffer_load_dword v151, off, s[0:3], 0 offset:356
	buffer_load_dword v150, off, s[0:3], 0 offset:352
	;; [unrolled: 1-line block ×62, first 2 shown]
	v_cmp_lt_u32_e32 vcc, 5, v118
	s_waitcnt vmcnt(62) lgkmcnt(8)
	v_mul_f64 v[14:15], v[90:91], v[84:85]
	v_fmac_f64_e32 v[14:15], v[92:93], v[82:83]
	v_add_f64 v[14:15], v[14:15], 0
	v_mul_f64 v[84:85], v[92:93], v[84:85]
	s_waitcnt lgkmcnt(7)
	v_mul_f64 v[16:17], v[106:107], v[88:89]
	v_fmac_f64_e32 v[16:17], v[108:109], v[86:87]
	s_waitcnt lgkmcnt(6)
	v_mul_f64 v[18:19], v[114:115], v[94:95]
	v_add_f64 v[14:15], v[14:15], v[16:17]
	s_waitcnt lgkmcnt(4)
	v_mul_f64 v[22:23], v[246:247], v[102:103]
	v_fma_f64 v[196:197], v[90:91], v[82:83], -v[84:85]
	v_fmac_f64_e32 v[22:23], v[248:249], v[104:105]
	v_mul_f64 v[88:89], v[108:109], v[88:89]
	v_mul_f64 v[20:21], v[242:243], v[98:99]
	v_fma_f64 v[198:199], v[106:107], v[86:87], -v[88:89]
	s_waitcnt lgkmcnt(2)
	v_mul_f64 v[26:27], v[10:11], v[120:121]
	v_mul_f64 v[94:95], v[116:117], v[94:95]
	v_fmac_f64_e32 v[26:27], v[12:13], v[122:123]
	v_mul_f64 v[98:99], v[244:245], v[98:99]
	v_mul_f64 v[24:25], v[250:251], v[110:111]
	;; [unrolled: 1-line block ×3, first 2 shown]
	s_waitcnt lgkmcnt(1)
	v_mul_f64 v[28:29], v[6:7], v[124:125]
	v_mul_f64 v[110:111], v[252:253], v[110:111]
	v_fmac_f64_e32 v[18:19], v[116:117], v[96:97]
	v_add_f64 v[14:15], v[14:15], v[18:19]
	v_fmac_f64_e32 v[20:21], v[244:245], v[100:101]
	v_add_f64 v[14:15], v[14:15], v[20:21]
	;; [unrolled: 2-line block ×3, first 2 shown]
	v_add_f64 v[14:15], v[14:15], v[24:25]
	v_fmac_f64_e32 v[28:29], v[8:9], v[128:129]
	v_add_f64 v[14:15], v[14:15], v[26:27]
	v_add_f64 v[18:19], v[14:15], v[28:29]
	ds_read_b128 v[14:17], v254 offset:928
	s_waitcnt lgkmcnt(1)
	v_mul_f64 v[20:21], v[2:3], v[126:127]
	v_fmac_f64_e32 v[20:21], v[4:5], v[130:131]
	v_add_f64 v[22:23], v[18:19], v[20:21]
	ds_read_b128 v[18:21], v254 offset:944
	s_waitcnt lgkmcnt(1)
	v_mul_f64 v[24:25], v[14:15], v[136:137]
	v_fmac_f64_e32 v[24:25], v[16:17], v[138:139]
	;; [unrolled: 5-line block ×5, first 2 shown]
	v_add_f64 v[38:39], v[34:35], v[36:37]
	ds_read_b128 v[34:37], v254 offset:1008
	s_waitcnt vmcnt(58) lgkmcnt(1)
	v_mul_f64 v[40:41], v[30:31], v[164:165]
	s_waitcnt vmcnt(56)
	v_fmac_f64_e32 v[40:41], v[32:33], v[168:169]
	v_add_f64 v[42:43], v[38:39], v[40:41]
	ds_read_b128 v[38:41], v254 offset:1024
	s_waitcnt lgkmcnt(1)
	v_mul_f64 v[44:45], v[34:35], v[144:145]
	v_fmac_f64_e32 v[44:45], v[36:37], v[150:151]
	v_add_f64 v[46:47], v[42:43], v[44:45]
	ds_read_b128 v[42:45], v254 offset:1040
	s_waitcnt vmcnt(50) lgkmcnt(1)
	v_mul_f64 v[48:49], v[38:39], v[172:173]
	s_waitcnt vmcnt(48)
	v_fmac_f64_e32 v[48:49], v[40:41], v[176:177]
	v_add_f64 v[50:51], v[46:47], v[48:49]
	ds_read_b128 v[46:49], v254 offset:1056
	buffer_load_dword v221, off, s[0:3], 0 offset:604
	buffer_load_dword v220, off, s[0:3], 0 offset:600
	;; [unrolled: 1-line block ×8, first 2 shown]
	s_waitcnt lgkmcnt(1)
	v_mul_f64 v[52:53], v[42:43], v[152:153]
	v_fmac_f64_e32 v[52:53], v[44:45], v[154:155]
	v_add_f64 v[54:55], v[50:51], v[52:53]
	ds_read_b128 v[50:53], v254 offset:1072
	s_waitcnt vmcnt(50) lgkmcnt(1)
	v_mul_f64 v[56:57], v[46:47], v[180:181]
	s_waitcnt vmcnt(48)
	v_fmac_f64_e32 v[56:57], v[48:49], v[184:185]
	buffer_load_dword v225, off, s[0:3], 0 offset:652
	buffer_load_dword v231, off, s[0:3], 0 offset:636
	buffer_load_dword v230, off, s[0:3], 0 offset:632
	buffer_load_dword v237, off, s[0:3], 0 offset:628
	buffer_load_dword v236, off, s[0:3], 0 offset:624
	buffer_load_dword v224, off, s[0:3], 0 offset:648
	buffer_load_dword v235, off, s[0:3], 0 offset:644
	buffer_load_dword v234, off, s[0:3], 0 offset:640
	buffer_load_dword v233, off, s[0:3], 0 offset:668
	buffer_load_dword v232, off, s[0:3], 0 offset:664
	buffer_load_dword v239, off, s[0:3], 0 offset:660
	buffer_load_dword v238, off, s[0:3], 0 offset:656
	v_add_f64 v[58:59], v[54:55], v[56:57]
	ds_read_b128 v[54:57], v254 offset:1088
	s_waitcnt lgkmcnt(1)
	v_mul_f64 v[60:61], v[50:51], v[156:157]
	v_fmac_f64_e32 v[60:61], v[52:53], v[158:159]
	v_add_f64 v[62:63], v[58:59], v[60:61]
	ds_read_b128 v[58:61], v254 offset:1104
	s_waitcnt vmcnt(54) lgkmcnt(1)
	v_mul_f64 v[64:65], v[54:55], v[188:189]
	s_waitcnt vmcnt(52)
	v_fmac_f64_e32 v[64:65], v[56:57], v[192:193]
	v_add_f64 v[66:67], v[62:63], v[64:65]
	ds_read_b128 v[62:65], v254 offset:1120
	s_waitcnt lgkmcnt(1)
	v_mul_f64 v[68:69], v[58:59], v[160:161]
	v_fmac_f64_e32 v[68:69], v[60:61], v[162:163]
	v_add_f64 v[70:71], v[66:67], v[68:69]
	ds_read_b128 v[66:69], v254 offset:1136
	s_waitcnt vmcnt(46) lgkmcnt(1)
	v_mul_f64 v[72:73], v[62:63], v[204:205]
	s_waitcnt vmcnt(44)
	v_fmac_f64_e32 v[72:73], v[64:65], v[206:207]
	v_add_f64 v[78:79], v[70:71], v[72:73]
	ds_read_b128 v[70:73], v254 offset:1152
	ds_read_b128 v[74:77], v254 offset:1168
	s_waitcnt lgkmcnt(2)
	v_mul_f64 v[80:81], v[66:67], v[166:167]
	v_fmac_f64_e32 v[80:81], v[68:69], v[170:171]
	v_add_f64 v[78:79], v[78:79], v[80:81]
	s_waitcnt vmcnt(38) lgkmcnt(1)
	v_mul_f64 v[80:81], v[70:71], v[208:209]
	s_waitcnt vmcnt(36)
	v_fmac_f64_e32 v[80:81], v[72:73], v[210:211]
	v_add_f64 v[78:79], v[78:79], v[80:81]
	s_waitcnt lgkmcnt(0)
	v_mul_f64 v[80:81], v[74:75], v[174:175]
	v_fmac_f64_e32 v[80:81], v[76:77], v[178:179]
	v_add_f64 v[194:195], v[78:79], v[80:81]
	ds_read_b128 v[78:81], v254 offset:1184
	ds_read_b128 v[82:85], v254 offset:1200
	;; [unrolled: 1-line block ×3, first 2 shown]
	v_fma_f64 v[200:201], v[242:243], v[100:101], -v[98:99]
	ds_read_b128 v[98:101], v254 offset:1264
	s_waitcnt vmcnt(30) lgkmcnt(3)
	v_mul_f64 v[90:91], v[78:79], v[212:213]
	s_waitcnt vmcnt(28)
	v_fmac_f64_e32 v[90:91], v[80:81], v[214:215]
	s_waitcnt lgkmcnt(2)
	v_mul_f64 v[92:93], v[82:83], v[182:183]
	v_add_f64 v[90:91], v[194:195], v[90:91]
	v_fmac_f64_e32 v[92:93], v[84:85], v[186:187]
	v_add_f64 v[90:91], v[90:91], v[92:93]
	v_fma_f64 v[194:195], v[114:115], v[96:97], -v[94:95]
	ds_read_b128 v[94:97], v254 offset:1248
	s_waitcnt vmcnt(22) lgkmcnt(2)
	v_mul_f64 v[92:93], v[86:87], v[216:217]
	s_waitcnt vmcnt(20)
	v_fmac_f64_e32 v[92:93], v[88:89], v[218:219]
	v_add_f64 v[106:107], v[90:91], v[92:93]
	ds_read_b128 v[90:93], v254 offset:1232
	buffer_load_dword v240, off, s[0:3], 0 offset:680
	v_fma_f64 v[246:247], v[246:247], v[104:105], -v[102:103]
	ds_read_b128 v[102:105], v254 offset:1280
	v_fma_f64 v[250:251], v[250:251], v[112:113], -v[110:111]
	s_waitcnt lgkmcnt(1)
	v_mul_f64 v[108:109], v[90:91], v[190:191]
	v_fmac_f64_e32 v[108:109], v[92:93], v[202:203]
	v_add_f64 v[106:107], v[106:107], v[108:109]
	ds_read_b128 v[110:113], v254 offset:1312
	v_add_f64 v[196:197], v[196:197], 0
	v_add_f64 v[196:197], v[196:197], v[198:199]
	;; [unrolled: 1-line block ×5, first 2 shown]
	v_mul_f64 v[12:13], v[12:13], v[120:121]
	v_add_f64 v[194:195], v[252:253], v[250:251]
	v_fma_f64 v[10:11], v[10:11], v[122:123], -v[12:13]
	v_mul_f64 v[8:9], v[8:9], v[124:125]
	v_add_f64 v[10:11], v[194:195], v[10:11]
	v_fma_f64 v[6:7], v[6:7], v[128:129], -v[8:9]
	;; [unrolled: 3-line block ×3, first 2 shown]
	v_mul_f64 v[4:5], v[16:17], v[136:137]
	v_add_f64 v[2:3], v[6:7], v[2:3]
	s_waitcnt vmcnt(19)
	v_mul_f64 v[108:109], v[94:95], v[220:221]
	v_fma_f64 v[4:5], v[14:15], v[138:139], -v[4:5]
	s_waitcnt vmcnt(17)
	v_fmac_f64_e32 v[108:109], v[96:97], v[222:223]
	v_add_f64 v[106:107], v[106:107], v[108:109]
	s_waitcnt vmcnt(15)
	v_mul_f64 v[108:109], v[98:99], v[226:227]
	s_waitcnt vmcnt(13)
	v_fmac_f64_e32 v[108:109], v[100:101], v[228:229]
	v_add_f64 v[114:115], v[106:107], v[108:109]
	ds_read_b128 v[106:109], v254 offset:1296
	buffer_load_dword v244, off, s[0:3], 0 offset:672
	buffer_load_dword v241, off, s[0:3], 0 offset:684
	;; [unrolled: 1-line block ×3, first 2 shown]
	s_waitcnt vmcnt(13) lgkmcnt(2)
	v_mul_f64 v[116:117], v[102:103], v[230:231]
	s_waitcnt vmcnt(11)
	v_fmac_f64_e32 v[116:117], v[104:105], v[236:237]
	v_add_f64 v[114:115], v[114:115], v[116:117]
	s_waitcnt vmcnt(10) lgkmcnt(0)
	v_mul_f64 v[116:117], v[106:107], v[224:225]
	s_waitcnt vmcnt(8)
	v_fmac_f64_e32 v[116:117], v[108:109], v[234:235]
	v_add_f64 v[114:115], v[114:115], v[116:117]
	s_waitcnt vmcnt(6)
	v_mul_f64 v[116:117], v[110:111], v[232:233]
	s_waitcnt vmcnt(4)
	v_fmac_f64_e32 v[116:117], v[112:113], v[238:239]
	v_add_f64 v[242:243], v[114:115], v[116:117]
	ds_read_b128 v[114:117], v254 offset:1328
	v_add_f64 v[2:3], v[2:3], v[4:5]
	v_mul_f64 v[4:5], v[20:21], v[132:133]
	v_fma_f64 v[4:5], v[18:19], v[134:135], -v[4:5]
	v_add_f64 v[2:3], v[2:3], v[4:5]
	v_mul_f64 v[4:5], v[24:25], v[146:147]
	v_fma_f64 v[4:5], v[22:23], v[148:149], -v[4:5]
	v_add_f64 v[2:3], v[2:3], v[4:5]
	v_mul_f64 v[4:5], v[28:29], v[140:141]
	v_fma_f64 v[4:5], v[26:27], v[142:143], -v[4:5]
	v_add_f64 v[2:3], v[2:3], v[4:5]
	v_mul_f64 v[4:5], v[32:33], v[164:165]
	v_fma_f64 v[4:5], v[30:31], v[168:169], -v[4:5]
	v_add_f64 v[2:3], v[2:3], v[4:5]
	v_mul_f64 v[4:5], v[36:37], v[144:145]
	v_fma_f64 v[4:5], v[34:35], v[150:151], -v[4:5]
	v_add_f64 v[2:3], v[2:3], v[4:5]
	v_mul_f64 v[4:5], v[40:41], v[172:173]
	v_fma_f64 v[4:5], v[38:39], v[176:177], -v[4:5]
	v_add_f64 v[2:3], v[2:3], v[4:5]
	v_mul_f64 v[4:5], v[44:45], v[152:153]
	v_fma_f64 v[4:5], v[42:43], v[154:155], -v[4:5]
	v_add_f64 v[2:3], v[2:3], v[4:5]
	v_mul_f64 v[4:5], v[48:49], v[180:181]
	v_fma_f64 v[4:5], v[46:47], v[184:185], -v[4:5]
	v_add_f64 v[2:3], v[2:3], v[4:5]
	v_mul_f64 v[4:5], v[52:53], v[156:157]
	v_fma_f64 v[4:5], v[50:51], v[158:159], -v[4:5]
	v_add_f64 v[2:3], v[2:3], v[4:5]
	v_mul_f64 v[4:5], v[56:57], v[188:189]
	v_fma_f64 v[4:5], v[54:55], v[192:193], -v[4:5]
	v_add_f64 v[2:3], v[2:3], v[4:5]
	v_mul_f64 v[4:5], v[60:61], v[160:161]
	v_fma_f64 v[4:5], v[58:59], v[162:163], -v[4:5]
	v_add_f64 v[2:3], v[2:3], v[4:5]
	v_mul_f64 v[4:5], v[64:65], v[204:205]
	v_fma_f64 v[4:5], v[62:63], v[206:207], -v[4:5]
	v_add_f64 v[2:3], v[2:3], v[4:5]
	v_mul_f64 v[4:5], v[68:69], v[166:167]
	v_fma_f64 v[4:5], v[66:67], v[170:171], -v[4:5]
	v_add_f64 v[2:3], v[2:3], v[4:5]
	v_mul_f64 v[4:5], v[72:73], v[208:209]
	v_fma_f64 v[4:5], v[70:71], v[210:211], -v[4:5]
	v_add_f64 v[2:3], v[2:3], v[4:5]
	v_mul_f64 v[4:5], v[76:77], v[174:175]
	v_fma_f64 v[4:5], v[74:75], v[178:179], -v[4:5]
	v_add_f64 v[2:3], v[2:3], v[4:5]
	v_mul_f64 v[4:5], v[80:81], v[212:213]
	v_fma_f64 v[4:5], v[78:79], v[214:215], -v[4:5]
	v_add_f64 v[2:3], v[2:3], v[4:5]
	v_mul_f64 v[4:5], v[84:85], v[182:183]
	v_fma_f64 v[4:5], v[82:83], v[186:187], -v[4:5]
	v_add_f64 v[2:3], v[2:3], v[4:5]
	v_mul_f64 v[4:5], v[88:89], v[216:217]
	v_fma_f64 v[4:5], v[86:87], v[218:219], -v[4:5]
	v_add_f64 v[2:3], v[2:3], v[4:5]
	v_mul_f64 v[4:5], v[92:93], v[190:191]
	v_fma_f64 v[4:5], v[90:91], v[202:203], -v[4:5]
	v_add_f64 v[2:3], v[2:3], v[4:5]
	v_mul_f64 v[4:5], v[96:97], v[220:221]
	v_fma_f64 v[4:5], v[94:95], v[222:223], -v[4:5]
	v_add_f64 v[2:3], v[2:3], v[4:5]
	v_mul_f64 v[4:5], v[100:101], v[226:227]
	v_fma_f64 v[4:5], v[98:99], v[228:229], -v[4:5]
	v_add_f64 v[2:3], v[2:3], v[4:5]
	v_mul_f64 v[4:5], v[104:105], v[230:231]
	v_fma_f64 v[4:5], v[102:103], v[236:237], -v[4:5]
	v_add_f64 v[2:3], v[2:3], v[4:5]
	v_mul_f64 v[4:5], v[108:109], v[224:225]
	s_waitcnt vmcnt(1) lgkmcnt(0)
	v_mul_f64 v[248:249], v[114:115], v[240:241]
	s_waitcnt vmcnt(0)
	v_fmac_f64_e32 v[248:249], v[116:117], v[244:245]
	v_add_f64 v[242:243], v[242:243], v[248:249]
	buffer_load_dword v248, off, s[0:3], 0 offset:112
	buffer_load_dword v249, off, s[0:3], 0 offset:116
	;; [unrolled: 1-line block ×4, first 2 shown]
	v_fma_f64 v[4:5], v[106:107], v[234:235], -v[4:5]
	v_add_f64 v[2:3], v[2:3], v[4:5]
	v_mul_f64 v[4:5], v[112:113], v[232:233]
	v_fma_f64 v[4:5], v[110:111], v[238:239], -v[4:5]
	v_add_f64 v[2:3], v[2:3], v[4:5]
	v_mul_f64 v[4:5], v[116:117], v[240:241]
	v_fma_f64 v[4:5], v[114:115], v[244:245], -v[4:5]
	v_add_f64 v[2:3], v[2:3], v[4:5]
	s_waitcnt vmcnt(2)
	v_add_f64 v[2:3], v[248:249], -v[2:3]
	s_waitcnt vmcnt(0)
	v_add_f64 v[4:5], v[246:247], -v[242:243]
	buffer_store_dword v3, off, s[0:3], 0 offset:116
	buffer_store_dword v2, off, s[0:3], 0 offset:112
	;; [unrolled: 1-line block ×4, first 2 shown]
	s_and_saveexec_b64 s[4:5], vcc
	s_cbranch_execz .LBB105_255
; %bb.254:
	v_accvgpr_read_b32 v0, a120
	buffer_load_dword v2, v0, s[0:3], 0 offen
	buffer_load_dword v3, v0, s[0:3], 0 offen offset:4
	buffer_load_dword v4, v0, s[0:3], 0 offen offset:8
	;; [unrolled: 1-line block ×3, first 2 shown]
	v_accvgpr_read_b32 v0, a126
	buffer_store_dword v254, off, s[0:3], 0 offset:96
	buffer_store_dword v254, off, s[0:3], 0 offset:100
	buffer_store_dword v254, off, s[0:3], 0 offset:104
	buffer_store_dword v254, off, s[0:3], 0 offset:108
	s_waitcnt vmcnt(4)
	ds_write_b128 v0, v[2:5]
.LBB105_255:
	s_or_b64 exec, exec, s[4:5]
	s_waitcnt lgkmcnt(0)
	; wave barrier
	s_waitcnt lgkmcnt(0)
	buffer_load_dword v84, off, s[0:3], 0 offset:112
	buffer_load_dword v85, off, s[0:3], 0 offset:116
	;; [unrolled: 1-line block ×34, first 2 shown]
	ds_read_b128 v[74:77], v254 offset:768
	ds_read_b128 v[78:81], v254 offset:784
	;; [unrolled: 1-line block ×8, first 2 shown]
	buffer_load_dword v127, off, s[0:3], 0 offset:228
	buffer_load_dword v126, off, s[0:3], 0 offset:224
	ds_read_b128 v[6:9], v254 offset:896
	buffer_load_dword v129, off, s[0:3], 0 offset:284
	buffer_load_dword v128, off, s[0:3], 0 offset:280
	;; [unrolled: 1-line block ×80, first 2 shown]
	v_accvgpr_write_b32 a125, v118
	v_cmp_lt_u32_e32 vcc, 4, v118
	s_waitcnt vmcnt(62) lgkmcnt(8)
	v_mul_f64 v[10:11], v[74:75], v[106:107]
	v_fmac_f64_e32 v[10:11], v[76:77], v[84:85]
	v_add_f64 v[10:11], v[10:11], 0
	v_mul_f64 v[76:77], v[76:77], v[106:107]
	s_waitcnt lgkmcnt(7)
	v_mul_f64 v[12:13], v[78:79], v[96:97]
	v_fmac_f64_e32 v[12:13], v[80:81], v[82:83]
	s_waitcnt lgkmcnt(6)
	v_mul_f64 v[14:15], v[86:87], v[94:95]
	v_add_f64 v[10:11], v[10:11], v[12:13]
	s_waitcnt lgkmcnt(4)
	v_mul_f64 v[18:19], v[98:99], v[108:109]
	v_fma_f64 v[196:197], v[74:75], v[84:85], -v[76:77]
	v_fmac_f64_e32 v[18:19], v[100:101], v[114:115]
	v_mul_f64 v[80:81], v[80:81], v[96:97]
	v_mul_f64 v[16:17], v[90:91], v[116:117]
	v_fma_f64 v[198:199], v[78:79], v[82:83], -v[80:81]
	s_waitcnt lgkmcnt(2)
	v_mul_f64 v[22:23], v[110:111], v[240:241]
	v_mul_f64 v[100:101], v[100:101], v[108:109]
	v_add_f64 v[196:197], v[196:197], 0
	v_mul_f64 v[20:21], v[102:103], v[244:245]
	v_add_f64 v[196:197], v[196:197], v[198:199]
	s_waitcnt lgkmcnt(1)
	v_mul_f64 v[24:25], v[2:3], v[120:121]
	v_fmac_f64_e32 v[14:15], v[88:89], v[250:251]
	v_add_f64 v[10:11], v[10:11], v[14:15]
	v_fmac_f64_e32 v[16:17], v[92:93], v[248:249]
	v_add_f64 v[10:11], v[10:11], v[16:17]
	;; [unrolled: 2-line block ×4, first 2 shown]
	v_add_f64 v[10:11], v[10:11], v[22:23]
	s_waitcnt lgkmcnt(0)
	v_mul_f64 v[16:17], v[6:7], v[122:123]
	v_fmac_f64_e32 v[16:17], v[8:9], v[124:125]
	v_fmac_f64_e32 v[24:25], v[4:5], v[126:127]
	v_add_f64 v[14:15], v[10:11], v[24:25]
	ds_read_b128 v[10:13], v254 offset:912
	v_add_f64 v[18:19], v[14:15], v[16:17]
	ds_read_b128 v[14:17], v254 offset:928
	v_mul_f64 v[88:89], v[88:89], v[94:95]
	v_mul_f64 v[92:93], v[92:93], v[116:117]
	s_waitcnt lgkmcnt(1)
	v_mul_f64 v[20:21], v[10:11], v[132:133]
	v_fmac_f64_e32 v[20:21], v[12:13], v[134:135]
	s_waitcnt lgkmcnt(0)
	v_mul_f64 v[24:25], v[14:15], v[128:129]
	v_add_f64 v[22:23], v[18:19], v[20:21]
	ds_read_b128 v[18:21], v254 offset:944
	v_fmac_f64_e32 v[24:25], v[16:17], v[130:131]
	v_add_f64 v[26:27], v[22:23], v[24:25]
	ds_read_b128 v[22:25], v254 offset:960
	v_fma_f64 v[200:201], v[90:91], v[248:249], -v[92:93]
	s_waitcnt lgkmcnt(1)
	v_mul_f64 v[28:29], v[18:19], v[144:145]
	v_fmac_f64_e32 v[28:29], v[20:21], v[146:147]
	v_add_f64 v[30:31], v[26:27], v[28:29]
	s_waitcnt lgkmcnt(0)
	v_mul_f64 v[32:33], v[22:23], v[136:137]
	ds_read_b128 v[26:29], v254 offset:976
	v_fmac_f64_e32 v[32:33], v[24:25], v[138:139]
	v_add_f64 v[34:35], v[30:31], v[32:33]
	ds_read_b128 v[30:33], v254 offset:992
	v_fma_f64 v[248:249], v[98:99], v[114:115], -v[100:101]
	s_waitcnt vmcnt(58) lgkmcnt(1)
	v_mul_f64 v[36:37], v[26:27], v[160:161]
	s_waitcnt vmcnt(56)
	v_fmac_f64_e32 v[36:37], v[28:29], v[164:165]
	v_add_f64 v[38:39], v[34:35], v[36:37]
	s_waitcnt lgkmcnt(0)
	v_mul_f64 v[40:41], v[30:31], v[140:141]
	ds_read_b128 v[34:37], v254 offset:1008
	v_fmac_f64_e32 v[40:41], v[32:33], v[142:143]
	v_add_f64 v[42:43], v[38:39], v[40:41]
	ds_read_b128 v[38:41], v254 offset:1024
	v_mul_f64 v[104:105], v[104:105], v[244:245]
	s_waitcnt vmcnt(50) lgkmcnt(1)
	v_mul_f64 v[44:45], v[34:35], v[168:169]
	s_waitcnt vmcnt(48)
	v_fmac_f64_e32 v[44:45], v[36:37], v[172:173]
	v_add_f64 v[46:47], v[42:43], v[44:45]
	s_waitcnt lgkmcnt(0)
	v_mul_f64 v[48:49], v[38:39], v[148:149]
	v_fmac_f64_e32 v[48:49], v[40:41], v[150:151]
	ds_read_b128 v[42:45], v254 offset:1040
	v_add_f64 v[50:51], v[46:47], v[48:49]
	ds_read_b128 v[46:49], v254 offset:1056
	buffer_load_dword v217, off, s[0:3], 0 offset:604
	buffer_load_dword v219, off, s[0:3], 0 offset:588
	;; [unrolled: 1-line block ×12, first 2 shown]
	v_mul_f64 v[112:113], v[112:113], v[240:241]
	s_waitcnt vmcnt(54) lgkmcnt(1)
	v_mul_f64 v[52:53], v[42:43], v[176:177]
	s_waitcnt vmcnt(52)
	v_fmac_f64_e32 v[52:53], v[44:45], v[180:181]
	v_add_f64 v[54:55], v[50:51], v[52:53]
	ds_read_b128 v[50:53], v254 offset:1072
	s_waitcnt lgkmcnt(1)
	v_mul_f64 v[56:57], v[46:47], v[152:153]
	v_fmac_f64_e32 v[56:57], v[48:49], v[154:155]
	buffer_load_dword v231, off, s[0:3], 0 offset:636
	buffer_load_dword v230, off, s[0:3], 0 offset:632
	;; [unrolled: 1-line block ×12, first 2 shown]
	v_add_f64 v[58:59], v[54:55], v[56:57]
	ds_read_b128 v[54:57], v254 offset:1088
	s_waitcnt vmcnt(58) lgkmcnt(1)
	v_mul_f64 v[60:61], v[50:51], v[184:185]
	s_waitcnt vmcnt(56)
	v_fmac_f64_e32 v[60:61], v[52:53], v[188:189]
	v_add_f64 v[62:63], v[58:59], v[60:61]
	ds_read_b128 v[58:61], v254 offset:1104
	s_waitcnt lgkmcnt(1)
	v_mul_f64 v[64:65], v[54:55], v[156:157]
	v_fmac_f64_e32 v[64:65], v[56:57], v[158:159]
	v_add_f64 v[70:71], v[62:63], v[64:65]
	ds_read_b128 v[62:65], v254 offset:1120
	ds_read_b128 v[66:69], v254 offset:1136
	s_waitcnt vmcnt(50) lgkmcnt(2)
	v_mul_f64 v[72:73], v[58:59], v[192:193]
	s_waitcnt vmcnt(48)
	v_fmac_f64_e32 v[72:73], v[60:61], v[202:203]
	v_add_f64 v[70:71], v[70:71], v[72:73]
	s_waitcnt lgkmcnt(1)
	v_mul_f64 v[72:73], v[62:63], v[162:163]
	v_fmac_f64_e32 v[72:73], v[64:65], v[166:167]
	v_add_f64 v[70:71], v[70:71], v[72:73]
	s_waitcnt vmcnt(42) lgkmcnt(0)
	v_mul_f64 v[72:73], v[66:67], v[204:205]
	s_waitcnt vmcnt(40)
	v_fmac_f64_e32 v[72:73], v[68:69], v[206:207]
	v_add_f64 v[194:195], v[70:71], v[72:73]
	ds_read_b128 v[70:73], v254 offset:1152
	ds_read_b128 v[74:77], v254 offset:1168
	;; [unrolled: 1-line block ×5, first 2 shown]
	s_waitcnt lgkmcnt(4)
	v_mul_f64 v[84:85], v[70:71], v[170:171]
	v_fmac_f64_e32 v[84:85], v[72:73], v[174:175]
	v_add_f64 v[82:83], v[194:195], v[84:85]
	s_waitcnt vmcnt(34) lgkmcnt(3)
	v_mul_f64 v[84:85], v[74:75], v[208:209]
	s_waitcnt vmcnt(32)
	v_fmac_f64_e32 v[84:85], v[76:77], v[210:211]
	v_add_f64 v[82:83], v[82:83], v[84:85]
	v_fma_f64 v[194:195], v[86:87], v[250:251], -v[88:89]
	ds_read_b128 v[86:89], v254 offset:1216
	s_waitcnt lgkmcnt(3)
	v_mul_f64 v[84:85], v[78:79], v[178:179]
	v_fmac_f64_e32 v[84:85], v[80:81], v[182:183]
	v_add_f64 v[96:97], v[82:83], v[84:85]
	ds_read_b128 v[82:85], v254 offset:1200
	v_fma_f64 v[250:251], v[102:103], v[246:247], -v[104:105]
	v_fma_f64 v[252:253], v[110:111], v[242:243], -v[112:113]
	ds_read_b128 v[110:113], v254 offset:1312
	v_add_f64 v[194:195], v[196:197], v[194:195]
	s_waitcnt vmcnt(26) lgkmcnt(1)
	v_mul_f64 v[94:95], v[82:83], v[212:213]
	s_waitcnt vmcnt(24)
	v_fmac_f64_e32 v[94:95], v[84:85], v[214:215]
	v_add_f64 v[94:95], v[96:97], v[94:95]
	v_mul_f64 v[96:97], v[86:87], v[186:187]
	v_fmac_f64_e32 v[96:97], v[88:89], v[190:191]
	v_add_f64 v[106:107], v[94:95], v[96:97]
	ds_read_b128 v[94:97], v254 offset:1248
	v_add_f64 v[194:195], v[194:195], v[200:201]
	v_mul_f64 v[4:5], v[4:5], v[120:121]
	v_fma_f64 v[2:3], v[2:3], v[126:127], -v[4:5]
	v_mul_f64 v[4:5], v[8:9], v[122:123]
	ds_read_b128 v[102:105], v254 offset:1296
	v_fma_f64 v[4:5], v[6:7], v[124:125], -v[4:5]
	s_waitcnt vmcnt(21)
	v_mul_f64 v[108:109], v[90:91], v[218:219]
	s_waitcnt vmcnt(19)
	v_fmac_f64_e32 v[108:109], v[92:93], v[224:225]
	v_add_f64 v[106:107], v[106:107], v[108:109]
	s_waitcnt vmcnt(18) lgkmcnt(1)
	v_mul_f64 v[108:109], v[94:95], v[216:217]
	s_waitcnt vmcnt(16)
	v_fmac_f64_e32 v[108:109], v[96:97], v[222:223]
	v_add_f64 v[114:115], v[106:107], v[108:109]
	ds_read_b128 v[106:109], v254 offset:1280
	buffer_load_dword v243, off, s[0:3], 0 offset:684
	buffer_load_dword v242, off, s[0:3], 0 offset:680
	;; [unrolled: 1-line block ×4, first 2 shown]
	s_waitcnt vmcnt(18)
	v_mul_f64 v[116:117], v[98:99], v[220:221]
	s_waitcnt vmcnt(16)
	v_fmac_f64_e32 v[116:117], v[100:101], v[226:227]
	v_add_f64 v[114:115], v[114:115], v[116:117]
	s_waitcnt vmcnt(14) lgkmcnt(0)
	v_mul_f64 v[116:117], v[106:107], v[230:231]
	s_waitcnt vmcnt(12)
	v_fmac_f64_e32 v[116:117], v[108:109], v[232:233]
	v_add_f64 v[114:115], v[114:115], v[116:117]
	s_waitcnt vmcnt(9)
	v_mul_f64 v[116:117], v[102:103], v[236:237]
	s_waitcnt vmcnt(7)
	v_fmac_f64_e32 v[116:117], v[104:105], v[238:239]
	v_add_f64 v[114:115], v[114:115], v[116:117]
	s_waitcnt vmcnt(5)
	v_mul_f64 v[116:117], v[110:111], v[228:229]
	s_waitcnt vmcnt(4)
	v_fmac_f64_e32 v[116:117], v[112:113], v[234:235]
	v_add_f64 v[240:241], v[114:115], v[116:117]
	ds_read_b128 v[114:117], v254 offset:1328
	v_add_f64 v[254:255], v[194:195], v[248:249]
	v_add_f64 v[194:195], v[254:255], v[250:251]
	;; [unrolled: 1-line block ×5, first 2 shown]
	v_mul_f64 v[4:5], v[12:13], v[132:133]
	v_fma_f64 v[4:5], v[10:11], v[134:135], -v[4:5]
	v_add_f64 v[2:3], v[2:3], v[4:5]
	v_mul_f64 v[4:5], v[16:17], v[128:129]
	v_fma_f64 v[4:5], v[14:15], v[130:131], -v[4:5]
	v_add_f64 v[2:3], v[2:3], v[4:5]
	;; [unrolled: 3-line block ×19, first 2 shown]
	v_mul_f64 v[4:5], v[88:89], v[186:187]
	v_fma_f64 v[4:5], v[86:87], v[190:191], -v[4:5]
	s_waitcnt vmcnt(2) lgkmcnt(0)
	v_mul_f64 v[246:247], v[114:115], v[242:243]
	v_add_f64 v[2:3], v[2:3], v[4:5]
	s_waitcnt vmcnt(0)
	v_fmac_f64_e32 v[246:247], v[116:117], v[244:245]
	v_add_f64 v[240:241], v[240:241], v[246:247]
	buffer_load_dword v248, off, s[0:3], 0 offset:96
	buffer_load_dword v249, off, s[0:3], 0 offset:100
	;; [unrolled: 1-line block ×4, first 2 shown]
	v_mul_f64 v[4:5], v[92:93], v[218:219]
	v_fma_f64 v[4:5], v[90:91], v[224:225], -v[4:5]
	v_add_f64 v[2:3], v[2:3], v[4:5]
	v_mul_f64 v[4:5], v[96:97], v[216:217]
	v_fma_f64 v[4:5], v[94:95], v[222:223], -v[4:5]
	v_add_f64 v[2:3], v[2:3], v[4:5]
	;; [unrolled: 3-line block ×7, first 2 shown]
	s_waitcnt vmcnt(2)
	v_add_f64 v[2:3], v[248:249], -v[2:3]
	s_waitcnt vmcnt(0)
	v_add_f64 v[4:5], v[246:247], -v[240:241]
	buffer_store_dword v3, off, s[0:3], 0 offset:100
	buffer_store_dword v2, off, s[0:3], 0 offset:96
	;; [unrolled: 1-line block ×4, first 2 shown]
	s_and_saveexec_b64 s[4:5], vcc
	s_cbranch_execz .LBB105_257
; %bb.256:
	v_accvgpr_read_b32 v0, a121
	buffer_load_dword v2, v0, s[0:3], 0 offen
	buffer_load_dword v3, v0, s[0:3], 0 offen offset:4
	buffer_load_dword v4, v0, s[0:3], 0 offen offset:8
	;; [unrolled: 1-line block ×3, first 2 shown]
	v_mov_b32_e32 v0, 0
	v_accvgpr_read_b32 v1, a126
	buffer_store_dword v0, off, s[0:3], 0 offset:80
	buffer_store_dword v0, off, s[0:3], 0 offset:84
	;; [unrolled: 1-line block ×4, first 2 shown]
	s_waitcnt vmcnt(4)
	ds_write_b128 v1, v[2:5]
.LBB105_257:
	s_or_b64 exec, exec, s[4:5]
	s_waitcnt lgkmcnt(0)
	; wave barrier
	s_waitcnt lgkmcnt(0)
	buffer_load_dword v66, off, s[0:3], 0 offset:96
	buffer_load_dword v67, off, s[0:3], 0 offset:100
	;; [unrolled: 1-line block ×55, first 2 shown]
	v_mov_b32_e32 v254, 0
	ds_read_b128 v[74:77], v254 offset:752
	ds_read_b128 v[86:89], v254 offset:768
	;; [unrolled: 1-line block ×9, first 2 shown]
	buffer_load_dword v138, off, s[0:3], 0 offset:320
	buffer_load_dword v157, off, s[0:3], 0 offset:316
	;; [unrolled: 1-line block ×61, first 2 shown]
	s_waitcnt vmcnt(62) lgkmcnt(8)
	v_mul_f64 v[6:7], v[74:75], v[68:69]
	v_fmac_f64_e32 v[6:7], v[76:77], v[66:67]
	v_add_f64 v[6:7], v[6:7], 0
	v_mul_f64 v[68:69], v[76:77], v[68:69]
	s_waitcnt lgkmcnt(7)
	v_mul_f64 v[8:9], v[86:87], v[72:73]
	v_fmac_f64_e32 v[8:9], v[88:89], v[70:71]
	s_waitcnt lgkmcnt(6)
	v_mul_f64 v[10:11], v[98:99], v[78:79]
	v_add_f64 v[6:7], v[6:7], v[8:9]
	s_waitcnt lgkmcnt(4)
	v_mul_f64 v[14:15], v[114:115], v[90:91]
	v_fma_f64 v[194:195], v[74:75], v[66:67], -v[68:69]
	v_fmac_f64_e32 v[14:15], v[116:117], v[92:93]
	v_mul_f64 v[72:73], v[88:89], v[72:73]
	v_mul_f64 v[12:13], v[110:111], v[82:83]
	v_fma_f64 v[196:197], v[86:87], v[70:71], -v[72:73]
	s_waitcnt lgkmcnt(2)
	v_mul_f64 v[18:19], v[246:247], v[102:103]
	v_mul_f64 v[78:79], v[100:101], v[78:79]
	;; [unrolled: 1-line block ×5, first 2 shown]
	s_waitcnt lgkmcnt(1)
	v_mul_f64 v[20:21], v[250:251], v[106:107]
	v_fmac_f64_e32 v[20:21], v[252:253], v[108:109]
	v_fmac_f64_e32 v[10:11], v[100:101], v[80:81]
	v_add_f64 v[6:7], v[6:7], v[10:11]
	v_fmac_f64_e32 v[12:13], v[112:113], v[84:85]
	v_add_f64 v[6:7], v[6:7], v[12:13]
	;; [unrolled: 2-line block ×4, first 2 shown]
	v_add_f64 v[6:7], v[6:7], v[18:19]
	v_add_f64 v[10:11], v[6:7], v[20:21]
	ds_read_b128 v[6:9], v254 offset:896
	s_waitcnt lgkmcnt(1)
	v_mul_f64 v[12:13], v[2:3], v[120:121]
	v_fmac_f64_e32 v[12:13], v[4:5], v[122:123]
	v_add_f64 v[14:15], v[10:11], v[12:13]
	ds_read_b128 v[10:13], v254 offset:912
	s_waitcnt lgkmcnt(1)
	v_mul_f64 v[16:17], v[6:7], v[128:129]
	v_fmac_f64_e32 v[16:17], v[8:9], v[130:131]
	;; [unrolled: 5-line block ×5, first 2 shown]
	v_add_f64 v[30:31], v[26:27], v[28:29]
	ds_read_b128 v[26:29], v254 offset:976
	s_waitcnt vmcnt(58) lgkmcnt(1)
	v_mul_f64 v[32:33], v[22:23], v[156:157]
	s_waitcnt vmcnt(56)
	v_fmac_f64_e32 v[32:33], v[24:25], v[160:161]
	v_add_f64 v[34:35], v[30:31], v[32:33]
	ds_read_b128 v[30:33], v254 offset:992
	s_waitcnt lgkmcnt(1)
	v_mul_f64 v[36:37], v[26:27], v[136:137]
	v_fmac_f64_e32 v[36:37], v[28:29], v[138:139]
	v_add_f64 v[38:39], v[34:35], v[36:37]
	ds_read_b128 v[34:37], v254 offset:1008
	s_waitcnt vmcnt(50) lgkmcnt(1)
	v_mul_f64 v[40:41], v[30:31], v[164:165]
	s_waitcnt vmcnt(48)
	v_fmac_f64_e32 v[40:41], v[32:33], v[168:169]
	v_add_f64 v[42:43], v[38:39], v[40:41]
	ds_read_b128 v[38:41], v254 offset:1024
	s_waitcnt lgkmcnt(1)
	v_mul_f64 v[44:45], v[34:35], v[144:145]
	v_fmac_f64_e32 v[44:45], v[36:37], v[146:147]
	v_add_f64 v[46:47], v[42:43], v[44:45]
	ds_read_b128 v[42:45], v254 offset:1040
	s_waitcnt vmcnt(42) lgkmcnt(1)
	v_mul_f64 v[48:49], v[38:39], v[172:173]
	s_waitcnt vmcnt(40)
	v_fmac_f64_e32 v[48:49], v[40:41], v[176:177]
	v_add_f64 v[50:51], v[46:47], v[48:49]
	ds_read_b128 v[46:49], v254 offset:1056
	buffer_load_dword v215, off, s[0:3], 0 offset:572
	buffer_load_dword v214, off, s[0:3], 0 offset:568
	;; [unrolled: 1-line block ×4, first 2 shown]
	s_waitcnt lgkmcnt(1)
	v_mul_f64 v[52:53], v[42:43], v[148:149]
	v_fmac_f64_e32 v[52:53], v[44:45], v[150:151]
	v_add_f64 v[54:55], v[50:51], v[52:53]
	ds_read_b128 v[50:53], v254 offset:1072
	buffer_load_dword v219, off, s[0:3], 0 offset:588
	buffer_load_dword v218, off, s[0:3], 0 offset:584
	buffer_load_dword v223, off, s[0:3], 0 offset:580
	buffer_load_dword v222, off, s[0:3], 0 offset:576
	buffer_load_dword v221, off, s[0:3], 0 offset:604
	buffer_load_dword v220, off, s[0:3], 0 offset:600
	buffer_load_dword v225, off, s[0:3], 0 offset:596
	buffer_load_dword v224, off, s[0:3], 0 offset:592
	s_waitcnt vmcnt(46) lgkmcnt(1)
	v_mul_f64 v[56:57], v[46:47], v[180:181]
	s_waitcnt vmcnt(44)
	v_fmac_f64_e32 v[56:57], v[48:49], v[184:185]
	v_add_f64 v[58:59], v[54:55], v[56:57]
	ds_read_b128 v[54:57], v254 offset:1088
	buffer_load_dword v229, off, s[0:3], 0 offset:620
	buffer_load_dword v228, off, s[0:3], 0 offset:616
	;; [unrolled: 1-line block ×12, first 2 shown]
	s_waitcnt lgkmcnt(1)
	v_mul_f64 v[60:61], v[50:51], v[152:153]
	v_fmac_f64_e32 v[60:61], v[52:53], v[154:155]
	v_add_f64 v[62:63], v[58:59], v[60:61]
	ds_read_b128 v[58:61], v254 offset:1104
	s_waitcnt vmcnt(50) lgkmcnt(1)
	v_mul_f64 v[64:65], v[54:55], v[188:189]
	s_waitcnt vmcnt(48)
	v_fmac_f64_e32 v[64:65], v[56:57], v[190:191]
	v_add_f64 v[62:63], v[62:63], v[64:65]
	buffer_load_dword v239, off, s[0:3], 0 offset:668
	buffer_load_dword v238, off, s[0:3], 0 offset:664
	;; [unrolled: 1-line block ×4, first 2 shown]
	s_waitcnt lgkmcnt(0)
	v_mul_f64 v[64:65], v[58:59], v[158:159]
	v_fmac_f64_e32 v[64:65], v[60:61], v[162:163]
	v_add_f64 v[192:193], v[62:63], v[64:65]
	ds_read_b128 v[62:65], v254 offset:1120
	ds_read_b128 v[66:69], v254 offset:1136
	ds_read_b128 v[70:73], v254 offset:1152
	v_fma_f64 v[198:199], v[98:99], v[80:81], -v[78:79]
	ds_read_b128 v[78:81], v254 offset:1184
	s_waitcnt vmcnt(46) lgkmcnt(3)
	v_mul_f64 v[74:75], v[62:63], v[202:203]
	s_waitcnt vmcnt(44)
	v_fmac_f64_e32 v[74:75], v[64:65], v[204:205]
	s_waitcnt lgkmcnt(2)
	v_mul_f64 v[76:77], v[66:67], v[166:167]
	v_add_f64 v[74:75], v[192:193], v[74:75]
	v_fmac_f64_e32 v[76:77], v[68:69], v[170:171]
	v_add_f64 v[86:87], v[74:75], v[76:77]
	ds_read_b128 v[74:77], v254 offset:1168
	s_waitcnt vmcnt(38) lgkmcnt(2)
	v_mul_f64 v[88:89], v[70:71], v[206:207]
	s_waitcnt vmcnt(36)
	v_fmac_f64_e32 v[88:89], v[72:73], v[208:209]
	v_fma_f64 v[200:201], v[110:111], v[84:85], -v[82:83]
	ds_read_b128 v[82:85], v254 offset:1200
	v_add_f64 v[86:87], v[86:87], v[88:89]
	s_waitcnt lgkmcnt(1)
	v_mul_f64 v[88:89], v[74:75], v[174:175]
	v_fmac_f64_e32 v[88:89], v[76:77], v[178:179]
	v_add_f64 v[86:87], v[86:87], v[88:89]
	s_waitcnt vmcnt(30)
	v_mul_f64 v[88:89], v[78:79], v[210:211]
	s_waitcnt vmcnt(28)
	v_fmac_f64_e32 v[88:89], v[80:81], v[212:213]
	v_add_f64 v[86:87], v[86:87], v[88:89]
	s_waitcnt lgkmcnt(0)
	v_mul_f64 v[88:89], v[82:83], v[182:183]
	v_fmac_f64_e32 v[88:89], v[84:85], v[186:187]
	v_add_f64 v[98:99], v[86:87], v[88:89]
	ds_read_b128 v[86:89], v254 offset:1216
	v_fma_f64 v[118:119], v[114:115], v[92:93], -v[90:91]
	ds_read_b128 v[90:93], v254 offset:1232
	v_mul_f64 v[94:95], v[244:245], v[94:95]
	v_fma_f64 v[0:1], v[242:243], v[96:97], -v[94:95]
	ds_read_b128 v[94:97], v254 offset:1248
	v_mul_f64 v[102:103], v[248:249], v[102:103]
	;; [unrolled: 3-line block ×3, first 2 shown]
	v_fma_f64 v[250:251], v[250:251], v[108:109], -v[106:107]
	v_add_f64 v[194:195], v[194:195], 0
	v_add_f64 v[194:195], v[194:195], v[196:197]
	;; [unrolled: 1-line block ×7, first 2 shown]
	v_mul_f64 v[4:5], v[4:5], v[120:121]
	v_add_f64 v[0:1], v[252:253], v[250:251]
	v_fma_f64 v[2:3], v[2:3], v[122:123], -v[4:5]
	v_add_f64 v[0:1], v[0:1], v[2:3]
	v_mul_f64 v[2:3], v[8:9], v[128:129]
	v_fma_f64 v[2:3], v[6:7], v[130:131], -v[2:3]
	v_add_f64 v[0:1], v[0:1], v[2:3]
	ds_read_b128 v[106:109], v254 offset:1296
	v_mul_f64 v[2:3], v[12:13], v[124:125]
	v_fma_f64 v[2:3], v[10:11], v[126:127], -v[2:3]
	v_add_f64 v[0:1], v[0:1], v[2:3]
	s_waitcnt vmcnt(26) lgkmcnt(4)
	v_mul_f64 v[100:101], v[86:87], v[214:215]
	v_mul_f64 v[2:3], v[16:17], v[140:141]
	s_waitcnt vmcnt(24)
	v_fmac_f64_e32 v[100:101], v[88:89], v[216:217]
	v_add_f64 v[98:99], v[98:99], v[100:101]
	s_waitcnt vmcnt(22) lgkmcnt(3)
	v_mul_f64 v[100:101], v[90:91], v[218:219]
	s_waitcnt vmcnt(20)
	v_fmac_f64_e32 v[100:101], v[92:93], v[222:223]
	v_add_f64 v[98:99], v[98:99], v[100:101]
	s_waitcnt vmcnt(18) lgkmcnt(2)
	v_mul_f64 v[100:101], v[94:95], v[220:221]
	s_waitcnt vmcnt(16)
	v_fmac_f64_e32 v[100:101], v[96:97], v[224:225]
	v_add_f64 v[110:111], v[98:99], v[100:101]
	ds_read_b128 v[98:101], v254 offset:1264
	v_fma_f64 v[2:3], v[14:15], v[142:143], -v[2:3]
	v_add_f64 v[0:1], v[0:1], v[2:3]
	v_mul_f64 v[2:3], v[20:21], v[132:133]
	v_fma_f64 v[2:3], v[18:19], v[134:135], -v[2:3]
	s_waitcnt vmcnt(14) lgkmcnt(0)
	v_mul_f64 v[112:113], v[98:99], v[228:229]
	s_waitcnt vmcnt(12)
	v_fmac_f64_e32 v[112:113], v[100:101], v[230:231]
	v_add_f64 v[110:111], v[110:111], v[112:113]
	s_waitcnt vmcnt(9)
	v_mul_f64 v[112:113], v[102:103], v[234:235]
	s_waitcnt vmcnt(7)
	v_fmac_f64_e32 v[112:113], v[104:105], v[236:237]
	v_add_f64 v[110:111], v[110:111], v[112:113]
	s_waitcnt vmcnt(5)
	v_mul_f64 v[112:113], v[106:107], v[226:227]
	s_waitcnt vmcnt(4)
	v_fmac_f64_e32 v[112:113], v[108:109], v[232:233]
	v_add_f64 v[114:115], v[110:111], v[112:113]
	ds_read_b128 v[110:113], v254 offset:1312
	buffer_load_dword v242, off, s[0:3], 0 offset:680
	buffer_load_dword v243, off, s[0:3], 0 offset:684
	;; [unrolled: 1-line block ×4, first 2 shown]
	v_add_f64 v[0:1], v[0:1], v[2:3]
	v_mul_f64 v[2:3], v[24:25], v[156:157]
	v_fma_f64 v[2:3], v[22:23], v[160:161], -v[2:3]
	s_waitcnt vmcnt(6) lgkmcnt(0)
	v_mul_f64 v[116:117], v[110:111], v[238:239]
	s_waitcnt vmcnt(4)
	v_fmac_f64_e32 v[116:117], v[112:113], v[240:241]
	v_add_f64 v[192:193], v[114:115], v[116:117]
	ds_read_b128 v[114:117], v254 offset:1328
	v_add_f64 v[0:1], v[0:1], v[2:3]
	v_mul_f64 v[2:3], v[28:29], v[136:137]
	v_fma_f64 v[2:3], v[26:27], v[138:139], -v[2:3]
	v_add_f64 v[0:1], v[0:1], v[2:3]
	v_mul_f64 v[2:3], v[32:33], v[164:165]
	v_fma_f64 v[2:3], v[30:31], v[168:169], -v[2:3]
	;; [unrolled: 3-line block ×22, first 2 shown]
	v_add_f64 v[0:1], v[0:1], v[2:3]
	s_waitcnt vmcnt(2) lgkmcnt(0)
	v_mul_f64 v[248:249], v[114:115], v[242:243]
	v_mul_f64 v[2:3], v[116:117], v[242:243]
	s_waitcnt vmcnt(0)
	v_fmac_f64_e32 v[248:249], v[116:117], v[244:245]
	v_add_f64 v[192:193], v[192:193], v[248:249]
	buffer_load_dword v248, off, s[0:3], 0 offset:80
	buffer_load_dword v249, off, s[0:3], 0 offset:84
	;; [unrolled: 1-line block ×4, first 2 shown]
	v_fma_f64 v[2:3], v[114:115], v[244:245], -v[2:3]
	v_add_f64 v[0:1], v[0:1], v[2:3]
	s_waitcnt vmcnt(2)
	v_add_f64 v[0:1], v[248:249], -v[0:1]
	s_waitcnt vmcnt(0)
	v_add_f64 v[2:3], v[246:247], -v[192:193]
	buffer_store_dword v1, off, s[0:3], 0 offset:84
	buffer_store_dword v0, off, s[0:3], 0 offset:80
	;; [unrolled: 1-line block ×4, first 2 shown]
	v_accvgpr_read_b32 v0, a125
	v_cmp_lt_u32_e32 vcc, 3, v0
	s_and_saveexec_b64 s[4:5], vcc
	s_cbranch_execz .LBB105_259
; %bb.258:
	v_accvgpr_read_b32 v0, a122
	buffer_load_dword v2, v0, s[0:3], 0 offen
	buffer_load_dword v3, v0, s[0:3], 0 offen offset:4
	buffer_load_dword v4, v0, s[0:3], 0 offen offset:8
	;; [unrolled: 1-line block ×3, first 2 shown]
	v_accvgpr_read_b32 v0, a126
	buffer_store_dword v254, off, s[0:3], 0 offset:64
	buffer_store_dword v254, off, s[0:3], 0 offset:68
	;; [unrolled: 1-line block ×4, first 2 shown]
	s_waitcnt vmcnt(4)
	ds_write_b128 v0, v[2:5]
.LBB105_259:
	s_or_b64 exec, exec, s[4:5]
	s_waitcnt lgkmcnt(0)
	; wave barrier
	s_waitcnt lgkmcnt(0)
	buffer_load_dword v66, off, s[0:3], 0 offset:80
	buffer_load_dword v67, off, s[0:3], 0 offset:84
	;; [unrolled: 1-line block ×42, first 2 shown]
	ds_read_b128 v[78:81], v254 offset:736
	ds_read_b128 v[90:93], v254 offset:752
	;; [unrolled: 1-line block ×10, first 2 shown]
	buffer_load_dword v131, off, s[0:3], 0 offset:228
	buffer_load_dword v130, off, s[0:3], 0 offset:224
	ds_read_b128 v[6:9], v254 offset:896
	buffer_load_dword v127, off, s[0:3], 0 offset:284
	buffer_load_dword v126, off, s[0:3], 0 offset:280
	;; [unrolled: 1-line block ×80, first 2 shown]
	s_waitcnt vmcnt(62) lgkmcnt(9)
	v_mul_f64 v[10:11], v[90:91], v[64:65]
	v_fmac_f64_e32 v[10:11], v[92:93], v[62:63]
	s_waitcnt lgkmcnt(8)
	v_mul_f64 v[12:13], v[102:103], v[70:71]
	v_mul_f64 v[64:65], v[92:93], v[64:65]
	s_waitcnt lgkmcnt(6)
	v_mul_f64 v[16:17], v[114:115], v[82:83]
	v_fma_f64 v[196:197], v[90:91], v[62:63], -v[64:65]
	v_fmac_f64_e32 v[16:17], v[116:117], v[84:85]
	v_mul_f64 v[70:71], v[104:105], v[70:71]
	v_mul_f64 v[14:15], v[110:111], v[74:75]
	;; [unrolled: 1-line block ×3, first 2 shown]
	s_waitcnt lgkmcnt(4)
	v_mul_f64 v[20:21], v[246:247], v[94:95]
	v_mul_f64 v[82:83], v[116:117], v[82:83]
	v_fmac_f64_e32 v[20:21], v[248:249], v[96:97]
	v_mul_f64 v[94:95], v[248:249], v[94:95]
	v_mul_f64 v[18:19], v[242:243], v[86:87]
	;; [unrolled: 1-line block ×3, first 2 shown]
	s_waitcnt lgkmcnt(2)
	v_mul_f64 v[24:25], v[192:193], v[106:107]
	v_fma_f64 v[246:247], v[246:247], v[96:97], -v[94:95]
	v_mul_f64 v[106:107], v[194:195], v[106:107]
	v_mul_f64 v[22:23], v[250:251], v[98:99]
	;; [unrolled: 1-line block ×3, first 2 shown]
	s_waitcnt lgkmcnt(1)
	v_mul_f64 v[26:27], v[120:121], v[4:5]
	v_mul_f64 v[4:5], v[122:123], v[4:5]
	v_fmac_f64_e32 v[12:13], v[104:105], v[72:73]
	v_fma_f64 v[198:199], v[102:103], v[72:73], -v[70:71]
	v_fmac_f64_e32 v[14:15], v[112:113], v[76:77]
	v_fma_f64 v[200:201], v[110:111], v[76:77], -v[74:75]
	;; [unrolled: 2-line block ×3, first 2 shown]
	v_fmac_f64_e32 v[22:23], v[252:253], v[100:101]
	v_fmac_f64_e32 v[24:25], v[194:195], v[108:109]
	v_fma_f64 v[250:251], v[250:251], v[100:101], -v[98:99]
	v_fma_f64 v[252:253], v[192:193], v[108:109], -v[106:107]
	v_pk_mov_b32 v[2:3], v[0:1], v[0:1] op_sel:[0,1]
	v_mul_f64 v[0:1], v[78:79], v[68:69]
	v_fmac_f64_e32 v[0:1], v[80:81], v[66:67]
	v_add_f64 v[0:1], v[0:1], 0
	v_add_f64 v[0:1], v[0:1], v[10:11]
	;; [unrolled: 1-line block ×9, first 2 shown]
	v_fmac_f64_e32 v[26:27], v[122:123], v[130:131]
	ds_read_b128 v[10:13], v254 offset:912
	s_waitcnt lgkmcnt(1)
	v_mul_f64 v[14:15], v[6:7], v[2:3]
	v_add_f64 v[0:1], v[0:1], v[26:27]
	v_fmac_f64_e32 v[14:15], v[8:9], v[124:125]
	v_add_f64 v[0:1], v[0:1], v[14:15]
	ds_read_b128 v[14:17], v254 offset:928
	s_waitcnt lgkmcnt(1)
	v_mul_f64 v[18:19], v[10:11], v[132:133]
	v_fmac_f64_e32 v[18:19], v[12:13], v[148:149]
	v_add_f64 v[0:1], v[0:1], v[18:19]
	ds_read_b128 v[18:21], v254 offset:944
	s_waitcnt lgkmcnt(1)
	v_mul_f64 v[22:23], v[14:15], v[126:127]
	;; [unrolled: 5-line block ×4, first 2 shown]
	v_fmac_f64_e32 v[30:31], v[24:25], v[136:137]
	v_add_f64 v[0:1], v[0:1], v[30:31]
	ds_read_b128 v[30:33], v254 offset:992
	s_waitcnt vmcnt(58) lgkmcnt(1)
	v_mul_f64 v[34:35], v[26:27], v[160:161]
	s_waitcnt vmcnt(56)
	v_fmac_f64_e32 v[34:35], v[28:29], v[164:165]
	v_add_f64 v[0:1], v[0:1], v[34:35]
	ds_read_b128 v[34:37], v254 offset:1008
	s_waitcnt lgkmcnt(1)
	v_mul_f64 v[38:39], v[30:31], v[138:139]
	v_fmac_f64_e32 v[38:39], v[32:33], v[140:141]
	v_add_f64 v[0:1], v[0:1], v[38:39]
	ds_read_b128 v[38:41], v254 offset:1024
	s_waitcnt vmcnt(50) lgkmcnt(1)
	v_mul_f64 v[42:43], v[34:35], v[168:169]
	s_waitcnt vmcnt(48)
	v_fmac_f64_e32 v[42:43], v[36:37], v[172:173]
	v_add_f64 v[0:1], v[0:1], v[42:43]
	ds_read_b128 v[42:45], v254 offset:1040
	s_waitcnt lgkmcnt(1)
	v_mul_f64 v[46:47], v[38:39], v[142:143]
	;; [unrolled: 11-line block ×3, first 2 shown]
	buffer_load_dword v191, off, s[0:3], 0 offset:588
	buffer_load_dword v190, off, s[0:3], 0 offset:584
	;; [unrolled: 1-line block ×4, first 2 shown]
	v_fmac_f64_e32 v[54:55], v[48:49], v[150:151]
	v_add_f64 v[0:1], v[0:1], v[54:55]
	ds_read_b128 v[54:57], v254 offset:1088
	buffer_load_dword v224, off, s[0:3], 0 offset:600
	buffer_load_dword v226, off, s[0:3], 0 offset:592
	;; [unrolled: 1-line block ×16, first 2 shown]
	s_waitcnt vmcnt(54) lgkmcnt(1)
	v_mul_f64 v[58:59], v[50:51], v[184:185]
	s_waitcnt vmcnt(52)
	v_fmac_f64_e32 v[58:59], v[52:53], v[188:189]
	v_add_f64 v[0:1], v[0:1], v[58:59]
	ds_read_b128 v[58:61], v254 offset:1104
	buffer_load_dword v238, off, s[0:3], 0 offset:664
	buffer_load_dword v240, off, s[0:3], 0 offset:656
	;; [unrolled: 1-line block ×4, first 2 shown]
	v_mul_f64 v[68:69], v[80:81], v[68:69]
	ds_read_b128 v[62:65], v254 offset:1120
	ds_read_b128 v[70:73], v254 offset:1152
	v_fma_f64 v[118:119], v[78:79], v[66:67], -v[68:69]
	s_waitcnt lgkmcnt(3)
	v_mul_f64 v[66:67], v[54:55], v[154:155]
	v_fmac_f64_e32 v[66:67], v[56:57], v[158:159]
	v_add_f64 v[0:1], v[0:1], v[66:67]
	s_waitcnt vmcnt(50) lgkmcnt(2)
	v_mul_f64 v[66:67], v[58:59], v[204:205]
	s_waitcnt vmcnt(48)
	v_fmac_f64_e32 v[66:67], v[60:61], v[206:207]
	v_add_f64 v[0:1], v[0:1], v[66:67]
	s_waitcnt lgkmcnt(1)
	v_mul_f64 v[66:67], v[62:63], v[162:163]
	v_fmac_f64_e32 v[66:67], v[64:65], v[166:167]
	v_add_f64 v[0:1], v[0:1], v[66:67]
	ds_read_b128 v[66:69], v254 offset:1136
	ds_read_b128 v[74:77], v254 offset:1168
	v_accvgpr_write_b32 a129, v3
	v_accvgpr_write_b32 a128, v2
	v_fma_f64 v[2:3], v[114:115], v[84:85], -v[82:83]
	s_waitcnt vmcnt(42) lgkmcnt(1)
	v_mul_f64 v[78:79], v[66:67], v[208:209]
	s_waitcnt vmcnt(40)
	v_fmac_f64_e32 v[78:79], v[68:69], v[210:211]
	v_add_f64 v[0:1], v[0:1], v[78:79]
	v_mul_f64 v[78:79], v[70:71], v[170:171]
	v_fmac_f64_e32 v[78:79], v[72:73], v[174:175]
	v_add_f64 v[0:1], v[0:1], v[78:79]
	ds_read_b128 v[78:81], v254 offset:1184
	ds_read_b128 v[82:85], v254 offset:1200
	s_waitcnt vmcnt(34) lgkmcnt(2)
	v_mul_f64 v[90:91], v[74:75], v[212:213]
	s_waitcnt vmcnt(32)
	v_fmac_f64_e32 v[90:91], v[76:77], v[214:215]
	ds_read_b128 v[86:89], v254 offset:1216
	ds_read_b128 v[94:97], v254 offset:1248
	v_add_f64 v[0:1], v[0:1], v[90:91]
	s_waitcnt lgkmcnt(3)
	v_mul_f64 v[90:91], v[78:79], v[178:179]
	v_fmac_f64_e32 v[90:91], v[80:81], v[182:183]
	v_add_f64 v[0:1], v[0:1], v[90:91]
	s_waitcnt vmcnt(26) lgkmcnt(2)
	v_mul_f64 v[90:91], v[82:83], v[216:217]
	s_waitcnt vmcnt(24)
	v_fmac_f64_e32 v[90:91], v[84:85], v[218:219]
	v_add_f64 v[0:1], v[0:1], v[90:91]
	s_waitcnt lgkmcnt(1)
	v_mul_f64 v[90:91], v[86:87], v[186:187]
	v_fmac_f64_e32 v[90:91], v[88:89], v[202:203]
	v_add_f64 v[0:1], v[0:1], v[90:91]
	ds_read_b128 v[90:93], v254 offset:1232
	ds_read_b128 v[98:101], v254 offset:1264
	v_add_f64 v[118:119], v[118:119], 0
	v_add_f64 v[118:119], v[118:119], v[196:197]
	;; [unrolled: 1-line block ×6, first 2 shown]
	v_fma_f64 v[4:5], v[120:121], v[130:131], -v[4:5]
	ds_read_b128 v[106:109], v254 offset:1296
	s_waitcnt vmcnt(13) lgkmcnt(1)
	v_mul_f64 v[110:111], v[98:99], v[228:229]
	v_mul_f64 v[102:103], v[90:91], v[190:191]
	s_waitcnt vmcnt(11)
	v_fmac_f64_e32 v[110:111], v[100:101], v[234:235]
	v_fmac_f64_e32 v[102:103], v[92:93], v[220:221]
	v_add_f64 v[0:1], v[0:1], v[102:103]
	v_mul_f64 v[102:103], v[94:95], v[224:225]
	v_fmac_f64_e32 v[102:103], v[96:97], v[226:227]
	v_add_f64 v[0:1], v[0:1], v[102:103]
	ds_read_b128 v[102:105], v254 offset:1280
	v_add_f64 v[0:1], v[0:1], v[110:111]
	s_waitcnt vmcnt(10) lgkmcnt(0)
	v_mul_f64 v[110:111], v[102:103], v[222:223]
	s_waitcnt vmcnt(8)
	v_fmac_f64_e32 v[110:111], v[104:105], v[232:233]
	v_add_f64 v[0:1], v[0:1], v[110:111]
	s_waitcnt vmcnt(6)
	v_mul_f64 v[110:111], v[106:107], v[230:231]
	s_waitcnt vmcnt(4)
	v_fmac_f64_e32 v[110:111], v[108:109], v[236:237]
	v_add_f64 v[0:1], v[0:1], v[110:111]
	ds_read_b128 v[110:113], v254 offset:1312
	s_waitcnt vmcnt(1) lgkmcnt(0)
	v_mul_f64 v[114:115], v[110:111], v[238:239]
	s_waitcnt vmcnt(0)
	v_fmac_f64_e32 v[114:115], v[112:113], v[240:241]
	v_add_f64 v[192:193], v[0:1], v[114:115]
	buffer_load_dword v1, off, s[0:3], 0 offset:684
	buffer_load_dword v0, off, s[0:3], 0 offset:680
	;; [unrolled: 1-line block ×4, first 2 shown]
	ds_read_b128 v[114:117], v254 offset:1328
	v_add_f64 v[254:255], v[2:3], v[246:247]
	buffer_load_dword v248, off, s[0:3], 0 offset:64
	buffer_load_dword v249, off, s[0:3], 0 offset:68
	;; [unrolled: 1-line block ×4, first 2 shown]
	v_add_f64 v[2:3], v[254:255], v[250:251]
	v_add_f64 v[2:3], v[2:3], v[252:253]
	;; [unrolled: 1-line block ×3, first 2 shown]
	v_accvgpr_read_b32 v4, a128
	v_accvgpr_read_b32 v5, a129
	v_mul_f64 v[4:5], v[8:9], v[4:5]
	v_fma_f64 v[4:5], v[6:7], v[124:125], -v[4:5]
	v_add_f64 v[2:3], v[2:3], v[4:5]
	v_mul_f64 v[4:5], v[12:13], v[132:133]
	v_fma_f64 v[4:5], v[10:11], v[148:149], -v[4:5]
	v_add_f64 v[2:3], v[2:3], v[4:5]
	;; [unrolled: 3-line block ×26, first 2 shown]
	v_mul_f64 v[4:5], v[112:113], v[238:239]
	s_waitcnt vmcnt(6) lgkmcnt(0)
	v_mul_f64 v[194:195], v[114:115], v[0:1]
	v_fma_f64 v[4:5], v[110:111], v[240:241], -v[4:5]
	v_mul_f64 v[0:1], v[116:117], v[0:1]
	v_add_f64 v[2:3], v[2:3], v[4:5]
	s_waitcnt vmcnt(4)
	v_fma_f64 v[0:1], v[114:115], v[244:245], -v[0:1]
	v_fmac_f64_e32 v[194:195], v[116:117], v[244:245]
	v_add_f64 v[0:1], v[2:3], v[0:1]
	v_add_f64 v[192:193], v[192:193], v[194:195]
	s_waitcnt vmcnt(2)
	v_add_f64 v[0:1], v[248:249], -v[0:1]
	s_waitcnt vmcnt(0)
	v_add_f64 v[2:3], v[246:247], -v[192:193]
	buffer_store_dword v1, off, s[0:3], 0 offset:68
	buffer_store_dword v0, off, s[0:3], 0 offset:64
	;; [unrolled: 1-line block ×4, first 2 shown]
	v_accvgpr_read_b32 v0, a125
	v_cmp_lt_u32_e32 vcc, 2, v0
	s_and_saveexec_b64 s[4:5], vcc
	s_cbranch_execz .LBB105_261
; %bb.260:
	v_accvgpr_read_b32 v0, a123
	buffer_load_dword v2, v0, s[0:3], 0 offen
	buffer_load_dword v3, v0, s[0:3], 0 offen offset:4
	buffer_load_dword v4, v0, s[0:3], 0 offen offset:8
	;; [unrolled: 1-line block ×3, first 2 shown]
	v_mov_b32_e32 v0, 0
	v_accvgpr_read_b32 v1, a126
	buffer_store_dword v0, off, s[0:3], 0 offset:48
	buffer_store_dword v0, off, s[0:3], 0 offset:52
	;; [unrolled: 1-line block ×4, first 2 shown]
	s_waitcnt vmcnt(4)
	ds_write_b128 v1, v[2:5]
.LBB105_261:
	s_or_b64 exec, exec, s[4:5]
	s_waitcnt lgkmcnt(0)
	; wave barrier
	s_waitcnt lgkmcnt(0)
	buffer_load_dword v54, off, s[0:3], 0 offset:64
	buffer_load_dword v55, off, s[0:3], 0 offset:68
	;; [unrolled: 1-line block ×49, first 2 shown]
	v_mov_b32_e32 v192, 0
	ds_read_b128 v[62:65], v192 offset:720
	ds_read_b128 v[74:77], v192 offset:736
	;; [unrolled: 1-line block ×11, first 2 shown]
	buffer_load_dword v128, off, s[0:3], 0 offset:248
	buffer_load_dword v145, off, s[0:3], 0 offset:244
	;; [unrolled: 1-line block ×75, first 2 shown]
	s_waitcnt vmcnt(62) lgkmcnt(9)
	v_mul_f64 v[6:7], v[74:75], v[60:61]
	v_fmac_f64_e32 v[6:7], v[76:77], v[58:59]
	s_waitcnt lgkmcnt(8)
	v_mul_f64 v[8:9], v[86:87], v[66:67]
	v_mul_f64 v[60:61], v[76:77], v[60:61]
	s_waitcnt lgkmcnt(6)
	v_mul_f64 v[12:13], v[110:111], v[78:79]
	v_fma_f64 v[190:191], v[74:75], v[58:59], -v[60:61]
	v_fmac_f64_e32 v[12:13], v[112:113], v[80:81]
	v_mul_f64 v[66:67], v[88:89], v[66:67]
	v_mul_f64 v[10:11], v[98:99], v[70:71]
	;; [unrolled: 1-line block ×3, first 2 shown]
	s_waitcnt lgkmcnt(4)
	v_mul_f64 v[16:17], v[186:187], v[90:91]
	v_mul_f64 v[78:79], v[112:113], v[78:79]
	v_fmac_f64_e32 v[16:17], v[188:189], v[92:93]
	v_fma_f64 v[198:199], v[110:111], v[80:81], -v[78:79]
	v_mul_f64 v[14:15], v[114:115], v[82:83]
	v_mul_f64 v[82:83], v[116:117], v[82:83]
	s_waitcnt lgkmcnt(2)
	v_mul_f64 v[20:21], v[248:249], v[102:103]
	v_mul_f64 v[90:91], v[188:189], v[90:91]
	;; [unrolled: 1-line block ×5, first 2 shown]
	s_waitcnt lgkmcnt(1)
	v_mul_f64 v[22:23], v[252:253], v[106:107]
	v_mul_f64 v[106:107], v[254:255], v[106:107]
	v_fmac_f64_e32 v[8:9], v[88:89], v[68:69]
	v_fma_f64 v[194:195], v[86:87], v[68:69], -v[66:67]
	v_fmac_f64_e32 v[10:11], v[100:101], v[72:73]
	v_fma_f64 v[196:197], v[98:99], v[72:73], -v[70:71]
	;; [unrolled: 2-line block ×3, first 2 shown]
	v_fmac_f64_e32 v[18:19], v[246:247], v[96:97]
	v_fmac_f64_e32 v[20:21], v[250:251], v[104:105]
	;; [unrolled: 1-line block ×3, first 2 shown]
	v_fma_f64 v[244:245], v[244:245], v[96:97], -v[94:95]
	v_pk_mov_b32 v[2:3], v[0:1], v[0:1] op_sel:[0,1]
	v_mul_f64 v[0:1], v[62:63], v[56:57]
	v_fmac_f64_e32 v[0:1], v[64:65], v[54:55]
	v_add_f64 v[0:1], v[0:1], 0
	v_add_f64 v[0:1], v[0:1], v[6:7]
	;; [unrolled: 1-line block ×9, first 2 shown]
	ds_read_b128 v[6:9], v192 offset:896
	s_waitcnt lgkmcnt(1)
	v_mul_f64 v[10:11], v[120:121], v[4:5]
	v_add_f64 v[0:1], v[0:1], v[22:23]
	v_fmac_f64_e32 v[10:11], v[122:123], v[2:3]
	v_add_f64 v[0:1], v[0:1], v[10:11]
	ds_read_b128 v[10:13], v192 offset:912
	s_waitcnt lgkmcnt(1)
	v_mul_f64 v[14:15], v[6:7], v[128:129]
	v_fmac_f64_e32 v[14:15], v[8:9], v[144:145]
	v_add_f64 v[0:1], v[0:1], v[14:15]
	ds_read_b128 v[14:17], v192 offset:928
	s_waitcnt lgkmcnt(1)
	v_mul_f64 v[18:19], v[10:11], v[124:125]
	;; [unrolled: 5-line block ×4, first 2 shown]
	v_fmac_f64_e32 v[26:27], v[20:21], v[132:133]
	v_add_f64 v[0:1], v[0:1], v[26:27]
	ds_read_b128 v[26:29], v192 offset:976
	s_waitcnt vmcnt(58) lgkmcnt(1)
	v_mul_f64 v[30:31], v[22:23], v[156:157]
	s_waitcnt vmcnt(56)
	v_fmac_f64_e32 v[30:31], v[24:25], v[160:161]
	v_add_f64 v[0:1], v[0:1], v[30:31]
	ds_read_b128 v[30:33], v192 offset:992
	s_waitcnt lgkmcnt(1)
	v_mul_f64 v[34:35], v[26:27], v[134:135]
	v_fmac_f64_e32 v[34:35], v[28:29], v[136:137]
	v_add_f64 v[0:1], v[0:1], v[34:35]
	ds_read_b128 v[34:37], v192 offset:1008
	s_waitcnt vmcnt(50) lgkmcnt(1)
	v_mul_f64 v[38:39], v[30:31], v[164:165]
	s_waitcnt vmcnt(48)
	v_fmac_f64_e32 v[38:39], v[32:33], v[168:169]
	v_add_f64 v[0:1], v[0:1], v[38:39]
	ds_read_b128 v[38:41], v192 offset:1024
	s_waitcnt lgkmcnt(1)
	v_mul_f64 v[42:43], v[34:35], v[138:139]
	;; [unrolled: 11-line block ×3, first 2 shown]
	buffer_load_dword v173, off, s[0:3], 0 offset:572
	buffer_load_dword v172, off, s[0:3], 0 offset:568
	;; [unrolled: 1-line block ×4, first 2 shown]
	v_fmac_f64_e32 v[50:51], v[44:45], v[146:147]
	v_add_f64 v[0:1], v[0:1], v[50:51]
	ds_read_b128 v[50:53], v192 offset:1072
	buffer_load_dword v176, off, s[0:3], 0 offset:584
	buffer_load_dword v178, off, s[0:3], 0 offset:576
	;; [unrolled: 1-line block ×20, first 2 shown]
	s_waitcnt vmcnt(58) lgkmcnt(1)
	v_mul_f64 v[118:119], v[46:47], v[210:211]
	s_waitcnt vmcnt(56)
	v_fmac_f64_e32 v[118:119], v[48:49], v[214:215]
	v_mul_f64 v[56:57], v[64:65], v[56:57]
	v_add_f64 v[0:1], v[0:1], v[118:119]
	v_fma_f64 v[118:119], v[62:63], v[54:55], -v[56:57]
	ds_read_b128 v[54:57], v192 offset:1088
	ds_read_b128 v[58:61], v192 offset:1104
	s_waitcnt lgkmcnt(2)
	v_mul_f64 v[62:63], v[50:51], v[150:151]
	v_fmac_f64_e32 v[62:63], v[52:53], v[154:155]
	v_add_f64 v[0:1], v[0:1], v[62:63]
	s_waitcnt vmcnt(50) lgkmcnt(1)
	v_mul_f64 v[62:63], v[54:55], v[218:219]
	s_waitcnt vmcnt(48)
	v_fmac_f64_e32 v[62:63], v[56:57], v[220:221]
	v_add_f64 v[0:1], v[0:1], v[62:63]
	s_waitcnt lgkmcnt(0)
	v_mul_f64 v[62:63], v[58:59], v[158:159]
	v_fmac_f64_e32 v[62:63], v[60:61], v[162:163]
	v_add_f64 v[0:1], v[0:1], v[62:63]
	ds_read_b128 v[62:65], v192 offset:1120
	ds_read_b128 v[66:69], v192 offset:1136
	ds_read_b128 v[70:73], v192 offset:1152
	ds_read_b128 v[78:81], v192 offset:1184
	ds_read_b128 v[82:85], v192 offset:1200
	s_waitcnt vmcnt(42) lgkmcnt(4)
	v_mul_f64 v[74:75], v[62:63], v[222:223]
	s_waitcnt vmcnt(40)
	v_fmac_f64_e32 v[74:75], v[64:65], v[224:225]
	v_add_f64 v[0:1], v[0:1], v[74:75]
	s_waitcnt lgkmcnt(3)
	v_mul_f64 v[74:75], v[66:67], v[166:167]
	v_fmac_f64_e32 v[74:75], v[68:69], v[170:171]
	v_add_f64 v[0:1], v[0:1], v[74:75]
	ds_read_b128 v[74:77], v192 offset:1168
	s_waitcnt vmcnt(34) lgkmcnt(3)
	v_mul_f64 v[86:87], v[70:71], v[226:227]
	s_waitcnt vmcnt(32)
	v_fmac_f64_e32 v[86:87], v[72:73], v[228:229]
	v_add_f64 v[0:1], v[0:1], v[86:87]
	v_accvgpr_write_b32 a129, v3
	s_waitcnt lgkmcnt(0)
	v_mul_f64 v[86:87], v[74:75], v[204:205]
	v_fmac_f64_e32 v[86:87], v[76:77], v[208:209]
	v_add_f64 v[0:1], v[0:1], v[86:87]
	s_waitcnt vmcnt(26)
	v_mul_f64 v[86:87], v[78:79], v[230:231]
	s_waitcnt vmcnt(24)
	v_fmac_f64_e32 v[86:87], v[80:81], v[232:233]
	v_add_f64 v[0:1], v[0:1], v[86:87]
	v_mul_f64 v[86:87], v[82:83], v[212:213]
	v_fmac_f64_e32 v[86:87], v[84:85], v[216:217]
	v_add_f64 v[0:1], v[0:1], v[86:87]
	ds_read_b128 v[86:89], v192 offset:1216
	v_accvgpr_write_b32 a128, v2
	v_fma_f64 v[2:3], v[186:187], v[92:93], -v[90:91]
	ds_read_b128 v[90:93], v192 offset:1232
	ds_read_b128 v[94:97], v192 offset:1248
	v_fma_f64 v[250:251], v[248:249], v[104:105], -v[102:103]
	ds_read_b128 v[102:105], v192 offset:1280
	v_fma_f64 v[252:253], v[252:253], v[108:109], -v[106:107]
	ds_read_b128 v[106:109], v192 offset:1296
	v_add_f64 v[118:119], v[118:119], 0
	v_add_f64 v[118:119], v[118:119], v[190:191]
	v_add_f64 v[118:119], v[118:119], v[194:195]
	v_add_f64 v[118:119], v[118:119], v[196:197]
	v_add_f64 v[118:119], v[118:119], v[198:199]
	v_add_f64 v[118:119], v[118:119], v[200:201]
	v_add_f64 v[2:3], v[118:119], v[2:3]
	v_add_f64 v[118:119], v[2:3], v[244:245]
	v_mul_f64 v[4:5], v[122:123], v[4:5]
	v_accvgpr_read_b32 v122, a128
	v_accvgpr_read_b32 v123, a129
	v_fma_f64 v[4:5], v[120:121], v[122:123], -v[4:5]
	v_mul_f64 v[8:9], v[8:9], v[128:129]
	v_fma_f64 v[6:7], v[6:7], v[144:145], -v[8:9]
	s_waitcnt vmcnt(22) lgkmcnt(4)
	v_mul_f64 v[98:99], v[86:87], v[172:173]
	s_waitcnt vmcnt(20)
	v_fmac_f64_e32 v[98:99], v[88:89], v[174:175]
	v_add_f64 v[0:1], v[0:1], v[98:99]
	s_waitcnt vmcnt(17) lgkmcnt(3)
	v_mul_f64 v[98:99], v[90:91], v[176:177]
	s_waitcnt vmcnt(16)
	v_fmac_f64_e32 v[98:99], v[92:93], v[178:179]
	v_add_f64 v[0:1], v[0:1], v[98:99]
	ds_read_b128 v[98:101], v192 offset:1264
	buffer_load_dword v187, off, s[0:3], 0 offset:668
	buffer_load_dword v186, off, s[0:3], 0 offset:664
	;; [unrolled: 1-line block ×4, first 2 shown]
	s_waitcnt vmcnt(18) lgkmcnt(3)
	v_mul_f64 v[110:111], v[94:95], v[234:235]
	s_waitcnt vmcnt(16)
	v_fmac_f64_e32 v[110:111], v[96:97], v[238:239]
	v_add_f64 v[0:1], v[0:1], v[110:111]
	s_waitcnt vmcnt(14) lgkmcnt(0)
	v_mul_f64 v[110:111], v[98:99], v[236:237]
	s_waitcnt vmcnt(12)
	v_fmac_f64_e32 v[110:111], v[100:101], v[240:241]
	v_add_f64 v[0:1], v[0:1], v[110:111]
	s_waitcnt vmcnt(9)
	v_mul_f64 v[110:111], v[102:103], v[184:185]
	s_waitcnt vmcnt(7)
	v_fmac_f64_e32 v[110:111], v[104:105], v[242:243]
	v_add_f64 v[0:1], v[0:1], v[110:111]
	s_waitcnt vmcnt(5)
	v_mul_f64 v[110:111], v[106:107], v[180:181]
	s_waitcnt vmcnt(4)
	v_fmac_f64_e32 v[110:111], v[108:109], v[182:183]
	v_add_f64 v[0:1], v[0:1], v[110:111]
	ds_read_b128 v[110:113], v192 offset:1312
	buffer_load_dword v246, off, s[0:3], 0 offset:680
	buffer_load_dword v247, off, s[0:3], 0 offset:684
	;; [unrolled: 1-line block ×4, first 2 shown]
	s_waitcnt vmcnt(6) lgkmcnt(0)
	v_mul_f64 v[114:115], v[110:111], v[186:187]
	s_waitcnt vmcnt(4)
	v_fmac_f64_e32 v[114:115], v[112:113], v[188:189]
	v_add_f64 v[0:1], v[0:1], v[114:115]
	ds_read_b128 v[114:117], v192 offset:1328
	buffer_load_dword v2, off, s[0:3], 0 offset:48
	buffer_load_dword v3, off, s[0:3], 0 offset:52
	buffer_load_dword v190, off, s[0:3], 0 offset:56
	buffer_load_dword v191, off, s[0:3], 0 offset:60
	s_waitcnt vmcnt(6) lgkmcnt(0)
	v_mul_f64 v[254:255], v[114:115], v[246:247]
	s_waitcnt vmcnt(4)
	v_fmac_f64_e32 v[254:255], v[116:117], v[248:249]
	v_add_f64 v[0:1], v[0:1], v[254:255]
	v_add_f64 v[254:255], v[118:119], v[250:251]
	;; [unrolled: 1-line block ×5, first 2 shown]
	v_mul_f64 v[6:7], v[12:13], v[124:125]
	v_fma_f64 v[6:7], v[10:11], v[126:127], -v[6:7]
	v_add_f64 v[4:5], v[4:5], v[6:7]
	v_mul_f64 v[6:7], v[16:17], v[148:149]
	v_fma_f64 v[6:7], v[14:15], v[152:153], -v[6:7]
	v_add_f64 v[4:5], v[4:5], v[6:7]
	;; [unrolled: 3-line block ×27, first 2 shown]
	s_waitcnt vmcnt(2)
	v_add_f64 v[2:3], v[2:3], -v[4:5]
	s_waitcnt vmcnt(0)
	v_add_f64 v[0:1], v[190:191], -v[0:1]
	buffer_store_dword v3, off, s[0:3], 0 offset:52
	buffer_store_dword v2, off, s[0:3], 0 offset:48
	;; [unrolled: 1-line block ×4, first 2 shown]
	v_accvgpr_read_b32 v0, a125
	v_cmp_lt_u32_e32 vcc, 1, v0
	s_and_saveexec_b64 s[4:5], vcc
	s_cbranch_execz .LBB105_263
; %bb.262:
	v_accvgpr_read_b32 v0, a124
	buffer_load_dword v2, v0, s[0:3], 0 offen
	buffer_load_dword v3, v0, s[0:3], 0 offen offset:4
	buffer_load_dword v4, v0, s[0:3], 0 offen offset:8
	;; [unrolled: 1-line block ×3, first 2 shown]
	v_accvgpr_read_b32 v0, a126
	buffer_store_dword v192, off, s[0:3], 0 offset:32
	buffer_store_dword v192, off, s[0:3], 0 offset:36
	;; [unrolled: 1-line block ×4, first 2 shown]
	s_waitcnt vmcnt(4)
	ds_write_b128 v0, v[2:5]
.LBB105_263:
	s_or_b64 exec, exec, s[4:5]
	s_waitcnt lgkmcnt(0)
	; wave barrier
	s_waitcnt lgkmcnt(0)
	buffer_load_dword v56, off, s[0:3], 0 offset:48
	buffer_load_dword v57, off, s[0:3], 0 offset:52
	;; [unrolled: 1-line block ×42, first 2 shown]
	ds_read_b128 v[78:81], v192 offset:704
	ds_read_b128 v[90:93], v192 offset:720
	;; [unrolled: 1-line block ×10, first 2 shown]
	buffer_load_dword v1, off, s[0:3], 0 offset:196
	buffer_load_dword v0, off, s[0:3], 0 offset:192
	ds_read_b128 v[106:109], v192 offset:864
	buffer_load_dword v3, off, s[0:3], 0 offset:252
	buffer_load_dword v2, off, s[0:3], 0 offset:248
	s_waitcnt vmcnt(38) lgkmcnt(9)
	v_mul_f64 v[4:5], v[90:91], v[62:63]
	v_fmac_f64_e32 v[4:5], v[92:93], v[54:55]
	s_waitcnt vmcnt(36) lgkmcnt(8)
	v_mul_f64 v[6:7], v[114:115], v[58:59]
	v_mul_f64 v[58:59], v[116:117], v[58:59]
	s_waitcnt vmcnt(34) lgkmcnt(6)
	v_mul_f64 v[10:11], v[244:245], v[70:71]
	v_mul_f64 v[70:71], v[246:247], v[70:71]
	s_waitcnt vmcnt(32)
	v_fmac_f64_e32 v[10:11], v[246:247], v[72:73]
	s_waitcnt vmcnt(30)
	v_mul_f64 v[8:9], v[186:187], v[64:65]
	s_waitcnt vmcnt(28) lgkmcnt(4)
	v_mul_f64 v[14:15], v[252:253], v[82:83]
	v_mul_f64 v[82:83], v[254:255], v[82:83]
	s_waitcnt vmcnt(26)
	v_fmac_f64_e32 v[14:15], v[254:255], v[84:85]
	s_waitcnt vmcnt(24)
	v_mul_f64 v[12:13], v[248:249], v[74:75]
	v_mul_f64 v[74:75], v[250:251], v[74:75]
	s_waitcnt vmcnt(22) lgkmcnt(2)
	v_mul_f64 v[18:19], v[198:199], v[94:95]
	s_waitcnt vmcnt(19)
	v_mul_f64 v[16:17], v[194:195], v[86:87]
	v_mul_f64 v[86:87], v[196:197], v[86:87]
	s_waitcnt vmcnt(17) lgkmcnt(1)
	v_mul_f64 v[20:21], v[98:99], v[102:103]
	s_waitcnt vmcnt(15)
	v_fmac_f64_e32 v[6:7], v[116:117], v[68:69]
	s_waitcnt vmcnt(13)
	v_fmac_f64_e32 v[8:9], v[188:189], v[66:67]
	;; [unrolled: 2-line block ×3, first 2 shown]
	v_fma_f64 v[248:249], v[248:249], v[76:77], -v[74:75]
	s_waitcnt vmcnt(9)
	v_fmac_f64_e32 v[16:17], v[196:197], v[88:89]
	s_waitcnt vmcnt(8)
	v_fmac_f64_e32 v[18:19], v[200:201], v[96:97]
	v_fma_f64 v[250:251], v[252:253], v[84:85], -v[82:83]
	v_fma_f64 v[252:253], v[194:195], v[88:89], -v[86:87]
	s_waitcnt vmcnt(2)
	v_fmac_f64_e32 v[20:21], v[100:101], v[0:1]
	s_waitcnt vmcnt(0)
	v_pk_mov_b32 v[22:23], v[2:3], v[2:3] op_sel:[0,1]
	buffer_load_dword v3, off, s[0:3], 0 offset:244
	buffer_load_dword v2, off, s[0:3], 0 offset:240
	;; [unrolled: 1-line block ×78, first 2 shown]
	ds_read_b128 v[120:123], v192 offset:880
	v_accvgpr_write_b32 a129, v23
	v_accvgpr_write_b32 a128, v22
	s_waitcnt vmcnt(62)
	v_pk_mov_b32 v[24:25], v[2:3], v[2:3] op_sel:[0,1]
	v_mul_f64 v[2:3], v[78:79], v[60:61]
	v_fmac_f64_e32 v[2:3], v[80:81], v[56:57]
	v_add_f64 v[2:3], v[2:3], 0
	v_add_f64 v[2:3], v[2:3], v[4:5]
	;; [unrolled: 1-line block ×9, first 2 shown]
	s_waitcnt lgkmcnt(1)
	v_mul_f64 v[8:9], v[106:107], v[110:111]
	v_add_f64 v[6:7], v[2:3], v[20:21]
	v_fmac_f64_e32 v[8:9], v[108:109], v[112:113]
	v_add_f64 v[10:11], v[6:7], v[8:9]
	ds_read_b128 v[6:9], v192 offset:896
	s_waitcnt lgkmcnt(1)
	v_mul_f64 v[12:13], v[120:121], v[124:125]
	v_fmac_f64_e32 v[12:13], v[122:123], v[140:141]
	v_add_f64 v[14:15], v[10:11], v[12:13]
	ds_read_b128 v[10:13], v192 offset:912
	s_waitcnt lgkmcnt(1)
	v_mul_f64 v[16:17], v[6:7], v[22:23]
	;; [unrolled: 5-line block ×3, first 2 shown]
	v_fmac_f64_e32 v[20:21], v[12:13], v[148:149]
	v_add_f64 v[22:23], v[18:19], v[20:21]
	ds_read_b128 v[18:21], v192 offset:944
	v_accvgpr_write_b32 a131, v25
	v_accvgpr_write_b32 a130, v24
	s_waitcnt lgkmcnt(1)
	v_mul_f64 v[24:25], v[14:15], v[126:127]
	v_fmac_f64_e32 v[24:25], v[16:17], v[128:129]
	v_add_f64 v[26:27], v[22:23], v[24:25]
	ds_read_b128 v[22:25], v192 offset:960
	s_waitcnt vmcnt(58) lgkmcnt(1)
	v_mul_f64 v[28:29], v[18:19], v[152:153]
	s_waitcnt vmcnt(56)
	v_fmac_f64_e32 v[28:29], v[20:21], v[156:157]
	v_add_f64 v[30:31], v[26:27], v[28:29]
	ds_read_b128 v[26:29], v192 offset:976
	s_waitcnt lgkmcnt(1)
	v_mul_f64 v[32:33], v[22:23], v[130:131]
	v_fmac_f64_e32 v[32:33], v[24:25], v[132:133]
	v_add_f64 v[34:35], v[30:31], v[32:33]
	ds_read_b128 v[30:33], v192 offset:992
	s_waitcnt vmcnt(50) lgkmcnt(1)
	v_mul_f64 v[36:37], v[26:27], v[160:161]
	s_waitcnt vmcnt(48)
	v_fmac_f64_e32 v[36:37], v[28:29], v[164:165]
	v_add_f64 v[38:39], v[34:35], v[36:37]
	ds_read_b128 v[34:37], v192 offset:1008
	;; [unrolled: 11-line block ×4, first 2 shown]
	buffer_load_dword v172, off, s[0:3], 0 offset:568
	buffer_load_dword v177, off, s[0:3], 0 offset:556
	;; [unrolled: 1-line block ×28, first 2 shown]
	s_waitcnt lgkmcnt(1)
	v_mul_f64 v[118:119], v[46:47], v[146:147]
	v_fmac_f64_e32 v[118:119], v[48:49], v[150:151]
	v_mul_f64 v[60:61], v[80:81], v[60:61]
	v_add_f64 v[104:105], v[104:105], v[118:119]
	s_waitcnt vmcnt(54) lgkmcnt(0)
	v_mul_f64 v[118:119], v[50:51], v[214:215]
	v_fma_f64 v[190:191], v[78:79], v[56:57], -v[60:61]
	v_mul_f64 v[56:57], v[92:93], v[62:63]
	v_fma_f64 v[2:3], v[90:91], v[54:55], -v[56:57]
	s_waitcnt vmcnt(52)
	v_fmac_f64_e32 v[118:119], v[52:53], v[216:217]
	ds_read_b128 v[54:57], v192 offset:1088
	v_add_f64 v[4:5], v[104:105], v[118:119]
	v_fma_f64 v[118:119], v[114:115], v[68:69], -v[58:59]
	ds_read_b128 v[58:61], v192 offset:1104
	v_mul_f64 v[62:63], v[188:189], v[64:65]
	v_fma_f64 v[90:91], v[186:187], v[66:67], -v[62:63]
	ds_read_b128 v[62:65], v192 offset:1120
	s_waitcnt lgkmcnt(2)
	v_mul_f64 v[68:69], v[54:55], v[154:155]
	v_fmac_f64_e32 v[68:69], v[56:57], v[158:159]
	s_waitcnt vmcnt(46) lgkmcnt(1)
	v_mul_f64 v[66:67], v[58:59], v[218:219]
	v_add_f64 v[4:5], v[4:5], v[68:69]
	s_waitcnt vmcnt(44)
	v_fmac_f64_e32 v[66:67], v[60:61], v[220:221]
	v_add_f64 v[4:5], v[4:5], v[66:67]
	v_fma_f64 v[92:93], v[244:245], v[72:73], -v[70:71]
	ds_read_b128 v[70:73], v192 offset:1152
	s_waitcnt lgkmcnt(1)
	v_mul_f64 v[66:67], v[62:63], v[162:163]
	v_fmac_f64_e32 v[66:67], v[64:65], v[166:167]
	v_add_f64 v[4:5], v[4:5], v[66:67]
	ds_read_b128 v[66:69], v192 offset:1136
	ds_read_b128 v[74:77], v192 offset:1168
	;; [unrolled: 1-line block ×5, first 2 shown]
	s_waitcnt vmcnt(38) lgkmcnt(4)
	v_mul_f64 v[78:79], v[66:67], v[222:223]
	s_waitcnt vmcnt(36)
	v_fmac_f64_e32 v[78:79], v[68:69], v[224:225]
	v_add_f64 v[4:5], v[4:5], v[78:79]
	v_mul_f64 v[78:79], v[70:71], v[170:171]
	v_fmac_f64_e32 v[78:79], v[72:73], v[204:205]
	v_add_f64 v[4:5], v[4:5], v[78:79]
	s_waitcnt vmcnt(30) lgkmcnt(3)
	v_mul_f64 v[78:79], v[74:75], v[226:227]
	s_waitcnt vmcnt(28)
	v_fmac_f64_e32 v[78:79], v[76:77], v[228:229]
	v_add_f64 v[4:5], v[4:5], v[78:79]
	ds_read_b128 v[78:81], v192 offset:1184
	v_mul_f64 v[108:109], v[108:109], v[110:111]
	v_fma_f64 v[254:255], v[106:107], v[112:113], -v[108:109]
	v_add_f64 v[190:191], v[190:191], 0
	v_add_f64 v[2:3], v[190:191], v[2:3]
	s_waitcnt lgkmcnt(0)
	v_mul_f64 v[104:105], v[78:79], v[208:209]
	v_fmac_f64_e32 v[104:105], v[80:81], v[212:213]
	v_add_f64 v[4:5], v[4:5], v[104:105]
	v_add_f64 v[2:3], v[2:3], v[118:119]
	;; [unrolled: 1-line block ×7, first 2 shown]
	ds_read_b128 v[106:109], v192 offset:1296
	s_waitcnt vmcnt(25)
	v_mul_f64 v[104:105], v[82:83], v[176:177]
	s_waitcnt vmcnt(23)
	v_fmac_f64_e32 v[104:105], v[84:85], v[178:179]
	v_add_f64 v[4:5], v[4:5], v[104:105]
	s_waitcnt vmcnt(21)
	v_mul_f64 v[104:105], v[86:87], v[172:173]
	s_waitcnt vmcnt(20)
	v_fmac_f64_e32 v[104:105], v[88:89], v[174:175]
	v_add_f64 v[104:105], v[4:5], v[104:105]
	v_mul_f64 v[4:5], v[200:201], v[94:95]
	v_fma_f64 v[198:199], v[198:199], v[96:97], -v[4:5]
	ds_read_b128 v[94:97], v192 offset:1248
	s_waitcnt vmcnt(18)
	v_mul_f64 v[114:115], v[194:195], v[180:181]
	v_mul_f64 v[4:5], v[100:101], v[102:103]
	s_waitcnt vmcnt(16)
	v_fmac_f64_e32 v[114:115], v[196:197], v[182:183]
	v_fma_f64 v[4:5], v[98:99], v[0:1], -v[4:5]
	ds_read_b128 v[98:101], v192 offset:1264
	s_waitcnt vmcnt(14) lgkmcnt(1)
	v_mul_f64 v[102:103], v[94:95], v[230:231]
	v_add_f64 v[0:1], v[104:105], v[114:115]
	s_waitcnt vmcnt(12)
	v_fmac_f64_e32 v[102:103], v[96:97], v[232:233]
	v_add_f64 v[0:1], v[0:1], v[102:103]
	ds_read_b128 v[102:105], v192 offset:1280
	buffer_load_dword v186, off, s[0:3], 0 offset:664
	buffer_load_dword v187, off, s[0:3], 0 offset:668
	;; [unrolled: 1-line block ×4, first 2 shown]
	s_waitcnt vmcnt(13) lgkmcnt(1)
	v_mul_f64 v[110:111], v[98:99], v[236:237]
	s_waitcnt vmcnt(11)
	v_fmac_f64_e32 v[110:111], v[100:101], v[240:241]
	v_add_f64 v[0:1], v[0:1], v[110:111]
	s_waitcnt vmcnt(9) lgkmcnt(0)
	v_mul_f64 v[110:111], v[102:103], v[184:185]
	s_waitcnt vmcnt(8)
	v_fmac_f64_e32 v[110:111], v[104:105], v[234:235]
	v_add_f64 v[0:1], v[0:1], v[110:111]
	s_waitcnt vmcnt(6)
	v_mul_f64 v[110:111], v[106:107], v[238:239]
	s_waitcnt vmcnt(4)
	v_fmac_f64_e32 v[110:111], v[108:109], v[242:243]
	v_add_f64 v[0:1], v[0:1], v[110:111]
	ds_read_b128 v[110:113], v192 offset:1312
	buffer_load_dword v245, off, s[0:3], 0 offset:684
	buffer_load_dword v244, off, s[0:3], 0 offset:680
	;; [unrolled: 1-line block ×4, first 2 shown]
	s_waitcnt vmcnt(6) lgkmcnt(0)
	v_mul_f64 v[114:115], v[110:111], v[186:187]
	s_waitcnt vmcnt(4)
	v_fmac_f64_e32 v[114:115], v[112:113], v[188:189]
	v_add_f64 v[0:1], v[0:1], v[114:115]
	ds_read_b128 v[114:117], v192 offset:1328
	buffer_load_dword v250, off, s[0:3], 0 offset:32
	buffer_load_dword v251, off, s[0:3], 0 offset:36
	;; [unrolled: 1-line block ×4, first 2 shown]
	s_waitcnt vmcnt(6) lgkmcnt(0)
	v_mul_f64 v[192:193], v[114:115], v[244:245]
	s_waitcnt vmcnt(4)
	v_fmac_f64_e32 v[192:193], v[116:117], v[246:247]
	v_add_f64 v[0:1], v[0:1], v[192:193]
	v_add_f64 v[192:193], v[2:3], v[198:199]
	;; [unrolled: 1-line block ×3, first 2 shown]
	v_mul_f64 v[4:5], v[122:123], v[124:125]
	v_add_f64 v[2:3], v[2:3], v[254:255]
	v_fma_f64 v[4:5], v[120:121], v[140:141], -v[4:5]
	v_add_f64 v[2:3], v[2:3], v[4:5]
	v_accvgpr_read_b32 v4, a128
	v_accvgpr_read_b32 v5, a129
	v_mul_f64 v[4:5], v[8:9], v[4:5]
	v_accvgpr_read_b32 v8, a130
	v_accvgpr_read_b32 v9, a131
	v_fma_f64 v[4:5], v[6:7], v[8:9], -v[4:5]
	v_add_f64 v[2:3], v[2:3], v[4:5]
	v_mul_f64 v[4:5], v[12:13], v[144:145]
	v_fma_f64 v[4:5], v[10:11], v[148:149], -v[4:5]
	v_add_f64 v[2:3], v[2:3], v[4:5]
	v_mul_f64 v[4:5], v[16:17], v[126:127]
	;; [unrolled: 3-line block ×27, first 2 shown]
	v_fma_f64 v[4:5], v[114:115], v[246:247], -v[4:5]
	v_add_f64 v[2:3], v[2:3], v[4:5]
	s_waitcnt vmcnt(2)
	v_add_f64 v[2:3], v[250:251], -v[2:3]
	s_waitcnt vmcnt(0)
	v_add_f64 v[0:1], v[248:249], -v[0:1]
	buffer_store_dword v3, off, s[0:3], 0 offset:36
	buffer_store_dword v2, off, s[0:3], 0 offset:32
	;; [unrolled: 1-line block ×4, first 2 shown]
	v_accvgpr_read_b32 v0, a125
	v_cmp_ne_u32_e32 vcc, 0, v0
	s_and_saveexec_b64 s[4:5], vcc
	s_cbranch_execz .LBB105_265
; %bb.264:
	buffer_load_dword v2, off, s[0:3], 0 offset:16
	buffer_load_dword v3, off, s[0:3], 0 offset:20
	;; [unrolled: 1-line block ×4, first 2 shown]
	v_mov_b32_e32 v0, 0
	v_accvgpr_read_b32 v1, a126
	buffer_store_dword v0, off, s[0:3], 0 offset:16
	buffer_store_dword v0, off, s[0:3], 0 offset:20
	buffer_store_dword v0, off, s[0:3], 0 offset:24
	buffer_store_dword v0, off, s[0:3], 0 offset:28
	s_waitcnt vmcnt(4)
	ds_write_b128 v1, v[2:5]
.LBB105_265:
	s_or_b64 exec, exec, s[4:5]
	s_waitcnt lgkmcnt(0)
	; wave barrier
	s_waitcnt lgkmcnt(0)
	buffer_load_dword v58, off, s[0:3], 0 offset:32
	buffer_load_dword v59, off, s[0:3], 0 offset:36
	;; [unrolled: 1-line block ×46, first 2 shown]
	v_mov_b32_e32 v110, 0
	s_and_b64 vcc, exec, s[16:17]
	s_waitcnt vmcnt(0)
	v_pk_mov_b32 v[20:21], v[0:1], v[0:1] op_sel:[0,1]
	buffer_load_dword v1, off, s[0:3], 0 offset:228
	buffer_load_dword v0, off, s[0:3], 0 offset:224
	;; [unrolled: 1-line block ×3, first 2 shown]
	ds_read_b128 v[88:91], v110 offset:688
	ds_read_b128 v[106:109], v110 offset:704
	;; [unrolled: 1-line block ×11, first 2 shown]
	s_waitcnt lgkmcnt(9)
	v_mul_f64 v[2:3], v[106:107], v[54:55]
	v_fmac_f64_e32 v[2:3], v[108:109], v[52:53]
	s_waitcnt lgkmcnt(8)
	v_mul_f64 v[4:5], v[160:161], v[56:57]
	s_waitcnt lgkmcnt(7)
	v_mul_f64 v[6:7], v[172:173], v[66:67]
	v_fmac_f64_e32 v[4:5], v[162:163], v[78:79]
	s_waitcnt lgkmcnt(6)
	v_mul_f64 v[8:9], v[176:177], v[62:63]
	v_fmac_f64_e32 v[6:7], v[174:175], v[76:77]
	;; [unrolled: 3-line block ×7, first 2 shown]
	v_fmac_f64_e32 v[18:19], v[198:199], v[94:95]
	v_accvgpr_write_b32 a127, v21
	v_accvgpr_write_b32 a126, v20
	v_mul_f64 v[54:55], v[108:109], v[54:55]
	v_fma_f64 v[52:53], v[106:107], v[52:53], -v[54:55]
	v_mul_f64 v[54:55], v[162:163], v[56:57]
	v_fma_f64 v[54:55], v[160:161], v[78:79], -v[54:55]
	v_mul_f64 v[56:57], v[174:175], v[66:67]
	v_mul_f64 v[68:69], v[182:183], v[68:69]
	v_fma_f64 v[182:183], v[180:181], v[70:71], -v[68:69]
	v_mul_f64 v[72:73], v[186:187], v[72:73]
	v_fma_f64 v[184:185], v[184:185], v[74:75], -v[72:73]
	;; [unrolled: 2-line block ×5, first 2 shown]
	s_waitcnt vmcnt(1)
	v_pk_mov_b32 v[22:23], v[0:1], v[0:1] op_sel:[0,1]
	v_mul_f64 v[0:1], v[88:89], v[60:61]
	v_fmac_f64_e32 v[0:1], v[90:91], v[58:59]
	v_add_f64 v[0:1], v[0:1], 0
	v_add_f64 v[0:1], v[0:1], v[2:3]
	buffer_load_dword v104, off, s[0:3], 0 offset:216
	buffer_load_dword v119, off, s[0:3], 0 offset:212
	;; [unrolled: 1-line block ×5, first 2 shown]
	v_add_f64 v[0:1], v[0:1], v[4:5]
	v_add_f64 v[0:1], v[0:1], v[6:7]
	;; [unrolled: 1-line block ×8, first 2 shown]
	v_accvgpr_write_b32 a129, v23
	v_accvgpr_write_b32 a128, v22
	v_mul_f64 v[60:61], v[90:91], v[60:61]
	s_waitcnt vmcnt(0)
	v_pk_mov_b32 v[24:25], v[2:3], v[2:3] op_sel:[0,1]
	buffer_load_dword v3, off, s[0:3], 0 offset:260
	buffer_load_dword v2, off, s[0:3], 0 offset:256
	v_accvgpr_write_b32 a131, v25
	v_accvgpr_write_b32 a130, v24
	s_waitcnt vmcnt(0)
	v_pk_mov_b32 v[26:27], v[2:3], v[2:3] op_sel:[0,1]
	buffer_load_dword v221, off, s[0:3], 0 offset:252
	buffer_load_dword v220, off, s[0:3], 0 offset:248
	;; [unrolled: 1-line block ×68, first 2 shown]
	ds_read_b128 v[114:117], v110 offset:864
	ds_read_b128 v[120:123], v110 offset:880
	;; [unrolled: 1-line block ×4, first 2 shown]
	v_accvgpr_write_b32 a133, v27
	s_waitcnt lgkmcnt(3)
	v_mul_f64 v[6:7], v[114:115], v[104:105]
	v_fmac_f64_e32 v[6:7], v[116:117], v[118:119]
	s_waitcnt lgkmcnt(2)
	v_mul_f64 v[10:11], v[120:121], v[20:21]
	v_fmac_f64_e32 v[10:11], v[122:123], v[22:23]
	;; [unrolled: 3-line block ×3, first 2 shown]
	v_accvgpr_write_b32 a132, v26
	v_mul_f64 v[104:105], v[116:117], v[104:105]
	v_fma_f64 v[188:189], v[114:115], v[118:119], -v[104:105]
	s_waitcnt vmcnt(62)
	v_mul_f64 v[14:15], v[140:141], v[220:221]
	v_fmac_f64_e32 v[14:15], v[142:143], v[224:225]
	v_pk_mov_b32 v[28:29], v[2:3], v[2:3] op_sel:[0,1]
	v_mul_f64 v[2:3], v[96:97], v[100:101]
	v_fmac_f64_e32 v[2:3], v[98:99], v[102:103]
	v_add_f64 v[4:5], v[0:1], v[2:3]
	v_add_f64 v[8:9], v[4:5], v[6:7]
	v_add_f64 v[12:13], v[8:9], v[10:11]
	v_add_f64 v[16:17], v[12:13], v[14:15]
	ds_read_b128 v[12:15], v110 offset:928
	v_add_f64 v[20:21], v[16:17], v[18:19]
	ds_read_b128 v[16:19], v110 offset:944
	v_accvgpr_write_b32 a135, v29
	v_accvgpr_write_b32 a134, v28
	s_waitcnt vmcnt(58) lgkmcnt(1)
	v_mul_f64 v[22:23], v[12:13], v[228:229]
	s_waitcnt vmcnt(56)
	v_fmac_f64_e32 v[22:23], v[14:15], v[232:233]
	s_waitcnt lgkmcnt(0)
	v_mul_f64 v[26:27], v[16:17], v[28:29]
	v_add_f64 v[24:25], v[20:21], v[22:23]
	ds_read_b128 v[20:23], v110 offset:960
	v_fmac_f64_e32 v[26:27], v[18:19], v[210:211]
	v_add_f64 v[28:29], v[24:25], v[26:27]
	ds_read_b128 v[24:27], v110 offset:976
	v_fma_f64 v[4:5], v[88:89], v[58:59], -v[60:61]
	s_waitcnt vmcnt(50) lgkmcnt(1)
	v_mul_f64 v[30:31], v[20:21], v[236:237]
	s_waitcnt vmcnt(48)
	v_fmac_f64_e32 v[30:31], v[22:23], v[240:241]
	v_add_f64 v[32:33], v[28:29], v[30:31]
	s_waitcnt lgkmcnt(0)
	v_mul_f64 v[34:35], v[24:25], v[212:213]
	ds_read_b128 v[28:31], v110 offset:992
	v_fmac_f64_e32 v[34:35], v[26:27], v[214:215]
	v_add_f64 v[36:37], v[32:33], v[34:35]
	ds_read_b128 v[32:35], v110 offset:1008
	v_mul_f64 v[98:99], v[98:99], v[100:101]
	s_waitcnt vmcnt(42) lgkmcnt(1)
	v_mul_f64 v[38:39], v[28:29], v[244:245]
	s_waitcnt vmcnt(40)
	v_fmac_f64_e32 v[38:39], v[30:31], v[248:249]
	v_add_f64 v[40:41], v[36:37], v[38:39]
	s_waitcnt lgkmcnt(0)
	v_mul_f64 v[42:43], v[32:33], v[216:217]
	ds_read_b128 v[36:39], v110 offset:1024
	v_fmac_f64_e32 v[42:43], v[34:35], v[218:219]
	v_add_f64 v[44:45], v[40:41], v[42:43]
	ds_read_b128 v[40:43], v110 offset:1040
	v_fma_f64 v[186:187], v[96:97], v[102:103], -v[98:99]
	s_waitcnt vmcnt(34) lgkmcnt(1)
	v_mul_f64 v[46:47], v[36:37], v[252:253]
	s_waitcnt vmcnt(32)
	v_fmac_f64_e32 v[46:47], v[38:39], v[206:207]
	v_add_f64 v[48:49], v[44:45], v[46:47]
	s_waitcnt lgkmcnt(0)
	v_mul_f64 v[50:51], v[40:41], v[222:223]
	v_fmac_f64_e32 v[50:51], v[42:43], v[226:227]
	ds_read_b128 v[44:47], v110 offset:1056
	v_add_f64 v[0:1], v[48:49], v[50:51]
	ds_read_b128 v[48:51], v110 offset:1072
	buffer_load_dword v11, off, s[0:3], 0 offset:540
	buffer_load_dword v10, off, s[0:3], 0 offset:536
	buffer_load_dword v127, off, s[0:3], 0 offset:532
	buffer_load_dword v126, off, s[0:3], 0 offset:528
	buffer_load_dword v128, off, s[0:3], 0 offset:552
	buffer_load_dword v148, off, s[0:3], 0 offset:544
	buffer_load_dword v129, off, s[0:3], 0 offset:556
	buffer_load_dword v149, off, s[0:3], 0 offset:548
	buffer_load_dword v125, off, s[0:3], 0 offset:588
	buffer_load_dword v151, off, s[0:3], 0 offset:572
	buffer_load_dword v150, off, s[0:3], 0 offset:568
	buffer_load_dword v157, off, s[0:3], 0 offset:564
	buffer_load_dword v156, off, s[0:3], 0 offset:560
	buffer_load_dword v124, off, s[0:3], 0 offset:584
	buffer_load_dword v155, off, s[0:3], 0 offset:580
	buffer_load_dword v154, off, s[0:3], 0 offset:576
	buffer_load_dword v153, off, s[0:3], 0 offset:604
	buffer_load_dword v152, off, s[0:3], 0 offset:600
	buffer_load_dword v159, off, s[0:3], 0 offset:596
	buffer_load_dword v158, off, s[0:3], 0 offset:592
	s_waitcnt vmcnt(46) lgkmcnt(1)
	v_mul_f64 v[2:3], v[44:45], v[204:205]
	s_waitcnt vmcnt(44)
	v_fmac_f64_e32 v[2:3], v[46:47], v[200:201]
	buffer_load_dword v162, off, s[0:3], 0 offset:616
	buffer_load_dword v164, off, s[0:3], 0 offset:608
	;; [unrolled: 1-line block ×12, first 2 shown]
	ds_read_b128 v[6:9], v110 offset:1088
	v_add_f64 v[0:1], v[0:1], v[2:3]
	s_waitcnt lgkmcnt(1)
	v_mul_f64 v[2:3], v[48:49], v[230:231]
	v_fmac_f64_e32 v[2:3], v[50:51], v[234:235]
	v_add_f64 v[60:61], v[0:1], v[2:3]
	v_fma_f64 v[0:1], v[172:173], v[76:77], -v[56:57]
	ds_read_b128 v[56:59], v110 offset:1104
	s_waitcnt vmcnt(50) lgkmcnt(1)
	v_mul_f64 v[2:3], v[6:7], v[202:203]
	s_waitcnt vmcnt(48)
	v_fmac_f64_e32 v[2:3], v[8:9], v[130:131]
	v_add_f64 v[2:3], v[60:61], v[2:3]
	v_mul_f64 v[60:61], v[178:179], v[62:63]
	v_fma_f64 v[176:177], v[176:177], v[64:65], -v[60:61]
	ds_read_b128 v[60:63], v110 offset:1120
	s_waitcnt lgkmcnt(1)
	v_mul_f64 v[64:65], v[56:57], v[238:239]
	v_fmac_f64_e32 v[64:65], v[58:59], v[242:243]
	v_add_f64 v[2:3], v[2:3], v[64:65]
	ds_read_b128 v[64:67], v110 offset:1136
	ds_read_b128 v[68:71], v110 offset:1152
	ds_read_b128 v[72:75], v110 offset:1168
	s_waitcnt vmcnt(42) lgkmcnt(3)
	v_mul_f64 v[76:77], v[60:61], v[132:133]
	s_waitcnt vmcnt(40)
	v_fmac_f64_e32 v[76:77], v[62:63], v[134:135]
	v_add_f64 v[2:3], v[2:3], v[76:77]
	s_waitcnt lgkmcnt(2)
	v_mul_f64 v[76:77], v[64:65], v[246:247]
	v_fmac_f64_e32 v[76:77], v[66:67], v[250:251]
	v_add_f64 v[2:3], v[2:3], v[76:77]
	s_waitcnt vmcnt(34) lgkmcnt(1)
	v_mul_f64 v[76:77], v[68:69], v[136:137]
	s_waitcnt vmcnt(32)
	v_fmac_f64_e32 v[76:77], v[70:71], v[138:139]
	v_add_f64 v[2:3], v[2:3], v[76:77]
	s_waitcnt lgkmcnt(0)
	v_mul_f64 v[76:77], v[72:73], v[254:255]
	v_fmac_f64_e32 v[76:77], v[74:75], v[208:209]
	v_add_f64 v[2:3], v[2:3], v[76:77]
	ds_read_b128 v[76:79], v110 offset:1184
	ds_read_b128 v[80:83], v110 offset:1200
	;; [unrolled: 1-line block ×6, first 2 shown]
	v_add_f64 v[4:5], v[4:5], 0
	v_add_f64 v[4:5], v[4:5], v[52:53]
	v_add_f64 v[4:5], v[4:5], v[54:55]
	v_add_f64 v[0:1], v[4:5], v[0:1]
	v_add_f64 v[0:1], v[0:1], v[176:177]
	v_add_f64 v[0:1], v[0:1], v[182:183]
	v_add_f64 v[0:1], v[0:1], v[184:185]
	v_add_f64 v[0:1], v[0:1], v[190:191]
	v_add_f64 v[0:1], v[0:1], v[192:193]
	v_accvgpr_read_b32 v4, a126
	v_add_f64 v[190:191], v[0:1], v[194:195]
	v_accvgpr_read_b32 v5, a127
	v_accvgpr_read_b32 v52, a128
	v_add_f64 v[0:1], v[190:191], v[186:187]
	v_mul_f64 v[4:5], v[122:123], v[4:5]
	v_accvgpr_read_b32 v53, a129
	v_add_f64 v[0:1], v[0:1], v[188:189]
	v_fma_f64 v[4:5], v[120:121], v[52:53], -v[4:5]
	v_add_f64 v[0:1], v[0:1], v[4:5]
	v_mul_f64 v[4:5], v[142:143], v[220:221]
	v_fma_f64 v[4:5], v[140:141], v[224:225], -v[4:5]
	v_add_f64 v[0:1], v[0:1], v[4:5]
	v_accvgpr_read_b32 v4, a130
	v_accvgpr_read_b32 v5, a131
	;; [unrolled: 1-line block ×3, first 2 shown]
	v_mul_f64 v[4:5], v[146:147], v[4:5]
	v_accvgpr_read_b32 v53, a133
	v_fma_f64 v[4:5], v[144:145], v[52:53], -v[4:5]
	v_add_f64 v[0:1], v[0:1], v[4:5]
	v_mul_f64 v[4:5], v[14:15], v[228:229]
	v_fma_f64 v[4:5], v[12:13], v[232:233], -v[4:5]
	v_add_f64 v[0:1], v[0:1], v[4:5]
	v_accvgpr_read_b32 v4, a134
	s_waitcnt vmcnt(9) lgkmcnt(1)
	v_mul_f64 v[108:109], v[100:101], v[162:163]
	s_waitcnt vmcnt(8)
	v_fmac_f64_e32 v[108:109], v[102:103], v[164:165]
	v_mul_f64 v[88:89], v[76:77], v[10:11]
	v_accvgpr_read_b32 v5, a135
	v_fmac_f64_e32 v[88:89], v[78:79], v[126:127]
	v_add_f64 v[2:3], v[2:3], v[88:89]
	v_mul_f64 v[88:89], v[80:81], v[128:129]
	v_fmac_f64_e32 v[88:89], v[82:83], v[148:149]
	v_add_f64 v[2:3], v[2:3], v[88:89]
	ds_read_b128 v[88:91], v110 offset:1232
	v_mul_f64 v[106:107], v[84:85], v[150:151]
	v_fmac_f64_e32 v[106:107], v[86:87], v[156:157]
	v_add_f64 v[2:3], v[2:3], v[106:107]
	v_mul_f64 v[4:5], v[18:19], v[4:5]
	s_waitcnt lgkmcnt(0)
	v_mul_f64 v[106:107], v[88:89], v[124:125]
	v_fmac_f64_e32 v[106:107], v[90:91], v[154:155]
	v_add_f64 v[2:3], v[2:3], v[106:107]
	v_mul_f64 v[106:107], v[92:93], v[152:153]
	v_fmac_f64_e32 v[106:107], v[94:95], v[158:159]
	v_add_f64 v[2:3], v[2:3], v[106:107]
	ds_read_b128 v[104:107], v110 offset:1296
	buffer_load_dword v173, off, s[0:3], 0 offset:668
	buffer_load_dword v172, off, s[0:3], 0 offset:664
	;; [unrolled: 1-line block ×4, first 2 shown]
	ds_read_b128 v[196:199], v110 offset:1312
	v_add_f64 v[2:3], v[2:3], v[108:109]
	s_waitcnt vmcnt(9)
	v_mul_f64 v[108:109], v[96:97], v[168:169]
	s_waitcnt vmcnt(7)
	v_fmac_f64_e32 v[108:109], v[98:99], v[170:171]
	v_add_f64 v[2:3], v[2:3], v[108:109]
	s_waitcnt vmcnt(5) lgkmcnt(1)
	v_mul_f64 v[108:109], v[104:105], v[160:161]
	s_waitcnt vmcnt(4)
	v_fmac_f64_e32 v[108:109], v[106:107], v[166:167]
	buffer_load_dword v178, off, s[0:3], 0 offset:680
	buffer_load_dword v179, off, s[0:3], 0 offset:684
	;; [unrolled: 1-line block ×4, first 2 shown]
	v_add_f64 v[2:3], v[2:3], v[108:109]
	v_fma_f64 v[4:5], v[16:17], v[210:211], -v[4:5]
	v_add_f64 v[0:1], v[0:1], v[4:5]
	v_mul_f64 v[4:5], v[22:23], v[236:237]
	v_fma_f64 v[4:5], v[20:21], v[240:241], -v[4:5]
	v_add_f64 v[0:1], v[0:1], v[4:5]
	v_mul_f64 v[4:5], v[26:27], v[212:213]
	;; [unrolled: 3-line block ×22, first 2 shown]
	v_fma_f64 v[4:5], v[104:105], v[166:167], -v[4:5]
	v_add_f64 v[0:1], v[0:1], v[4:5]
	s_waitcnt vmcnt(6) lgkmcnt(0)
	v_mul_f64 v[112:113], v[196:197], v[172:173]
	v_mul_f64 v[4:5], v[198:199], v[172:173]
	s_waitcnt vmcnt(4)
	v_fmac_f64_e32 v[112:113], v[198:199], v[174:175]
	v_add_f64 v[2:3], v[2:3], v[112:113]
	ds_read_b128 v[112:115], v110 offset:1328
	buffer_load_dword v184, off, s[0:3], 0 offset:16
	buffer_load_dword v185, off, s[0:3], 0 offset:20
	;; [unrolled: 1-line block ×4, first 2 shown]
	v_fma_f64 v[4:5], v[196:197], v[174:175], -v[4:5]
	v_add_f64 v[0:1], v[0:1], v[4:5]
	s_waitcnt vmcnt(6) lgkmcnt(0)
	v_mul_f64 v[4:5], v[114:115], v[178:179]
	v_mul_f64 v[116:117], v[112:113], v[178:179]
	s_waitcnt vmcnt(4)
	v_fma_f64 v[4:5], v[112:113], v[180:181], -v[4:5]
	v_fmac_f64_e32 v[116:117], v[114:115], v[180:181]
	v_add_f64 v[0:1], v[0:1], v[4:5]
	v_add_f64 v[2:3], v[2:3], v[116:117]
	s_waitcnt vmcnt(2)
	v_add_f64 v[0:1], v[184:185], -v[0:1]
	s_waitcnt vmcnt(0)
	v_add_f64 v[2:3], v[182:183], -v[2:3]
	buffer_store_dword v1, off, s[0:3], 0 offset:20
	buffer_store_dword v0, off, s[0:3], 0 offset:16
	;; [unrolled: 1-line block ×4, first 2 shown]
	s_cbranch_vccz .LBB105_349
; %bb.266:
	v_pk_mov_b32 v[0:1], s[10:11], s[10:11] op_sel:[0,1]
	flat_load_dword v0, v[0:1] offset:160
	s_waitcnt vmcnt(0) lgkmcnt(0)
	v_add_u32_e32 v0, -1, v0
	v_cmp_ne_u32_e32 vcc, 40, v0
	s_and_saveexec_b64 s[4:5], vcc
	s_cbranch_execz .LBB105_268
; %bb.267:
	v_mov_b32_e32 v1, 16
	v_accvgpr_read_b32 v9, a85
	v_lshl_add_u32 v0, v0, 4, v1
	buffer_load_dword v1, v9, s[0:3], 0 offen offset:4
	buffer_load_dword v2, v9, s[0:3], 0 offen offset:8
	buffer_load_dword v3, v9, s[0:3], 0 offen offset:12
	buffer_load_dword v4, v0, s[0:3], 0 offen
	buffer_load_dword v5, v0, s[0:3], 0 offen offset:4
	buffer_load_dword v6, v0, s[0:3], 0 offen offset:8
	buffer_load_dword v7, v0, s[0:3], 0 offen offset:12
	buffer_load_dword v8, v9, s[0:3], 0 offen
	s_waitcnt vmcnt(4)
	buffer_store_dword v4, v9, s[0:3], 0 offen
	s_waitcnt vmcnt(4)
	buffer_store_dword v5, v9, s[0:3], 0 offen offset:4
	s_waitcnt vmcnt(4)
	buffer_store_dword v6, v9, s[0:3], 0 offen offset:8
	s_waitcnt vmcnt(4)
	buffer_store_dword v7, v9, s[0:3], 0 offen offset:12
	buffer_store_dword v3, v0, s[0:3], 0 offen offset:12
	buffer_store_dword v2, v0, s[0:3], 0 offen offset:8
	buffer_store_dword v1, v0, s[0:3], 0 offen offset:4
	s_waitcnt vmcnt(7)
	buffer_store_dword v8, v0, s[0:3], 0 offen
.LBB105_268:
	s_or_b64 exec, exec, s[4:5]
	v_pk_mov_b32 v[0:1], s[10:11], s[10:11] op_sel:[0,1]
	flat_load_dword v0, v[0:1] offset:156
	s_waitcnt vmcnt(0) lgkmcnt(0)
	v_add_u32_e32 v0, -1, v0
	v_cmp_ne_u32_e32 vcc, 39, v0
	s_and_saveexec_b64 s[4:5], vcc
	s_cbranch_execz .LBB105_270
; %bb.269:
	v_mov_b32_e32 v1, 16
	v_accvgpr_read_b32 v9, a86
	v_lshl_add_u32 v0, v0, 4, v1
	buffer_load_dword v1, v9, s[0:3], 0 offen offset:4
	buffer_load_dword v2, v9, s[0:3], 0 offen offset:8
	buffer_load_dword v3, v9, s[0:3], 0 offen offset:12
	buffer_load_dword v4, v0, s[0:3], 0 offen
	buffer_load_dword v5, v0, s[0:3], 0 offen offset:4
	buffer_load_dword v6, v0, s[0:3], 0 offen offset:8
	buffer_load_dword v7, v0, s[0:3], 0 offen offset:12
	buffer_load_dword v8, v9, s[0:3], 0 offen
	s_waitcnt vmcnt(4)
	buffer_store_dword v4, v9, s[0:3], 0 offen
	s_waitcnt vmcnt(4)
	buffer_store_dword v5, v9, s[0:3], 0 offen offset:4
	s_waitcnt vmcnt(4)
	buffer_store_dword v6, v9, s[0:3], 0 offen offset:8
	s_waitcnt vmcnt(4)
	buffer_store_dword v7, v9, s[0:3], 0 offen offset:12
	buffer_store_dword v3, v0, s[0:3], 0 offen offset:12
	buffer_store_dword v2, v0, s[0:3], 0 offen offset:8
	buffer_store_dword v1, v0, s[0:3], 0 offen offset:4
	s_waitcnt vmcnt(7)
	buffer_store_dword v8, v0, s[0:3], 0 offen
.LBB105_270:
	s_or_b64 exec, exec, s[4:5]
	;; [unrolled: 34-line block ×40, first 2 shown]
	v_pk_mov_b32 v[0:1], s[10:11], s[10:11] op_sel:[0,1]
	flat_load_dword v0, v[0:1]
	s_waitcnt vmcnt(0) lgkmcnt(0)
	v_add_u32_e32 v0, -1, v0
	v_cmp_ne_u32_e32 vcc, 0, v0
	s_and_saveexec_b64 s[4:5], vcc
	s_cbranch_execz .LBB105_348
; %bb.347:
	v_mov_b32_e32 v1, 16
	v_lshl_add_u32 v0, v0, 4, v1
	buffer_load_dword v1, v0, s[0:3], 0 offen
	buffer_load_dword v2, v0, s[0:3], 0 offen offset:4
	buffer_load_dword v3, v0, s[0:3], 0 offen offset:8
	;; [unrolled: 1-line block ×3, first 2 shown]
	buffer_load_dword v5, off, s[0:3], 0 offset:28
	buffer_load_dword v6, off, s[0:3], 0 offset:24
	;; [unrolled: 1-line block ×4, first 2 shown]
	s_waitcnt vmcnt(7)
	buffer_store_dword v1, off, s[0:3], 0 offset:16
	s_waitcnt vmcnt(7)
	buffer_store_dword v2, off, s[0:3], 0 offset:20
	s_waitcnt vmcnt(7)
	buffer_store_dword v3, off, s[0:3], 0 offset:24
	s_waitcnt vmcnt(7)
	buffer_store_dword v4, off, s[0:3], 0 offset:28
	s_waitcnt vmcnt(7)
	buffer_store_dword v5, v0, s[0:3], 0 offen offset:12
	s_waitcnt vmcnt(7)
	buffer_store_dword v6, v0, s[0:3], 0 offen offset:8
	;; [unrolled: 2-line block ×3, first 2 shown]
	s_waitcnt vmcnt(7)
	buffer_store_dword v8, v0, s[0:3], 0 offen
.LBB105_348:
	s_or_b64 exec, exec, s[4:5]
.LBB105_349:
	buffer_load_dword v0, off, s[0:3], 0 offset:16
	buffer_load_dword v1, off, s[0:3], 0 offset:20
	;; [unrolled: 1-line block ×4, first 2 shown]
	v_accvgpr_read_b32 v4, a124
	buffer_load_dword v5, v4, s[0:3], 0 offen offset:4
	buffer_load_dword v6, v4, s[0:3], 0 offen offset:8
	buffer_load_dword v7, v4, s[0:3], 0 offen offset:12
	v_accvgpr_read_b32 v11, a123
	buffer_load_dword v8, v11, s[0:3], 0 offen
	buffer_load_dword v9, v11, s[0:3], 0 offen offset:4
	buffer_load_dword v10, v11, s[0:3], 0 offen offset:8
	s_nop 0
	buffer_load_dword v4, v4, s[0:3], 0 offen
	s_nop 0
	buffer_load_dword v11, v11, s[0:3], 0 offen offset:12
	v_accvgpr_read_b32 v12, a122
	buffer_load_dword v13, v12, s[0:3], 0 offen offset:4
	buffer_load_dword v14, v12, s[0:3], 0 offen offset:8
	buffer_load_dword v15, v12, s[0:3], 0 offen offset:12
	v_accvgpr_read_b32 v19, a121
	buffer_load_dword v16, v19, s[0:3], 0 offen
	buffer_load_dword v17, v19, s[0:3], 0 offen offset:4
	buffer_load_dword v18, v19, s[0:3], 0 offen offset:8
	s_nop 0
	buffer_load_dword v12, v12, s[0:3], 0 offen
	s_nop 0
	buffer_load_dword v19, v19, s[0:3], 0 offen offset:12
	;; [unrolled: 12-line block ×14, first 2 shown]
	v_accvgpr_read_b32 v117, a96
	buffer_load_dword v121, v117, s[0:3], 0 offen offset:4
	buffer_load_dword v122, v117, s[0:3], 0 offen offset:8
	buffer_load_dword v123, v117, s[0:3], 0 offen offset:12
	v_accvgpr_read_b32 v116, a95
	buffer_load_dword v124, v116, s[0:3], 0 offen
	buffer_load_dword v125, v116, s[0:3], 0 offen offset:4
	buffer_load_dword v126, v116, s[0:3], 0 offen offset:8
	buffer_load_dword v120, v117, s[0:3], 0 offen
	buffer_load_dword v127, v116, s[0:3], 0 offen offset:12
	v_accvgpr_read_b32 v117, a94
	buffer_load_dword v129, v117, s[0:3], 0 offen offset:4
	buffer_load_dword v130, v117, s[0:3], 0 offen offset:8
	buffer_load_dword v131, v117, s[0:3], 0 offen offset:12
	v_accvgpr_read_b32 v116, a93
	buffer_load_dword v132, v116, s[0:3], 0 offen
	buffer_load_dword v133, v116, s[0:3], 0 offen offset:4
	buffer_load_dword v134, v116, s[0:3], 0 offen offset:8
	buffer_load_dword v128, v117, s[0:3], 0 offen
	buffer_load_dword v135, v116, s[0:3], 0 offen offset:12
	;; [unrolled: 10-line block ×5, first 2 shown]
	v_accvgpr_read_b32 v117, a86
	v_accvgpr_read_b32 v116, a85
	buffer_load_dword v161, v117, s[0:3], 0 offen offset:4
	buffer_load_dword v162, v117, s[0:3], 0 offen offset:8
	;; [unrolled: 1-line block ×3, first 2 shown]
	buffer_load_dword v164, v116, s[0:3], 0 offen
	buffer_load_dword v165, v116, s[0:3], 0 offen offset:4
	buffer_load_dword v166, v116, s[0:3], 0 offen offset:8
	buffer_load_dword v160, v117, s[0:3], 0 offen
	buffer_load_dword v167, v116, s[0:3], 0 offen offset:12
	v_accvgpr_read_b32 v116, a84
	buffer_load_dword v168, v116, s[0:3], 0 offen
	buffer_load_dword v169, v116, s[0:3], 0 offen offset:4
	buffer_load_dword v170, v116, s[0:3], 0 offen offset:8
	;; [unrolled: 1-line block ×3, first 2 shown]
	v_accvgpr_read_b32 v117, a1
	v_accvgpr_read_b32 v116, a0
	s_waitcnt vmcnt(62)
	global_store_dwordx4 v[116:117], v[0:3], off
	s_nop 0
	v_accvgpr_read_b32 v0, a2
	v_accvgpr_read_b32 v1, a3
	global_store_dwordx4 v[0:1], v[4:7], off
	v_accvgpr_read_b32 v0, a4
	v_accvgpr_read_b32 v1, a5
	global_store_dwordx4 v[0:1], v[8:11], off
	;; [unrolled: 3-line block ×24, first 2 shown]
	v_accvgpr_read_b32 v0, a52
	v_accvgpr_read_b32 v1, a53
	s_waitcnt vmcnt(62)
	global_store_dwordx4 v[0:1], v[100:103], off
	v_accvgpr_read_b32 v0, a54
	v_accvgpr_read_b32 v1, a55
	global_store_dwordx4 v[0:1], v[104:107], off
	v_accvgpr_read_b32 v0, a56
	v_accvgpr_read_b32 v1, a57
	;; [unrolled: 3-line block ×7, first 2 shown]
	s_waitcnt vmcnt(62)
	global_store_dwordx4 v[0:1], v[132:135], off
	v_accvgpr_read_b32 v0, a68
	v_accvgpr_read_b32 v1, a69
	s_waitcnt vmcnt(62)
	global_store_dwordx4 v[0:1], v[136:139], off
	v_accvgpr_read_b32 v0, a70
	v_accvgpr_read_b32 v1, a71
	s_waitcnt vmcnt(62)
	global_store_dwordx4 v[0:1], v[140:143], off
	v_accvgpr_read_b32 v0, a72
	v_accvgpr_read_b32 v1, a73
	s_waitcnt vmcnt(56)
	global_store_dwordx4 v[0:1], v[144:147], off
	v_accvgpr_read_b32 v0, a74
	v_accvgpr_read_b32 v1, a75
	s_waitcnt vmcnt(56)
	global_store_dwordx4 v[0:1], v[148:151], off
	v_accvgpr_read_b32 v0, a76
	v_accvgpr_read_b32 v1, a77
	s_waitcnt vmcnt(50)
	global_store_dwordx4 v[0:1], v[152:155], off
	v_accvgpr_read_b32 v0, a78
	v_accvgpr_read_b32 v1, a79
	s_waitcnt vmcnt(50)
	global_store_dwordx4 v[0:1], v[156:159], off
	v_accvgpr_read_b32 v0, a80
	v_accvgpr_read_b32 v1, a81
	s_waitcnt vmcnt(44)
	global_store_dwordx4 v[0:1], v[160:163], off
	v_accvgpr_read_b32 v0, a82
	v_accvgpr_read_b32 v1, a83
	s_waitcnt vmcnt(44)
	global_store_dwordx4 v[0:1], v[164:167], off
	v_accvgpr_read_b32 v0, a6
	v_accvgpr_read_b32 v1, a7
	s_waitcnt vmcnt(41)
	global_store_dwordx4 v[0:1], v[168:171], off
	s_endpgm
	.section	.rodata,"a",@progbits
	.p2align	6, 0x0
	.amdhsa_kernel _ZN9rocsolver6v33100L18getri_kernel_smallILi42E19rocblas_complex_numIdEPKPS3_EEvT1_iilPiilS8_bb
		.amdhsa_group_segment_fixed_size 1352
		.amdhsa_private_segment_fixed_size 704
		.amdhsa_kernarg_size 60
		.amdhsa_user_sgpr_count 8
		.amdhsa_user_sgpr_private_segment_buffer 1
		.amdhsa_user_sgpr_dispatch_ptr 0
		.amdhsa_user_sgpr_queue_ptr 0
		.amdhsa_user_sgpr_kernarg_segment_ptr 1
		.amdhsa_user_sgpr_dispatch_id 0
		.amdhsa_user_sgpr_flat_scratch_init 1
		.amdhsa_user_sgpr_kernarg_preload_length 0
		.amdhsa_user_sgpr_kernarg_preload_offset 0
		.amdhsa_user_sgpr_private_segment_size 0
		.amdhsa_uses_dynamic_stack 0
		.amdhsa_system_sgpr_private_segment_wavefront_offset 1
		.amdhsa_system_sgpr_workgroup_id_x 1
		.amdhsa_system_sgpr_workgroup_id_y 0
		.amdhsa_system_sgpr_workgroup_id_z 0
		.amdhsa_system_sgpr_workgroup_info 0
		.amdhsa_system_vgpr_workitem_id 0
		.amdhsa_next_free_vgpr 392
		.amdhsa_next_free_sgpr 22
		.amdhsa_accum_offset 256
		.amdhsa_reserve_vcc 1
		.amdhsa_reserve_flat_scratch 1
		.amdhsa_float_round_mode_32 0
		.amdhsa_float_round_mode_16_64 0
		.amdhsa_float_denorm_mode_32 3
		.amdhsa_float_denorm_mode_16_64 3
		.amdhsa_dx10_clamp 1
		.amdhsa_ieee_mode 1
		.amdhsa_fp16_overflow 0
		.amdhsa_tg_split 0
		.amdhsa_exception_fp_ieee_invalid_op 0
		.amdhsa_exception_fp_denorm_src 0
		.amdhsa_exception_fp_ieee_div_zero 0
		.amdhsa_exception_fp_ieee_overflow 0
		.amdhsa_exception_fp_ieee_underflow 0
		.amdhsa_exception_fp_ieee_inexact 0
		.amdhsa_exception_int_div_zero 0
	.end_amdhsa_kernel
	.section	.text._ZN9rocsolver6v33100L18getri_kernel_smallILi42E19rocblas_complex_numIdEPKPS3_EEvT1_iilPiilS8_bb,"axG",@progbits,_ZN9rocsolver6v33100L18getri_kernel_smallILi42E19rocblas_complex_numIdEPKPS3_EEvT1_iilPiilS8_bb,comdat
.Lfunc_end105:
	.size	_ZN9rocsolver6v33100L18getri_kernel_smallILi42E19rocblas_complex_numIdEPKPS3_EEvT1_iilPiilS8_bb, .Lfunc_end105-_ZN9rocsolver6v33100L18getri_kernel_smallILi42E19rocblas_complex_numIdEPKPS3_EEvT1_iilPiilS8_bb
                                        ; -- End function
	.section	.AMDGPU.csdata,"",@progbits
; Kernel info:
; codeLenInByte = 115724
; NumSgprs: 28
; NumVgprs: 256
; NumAgprs: 136
; TotalNumVgprs: 392
; ScratchSize: 704
; MemoryBound: 0
; FloatMode: 240
; IeeeMode: 1
; LDSByteSize: 1352 bytes/workgroup (compile time only)
; SGPRBlocks: 3
; VGPRBlocks: 48
; NumSGPRsForWavesPerEU: 28
; NumVGPRsForWavesPerEU: 392
; AccumOffset: 256
; Occupancy: 1
; WaveLimiterHint : 1
; COMPUTE_PGM_RSRC2:SCRATCH_EN: 1
; COMPUTE_PGM_RSRC2:USER_SGPR: 8
; COMPUTE_PGM_RSRC2:TRAP_HANDLER: 0
; COMPUTE_PGM_RSRC2:TGID_X_EN: 1
; COMPUTE_PGM_RSRC2:TGID_Y_EN: 0
; COMPUTE_PGM_RSRC2:TGID_Z_EN: 0
; COMPUTE_PGM_RSRC2:TIDIG_COMP_CNT: 0
; COMPUTE_PGM_RSRC3_GFX90A:ACCUM_OFFSET: 63
; COMPUTE_PGM_RSRC3_GFX90A:TG_SPLIT: 0
	.section	.text._ZN9rocsolver6v33100L18getri_kernel_smallILi43E19rocblas_complex_numIdEPKPS3_EEvT1_iilPiilS8_bb,"axG",@progbits,_ZN9rocsolver6v33100L18getri_kernel_smallILi43E19rocblas_complex_numIdEPKPS3_EEvT1_iilPiilS8_bb,comdat
	.globl	_ZN9rocsolver6v33100L18getri_kernel_smallILi43E19rocblas_complex_numIdEPKPS3_EEvT1_iilPiilS8_bb ; -- Begin function _ZN9rocsolver6v33100L18getri_kernel_smallILi43E19rocblas_complex_numIdEPKPS3_EEvT1_iilPiilS8_bb
	.p2align	8
	.type	_ZN9rocsolver6v33100L18getri_kernel_smallILi43E19rocblas_complex_numIdEPKPS3_EEvT1_iilPiilS8_bb,@function
_ZN9rocsolver6v33100L18getri_kernel_smallILi43E19rocblas_complex_numIdEPKPS3_EEvT1_iilPiilS8_bb: ; @_ZN9rocsolver6v33100L18getri_kernel_smallILi43E19rocblas_complex_numIdEPKPS3_EEvT1_iilPiilS8_bb
; %bb.0:
	s_add_u32 flat_scratch_lo, s6, s9
	s_addc_u32 flat_scratch_hi, s7, 0
	s_add_u32 s0, s0, s9
	v_mov_b32_e32 v255, v0
	s_addc_u32 s1, s1, 0
	v_cmp_gt_u32_e32 vcc, 43, v255
	s_and_saveexec_b64 s[6:7], vcc
	s_cbranch_execz .LBB106_186
; %bb.1:
	s_load_dword s18, s[4:5], 0x38
	s_load_dwordx2 s[6:7], s[4:5], 0x0
	s_load_dwordx4 s[12:15], s[4:5], 0x28
	s_waitcnt lgkmcnt(0)
	s_bitcmp1_b32 s18, 8
	s_cselect_b64 s[16:17], -1, 0
	s_ashr_i32 s9, s8, 31
	s_lshl_b64 s[10:11], s[8:9], 3
	s_add_u32 s6, s6, s10
	s_addc_u32 s7, s7, s11
	s_load_dwordx2 s[6:7], s[6:7], 0x0
	s_bfe_u32 s10, s18, 0x10008
	s_cmp_eq_u32 s10, 0
                                        ; implicit-def: $sgpr10_sgpr11
	s_cbranch_scc1 .LBB106_3
; %bb.2:
	s_load_dword s10, s[4:5], 0x20
	s_load_dwordx2 s[20:21], s[4:5], 0x18
	s_mul_i32 s11, s8, s13
	s_mul_hi_u32 s13, s8, s12
	s_add_i32 s13, s13, s11
	s_mul_i32 s19, s9, s12
	s_add_i32 s13, s13, s19
	s_mul_i32 s12, s8, s12
	s_waitcnt lgkmcnt(0)
	s_ashr_i32 s11, s10, 31
	s_lshl_b64 s[12:13], s[12:13], 2
	s_add_u32 s12, s20, s12
	s_addc_u32 s13, s21, s13
	s_lshl_b64 s[10:11], s[10:11], 2
	s_add_u32 s10, s12, s10
	s_addc_u32 s11, s13, s11
.LBB106_3:
	s_load_dwordx2 s[4:5], s[4:5], 0x8
	v_lshlrev_b32_e32 v1, 4, v255
	s_waitcnt lgkmcnt(0)
	s_ashr_i32 s13, s4, 31
	s_mov_b32 s12, s4
	s_lshl_b64 s[12:13], s[12:13], 4
	s_add_u32 s6, s6, s12
	s_addc_u32 s7, s7, s13
	v_mov_b32_e32 v0, s7
	v_add_co_u32_e32 v2, vcc, s6, v1
	s_ashr_i32 s13, s5, 31
	s_mov_b32 s12, s5
	s_add_i32 s4, s5, s5
	v_addc_co_u32_e32 v3, vcc, 0, v0, vcc
	s_lshl_b64 s[12:13], s[12:13], 4
	v_add_u32_e32 v10, s4, v255
	v_mov_b32_e32 v0, s13
	v_add_co_u32_e32 v4, vcc, s12, v2
	v_accvgpr_write_b32 a0, v2
	v_ashrrev_i32_e32 v11, 31, v10
	global_load_dwordx4 v[6:9], v1, s[6:7]
	v_accvgpr_write_b32 a1, v3
	v_addc_co_u32_e32 v5, vcc, v3, v0, vcc
	v_lshlrev_b64 v[2:3], 4, v[10:11]
	v_add_u32_e32 v10, s5, v10
	v_mov_b32_e32 v0, s7
	v_add_co_u32_e32 v2, vcc, s6, v2
	v_ashrrev_i32_e32 v11, 31, v10
	v_addc_co_u32_e32 v3, vcc, v0, v3, vcc
	v_add_u32_e32 v12, s5, v10
	v_lshlrev_b64 v[10:11], 4, v[10:11]
	v_ashrrev_i32_e32 v13, 31, v12
	v_add_co_u32_e32 v30, vcc, s6, v10
	global_load_dwordx4 v[26:29], v[4:5], off
	v_addc_co_u32_e32 v31, vcc, v0, v11, vcc
	v_lshlrev_b64 v[10:11], 4, v[12:13]
	v_mov_b32_e32 v16, s7
	v_add_co_u32_e32 v10, vcc, s6, v10
	v_addc_co_u32_e32 v11, vcc, v16, v11, vcc
	v_accvgpr_write_b32 a2, v4
	v_accvgpr_write_b32 a5, v3
	;; [unrolled: 1-line block ×5, first 2 shown]
	v_add_u32_e32 v14, s5, v12
	v_accvgpr_write_b32 a22, v10
	global_load_dwordx4 v[10:13], v[10:11], off
	v_ashrrev_i32_e32 v15, 31, v14
	global_load_dwordx4 v[2:5], v[2:3], off
	v_add_u32_e32 v18, s5, v14
	v_lshlrev_b64 v[20:21], 4, v[14:15]
	global_load_dwordx4 v[14:17], v[30:31], off
	v_mov_b32_e32 v23, s7
	v_ashrrev_i32_e32 v19, 31, v18
	v_add_co_u32_e32 v20, vcc, s6, v20
	v_add_u32_e32 v22, s5, v18
	v_addc_co_u32_e32 v21, vcc, v23, v21, vcc
	v_lshlrev_b64 v[18:19], 4, v[18:19]
	v_mov_b32_e32 v24, s7
	v_accvgpr_write_b32 a24, v30
	v_ashrrev_i32_e32 v23, 31, v22
	v_add_co_u32_e32 v18, vcc, s6, v18
	v_accvgpr_write_b32 a25, v31
	v_add_u32_e32 v34, s5, v22
	v_addc_co_u32_e32 v19, vcc, v24, v19, vcc
	v_lshlrev_b64 v[30:31], 4, v[22:23]
	global_load_dwordx4 v[22:25], v[20:21], off
	v_accvgpr_write_b32 a20, v20
	v_accvgpr_write_b32 a16, v18
	;; [unrolled: 1-line block ×4, first 2 shown]
	global_load_dwordx4 v[18:21], v[18:19], off
	v_mov_b32_e32 v32, s7
	v_add_co_u32_e32 v36, vcc, s6, v30
	v_addc_co_u32_e32 v37, vcc, v32, v31, vcc
	s_waitcnt vmcnt(6)
	buffer_store_dword v9, off, s[0:3], 0 offset:28
	buffer_store_dword v8, off, s[0:3], 0 offset:24
	;; [unrolled: 1-line block ×4, first 2 shown]
	s_waitcnt vmcnt(9)
	buffer_store_dword v29, off, s[0:3], 0 offset:44
	buffer_store_dword v28, off, s[0:3], 0 offset:40
	;; [unrolled: 1-line block ×4, first 2 shown]
	s_waitcnt vmcnt(11)
	buffer_store_dword v5, off, s[0:3], 0 offset:60
	v_ashrrev_i32_e32 v35, 31, v34
	global_load_dwordx4 v[26:29], v[36:37], off
	v_lshlrev_b64 v[30:31], 4, v[34:35]
	v_mov_b32_e32 v33, s7
	v_add_co_u32_e32 v30, vcc, s6, v30
	v_addc_co_u32_e32 v31, vcc, v33, v31, vcc
	v_accvgpr_write_b32 a6, v30
	v_add_u32_e32 v6, s5, v34
	v_accvgpr_write_b32 a7, v31
	global_load_dwordx4 v[30:33], v[30:31], off
	v_ashrrev_i32_e32 v7, 31, v6
	v_lshlrev_b64 v[8:9], 4, v[6:7]
	v_add_co_u32_e32 v34, vcc, s6, v8
	v_accvgpr_write_b32 a8, v36
	v_addc_co_u32_e32 v35, vcc, v0, v9, vcc
	v_add_u32_e32 v6, s5, v6
	v_accvgpr_write_b32 a10, v34
	v_accvgpr_write_b32 a9, v37
	v_ashrrev_i32_e32 v7, 31, v6
	v_accvgpr_write_b32 a11, v35
	global_load_dwordx4 v[34:37], v[34:35], off
	v_lshlrev_b64 v[8:9], 4, v[6:7]
	v_add_co_u32_e32 v8, vcc, s6, v8
	v_addc_co_u32_e32 v9, vcc, v0, v9, vcc
	global_load_dwordx4 v[38:41], v[8:9], off
	v_add_u32_e32 v6, s5, v6
	v_accvgpr_write_b32 a13, v9
	v_ashrrev_i32_e32 v7, 31, v6
	v_accvgpr_write_b32 a12, v8
	v_lshlrev_b64 v[8:9], 4, v[6:7]
	v_add_co_u32_e32 v42, vcc, s6, v8
	v_addc_co_u32_e32 v43, vcc, v0, v9, vcc
	v_add_u32_e32 v6, s5, v6
	v_accvgpr_write_b32 a14, v42
	v_ashrrev_i32_e32 v7, 31, v6
	v_accvgpr_write_b32 a15, v43
	global_load_dwordx4 v[42:45], v[42:43], off
	v_lshlrev_b64 v[8:9], 4, v[6:7]
	v_add_co_u32_e32 v8, vcc, s6, v8
	v_addc_co_u32_e32 v9, vcc, v0, v9, vcc
	global_load_dwordx4 v[46:49], v[8:9], off
	v_add_u32_e32 v6, s5, v6
	v_accvgpr_write_b32 a19, v9
	v_ashrrev_i32_e32 v7, 31, v6
	v_accvgpr_write_b32 a18, v8
	v_lshlrev_b64 v[8:9], 4, v[6:7]
	v_add_co_u32_e32 v50, vcc, s6, v8
	v_addc_co_u32_e32 v51, vcc, v0, v9, vcc
	v_add_u32_e32 v6, s5, v6
	;; [unrolled: 16-line block ×5, first 2 shown]
	v_accvgpr_write_b32 a38, v74
	v_ashrrev_i32_e32 v7, 31, v6
	v_accvgpr_write_b32 a39, v75
	global_load_dwordx4 v[74:77], v[74:75], off
	v_lshlrev_b64 v[8:9], 4, v[6:7]
	v_add_co_u32_e32 v8, vcc, s6, v8
	v_addc_co_u32_e32 v9, vcc, v0, v9, vcc
	global_load_dwordx4 v[78:81], v[8:9], off
	v_add_u32_e32 v6, s5, v6
	v_accvgpr_write_b32 a41, v9
	v_ashrrev_i32_e32 v7, 31, v6
	v_accvgpr_write_b32 a40, v8
	v_lshlrev_b64 v[8:9], 4, v[6:7]
	v_add_co_u32_e32 v8, vcc, s6, v8
	v_add_u32_e32 v86, s5, v6
	v_addc_co_u32_e32 v9, vcc, v0, v9, vcc
	v_ashrrev_i32_e32 v87, 31, v86
	global_load_dwordx4 v[82:85], v[8:9], off
	v_lshlrev_b64 v[6:7], 4, v[86:87]
	v_add_co_u32_e32 v6, vcc, s6, v6
	v_addc_co_u32_e32 v7, vcc, v0, v7, vcc
	v_accvgpr_write_b32 a43, v9
	v_accvgpr_write_b32 a45, v7
	;; [unrolled: 1-line block ×4, first 2 shown]
	global_load_dwordx4 v[6:9], v[6:7], off
	s_nop 0
	buffer_store_dword v4, off, s[0:3], 0 offset:56
	buffer_store_dword v3, off, s[0:3], 0 offset:52
	;; [unrolled: 1-line block ×3, first 2 shown]
	s_waitcnt vmcnt(30)
	buffer_store_dword v17, off, s[0:3], 0 offset:76
	buffer_store_dword v16, off, s[0:3], 0 offset:72
	;; [unrolled: 1-line block ×8, first 2 shown]
	s_waitcnt vmcnt(37)
	buffer_store_dword v25, off, s[0:3], 0 offset:108
	buffer_store_dword v24, off, s[0:3], 0 offset:104
	buffer_store_dword v23, off, s[0:3], 0 offset:100
	buffer_store_dword v22, off, s[0:3], 0 offset:96
	s_waitcnt vmcnt(40)
	buffer_store_dword v21, off, s[0:3], 0 offset:124
	buffer_store_dword v20, off, s[0:3], 0 offset:120
	buffer_store_dword v19, off, s[0:3], 0 offset:116
	buffer_store_dword v18, off, s[0:3], 0 offset:112
	;; [unrolled: 5-line block ×13, first 2 shown]
	buffer_store_dword v73, off, s[0:3], 0 offset:316
	buffer_store_dword v72, off, s[0:3], 0 offset:312
	;; [unrolled: 1-line block ×8, first 2 shown]
	s_waitcnt vmcnt(62)
	buffer_store_dword v81, off, s[0:3], 0 offset:348
	buffer_store_dword v80, off, s[0:3], 0 offset:344
	;; [unrolled: 1-line block ×9, first 2 shown]
	v_add_u32_e32 v2, s5, v86
	v_ashrrev_i32_e32 v3, 31, v2
	v_lshlrev_b64 v[4:5], 4, v[2:3]
	v_add_u32_e32 v14, s5, v2
	v_add_co_u32_e32 v4, vcc, s6, v4
	v_ashrrev_i32_e32 v15, 31, v14
	v_addc_co_u32_e32 v5, vcc, v0, v5, vcc
	v_lshlrev_b64 v[2:3], 4, v[14:15]
	v_add_co_u32_e32 v10, vcc, s6, v2
	v_accvgpr_write_b32 a49, v5
	v_addc_co_u32_e32 v11, vcc, v0, v3, vcc
	v_accvgpr_write_b32 a48, v4
	global_load_dwordx4 v[2:5], v[4:5], off
	v_add_u32_e32 v14, s5, v14
	v_accvgpr_write_b32 a51, v11
	v_ashrrev_i32_e32 v15, 31, v14
	v_accvgpr_write_b32 a50, v10
	global_load_dwordx4 v[10:13], v[10:11], off
	v_lshlrev_b64 v[16:17], 4, v[14:15]
	v_add_u32_e32 v22, s5, v14
	v_add_co_u32_e32 v16, vcc, s6, v16
	v_ashrrev_i32_e32 v23, 31, v22
	v_addc_co_u32_e32 v17, vcc, v0, v17, vcc
	v_lshlrev_b64 v[14:15], 4, v[22:23]
	v_add_co_u32_e32 v18, vcc, s6, v14
	v_accvgpr_write_b32 a53, v17
	v_addc_co_u32_e32 v19, vcc, v0, v15, vcc
	v_accvgpr_write_b32 a52, v16
	global_load_dwordx4 v[14:17], v[16:17], off
	v_add_u32_e32 v22, s5, v22
	v_accvgpr_write_b32 a55, v19
	v_ashrrev_i32_e32 v23, 31, v22
	v_accvgpr_write_b32 a54, v18
	global_load_dwordx4 v[18:21], v[18:19], off
	;; [unrolled: 16-line block ×9, first 2 shown]
	v_lshlrev_b64 v[80:81], 4, v[78:79]
	v_add_co_u32_e32 v80, vcc, s6, v80
	v_addc_co_u32_e32 v81, vcc, v0, v81, vcc
	v_add_u32_e32 v78, s5, v78
	v_ashrrev_i32_e32 v79, 31, v78
	v_accvgpr_write_b32 a85, v81
	v_lshlrev_b64 v[82:83], 4, v[78:79]
	v_accvgpr_write_b32 a84, v80
	global_load_dwordx4 v[78:81], v[80:81], off
	v_add_co_u32_e32 v82, vcc, s6, v82
	v_addc_co_u32_e32 v83, vcc, v0, v83, vcc
	v_accvgpr_write_b32 a46, v82
	v_accvgpr_write_b32 a47, v83
	global_load_dwordx4 v[82:85], v[82:83], off
	v_mov_b32_e32 v0, 16
	buffer_store_dword v8, off, s[0:3], 0 offset:376
	buffer_store_dword v7, off, s[0:3], 0 offset:372
	buffer_store_dword v6, off, s[0:3], 0 offset:368
	s_waitcnt vmcnt(22)
	buffer_store_dword v5, off, s[0:3], 0 offset:396
	buffer_store_dword v4, off, s[0:3], 0 offset:392
	buffer_store_dword v3, off, s[0:3], 0 offset:388
	buffer_store_dword v2, off, s[0:3], 0 offset:384
	s_waitcnt vmcnt(25)
	buffer_store_dword v13, off, s[0:3], 0 offset:412
	;; [unrolled: 5-line block ×15, first 2 shown]
	buffer_store_dword v64, off, s[0:3], 0 offset:616
	buffer_store_dword v63, off, s[0:3], 0 offset:612
	;; [unrolled: 1-line block ×11, first 2 shown]
	s_waitcnt vmcnt(62)
	buffer_store_dword v77, off, s[0:3], 0 offset:668
	buffer_store_dword v76, off, s[0:3], 0 offset:664
	;; [unrolled: 1-line block ×12, first 2 shown]
	v_add_u32_e32 v2, 16, v0
	v_accvgpr_write_b32 a127, v2
	v_add_u32_e32 v2, 32, v0
	v_accvgpr_write_b32 a126, v2
	;; [unrolled: 2-line block ×40, first 2 shown]
	v_add_u32_e32 v2, 0x290, v0
	v_add_u32_e32 v0, 0x2a0, v0
	v_accvgpr_write_b32 a87, v2
	v_accvgpr_write_b32 a86, v0
	s_bitcmp0_b32 s18, 0
	s_mov_b64 s[6:7], -1
	s_cbranch_scc1 .LBB106_184
; %bb.4:
	v_cmp_eq_u32_e64 s[4:5], 0, v255
	s_and_saveexec_b64 s[6:7], s[4:5]
	s_cbranch_execz .LBB106_6
; %bb.5:
	v_mov_b32_e32 v0, 0
	ds_write_b32 v0, v0 offset:1376
.LBB106_6:
	s_or_b64 exec, exec, s[6:7]
	v_mov_b32_e32 v0, 16
	v_lshl_add_u32 v12, v255, 4, v0
	s_waitcnt lgkmcnt(0)
	; wave barrier
	s_waitcnt lgkmcnt(0)
	buffer_load_dword v2, v12, s[0:3], 0 offen
	buffer_load_dword v3, v12, s[0:3], 0 offen offset:4
	buffer_load_dword v4, v12, s[0:3], 0 offen offset:8
	;; [unrolled: 1-line block ×3, first 2 shown]
	s_waitcnt vmcnt(2)
	v_cmp_eq_f64_e32 vcc, 0, v[2:3]
	s_waitcnt vmcnt(0)
	v_cmp_eq_f64_e64 s[6:7], 0, v[4:5]
	s_and_b64 s[6:7], vcc, s[6:7]
	s_and_saveexec_b64 s[12:13], s[6:7]
	s_cbranch_execz .LBB106_10
; %bb.7:
	v_mov_b32_e32 v2, 0
	ds_read_b32 v0, v2 offset:1376
	v_add_u32_e32 v3, 1, v255
	s_waitcnt lgkmcnt(0)
	v_readfirstlane_b32 s6, v0
	s_cmp_eq_u32 s6, 0
	s_cselect_b64 s[18:19], -1, 0
	v_cmp_gt_i32_e32 vcc, s6, v3
	s_or_b64 s[18:19], s[18:19], vcc
	s_and_b64 exec, exec, s[18:19]
	s_cbranch_execz .LBB106_10
; %bb.8:
	s_mov_b64 s[18:19], 0
	v_mov_b32_e32 v4, s6
.LBB106_9:                              ; =>This Inner Loop Header: Depth=1
	ds_cmpst_rtn_b32 v4, v2, v4, v3 offset:1376
	s_waitcnt lgkmcnt(0)
	v_cmp_ne_u32_e32 vcc, 0, v4
	v_cmp_le_i32_e64 s[6:7], v4, v3
	s_and_b64 s[6:7], vcc, s[6:7]
	s_and_b64 s[6:7], exec, s[6:7]
	s_or_b64 s[18:19], s[6:7], s[18:19]
	s_andn2_b64 exec, exec, s[18:19]
	s_cbranch_execnz .LBB106_9
.LBB106_10:
	s_or_b64 exec, exec, s[12:13]
	v_mov_b32_e32 v3, 0
	s_waitcnt lgkmcnt(0)
	; wave barrier
	ds_read_b32 v2, v3 offset:1376
	s_and_saveexec_b64 s[6:7], s[4:5]
	s_cbranch_execz .LBB106_12
; %bb.11:
	s_lshl_b64 s[12:13], s[8:9], 2
	s_add_u32 s12, s14, s12
	s_addc_u32 s13, s15, s13
	s_waitcnt lgkmcnt(0)
	global_store_dword v3, v2, s[12:13]
.LBB106_12:
	s_or_b64 exec, exec, s[6:7]
	s_waitcnt lgkmcnt(0)
	v_cmp_ne_u32_e32 vcc, 0, v2
	s_mov_b64 s[6:7], 0
	s_cbranch_vccnz .LBB106_184
; %bb.13:
	buffer_load_dword v7, v12, s[0:3], 0 offen offset:4
	buffer_load_dword v6, v12, s[0:3], 0 offen
	buffer_load_dword v9, v12, s[0:3], 0 offen offset:12
	buffer_load_dword v8, v12, s[0:3], 0 offen offset:8
                                        ; implicit-def: $vgpr10_vgpr11
	s_waitcnt vmcnt(3)
	v_xor_b32_e32 v0, 0x80000000, v7
	s_waitcnt vmcnt(2)
	v_cmp_gt_f64_e32 vcc, 0, v[6:7]
	s_waitcnt vmcnt(1)
	v_xor_b32_e32 v4, 0x80000000, v9
	v_cndmask_b32_e32 v3, v7, v0, vcc
	s_waitcnt vmcnt(0)
	v_cmp_gt_f64_e32 vcc, 0, v[8:9]
	v_mov_b32_e32 v2, v6
	v_cndmask_b32_e32 v5, v9, v4, vcc
	v_mov_b32_e32 v4, v8
	v_cmp_ngt_f64_e32 vcc, v[2:3], v[4:5]
                                        ; implicit-def: $vgpr4_vgpr5
	s_and_saveexec_b64 s[6:7], vcc
	s_xor_b64 s[6:7], exec, s[6:7]
	s_cbranch_execz .LBB106_15
; %bb.14:
	v_div_scale_f64 v[2:3], s[12:13], v[8:9], v[8:9], v[6:7]
	v_rcp_f64_e32 v[4:5], v[2:3]
	v_div_scale_f64 v[10:11], vcc, v[6:7], v[8:9], v[6:7]
	v_fma_f64 v[14:15], -v[2:3], v[4:5], 1.0
	v_fmac_f64_e32 v[4:5], v[4:5], v[14:15]
	v_fma_f64 v[14:15], -v[2:3], v[4:5], 1.0
	v_fmac_f64_e32 v[4:5], v[4:5], v[14:15]
	v_mul_f64 v[14:15], v[10:11], v[4:5]
	v_fma_f64 v[2:3], -v[2:3], v[14:15], v[10:11]
	v_div_fmas_f64 v[2:3], v[2:3], v[4:5], v[14:15]
	v_div_fixup_f64 v[2:3], v[2:3], v[8:9], v[6:7]
	v_fmac_f64_e32 v[8:9], v[6:7], v[2:3]
	v_div_scale_f64 v[4:5], s[12:13], v[8:9], v[8:9], 1.0
	v_rcp_f64_e32 v[6:7], v[4:5]
	v_fma_f64 v[10:11], -v[4:5], v[6:7], 1.0
	v_fmac_f64_e32 v[6:7], v[6:7], v[10:11]
	v_fma_f64 v[10:11], -v[4:5], v[6:7], 1.0
	v_fmac_f64_e32 v[6:7], v[6:7], v[10:11]
	v_div_scale_f64 v[10:11], vcc, 1.0, v[8:9], 1.0
	v_mul_f64 v[14:15], v[10:11], v[6:7]
	v_fma_f64 v[4:5], -v[4:5], v[14:15], v[10:11]
	s_nop 1
	v_div_fmas_f64 v[4:5], v[4:5], v[6:7], v[14:15]
	v_div_fixup_f64 v[4:5], v[4:5], v[8:9], 1.0
	v_mul_f64 v[10:11], v[2:3], v[4:5]
	v_xor_b32_e32 v5, 0x80000000, v5
	v_xor_b32_e32 v3, 0x80000000, v11
	v_mov_b32_e32 v2, v10
                                        ; implicit-def: $vgpr6_vgpr7
                                        ; implicit-def: $vgpr8_vgpr9
.LBB106_15:
	s_andn2_saveexec_b64 s[6:7], s[6:7]
	s_cbranch_execz .LBB106_17
; %bb.16:
	v_div_scale_f64 v[2:3], s[12:13], v[6:7], v[6:7], v[8:9]
	v_rcp_f64_e32 v[4:5], v[2:3]
	v_div_scale_f64 v[10:11], vcc, v[8:9], v[6:7], v[8:9]
	v_fma_f64 v[14:15], -v[2:3], v[4:5], 1.0
	v_fmac_f64_e32 v[4:5], v[4:5], v[14:15]
	v_fma_f64 v[14:15], -v[2:3], v[4:5], 1.0
	v_fmac_f64_e32 v[4:5], v[4:5], v[14:15]
	v_mul_f64 v[14:15], v[10:11], v[4:5]
	v_fma_f64 v[2:3], -v[2:3], v[14:15], v[10:11]
	v_div_fmas_f64 v[2:3], v[2:3], v[4:5], v[14:15]
	v_div_fixup_f64 v[4:5], v[2:3], v[6:7], v[8:9]
	v_fmac_f64_e32 v[6:7], v[8:9], v[4:5]
	v_div_scale_f64 v[2:3], s[12:13], v[6:7], v[6:7], 1.0
	v_rcp_f64_e32 v[8:9], v[2:3]
	v_fma_f64 v[10:11], -v[2:3], v[8:9], 1.0
	v_fmac_f64_e32 v[8:9], v[8:9], v[10:11]
	v_fma_f64 v[10:11], -v[2:3], v[8:9], 1.0
	v_fmac_f64_e32 v[8:9], v[8:9], v[10:11]
	v_div_scale_f64 v[10:11], vcc, 1.0, v[6:7], 1.0
	v_mul_f64 v[14:15], v[10:11], v[8:9]
	v_fma_f64 v[2:3], -v[2:3], v[14:15], v[10:11]
	s_nop 1
	v_div_fmas_f64 v[2:3], v[2:3], v[8:9], v[14:15]
	v_div_fixup_f64 v[10:11], v[2:3], v[6:7], 1.0
	v_xor_b32_e32 v3, 0x80000000, v11
	v_mov_b32_e32 v2, v10
	v_mul_f64 v[4:5], v[4:5], -v[10:11]
.LBB106_17:
	s_or_b64 exec, exec, s[6:7]
	buffer_store_dword v11, v12, s[0:3], 0 offen offset:4
	buffer_store_dword v10, v12, s[0:3], 0 offen
	buffer_store_dword v5, v12, s[0:3], 0 offen offset:12
	buffer_store_dword v4, v12, s[0:3], 0 offen offset:8
	v_accvgpr_read_b32 v0, a127
	buffer_load_dword v11, v0, s[0:3], 0 offen offset:12
	buffer_load_dword v10, v0, s[0:3], 0 offen offset:8
	;; [unrolled: 1-line block ×3, first 2 shown]
	buffer_load_dword v8, v0, s[0:3], 0 offen
	v_xor_b32_e32 v5, 0x80000000, v5
	v_add_u32_e32 v6, 0x2b0, v1
	ds_write_b128 v1, v[2:5]
	s_waitcnt vmcnt(0)
	ds_write_b128 v1, v[8:11] offset:688
	s_waitcnt lgkmcnt(0)
	; wave barrier
	s_waitcnt lgkmcnt(0)
	s_and_saveexec_b64 s[6:7], s[4:5]
	s_cbranch_execz .LBB106_19
; %bb.18:
	buffer_load_dword v14, v12, s[0:3], 0 offen offset:8
	buffer_load_dword v15, v12, s[0:3], 0 offen offset:12
	buffer_load_dword v16, v12, s[0:3], 0 offen
	buffer_load_dword v17, v12, s[0:3], 0 offen offset:4
	ds_read_b128 v[2:5], v6
	v_mov_b32_e32 v0, 0
	ds_read_b128 v[8:11], v0 offset:16
	s_waitcnt vmcnt(2) lgkmcnt(1)
	v_mul_f64 v[18:19], v[4:5], v[14:15]
	v_mul_f64 v[14:15], v[2:3], v[14:15]
	s_waitcnt vmcnt(0)
	v_fmac_f64_e32 v[14:15], v[4:5], v[16:17]
	v_fma_f64 v[2:3], v[2:3], v[16:17], -v[18:19]
	v_add_f64 v[4:5], v[14:15], 0
	v_add_f64 v[2:3], v[2:3], 0
	s_waitcnt lgkmcnt(0)
	v_mul_f64 v[14:15], v[4:5], v[10:11]
	v_mul_f64 v[10:11], v[2:3], v[10:11]
	v_fma_f64 v[2:3], v[2:3], v[8:9], -v[14:15]
	v_fmac_f64_e32 v[10:11], v[4:5], v[8:9]
	buffer_store_dword v2, off, s[0:3], 0 offset:32
	buffer_store_dword v3, off, s[0:3], 0 offset:36
	;; [unrolled: 1-line block ×4, first 2 shown]
.LBB106_19:
	s_or_b64 exec, exec, s[6:7]
	v_accvgpr_read_b32 v0, a126
	s_waitcnt lgkmcnt(0)
	; wave barrier
	buffer_load_dword v2, v0, s[0:3], 0 offen
	buffer_load_dword v3, v0, s[0:3], 0 offen offset:4
	buffer_load_dword v4, v0, s[0:3], 0 offen offset:8
	;; [unrolled: 1-line block ×3, first 2 shown]
	v_cmp_gt_u32_e32 vcc, 2, v255
	s_waitcnt vmcnt(0)
	ds_write_b128 v6, v[2:5]
	s_waitcnt lgkmcnt(0)
	; wave barrier
	s_waitcnt lgkmcnt(0)
	s_and_saveexec_b64 s[6:7], vcc
	s_cbranch_execz .LBB106_23
; %bb.20:
	buffer_load_dword v8, v12, s[0:3], 0 offen offset:8
	buffer_load_dword v9, v12, s[0:3], 0 offen offset:12
	buffer_load_dword v10, v12, s[0:3], 0 offen
	buffer_load_dword v11, v12, s[0:3], 0 offen offset:4
	ds_read_b128 v[2:5], v6
	s_waitcnt vmcnt(2) lgkmcnt(0)
	v_mul_f64 v[12:13], v[4:5], v[8:9]
	v_mul_f64 v[8:9], v[2:3], v[8:9]
	s_waitcnt vmcnt(0)
	v_fma_f64 v[2:3], v[2:3], v[10:11], -v[12:13]
	v_fmac_f64_e32 v[8:9], v[4:5], v[10:11]
	v_add_f64 v[4:5], v[2:3], 0
	v_add_f64 v[2:3], v[8:9], 0
	s_and_saveexec_b64 s[12:13], s[4:5]
	s_cbranch_execz .LBB106_22
; %bb.21:
	buffer_load_dword v12, off, s[0:3], 0 offset:40
	buffer_load_dword v13, off, s[0:3], 0 offset:44
	;; [unrolled: 1-line block ×4, first 2 shown]
	v_mov_b32_e32 v0, 0
	ds_read_b128 v[8:11], v0 offset:704
	s_waitcnt vmcnt(2) lgkmcnt(0)
	v_mul_f64 v[16:17], v[8:9], v[12:13]
	v_mul_f64 v[12:13], v[10:11], v[12:13]
	s_waitcnt vmcnt(0)
	v_fmac_f64_e32 v[16:17], v[10:11], v[14:15]
	v_fma_f64 v[8:9], v[8:9], v[14:15], -v[12:13]
	v_add_f64 v[2:3], v[2:3], v[16:17]
	v_add_f64 v[4:5], v[4:5], v[8:9]
.LBB106_22:
	s_or_b64 exec, exec, s[12:13]
	v_mov_b32_e32 v0, 0
	ds_read_b128 v[8:11], v0 offset:32
	s_waitcnt lgkmcnt(0)
	v_mul_f64 v[12:13], v[2:3], v[10:11]
	v_mul_f64 v[10:11], v[4:5], v[10:11]
	v_fma_f64 v[4:5], v[4:5], v[8:9], -v[12:13]
	v_fmac_f64_e32 v[10:11], v[2:3], v[8:9]
	buffer_store_dword v5, off, s[0:3], 0 offset:52
	buffer_store_dword v4, off, s[0:3], 0 offset:48
	;; [unrolled: 1-line block ×4, first 2 shown]
.LBB106_23:
	s_or_b64 exec, exec, s[6:7]
	v_accvgpr_read_b32 v0, a125
	s_waitcnt lgkmcnt(0)
	; wave barrier
	buffer_load_dword v2, v0, s[0:3], 0 offen
	buffer_load_dword v3, v0, s[0:3], 0 offen offset:4
	buffer_load_dword v4, v0, s[0:3], 0 offen offset:8
	;; [unrolled: 1-line block ×3, first 2 shown]
	v_cmp_gt_u32_e32 vcc, 3, v255
	v_add_u32_e32 v7, -1, v255
	s_waitcnt vmcnt(0)
	ds_write_b128 v6, v[2:5]
	s_waitcnt lgkmcnt(0)
	; wave barrier
	s_waitcnt lgkmcnt(0)
	s_and_saveexec_b64 s[4:5], vcc
	s_cbranch_execz .LBB106_27
; %bb.24:
	v_pk_mov_b32 v[2:3], 0, 0
	v_add_u32_e32 v8, -1, v255
	v_add_u32_e32 v9, 0x2b0, v1
	v_add_u32_e32 v10, 16, v1
	s_mov_b64 s[6:7], 0
	v_pk_mov_b32 v[4:5], v[2:3], v[2:3] op_sel:[0,1]
.LBB106_25:                             ; =>This Inner Loop Header: Depth=1
	buffer_load_dword v16, v10, s[0:3], 0 offen offset:8
	buffer_load_dword v17, v10, s[0:3], 0 offen offset:12
	buffer_load_dword v18, v10, s[0:3], 0 offen
	buffer_load_dword v19, v10, s[0:3], 0 offen offset:4
	ds_read_b128 v[12:15], v9
	v_add_u32_e32 v8, 1, v8
	v_cmp_lt_u32_e32 vcc, 1, v8
	v_add_u32_e32 v9, 16, v9
	v_add_u32_e32 v10, 16, v10
	s_or_b64 s[6:7], vcc, s[6:7]
	s_waitcnt vmcnt(2) lgkmcnt(0)
	v_mul_f64 v[20:21], v[14:15], v[16:17]
	v_mul_f64 v[16:17], v[12:13], v[16:17]
	s_waitcnt vmcnt(0)
	v_fma_f64 v[12:13], v[12:13], v[18:19], -v[20:21]
	v_fmac_f64_e32 v[16:17], v[14:15], v[18:19]
	v_add_f64 v[4:5], v[4:5], v[12:13]
	v_add_f64 v[2:3], v[2:3], v[16:17]
	s_andn2_b64 exec, exec, s[6:7]
	s_cbranch_execnz .LBB106_25
; %bb.26:
	s_or_b64 exec, exec, s[6:7]
	v_mov_b32_e32 v0, 0
	ds_read_b128 v[8:11], v0 offset:48
	s_waitcnt lgkmcnt(0)
	v_mul_f64 v[12:13], v[2:3], v[10:11]
	v_mul_f64 v[10:11], v[4:5], v[10:11]
	v_fma_f64 v[4:5], v[4:5], v[8:9], -v[12:13]
	v_fmac_f64_e32 v[10:11], v[2:3], v[8:9]
	buffer_store_dword v5, off, s[0:3], 0 offset:68
	buffer_store_dword v4, off, s[0:3], 0 offset:64
	buffer_store_dword v11, off, s[0:3], 0 offset:76
	buffer_store_dword v10, off, s[0:3], 0 offset:72
.LBB106_27:
	s_or_b64 exec, exec, s[4:5]
	v_accvgpr_read_b32 v0, a124
	s_waitcnt lgkmcnt(0)
	; wave barrier
	buffer_load_dword v2, v0, s[0:3], 0 offen
	buffer_load_dword v3, v0, s[0:3], 0 offen offset:4
	buffer_load_dword v4, v0, s[0:3], 0 offen offset:8
	buffer_load_dword v5, v0, s[0:3], 0 offen offset:12
	v_cmp_gt_u32_e32 vcc, 4, v255
	s_waitcnt vmcnt(0)
	ds_write_b128 v6, v[2:5]
	s_waitcnt lgkmcnt(0)
	; wave barrier
	s_waitcnt lgkmcnt(0)
	s_and_saveexec_b64 s[4:5], vcc
	s_cbranch_execz .LBB106_31
; %bb.28:
	v_pk_mov_b32 v[2:3], 0, 0
	v_add_u32_e32 v8, -1, v255
	v_add_u32_e32 v9, 0x2b0, v1
	v_add_u32_e32 v10, 16, v1
	s_mov_b64 s[6:7], 0
	v_pk_mov_b32 v[4:5], v[2:3], v[2:3] op_sel:[0,1]
.LBB106_29:                             ; =>This Inner Loop Header: Depth=1
	buffer_load_dword v16, v10, s[0:3], 0 offen offset:8
	buffer_load_dword v17, v10, s[0:3], 0 offen offset:12
	buffer_load_dword v18, v10, s[0:3], 0 offen
	buffer_load_dword v19, v10, s[0:3], 0 offen offset:4
	ds_read_b128 v[12:15], v9
	v_add_u32_e32 v8, 1, v8
	v_cmp_lt_u32_e32 vcc, 2, v8
	v_add_u32_e32 v9, 16, v9
	v_add_u32_e32 v10, 16, v10
	s_or_b64 s[6:7], vcc, s[6:7]
	s_waitcnt vmcnt(2) lgkmcnt(0)
	v_mul_f64 v[20:21], v[14:15], v[16:17]
	v_mul_f64 v[16:17], v[12:13], v[16:17]
	s_waitcnt vmcnt(0)
	v_fma_f64 v[12:13], v[12:13], v[18:19], -v[20:21]
	v_fmac_f64_e32 v[16:17], v[14:15], v[18:19]
	v_add_f64 v[4:5], v[4:5], v[12:13]
	v_add_f64 v[2:3], v[2:3], v[16:17]
	s_andn2_b64 exec, exec, s[6:7]
	s_cbranch_execnz .LBB106_29
; %bb.30:
	s_or_b64 exec, exec, s[6:7]
	v_mov_b32_e32 v0, 0
	ds_read_b128 v[8:11], v0 offset:64
	s_waitcnt lgkmcnt(0)
	v_mul_f64 v[12:13], v[2:3], v[10:11]
	v_mul_f64 v[10:11], v[4:5], v[10:11]
	v_fma_f64 v[4:5], v[4:5], v[8:9], -v[12:13]
	v_fmac_f64_e32 v[10:11], v[2:3], v[8:9]
	buffer_store_dword v5, off, s[0:3], 0 offset:84
	buffer_store_dword v4, off, s[0:3], 0 offset:80
	buffer_store_dword v11, off, s[0:3], 0 offset:92
	buffer_store_dword v10, off, s[0:3], 0 offset:88
.LBB106_31:
	s_or_b64 exec, exec, s[4:5]
	v_accvgpr_read_b32 v0, a123
	s_waitcnt lgkmcnt(0)
	; wave barrier
	buffer_load_dword v2, v0, s[0:3], 0 offen
	buffer_load_dword v3, v0, s[0:3], 0 offen offset:4
	buffer_load_dword v4, v0, s[0:3], 0 offen offset:8
	buffer_load_dword v5, v0, s[0:3], 0 offen offset:12
	v_cmp_gt_u32_e32 vcc, 5, v255
	;; [unrolled: 58-line block ×19, first 2 shown]
	s_waitcnt vmcnt(0)
	ds_write_b128 v6, v[2:5]
	s_waitcnt lgkmcnt(0)
	; wave barrier
	s_waitcnt lgkmcnt(0)
	s_and_saveexec_b64 s[4:5], vcc
	s_cbranch_execz .LBB106_103
; %bb.100:
	v_pk_mov_b32 v[2:3], 0, 0
	v_add_u32_e32 v8, -1, v255
	v_add_u32_e32 v9, 0x2b0, v1
	v_add_u32_e32 v10, 16, v1
	s_mov_b64 s[6:7], 0
	v_pk_mov_b32 v[4:5], v[2:3], v[2:3] op_sel:[0,1]
.LBB106_101:                            ; =>This Inner Loop Header: Depth=1
	buffer_load_dword v16, v10, s[0:3], 0 offen offset:8
	buffer_load_dword v17, v10, s[0:3], 0 offen offset:12
	buffer_load_dword v18, v10, s[0:3], 0 offen
	buffer_load_dword v19, v10, s[0:3], 0 offen offset:4
	ds_read_b128 v[12:15], v9
	v_add_u32_e32 v8, 1, v8
	v_cmp_lt_u32_e32 vcc, 20, v8
	v_add_u32_e32 v9, 16, v9
	v_add_u32_e32 v10, 16, v10
	s_or_b64 s[6:7], vcc, s[6:7]
	s_waitcnt vmcnt(2) lgkmcnt(0)
	v_mul_f64 v[20:21], v[14:15], v[16:17]
	v_mul_f64 v[16:17], v[12:13], v[16:17]
	s_waitcnt vmcnt(0)
	v_fma_f64 v[12:13], v[12:13], v[18:19], -v[20:21]
	v_fmac_f64_e32 v[16:17], v[14:15], v[18:19]
	v_add_f64 v[4:5], v[4:5], v[12:13]
	v_add_f64 v[2:3], v[2:3], v[16:17]
	s_andn2_b64 exec, exec, s[6:7]
	s_cbranch_execnz .LBB106_101
; %bb.102:
	s_or_b64 exec, exec, s[6:7]
	v_mov_b32_e32 v0, 0
	ds_read_b128 v[8:11], v0 offset:352
	s_waitcnt lgkmcnt(0)
	v_mul_f64 v[12:13], v[2:3], v[10:11]
	v_mul_f64 v[10:11], v[4:5], v[10:11]
	v_fma_f64 v[4:5], v[4:5], v[8:9], -v[12:13]
	v_fmac_f64_e32 v[10:11], v[2:3], v[8:9]
	buffer_store_dword v5, off, s[0:3], 0 offset:372
	buffer_store_dword v4, off, s[0:3], 0 offset:368
	buffer_store_dword v11, off, s[0:3], 0 offset:380
	buffer_store_dword v10, off, s[0:3], 0 offset:376
.LBB106_103:
	s_or_b64 exec, exec, s[4:5]
	v_accvgpr_read_b32 v0, a105
	s_waitcnt lgkmcnt(0)
	; wave barrier
	buffer_load_dword v2, v0, s[0:3], 0 offen
	buffer_load_dword v3, v0, s[0:3], 0 offen offset:4
	buffer_load_dword v4, v0, s[0:3], 0 offen offset:8
	buffer_load_dword v5, v0, s[0:3], 0 offen offset:12
	v_cmp_gt_u32_e32 vcc, 23, v255
	s_waitcnt vmcnt(0)
	ds_write_b128 v6, v[2:5]
	s_waitcnt lgkmcnt(0)
	; wave barrier
	s_waitcnt lgkmcnt(0)
	s_and_saveexec_b64 s[4:5], vcc
	s_cbranch_execz .LBB106_107
; %bb.104:
	v_pk_mov_b32 v[2:3], 0, 0
	v_add_u32_e32 v8, -1, v255
	v_add_u32_e32 v9, 0x2b0, v1
	v_add_u32_e32 v10, 16, v1
	s_mov_b64 s[6:7], 0
	v_pk_mov_b32 v[4:5], v[2:3], v[2:3] op_sel:[0,1]
.LBB106_105:                            ; =>This Inner Loop Header: Depth=1
	buffer_load_dword v16, v10, s[0:3], 0 offen offset:8
	buffer_load_dword v17, v10, s[0:3], 0 offen offset:12
	buffer_load_dword v18, v10, s[0:3], 0 offen
	buffer_load_dword v19, v10, s[0:3], 0 offen offset:4
	ds_read_b128 v[12:15], v9
	v_add_u32_e32 v8, 1, v8
	v_cmp_lt_u32_e32 vcc, 21, v8
	v_add_u32_e32 v9, 16, v9
	v_add_u32_e32 v10, 16, v10
	s_or_b64 s[6:7], vcc, s[6:7]
	s_waitcnt vmcnt(2) lgkmcnt(0)
	v_mul_f64 v[20:21], v[14:15], v[16:17]
	v_mul_f64 v[16:17], v[12:13], v[16:17]
	s_waitcnt vmcnt(0)
	v_fma_f64 v[12:13], v[12:13], v[18:19], -v[20:21]
	v_fmac_f64_e32 v[16:17], v[14:15], v[18:19]
	v_add_f64 v[4:5], v[4:5], v[12:13]
	v_add_f64 v[2:3], v[2:3], v[16:17]
	s_andn2_b64 exec, exec, s[6:7]
	s_cbranch_execnz .LBB106_105
; %bb.106:
	s_or_b64 exec, exec, s[6:7]
	v_mov_b32_e32 v0, 0
	ds_read_b128 v[8:11], v0 offset:368
	s_waitcnt lgkmcnt(0)
	v_mul_f64 v[12:13], v[2:3], v[10:11]
	v_mul_f64 v[10:11], v[4:5], v[10:11]
	v_fma_f64 v[4:5], v[4:5], v[8:9], -v[12:13]
	v_fmac_f64_e32 v[10:11], v[2:3], v[8:9]
	buffer_store_dword v5, off, s[0:3], 0 offset:388
	buffer_store_dword v4, off, s[0:3], 0 offset:384
	buffer_store_dword v11, off, s[0:3], 0 offset:396
	buffer_store_dword v10, off, s[0:3], 0 offset:392
.LBB106_107:
	s_or_b64 exec, exec, s[4:5]
	v_accvgpr_read_b32 v0, a104
	s_waitcnt lgkmcnt(0)
	; wave barrier
	buffer_load_dword v2, v0, s[0:3], 0 offen
	buffer_load_dword v3, v0, s[0:3], 0 offen offset:4
	buffer_load_dword v4, v0, s[0:3], 0 offen offset:8
	buffer_load_dword v5, v0, s[0:3], 0 offen offset:12
	v_cmp_gt_u32_e32 vcc, 24, v255
	;; [unrolled: 58-line block ×19, first 2 shown]
	s_waitcnt vmcnt(0)
	ds_write_b128 v6, v[2:5]
	s_waitcnt lgkmcnt(0)
	; wave barrier
	s_waitcnt lgkmcnt(0)
	s_and_saveexec_b64 s[4:5], vcc
	s_cbranch_execz .LBB106_179
; %bb.176:
	v_pk_mov_b32 v[2:3], 0, 0
	v_add_u32_e32 v8, -1, v255
	v_add_u32_e32 v9, 0x2b0, v1
	v_add_u32_e32 v10, 16, v1
	s_mov_b64 s[6:7], 0
	v_pk_mov_b32 v[4:5], v[2:3], v[2:3] op_sel:[0,1]
.LBB106_177:                            ; =>This Inner Loop Header: Depth=1
	buffer_load_dword v16, v10, s[0:3], 0 offen offset:8
	buffer_load_dword v17, v10, s[0:3], 0 offen offset:12
	buffer_load_dword v18, v10, s[0:3], 0 offen
	buffer_load_dword v19, v10, s[0:3], 0 offen offset:4
	ds_read_b128 v[12:15], v9
	v_add_u32_e32 v8, 1, v8
	v_cmp_lt_u32_e32 vcc, 39, v8
	v_add_u32_e32 v9, 16, v9
	v_add_u32_e32 v10, 16, v10
	s_or_b64 s[6:7], vcc, s[6:7]
	s_waitcnt vmcnt(2) lgkmcnt(0)
	v_mul_f64 v[20:21], v[14:15], v[16:17]
	v_mul_f64 v[16:17], v[12:13], v[16:17]
	s_waitcnt vmcnt(0)
	v_fma_f64 v[12:13], v[12:13], v[18:19], -v[20:21]
	v_fmac_f64_e32 v[16:17], v[14:15], v[18:19]
	v_add_f64 v[4:5], v[4:5], v[12:13]
	v_add_f64 v[2:3], v[2:3], v[16:17]
	s_andn2_b64 exec, exec, s[6:7]
	s_cbranch_execnz .LBB106_177
; %bb.178:
	s_or_b64 exec, exec, s[6:7]
	v_mov_b32_e32 v0, 0
	ds_read_b128 v[8:11], v0 offset:656
	s_waitcnt lgkmcnt(0)
	v_mul_f64 v[12:13], v[2:3], v[10:11]
	v_mul_f64 v[10:11], v[4:5], v[10:11]
	v_fma_f64 v[4:5], v[4:5], v[8:9], -v[12:13]
	v_fmac_f64_e32 v[10:11], v[2:3], v[8:9]
	buffer_store_dword v5, off, s[0:3], 0 offset:676
	buffer_store_dword v4, off, s[0:3], 0 offset:672
	;; [unrolled: 1-line block ×4, first 2 shown]
.LBB106_179:
	s_or_b64 exec, exec, s[4:5]
	v_accvgpr_read_b32 v0, a86
	s_waitcnt lgkmcnt(0)
	; wave barrier
	buffer_load_dword v2, v0, s[0:3], 0 offen
	buffer_load_dword v3, v0, s[0:3], 0 offen offset:4
	buffer_load_dword v4, v0, s[0:3], 0 offen offset:8
	;; [unrolled: 1-line block ×3, first 2 shown]
	v_cmp_ne_u32_e32 vcc, 42, v255
	s_waitcnt vmcnt(0)
	ds_write_b128 v6, v[2:5]
	s_waitcnt lgkmcnt(0)
	; wave barrier
	s_waitcnt lgkmcnt(0)
	s_and_saveexec_b64 s[4:5], vcc
	s_cbranch_execz .LBB106_183
; %bb.180:
	v_pk_mov_b32 v[2:3], 0, 0
	v_add_u32_e32 v6, 0x2b0, v1
	v_add_u32_e32 v1, 16, v1
	s_mov_b64 s[6:7], 0
	v_pk_mov_b32 v[4:5], v[2:3], v[2:3] op_sel:[0,1]
.LBB106_181:                            ; =>This Inner Loop Header: Depth=1
	buffer_load_dword v12, v1, s[0:3], 0 offen offset:8
	buffer_load_dword v13, v1, s[0:3], 0 offen offset:12
	buffer_load_dword v14, v1, s[0:3], 0 offen
	buffer_load_dword v15, v1, s[0:3], 0 offen offset:4
	ds_read_b128 v[8:11], v6
	v_add_u32_e32 v7, 1, v7
	v_cmp_lt_u32_e32 vcc, 40, v7
	v_add_u32_e32 v6, 16, v6
	v_add_u32_e32 v1, 16, v1
	s_or_b64 s[6:7], vcc, s[6:7]
	s_waitcnt vmcnt(2) lgkmcnt(0)
	v_mul_f64 v[16:17], v[10:11], v[12:13]
	v_mul_f64 v[12:13], v[8:9], v[12:13]
	s_waitcnt vmcnt(0)
	v_fma_f64 v[8:9], v[8:9], v[14:15], -v[16:17]
	v_fmac_f64_e32 v[12:13], v[10:11], v[14:15]
	v_add_f64 v[4:5], v[4:5], v[8:9]
	v_add_f64 v[2:3], v[2:3], v[12:13]
	s_andn2_b64 exec, exec, s[6:7]
	s_cbranch_execnz .LBB106_181
; %bb.182:
	s_or_b64 exec, exec, s[6:7]
	v_mov_b32_e32 v0, 0
	ds_read_b128 v[6:9], v0 offset:672
	s_waitcnt lgkmcnt(0)
	v_mul_f64 v[10:11], v[2:3], v[8:9]
	v_mul_f64 v[8:9], v[4:5], v[8:9]
	v_fma_f64 v[4:5], v[4:5], v[6:7], -v[10:11]
	v_fmac_f64_e32 v[8:9], v[2:3], v[6:7]
	buffer_store_dword v5, off, s[0:3], 0 offset:692
	buffer_store_dword v4, off, s[0:3], 0 offset:688
	;; [unrolled: 1-line block ×4, first 2 shown]
.LBB106_183:
	s_or_b64 exec, exec, s[4:5]
	s_mov_b64 s[6:7], -1
	s_waitcnt lgkmcnt(0)
	; wave barrier
.LBB106_184:
	s_and_b64 vcc, exec, s[6:7]
	s_cbranch_vccz .LBB106_186
; %bb.185:
	s_lshl_b64 s[4:5], s[8:9], 2
	s_add_u32 s4, s14, s4
	s_addc_u32 s5, s15, s5
	v_mov_b32_e32 v0, 0
	global_load_dword v0, v0, s[4:5]
	s_waitcnt vmcnt(0)
	v_cmp_ne_u32_e32 vcc, 0, v0
	s_cbranch_vccz .LBB106_187
.LBB106_186:
	s_endpgm
.LBB106_187:
	v_mov_b32_e32 v0, 0x2b0
	v_lshl_add_u32 v0, v255, 4, v0
	v_accvgpr_write_b32 a129, v0
	v_cmp_eq_u32_e32 vcc, 42, v255
	s_and_saveexec_b64 s[4:5], vcc
	s_cbranch_execz .LBB106_189
; %bb.188:
	v_accvgpr_read_b32 v0, a87
	buffer_load_dword v2, v0, s[0:3], 0 offen
	buffer_load_dword v3, v0, s[0:3], 0 offen offset:4
	buffer_load_dword v4, v0, s[0:3], 0 offen offset:8
	;; [unrolled: 1-line block ×3, first 2 shown]
	v_mov_b32_e32 v0, 0
	v_accvgpr_read_b32 v1, a129
	buffer_store_dword v0, off, s[0:3], 0 offset:672
	buffer_store_dword v0, off, s[0:3], 0 offset:676
	;; [unrolled: 1-line block ×4, first 2 shown]
	s_waitcnt vmcnt(4)
	ds_write_b128 v1, v[2:5]
.LBB106_189:
	s_or_b64 exec, exec, s[4:5]
	s_waitcnt lgkmcnt(0)
	; wave barrier
	s_waitcnt lgkmcnt(0)
	buffer_load_dword v8, off, s[0:3], 0 offset:696
	buffer_load_dword v9, off, s[0:3], 0 offset:700
	;; [unrolled: 1-line block ×8, first 2 shown]
	v_mov_b32_e32 v2, 0
	ds_read_b128 v[4:7], v2 offset:1360
	v_cmp_lt_u32_e32 vcc, 40, v255
	s_waitcnt vmcnt(6) lgkmcnt(0)
	v_mul_f64 v[16:17], v[4:5], v[8:9]
	v_mul_f64 v[8:9], v[6:7], v[8:9]
	s_waitcnt vmcnt(4)
	v_fma_f64 v[4:5], v[4:5], v[10:11], -v[8:9]
	v_fmac_f64_e32 v[16:17], v[6:7], v[10:11]
	v_add_f64 v[4:5], v[4:5], 0
	v_add_f64 v[6:7], v[16:17], 0
	s_waitcnt vmcnt(2)
	v_add_f64 v[4:5], v[12:13], -v[4:5]
	s_waitcnt vmcnt(0)
	v_add_f64 v[6:7], v[14:15], -v[6:7]
	buffer_store_dword v4, off, s[0:3], 0 offset:672
	buffer_store_dword v5, off, s[0:3], 0 offset:676
	;; [unrolled: 1-line block ×4, first 2 shown]
	s_and_saveexec_b64 s[4:5], vcc
	s_cbranch_execz .LBB106_191
; %bb.190:
	v_accvgpr_read_b32 v0, a88
	buffer_load_dword v4, v0, s[0:3], 0 offen
	buffer_load_dword v5, v0, s[0:3], 0 offen offset:4
	buffer_load_dword v6, v0, s[0:3], 0 offen offset:8
	;; [unrolled: 1-line block ×3, first 2 shown]
	v_accvgpr_read_b32 v0, a129
	buffer_store_dword v2, off, s[0:3], 0 offset:656
	buffer_store_dword v2, off, s[0:3], 0 offset:660
	;; [unrolled: 1-line block ×4, first 2 shown]
	s_waitcnt vmcnt(4)
	ds_write_b128 v0, v[4:7]
.LBB106_191:
	s_or_b64 exec, exec, s[4:5]
	s_waitcnt lgkmcnt(0)
	; wave barrier
	s_waitcnt lgkmcnt(0)
	buffer_load_dword v12, off, s[0:3], 0 offset:680
	buffer_load_dword v13, off, s[0:3], 0 offset:684
	;; [unrolled: 1-line block ×12, first 2 shown]
	ds_read_b128 v[4:7], v2 offset:1344
	ds_read_b128 v[8:11], v2 offset:1360
	v_cmp_lt_u32_e32 vcc, 39, v255
	s_waitcnt vmcnt(10) lgkmcnt(1)
	v_mul_f64 v[2:3], v[4:5], v[12:13]
	v_mul_f64 v[12:13], v[6:7], v[12:13]
	s_waitcnt vmcnt(8) lgkmcnt(0)
	v_mul_f64 v[24:25], v[8:9], v[14:15]
	v_mul_f64 v[14:15], v[10:11], v[14:15]
	s_waitcnt vmcnt(6)
	v_fma_f64 v[4:5], v[4:5], v[16:17], -v[12:13]
	v_fmac_f64_e32 v[2:3], v[6:7], v[16:17]
	s_waitcnt vmcnt(4)
	v_fma_f64 v[6:7], v[8:9], v[18:19], -v[14:15]
	v_add_f64 v[4:5], v[4:5], 0
	v_fmac_f64_e32 v[24:25], v[10:11], v[18:19]
	v_add_f64 v[2:3], v[2:3], 0
	v_add_f64 v[4:5], v[4:5], v[6:7]
	;; [unrolled: 1-line block ×3, first 2 shown]
	s_waitcnt vmcnt(2)
	v_add_f64 v[4:5], v[20:21], -v[4:5]
	s_waitcnt vmcnt(0)
	v_add_f64 v[2:3], v[22:23], -v[2:3]
	buffer_store_dword v4, off, s[0:3], 0 offset:656
	buffer_store_dword v5, off, s[0:3], 0 offset:660
	buffer_store_dword v2, off, s[0:3], 0 offset:664
	buffer_store_dword v3, off, s[0:3], 0 offset:668
	s_and_saveexec_b64 s[4:5], vcc
	s_cbranch_execz .LBB106_193
; %bb.192:
	v_accvgpr_read_b32 v0, a89
	buffer_load_dword v2, v0, s[0:3], 0 offen
	buffer_load_dword v3, v0, s[0:3], 0 offen offset:4
	buffer_load_dword v4, v0, s[0:3], 0 offen offset:8
	;; [unrolled: 1-line block ×3, first 2 shown]
	v_mov_b32_e32 v0, 0
	v_accvgpr_read_b32 v1, a129
	buffer_store_dword v0, off, s[0:3], 0 offset:640
	buffer_store_dword v0, off, s[0:3], 0 offset:644
	;; [unrolled: 1-line block ×4, first 2 shown]
	s_waitcnt vmcnt(4)
	ds_write_b128 v1, v[2:5]
.LBB106_193:
	s_or_b64 exec, exec, s[4:5]
	s_waitcnt lgkmcnt(0)
	; wave barrier
	s_waitcnt lgkmcnt(0)
	buffer_load_dword v16, off, s[0:3], 0 offset:664
	buffer_load_dword v17, off, s[0:3], 0 offset:668
	;; [unrolled: 1-line block ×16, first 2 shown]
	v_mov_b32_e32 v2, 0
	ds_read_b128 v[4:7], v2 offset:1328
	ds_read_b128 v[8:11], v2 offset:1344
	;; [unrolled: 1-line block ×3, first 2 shown]
	v_cmp_lt_u32_e32 vcc, 38, v255
	s_waitcnt vmcnt(14) lgkmcnt(2)
	v_mul_f64 v[32:33], v[4:5], v[16:17]
	v_mul_f64 v[16:17], v[6:7], v[16:17]
	s_waitcnt vmcnt(12) lgkmcnt(1)
	v_mul_f64 v[34:35], v[8:9], v[18:19]
	v_mul_f64 v[18:19], v[10:11], v[18:19]
	;; [unrolled: 3-line block ×3, first 2 shown]
	s_waitcnt vmcnt(8)
	v_fma_f64 v[4:5], v[4:5], v[22:23], -v[16:17]
	v_fmac_f64_e32 v[32:33], v[6:7], v[22:23]
	s_waitcnt vmcnt(6)
	v_fma_f64 v[6:7], v[8:9], v[24:25], -v[18:19]
	v_add_f64 v[4:5], v[4:5], 0
	v_fmac_f64_e32 v[34:35], v[10:11], v[24:25]
	s_waitcnt vmcnt(4)
	v_fma_f64 v[8:9], v[12:13], v[26:27], -v[20:21]
	v_add_f64 v[10:11], v[32:33], 0
	v_add_f64 v[4:5], v[4:5], v[6:7]
	v_fmac_f64_e32 v[36:37], v[14:15], v[26:27]
	v_add_f64 v[10:11], v[10:11], v[34:35]
	v_add_f64 v[4:5], v[4:5], v[8:9]
	;; [unrolled: 1-line block ×3, first 2 shown]
	s_waitcnt vmcnt(2)
	v_add_f64 v[4:5], v[28:29], -v[4:5]
	s_waitcnt vmcnt(0)
	v_add_f64 v[6:7], v[30:31], -v[6:7]
	buffer_store_dword v4, off, s[0:3], 0 offset:640
	buffer_store_dword v5, off, s[0:3], 0 offset:644
	;; [unrolled: 1-line block ×4, first 2 shown]
	s_and_saveexec_b64 s[4:5], vcc
	s_cbranch_execz .LBB106_195
; %bb.194:
	v_accvgpr_read_b32 v0, a90
	buffer_load_dword v4, v0, s[0:3], 0 offen
	buffer_load_dword v5, v0, s[0:3], 0 offen offset:4
	buffer_load_dword v6, v0, s[0:3], 0 offen offset:8
	;; [unrolled: 1-line block ×3, first 2 shown]
	v_accvgpr_read_b32 v0, a129
	buffer_store_dword v2, off, s[0:3], 0 offset:624
	buffer_store_dword v2, off, s[0:3], 0 offset:628
	;; [unrolled: 1-line block ×4, first 2 shown]
	s_waitcnt vmcnt(4)
	ds_write_b128 v0, v[4:7]
.LBB106_195:
	s_or_b64 exec, exec, s[4:5]
	s_waitcnt lgkmcnt(0)
	; wave barrier
	s_waitcnt lgkmcnt(0)
	buffer_load_dword v20, off, s[0:3], 0 offset:648
	buffer_load_dword v21, off, s[0:3], 0 offset:652
	;; [unrolled: 1-line block ×20, first 2 shown]
	ds_read_b128 v[4:7], v2 offset:1312
	ds_read_b128 v[8:11], v2 offset:1328
	;; [unrolled: 1-line block ×4, first 2 shown]
	v_cmp_lt_u32_e32 vcc, 37, v255
	s_waitcnt vmcnt(18) lgkmcnt(3)
	v_mul_f64 v[2:3], v[4:5], v[20:21]
	v_mul_f64 v[20:21], v[6:7], v[20:21]
	s_waitcnt vmcnt(16) lgkmcnt(2)
	v_mul_f64 v[40:41], v[8:9], v[22:23]
	v_mul_f64 v[22:23], v[10:11], v[22:23]
	;; [unrolled: 3-line block ×4, first 2 shown]
	s_waitcnt vmcnt(10)
	v_fma_f64 v[4:5], v[4:5], v[28:29], -v[20:21]
	v_fmac_f64_e32 v[2:3], v[6:7], v[28:29]
	s_waitcnt vmcnt(8)
	v_fma_f64 v[6:7], v[8:9], v[30:31], -v[22:23]
	v_add_f64 v[4:5], v[4:5], 0
	v_fmac_f64_e32 v[40:41], v[10:11], v[30:31]
	s_waitcnt vmcnt(6)
	v_fma_f64 v[8:9], v[12:13], v[32:33], -v[24:25]
	v_add_f64 v[2:3], v[2:3], 0
	v_add_f64 v[4:5], v[4:5], v[6:7]
	v_fmac_f64_e32 v[42:43], v[14:15], v[32:33]
	s_waitcnt vmcnt(4)
	v_fma_f64 v[10:11], v[16:17], v[34:35], -v[26:27]
	v_add_f64 v[2:3], v[2:3], v[40:41]
	v_add_f64 v[4:5], v[4:5], v[8:9]
	v_fmac_f64_e32 v[44:45], v[18:19], v[34:35]
	v_add_f64 v[2:3], v[2:3], v[42:43]
	v_add_f64 v[4:5], v[4:5], v[10:11]
	;; [unrolled: 1-line block ×3, first 2 shown]
	s_waitcnt vmcnt(2)
	v_add_f64 v[4:5], v[36:37], -v[4:5]
	s_waitcnt vmcnt(0)
	v_add_f64 v[2:3], v[38:39], -v[2:3]
	buffer_store_dword v4, off, s[0:3], 0 offset:624
	buffer_store_dword v5, off, s[0:3], 0 offset:628
	;; [unrolled: 1-line block ×4, first 2 shown]
	s_and_saveexec_b64 s[4:5], vcc
	s_cbranch_execz .LBB106_197
; %bb.196:
	v_accvgpr_read_b32 v0, a91
	buffer_load_dword v2, v0, s[0:3], 0 offen
	buffer_load_dword v3, v0, s[0:3], 0 offen offset:4
	buffer_load_dword v4, v0, s[0:3], 0 offen offset:8
	;; [unrolled: 1-line block ×3, first 2 shown]
	v_mov_b32_e32 v0, 0
	v_accvgpr_read_b32 v1, a129
	buffer_store_dword v0, off, s[0:3], 0 offset:608
	buffer_store_dword v0, off, s[0:3], 0 offset:612
	;; [unrolled: 1-line block ×4, first 2 shown]
	s_waitcnt vmcnt(4)
	ds_write_b128 v1, v[2:5]
.LBB106_197:
	s_or_b64 exec, exec, s[4:5]
	s_waitcnt lgkmcnt(0)
	; wave barrier
	s_waitcnt lgkmcnt(0)
	buffer_load_dword v24, off, s[0:3], 0 offset:632
	buffer_load_dword v25, off, s[0:3], 0 offset:636
	;; [unrolled: 1-line block ×24, first 2 shown]
	v_mov_b32_e32 v2, 0
	ds_read_b128 v[4:7], v2 offset:1296
	ds_read_b128 v[8:11], v2 offset:1312
	;; [unrolled: 1-line block ×5, first 2 shown]
	v_cmp_lt_u32_e32 vcc, 36, v255
	s_waitcnt vmcnt(22) lgkmcnt(4)
	v_mul_f64 v[48:49], v[4:5], v[24:25]
	v_mul_f64 v[24:25], v[6:7], v[24:25]
	s_waitcnt vmcnt(20) lgkmcnt(3)
	v_mul_f64 v[50:51], v[8:9], v[26:27]
	v_mul_f64 v[26:27], v[10:11], v[26:27]
	;; [unrolled: 3-line block ×4, first 2 shown]
	s_waitcnt vmcnt(13) lgkmcnt(0)
	v_mul_f64 v[56:57], v[20:21], v[30:31]
	s_waitcnt vmcnt(11)
	v_fma_f64 v[4:5], v[4:5], v[36:37], -v[24:25]
	v_fmac_f64_e32 v[48:49], v[6:7], v[36:37]
	s_waitcnt vmcnt(9)
	v_fma_f64 v[6:7], v[8:9], v[38:39], -v[26:27]
	v_add_f64 v[4:5], v[4:5], 0
	v_fmac_f64_e32 v[50:51], v[10:11], v[38:39]
	s_waitcnt vmcnt(7)
	v_fmac_f64_e32 v[52:53], v[14:15], v[40:41]
	v_fma_f64 v[8:9], v[12:13], v[40:41], -v[28:29]
	v_add_f64 v[14:15], v[48:49], 0
	v_add_f64 v[4:5], v[4:5], v[6:7]
	v_mul_f64 v[30:31], v[22:23], v[30:31]
	s_waitcnt vmcnt(5)
	v_fma_f64 v[10:11], v[16:17], v[42:43], -v[34:35]
	v_add_f64 v[14:15], v[14:15], v[50:51]
	v_add_f64 v[4:5], v[4:5], v[8:9]
	v_fmac_f64_e32 v[54:55], v[18:19], v[42:43]
	s_waitcnt vmcnt(4)
	v_fma_f64 v[12:13], v[20:21], v[32:33], -v[30:31]
	v_add_f64 v[6:7], v[14:15], v[52:53]
	v_add_f64 v[4:5], v[4:5], v[10:11]
	v_fmac_f64_e32 v[56:57], v[22:23], v[32:33]
	v_add_f64 v[6:7], v[6:7], v[54:55]
	v_add_f64 v[4:5], v[4:5], v[12:13]
	;; [unrolled: 1-line block ×3, first 2 shown]
	s_waitcnt vmcnt(2)
	v_add_f64 v[4:5], v[44:45], -v[4:5]
	s_waitcnt vmcnt(0)
	v_add_f64 v[6:7], v[46:47], -v[6:7]
	buffer_store_dword v5, off, s[0:3], 0 offset:612
	buffer_store_dword v4, off, s[0:3], 0 offset:608
	;; [unrolled: 1-line block ×4, first 2 shown]
	s_and_saveexec_b64 s[4:5], vcc
	s_cbranch_execz .LBB106_199
; %bb.198:
	v_accvgpr_read_b32 v0, a92
	buffer_load_dword v4, v0, s[0:3], 0 offen
	buffer_load_dword v5, v0, s[0:3], 0 offen offset:4
	buffer_load_dword v6, v0, s[0:3], 0 offen offset:8
	;; [unrolled: 1-line block ×3, first 2 shown]
	v_accvgpr_read_b32 v0, a129
	buffer_store_dword v2, off, s[0:3], 0 offset:592
	buffer_store_dword v2, off, s[0:3], 0 offset:596
	;; [unrolled: 1-line block ×4, first 2 shown]
	s_waitcnt vmcnt(4)
	ds_write_b128 v0, v[4:7]
.LBB106_199:
	s_or_b64 exec, exec, s[4:5]
	s_waitcnt lgkmcnt(0)
	; wave barrier
	s_waitcnt lgkmcnt(0)
	buffer_load_dword v28, off, s[0:3], 0 offset:616
	buffer_load_dword v29, off, s[0:3], 0 offset:620
	;; [unrolled: 1-line block ×28, first 2 shown]
	ds_read_b128 v[4:7], v2 offset:1280
	ds_read_b128 v[8:11], v2 offset:1296
	ds_read_b128 v[12:15], v2 offset:1312
	ds_read_b128 v[16:19], v2 offset:1328
	ds_read_b128 v[20:23], v2 offset:1344
	ds_read_b128 v[24:27], v2 offset:1360
	v_cmp_lt_u32_e32 vcc, 35, v255
	s_waitcnt vmcnt(26) lgkmcnt(5)
	v_mul_f64 v[2:3], v[4:5], v[28:29]
	v_mul_f64 v[28:29], v[6:7], v[28:29]
	s_waitcnt vmcnt(24) lgkmcnt(4)
	v_mul_f64 v[56:57], v[8:9], v[30:31]
	v_mul_f64 v[30:31], v[10:11], v[30:31]
	;; [unrolled: 3-line block ×4, first 2 shown]
	s_waitcnt vmcnt(17)
	v_mul_f64 v[60:61], v[16:17], v[38:39]
	v_mul_f64 v[38:39], v[18:19], v[38:39]
	s_waitcnt vmcnt(15) lgkmcnt(0)
	v_mul_f64 v[64:65], v[24:25], v[40:41]
	v_mul_f64 v[40:41], v[26:27], v[40:41]
	s_waitcnt vmcnt(14)
	v_fmac_f64_e32 v[62:63], v[22:23], v[36:37]
	s_waitcnt vmcnt(12)
	v_fma_f64 v[4:5], v[4:5], v[42:43], -v[28:29]
	v_fmac_f64_e32 v[2:3], v[6:7], v[42:43]
	s_waitcnt vmcnt(10)
	v_fma_f64 v[6:7], v[8:9], v[44:45], -v[30:31]
	v_add_f64 v[4:5], v[4:5], 0
	v_fmac_f64_e32 v[56:57], v[10:11], v[44:45]
	s_waitcnt vmcnt(8)
	v_fma_f64 v[8:9], v[12:13], v[46:47], -v[32:33]
	v_add_f64 v[2:3], v[2:3], 0
	v_add_f64 v[4:5], v[4:5], v[6:7]
	v_fmac_f64_e32 v[58:59], v[14:15], v[46:47]
	s_waitcnt vmcnt(6)
	v_fma_f64 v[10:11], v[16:17], v[48:49], -v[38:39]
	v_add_f64 v[2:3], v[2:3], v[56:57]
	v_add_f64 v[4:5], v[4:5], v[8:9]
	v_fmac_f64_e32 v[60:61], v[18:19], v[48:49]
	v_fma_f64 v[12:13], v[20:21], v[36:37], -v[34:35]
	v_add_f64 v[2:3], v[2:3], v[58:59]
	v_add_f64 v[4:5], v[4:5], v[10:11]
	s_waitcnt vmcnt(4)
	v_fma_f64 v[14:15], v[24:25], v[50:51], -v[40:41]
	v_add_f64 v[2:3], v[2:3], v[60:61]
	v_add_f64 v[4:5], v[4:5], v[12:13]
	v_fmac_f64_e32 v[64:65], v[26:27], v[50:51]
	v_add_f64 v[2:3], v[2:3], v[62:63]
	v_add_f64 v[4:5], v[4:5], v[14:15]
	;; [unrolled: 1-line block ×3, first 2 shown]
	s_waitcnt vmcnt(2)
	v_add_f64 v[4:5], v[52:53], -v[4:5]
	s_waitcnt vmcnt(0)
	v_add_f64 v[2:3], v[54:55], -v[2:3]
	buffer_store_dword v5, off, s[0:3], 0 offset:596
	buffer_store_dword v4, off, s[0:3], 0 offset:592
	;; [unrolled: 1-line block ×4, first 2 shown]
	s_and_saveexec_b64 s[4:5], vcc
	s_cbranch_execz .LBB106_201
; %bb.200:
	v_accvgpr_read_b32 v0, a93
	buffer_load_dword v2, v0, s[0:3], 0 offen
	buffer_load_dword v3, v0, s[0:3], 0 offen offset:4
	buffer_load_dword v4, v0, s[0:3], 0 offen offset:8
	;; [unrolled: 1-line block ×3, first 2 shown]
	v_mov_b32_e32 v0, 0
	v_accvgpr_read_b32 v1, a129
	buffer_store_dword v0, off, s[0:3], 0 offset:576
	buffer_store_dword v0, off, s[0:3], 0 offset:580
	;; [unrolled: 1-line block ×4, first 2 shown]
	s_waitcnt vmcnt(4)
	ds_write_b128 v1, v[2:5]
.LBB106_201:
	s_or_b64 exec, exec, s[4:5]
	s_waitcnt lgkmcnt(0)
	; wave barrier
	s_waitcnt lgkmcnt(0)
	buffer_load_dword v32, off, s[0:3], 0 offset:600
	buffer_load_dword v33, off, s[0:3], 0 offset:604
	;; [unrolled: 1-line block ×32, first 2 shown]
	v_mov_b32_e32 v2, 0
	ds_read_b128 v[4:7], v2 offset:1264
	ds_read_b128 v[8:11], v2 offset:1280
	;; [unrolled: 1-line block ×7, first 2 shown]
	v_cmp_lt_u32_e32 vcc, 34, v255
	s_waitcnt vmcnt(30) lgkmcnt(6)
	v_mul_f64 v[64:65], v[4:5], v[32:33]
	v_mul_f64 v[32:33], v[6:7], v[32:33]
	s_waitcnt vmcnt(28) lgkmcnt(5)
	v_mul_f64 v[66:67], v[8:9], v[34:35]
	v_mul_f64 v[34:35], v[10:11], v[34:35]
	;; [unrolled: 3-line block ×4, first 2 shown]
	s_waitcnt vmcnt(21)
	v_mul_f64 v[70:71], v[16:17], v[42:43]
	v_mul_f64 v[42:43], v[18:19], v[42:43]
	s_waitcnt vmcnt(17) lgkmcnt(1)
	v_mul_f64 v[74:75], v[24:25], v[48:49]
	v_mul_f64 v[48:49], v[26:27], v[48:49]
	s_waitcnt vmcnt(16) lgkmcnt(0)
	v_mul_f64 v[76:77], v[28:29], v[44:45]
	v_mul_f64 v[44:45], v[30:31], v[44:45]
	s_waitcnt vmcnt(13)
	v_fma_f64 v[4:5], v[4:5], v[50:51], -v[32:33]
	v_fmac_f64_e32 v[64:65], v[6:7], v[50:51]
	s_waitcnt vmcnt(11)
	v_fma_f64 v[6:7], v[8:9], v[52:53], -v[34:35]
	v_add_f64 v[4:5], v[4:5], 0
	v_fmac_f64_e32 v[66:67], v[10:11], v[52:53]
	s_waitcnt vmcnt(9)
	v_fma_f64 v[8:9], v[12:13], v[54:55], -v[36:37]
	s_waitcnt vmcnt(7)
	v_fmac_f64_e32 v[70:71], v[18:19], v[56:57]
	v_add_f64 v[18:19], v[64:65], 0
	v_add_f64 v[4:5], v[4:5], v[6:7]
	v_fmac_f64_e32 v[68:69], v[14:15], v[54:55]
	v_fma_f64 v[10:11], v[16:17], v[56:57], -v[42:43]
	v_add_f64 v[18:19], v[18:19], v[66:67]
	v_add_f64 v[4:5], v[4:5], v[8:9]
	v_fma_f64 v[12:13], v[20:21], v[40:41], -v[38:39]
	v_add_f64 v[6:7], v[18:19], v[68:69]
	v_add_f64 v[4:5], v[4:5], v[10:11]
	v_fmac_f64_e32 v[72:73], v[22:23], v[40:41]
	s_waitcnt vmcnt(5)
	v_fma_f64 v[14:15], v[24:25], v[58:59], -v[48:49]
	v_add_f64 v[6:7], v[6:7], v[70:71]
	v_add_f64 v[4:5], v[4:5], v[12:13]
	v_fmac_f64_e32 v[74:75], v[26:27], v[58:59]
	s_waitcnt vmcnt(4)
	v_fma_f64 v[16:17], v[28:29], v[46:47], -v[44:45]
	v_add_f64 v[6:7], v[6:7], v[72:73]
	v_add_f64 v[4:5], v[4:5], v[14:15]
	v_fmac_f64_e32 v[76:77], v[30:31], v[46:47]
	v_add_f64 v[6:7], v[6:7], v[74:75]
	v_add_f64 v[4:5], v[4:5], v[16:17]
	;; [unrolled: 1-line block ×3, first 2 shown]
	s_waitcnt vmcnt(2)
	v_add_f64 v[4:5], v[60:61], -v[4:5]
	s_waitcnt vmcnt(0)
	v_add_f64 v[6:7], v[62:63], -v[6:7]
	buffer_store_dword v5, off, s[0:3], 0 offset:580
	buffer_store_dword v4, off, s[0:3], 0 offset:576
	;; [unrolled: 1-line block ×4, first 2 shown]
	s_and_saveexec_b64 s[4:5], vcc
	s_cbranch_execz .LBB106_203
; %bb.202:
	v_accvgpr_read_b32 v0, a94
	buffer_load_dword v4, v0, s[0:3], 0 offen
	buffer_load_dword v5, v0, s[0:3], 0 offen offset:4
	buffer_load_dword v6, v0, s[0:3], 0 offen offset:8
	;; [unrolled: 1-line block ×3, first 2 shown]
	v_accvgpr_read_b32 v0, a129
	buffer_store_dword v2, off, s[0:3], 0 offset:560
	buffer_store_dword v2, off, s[0:3], 0 offset:564
	buffer_store_dword v2, off, s[0:3], 0 offset:568
	buffer_store_dword v2, off, s[0:3], 0 offset:572
	s_waitcnt vmcnt(4)
	ds_write_b128 v0, v[4:7]
.LBB106_203:
	s_or_b64 exec, exec, s[4:5]
	s_waitcnt lgkmcnt(0)
	; wave barrier
	s_waitcnt lgkmcnt(0)
	buffer_load_dword v36, off, s[0:3], 0 offset:584
	buffer_load_dword v37, off, s[0:3], 0 offset:588
	;; [unrolled: 1-line block ×36, first 2 shown]
	ds_read_b128 v[4:7], v2 offset:1248
	ds_read_b128 v[8:11], v2 offset:1264
	;; [unrolled: 1-line block ×8, first 2 shown]
	v_cmp_lt_u32_e32 vcc, 33, v255
	s_waitcnt vmcnt(34) lgkmcnt(7)
	v_mul_f64 v[2:3], v[4:5], v[36:37]
	v_mul_f64 v[36:37], v[6:7], v[36:37]
	s_waitcnt vmcnt(32) lgkmcnt(6)
	v_mul_f64 v[72:73], v[8:9], v[38:39]
	v_mul_f64 v[38:39], v[10:11], v[38:39]
	;; [unrolled: 3-line block ×4, first 2 shown]
	s_waitcnt vmcnt(25)
	v_mul_f64 v[76:77], v[16:17], v[46:47]
	v_mul_f64 v[46:47], v[18:19], v[46:47]
	s_waitcnt vmcnt(23) lgkmcnt(1)
	v_mul_f64 v[82:83], v[28:29], v[48:49]
	v_mul_f64 v[48:49], v[30:31], v[48:49]
	s_waitcnt vmcnt(20)
	v_mul_f64 v[80:81], v[24:25], v[52:53]
	v_mul_f64 v[52:53], v[26:27], v[52:53]
	s_waitcnt vmcnt(18) lgkmcnt(0)
	v_mul_f64 v[84:85], v[32:33], v[54:55]
	s_waitcnt vmcnt(17)
	v_fmac_f64_e32 v[78:79], v[22:23], v[44:45]
	s_waitcnt vmcnt(16)
	v_fmac_f64_e32 v[82:83], v[30:31], v[50:51]
	s_waitcnt vmcnt(14)
	v_fma_f64 v[4:5], v[4:5], v[56:57], -v[36:37]
	v_fmac_f64_e32 v[2:3], v[6:7], v[56:57]
	s_waitcnt vmcnt(12)
	v_fma_f64 v[6:7], v[8:9], v[58:59], -v[38:39]
	v_add_f64 v[4:5], v[4:5], 0
	v_fmac_f64_e32 v[72:73], v[10:11], v[58:59]
	s_waitcnt vmcnt(10)
	v_fma_f64 v[8:9], v[12:13], v[60:61], -v[40:41]
	v_add_f64 v[2:3], v[2:3], 0
	v_add_f64 v[4:5], v[4:5], v[6:7]
	v_fmac_f64_e32 v[74:75], v[14:15], v[60:61]
	s_waitcnt vmcnt(8)
	v_fma_f64 v[10:11], v[16:17], v[62:63], -v[46:47]
	v_add_f64 v[2:3], v[2:3], v[72:73]
	v_add_f64 v[4:5], v[4:5], v[8:9]
	v_fmac_f64_e32 v[76:77], v[18:19], v[62:63]
	v_fma_f64 v[12:13], v[20:21], v[44:45], -v[42:43]
	v_add_f64 v[2:3], v[2:3], v[74:75]
	v_add_f64 v[4:5], v[4:5], v[10:11]
	s_waitcnt vmcnt(6)
	v_fma_f64 v[14:15], v[24:25], v[64:65], -v[52:53]
	v_add_f64 v[2:3], v[2:3], v[76:77]
	v_add_f64 v[4:5], v[4:5], v[12:13]
	v_fmac_f64_e32 v[80:81], v[26:27], v[64:65]
	v_fma_f64 v[16:17], v[28:29], v[50:51], -v[48:49]
	v_add_f64 v[2:3], v[2:3], v[78:79]
	v_add_f64 v[4:5], v[4:5], v[14:15]
	v_mul_f64 v[6:7], v[34:35], v[54:55]
	v_add_f64 v[2:3], v[2:3], v[80:81]
	v_add_f64 v[4:5], v[4:5], v[16:17]
	s_waitcnt vmcnt(4)
	v_fma_f64 v[6:7], v[32:33], v[66:67], -v[6:7]
	v_fmac_f64_e32 v[84:85], v[34:35], v[66:67]
	v_add_f64 v[2:3], v[2:3], v[82:83]
	v_add_f64 v[4:5], v[4:5], v[6:7]
	;; [unrolled: 1-line block ×3, first 2 shown]
	s_waitcnt vmcnt(2)
	v_add_f64 v[4:5], v[68:69], -v[4:5]
	s_waitcnt vmcnt(0)
	v_add_f64 v[2:3], v[70:71], -v[2:3]
	buffer_store_dword v5, off, s[0:3], 0 offset:564
	buffer_store_dword v4, off, s[0:3], 0 offset:560
	;; [unrolled: 1-line block ×4, first 2 shown]
	s_and_saveexec_b64 s[4:5], vcc
	s_cbranch_execz .LBB106_205
; %bb.204:
	v_accvgpr_read_b32 v0, a95
	buffer_load_dword v2, v0, s[0:3], 0 offen
	buffer_load_dword v3, v0, s[0:3], 0 offen offset:4
	buffer_load_dword v4, v0, s[0:3], 0 offen offset:8
	;; [unrolled: 1-line block ×3, first 2 shown]
	v_mov_b32_e32 v0, 0
	v_accvgpr_read_b32 v1, a129
	buffer_store_dword v0, off, s[0:3], 0 offset:544
	buffer_store_dword v0, off, s[0:3], 0 offset:548
	;; [unrolled: 1-line block ×4, first 2 shown]
	s_waitcnt vmcnt(4)
	ds_write_b128 v1, v[2:5]
.LBB106_205:
	s_or_b64 exec, exec, s[4:5]
	s_waitcnt lgkmcnt(0)
	; wave barrier
	s_waitcnt lgkmcnt(0)
	buffer_load_dword v40, off, s[0:3], 0 offset:568
	buffer_load_dword v41, off, s[0:3], 0 offset:572
	;; [unrolled: 1-line block ×40, first 2 shown]
	v_mov_b32_e32 v6, 0
	ds_read_b128 v[2:5], v6 offset:1232
	ds_read_b128 v[8:11], v6 offset:1248
	;; [unrolled: 1-line block ×9, first 2 shown]
	v_cmp_lt_u32_e32 vcc, 32, v255
	s_waitcnt vmcnt(38) lgkmcnt(8)
	v_mul_f64 v[80:81], v[2:3], v[40:41]
	v_mul_f64 v[40:41], v[4:5], v[40:41]
	s_waitcnt vmcnt(36) lgkmcnt(7)
	v_mul_f64 v[82:83], v[8:9], v[42:43]
	v_mul_f64 v[42:43], v[10:11], v[42:43]
	;; [unrolled: 3-line block ×3, first 2 shown]
	s_waitcnt vmcnt(32) lgkmcnt(4)
	v_mul_f64 v[88:89], v[20:21], v[46:47]
	s_waitcnt vmcnt(30)
	v_fmac_f64_e32 v[88:89], v[22:23], v[48:49]
	s_waitcnt vmcnt(28)
	v_mul_f64 v[86:87], v[16:17], v[50:51]
	v_mul_f64 v[50:51], v[18:19], v[50:51]
	s_waitcnt vmcnt(26) lgkmcnt(2)
	v_mul_f64 v[92:93], v[28:29], v[52:53]
	s_waitcnt vmcnt(24)
	v_fmac_f64_e32 v[92:93], v[30:31], v[54:55]
	s_waitcnt vmcnt(22)
	v_mul_f64 v[90:91], v[24:25], v[56:57]
	s_waitcnt vmcnt(18) lgkmcnt(1)
	v_mul_f64 v[94:95], v[32:33], v[62:63]
	s_waitcnt vmcnt(17) lgkmcnt(0)
	v_mul_f64 v[96:97], v[36:37], v[58:59]
	s_waitcnt vmcnt(15)
	v_fma_f64 v[2:3], v[2:3], v[64:65], -v[40:41]
	v_fmac_f64_e32 v[80:81], v[4:5], v[64:65]
	s_waitcnt vmcnt(13)
	v_fma_f64 v[4:5], v[8:9], v[66:67], -v[42:43]
	v_add_f64 v[2:3], v[2:3], 0
	s_waitcnt vmcnt(11)
	v_fma_f64 v[8:9], v[12:13], v[68:69], -v[44:45]
	v_add_f64 v[2:3], v[2:3], v[4:5]
	v_fmac_f64_e32 v[82:83], v[10:11], v[66:67]
	s_waitcnt vmcnt(9)
	v_fma_f64 v[10:11], v[16:17], v[70:71], -v[50:51]
	v_add_f64 v[2:3], v[2:3], v[8:9]
	v_mul_f64 v[8:9], v[22:23], v[46:47]
	v_add_f64 v[2:3], v[2:3], v[10:11]
	v_fma_f64 v[8:9], v[20:21], v[48:49], -v[8:9]
	v_add_f64 v[2:3], v[2:3], v[8:9]
	v_mul_f64 v[8:9], v[26:27], v[56:57]
	v_add_f64 v[12:13], v[80:81], 0
	s_waitcnt vmcnt(7)
	v_fma_f64 v[8:9], v[24:25], v[72:73], -v[8:9]
	v_fmac_f64_e32 v[84:85], v[14:15], v[68:69]
	v_add_f64 v[12:13], v[12:13], v[82:83]
	v_add_f64 v[2:3], v[2:3], v[8:9]
	v_mul_f64 v[8:9], v[30:31], v[52:53]
	v_fmac_f64_e32 v[86:87], v[18:19], v[70:71]
	v_add_f64 v[4:5], v[12:13], v[84:85]
	v_fma_f64 v[8:9], v[28:29], v[54:55], -v[8:9]
	v_add_f64 v[4:5], v[4:5], v[86:87]
	v_add_f64 v[2:3], v[2:3], v[8:9]
	v_mul_f64 v[8:9], v[34:35], v[62:63]
	v_fmac_f64_e32 v[90:91], v[26:27], v[72:73]
	v_add_f64 v[4:5], v[4:5], v[88:89]
	s_waitcnt vmcnt(5)
	v_fma_f64 v[8:9], v[32:33], v[74:75], -v[8:9]
	v_add_f64 v[4:5], v[4:5], v[90:91]
	v_add_f64 v[2:3], v[2:3], v[8:9]
	v_mul_f64 v[8:9], v[38:39], v[58:59]
	v_fmac_f64_e32 v[94:95], v[34:35], v[74:75]
	v_add_f64 v[4:5], v[4:5], v[92:93]
	s_waitcnt vmcnt(4)
	v_fma_f64 v[8:9], v[36:37], v[60:61], -v[8:9]
	v_fmac_f64_e32 v[96:97], v[38:39], v[60:61]
	v_add_f64 v[4:5], v[4:5], v[94:95]
	v_add_f64 v[2:3], v[2:3], v[8:9]
	;; [unrolled: 1-line block ×3, first 2 shown]
	s_waitcnt vmcnt(2)
	v_add_f64 v[2:3], v[76:77], -v[2:3]
	s_waitcnt vmcnt(0)
	v_add_f64 v[4:5], v[78:79], -v[4:5]
	buffer_store_dword v3, off, s[0:3], 0 offset:548
	buffer_store_dword v2, off, s[0:3], 0 offset:544
	;; [unrolled: 1-line block ×4, first 2 shown]
	s_and_saveexec_b64 s[4:5], vcc
	s_cbranch_execz .LBB106_207
; %bb.206:
	v_accvgpr_read_b32 v0, a96
	buffer_load_dword v2, v0, s[0:3], 0 offen
	buffer_load_dword v3, v0, s[0:3], 0 offen offset:4
	buffer_load_dword v4, v0, s[0:3], 0 offen offset:8
	;; [unrolled: 1-line block ×3, first 2 shown]
	v_accvgpr_read_b32 v0, a129
	buffer_store_dword v6, off, s[0:3], 0 offset:528
	buffer_store_dword v6, off, s[0:3], 0 offset:532
	;; [unrolled: 1-line block ×4, first 2 shown]
	s_waitcnt vmcnt(4)
	ds_write_b128 v0, v[2:5]
.LBB106_207:
	s_or_b64 exec, exec, s[4:5]
	s_waitcnt lgkmcnt(0)
	; wave barrier
	s_waitcnt lgkmcnt(0)
	buffer_load_dword v4, off, s[0:3], 0 offset:544
	buffer_load_dword v5, off, s[0:3], 0 offset:548
	;; [unrolled: 1-line block ×44, first 2 shown]
	ds_read_b128 v[8:11], v6 offset:1216
	ds_read_b128 v[12:15], v6 offset:1232
	;; [unrolled: 1-line block ×10, first 2 shown]
	v_cmp_lt_u32_e32 vcc, 31, v255
	s_waitcnt vmcnt(40) lgkmcnt(9)
	v_mul_f64 v[6:7], v[8:9], v[48:49]
	v_mul_f64 v[48:49], v[10:11], v[48:49]
	s_waitcnt vmcnt(38) lgkmcnt(8)
	v_mul_f64 v[88:89], v[12:13], v[50:51]
	v_mul_f64 v[50:51], v[14:15], v[50:51]
	v_fmac_f64_e32 v[6:7], v[10:11], v[4:5]
	v_fma_f64 v[4:5], v[8:9], v[4:5], -v[48:49]
	s_waitcnt vmcnt(36) lgkmcnt(7)
	v_mul_f64 v[90:91], v[16:17], v[2:3]
	v_add_f64 v[4:5], v[4:5], 0
	v_mul_f64 v[2:3], v[18:19], v[2:3]
	v_add_f64 v[6:7], v[6:7], 0
	s_waitcnt vmcnt(30) lgkmcnt(6)
	v_mul_f64 v[92:93], v[20:21], v[56:57]
	s_waitcnt lgkmcnt(5)
	v_mul_f64 v[94:95], v[24:25], v[52:53]
	v_fmac_f64_e32 v[94:95], v[26:27], v[54:55]
	s_waitcnt vmcnt(28) lgkmcnt(3)
	v_mul_f64 v[98:99], v[32:33], v[58:59]
	s_waitcnt vmcnt(26)
	v_fmac_f64_e32 v[98:99], v[34:35], v[60:61]
	s_waitcnt vmcnt(24)
	v_mul_f64 v[96:97], v[28:29], v[62:63]
	s_waitcnt vmcnt(22) lgkmcnt(1)
	v_mul_f64 v[102:103], v[40:41], v[64:65]
	s_waitcnt vmcnt(20)
	v_fmac_f64_e32 v[102:103], v[42:43], v[66:67]
	s_waitcnt vmcnt(18)
	v_mul_f64 v[100:101], v[36:37], v[68:69]
	s_waitcnt vmcnt(16) lgkmcnt(0)
	v_mul_f64 v[104:105], v[44:45], v[70:71]
	s_waitcnt vmcnt(14)
	v_fma_f64 v[8:9], v[12:13], v[72:73], -v[50:51]
	v_add_f64 v[4:5], v[4:5], v[8:9]
	s_waitcnt vmcnt(12)
	v_fma_f64 v[2:3], v[16:17], v[74:75], -v[2:3]
	v_add_f64 v[2:3], v[4:5], v[2:3]
	v_mul_f64 v[4:5], v[22:23], v[56:57]
	s_waitcnt vmcnt(10)
	v_fma_f64 v[4:5], v[20:21], v[76:77], -v[4:5]
	v_add_f64 v[2:3], v[2:3], v[4:5]
	v_mul_f64 v[4:5], v[26:27], v[52:53]
	v_fma_f64 v[4:5], v[24:25], v[54:55], -v[4:5]
	v_add_f64 v[2:3], v[2:3], v[4:5]
	v_mul_f64 v[4:5], v[30:31], v[62:63]
	s_waitcnt vmcnt(8)
	v_fma_f64 v[4:5], v[28:29], v[78:79], -v[4:5]
	v_fmac_f64_e32 v[88:89], v[14:15], v[72:73]
	v_add_f64 v[2:3], v[2:3], v[4:5]
	v_mul_f64 v[4:5], v[34:35], v[58:59]
	v_fmac_f64_e32 v[90:91], v[18:19], v[74:75]
	v_add_f64 v[6:7], v[6:7], v[88:89]
	v_fma_f64 v[4:5], v[32:33], v[60:61], -v[4:5]
	v_fmac_f64_e32 v[92:93], v[22:23], v[76:77]
	v_add_f64 v[6:7], v[6:7], v[90:91]
	v_add_f64 v[2:3], v[2:3], v[4:5]
	v_mul_f64 v[4:5], v[38:39], v[68:69]
	v_add_f64 v[6:7], v[6:7], v[92:93]
	s_waitcnt vmcnt(6)
	v_fma_f64 v[4:5], v[36:37], v[80:81], -v[4:5]
	v_fmac_f64_e32 v[96:97], v[30:31], v[78:79]
	v_add_f64 v[6:7], v[6:7], v[94:95]
	v_add_f64 v[2:3], v[2:3], v[4:5]
	v_mul_f64 v[4:5], v[42:43], v[64:65]
	v_add_f64 v[6:7], v[6:7], v[96:97]
	v_fma_f64 v[4:5], v[40:41], v[66:67], -v[4:5]
	v_fmac_f64_e32 v[100:101], v[38:39], v[80:81]
	v_add_f64 v[6:7], v[6:7], v[98:99]
	v_add_f64 v[2:3], v[2:3], v[4:5]
	v_mul_f64 v[4:5], v[46:47], v[70:71]
	v_add_f64 v[6:7], v[6:7], v[100:101]
	s_waitcnt vmcnt(4)
	v_fma_f64 v[4:5], v[44:45], v[82:83], -v[4:5]
	v_fmac_f64_e32 v[104:105], v[46:47], v[82:83]
	v_add_f64 v[6:7], v[6:7], v[102:103]
	v_add_f64 v[2:3], v[2:3], v[4:5]
	;; [unrolled: 1-line block ×3, first 2 shown]
	s_waitcnt vmcnt(2)
	v_add_f64 v[2:3], v[84:85], -v[2:3]
	s_waitcnt vmcnt(0)
	v_add_f64 v[4:5], v[86:87], -v[6:7]
	buffer_store_dword v3, off, s[0:3], 0 offset:532
	buffer_store_dword v2, off, s[0:3], 0 offset:528
	;; [unrolled: 1-line block ×4, first 2 shown]
	s_and_saveexec_b64 s[4:5], vcc
	s_cbranch_execz .LBB106_209
; %bb.208:
	v_accvgpr_read_b32 v0, a97
	buffer_load_dword v2, v0, s[0:3], 0 offen
	buffer_load_dword v3, v0, s[0:3], 0 offen offset:4
	buffer_load_dword v4, v0, s[0:3], 0 offen offset:8
	;; [unrolled: 1-line block ×3, first 2 shown]
	v_mov_b32_e32 v0, 0
	v_accvgpr_read_b32 v1, a129
	buffer_store_dword v0, off, s[0:3], 0 offset:512
	buffer_store_dword v0, off, s[0:3], 0 offset:516
	;; [unrolled: 1-line block ×4, first 2 shown]
	s_waitcnt vmcnt(4)
	ds_write_b128 v1, v[2:5]
.LBB106_209:
	s_or_b64 exec, exec, s[4:5]
	s_waitcnt lgkmcnt(0)
	; wave barrier
	s_waitcnt lgkmcnt(0)
	buffer_load_dword v2, off, s[0:3], 0 offset:528
	buffer_load_dword v3, off, s[0:3], 0 offset:532
	;; [unrolled: 1-line block ×48, first 2 shown]
	v_mov_b32_e32 v12, 0
	ds_read_b128 v[14:17], v12 offset:1200
	ds_read_b128 v[18:21], v12 offset:1216
	;; [unrolled: 1-line block ×11, first 2 shown]
	v_cmp_lt_u32_e32 vcc, 30, v255
	s_waitcnt vmcnt(44) lgkmcnt(10)
	v_mul_f64 v[96:97], v[14:15], v[6:7]
	v_mul_f64 v[6:7], v[16:17], v[6:7]
	v_fmac_f64_e32 v[96:97], v[16:17], v[2:3]
	v_fma_f64 v[2:3], v[14:15], v[2:3], -v[6:7]
	s_waitcnt vmcnt(40) lgkmcnt(9)
	v_mul_f64 v[98:99], v[18:19], v[8:9]
	v_mul_f64 v[6:7], v[20:21], v[8:9]
	v_fmac_f64_e32 v[98:99], v[20:21], v[4:5]
	v_add_f64 v[2:3], v[2:3], 0
	v_fma_f64 v[4:5], v[18:19], v[4:5], -v[6:7]
	v_add_f64 v[2:3], v[2:3], v[4:5]
	s_waitcnt vmcnt(38) lgkmcnt(8)
	v_mul_f64 v[4:5], v[24:25], v[10:11]
	v_mul_f64 v[100:101], v[22:23], v[10:11]
	v_add_f64 v[96:97], v[96:97], 0
	s_waitcnt vmcnt(32) lgkmcnt(7)
	v_mul_f64 v[102:103], v[26:27], v[62:63]
	v_add_f64 v[96:97], v[96:97], v[98:99]
	s_waitcnt lgkmcnt(6)
	v_mul_f64 v[104:105], v[30:31], v[58:59]
	v_fmac_f64_e32 v[104:105], v[32:33], v[60:61]
	s_waitcnt vmcnt(30) lgkmcnt(4)
	v_mul_f64 v[108:109], v[38:39], v[64:65]
	s_waitcnt vmcnt(26)
	v_mul_f64 v[106:107], v[34:35], v[68:69]
	v_fmac_f64_e32 v[108:109], v[40:41], v[66:67]
	s_waitcnt vmcnt(24) lgkmcnt(2)
	v_mul_f64 v[112:113], v[46:47], v[70:71]
	s_waitcnt vmcnt(22)
	v_fmac_f64_e32 v[112:113], v[48:49], v[72:73]
	s_waitcnt vmcnt(20)
	v_mul_f64 v[110:111], v[42:43], v[74:75]
	s_waitcnt vmcnt(16) lgkmcnt(1)
	v_mul_f64 v[114:115], v[50:51], v[80:81]
	s_waitcnt vmcnt(14)
	v_fma_f64 v[4:5], v[22:23], v[82:83], -v[4:5]
	v_add_f64 v[2:3], v[2:3], v[4:5]
	v_mul_f64 v[4:5], v[28:29], v[62:63]
	s_waitcnt vmcnt(12)
	v_fma_f64 v[4:5], v[26:27], v[84:85], -v[4:5]
	v_add_f64 v[2:3], v[2:3], v[4:5]
	v_mul_f64 v[4:5], v[32:33], v[58:59]
	v_fma_f64 v[4:5], v[30:31], v[60:61], -v[4:5]
	v_add_f64 v[2:3], v[2:3], v[4:5]
	v_mul_f64 v[4:5], v[36:37], v[68:69]
	s_waitcnt vmcnt(10)
	v_fma_f64 v[4:5], v[34:35], v[86:87], -v[4:5]
	v_add_f64 v[2:3], v[2:3], v[4:5]
	v_mul_f64 v[4:5], v[40:41], v[64:65]
	v_fma_f64 v[4:5], v[38:39], v[66:67], -v[4:5]
	v_fmac_f64_e32 v[100:101], v[24:25], v[82:83]
	v_add_f64 v[2:3], v[2:3], v[4:5]
	v_mul_f64 v[4:5], v[44:45], v[74:75]
	v_fmac_f64_e32 v[102:103], v[28:29], v[84:85]
	v_add_f64 v[96:97], v[96:97], v[100:101]
	s_waitcnt vmcnt(8)
	v_fma_f64 v[4:5], v[42:43], v[88:89], -v[4:5]
	v_add_f64 v[96:97], v[96:97], v[102:103]
	v_add_f64 v[2:3], v[2:3], v[4:5]
	v_mul_f64 v[4:5], v[48:49], v[70:71]
	v_fmac_f64_e32 v[106:107], v[36:37], v[86:87]
	v_add_f64 v[96:97], v[96:97], v[104:105]
	v_fma_f64 v[4:5], v[46:47], v[72:73], -v[4:5]
	v_add_f64 v[96:97], v[96:97], v[106:107]
	v_add_f64 v[2:3], v[2:3], v[4:5]
	v_mul_f64 v[4:5], v[52:53], v[80:81]
	v_fmac_f64_e32 v[110:111], v[44:45], v[88:89]
	v_add_f64 v[96:97], v[96:97], v[108:109]
	s_waitcnt vmcnt(6)
	v_fma_f64 v[4:5], v[50:51], v[90:91], -v[4:5]
	v_add_f64 v[96:97], v[96:97], v[110:111]
	v_add_f64 v[2:3], v[2:3], v[4:5]
	s_waitcnt vmcnt(5) lgkmcnt(0)
	v_mul_f64 v[4:5], v[56:57], v[76:77]
	v_fmac_f64_e32 v[114:115], v[52:53], v[90:91]
	v_add_f64 v[96:97], v[96:97], v[112:113]
	v_mul_f64 v[98:99], v[54:55], v[76:77]
	s_waitcnt vmcnt(4)
	v_fma_f64 v[4:5], v[54:55], v[78:79], -v[4:5]
	v_add_f64 v[96:97], v[96:97], v[114:115]
	v_fmac_f64_e32 v[98:99], v[56:57], v[78:79]
	v_add_f64 v[2:3], v[2:3], v[4:5]
	v_add_f64 v[96:97], v[96:97], v[98:99]
	s_waitcnt vmcnt(2)
	v_add_f64 v[2:3], v[92:93], -v[2:3]
	s_waitcnt vmcnt(0)
	v_add_f64 v[4:5], v[94:95], -v[96:97]
	buffer_store_dword v3, off, s[0:3], 0 offset:516
	buffer_store_dword v2, off, s[0:3], 0 offset:512
	;; [unrolled: 1-line block ×4, first 2 shown]
	s_and_saveexec_b64 s[4:5], vcc
	s_cbranch_execz .LBB106_211
; %bb.210:
	v_accvgpr_read_b32 v0, a98
	buffer_load_dword v2, v0, s[0:3], 0 offen
	buffer_load_dword v3, v0, s[0:3], 0 offen offset:4
	buffer_load_dword v4, v0, s[0:3], 0 offen offset:8
	;; [unrolled: 1-line block ×3, first 2 shown]
	v_accvgpr_read_b32 v0, a129
	buffer_store_dword v12, off, s[0:3], 0 offset:496
	buffer_store_dword v12, off, s[0:3], 0 offset:500
	;; [unrolled: 1-line block ×4, first 2 shown]
	s_waitcnt vmcnt(4)
	ds_write_b128 v0, v[2:5]
.LBB106_211:
	s_or_b64 exec, exec, s[4:5]
	s_waitcnt lgkmcnt(0)
	; wave barrier
	s_waitcnt lgkmcnt(0)
	buffer_load_dword v2, off, s[0:3], 0 offset:512
	buffer_load_dword v3, off, s[0:3], 0 offset:516
	;; [unrolled: 1-line block ×52, first 2 shown]
	ds_read_b128 v[14:17], v12 offset:1184
	ds_read_b128 v[18:21], v12 offset:1200
	;; [unrolled: 1-line block ×10, first 2 shown]
	v_cmp_lt_u32_e32 vcc, 29, v255
	s_waitcnt vmcnt(48) lgkmcnt(9)
	v_mul_f64 v[54:55], v[14:15], v[6:7]
	v_mul_f64 v[6:7], v[16:17], v[6:7]
	v_fmac_f64_e32 v[54:55], v[16:17], v[2:3]
	v_fma_f64 v[2:3], v[14:15], v[2:3], -v[6:7]
	s_waitcnt vmcnt(44) lgkmcnt(8)
	v_mul_f64 v[56:57], v[18:19], v[8:9]
	v_mul_f64 v[6:7], v[20:21], v[8:9]
	v_fmac_f64_e32 v[56:57], v[20:21], v[4:5]
	v_add_f64 v[2:3], v[2:3], 0
	v_fma_f64 v[4:5], v[18:19], v[4:5], -v[6:7]
	v_add_f64 v[2:3], v[2:3], v[4:5]
	s_waitcnt vmcnt(42) lgkmcnt(7)
	v_mul_f64 v[4:5], v[24:25], v[10:11]
	v_mul_f64 v[58:59], v[22:23], v[10:11]
	v_add_f64 v[54:55], v[54:55], 0
	s_waitcnt vmcnt(36) lgkmcnt(6)
	v_mul_f64 v[60:61], v[26:27], v[66:67]
	v_add_f64 v[54:55], v[54:55], v[56:57]
	s_waitcnt lgkmcnt(5)
	v_mul_f64 v[104:105], v[30:31], v[62:63]
	v_fmac_f64_e32 v[104:105], v[32:33], v[64:65]
	s_waitcnt vmcnt(34) lgkmcnt(3)
	v_mul_f64 v[108:109], v[38:39], v[68:69]
	s_waitcnt vmcnt(30)
	v_mul_f64 v[106:107], v[34:35], v[72:73]
	v_fmac_f64_e32 v[108:109], v[40:41], v[70:71]
	s_waitcnt vmcnt(26) lgkmcnt(2)
	v_mul_f64 v[110:111], v[42:43], v[78:79]
	s_waitcnt vmcnt(25) lgkmcnt(1)
	v_mul_f64 v[112:113], v[46:47], v[74:75]
	s_waitcnt vmcnt(23)
	v_fma_f64 v[4:5], v[22:23], v[80:81], -v[4:5]
	v_add_f64 v[2:3], v[2:3], v[4:5]
	v_mul_f64 v[4:5], v[28:29], v[66:67]
	s_waitcnt vmcnt(21)
	v_fma_f64 v[4:5], v[26:27], v[82:83], -v[4:5]
	v_fmac_f64_e32 v[58:59], v[24:25], v[80:81]
	v_add_f64 v[2:3], v[2:3], v[4:5]
	v_mul_f64 v[4:5], v[32:33], v[62:63]
	v_fmac_f64_e32 v[60:61], v[28:29], v[82:83]
	v_add_f64 v[54:55], v[54:55], v[58:59]
	v_fma_f64 v[4:5], v[30:31], v[64:65], -v[4:5]
	v_add_f64 v[54:55], v[54:55], v[60:61]
	v_add_f64 v[2:3], v[2:3], v[4:5]
	v_mul_f64 v[4:5], v[36:37], v[72:73]
	s_waitcnt vmcnt(19)
	v_fmac_f64_e32 v[106:107], v[36:37], v[84:85]
	v_add_f64 v[54:55], v[54:55], v[104:105]
	v_fma_f64 v[4:5], v[34:35], v[84:85], -v[4:5]
	v_add_f64 v[54:55], v[54:55], v[106:107]
	v_add_f64 v[2:3], v[2:3], v[4:5]
	v_mul_f64 v[4:5], v[40:41], v[68:69]
	s_waitcnt vmcnt(17)
	v_fmac_f64_e32 v[110:111], v[44:45], v[86:87]
	v_add_f64 v[54:55], v[54:55], v[108:109]
	v_fma_f64 v[4:5], v[38:39], v[70:71], -v[4:5]
	s_waitcnt vmcnt(16)
	v_fmac_f64_e32 v[112:113], v[48:49], v[76:77]
	v_add_f64 v[54:55], v[54:55], v[110:111]
	v_add_f64 v[2:3], v[2:3], v[4:5]
	v_mul_f64 v[4:5], v[44:45], v[78:79]
	v_add_f64 v[104:105], v[54:55], v[112:113]
	ds_read_b128 v[54:57], v12 offset:1344
	ds_read_b128 v[58:61], v12 offset:1360
	v_fma_f64 v[4:5], v[42:43], v[86:87], -v[4:5]
	v_add_f64 v[2:3], v[2:3], v[4:5]
	v_mul_f64 v[4:5], v[48:49], v[74:75]
	v_fma_f64 v[4:5], v[46:47], v[76:77], -v[4:5]
	v_add_f64 v[2:3], v[2:3], v[4:5]
	s_waitcnt vmcnt(12) lgkmcnt(2)
	v_mul_f64 v[4:5], v[52:53], v[92:93]
	v_mul_f64 v[106:107], v[50:51], v[92:93]
	s_waitcnt vmcnt(10)
	v_fma_f64 v[4:5], v[50:51], v[94:95], -v[4:5]
	v_fmac_f64_e32 v[106:107], v[52:53], v[94:95]
	v_add_f64 v[2:3], v[2:3], v[4:5]
	s_waitcnt vmcnt(8) lgkmcnt(1)
	v_mul_f64 v[4:5], v[56:57], v[88:89]
	v_add_f64 v[12:13], v[104:105], v[106:107]
	v_mul_f64 v[104:105], v[54:55], v[88:89]
	v_fma_f64 v[4:5], v[54:55], v[90:91], -v[4:5]
	v_fmac_f64_e32 v[104:105], v[56:57], v[90:91]
	v_add_f64 v[2:3], v[2:3], v[4:5]
	s_waitcnt vmcnt(6) lgkmcnt(0)
	v_mul_f64 v[4:5], v[60:61], v[96:97]
	v_add_f64 v[12:13], v[12:13], v[104:105]
	v_mul_f64 v[104:105], v[58:59], v[96:97]
	s_waitcnt vmcnt(4)
	v_fma_f64 v[4:5], v[58:59], v[98:99], -v[4:5]
	v_fmac_f64_e32 v[104:105], v[60:61], v[98:99]
	v_add_f64 v[2:3], v[2:3], v[4:5]
	v_add_f64 v[12:13], v[12:13], v[104:105]
	s_waitcnt vmcnt(2)
	v_add_f64 v[2:3], v[100:101], -v[2:3]
	s_waitcnt vmcnt(0)
	v_add_f64 v[4:5], v[102:103], -v[12:13]
	buffer_store_dword v3, off, s[0:3], 0 offset:500
	buffer_store_dword v2, off, s[0:3], 0 offset:496
	;; [unrolled: 1-line block ×4, first 2 shown]
	s_and_saveexec_b64 s[4:5], vcc
	s_cbranch_execz .LBB106_213
; %bb.212:
	v_accvgpr_read_b32 v0, a99
	buffer_load_dword v2, v0, s[0:3], 0 offen
	buffer_load_dword v3, v0, s[0:3], 0 offen offset:4
	buffer_load_dword v4, v0, s[0:3], 0 offen offset:8
	;; [unrolled: 1-line block ×3, first 2 shown]
	v_mov_b32_e32 v0, 0
	v_accvgpr_read_b32 v1, a129
	buffer_store_dword v0, off, s[0:3], 0 offset:480
	buffer_store_dword v0, off, s[0:3], 0 offset:484
	;; [unrolled: 1-line block ×4, first 2 shown]
	s_waitcnt vmcnt(4)
	ds_write_b128 v1, v[2:5]
.LBB106_213:
	s_or_b64 exec, exec, s[4:5]
	s_waitcnt lgkmcnt(0)
	; wave barrier
	s_waitcnt lgkmcnt(0)
	buffer_load_dword v2, off, s[0:3], 0 offset:496
	buffer_load_dword v3, off, s[0:3], 0 offset:500
	;; [unrolled: 1-line block ×56, first 2 shown]
	v_mov_b32_e32 v24, 0
	ds_read_b128 v[18:21], v24 offset:1168
	ds_read_b128 v[26:29], v24 offset:1184
	;; [unrolled: 1-line block ×9, first 2 shown]
	v_cmp_lt_u32_e32 vcc, 28, v255
	s_waitcnt vmcnt(52) lgkmcnt(8)
	v_mul_f64 v[54:55], v[18:19], v[6:7]
	v_fmac_f64_e32 v[54:55], v[20:21], v[2:3]
	v_mul_f64 v[6:7], v[20:21], v[6:7]
	v_add_f64 v[54:55], v[54:55], 0
	s_waitcnt vmcnt(48) lgkmcnt(7)
	v_mul_f64 v[56:57], v[26:27], v[8:9]
	v_fmac_f64_e32 v[56:57], v[28:29], v[4:5]
	s_waitcnt vmcnt(46) lgkmcnt(6)
	v_mul_f64 v[58:59], v[30:31], v[10:11]
	v_fma_f64 v[2:3], v[18:19], v[2:3], -v[6:7]
	v_mul_f64 v[6:7], v[28:29], v[8:9]
	v_add_f64 v[54:55], v[54:55], v[56:57]
	v_add_f64 v[2:3], v[2:3], 0
	v_fma_f64 v[4:5], v[26:27], v[4:5], -v[6:7]
	s_waitcnt vmcnt(40) lgkmcnt(5)
	v_mul_f64 v[60:61], v[34:35], v[16:17]
	s_waitcnt lgkmcnt(4)
	v_mul_f64 v[62:63], v[38:39], v[12:13]
	v_add_f64 v[2:3], v[2:3], v[4:5]
	v_mul_f64 v[4:5], v[32:33], v[10:11]
	s_waitcnt vmcnt(36) lgkmcnt(3)
	v_mul_f64 v[64:65], v[42:43], v[76:77]
	v_fmac_f64_e32 v[62:63], v[40:41], v[14:15]
	s_waitcnt vmcnt(35) lgkmcnt(2)
	v_mul_f64 v[66:67], v[46:47], v[22:23]
	s_waitcnt vmcnt(33)
	v_fmac_f64_e32 v[58:59], v[32:33], v[78:79]
	v_add_f64 v[54:55], v[54:55], v[58:59]
	s_waitcnt vmcnt(31)
	v_fmac_f64_e32 v[60:61], v[36:37], v[80:81]
	v_add_f64 v[54:55], v[54:55], v[60:61]
	v_fma_f64 v[4:5], v[30:31], v[78:79], -v[4:5]
	s_waitcnt vmcnt(29)
	v_fmac_f64_e32 v[64:65], v[44:45], v[82:83]
	v_add_f64 v[54:55], v[54:55], v[62:63]
	v_add_f64 v[2:3], v[2:3], v[4:5]
	v_mul_f64 v[4:5], v[36:37], v[16:17]
	s_waitcnt vmcnt(28)
	v_fmac_f64_e32 v[66:67], v[48:49], v[74:75]
	v_add_f64 v[54:55], v[54:55], v[64:65]
	v_fma_f64 v[4:5], v[34:35], v[80:81], -v[4:5]
	v_add_f64 v[58:59], v[54:55], v[66:67]
	ds_read_b128 v[54:57], v24 offset:1296
	s_waitcnt vmcnt(24) lgkmcnt(2)
	v_mul_f64 v[60:61], v[50:51], v[88:89]
	v_add_f64 v[2:3], v[2:3], v[4:5]
	v_mul_f64 v[4:5], v[40:41], v[12:13]
	s_waitcnt vmcnt(22)
	v_fmac_f64_e32 v[60:61], v[52:53], v[90:91]
	v_fma_f64 v[4:5], v[38:39], v[14:15], -v[4:5]
	v_add_f64 v[62:63], v[58:59], v[60:61]
	ds_read_b128 v[58:61], v24 offset:1312
	v_add_f64 v[2:3], v[2:3], v[4:5]
	v_mul_f64 v[4:5], v[44:45], v[76:77]
	v_fma_f64 v[4:5], v[42:43], v[82:83], -v[4:5]
	v_add_f64 v[2:3], v[2:3], v[4:5]
	v_mul_f64 v[4:5], v[48:49], v[22:23]
	s_waitcnt vmcnt(20) lgkmcnt(1)
	v_mul_f64 v[64:65], v[54:55], v[84:85]
	v_fma_f64 v[4:5], v[46:47], v[74:75], -v[4:5]
	v_fmac_f64_e32 v[64:65], v[56:57], v[86:87]
	v_add_f64 v[2:3], v[2:3], v[4:5]
	v_mul_f64 v[4:5], v[52:53], v[88:89]
	v_add_f64 v[66:67], v[62:63], v[64:65]
	ds_read_b128 v[62:65], v24 offset:1328
	s_waitcnt vmcnt(16) lgkmcnt(1)
	v_mul_f64 v[68:69], v[58:59], v[96:97]
	v_fma_f64 v[4:5], v[50:51], v[90:91], -v[4:5]
	s_waitcnt vmcnt(14)
	v_fmac_f64_e32 v[68:69], v[60:61], v[98:99]
	v_add_f64 v[2:3], v[2:3], v[4:5]
	v_mul_f64 v[4:5], v[56:57], v[84:85]
	v_add_f64 v[112:113], v[66:67], v[68:69]
	ds_read_b128 v[66:69], v24 offset:1344
	v_fma_f64 v[4:5], v[54:55], v[86:87], -v[4:5]
	v_add_f64 v[2:3], v[2:3], v[4:5]
	v_mul_f64 v[4:5], v[60:61], v[96:97]
	v_fma_f64 v[4:5], v[58:59], v[98:99], -v[4:5]
	v_add_f64 v[2:3], v[2:3], v[4:5]
	s_waitcnt vmcnt(12) lgkmcnt(1)
	v_mul_f64 v[4:5], v[64:65], v[92:93]
	v_mul_f64 v[114:115], v[62:63], v[92:93]
	v_fma_f64 v[4:5], v[62:63], v[94:95], -v[4:5]
	v_fmac_f64_e32 v[114:115], v[64:65], v[94:95]
	v_add_f64 v[2:3], v[2:3], v[4:5]
	s_waitcnt vmcnt(8) lgkmcnt(0)
	v_mul_f64 v[4:5], v[68:69], v[104:105]
	v_add_f64 v[112:113], v[112:113], v[114:115]
	v_mul_f64 v[114:115], v[66:67], v[104:105]
	s_waitcnt vmcnt(6)
	v_fma_f64 v[4:5], v[66:67], v[106:107], -v[4:5]
	v_fmac_f64_e32 v[114:115], v[68:69], v[106:107]
	v_add_f64 v[2:3], v[2:3], v[4:5]
	s_waitcnt vmcnt(5)
	v_mul_f64 v[4:5], v[72:73], v[100:101]
	v_add_f64 v[112:113], v[112:113], v[114:115]
	v_mul_f64 v[114:115], v[70:71], v[100:101]
	s_waitcnt vmcnt(4)
	v_fma_f64 v[4:5], v[70:71], v[102:103], -v[4:5]
	v_fmac_f64_e32 v[114:115], v[72:73], v[102:103]
	v_add_f64 v[2:3], v[2:3], v[4:5]
	v_add_f64 v[112:113], v[112:113], v[114:115]
	s_waitcnt vmcnt(2)
	v_add_f64 v[2:3], v[108:109], -v[2:3]
	s_waitcnt vmcnt(0)
	v_add_f64 v[4:5], v[110:111], -v[112:113]
	buffer_store_dword v3, off, s[0:3], 0 offset:484
	buffer_store_dword v2, off, s[0:3], 0 offset:480
	;; [unrolled: 1-line block ×4, first 2 shown]
	s_and_saveexec_b64 s[4:5], vcc
	s_cbranch_execz .LBB106_215
; %bb.214:
	v_accvgpr_read_b32 v0, a100
	buffer_load_dword v2, v0, s[0:3], 0 offen
	buffer_load_dword v3, v0, s[0:3], 0 offen offset:4
	buffer_load_dword v4, v0, s[0:3], 0 offen offset:8
	;; [unrolled: 1-line block ×3, first 2 shown]
	v_accvgpr_read_b32 v0, a129
	buffer_store_dword v24, off, s[0:3], 0 offset:464
	buffer_store_dword v24, off, s[0:3], 0 offset:468
	;; [unrolled: 1-line block ×4, first 2 shown]
	s_waitcnt vmcnt(4)
	ds_write_b128 v0, v[2:5]
.LBB106_215:
	s_or_b64 exec, exec, s[4:5]
	s_waitcnt lgkmcnt(0)
	; wave barrier
	s_waitcnt lgkmcnt(0)
	buffer_load_dword v2, off, s[0:3], 0 offset:480
	buffer_load_dword v3, off, s[0:3], 0 offset:484
	;; [unrolled: 1-line block ×60, first 2 shown]
	ds_read_b128 v[26:29], v24 offset:1152
	ds_read_b128 v[30:33], v24 offset:1168
	;; [unrolled: 1-line block ×8, first 2 shown]
	v_cmp_lt_u32_e32 vcc, 27, v255
	ds_read_b128 v[78:81], v24 offset:1360
	s_waitcnt vmcnt(56) lgkmcnt(8)
	v_mul_f64 v[58:59], v[26:27], v[6:7]
	v_fmac_f64_e32 v[58:59], v[28:29], v[2:3]
	v_add_f64 v[58:59], v[58:59], 0
	v_mul_f64 v[6:7], v[28:29], v[6:7]
	s_waitcnt vmcnt(52) lgkmcnt(7)
	v_mul_f64 v[60:61], v[30:31], v[8:9]
	v_fmac_f64_e32 v[60:61], v[32:33], v[4:5]
	s_waitcnt vmcnt(50) lgkmcnt(6)
	v_mul_f64 v[62:63], v[34:35], v[10:11]
	v_add_f64 v[58:59], v[58:59], v[60:61]
	s_waitcnt vmcnt(48) lgkmcnt(4)
	v_mul_f64 v[66:67], v[42:43], v[12:13]
	v_fma_f64 v[2:3], v[26:27], v[2:3], -v[6:7]
	s_waitcnt vmcnt(46)
	v_fmac_f64_e32 v[66:67], v[44:45], v[14:15]
	v_mul_f64 v[6:7], v[32:33], v[8:9]
	s_waitcnt vmcnt(44)
	v_mul_f64 v[64:65], v[38:39], v[16:17]
	v_add_f64 v[2:3], v[2:3], 0
	v_fma_f64 v[4:5], v[30:31], v[4:5], -v[6:7]
	v_add_f64 v[2:3], v[2:3], v[4:5]
	s_waitcnt vmcnt(40) lgkmcnt(3)
	v_mul_f64 v[68:69], v[46:47], v[22:23]
	v_mul_f64 v[4:5], v[36:37], v[10:11]
	s_waitcnt vmcnt(38)
	v_fmac_f64_e32 v[62:63], v[36:37], v[82:83]
	v_add_f64 v[58:59], v[58:59], v[62:63]
	s_waitcnt vmcnt(36)
	v_fmac_f64_e32 v[64:65], v[40:41], v[84:85]
	v_add_f64 v[58:59], v[58:59], v[64:65]
	;; [unrolled: 3-line block ×3, first 2 shown]
	s_waitcnt vmcnt(32) lgkmcnt(2)
	v_mul_f64 v[60:61], v[50:51], v[18:19]
	v_add_f64 v[58:59], v[58:59], v[68:69]
	v_fmac_f64_e32 v[60:61], v[52:53], v[20:21]
	v_add_f64 v[62:63], v[58:59], v[60:61]
	ds_read_b128 v[58:61], v24 offset:1280
	v_fma_f64 v[4:5], v[34:35], v[82:83], -v[4:5]
	v_add_f64 v[2:3], v[2:3], v[4:5]
	v_mul_f64 v[4:5], v[40:41], v[16:17]
	v_fma_f64 v[4:5], v[38:39], v[84:85], -v[4:5]
	s_waitcnt vmcnt(28) lgkmcnt(2)
	v_mul_f64 v[64:65], v[54:55], v[92:93]
	v_add_f64 v[2:3], v[2:3], v[4:5]
	v_mul_f64 v[4:5], v[44:45], v[12:13]
	s_waitcnt vmcnt(26)
	v_fmac_f64_e32 v[64:65], v[56:57], v[94:95]
	v_fma_f64 v[4:5], v[42:43], v[14:15], -v[4:5]
	v_add_f64 v[66:67], v[62:63], v[64:65]
	ds_read_b128 v[62:65], v24 offset:1296
	s_waitcnt vmcnt(24) lgkmcnt(1)
	v_mul_f64 v[68:69], v[58:59], v[88:89]
	v_add_f64 v[2:3], v[2:3], v[4:5]
	v_mul_f64 v[4:5], v[48:49], v[22:23]
	v_fmac_f64_e32 v[68:69], v[60:61], v[90:91]
	v_fma_f64 v[4:5], v[46:47], v[86:87], -v[4:5]
	v_add_f64 v[70:71], v[66:67], v[68:69]
	ds_read_b128 v[66:69], v24 offset:1312
	v_add_f64 v[2:3], v[2:3], v[4:5]
	v_mul_f64 v[4:5], v[52:53], v[18:19]
	v_fma_f64 v[4:5], v[50:51], v[20:21], -v[4:5]
	v_add_f64 v[2:3], v[2:3], v[4:5]
	v_mul_f64 v[4:5], v[56:57], v[92:93]
	s_waitcnt vmcnt(20) lgkmcnt(1)
	v_mul_f64 v[72:73], v[62:63], v[100:101]
	v_fma_f64 v[4:5], v[54:55], v[94:95], -v[4:5]
	s_waitcnt vmcnt(18)
	v_fmac_f64_e32 v[72:73], v[64:65], v[102:103]
	v_add_f64 v[2:3], v[2:3], v[4:5]
	v_mul_f64 v[4:5], v[60:61], v[88:89]
	v_add_f64 v[74:75], v[70:71], v[72:73]
	ds_read_b128 v[70:73], v24 offset:1328
	s_waitcnt vmcnt(16) lgkmcnt(1)
	v_mul_f64 v[76:77], v[66:67], v[96:97]
	v_fma_f64 v[4:5], v[58:59], v[90:91], -v[4:5]
	v_fmac_f64_e32 v[76:77], v[68:69], v[98:99]
	v_add_f64 v[2:3], v[2:3], v[4:5]
	v_mul_f64 v[4:5], v[64:65], v[100:101]
	v_add_f64 v[120:121], v[74:75], v[76:77]
	ds_read_b128 v[74:77], v24 offset:1344
	v_fma_f64 v[4:5], v[62:63], v[102:103], -v[4:5]
	v_add_f64 v[2:3], v[2:3], v[4:5]
	v_mul_f64 v[4:5], v[68:69], v[96:97]
	v_fma_f64 v[4:5], v[66:67], v[98:99], -v[4:5]
	v_add_f64 v[2:3], v[2:3], v[4:5]
	s_waitcnt vmcnt(12) lgkmcnt(1)
	v_mul_f64 v[4:5], v[72:73], v[108:109]
	v_mul_f64 v[122:123], v[70:71], v[108:109]
	s_waitcnt vmcnt(10)
	v_fma_f64 v[4:5], v[70:71], v[110:111], -v[4:5]
	v_fmac_f64_e32 v[122:123], v[72:73], v[110:111]
	v_add_f64 v[2:3], v[2:3], v[4:5]
	s_waitcnt vmcnt(8) lgkmcnt(0)
	v_mul_f64 v[4:5], v[76:77], v[104:105]
	v_add_f64 v[24:25], v[120:121], v[122:123]
	v_mul_f64 v[120:121], v[74:75], v[104:105]
	v_fma_f64 v[4:5], v[74:75], v[106:107], -v[4:5]
	v_fmac_f64_e32 v[120:121], v[76:77], v[106:107]
	v_add_f64 v[2:3], v[2:3], v[4:5]
	s_waitcnt vmcnt(6)
	v_mul_f64 v[4:5], v[80:81], v[112:113]
	v_add_f64 v[24:25], v[24:25], v[120:121]
	v_mul_f64 v[120:121], v[78:79], v[112:113]
	s_waitcnt vmcnt(4)
	v_fma_f64 v[4:5], v[78:79], v[114:115], -v[4:5]
	v_fmac_f64_e32 v[120:121], v[80:81], v[114:115]
	v_add_f64 v[2:3], v[2:3], v[4:5]
	v_add_f64 v[24:25], v[24:25], v[120:121]
	s_waitcnt vmcnt(2)
	v_add_f64 v[2:3], v[116:117], -v[2:3]
	s_waitcnt vmcnt(0)
	v_add_f64 v[4:5], v[118:119], -v[24:25]
	buffer_store_dword v3, off, s[0:3], 0 offset:468
	buffer_store_dword v2, off, s[0:3], 0 offset:464
	;; [unrolled: 1-line block ×4, first 2 shown]
	s_and_saveexec_b64 s[4:5], vcc
	s_cbranch_execz .LBB106_217
; %bb.216:
	v_accvgpr_read_b32 v0, a101
	buffer_load_dword v2, v0, s[0:3], 0 offen
	buffer_load_dword v3, v0, s[0:3], 0 offen offset:4
	buffer_load_dword v4, v0, s[0:3], 0 offen offset:8
	;; [unrolled: 1-line block ×3, first 2 shown]
	v_mov_b32_e32 v0, 0
	v_accvgpr_read_b32 v1, a129
	buffer_store_dword v0, off, s[0:3], 0 offset:448
	buffer_store_dword v0, off, s[0:3], 0 offset:452
	;; [unrolled: 1-line block ×4, first 2 shown]
	s_waitcnt vmcnt(4)
	ds_write_b128 v1, v[2:5]
.LBB106_217:
	s_or_b64 exec, exec, s[4:5]
	s_waitcnt lgkmcnt(0)
	; wave barrier
	s_waitcnt lgkmcnt(0)
	buffer_load_dword v2, off, s[0:3], 0 offset:464
	buffer_load_dword v3, off, s[0:3], 0 offset:468
	;; [unrolled: 1-line block ×64, first 2 shown]
	v_mov_b32_e32 v46, 0
	ds_read_b128 v[38:41], v46 offset:1136
	ds_read_b128 v[42:45], v46 offset:1152
	;; [unrolled: 1-line block ×7, first 2 shown]
	v_cmp_lt_u32_e32 vcc, 26, v255
	s_waitcnt vmcnt(60) lgkmcnt(6)
	v_mul_f64 v[64:65], v[38:39], v[4:5]
	v_fmac_f64_e32 v[64:65], v[40:41], v[2:3]
	s_waitcnt vmcnt(58) lgkmcnt(5)
	v_mul_f64 v[66:67], v[42:43], v[6:7]
	v_add_f64 v[64:65], v[64:65], 0
	s_waitcnt vmcnt(56) lgkmcnt(4)
	v_mul_f64 v[68:69], v[48:49], v[8:9]
	v_mul_f64 v[4:5], v[40:41], v[4:5]
	s_waitcnt vmcnt(54) lgkmcnt(2)
	v_mul_f64 v[72:73], v[56:57], v[10:11]
	v_fma_f64 v[2:3], v[38:39], v[2:3], -v[4:5]
	v_mul_f64 v[4:5], v[44:45], v[6:7]
	s_waitcnt vmcnt(51)
	v_mul_f64 v[70:71], v[52:53], v[14:15]
	v_add_f64 v[2:3], v[2:3], 0
	s_waitcnt vmcnt(49)
	v_fmac_f64_e32 v[66:67], v[44:45], v[20:21]
	v_add_f64 v[64:65], v[64:65], v[66:67]
	s_waitcnt vmcnt(47)
	v_fmac_f64_e32 v[68:69], v[50:51], v[18:19]
	v_add_f64 v[64:65], v[64:65], v[68:69]
	s_waitcnt vmcnt(45)
	v_fmac_f64_e32 v[70:71], v[54:55], v[16:17]
	v_add_f64 v[64:65], v[64:65], v[70:71]
	s_waitcnt vmcnt(44)
	v_fmac_f64_e32 v[72:73], v[58:59], v[12:13]
	v_add_f64 v[68:69], v[64:65], v[72:73]
	ds_read_b128 v[64:67], v46 offset:1232
	s_waitcnt vmcnt(40) lgkmcnt(2)
	v_mul_f64 v[70:71], v[60:61], v[26:27]
	v_fma_f64 v[4:5], v[42:43], v[20:21], -v[4:5]
	s_waitcnt vmcnt(38)
	v_fmac_f64_e32 v[70:71], v[62:63], v[28:29]
	v_add_f64 v[72:73], v[68:69], v[70:71]
	ds_read_b128 v[68:71], v46 offset:1248
	s_waitcnt vmcnt(37) lgkmcnt(1)
	v_mul_f64 v[74:75], v[64:65], v[22:23]
	s_waitcnt vmcnt(36)
	v_fmac_f64_e32 v[74:75], v[66:67], v[24:25]
	v_add_f64 v[2:3], v[2:3], v[4:5]
	v_mul_f64 v[4:5], v[50:51], v[8:9]
	v_add_f64 v[76:77], v[72:73], v[74:75]
	ds_read_b128 v[72:75], v46 offset:1264
	s_waitcnt vmcnt(32) lgkmcnt(1)
	v_mul_f64 v[78:79], v[68:69], v[34:35]
	v_fma_f64 v[4:5], v[48:49], v[18:19], -v[4:5]
	s_waitcnt vmcnt(30)
	v_fmac_f64_e32 v[78:79], v[70:71], v[36:37]
	v_add_f64 v[2:3], v[2:3], v[4:5]
	v_mul_f64 v[4:5], v[54:55], v[14:15]
	v_add_f64 v[80:81], v[76:77], v[78:79]
	ds_read_b128 v[76:79], v46 offset:1280
	v_fma_f64 v[4:5], v[52:53], v[16:17], -v[4:5]
	v_add_f64 v[2:3], v[2:3], v[4:5]
	v_mul_f64 v[4:5], v[58:59], v[10:11]
	v_fma_f64 v[4:5], v[56:57], v[12:13], -v[4:5]
	s_waitcnt vmcnt(29) lgkmcnt(1)
	v_mul_f64 v[82:83], v[72:73], v[30:31]
	v_add_f64 v[2:3], v[2:3], v[4:5]
	v_mul_f64 v[4:5], v[62:63], v[26:27]
	s_waitcnt vmcnt(28)
	v_fmac_f64_e32 v[82:83], v[74:75], v[32:33]
	v_fma_f64 v[4:5], v[60:61], v[28:29], -v[4:5]
	v_add_f64 v[84:85], v[80:81], v[82:83]
	ds_read_b128 v[80:83], v46 offset:1296
	s_waitcnt vmcnt(24) lgkmcnt(1)
	v_mul_f64 v[86:87], v[76:77], v[104:105]
	v_add_f64 v[2:3], v[2:3], v[4:5]
	v_mul_f64 v[4:5], v[66:67], v[22:23]
	s_waitcnt vmcnt(22)
	v_fmac_f64_e32 v[86:87], v[78:79], v[106:107]
	v_fma_f64 v[4:5], v[64:65], v[24:25], -v[4:5]
	v_add_f64 v[88:89], v[84:85], v[86:87]
	ds_read_b128 v[84:87], v46 offset:1312
	v_add_f64 v[2:3], v[2:3], v[4:5]
	v_mul_f64 v[4:5], v[70:71], v[34:35]
	v_fma_f64 v[4:5], v[68:69], v[36:37], -v[4:5]
	v_add_f64 v[2:3], v[2:3], v[4:5]
	v_mul_f64 v[4:5], v[74:75], v[30:31]
	s_waitcnt vmcnt(21) lgkmcnt(1)
	v_mul_f64 v[90:91], v[80:81], v[100:101]
	v_fma_f64 v[4:5], v[72:73], v[32:33], -v[4:5]
	s_waitcnt vmcnt(20)
	v_fmac_f64_e32 v[90:91], v[82:83], v[102:103]
	v_add_f64 v[2:3], v[2:3], v[4:5]
	v_mul_f64 v[4:5], v[78:79], v[104:105]
	v_add_f64 v[92:93], v[88:89], v[90:91]
	ds_read_b128 v[88:91], v46 offset:1328
	s_waitcnt vmcnt(16) lgkmcnt(1)
	v_mul_f64 v[94:95], v[84:85], v[112:113]
	v_fma_f64 v[4:5], v[76:77], v[106:107], -v[4:5]
	s_waitcnt vmcnt(14)
	v_fmac_f64_e32 v[94:95], v[86:87], v[114:115]
	v_add_f64 v[2:3], v[2:3], v[4:5]
	v_mul_f64 v[4:5], v[82:83], v[100:101]
	v_add_f64 v[128:129], v[92:93], v[94:95]
	ds_read_b128 v[92:95], v46 offset:1344
	v_fma_f64 v[4:5], v[80:81], v[102:103], -v[4:5]
	v_add_f64 v[2:3], v[2:3], v[4:5]
	v_mul_f64 v[4:5], v[86:87], v[112:113]
	v_fma_f64 v[4:5], v[84:85], v[114:115], -v[4:5]
	v_add_f64 v[2:3], v[2:3], v[4:5]
	s_waitcnt vmcnt(13) lgkmcnt(1)
	v_mul_f64 v[4:5], v[90:91], v[108:109]
	v_mul_f64 v[130:131], v[88:89], v[108:109]
	s_waitcnt vmcnt(12)
	v_fma_f64 v[4:5], v[88:89], v[110:111], -v[4:5]
	v_fmac_f64_e32 v[130:131], v[90:91], v[110:111]
	v_add_f64 v[2:3], v[2:3], v[4:5]
	s_waitcnt vmcnt(8) lgkmcnt(0)
	v_mul_f64 v[4:5], v[94:95], v[120:121]
	v_add_f64 v[128:129], v[128:129], v[130:131]
	v_mul_f64 v[130:131], v[92:93], v[120:121]
	s_waitcnt vmcnt(6)
	v_fma_f64 v[4:5], v[92:93], v[122:123], -v[4:5]
	v_fmac_f64_e32 v[130:131], v[94:95], v[122:123]
	v_add_f64 v[2:3], v[2:3], v[4:5]
	s_waitcnt vmcnt(5)
	v_mul_f64 v[4:5], v[98:99], v[116:117]
	v_add_f64 v[128:129], v[128:129], v[130:131]
	v_mul_f64 v[130:131], v[96:97], v[116:117]
	s_waitcnt vmcnt(4)
	v_fma_f64 v[4:5], v[96:97], v[118:119], -v[4:5]
	v_fmac_f64_e32 v[130:131], v[98:99], v[118:119]
	v_add_f64 v[2:3], v[2:3], v[4:5]
	v_add_f64 v[128:129], v[128:129], v[130:131]
	s_waitcnt vmcnt(2)
	v_add_f64 v[2:3], v[124:125], -v[2:3]
	s_waitcnt vmcnt(0)
	v_add_f64 v[4:5], v[126:127], -v[128:129]
	buffer_store_dword v3, off, s[0:3], 0 offset:452
	buffer_store_dword v2, off, s[0:3], 0 offset:448
	buffer_store_dword v5, off, s[0:3], 0 offset:460
	buffer_store_dword v4, off, s[0:3], 0 offset:456
	s_and_saveexec_b64 s[4:5], vcc
	s_cbranch_execz .LBB106_219
; %bb.218:
	v_accvgpr_read_b32 v0, a102
	buffer_load_dword v2, v0, s[0:3], 0 offen
	buffer_load_dword v3, v0, s[0:3], 0 offen offset:4
	buffer_load_dword v4, v0, s[0:3], 0 offen offset:8
	;; [unrolled: 1-line block ×3, first 2 shown]
	v_accvgpr_read_b32 v0, a129
	buffer_store_dword v46, off, s[0:3], 0 offset:432
	buffer_store_dword v46, off, s[0:3], 0 offset:436
	;; [unrolled: 1-line block ×4, first 2 shown]
	s_waitcnt vmcnt(4)
	ds_write_b128 v0, v[2:5]
.LBB106_219:
	s_or_b64 exec, exec, s[4:5]
	s_waitcnt lgkmcnt(0)
	; wave barrier
	s_waitcnt lgkmcnt(0)
	buffer_load_dword v2, off, s[0:3], 0 offset:448
	buffer_load_dword v3, off, s[0:3], 0 offset:452
	;; [unrolled: 1-line block ×64, first 2 shown]
	ds_read_b128 v[48:51], v46 offset:1120
	ds_read_b128 v[52:55], v46 offset:1136
	ds_read_b128 v[56:59], v46 offset:1152
	ds_read_b128 v[60:63], v46 offset:1168
	buffer_load_dword v132, off, s[0:3], 0 offset:432
	buffer_load_dword v133, off, s[0:3], 0 offset:436
	;; [unrolled: 1-line block ×4, first 2 shown]
	v_cmp_lt_u32_e32 vcc, 25, v255
	ds_read_b128 v[108:111], v46 offset:1360
	s_waitcnt vmcnt(62) lgkmcnt(4)
	v_mul_f64 v[64:65], v[48:49], v[4:5]
	v_fmac_f64_e32 v[64:65], v[50:51], v[2:3]
	v_add_f64 v[64:65], v[64:65], 0
	s_waitcnt lgkmcnt(2)
	v_mul_f64 v[68:69], v[56:57], v[6:7]
	v_mul_f64 v[4:5], v[50:51], v[4:5]
	v_fma_f64 v[2:3], v[48:49], v[2:3], -v[4:5]
	s_waitcnt vmcnt(58) lgkmcnt(1)
	v_mul_f64 v[70:71], v[60:61], v[12:13]
	v_add_f64 v[2:3], v[2:3], 0
	s_waitcnt vmcnt(56)
	v_mul_f64 v[66:67], v[52:53], v[18:19]
	v_mul_f64 v[4:5], v[54:55], v[18:19]
	s_waitcnt vmcnt(53)
	v_fmac_f64_e32 v[68:69], v[58:59], v[16:17]
	s_waitcnt vmcnt(52)
	v_fmac_f64_e32 v[66:67], v[54:55], v[20:21]
	v_add_f64 v[72:73], v[64:65], v[66:67]
	ds_read_b128 v[64:67], v46 offset:1184
	v_add_f64 v[68:69], v[72:73], v[68:69]
	s_waitcnt vmcnt(50)
	v_fmac_f64_e32 v[70:71], v[62:63], v[14:15]
	v_add_f64 v[72:73], v[68:69], v[70:71]
	ds_read_b128 v[68:71], v46 offset:1200
	s_waitcnt vmcnt(49) lgkmcnt(1)
	v_mul_f64 v[74:75], v[64:65], v[8:9]
	s_waitcnt vmcnt(48)
	v_fmac_f64_e32 v[74:75], v[66:67], v[10:11]
	v_add_f64 v[76:77], v[72:73], v[74:75]
	ds_read_b128 v[72:75], v46 offset:1216
	s_waitcnt vmcnt(44) lgkmcnt(1)
	v_mul_f64 v[78:79], v[68:69], v[26:27]
	;; [unrolled: 6-line block ×3, first 2 shown]
	s_waitcnt vmcnt(40)
	v_fmac_f64_e32 v[82:83], v[74:75], v[24:25]
	v_add_f64 v[84:85], v[80:81], v[82:83]
	ds_read_b128 v[80:83], v46 offset:1248
	v_fma_f64 v[4:5], v[52:53], v[20:21], -v[4:5]
	v_add_f64 v[2:3], v[2:3], v[4:5]
	v_mul_f64 v[4:5], v[58:59], v[6:7]
	s_waitcnt vmcnt(36) lgkmcnt(1)
	v_mul_f64 v[86:87], v[76:77], v[34:35]
	v_fma_f64 v[4:5], v[56:57], v[16:17], -v[4:5]
	s_waitcnt vmcnt(34)
	v_fmac_f64_e32 v[86:87], v[78:79], v[36:37]
	v_add_f64 v[2:3], v[2:3], v[4:5]
	v_mul_f64 v[4:5], v[62:63], v[12:13]
	v_add_f64 v[88:89], v[84:85], v[86:87]
	ds_read_b128 v[84:87], v46 offset:1264
	s_waitcnt vmcnt(33) lgkmcnt(1)
	v_mul_f64 v[90:91], v[80:81], v[30:31]
	v_fma_f64 v[4:5], v[60:61], v[14:15], -v[4:5]
	s_waitcnt vmcnt(32)
	v_fmac_f64_e32 v[90:91], v[82:83], v[32:33]
	v_add_f64 v[2:3], v[2:3], v[4:5]
	v_mul_f64 v[4:5], v[66:67], v[8:9]
	v_add_f64 v[92:93], v[88:89], v[90:91]
	ds_read_b128 v[88:91], v46 offset:1280
	v_fma_f64 v[4:5], v[64:65], v[10:11], -v[4:5]
	v_add_f64 v[2:3], v[2:3], v[4:5]
	v_mul_f64 v[4:5], v[70:71], v[26:27]
	v_fma_f64 v[4:5], v[68:69], v[28:29], -v[4:5]
	s_waitcnt vmcnt(28) lgkmcnt(1)
	v_mul_f64 v[94:95], v[84:85], v[42:43]
	v_add_f64 v[2:3], v[2:3], v[4:5]
	v_mul_f64 v[4:5], v[74:75], v[22:23]
	s_waitcnt vmcnt(26)
	v_fmac_f64_e32 v[94:95], v[86:87], v[44:45]
	v_fma_f64 v[4:5], v[72:73], v[24:25], -v[4:5]
	v_add_f64 v[96:97], v[92:93], v[94:95]
	ds_read_b128 v[92:95], v46 offset:1296
	s_waitcnt vmcnt(25) lgkmcnt(1)
	v_mul_f64 v[98:99], v[88:89], v[38:39]
	v_add_f64 v[2:3], v[2:3], v[4:5]
	v_mul_f64 v[4:5], v[78:79], v[34:35]
	s_waitcnt vmcnt(24)
	v_fmac_f64_e32 v[98:99], v[90:91], v[40:41]
	v_fma_f64 v[4:5], v[76:77], v[36:37], -v[4:5]
	v_add_f64 v[100:101], v[96:97], v[98:99]
	ds_read_b128 v[96:99], v46 offset:1312
	v_add_f64 v[2:3], v[2:3], v[4:5]
	v_mul_f64 v[4:5], v[82:83], v[30:31]
	v_fma_f64 v[4:5], v[80:81], v[32:33], -v[4:5]
	v_add_f64 v[2:3], v[2:3], v[4:5]
	v_mul_f64 v[4:5], v[86:87], v[42:43]
	s_waitcnt vmcnt(20) lgkmcnt(1)
	v_mul_f64 v[102:103], v[92:93], v[116:117]
	v_fma_f64 v[4:5], v[84:85], v[44:45], -v[4:5]
	s_waitcnt vmcnt(18)
	v_fmac_f64_e32 v[102:103], v[94:95], v[118:119]
	v_add_f64 v[2:3], v[2:3], v[4:5]
	v_mul_f64 v[4:5], v[90:91], v[38:39]
	v_add_f64 v[104:105], v[100:101], v[102:103]
	ds_read_b128 v[100:103], v46 offset:1328
	s_waitcnt vmcnt(17) lgkmcnt(1)
	v_mul_f64 v[106:107], v[96:97], v[112:113]
	v_fma_f64 v[4:5], v[88:89], v[40:41], -v[4:5]
	s_waitcnt vmcnt(16)
	v_fmac_f64_e32 v[106:107], v[98:99], v[114:115]
	v_add_f64 v[2:3], v[2:3], v[4:5]
	v_mul_f64 v[4:5], v[94:95], v[116:117]
	v_add_f64 v[136:137], v[104:105], v[106:107]
	ds_read_b128 v[104:107], v46 offset:1344
	v_fma_f64 v[4:5], v[92:93], v[118:119], -v[4:5]
	v_add_f64 v[2:3], v[2:3], v[4:5]
	v_mul_f64 v[4:5], v[98:99], v[112:113]
	v_fma_f64 v[4:5], v[96:97], v[114:115], -v[4:5]
	v_add_f64 v[2:3], v[2:3], v[4:5]
	s_waitcnt vmcnt(12) lgkmcnt(1)
	v_mul_f64 v[4:5], v[102:103], v[124:125]
	v_mul_f64 v[138:139], v[100:101], v[124:125]
	s_waitcnt vmcnt(10)
	v_fma_f64 v[4:5], v[100:101], v[126:127], -v[4:5]
	v_fmac_f64_e32 v[138:139], v[102:103], v[126:127]
	v_add_f64 v[2:3], v[2:3], v[4:5]
	s_waitcnt vmcnt(9) lgkmcnt(0)
	v_mul_f64 v[4:5], v[106:107], v[120:121]
	v_add_f64 v[46:47], v[136:137], v[138:139]
	v_mul_f64 v[136:137], v[104:105], v[120:121]
	s_waitcnt vmcnt(8)
	v_fma_f64 v[4:5], v[104:105], v[122:123], -v[4:5]
	v_fmac_f64_e32 v[136:137], v[106:107], v[122:123]
	v_add_f64 v[2:3], v[2:3], v[4:5]
	s_waitcnt vmcnt(6)
	v_mul_f64 v[4:5], v[110:111], v[128:129]
	v_add_f64 v[46:47], v[46:47], v[136:137]
	v_mul_f64 v[136:137], v[108:109], v[128:129]
	s_waitcnt vmcnt(4)
	v_fma_f64 v[4:5], v[108:109], v[130:131], -v[4:5]
	v_fmac_f64_e32 v[136:137], v[110:111], v[130:131]
	v_add_f64 v[2:3], v[2:3], v[4:5]
	v_add_f64 v[46:47], v[46:47], v[136:137]
	s_waitcnt vmcnt(2)
	v_add_f64 v[2:3], v[132:133], -v[2:3]
	s_waitcnt vmcnt(0)
	v_add_f64 v[4:5], v[134:135], -v[46:47]
	buffer_store_dword v3, off, s[0:3], 0 offset:436
	buffer_store_dword v2, off, s[0:3], 0 offset:432
	;; [unrolled: 1-line block ×4, first 2 shown]
	s_and_saveexec_b64 s[4:5], vcc
	s_cbranch_execz .LBB106_221
; %bb.220:
	v_accvgpr_read_b32 v0, a103
	buffer_load_dword v2, v0, s[0:3], 0 offen
	buffer_load_dword v3, v0, s[0:3], 0 offen offset:4
	buffer_load_dword v4, v0, s[0:3], 0 offen offset:8
	;; [unrolled: 1-line block ×3, first 2 shown]
	v_mov_b32_e32 v0, 0
	v_accvgpr_read_b32 v1, a129
	buffer_store_dword v0, off, s[0:3], 0 offset:416
	buffer_store_dword v0, off, s[0:3], 0 offset:420
	;; [unrolled: 1-line block ×4, first 2 shown]
	s_waitcnt vmcnt(4)
	ds_write_b128 v1, v[2:5]
.LBB106_221:
	s_or_b64 exec, exec, s[4:5]
	s_waitcnt lgkmcnt(0)
	; wave barrier
	s_waitcnt lgkmcnt(0)
	buffer_load_dword v2, off, s[0:3], 0 offset:432
	buffer_load_dword v3, off, s[0:3], 0 offset:436
	buffer_load_dword v6, off, s[0:3], 0 offset:440
	buffer_load_dword v7, off, s[0:3], 0 offset:444
	buffer_load_dword v4, off, s[0:3], 0 offset:448
	buffer_load_dword v5, off, s[0:3], 0 offset:452
	buffer_load_dword v10, off, s[0:3], 0 offset:456
	buffer_load_dword v11, off, s[0:3], 0 offset:460
	buffer_load_dword v8, off, s[0:3], 0 offset:464
	buffer_load_dword v9, off, s[0:3], 0 offset:468
	buffer_load_dword v12, off, s[0:3], 0 offset:472
	buffer_load_dword v13, off, s[0:3], 0 offset:476
	buffer_load_dword v15, off, s[0:3], 0 offset:508
	buffer_load_dword v17, off, s[0:3], 0 offset:500
	buffer_load_dword v19, off, s[0:3], 0 offset:492
	buffer_load_dword v18, off, s[0:3], 0 offset:488
	buffer_load_dword v21, off, s[0:3], 0 offset:484
	buffer_load_dword v20, off, s[0:3], 0 offset:480
	buffer_load_dword v14, off, s[0:3], 0 offset:504
	buffer_load_dword v16, off, s[0:3], 0 offset:496
	buffer_load_dword v23, off, s[0:3], 0 offset:540
	buffer_load_dword v25, off, s[0:3], 0 offset:532
	buffer_load_dword v27, off, s[0:3], 0 offset:524
	buffer_load_dword v26, off, s[0:3], 0 offset:520
	buffer_load_dword v29, off, s[0:3], 0 offset:516
	buffer_load_dword v28, off, s[0:3], 0 offset:512
	buffer_load_dword v22, off, s[0:3], 0 offset:536
	buffer_load_dword v24, off, s[0:3], 0 offset:528
	buffer_load_dword v31, off, s[0:3], 0 offset:572
	buffer_load_dword v33, off, s[0:3], 0 offset:564
	buffer_load_dword v35, off, s[0:3], 0 offset:556
	buffer_load_dword v34, off, s[0:3], 0 offset:552
	buffer_load_dword v37, off, s[0:3], 0 offset:548
	buffer_load_dword v36, off, s[0:3], 0 offset:544
	buffer_load_dword v30, off, s[0:3], 0 offset:568
	buffer_load_dword v32, off, s[0:3], 0 offset:560
	buffer_load_dword v39, off, s[0:3], 0 offset:604
	buffer_load_dword v41, off, s[0:3], 0 offset:596
	buffer_load_dword v43, off, s[0:3], 0 offset:588
	buffer_load_dword v42, off, s[0:3], 0 offset:584
	buffer_load_dword v45, off, s[0:3], 0 offset:580
	buffer_load_dword v44, off, s[0:3], 0 offset:576
	buffer_load_dword v38, off, s[0:3], 0 offset:600
	buffer_load_dword v40, off, s[0:3], 0 offset:592
	buffer_load_dword v51, off, s[0:3], 0 offset:636
	buffer_load_dword v119, off, s[0:3], 0 offset:628
	buffer_load_dword v121, off, s[0:3], 0 offset:620
	buffer_load_dword v120, off, s[0:3], 0 offset:616
	buffer_load_dword v123, off, s[0:3], 0 offset:612
	buffer_load_dword v122, off, s[0:3], 0 offset:608
	buffer_load_dword v50, off, s[0:3], 0 offset:632
	buffer_load_dword v118, off, s[0:3], 0 offset:624
	buffer_load_dword v125, off, s[0:3], 0 offset:668
	buffer_load_dword v127, off, s[0:3], 0 offset:660
	buffer_load_dword v129, off, s[0:3], 0 offset:652
	buffer_load_dword v128, off, s[0:3], 0 offset:648
	buffer_load_dword v131, off, s[0:3], 0 offset:644
	buffer_load_dword v130, off, s[0:3], 0 offset:640
	buffer_load_dword v124, off, s[0:3], 0 offset:664
	buffer_load_dword v126, off, s[0:3], 0 offset:656
	buffer_load_dword v133, off, s[0:3], 0 offset:700
	buffer_load_dword v135, off, s[0:3], 0 offset:692
	buffer_load_dword v137, off, s[0:3], 0 offset:684
	buffer_load_dword v136, off, s[0:3], 0 offset:680
	buffer_load_dword v139, off, s[0:3], 0 offset:676
	buffer_load_dword v138, off, s[0:3], 0 offset:672
	buffer_load_dword v132, off, s[0:3], 0 offset:696
	buffer_load_dword v134, off, s[0:3], 0 offset:688
	v_mov_b32_e32 v52, 0
	buffer_load_dword v140, off, s[0:3], 0 offset:416
	buffer_load_dword v141, off, s[0:3], 0 offset:420
	;; [unrolled: 1-line block ×3, first 2 shown]
	ds_read_b128 v[46:49], v52 offset:1104
	ds_read_b128 v[54:57], v52 offset:1120
	buffer_load_dword v143, off, s[0:3], 0 offset:428
	ds_read_b128 v[58:61], v52 offset:1136
	ds_read_b128 v[62:65], v52 offset:1152
	;; [unrolled: 1-line block ×3, first 2 shown]
	v_cmp_lt_u32_e32 vcc, 24, v255
	s_waitcnt vmcnt(62) lgkmcnt(4)
	v_mul_f64 v[66:67], v[46:47], v[6:7]
	v_fmac_f64_e32 v[66:67], v[48:49], v[2:3]
	v_add_f64 v[66:67], v[66:67], 0
	v_mul_f64 v[6:7], v[48:49], v[6:7]
	s_waitcnt lgkmcnt(3)
	v_mul_f64 v[68:69], v[54:55], v[10:11]
	v_fmac_f64_e32 v[68:69], v[56:57], v[4:5]
	v_add_f64 v[66:67], v[66:67], v[68:69]
	v_fma_f64 v[2:3], v[46:47], v[2:3], -v[6:7]
	s_waitcnt vmcnt(60) lgkmcnt(2)
	v_mul_f64 v[68:69], v[58:59], v[12:13]
	v_fmac_f64_e32 v[68:69], v[60:61], v[8:9]
	v_add_f64 v[70:71], v[66:67], v[68:69]
	ds_read_b128 v[66:69], v52 offset:1168
	s_waitcnt vmcnt(56) lgkmcnt(2)
	v_mul_f64 v[72:73], v[62:63], v[18:19]
	v_mul_f64 v[6:7], v[56:57], v[10:11]
	s_waitcnt vmcnt(54)
	v_fmac_f64_e32 v[72:73], v[64:65], v[20:21]
	v_add_f64 v[74:75], v[70:71], v[72:73]
	ds_read_b128 v[70:73], v52 offset:1184
	s_waitcnt vmcnt(53) lgkmcnt(1)
	v_mul_f64 v[76:77], v[66:67], v[14:15]
	s_waitcnt vmcnt(52)
	v_fmac_f64_e32 v[76:77], v[68:69], v[16:17]
	v_add_f64 v[78:79], v[74:75], v[76:77]
	ds_read_b128 v[74:77], v52 offset:1200
	s_waitcnt vmcnt(48) lgkmcnt(1)
	;; [unrolled: 6-line block ×4, first 2 shown]
	v_mul_f64 v[88:89], v[78:79], v[34:35]
	s_waitcnt vmcnt(38)
	v_fmac_f64_e32 v[88:89], v[80:81], v[36:37]
	v_add_f64 v[2:3], v[2:3], 0
	v_fma_f64 v[4:5], v[54:55], v[4:5], -v[6:7]
	v_add_f64 v[90:91], v[86:87], v[88:89]
	ds_read_b128 v[86:89], v52 offset:1248
	v_add_f64 v[2:3], v[2:3], v[4:5]
	v_mul_f64 v[4:5], v[60:61], v[12:13]
	v_fma_f64 v[4:5], v[58:59], v[8:9], -v[4:5]
	v_add_f64 v[2:3], v[2:3], v[4:5]
	v_mul_f64 v[4:5], v[64:65], v[18:19]
	s_waitcnt vmcnt(37) lgkmcnt(1)
	v_mul_f64 v[92:93], v[82:83], v[30:31]
	v_fma_f64 v[4:5], v[62:63], v[20:21], -v[4:5]
	s_waitcnt vmcnt(36)
	v_fmac_f64_e32 v[92:93], v[84:85], v[32:33]
	v_add_f64 v[2:3], v[2:3], v[4:5]
	v_mul_f64 v[4:5], v[68:69], v[14:15]
	v_add_f64 v[94:95], v[90:91], v[92:93]
	ds_read_b128 v[90:93], v52 offset:1264
	s_waitcnt vmcnt(32) lgkmcnt(1)
	v_mul_f64 v[96:97], v[86:87], v[42:43]
	v_fma_f64 v[4:5], v[66:67], v[16:17], -v[4:5]
	s_waitcnt vmcnt(30)
	v_fmac_f64_e32 v[96:97], v[88:89], v[44:45]
	v_add_f64 v[2:3], v[2:3], v[4:5]
	v_mul_f64 v[4:5], v[72:73], v[26:27]
	v_add_f64 v[98:99], v[94:95], v[96:97]
	ds_read_b128 v[94:97], v52 offset:1280
	v_fma_f64 v[4:5], v[70:71], v[28:29], -v[4:5]
	v_add_f64 v[2:3], v[2:3], v[4:5]
	v_mul_f64 v[4:5], v[76:77], v[22:23]
	v_fma_f64 v[4:5], v[74:75], v[24:25], -v[4:5]
	s_waitcnt vmcnt(29) lgkmcnt(1)
	v_mul_f64 v[100:101], v[90:91], v[38:39]
	v_add_f64 v[2:3], v[2:3], v[4:5]
	v_mul_f64 v[4:5], v[80:81], v[34:35]
	s_waitcnt vmcnt(28)
	v_fmac_f64_e32 v[100:101], v[92:93], v[40:41]
	v_fma_f64 v[4:5], v[78:79], v[36:37], -v[4:5]
	v_add_f64 v[102:103], v[98:99], v[100:101]
	ds_read_b128 v[98:101], v52 offset:1296
	s_waitcnt vmcnt(24) lgkmcnt(1)
	v_mul_f64 v[104:105], v[94:95], v[120:121]
	v_add_f64 v[2:3], v[2:3], v[4:5]
	v_mul_f64 v[4:5], v[84:85], v[30:31]
	s_waitcnt vmcnt(22)
	v_fmac_f64_e32 v[104:105], v[96:97], v[122:123]
	v_fma_f64 v[4:5], v[82:83], v[32:33], -v[4:5]
	v_add_f64 v[106:107], v[102:103], v[104:105]
	ds_read_b128 v[102:105], v52 offset:1312
	v_add_f64 v[2:3], v[2:3], v[4:5]
	v_mul_f64 v[4:5], v[88:89], v[42:43]
	v_fma_f64 v[4:5], v[86:87], v[44:45], -v[4:5]
	v_add_f64 v[2:3], v[2:3], v[4:5]
	v_mul_f64 v[4:5], v[92:93], v[38:39]
	s_waitcnt vmcnt(21) lgkmcnt(1)
	v_mul_f64 v[108:109], v[98:99], v[50:51]
	v_fma_f64 v[4:5], v[90:91], v[40:41], -v[4:5]
	s_waitcnt vmcnt(20)
	v_fmac_f64_e32 v[108:109], v[100:101], v[118:119]
	v_add_f64 v[2:3], v[2:3], v[4:5]
	v_mul_f64 v[4:5], v[96:97], v[120:121]
	v_add_f64 v[110:111], v[106:107], v[108:109]
	ds_read_b128 v[106:109], v52 offset:1328
	s_waitcnt vmcnt(16) lgkmcnt(1)
	v_mul_f64 v[112:113], v[102:103], v[128:129]
	v_fma_f64 v[4:5], v[94:95], v[122:123], -v[4:5]
	s_waitcnt vmcnt(14)
	v_fmac_f64_e32 v[112:113], v[104:105], v[130:131]
	v_add_f64 v[2:3], v[2:3], v[4:5]
	v_mul_f64 v[4:5], v[100:101], v[50:51]
	v_add_f64 v[144:145], v[110:111], v[112:113]
	ds_read_b128 v[110:113], v52 offset:1344
	v_fma_f64 v[4:5], v[98:99], v[118:119], -v[4:5]
	v_add_f64 v[2:3], v[2:3], v[4:5]
	v_mul_f64 v[4:5], v[104:105], v[128:129]
	v_fma_f64 v[4:5], v[102:103], v[130:131], -v[4:5]
	v_add_f64 v[2:3], v[2:3], v[4:5]
	s_waitcnt vmcnt(13) lgkmcnt(1)
	v_mul_f64 v[4:5], v[108:109], v[124:125]
	v_mul_f64 v[146:147], v[106:107], v[124:125]
	s_waitcnt vmcnt(12)
	v_fma_f64 v[4:5], v[106:107], v[126:127], -v[4:5]
	v_fmac_f64_e32 v[146:147], v[108:109], v[126:127]
	v_add_f64 v[2:3], v[2:3], v[4:5]
	s_waitcnt vmcnt(8) lgkmcnt(0)
	v_mul_f64 v[4:5], v[112:113], v[136:137]
	v_add_f64 v[144:145], v[144:145], v[146:147]
	v_mul_f64 v[146:147], v[110:111], v[136:137]
	s_waitcnt vmcnt(6)
	v_fma_f64 v[4:5], v[110:111], v[138:139], -v[4:5]
	v_fmac_f64_e32 v[146:147], v[112:113], v[138:139]
	v_add_f64 v[2:3], v[2:3], v[4:5]
	s_waitcnt vmcnt(5)
	v_mul_f64 v[4:5], v[116:117], v[132:133]
	v_add_f64 v[144:145], v[144:145], v[146:147]
	v_mul_f64 v[146:147], v[114:115], v[132:133]
	s_waitcnt vmcnt(4)
	v_fma_f64 v[4:5], v[114:115], v[134:135], -v[4:5]
	v_fmac_f64_e32 v[146:147], v[116:117], v[134:135]
	v_add_f64 v[2:3], v[2:3], v[4:5]
	v_add_f64 v[144:145], v[144:145], v[146:147]
	s_waitcnt vmcnt(2)
	v_add_f64 v[2:3], v[140:141], -v[2:3]
	s_waitcnt vmcnt(0)
	v_add_f64 v[4:5], v[142:143], -v[144:145]
	buffer_store_dword v3, off, s[0:3], 0 offset:420
	buffer_store_dword v2, off, s[0:3], 0 offset:416
	;; [unrolled: 1-line block ×4, first 2 shown]
	s_and_saveexec_b64 s[4:5], vcc
	s_cbranch_execz .LBB106_223
; %bb.222:
	v_accvgpr_read_b32 v0, a104
	buffer_load_dword v2, v0, s[0:3], 0 offen
	buffer_load_dword v3, v0, s[0:3], 0 offen offset:4
	buffer_load_dword v4, v0, s[0:3], 0 offen offset:8
	;; [unrolled: 1-line block ×3, first 2 shown]
	v_accvgpr_read_b32 v0, a129
	buffer_store_dword v52, off, s[0:3], 0 offset:400
	buffer_store_dword v52, off, s[0:3], 0 offset:404
	;; [unrolled: 1-line block ×4, first 2 shown]
	s_waitcnt vmcnt(4)
	ds_write_b128 v0, v[2:5]
.LBB106_223:
	s_or_b64 exec, exec, s[4:5]
	s_waitcnt lgkmcnt(0)
	; wave barrier
	s_waitcnt lgkmcnt(0)
	buffer_load_dword v2, off, s[0:3], 0 offset:416
	buffer_load_dword v3, off, s[0:3], 0 offset:420
	;; [unrolled: 1-line block ×72, first 2 shown]
	ds_read_b128 v[54:57], v52 offset:1088
	buffer_load_dword v148, off, s[0:3], 0 offset:400
	buffer_load_dword v149, off, s[0:3], 0 offset:404
	;; [unrolled: 1-line block ×4, first 2 shown]
	ds_read_b128 v[58:61], v52 offset:1104
	ds_read_b128 v[62:65], v52 offset:1120
	;; [unrolled: 1-line block ×3, first 2 shown]
	v_cmp_lt_u32_e32 vcc, 23, v255
	ds_read_b128 v[124:127], v52 offset:1360
	s_waitcnt vmcnt(62) lgkmcnt(4)
	v_mul_f64 v[70:71], v[54:55], v[8:9]
	v_fmac_f64_e32 v[70:71], v[56:57], v[2:3]
	v_add_f64 v[70:71], v[70:71], 0
	v_mul_f64 v[8:9], v[56:57], v[8:9]
	s_waitcnt lgkmcnt(3)
	v_mul_f64 v[72:73], v[58:59], v[10:11]
	v_fmac_f64_e32 v[72:73], v[60:61], v[4:5]
	v_add_f64 v[70:71], v[70:71], v[72:73]
	v_fma_f64 v[2:3], v[54:55], v[2:3], -v[8:9]
	s_waitcnt lgkmcnt(2)
	v_mul_f64 v[72:73], v[62:63], v[12:13]
	v_fmac_f64_e32 v[72:73], v[64:65], v[6:7]
	v_add_f64 v[74:75], v[70:71], v[72:73]
	ds_read_b128 v[70:73], v52 offset:1152
	s_waitcnt vmcnt(60) lgkmcnt(2)
	v_mul_f64 v[76:77], v[66:67], v[18:19]
	v_mul_f64 v[8:9], v[60:61], v[10:11]
	s_waitcnt vmcnt(58)
	v_fmac_f64_e32 v[76:77], v[68:69], v[20:21]
	v_add_f64 v[78:79], v[74:75], v[76:77]
	ds_read_b128 v[74:77], v52 offset:1168
	s_waitcnt vmcnt(57) lgkmcnt(1)
	v_mul_f64 v[80:81], v[70:71], v[14:15]
	s_waitcnt vmcnt(56)
	v_fmac_f64_e32 v[80:81], v[72:73], v[16:17]
	v_add_f64 v[82:83], v[78:79], v[80:81]
	ds_read_b128 v[78:81], v52 offset:1184
	s_waitcnt vmcnt(52) lgkmcnt(1)
	;; [unrolled: 6-line block ×4, first 2 shown]
	v_mul_f64 v[92:93], v[82:83], v[34:35]
	s_waitcnt vmcnt(42)
	v_fmac_f64_e32 v[92:93], v[84:85], v[36:37]
	v_add_f64 v[2:3], v[2:3], 0
	v_fma_f64 v[4:5], v[58:59], v[4:5], -v[8:9]
	v_add_f64 v[94:95], v[90:91], v[92:93]
	ds_read_b128 v[90:93], v52 offset:1232
	s_waitcnt vmcnt(41) lgkmcnt(1)
	v_mul_f64 v[96:97], v[86:87], v[30:31]
	v_add_f64 v[2:3], v[2:3], v[4:5]
	v_mul_f64 v[4:5], v[64:65], v[12:13]
	s_waitcnt vmcnt(40)
	v_fmac_f64_e32 v[96:97], v[88:89], v[32:33]
	v_fma_f64 v[4:5], v[62:63], v[6:7], -v[4:5]
	v_add_f64 v[98:99], v[94:95], v[96:97]
	ds_read_b128 v[94:97], v52 offset:1248
	v_add_f64 v[2:3], v[2:3], v[4:5]
	v_mul_f64 v[4:5], v[68:69], v[18:19]
	v_fma_f64 v[4:5], v[66:67], v[20:21], -v[4:5]
	v_add_f64 v[2:3], v[2:3], v[4:5]
	v_mul_f64 v[4:5], v[72:73], v[14:15]
	s_waitcnt vmcnt(36) lgkmcnt(1)
	v_mul_f64 v[100:101], v[90:91], v[42:43]
	v_fma_f64 v[4:5], v[70:71], v[16:17], -v[4:5]
	s_waitcnt vmcnt(34)
	v_fmac_f64_e32 v[100:101], v[92:93], v[44:45]
	v_add_f64 v[2:3], v[2:3], v[4:5]
	v_mul_f64 v[4:5], v[76:77], v[26:27]
	v_add_f64 v[102:103], v[98:99], v[100:101]
	ds_read_b128 v[98:101], v52 offset:1264
	s_waitcnt vmcnt(33) lgkmcnt(1)
	v_mul_f64 v[104:105], v[94:95], v[38:39]
	v_fma_f64 v[4:5], v[74:75], v[28:29], -v[4:5]
	s_waitcnt vmcnt(32)
	v_fmac_f64_e32 v[104:105], v[96:97], v[40:41]
	v_add_f64 v[2:3], v[2:3], v[4:5]
	v_mul_f64 v[4:5], v[80:81], v[22:23]
	v_add_f64 v[106:107], v[102:103], v[104:105]
	ds_read_b128 v[102:105], v52 offset:1280
	v_fma_f64 v[4:5], v[78:79], v[24:25], -v[4:5]
	v_add_f64 v[2:3], v[2:3], v[4:5]
	v_mul_f64 v[4:5], v[84:85], v[34:35]
	v_fma_f64 v[4:5], v[82:83], v[36:37], -v[4:5]
	s_waitcnt vmcnt(28) lgkmcnt(1)
	v_mul_f64 v[108:109], v[98:99], v[50:51]
	v_add_f64 v[2:3], v[2:3], v[4:5]
	v_mul_f64 v[4:5], v[88:89], v[30:31]
	s_waitcnt vmcnt(26)
	v_fmac_f64_e32 v[108:109], v[100:101], v[118:119]
	v_fma_f64 v[4:5], v[86:87], v[32:33], -v[4:5]
	v_add_f64 v[110:111], v[106:107], v[108:109]
	ds_read_b128 v[106:109], v52 offset:1296
	s_waitcnt vmcnt(25) lgkmcnt(1)
	v_mul_f64 v[112:113], v[102:103], v[46:47]
	v_add_f64 v[2:3], v[2:3], v[4:5]
	v_mul_f64 v[4:5], v[92:93], v[42:43]
	s_waitcnt vmcnt(24)
	v_fmac_f64_e32 v[112:113], v[104:105], v[48:49]
	v_fma_f64 v[4:5], v[90:91], v[44:45], -v[4:5]
	v_add_f64 v[114:115], v[110:111], v[112:113]
	ds_read_b128 v[110:113], v52 offset:1312
	v_add_f64 v[2:3], v[2:3], v[4:5]
	v_mul_f64 v[4:5], v[96:97], v[38:39]
	v_fma_f64 v[4:5], v[94:95], v[40:41], -v[4:5]
	v_add_f64 v[2:3], v[2:3], v[4:5]
	v_mul_f64 v[4:5], v[100:101], v[50:51]
	s_waitcnt vmcnt(20) lgkmcnt(1)
	v_mul_f64 v[116:117], v[106:107], v[132:133]
	v_fma_f64 v[4:5], v[98:99], v[118:119], -v[4:5]
	s_waitcnt vmcnt(18)
	v_fmac_f64_e32 v[116:117], v[108:109], v[134:135]
	v_add_f64 v[2:3], v[2:3], v[4:5]
	v_mul_f64 v[4:5], v[104:105], v[46:47]
	v_add_f64 v[120:121], v[114:115], v[116:117]
	ds_read_b128 v[114:117], v52 offset:1328
	s_waitcnt vmcnt(17) lgkmcnt(1)
	v_mul_f64 v[122:123], v[110:111], v[128:129]
	v_fma_f64 v[4:5], v[102:103], v[48:49], -v[4:5]
	s_waitcnt vmcnt(16)
	v_fmac_f64_e32 v[122:123], v[112:113], v[130:131]
	v_add_f64 v[2:3], v[2:3], v[4:5]
	v_mul_f64 v[4:5], v[108:109], v[132:133]
	v_add_f64 v[152:153], v[120:121], v[122:123]
	ds_read_b128 v[120:123], v52 offset:1344
	v_fma_f64 v[4:5], v[106:107], v[134:135], -v[4:5]
	v_add_f64 v[2:3], v[2:3], v[4:5]
	v_mul_f64 v[4:5], v[112:113], v[128:129]
	v_fma_f64 v[4:5], v[110:111], v[130:131], -v[4:5]
	v_add_f64 v[2:3], v[2:3], v[4:5]
	s_waitcnt vmcnt(12) lgkmcnt(1)
	v_mul_f64 v[4:5], v[116:117], v[140:141]
	v_mul_f64 v[154:155], v[114:115], v[140:141]
	s_waitcnt vmcnt(10)
	v_fma_f64 v[4:5], v[114:115], v[142:143], -v[4:5]
	v_fmac_f64_e32 v[154:155], v[116:117], v[142:143]
	v_add_f64 v[2:3], v[2:3], v[4:5]
	s_waitcnt vmcnt(9) lgkmcnt(0)
	v_mul_f64 v[4:5], v[122:123], v[136:137]
	v_add_f64 v[52:53], v[152:153], v[154:155]
	v_mul_f64 v[152:153], v[120:121], v[136:137]
	s_waitcnt vmcnt(8)
	v_fma_f64 v[4:5], v[120:121], v[138:139], -v[4:5]
	v_fmac_f64_e32 v[152:153], v[122:123], v[138:139]
	v_add_f64 v[2:3], v[2:3], v[4:5]
	s_waitcnt vmcnt(6)
	v_mul_f64 v[4:5], v[126:127], v[144:145]
	v_add_f64 v[52:53], v[52:53], v[152:153]
	v_mul_f64 v[152:153], v[124:125], v[144:145]
	s_waitcnt vmcnt(4)
	v_fma_f64 v[4:5], v[124:125], v[146:147], -v[4:5]
	v_fmac_f64_e32 v[152:153], v[126:127], v[146:147]
	v_add_f64 v[2:3], v[2:3], v[4:5]
	v_add_f64 v[52:53], v[52:53], v[152:153]
	s_waitcnt vmcnt(2)
	v_add_f64 v[2:3], v[148:149], -v[2:3]
	s_waitcnt vmcnt(0)
	v_add_f64 v[4:5], v[150:151], -v[52:53]
	buffer_store_dword v3, off, s[0:3], 0 offset:404
	buffer_store_dword v2, off, s[0:3], 0 offset:400
	;; [unrolled: 1-line block ×4, first 2 shown]
	s_and_saveexec_b64 s[4:5], vcc
	s_cbranch_execz .LBB106_225
; %bb.224:
	v_accvgpr_read_b32 v0, a105
	buffer_load_dword v2, v0, s[0:3], 0 offen
	buffer_load_dword v3, v0, s[0:3], 0 offen offset:4
	buffer_load_dword v4, v0, s[0:3], 0 offen offset:8
	;; [unrolled: 1-line block ×3, first 2 shown]
	v_mov_b32_e32 v0, 0
	v_accvgpr_read_b32 v1, a129
	buffer_store_dword v0, off, s[0:3], 0 offset:384
	buffer_store_dword v0, off, s[0:3], 0 offset:388
	;; [unrolled: 1-line block ×4, first 2 shown]
	s_waitcnt vmcnt(4)
	ds_write_b128 v1, v[2:5]
.LBB106_225:
	s_or_b64 exec, exec, s[4:5]
	s_waitcnt lgkmcnt(0)
	; wave barrier
	s_waitcnt lgkmcnt(0)
	buffer_load_dword v2, off, s[0:3], 0 offset:400
	buffer_load_dword v3, off, s[0:3], 0 offset:404
	;; [unrolled: 1-line block ×76, first 2 shown]
	v_mov_b32_e32 v54, 0
	ds_read_b128 v[56:59], v54 offset:1072
	buffer_load_dword v156, off, s[0:3], 0 offset:384
	buffer_load_dword v157, off, s[0:3], 0 offset:388
	;; [unrolled: 1-line block ×4, first 2 shown]
	ds_read_b128 v[60:63], v54 offset:1088
	ds_read_b128 v[64:67], v54 offset:1104
	;; [unrolled: 1-line block ×4, first 2 shown]
	v_cmp_lt_u32_e32 vcc, 22, v255
	s_waitcnt vmcnt(62) lgkmcnt(4)
	v_mul_f64 v[72:73], v[56:57], v[8:9]
	v_fmac_f64_e32 v[72:73], v[58:59], v[2:3]
	v_add_f64 v[72:73], v[72:73], 0
	v_mul_f64 v[8:9], v[58:59], v[8:9]
	s_waitcnt lgkmcnt(3)
	v_mul_f64 v[74:75], v[60:61], v[10:11]
	v_fmac_f64_e32 v[74:75], v[62:63], v[4:5]
	v_add_f64 v[72:73], v[72:73], v[74:75]
	v_fma_f64 v[2:3], v[56:57], v[2:3], -v[8:9]
	s_waitcnt lgkmcnt(2)
	v_mul_f64 v[74:75], v[64:65], v[12:13]
	v_fmac_f64_e32 v[74:75], v[66:67], v[6:7]
	v_add_f64 v[76:77], v[72:73], v[74:75]
	ds_read_b128 v[72:75], v54 offset:1136
	s_waitcnt lgkmcnt(2)
	v_mul_f64 v[78:79], v[68:69], v[18:19]
	v_mul_f64 v[8:9], v[62:63], v[10:11]
	v_fmac_f64_e32 v[78:79], v[70:71], v[20:21]
	v_add_f64 v[80:81], v[76:77], v[78:79]
	ds_read_b128 v[76:79], v54 offset:1152
	s_waitcnt vmcnt(61) lgkmcnt(1)
	v_mul_f64 v[82:83], v[72:73], v[14:15]
	s_waitcnt vmcnt(60)
	v_fmac_f64_e32 v[82:83], v[74:75], v[16:17]
	v_add_f64 v[84:85], v[80:81], v[82:83]
	ds_read_b128 v[80:83], v54 offset:1168
	s_waitcnt vmcnt(56) lgkmcnt(1)
	v_mul_f64 v[86:87], v[76:77], v[26:27]
	s_waitcnt vmcnt(54)
	;; [unrolled: 6-line block ×4, first 2 shown]
	v_fmac_f64_e32 v[94:95], v[86:87], v[36:37]
	v_add_f64 v[96:97], v[92:93], v[94:95]
	ds_read_b128 v[92:95], v54 offset:1216
	v_add_f64 v[2:3], v[2:3], 0
	v_fma_f64 v[4:5], v[60:61], v[4:5], -v[8:9]
	s_waitcnt vmcnt(45) lgkmcnt(1)
	v_mul_f64 v[98:99], v[88:89], v[30:31]
	v_add_f64 v[2:3], v[2:3], v[4:5]
	v_mul_f64 v[4:5], v[66:67], v[12:13]
	s_waitcnt vmcnt(44)
	v_fmac_f64_e32 v[98:99], v[90:91], v[32:33]
	v_fma_f64 v[4:5], v[64:65], v[6:7], -v[4:5]
	v_add_f64 v[100:101], v[96:97], v[98:99]
	ds_read_b128 v[96:99], v54 offset:1232
	s_waitcnt vmcnt(40) lgkmcnt(1)
	v_mul_f64 v[102:103], v[92:93], v[42:43]
	v_add_f64 v[2:3], v[2:3], v[4:5]
	v_mul_f64 v[4:5], v[70:71], v[18:19]
	s_waitcnt vmcnt(38)
	v_fmac_f64_e32 v[102:103], v[94:95], v[44:45]
	v_fma_f64 v[4:5], v[68:69], v[20:21], -v[4:5]
	v_add_f64 v[104:105], v[100:101], v[102:103]
	ds_read_b128 v[100:103], v54 offset:1248
	v_add_f64 v[2:3], v[2:3], v[4:5]
	v_mul_f64 v[4:5], v[74:75], v[14:15]
	v_fma_f64 v[4:5], v[72:73], v[16:17], -v[4:5]
	v_add_f64 v[2:3], v[2:3], v[4:5]
	v_mul_f64 v[4:5], v[78:79], v[26:27]
	s_waitcnt vmcnt(37) lgkmcnt(1)
	v_mul_f64 v[106:107], v[96:97], v[38:39]
	v_fma_f64 v[4:5], v[76:77], v[28:29], -v[4:5]
	s_waitcnt vmcnt(36)
	v_fmac_f64_e32 v[106:107], v[98:99], v[40:41]
	v_add_f64 v[2:3], v[2:3], v[4:5]
	v_mul_f64 v[4:5], v[82:83], v[22:23]
	v_add_f64 v[108:109], v[104:105], v[106:107]
	ds_read_b128 v[104:107], v54 offset:1264
	s_waitcnt vmcnt(32) lgkmcnt(1)
	v_mul_f64 v[110:111], v[100:101], v[50:51]
	v_fma_f64 v[4:5], v[80:81], v[24:25], -v[4:5]
	s_waitcnt vmcnt(30)
	v_fmac_f64_e32 v[110:111], v[102:103], v[52:53]
	v_add_f64 v[2:3], v[2:3], v[4:5]
	v_mul_f64 v[4:5], v[86:87], v[34:35]
	v_add_f64 v[112:113], v[108:109], v[110:111]
	ds_read_b128 v[108:111], v54 offset:1280
	v_fma_f64 v[4:5], v[84:85], v[36:37], -v[4:5]
	v_add_f64 v[2:3], v[2:3], v[4:5]
	v_mul_f64 v[4:5], v[90:91], v[30:31]
	v_fma_f64 v[4:5], v[88:89], v[32:33], -v[4:5]
	s_waitcnt vmcnt(29) lgkmcnt(1)
	v_mul_f64 v[114:115], v[104:105], v[46:47]
	v_add_f64 v[2:3], v[2:3], v[4:5]
	v_mul_f64 v[4:5], v[94:95], v[42:43]
	s_waitcnt vmcnt(28)
	v_fmac_f64_e32 v[114:115], v[106:107], v[48:49]
	v_fma_f64 v[4:5], v[92:93], v[44:45], -v[4:5]
	v_add_f64 v[120:121], v[112:113], v[114:115]
	ds_read_b128 v[112:115], v54 offset:1296
	s_waitcnt vmcnt(24) lgkmcnt(1)
	v_mul_f64 v[122:123], v[108:109], v[136:137]
	v_add_f64 v[2:3], v[2:3], v[4:5]
	v_mul_f64 v[4:5], v[98:99], v[38:39]
	s_waitcnt vmcnt(22)
	v_fmac_f64_e32 v[122:123], v[110:111], v[138:139]
	v_fma_f64 v[4:5], v[96:97], v[40:41], -v[4:5]
	v_add_f64 v[124:125], v[120:121], v[122:123]
	ds_read_b128 v[120:123], v54 offset:1312
	v_add_f64 v[2:3], v[2:3], v[4:5]
	v_mul_f64 v[4:5], v[102:103], v[50:51]
	v_fma_f64 v[4:5], v[100:101], v[52:53], -v[4:5]
	v_add_f64 v[2:3], v[2:3], v[4:5]
	v_mul_f64 v[4:5], v[106:107], v[46:47]
	s_waitcnt vmcnt(21) lgkmcnt(1)
	v_mul_f64 v[126:127], v[112:113], v[116:117]
	v_fma_f64 v[4:5], v[104:105], v[48:49], -v[4:5]
	s_waitcnt vmcnt(20)
	v_fmac_f64_e32 v[126:127], v[114:115], v[118:119]
	v_add_f64 v[2:3], v[2:3], v[4:5]
	v_mul_f64 v[4:5], v[110:111], v[136:137]
	v_add_f64 v[128:129], v[124:125], v[126:127]
	ds_read_b128 v[124:127], v54 offset:1328
	s_waitcnt vmcnt(16) lgkmcnt(1)
	v_mul_f64 v[130:131], v[120:121], v[144:145]
	v_fma_f64 v[4:5], v[108:109], v[138:139], -v[4:5]
	s_waitcnt vmcnt(14)
	v_fmac_f64_e32 v[130:131], v[122:123], v[146:147]
	v_add_f64 v[2:3], v[2:3], v[4:5]
	v_mul_f64 v[4:5], v[114:115], v[116:117]
	v_add_f64 v[160:161], v[128:129], v[130:131]
	ds_read_b128 v[128:131], v54 offset:1344
	v_fma_f64 v[4:5], v[112:113], v[118:119], -v[4:5]
	v_add_f64 v[2:3], v[2:3], v[4:5]
	v_mul_f64 v[4:5], v[122:123], v[144:145]
	v_fma_f64 v[4:5], v[120:121], v[146:147], -v[4:5]
	v_add_f64 v[2:3], v[2:3], v[4:5]
	s_waitcnt vmcnt(13) lgkmcnt(1)
	v_mul_f64 v[4:5], v[126:127], v[140:141]
	v_mul_f64 v[162:163], v[124:125], v[140:141]
	s_waitcnt vmcnt(12)
	v_fma_f64 v[4:5], v[124:125], v[142:143], -v[4:5]
	v_fmac_f64_e32 v[162:163], v[126:127], v[142:143]
	v_add_f64 v[2:3], v[2:3], v[4:5]
	s_waitcnt vmcnt(8) lgkmcnt(0)
	v_mul_f64 v[4:5], v[130:131], v[152:153]
	v_add_f64 v[160:161], v[160:161], v[162:163]
	v_mul_f64 v[162:163], v[128:129], v[152:153]
	s_waitcnt vmcnt(6)
	v_fma_f64 v[4:5], v[128:129], v[154:155], -v[4:5]
	v_fmac_f64_e32 v[162:163], v[130:131], v[154:155]
	v_add_f64 v[2:3], v[2:3], v[4:5]
	s_waitcnt vmcnt(5)
	v_mul_f64 v[4:5], v[134:135], v[148:149]
	v_add_f64 v[160:161], v[160:161], v[162:163]
	v_mul_f64 v[162:163], v[132:133], v[148:149]
	s_waitcnt vmcnt(4)
	v_fma_f64 v[4:5], v[132:133], v[150:151], -v[4:5]
	v_fmac_f64_e32 v[162:163], v[134:135], v[150:151]
	v_add_f64 v[2:3], v[2:3], v[4:5]
	v_add_f64 v[160:161], v[160:161], v[162:163]
	s_waitcnt vmcnt(2)
	v_add_f64 v[2:3], v[156:157], -v[2:3]
	s_waitcnt vmcnt(0)
	v_add_f64 v[4:5], v[158:159], -v[160:161]
	buffer_store_dword v3, off, s[0:3], 0 offset:388
	buffer_store_dword v2, off, s[0:3], 0 offset:384
	;; [unrolled: 1-line block ×4, first 2 shown]
	s_and_saveexec_b64 s[4:5], vcc
	s_cbranch_execz .LBB106_227
; %bb.226:
	v_accvgpr_read_b32 v0, a106
	buffer_load_dword v2, v0, s[0:3], 0 offen
	buffer_load_dword v3, v0, s[0:3], 0 offen offset:4
	buffer_load_dword v4, v0, s[0:3], 0 offen offset:8
	;; [unrolled: 1-line block ×3, first 2 shown]
	v_accvgpr_read_b32 v0, a129
	buffer_store_dword v54, off, s[0:3], 0 offset:368
	buffer_store_dword v54, off, s[0:3], 0 offset:372
	buffer_store_dword v54, off, s[0:3], 0 offset:376
	buffer_store_dword v54, off, s[0:3], 0 offset:380
	s_waitcnt vmcnt(4)
	ds_write_b128 v0, v[2:5]
.LBB106_227:
	s_or_b64 exec, exec, s[4:5]
	s_waitcnt lgkmcnt(0)
	; wave barrier
	s_waitcnt lgkmcnt(0)
	buffer_load_dword v2, off, s[0:3], 0 offset:384
	buffer_load_dword v3, off, s[0:3], 0 offset:388
	;; [unrolled: 1-line block ×76, first 2 shown]
	ds_read_b128 v[56:59], v54 offset:1056
	buffer_load_dword v161, off, s[0:3], 0 offset:700
	buffer_load_dword v160, off, s[0:3], 0 offset:696
	buffer_load_dword v163, off, s[0:3], 0 offset:692
	buffer_load_dword v162, off, s[0:3], 0 offset:688
	buffer_load_dword v164, off, s[0:3], 0 offset:368
	buffer_load_dword v165, off, s[0:3], 0 offset:372
	buffer_load_dword v166, off, s[0:3], 0 offset:376
	buffer_load_dword v167, off, s[0:3], 0 offset:380
	ds_read_b128 v[60:63], v54 offset:1072
	ds_read_b128 v[64:67], v54 offset:1088
	;; [unrolled: 1-line block ×3, first 2 shown]
	v_cmp_lt_u32_e32 vcc, 21, v255
	ds_read_b128 v[136:139], v54 offset:1360
	s_waitcnt vmcnt(62) lgkmcnt(4)
	v_mul_f64 v[72:73], v[56:57], v[8:9]
	v_fmac_f64_e32 v[72:73], v[58:59], v[2:3]
	v_add_f64 v[72:73], v[72:73], 0
	v_mul_f64 v[8:9], v[58:59], v[8:9]
	s_waitcnt lgkmcnt(3)
	v_mul_f64 v[74:75], v[60:61], v[10:11]
	v_fmac_f64_e32 v[74:75], v[62:63], v[4:5]
	v_add_f64 v[72:73], v[72:73], v[74:75]
	v_fma_f64 v[2:3], v[56:57], v[2:3], -v[8:9]
	s_waitcnt lgkmcnt(2)
	v_mul_f64 v[74:75], v[64:65], v[12:13]
	v_fmac_f64_e32 v[74:75], v[66:67], v[6:7]
	v_add_f64 v[76:77], v[72:73], v[74:75]
	ds_read_b128 v[72:75], v54 offset:1120
	v_mul_f64 v[8:9], v[62:63], v[10:11]
	v_add_f64 v[2:3], v[2:3], 0
	s_waitcnt lgkmcnt(2)
	v_mul_f64 v[78:79], v[68:69], v[18:19]
	v_fma_f64 v[4:5], v[60:61], v[4:5], -v[8:9]
	v_fmac_f64_e32 v[78:79], v[70:71], v[20:21]
	v_add_f64 v[80:81], v[76:77], v[78:79]
	ds_read_b128 v[76:79], v54 offset:1136
	s_waitcnt lgkmcnt(1)
	v_mul_f64 v[82:83], v[72:73], v[14:15]
	v_fmac_f64_e32 v[82:83], v[74:75], v[16:17]
	v_add_f64 v[84:85], v[80:81], v[82:83]
	ds_read_b128 v[80:83], v54 offset:1152
	s_waitcnt vmcnt(58) lgkmcnt(1)
	v_mul_f64 v[86:87], v[76:77], v[26:27]
	s_waitcnt vmcnt(56)
	v_fmac_f64_e32 v[86:87], v[78:79], v[28:29]
	v_add_f64 v[88:89], v[84:85], v[86:87]
	ds_read_b128 v[84:87], v54 offset:1168
	s_waitcnt lgkmcnt(1)
	v_mul_f64 v[90:91], v[80:81], v[22:23]
	v_fmac_f64_e32 v[90:91], v[82:83], v[24:25]
	v_add_f64 v[92:93], v[88:89], v[90:91]
	ds_read_b128 v[88:91], v54 offset:1184
	s_waitcnt vmcnt(50) lgkmcnt(1)
	v_mul_f64 v[94:95], v[84:85], v[34:35]
	s_waitcnt vmcnt(48)
	v_fmac_f64_e32 v[94:95], v[86:87], v[36:37]
	v_add_f64 v[96:97], v[92:93], v[94:95]
	ds_read_b128 v[92:95], v54 offset:1200
	s_waitcnt lgkmcnt(1)
	v_mul_f64 v[98:99], v[88:89], v[30:31]
	v_fmac_f64_e32 v[98:99], v[90:91], v[32:33]
	v_add_f64 v[100:101], v[96:97], v[98:99]
	ds_read_b128 v[96:99], v54 offset:1216
	v_add_f64 v[2:3], v[2:3], v[4:5]
	v_mul_f64 v[4:5], v[66:67], v[12:13]
	v_fma_f64 v[4:5], v[64:65], v[6:7], -v[4:5]
	s_waitcnt vmcnt(42) lgkmcnt(1)
	v_mul_f64 v[102:103], v[92:93], v[42:43]
	v_add_f64 v[2:3], v[2:3], v[4:5]
	v_mul_f64 v[4:5], v[70:71], v[18:19]
	s_waitcnt vmcnt(40)
	v_fmac_f64_e32 v[102:103], v[94:95], v[44:45]
	v_fma_f64 v[4:5], v[68:69], v[20:21], -v[4:5]
	v_add_f64 v[104:105], v[100:101], v[102:103]
	ds_read_b128 v[100:103], v54 offset:1232
	s_waitcnt lgkmcnt(1)
	v_mul_f64 v[106:107], v[96:97], v[38:39]
	v_add_f64 v[2:3], v[2:3], v[4:5]
	v_mul_f64 v[4:5], v[74:75], v[14:15]
	v_fmac_f64_e32 v[106:107], v[98:99], v[40:41]
	v_fma_f64 v[4:5], v[72:73], v[16:17], -v[4:5]
	v_add_f64 v[108:109], v[104:105], v[106:107]
	ds_read_b128 v[104:107], v54 offset:1248
	v_add_f64 v[2:3], v[2:3], v[4:5]
	v_mul_f64 v[4:5], v[78:79], v[26:27]
	v_fma_f64 v[4:5], v[76:77], v[28:29], -v[4:5]
	v_add_f64 v[2:3], v[2:3], v[4:5]
	v_mul_f64 v[4:5], v[82:83], v[22:23]
	s_waitcnt vmcnt(34) lgkmcnt(1)
	v_mul_f64 v[110:111], v[100:101], v[50:51]
	v_fma_f64 v[4:5], v[80:81], v[24:25], -v[4:5]
	s_waitcnt vmcnt(32)
	v_fmac_f64_e32 v[110:111], v[102:103], v[52:53]
	v_add_f64 v[2:3], v[2:3], v[4:5]
	v_mul_f64 v[4:5], v[86:87], v[34:35]
	v_add_f64 v[112:113], v[108:109], v[110:111]
	ds_read_b128 v[108:111], v54 offset:1264
	s_waitcnt lgkmcnt(1)
	v_mul_f64 v[114:115], v[104:105], v[46:47]
	v_fma_f64 v[4:5], v[84:85], v[36:37], -v[4:5]
	v_fmac_f64_e32 v[114:115], v[106:107], v[48:49]
	v_add_f64 v[2:3], v[2:3], v[4:5]
	v_mul_f64 v[4:5], v[90:91], v[30:31]
	v_add_f64 v[120:121], v[112:113], v[114:115]
	ds_read_b128 v[112:115], v54 offset:1280
	v_fma_f64 v[4:5], v[88:89], v[32:33], -v[4:5]
	v_add_f64 v[2:3], v[2:3], v[4:5]
	v_mul_f64 v[4:5], v[94:95], v[42:43]
	v_fma_f64 v[4:5], v[92:93], v[44:45], -v[4:5]
	s_waitcnt vmcnt(26) lgkmcnt(1)
	v_mul_f64 v[122:123], v[108:109], v[140:141]
	v_add_f64 v[2:3], v[2:3], v[4:5]
	v_mul_f64 v[4:5], v[98:99], v[38:39]
	s_waitcnt vmcnt(24)
	v_fmac_f64_e32 v[122:123], v[110:111], v[142:143]
	v_fma_f64 v[4:5], v[96:97], v[40:41], -v[4:5]
	v_add_f64 v[124:125], v[120:121], v[122:123]
	ds_read_b128 v[120:123], v54 offset:1296
	s_waitcnt lgkmcnt(1)
	v_mul_f64 v[126:127], v[112:113], v[116:117]
	v_add_f64 v[2:3], v[2:3], v[4:5]
	v_mul_f64 v[4:5], v[102:103], v[50:51]
	v_fmac_f64_e32 v[126:127], v[114:115], v[118:119]
	v_fma_f64 v[4:5], v[100:101], v[52:53], -v[4:5]
	v_add_f64 v[128:129], v[124:125], v[126:127]
	ds_read_b128 v[124:127], v54 offset:1312
	v_add_f64 v[2:3], v[2:3], v[4:5]
	v_mul_f64 v[4:5], v[106:107], v[46:47]
	v_fma_f64 v[4:5], v[104:105], v[48:49], -v[4:5]
	v_add_f64 v[2:3], v[2:3], v[4:5]
	v_mul_f64 v[4:5], v[110:111], v[140:141]
	s_waitcnt vmcnt(18) lgkmcnt(1)
	v_mul_f64 v[130:131], v[120:121], v[148:149]
	v_fma_f64 v[4:5], v[108:109], v[142:143], -v[4:5]
	s_waitcnt vmcnt(16)
	v_fmac_f64_e32 v[130:131], v[122:123], v[150:151]
	v_add_f64 v[2:3], v[2:3], v[4:5]
	v_mul_f64 v[4:5], v[114:115], v[116:117]
	v_add_f64 v[132:133], v[128:129], v[130:131]
	ds_read_b128 v[128:131], v54 offset:1328
	s_waitcnt lgkmcnt(1)
	v_mul_f64 v[134:135], v[124:125], v[144:145]
	v_fma_f64 v[4:5], v[112:113], v[118:119], -v[4:5]
	v_fmac_f64_e32 v[134:135], v[126:127], v[146:147]
	v_add_f64 v[2:3], v[2:3], v[4:5]
	v_mul_f64 v[4:5], v[122:123], v[148:149]
	v_add_f64 v[168:169], v[132:133], v[134:135]
	ds_read_b128 v[132:135], v54 offset:1344
	v_fma_f64 v[4:5], v[120:121], v[150:151], -v[4:5]
	v_add_f64 v[2:3], v[2:3], v[4:5]
	v_mul_f64 v[4:5], v[126:127], v[144:145]
	v_fma_f64 v[4:5], v[124:125], v[146:147], -v[4:5]
	v_add_f64 v[2:3], v[2:3], v[4:5]
	s_waitcnt vmcnt(10) lgkmcnt(1)
	v_mul_f64 v[4:5], v[130:131], v[156:157]
	v_mul_f64 v[170:171], v[128:129], v[156:157]
	s_waitcnt vmcnt(8)
	v_fma_f64 v[4:5], v[128:129], v[158:159], -v[4:5]
	v_fmac_f64_e32 v[170:171], v[130:131], v[158:159]
	v_add_f64 v[2:3], v[2:3], v[4:5]
	s_waitcnt lgkmcnt(0)
	v_mul_f64 v[4:5], v[134:135], v[152:153]
	v_add_f64 v[54:55], v[168:169], v[170:171]
	v_mul_f64 v[168:169], v[132:133], v[152:153]
	v_fma_f64 v[4:5], v[132:133], v[154:155], -v[4:5]
	v_fmac_f64_e32 v[168:169], v[134:135], v[154:155]
	v_add_f64 v[2:3], v[2:3], v[4:5]
	s_waitcnt vmcnt(6)
	v_mul_f64 v[4:5], v[138:139], v[160:161]
	v_add_f64 v[54:55], v[54:55], v[168:169]
	v_mul_f64 v[168:169], v[136:137], v[160:161]
	s_waitcnt vmcnt(4)
	v_fma_f64 v[4:5], v[136:137], v[162:163], -v[4:5]
	v_fmac_f64_e32 v[168:169], v[138:139], v[162:163]
	v_add_f64 v[2:3], v[2:3], v[4:5]
	v_add_f64 v[54:55], v[54:55], v[168:169]
	s_waitcnt vmcnt(2)
	v_add_f64 v[2:3], v[164:165], -v[2:3]
	s_waitcnt vmcnt(0)
	v_add_f64 v[4:5], v[166:167], -v[54:55]
	buffer_store_dword v3, off, s[0:3], 0 offset:372
	buffer_store_dword v2, off, s[0:3], 0 offset:368
	;; [unrolled: 1-line block ×4, first 2 shown]
	s_and_saveexec_b64 s[4:5], vcc
	s_cbranch_execz .LBB106_229
; %bb.228:
	v_accvgpr_read_b32 v0, a107
	buffer_load_dword v2, v0, s[0:3], 0 offen
	buffer_load_dword v3, v0, s[0:3], 0 offen offset:4
	buffer_load_dword v4, v0, s[0:3], 0 offen offset:8
	;; [unrolled: 1-line block ×3, first 2 shown]
	v_mov_b32_e32 v0, 0
	v_accvgpr_read_b32 v1, a129
	buffer_store_dword v0, off, s[0:3], 0 offset:352
	buffer_store_dword v0, off, s[0:3], 0 offset:356
	;; [unrolled: 1-line block ×4, first 2 shown]
	s_waitcnt vmcnt(4)
	ds_write_b128 v1, v[2:5]
.LBB106_229:
	s_or_b64 exec, exec, s[4:5]
	s_waitcnt lgkmcnt(0)
	; wave barrier
	s_waitcnt lgkmcnt(0)
	buffer_load_dword v4, off, s[0:3], 0 offset:352
	buffer_load_dword v5, off, s[0:3], 0 offset:356
	;; [unrolled: 1-line block ×84, first 2 shown]
	v_mov_b32_e32 v86, 0
	ds_read_b128 v[66:69], v86 offset:1040
	buffer_load_dword v173, off, s[0:3], 0 offset:700
	buffer_load_dword v172, off, s[0:3], 0 offset:696
	;; [unrolled: 1-line block ×4, first 2 shown]
	ds_read_b128 v[70:73], v86 offset:1056
	ds_read_b128 v[74:77], v86 offset:1072
	;; [unrolled: 1-line block ×4, first 2 shown]
	v_cmp_lt_u32_e32 vcc, 20, v255
	s_waitcnt vmcnt(62) lgkmcnt(4)
	v_mul_f64 v[82:83], v[66:67], v[12:13]
	v_fmac_f64_e32 v[82:83], v[68:69], v[6:7]
	s_waitcnt lgkmcnt(3)
	v_mul_f64 v[84:85], v[70:71], v[14:15]
	v_add_f64 v[82:83], v[82:83], 0
	v_fmac_f64_e32 v[84:85], v[72:73], v[8:9]
	v_add_f64 v[82:83], v[82:83], v[84:85]
	s_waitcnt lgkmcnt(2)
	v_mul_f64 v[84:85], v[74:75], v[16:17]
	v_fmac_f64_e32 v[84:85], v[76:77], v[10:11]
	v_add_f64 v[88:89], v[82:83], v[84:85]
	ds_read_b128 v[82:85], v86 offset:1104
	v_mul_f64 v[12:13], v[68:69], v[12:13]
	s_waitcnt lgkmcnt(2)
	v_mul_f64 v[90:91], v[78:79], v[22:23]
	v_fma_f64 v[6:7], v[66:67], v[6:7], -v[12:13]
	v_fmac_f64_e32 v[90:91], v[80:81], v[24:25]
	v_add_f64 v[92:93], v[88:89], v[90:91]
	ds_read_b128 v[88:91], v86 offset:1120
	s_waitcnt lgkmcnt(1)
	v_mul_f64 v[94:95], v[82:83], v[18:19]
	v_fmac_f64_e32 v[94:95], v[84:85], v[20:21]
	v_add_f64 v[96:97], v[92:93], v[94:95]
	ds_read_b128 v[92:95], v86 offset:1136
	s_waitcnt vmcnt(58) lgkmcnt(1)
	v_mul_f64 v[98:99], v[88:89], v[30:31]
	s_waitcnt vmcnt(56)
	v_fmac_f64_e32 v[98:99], v[90:91], v[32:33]
	v_add_f64 v[100:101], v[96:97], v[98:99]
	ds_read_b128 v[96:99], v86 offset:1152
	s_waitcnt lgkmcnt(1)
	v_mul_f64 v[102:103], v[92:93], v[26:27]
	v_fmac_f64_e32 v[102:103], v[94:95], v[28:29]
	v_add_f64 v[104:105], v[100:101], v[102:103]
	ds_read_b128 v[100:103], v86 offset:1168
	s_waitcnt vmcnt(50) lgkmcnt(1)
	v_mul_f64 v[106:107], v[96:97], v[38:39]
	s_waitcnt vmcnt(48)
	v_fmac_f64_e32 v[106:107], v[98:99], v[40:41]
	v_add_f64 v[108:109], v[104:105], v[106:107]
	ds_read_b128 v[104:107], v86 offset:1184
	s_waitcnt lgkmcnt(1)
	v_mul_f64 v[110:111], v[100:101], v[34:35]
	v_fmac_f64_e32 v[110:111], v[102:103], v[36:37]
	v_mul_f64 v[12:13], v[72:73], v[14:15]
	v_add_f64 v[112:113], v[108:109], v[110:111]
	ds_read_b128 v[108:111], v86 offset:1200
	s_waitcnt vmcnt(42) lgkmcnt(1)
	v_mul_f64 v[114:115], v[104:105], v[46:47]
	v_add_f64 v[6:7], v[6:7], 0
	v_fma_f64 v[8:9], v[70:71], v[8:9], -v[12:13]
	s_waitcnt vmcnt(40)
	v_fmac_f64_e32 v[114:115], v[106:107], v[48:49]
	v_add_f64 v[6:7], v[6:7], v[8:9]
	v_mul_f64 v[8:9], v[76:77], v[16:17]
	v_add_f64 v[120:121], v[112:113], v[114:115]
	ds_read_b128 v[112:115], v86 offset:1216
	v_fma_f64 v[8:9], v[74:75], v[10:11], -v[8:9]
	v_add_f64 v[6:7], v[6:7], v[8:9]
	v_mul_f64 v[8:9], v[80:81], v[22:23]
	v_fma_f64 v[8:9], v[78:79], v[24:25], -v[8:9]
	s_waitcnt lgkmcnt(1)
	v_mul_f64 v[122:123], v[108:109], v[42:43]
	v_add_f64 v[6:7], v[6:7], v[8:9]
	v_mul_f64 v[8:9], v[84:85], v[18:19]
	v_fmac_f64_e32 v[122:123], v[110:111], v[44:45]
	v_fma_f64 v[8:9], v[82:83], v[20:21], -v[8:9]
	v_add_f64 v[124:125], v[120:121], v[122:123]
	ds_read_b128 v[120:123], v86 offset:1232
	s_waitcnt vmcnt(34) lgkmcnt(1)
	v_mul_f64 v[126:127], v[112:113], v[54:55]
	v_add_f64 v[6:7], v[6:7], v[8:9]
	v_mul_f64 v[8:9], v[90:91], v[30:31]
	s_waitcnt vmcnt(32)
	v_fmac_f64_e32 v[126:127], v[114:115], v[56:57]
	v_fma_f64 v[8:9], v[88:89], v[32:33], -v[8:9]
	v_add_f64 v[128:129], v[124:125], v[126:127]
	ds_read_b128 v[124:127], v86 offset:1248
	v_add_f64 v[6:7], v[6:7], v[8:9]
	v_mul_f64 v[8:9], v[94:95], v[26:27]
	v_fma_f64 v[8:9], v[92:93], v[28:29], -v[8:9]
	v_add_f64 v[6:7], v[6:7], v[8:9]
	v_mul_f64 v[8:9], v[98:99], v[38:39]
	s_waitcnt lgkmcnt(1)
	v_mul_f64 v[130:131], v[120:121], v[50:51]
	v_fma_f64 v[8:9], v[96:97], v[40:41], -v[8:9]
	v_fmac_f64_e32 v[130:131], v[122:123], v[52:53]
	v_add_f64 v[6:7], v[6:7], v[8:9]
	v_mul_f64 v[8:9], v[102:103], v[34:35]
	v_add_f64 v[132:133], v[128:129], v[130:131]
	ds_read_b128 v[128:131], v86 offset:1264
	s_waitcnt vmcnt(26) lgkmcnt(1)
	v_mul_f64 v[134:135], v[124:125], v[62:63]
	v_fma_f64 v[8:9], v[100:101], v[36:37], -v[8:9]
	s_waitcnt vmcnt(24)
	v_fmac_f64_e32 v[134:135], v[126:127], v[64:65]
	v_add_f64 v[6:7], v[6:7], v[8:9]
	v_mul_f64 v[8:9], v[106:107], v[46:47]
	v_add_f64 v[136:137], v[132:133], v[134:135]
	ds_read_b128 v[132:135], v86 offset:1280
	v_fma_f64 v[8:9], v[104:105], v[48:49], -v[8:9]
	v_add_f64 v[6:7], v[6:7], v[8:9]
	v_mul_f64 v[8:9], v[110:111], v[42:43]
	v_fma_f64 v[8:9], v[108:109], v[44:45], -v[8:9]
	s_waitcnt lgkmcnt(1)
	v_mul_f64 v[138:139], v[128:129], v[58:59]
	v_add_f64 v[6:7], v[6:7], v[8:9]
	v_mul_f64 v[8:9], v[114:115], v[54:55]
	v_fmac_f64_e32 v[138:139], v[130:131], v[60:61]
	v_fma_f64 v[8:9], v[112:113], v[56:57], -v[8:9]
	v_add_f64 v[140:141], v[136:137], v[138:139]
	ds_read_b128 v[136:139], v86 offset:1296
	s_waitcnt vmcnt(18) lgkmcnt(1)
	v_mul_f64 v[142:143], v[132:133], v[156:157]
	v_add_f64 v[6:7], v[6:7], v[8:9]
	v_mul_f64 v[8:9], v[122:123], v[50:51]
	s_waitcnt vmcnt(16)
	v_fmac_f64_e32 v[142:143], v[134:135], v[158:159]
	v_fma_f64 v[8:9], v[120:121], v[52:53], -v[8:9]
	v_add_f64 v[144:145], v[140:141], v[142:143]
	ds_read_b128 v[140:143], v86 offset:1312
	v_add_f64 v[6:7], v[6:7], v[8:9]
	v_mul_f64 v[8:9], v[126:127], v[62:63]
	v_fma_f64 v[8:9], v[124:125], v[64:65], -v[8:9]
	v_add_f64 v[6:7], v[6:7], v[8:9]
	v_mul_f64 v[8:9], v[130:131], v[58:59]
	s_waitcnt lgkmcnt(1)
	v_mul_f64 v[146:147], v[136:137], v[116:117]
	v_fma_f64 v[8:9], v[128:129], v[60:61], -v[8:9]
	v_fmac_f64_e32 v[146:147], v[138:139], v[118:119]
	v_add_f64 v[6:7], v[6:7], v[8:9]
	v_mul_f64 v[8:9], v[134:135], v[156:157]
	v_add_f64 v[148:149], v[144:145], v[146:147]
	ds_read_b128 v[144:147], v86 offset:1328
	s_waitcnt vmcnt(10) lgkmcnt(1)
	v_mul_f64 v[150:151], v[140:141], v[164:165]
	v_fma_f64 v[8:9], v[132:133], v[158:159], -v[8:9]
	s_waitcnt vmcnt(8)
	v_fmac_f64_e32 v[150:151], v[142:143], v[166:167]
	v_add_f64 v[6:7], v[6:7], v[8:9]
	v_mul_f64 v[8:9], v[138:139], v[116:117]
	v_add_f64 v[176:177], v[148:149], v[150:151]
	ds_read_b128 v[148:151], v86 offset:1344
	v_fma_f64 v[8:9], v[136:137], v[118:119], -v[8:9]
	v_add_f64 v[6:7], v[6:7], v[8:9]
	v_mul_f64 v[8:9], v[142:143], v[164:165]
	v_fma_f64 v[8:9], v[140:141], v[166:167], -v[8:9]
	v_add_f64 v[6:7], v[6:7], v[8:9]
	s_waitcnt lgkmcnt(1)
	v_mul_f64 v[8:9], v[146:147], v[160:161]
	v_mul_f64 v[178:179], v[144:145], v[160:161]
	v_fma_f64 v[8:9], v[144:145], v[162:163], -v[8:9]
	v_fmac_f64_e32 v[178:179], v[146:147], v[162:163]
	v_add_f64 v[6:7], v[6:7], v[8:9]
	s_waitcnt vmcnt(6) lgkmcnt(0)
	v_mul_f64 v[8:9], v[150:151], v[168:169]
	v_add_f64 v[176:177], v[176:177], v[178:179]
	v_mul_f64 v[178:179], v[148:149], v[168:169]
	s_waitcnt vmcnt(4)
	v_fma_f64 v[8:9], v[148:149], v[170:171], -v[8:9]
	v_fmac_f64_e32 v[178:179], v[150:151], v[170:171]
	v_add_f64 v[6:7], v[6:7], v[8:9]
	s_waitcnt vmcnt(2)
	v_mul_f64 v[8:9], v[154:155], v[172:173]
	v_add_f64 v[176:177], v[176:177], v[178:179]
	v_mul_f64 v[178:179], v[152:153], v[172:173]
	s_waitcnt vmcnt(0)
	v_fma_f64 v[8:9], v[152:153], v[174:175], -v[8:9]
	v_fmac_f64_e32 v[178:179], v[154:155], v[174:175]
	v_add_f64 v[6:7], v[6:7], v[8:9]
	v_add_f64 v[176:177], v[176:177], v[178:179]
	v_add_f64 v[4:5], v[4:5], -v[6:7]
	v_add_f64 v[2:3], v[2:3], -v[176:177]
	buffer_store_dword v5, off, s[0:3], 0 offset:356
	buffer_store_dword v4, off, s[0:3], 0 offset:352
	;; [unrolled: 1-line block ×4, first 2 shown]
	s_and_saveexec_b64 s[4:5], vcc
	s_cbranch_execz .LBB106_231
; %bb.230:
	v_accvgpr_read_b32 v0, a108
	buffer_load_dword v2, v0, s[0:3], 0 offen
	buffer_load_dword v3, v0, s[0:3], 0 offen offset:4
	buffer_load_dword v4, v0, s[0:3], 0 offen offset:8
	;; [unrolled: 1-line block ×3, first 2 shown]
	v_accvgpr_read_b32 v0, a129
	buffer_store_dword v86, off, s[0:3], 0 offset:336
	buffer_store_dword v86, off, s[0:3], 0 offset:340
	;; [unrolled: 1-line block ×4, first 2 shown]
	s_waitcnt vmcnt(4)
	ds_write_b128 v0, v[2:5]
.LBB106_231:
	s_or_b64 exec, exec, s[4:5]
	s_waitcnt lgkmcnt(0)
	; wave barrier
	s_waitcnt lgkmcnt(0)
	ds_read_b128 v[14:17], v86 offset:1024
	ds_read_b128 v[10:13], v86 offset:1040
	ds_read_b128 v[6:9], v86 offset:1056
	ds_read_b128 v[2:5], v86 offset:1072
	buffer_load_dword v20, off, s[0:3], 0 offset:336
	buffer_load_dword v21, off, s[0:3], 0 offset:340
	;; [unrolled: 1-line block ×92, first 2 shown]
	s_waitcnt vmcnt(62) lgkmcnt(3)
	v_mul_f64 v[88:89], v[14:15], v[28:29]
	v_fmac_f64_e32 v[88:89], v[16:17], v[22:23]
	s_waitcnt lgkmcnt(2)
	v_mul_f64 v[90:91], v[10:11], v[30:31]
	v_add_f64 v[88:89], v[88:89], 0
	v_fmac_f64_e32 v[90:91], v[12:13], v[24:25]
	v_add_f64 v[88:89], v[88:89], v[90:91]
	s_waitcnt lgkmcnt(1)
	v_mul_f64 v[90:91], v[6:7], v[32:33]
	v_fmac_f64_e32 v[90:91], v[8:9], v[26:27]
	v_add_f64 v[92:93], v[88:89], v[90:91]
	ds_read_b128 v[88:91], v86 offset:1088
	v_mul_f64 v[16:17], v[16:17], v[28:29]
	v_fma_f64 v[14:15], v[14:15], v[22:23], -v[16:17]
	s_waitcnt lgkmcnt(1)
	v_mul_f64 v[94:95], v[2:3], v[38:39]
	v_mul_f64 v[12:13], v[12:13], v[30:31]
	v_fmac_f64_e32 v[94:95], v[4:5], v[40:41]
	v_add_f64 v[96:97], v[92:93], v[94:95]
	ds_read_b128 v[92:95], v86 offset:1104
	s_waitcnt lgkmcnt(1)
	v_mul_f64 v[98:99], v[88:89], v[34:35]
	v_fmac_f64_e32 v[98:99], v[90:91], v[36:37]
	v_add_f64 v[100:101], v[96:97], v[98:99]
	ds_read_b128 v[96:99], v86 offset:1120
	s_waitcnt lgkmcnt(1)
	v_mul_f64 v[102:103], v[92:93], v[46:47]
	s_waitcnt vmcnt(60)
	v_fmac_f64_e32 v[102:103], v[94:95], v[48:49]
	v_add_f64 v[104:105], v[100:101], v[102:103]
	ds_read_b128 v[100:103], v86 offset:1136
	s_waitcnt lgkmcnt(1)
	v_mul_f64 v[106:107], v[96:97], v[42:43]
	v_fmac_f64_e32 v[106:107], v[98:99], v[44:45]
	v_add_f64 v[108:109], v[104:105], v[106:107]
	ds_read_b128 v[104:107], v86 offset:1152
	s_waitcnt vmcnt(54) lgkmcnt(1)
	v_mul_f64 v[110:111], v[100:101], v[54:55]
	s_waitcnt vmcnt(52)
	v_fmac_f64_e32 v[110:111], v[102:103], v[56:57]
	v_add_f64 v[112:113], v[108:109], v[110:111]
	ds_read_b128 v[108:111], v86 offset:1168
	s_waitcnt lgkmcnt(1)
	v_mul_f64 v[114:115], v[104:105], v[50:51]
	v_fmac_f64_e32 v[114:115], v[106:107], v[52:53]
	v_add_f64 v[120:121], v[112:113], v[114:115]
	ds_read_b128 v[112:115], v86 offset:1184
	s_waitcnt vmcnt(46) lgkmcnt(1)
	v_mul_f64 v[122:123], v[108:109], v[62:63]
	s_waitcnt vmcnt(44)
	v_fmac_f64_e32 v[122:123], v[110:111], v[64:65]
	v_add_f64 v[124:125], v[120:121], v[122:123]
	ds_read_b128 v[120:123], v86 offset:1200
	s_waitcnt lgkmcnt(1)
	v_mul_f64 v[126:127], v[112:113], v[58:59]
	v_fmac_f64_e32 v[126:127], v[114:115], v[60:61]
	v_add_f64 v[14:15], v[14:15], 0
	v_fma_f64 v[10:11], v[10:11], v[24:25], -v[12:13]
	v_mul_f64 v[8:9], v[8:9], v[32:33]
	v_add_f64 v[128:129], v[124:125], v[126:127]
	ds_read_b128 v[124:127], v86 offset:1216
	v_add_f64 v[10:11], v[14:15], v[10:11]
	v_fma_f64 v[6:7], v[6:7], v[26:27], -v[8:9]
	v_mul_f64 v[4:5], v[4:5], v[38:39]
	v_add_f64 v[6:7], v[10:11], v[6:7]
	v_fma_f64 v[2:3], v[2:3], v[40:41], -v[4:5]
	v_mul_f64 v[4:5], v[90:91], v[34:35]
	v_add_f64 v[2:3], v[6:7], v[2:3]
	v_fma_f64 v[4:5], v[88:89], v[36:37], -v[4:5]
	s_waitcnt vmcnt(38) lgkmcnt(1)
	v_mul_f64 v[130:131], v[120:121], v[70:71]
	v_add_f64 v[2:3], v[2:3], v[4:5]
	v_mul_f64 v[4:5], v[94:95], v[46:47]
	s_waitcnt vmcnt(36)
	v_fmac_f64_e32 v[130:131], v[122:123], v[72:73]
	v_fma_f64 v[4:5], v[92:93], v[48:49], -v[4:5]
	v_add_f64 v[132:133], v[128:129], v[130:131]
	ds_read_b128 v[128:131], v86 offset:1232
	s_waitcnt lgkmcnt(1)
	v_mul_f64 v[134:135], v[124:125], v[66:67]
	v_add_f64 v[2:3], v[2:3], v[4:5]
	v_mul_f64 v[4:5], v[98:99], v[42:43]
	v_fmac_f64_e32 v[134:135], v[126:127], v[68:69]
	v_fma_f64 v[4:5], v[96:97], v[44:45], -v[4:5]
	v_add_f64 v[136:137], v[132:133], v[134:135]
	ds_read_b128 v[132:135], v86 offset:1248
	v_add_f64 v[2:3], v[2:3], v[4:5]
	v_mul_f64 v[4:5], v[102:103], v[54:55]
	v_fma_f64 v[4:5], v[100:101], v[56:57], -v[4:5]
	v_add_f64 v[2:3], v[2:3], v[4:5]
	v_mul_f64 v[4:5], v[106:107], v[50:51]
	s_waitcnt vmcnt(30) lgkmcnt(1)
	v_mul_f64 v[138:139], v[128:129], v[78:79]
	v_fma_f64 v[4:5], v[104:105], v[52:53], -v[4:5]
	s_waitcnt vmcnt(28)
	v_fmac_f64_e32 v[138:139], v[130:131], v[80:81]
	v_add_f64 v[2:3], v[2:3], v[4:5]
	v_mul_f64 v[4:5], v[110:111], v[62:63]
	v_add_f64 v[140:141], v[136:137], v[138:139]
	ds_read_b128 v[136:139], v86 offset:1264
	s_waitcnt lgkmcnt(1)
	v_mul_f64 v[142:143], v[132:133], v[74:75]
	v_fma_f64 v[4:5], v[108:109], v[64:65], -v[4:5]
	v_fmac_f64_e32 v[142:143], v[134:135], v[76:77]
	v_add_f64 v[2:3], v[2:3], v[4:5]
	v_mul_f64 v[4:5], v[114:115], v[58:59]
	v_add_f64 v[144:145], v[140:141], v[142:143]
	ds_read_b128 v[140:143], v86 offset:1280
	v_fma_f64 v[4:5], v[112:113], v[60:61], -v[4:5]
	v_add_f64 v[2:3], v[2:3], v[4:5]
	v_mul_f64 v[4:5], v[122:123], v[70:71]
	v_fma_f64 v[4:5], v[120:121], v[72:73], -v[4:5]
	s_waitcnt vmcnt(22) lgkmcnt(1)
	v_mul_f64 v[146:147], v[136:137], v[116:117]
	v_add_f64 v[2:3], v[2:3], v[4:5]
	v_mul_f64 v[4:5], v[126:127], v[66:67]
	s_waitcnt vmcnt(20)
	v_fmac_f64_e32 v[146:147], v[138:139], v[118:119]
	v_fma_f64 v[4:5], v[124:125], v[68:69], -v[4:5]
	v_add_f64 v[148:149], v[144:145], v[146:147]
	ds_read_b128 v[144:147], v86 offset:1296
	s_waitcnt lgkmcnt(1)
	v_mul_f64 v[150:151], v[140:141], v[82:83]
	v_add_f64 v[2:3], v[2:3], v[4:5]
	v_mul_f64 v[4:5], v[130:131], v[78:79]
	v_fmac_f64_e32 v[150:151], v[142:143], v[84:85]
	v_fma_f64 v[4:5], v[128:129], v[80:81], -v[4:5]
	v_add_f64 v[152:153], v[148:149], v[150:151]
	ds_read_b128 v[148:151], v86 offset:1312
	v_add_f64 v[2:3], v[2:3], v[4:5]
	v_mul_f64 v[4:5], v[134:135], v[74:75]
	v_fma_f64 v[4:5], v[132:133], v[76:77], -v[4:5]
	v_add_f64 v[2:3], v[2:3], v[4:5]
	v_mul_f64 v[4:5], v[138:139], v[116:117]
	s_waitcnt vmcnt(14) lgkmcnt(1)
	v_mul_f64 v[154:155], v[144:145], v[168:169]
	v_fma_f64 v[4:5], v[136:137], v[118:119], -v[4:5]
	s_waitcnt vmcnt(12)
	v_fmac_f64_e32 v[154:155], v[146:147], v[170:171]
	v_add_f64 v[2:3], v[2:3], v[4:5]
	v_mul_f64 v[4:5], v[142:143], v[82:83]
	v_add_f64 v[156:157], v[152:153], v[154:155]
	ds_read_b128 v[152:155], v86 offset:1328
	s_waitcnt lgkmcnt(1)
	v_mul_f64 v[158:159], v[148:149], v[164:165]
	v_fma_f64 v[4:5], v[140:141], v[84:85], -v[4:5]
	v_fmac_f64_e32 v[158:159], v[150:151], v[166:167]
	v_add_f64 v[2:3], v[2:3], v[4:5]
	v_mul_f64 v[4:5], v[146:147], v[168:169]
	v_add_f64 v[184:185], v[156:157], v[158:159]
	ds_read_b128 v[156:159], v86 offset:1344
	ds_read_b128 v[160:163], v86 offset:1360
	v_fma_f64 v[4:5], v[144:145], v[170:171], -v[4:5]
	v_add_f64 v[2:3], v[2:3], v[4:5]
	v_mul_f64 v[4:5], v[150:151], v[164:165]
	v_fma_f64 v[4:5], v[148:149], v[166:167], -v[4:5]
	v_add_f64 v[2:3], v[2:3], v[4:5]
	s_waitcnt vmcnt(6) lgkmcnt(2)
	v_mul_f64 v[4:5], v[154:155], v[176:177]
	v_mul_f64 v[186:187], v[152:153], v[176:177]
	s_waitcnt vmcnt(4)
	v_fma_f64 v[4:5], v[152:153], v[178:179], -v[4:5]
	v_fmac_f64_e32 v[186:187], v[154:155], v[178:179]
	v_add_f64 v[2:3], v[2:3], v[4:5]
	s_waitcnt lgkmcnt(1)
	v_mul_f64 v[4:5], v[158:159], v[172:173]
	v_add_f64 v[86:87], v[184:185], v[186:187]
	v_mul_f64 v[184:185], v[156:157], v[172:173]
	v_fma_f64 v[4:5], v[156:157], v[174:175], -v[4:5]
	v_fmac_f64_e32 v[184:185], v[158:159], v[174:175]
	v_add_f64 v[2:3], v[2:3], v[4:5]
	s_waitcnt vmcnt(2) lgkmcnt(0)
	v_mul_f64 v[4:5], v[162:163], v[180:181]
	v_add_f64 v[86:87], v[86:87], v[184:185]
	v_mul_f64 v[184:185], v[160:161], v[180:181]
	s_waitcnt vmcnt(0)
	v_fma_f64 v[4:5], v[160:161], v[182:183], -v[4:5]
	v_fmac_f64_e32 v[184:185], v[162:163], v[182:183]
	v_add_f64 v[2:3], v[2:3], v[4:5]
	v_add_f64 v[86:87], v[86:87], v[184:185]
	v_add_f64 v[2:3], v[20:21], -v[2:3]
	v_cmp_lt_u32_e32 vcc, 19, v255
	v_add_f64 v[4:5], v[18:19], -v[86:87]
	buffer_store_dword v3, off, s[0:3], 0 offset:340
	buffer_store_dword v2, off, s[0:3], 0 offset:336
	;; [unrolled: 1-line block ×4, first 2 shown]
	s_and_saveexec_b64 s[4:5], vcc
	s_cbranch_execz .LBB106_233
; %bb.232:
	v_accvgpr_read_b32 v0, a109
	buffer_load_dword v2, v0, s[0:3], 0 offen
	buffer_load_dword v3, v0, s[0:3], 0 offen offset:4
	buffer_load_dword v4, v0, s[0:3], 0 offen offset:8
	;; [unrolled: 1-line block ×3, first 2 shown]
	v_mov_b32_e32 v0, 0
	v_accvgpr_read_b32 v1, a129
	buffer_store_dword v0, off, s[0:3], 0 offset:320
	buffer_store_dword v0, off, s[0:3], 0 offset:324
	;; [unrolled: 1-line block ×4, first 2 shown]
	s_waitcnt vmcnt(4)
	ds_write_b128 v1, v[2:5]
.LBB106_233:
	s_or_b64 exec, exec, s[4:5]
	s_waitcnt lgkmcnt(0)
	; wave barrier
	s_waitcnt lgkmcnt(0)
	buffer_load_dword v9, off, s[0:3], 0 offset:348
	buffer_load_dword v6, off, s[0:3], 0 offset:360
	;; [unrolled: 1-line block ×64, first 2 shown]
	v_mov_b32_e32 v98, 0
	ds_read_b128 v[74:77], v98 offset:1008
	ds_read_b128 v[78:81], v98 offset:1024
	buffer_load_dword v67, off, s[0:3], 0 offset:604
	buffer_load_dword v66, off, s[0:3], 0 offset:600
	;; [unrolled: 1-line block ×8, first 2 shown]
	ds_read_b128 v[82:85], v98 offset:1040
	ds_read_b128 v[86:89], v98 offset:1056
	buffer_load_dword v117, off, s[0:3], 0 offset:636
	buffer_load_dword v116, off, s[0:3], 0 offset:632
	;; [unrolled: 1-line block ×24, first 2 shown]
	ds_read_b128 v[168:171], v98 offset:1360
	v_cmp_lt_u32_e32 vcc, 18, v255
	s_waitcnt vmcnt(62) lgkmcnt(1)
	v_mul_f64 v[96:97], v[86:87], v[22:23]
	v_fmac_f64_e32 v[96:97], v[88:89], v[24:25]
	v_mul_f64 v[92:93], v[78:79], v[6:7]
	v_mul_f64 v[90:91], v[74:75], v[8:9]
	v_mul_f64 v[8:9], v[76:77], v[8:9]
	v_fmac_f64_e32 v[90:91], v[76:77], v[10:11]
	v_add_f64 v[90:91], v[90:91], 0
	v_fma_f64 v[8:9], v[74:75], v[10:11], -v[8:9]
	v_mul_f64 v[6:7], v[80:81], v[6:7]
	v_add_f64 v[8:9], v[8:9], 0
	v_fmac_f64_e32 v[92:93], v[80:81], v[14:15]
	v_add_f64 v[90:91], v[90:91], v[92:93]
	v_mul_f64 v[92:93], v[82:83], v[16:17]
	v_fmac_f64_e32 v[92:93], v[84:85], v[12:13]
	v_add_f64 v[94:95], v[90:91], v[92:93]
	ds_read_b128 v[90:93], v98 offset:1072
	v_add_f64 v[100:101], v[94:95], v[96:97]
	ds_read_b128 v[94:97], v98 offset:1088
	v_fma_f64 v[6:7], v[78:79], v[14:15], -v[6:7]
	v_add_f64 v[6:7], v[8:9], v[6:7]
	s_waitcnt lgkmcnt(1)
	v_mul_f64 v[102:103], v[90:91], v[18:19]
	v_fmac_f64_e32 v[102:103], v[92:93], v[20:21]
	v_add_f64 v[104:105], v[100:101], v[102:103]
	ds_read_b128 v[100:103], v98 offset:1104
	s_waitcnt lgkmcnt(1)
	v_mul_f64 v[106:107], v[94:95], v[30:31]
	v_fmac_f64_e32 v[106:107], v[96:97], v[32:33]
	v_add_f64 v[108:109], v[104:105], v[106:107]
	ds_read_b128 v[104:107], v98 offset:1120
	;; [unrolled: 5-line block ×3, first 2 shown]
	s_waitcnt vmcnt(58) lgkmcnt(1)
	v_mul_f64 v[114:115], v[104:105], v[38:39]
	s_waitcnt vmcnt(56)
	v_fmac_f64_e32 v[114:115], v[106:107], v[40:41]
	v_add_f64 v[120:121], v[112:113], v[114:115]
	ds_read_b128 v[112:115], v98 offset:1152
	s_waitcnt lgkmcnt(1)
	v_mul_f64 v[122:123], v[108:109], v[34:35]
	v_fmac_f64_e32 v[122:123], v[110:111], v[36:37]
	v_add_f64 v[124:125], v[120:121], v[122:123]
	ds_read_b128 v[120:123], v98 offset:1168
	s_waitcnt vmcnt(50) lgkmcnt(1)
	v_mul_f64 v[126:127], v[112:113], v[46:47]
	s_waitcnt vmcnt(48)
	v_fmac_f64_e32 v[126:127], v[114:115], v[48:49]
	v_add_f64 v[128:129], v[124:125], v[126:127]
	ds_read_b128 v[124:127], v98 offset:1184
	v_mul_f64 v[8:9], v[84:85], v[16:17]
	s_waitcnt lgkmcnt(1)
	v_mul_f64 v[130:131], v[120:121], v[42:43]
	v_fma_f64 v[8:9], v[82:83], v[12:13], -v[8:9]
	v_fmac_f64_e32 v[130:131], v[122:123], v[44:45]
	v_add_f64 v[6:7], v[6:7], v[8:9]
	v_mul_f64 v[8:9], v[88:89], v[22:23]
	v_add_f64 v[132:133], v[128:129], v[130:131]
	ds_read_b128 v[128:131], v98 offset:1200
	s_waitcnt vmcnt(42) lgkmcnt(1)
	v_mul_f64 v[134:135], v[124:125], v[54:55]
	v_fma_f64 v[8:9], v[86:87], v[24:25], -v[8:9]
	s_waitcnt vmcnt(40)
	v_fmac_f64_e32 v[134:135], v[126:127], v[56:57]
	v_add_f64 v[6:7], v[6:7], v[8:9]
	v_mul_f64 v[8:9], v[92:93], v[18:19]
	v_add_f64 v[136:137], v[132:133], v[134:135]
	ds_read_b128 v[132:135], v98 offset:1216
	v_fma_f64 v[8:9], v[90:91], v[20:21], -v[8:9]
	v_add_f64 v[6:7], v[6:7], v[8:9]
	v_mul_f64 v[8:9], v[96:97], v[30:31]
	v_fma_f64 v[8:9], v[94:95], v[32:33], -v[8:9]
	s_waitcnt lgkmcnt(1)
	v_mul_f64 v[138:139], v[128:129], v[50:51]
	v_add_f64 v[6:7], v[6:7], v[8:9]
	v_mul_f64 v[8:9], v[102:103], v[26:27]
	v_fmac_f64_e32 v[138:139], v[130:131], v[52:53]
	v_fma_f64 v[8:9], v[100:101], v[28:29], -v[8:9]
	v_add_f64 v[140:141], v[136:137], v[138:139]
	ds_read_b128 v[136:139], v98 offset:1232
	s_waitcnt vmcnt(34) lgkmcnt(1)
	v_mul_f64 v[142:143], v[132:133], v[62:63]
	v_add_f64 v[6:7], v[6:7], v[8:9]
	v_mul_f64 v[8:9], v[106:107], v[38:39]
	s_waitcnt vmcnt(32)
	v_fmac_f64_e32 v[142:143], v[134:135], v[64:65]
	v_fma_f64 v[8:9], v[104:105], v[40:41], -v[8:9]
	v_add_f64 v[144:145], v[140:141], v[142:143]
	ds_read_b128 v[140:143], v98 offset:1248
	v_add_f64 v[6:7], v[6:7], v[8:9]
	v_mul_f64 v[8:9], v[110:111], v[34:35]
	v_fma_f64 v[8:9], v[108:109], v[36:37], -v[8:9]
	v_add_f64 v[6:7], v[6:7], v[8:9]
	v_mul_f64 v[8:9], v[114:115], v[46:47]
	s_waitcnt lgkmcnt(1)
	v_mul_f64 v[146:147], v[136:137], v[58:59]
	v_fma_f64 v[8:9], v[112:113], v[48:49], -v[8:9]
	v_fmac_f64_e32 v[146:147], v[138:139], v[60:61]
	v_add_f64 v[6:7], v[6:7], v[8:9]
	v_mul_f64 v[8:9], v[122:123], v[42:43]
	v_add_f64 v[148:149], v[144:145], v[146:147]
	ds_read_b128 v[144:147], v98 offset:1264
	s_waitcnt vmcnt(26) lgkmcnt(1)
	v_mul_f64 v[150:151], v[140:141], v[70:71]
	v_fma_f64 v[8:9], v[120:121], v[44:45], -v[8:9]
	s_waitcnt vmcnt(24)
	v_fmac_f64_e32 v[150:151], v[142:143], v[72:73]
	v_add_f64 v[6:7], v[6:7], v[8:9]
	v_mul_f64 v[8:9], v[126:127], v[54:55]
	v_add_f64 v[152:153], v[148:149], v[150:151]
	ds_read_b128 v[148:151], v98 offset:1280
	v_fma_f64 v[8:9], v[124:125], v[56:57], -v[8:9]
	v_add_f64 v[6:7], v[6:7], v[8:9]
	v_mul_f64 v[8:9], v[130:131], v[50:51]
	v_fma_f64 v[8:9], v[128:129], v[52:53], -v[8:9]
	s_waitcnt lgkmcnt(1)
	v_mul_f64 v[154:155], v[144:145], v[66:67]
	v_add_f64 v[6:7], v[6:7], v[8:9]
	v_mul_f64 v[8:9], v[134:135], v[62:63]
	v_fmac_f64_e32 v[154:155], v[146:147], v[68:69]
	v_fma_f64 v[8:9], v[132:133], v[64:65], -v[8:9]
	v_add_f64 v[156:157], v[152:153], v[154:155]
	ds_read_b128 v[152:155], v98 offset:1296
	s_waitcnt vmcnt(18) lgkmcnt(1)
	v_mul_f64 v[158:159], v[148:149], v[172:173]
	v_add_f64 v[6:7], v[6:7], v[8:9]
	v_mul_f64 v[8:9], v[138:139], v[58:59]
	s_waitcnt vmcnt(16)
	v_fmac_f64_e32 v[158:159], v[150:151], v[174:175]
	v_fma_f64 v[8:9], v[136:137], v[60:61], -v[8:9]
	v_add_f64 v[160:161], v[156:157], v[158:159]
	ds_read_b128 v[156:159], v98 offset:1312
	v_add_f64 v[6:7], v[6:7], v[8:9]
	v_mul_f64 v[8:9], v[142:143], v[70:71]
	v_fma_f64 v[8:9], v[140:141], v[72:73], -v[8:9]
	v_add_f64 v[6:7], v[6:7], v[8:9]
	v_mul_f64 v[8:9], v[146:147], v[66:67]
	s_waitcnt lgkmcnt(1)
	v_mul_f64 v[162:163], v[152:153], v[116:117]
	v_fma_f64 v[8:9], v[144:145], v[68:69], -v[8:9]
	v_fmac_f64_e32 v[162:163], v[154:155], v[118:119]
	v_add_f64 v[6:7], v[6:7], v[8:9]
	v_mul_f64 v[8:9], v[150:151], v[172:173]
	v_add_f64 v[164:165], v[160:161], v[162:163]
	ds_read_b128 v[160:163], v98 offset:1328
	s_waitcnt vmcnt(10) lgkmcnt(1)
	v_mul_f64 v[166:167], v[156:157], v[180:181]
	v_fma_f64 v[8:9], v[148:149], v[174:175], -v[8:9]
	s_waitcnt vmcnt(8)
	v_fmac_f64_e32 v[166:167], v[158:159], v[182:183]
	v_add_f64 v[6:7], v[6:7], v[8:9]
	v_mul_f64 v[8:9], v[154:155], v[116:117]
	v_add_f64 v[192:193], v[164:165], v[166:167]
	ds_read_b128 v[164:167], v98 offset:1344
	v_fma_f64 v[8:9], v[152:153], v[118:119], -v[8:9]
	v_add_f64 v[6:7], v[6:7], v[8:9]
	v_mul_f64 v[8:9], v[158:159], v[180:181]
	v_fma_f64 v[8:9], v[156:157], v[182:183], -v[8:9]
	v_add_f64 v[6:7], v[6:7], v[8:9]
	s_waitcnt lgkmcnt(1)
	v_mul_f64 v[8:9], v[162:163], v[176:177]
	v_mul_f64 v[194:195], v[160:161], v[176:177]
	v_fma_f64 v[8:9], v[160:161], v[178:179], -v[8:9]
	v_fmac_f64_e32 v[194:195], v[162:163], v[178:179]
	v_add_f64 v[6:7], v[6:7], v[8:9]
	s_waitcnt vmcnt(2) lgkmcnt(0)
	v_mul_f64 v[8:9], v[166:167], v[188:189]
	v_add_f64 v[192:193], v[192:193], v[194:195]
	v_mul_f64 v[194:195], v[164:165], v[188:189]
	s_waitcnt vmcnt(0)
	v_fma_f64 v[8:9], v[164:165], v[190:191], -v[8:9]
	v_fmac_f64_e32 v[194:195], v[166:167], v[190:191]
	v_add_f64 v[6:7], v[6:7], v[8:9]
	v_mul_f64 v[8:9], v[170:171], v[184:185]
	v_add_f64 v[192:193], v[192:193], v[194:195]
	v_mul_f64 v[194:195], v[168:169], v[184:185]
	v_fma_f64 v[8:9], v[168:169], v[186:187], -v[8:9]
	v_fmac_f64_e32 v[194:195], v[170:171], v[186:187]
	v_add_f64 v[6:7], v[6:7], v[8:9]
	v_add_f64 v[192:193], v[192:193], v[194:195]
	v_add_f64 v[4:5], v[4:5], -v[6:7]
	v_add_f64 v[2:3], v[2:3], -v[192:193]
	buffer_store_dword v5, off, s[0:3], 0 offset:324
	buffer_store_dword v4, off, s[0:3], 0 offset:320
	;; [unrolled: 1-line block ×4, first 2 shown]
	s_and_saveexec_b64 s[4:5], vcc
	s_cbranch_execz .LBB106_235
; %bb.234:
	v_accvgpr_read_b32 v0, a110
	buffer_load_dword v2, v0, s[0:3], 0 offen
	buffer_load_dword v3, v0, s[0:3], 0 offen offset:4
	buffer_load_dword v4, v0, s[0:3], 0 offen offset:8
	;; [unrolled: 1-line block ×3, first 2 shown]
	v_accvgpr_read_b32 v0, a129
	buffer_store_dword v98, off, s[0:3], 0 offset:304
	buffer_store_dword v98, off, s[0:3], 0 offset:308
	;; [unrolled: 1-line block ×4, first 2 shown]
	s_waitcnt vmcnt(4)
	ds_write_b128 v0, v[2:5]
.LBB106_235:
	s_or_b64 exec, exec, s[4:5]
	s_waitcnt lgkmcnt(0)
	; wave barrier
	s_waitcnt lgkmcnt(0)
	buffer_load_dword v22, off, s[0:3], 0 offset:320
	buffer_load_dword v23, off, s[0:3], 0 offset:324
	;; [unrolled: 1-line block ×16, first 2 shown]
	ds_read_b128 v[2:5], v98 offset:992
	ds_read_b128 v[6:9], v98 offset:1008
	;; [unrolled: 1-line block ×4, first 2 shown]
	buffer_load_dword v35, off, s[0:3], 0 offset:396
	buffer_load_dword v34, off, s[0:3], 0 offset:392
	;; [unrolled: 1-line block ×48, first 2 shown]
	v_cmp_lt_u32_e32 vcc, 17, v255
	s_waitcnt vmcnt(42) lgkmcnt(0)
	v_mul_f64 v[106:107], v[14:15], v[38:39]
	s_waitcnt vmcnt(40)
	v_fmac_f64_e32 v[106:107], v[16:17], v[40:41]
	v_mul_f64 v[82:83], v[2:3], v[24:25]
	v_fmac_f64_e32 v[82:83], v[4:5], v[22:23]
	v_add_f64 v[82:83], v[82:83], 0
	v_mul_f64 v[4:5], v[4:5], v[24:25]
	v_mul_f64 v[84:85], v[6:7], v[32:33]
	v_fma_f64 v[2:3], v[2:3], v[22:23], -v[4:5]
	v_mul_f64 v[100:101], v[10:11], v[26:27]
	v_fmac_f64_e32 v[100:101], v[12:13], v[30:31]
	v_fmac_f64_e32 v[84:85], v[8:9], v[28:29]
	v_add_f64 v[102:103], v[82:83], v[84:85]
	buffer_load_dword v83, off, s[0:3], 0 offset:588
	buffer_load_dword v82, off, s[0:3], 0 offset:584
	;; [unrolled: 1-line block ×32, first 2 shown]
	v_add_f64 v[104:105], v[102:103], v[100:101]
	ds_read_b128 v[100:103], v98 offset:1056
	buffer_load_dword v197, off, s[0:3], 0 offset:700
	buffer_load_dword v196, off, s[0:3], 0 offset:696
	buffer_load_dword v199, off, s[0:3], 0 offset:692
	buffer_load_dword v198, off, s[0:3], 0 offset:688
	v_add_f64 v[108:109], v[104:105], v[106:107]
	ds_read_b128 v[104:107], v98 offset:1072
	v_mul_f64 v[4:5], v[8:9], v[32:33]
	s_waitcnt lgkmcnt(1)
	v_mul_f64 v[110:111], v[100:101], v[34:35]
	v_fmac_f64_e32 v[110:111], v[102:103], v[36:37]
	v_add_f64 v[112:113], v[108:109], v[110:111]
	ds_read_b128 v[108:111], v98 offset:1088
	s_waitcnt vmcnt(62) lgkmcnt(1)
	v_mul_f64 v[114:115], v[104:105], v[46:47]
	v_fmac_f64_e32 v[114:115], v[106:107], v[48:49]
	v_add_f64 v[120:121], v[112:113], v[114:115]
	ds_read_b128 v[112:115], v98 offset:1104
	s_waitcnt lgkmcnt(1)
	v_mul_f64 v[122:123], v[108:109], v[42:43]
	v_fmac_f64_e32 v[122:123], v[110:111], v[44:45]
	v_add_f64 v[124:125], v[120:121], v[122:123]
	ds_read_b128 v[120:123], v98 offset:1120
	s_waitcnt lgkmcnt(1)
	v_mul_f64 v[126:127], v[112:113], v[54:55]
	s_waitcnt vmcnt(60)
	v_fmac_f64_e32 v[126:127], v[114:115], v[56:57]
	v_add_f64 v[128:129], v[124:125], v[126:127]
	ds_read_b128 v[124:127], v98 offset:1136
	s_waitcnt lgkmcnt(1)
	v_mul_f64 v[130:131], v[120:121], v[50:51]
	v_fmac_f64_e32 v[130:131], v[122:123], v[52:53]
	v_add_f64 v[132:133], v[128:129], v[130:131]
	ds_read_b128 v[128:131], v98 offset:1152
	s_waitcnt vmcnt(54) lgkmcnt(1)
	v_mul_f64 v[134:135], v[124:125], v[62:63]
	s_waitcnt vmcnt(52)
	v_fmac_f64_e32 v[134:135], v[126:127], v[64:65]
	v_add_f64 v[136:137], v[132:133], v[134:135]
	ds_read_b128 v[132:135], v98 offset:1168
	s_waitcnt lgkmcnt(1)
	v_mul_f64 v[138:139], v[128:129], v[58:59]
	v_fmac_f64_e32 v[138:139], v[130:131], v[60:61]
	v_add_f64 v[2:3], v[2:3], 0
	v_fma_f64 v[4:5], v[6:7], v[28:29], -v[4:5]
	v_add_f64 v[140:141], v[136:137], v[138:139]
	ds_read_b128 v[136:139], v98 offset:1184
	v_add_f64 v[2:3], v[2:3], v[4:5]
	v_mul_f64 v[4:5], v[12:13], v[26:27]
	v_fma_f64 v[4:5], v[10:11], v[30:31], -v[4:5]
	v_add_f64 v[2:3], v[2:3], v[4:5]
	v_mul_f64 v[4:5], v[16:17], v[38:39]
	s_waitcnt vmcnt(46) lgkmcnt(1)
	v_mul_f64 v[142:143], v[132:133], v[70:71]
	v_fma_f64 v[4:5], v[14:15], v[40:41], -v[4:5]
	s_waitcnt vmcnt(44)
	v_fmac_f64_e32 v[142:143], v[134:135], v[72:73]
	v_add_f64 v[2:3], v[2:3], v[4:5]
	v_mul_f64 v[4:5], v[102:103], v[34:35]
	v_add_f64 v[144:145], v[140:141], v[142:143]
	ds_read_b128 v[140:143], v98 offset:1200
	s_waitcnt lgkmcnt(1)
	v_mul_f64 v[146:147], v[136:137], v[66:67]
	v_fma_f64 v[4:5], v[100:101], v[36:37], -v[4:5]
	v_fmac_f64_e32 v[146:147], v[138:139], v[68:69]
	v_add_f64 v[2:3], v[2:3], v[4:5]
	v_mul_f64 v[4:5], v[106:107], v[46:47]
	v_add_f64 v[148:149], v[144:145], v[146:147]
	ds_read_b128 v[144:147], v98 offset:1216
	v_fma_f64 v[4:5], v[104:105], v[48:49], -v[4:5]
	v_add_f64 v[2:3], v[2:3], v[4:5]
	v_mul_f64 v[4:5], v[110:111], v[42:43]
	v_fma_f64 v[4:5], v[108:109], v[44:45], -v[4:5]
	s_waitcnt vmcnt(38) lgkmcnt(1)
	v_mul_f64 v[150:151], v[140:141], v[78:79]
	v_add_f64 v[2:3], v[2:3], v[4:5]
	v_mul_f64 v[4:5], v[114:115], v[54:55]
	s_waitcnt vmcnt(36)
	v_fmac_f64_e32 v[150:151], v[142:143], v[80:81]
	v_fma_f64 v[4:5], v[112:113], v[56:57], -v[4:5]
	v_add_f64 v[152:153], v[148:149], v[150:151]
	ds_read_b128 v[148:151], v98 offset:1232
	s_waitcnt lgkmcnt(1)
	v_mul_f64 v[154:155], v[144:145], v[74:75]
	v_add_f64 v[2:3], v[2:3], v[4:5]
	v_mul_f64 v[4:5], v[122:123], v[50:51]
	v_fmac_f64_e32 v[154:155], v[146:147], v[76:77]
	v_fma_f64 v[4:5], v[120:121], v[52:53], -v[4:5]
	v_add_f64 v[156:157], v[152:153], v[154:155]
	ds_read_b128 v[152:155], v98 offset:1248
	v_add_f64 v[2:3], v[2:3], v[4:5]
	v_mul_f64 v[4:5], v[126:127], v[62:63]
	v_fma_f64 v[4:5], v[124:125], v[64:65], -v[4:5]
	v_add_f64 v[2:3], v[2:3], v[4:5]
	v_mul_f64 v[4:5], v[130:131], v[58:59]
	s_waitcnt vmcnt(30) lgkmcnt(1)
	v_mul_f64 v[158:159], v[148:149], v[86:87]
	v_fma_f64 v[4:5], v[128:129], v[60:61], -v[4:5]
	s_waitcnt vmcnt(28)
	v_fmac_f64_e32 v[158:159], v[150:151], v[88:89]
	v_add_f64 v[2:3], v[2:3], v[4:5]
	v_mul_f64 v[4:5], v[134:135], v[70:71]
	v_add_f64 v[160:161], v[156:157], v[158:159]
	ds_read_b128 v[156:159], v98 offset:1264
	s_waitcnt lgkmcnt(1)
	v_mul_f64 v[162:163], v[152:153], v[82:83]
	v_fma_f64 v[4:5], v[132:133], v[72:73], -v[4:5]
	v_fmac_f64_e32 v[162:163], v[154:155], v[84:85]
	v_add_f64 v[2:3], v[2:3], v[4:5]
	v_mul_f64 v[4:5], v[138:139], v[66:67]
	v_add_f64 v[164:165], v[160:161], v[162:163]
	ds_read_b128 v[160:163], v98 offset:1280
	v_fma_f64 v[4:5], v[136:137], v[68:69], -v[4:5]
	v_add_f64 v[2:3], v[2:3], v[4:5]
	v_mul_f64 v[4:5], v[142:143], v[78:79]
	v_fma_f64 v[4:5], v[140:141], v[80:81], -v[4:5]
	s_waitcnt vmcnt(22) lgkmcnt(1)
	v_mul_f64 v[166:167], v[156:157], v[94:95]
	v_add_f64 v[2:3], v[2:3], v[4:5]
	v_mul_f64 v[4:5], v[146:147], v[74:75]
	s_waitcnt vmcnt(20)
	v_fmac_f64_e32 v[166:167], v[158:159], v[96:97]
	v_fma_f64 v[4:5], v[144:145], v[76:77], -v[4:5]
	v_add_f64 v[168:169], v[164:165], v[166:167]
	ds_read_b128 v[164:167], v98 offset:1296
	s_waitcnt lgkmcnt(1)
	v_mul_f64 v[170:171], v[160:161], v[90:91]
	v_add_f64 v[2:3], v[2:3], v[4:5]
	v_mul_f64 v[4:5], v[150:151], v[86:87]
	v_fmac_f64_e32 v[170:171], v[162:163], v[92:93]
	v_fma_f64 v[4:5], v[148:149], v[88:89], -v[4:5]
	v_add_f64 v[172:173], v[168:169], v[170:171]
	ds_read_b128 v[168:171], v98 offset:1312
	v_add_f64 v[2:3], v[2:3], v[4:5]
	v_mul_f64 v[4:5], v[154:155], v[82:83]
	v_fma_f64 v[4:5], v[152:153], v[84:85], -v[4:5]
	v_add_f64 v[2:3], v[2:3], v[4:5]
	v_mul_f64 v[4:5], v[158:159], v[94:95]
	s_waitcnt vmcnt(14) lgkmcnt(1)
	v_mul_f64 v[174:175], v[164:165], v[184:185]
	v_fma_f64 v[4:5], v[156:157], v[96:97], -v[4:5]
	s_waitcnt vmcnt(12)
	v_fmac_f64_e32 v[174:175], v[166:167], v[186:187]
	v_add_f64 v[2:3], v[2:3], v[4:5]
	v_mul_f64 v[4:5], v[162:163], v[90:91]
	v_add_f64 v[176:177], v[172:173], v[174:175]
	ds_read_b128 v[172:175], v98 offset:1328
	s_waitcnt lgkmcnt(1)
	v_mul_f64 v[178:179], v[168:169], v[116:117]
	v_fma_f64 v[4:5], v[160:161], v[92:93], -v[4:5]
	v_fmac_f64_e32 v[178:179], v[170:171], v[118:119]
	v_add_f64 v[2:3], v[2:3], v[4:5]
	v_mul_f64 v[4:5], v[166:167], v[184:185]
	v_add_f64 v[200:201], v[176:177], v[178:179]
	ds_read_b128 v[176:179], v98 offset:1344
	v_fma_f64 v[4:5], v[164:165], v[186:187], -v[4:5]
	v_add_f64 v[2:3], v[2:3], v[4:5]
	v_mul_f64 v[4:5], v[170:171], v[116:117]
	ds_read_b128 v[180:183], v98 offset:1360
	v_fma_f64 v[4:5], v[168:169], v[118:119], -v[4:5]
	v_add_f64 v[2:3], v[2:3], v[4:5]
	s_waitcnt vmcnt(6) lgkmcnt(2)
	v_mul_f64 v[4:5], v[174:175], v[192:193]
	v_mul_f64 v[202:203], v[172:173], v[192:193]
	s_waitcnt vmcnt(4)
	v_fma_f64 v[4:5], v[172:173], v[194:195], -v[4:5]
	v_fmac_f64_e32 v[202:203], v[174:175], v[194:195]
	v_add_f64 v[2:3], v[2:3], v[4:5]
	s_waitcnt lgkmcnt(1)
	v_mul_f64 v[4:5], v[178:179], v[188:189]
	v_add_f64 v[98:99], v[200:201], v[202:203]
	v_mul_f64 v[200:201], v[176:177], v[188:189]
	v_fma_f64 v[4:5], v[176:177], v[190:191], -v[4:5]
	v_fmac_f64_e32 v[200:201], v[178:179], v[190:191]
	v_add_f64 v[2:3], v[2:3], v[4:5]
	s_waitcnt vmcnt(2) lgkmcnt(0)
	v_mul_f64 v[4:5], v[182:183], v[196:197]
	v_add_f64 v[98:99], v[98:99], v[200:201]
	v_mul_f64 v[200:201], v[180:181], v[196:197]
	s_waitcnt vmcnt(0)
	v_fma_f64 v[4:5], v[180:181], v[198:199], -v[4:5]
	v_fmac_f64_e32 v[200:201], v[182:183], v[198:199]
	v_add_f64 v[2:3], v[2:3], v[4:5]
	v_add_f64 v[98:99], v[98:99], v[200:201]
	v_add_f64 v[2:3], v[20:21], -v[2:3]
	v_add_f64 v[4:5], v[18:19], -v[98:99]
	buffer_store_dword v3, off, s[0:3], 0 offset:308
	buffer_store_dword v2, off, s[0:3], 0 offset:304
	;; [unrolled: 1-line block ×4, first 2 shown]
	s_and_saveexec_b64 s[4:5], vcc
	s_cbranch_execz .LBB106_237
; %bb.236:
	v_accvgpr_read_b32 v0, a111
	buffer_load_dword v2, v0, s[0:3], 0 offen
	buffer_load_dword v3, v0, s[0:3], 0 offen offset:4
	buffer_load_dword v4, v0, s[0:3], 0 offen offset:8
	;; [unrolled: 1-line block ×3, first 2 shown]
	v_mov_b32_e32 v0, 0
	v_accvgpr_read_b32 v1, a129
	buffer_store_dword v0, off, s[0:3], 0 offset:288
	buffer_store_dword v0, off, s[0:3], 0 offset:292
	;; [unrolled: 1-line block ×4, first 2 shown]
	s_waitcnt vmcnt(4)
	ds_write_b128 v1, v[2:5]
.LBB106_237:
	s_or_b64 exec, exec, s[4:5]
	s_waitcnt lgkmcnt(0)
	; wave barrier
	s_waitcnt lgkmcnt(0)
	buffer_load_dword v22, off, s[0:3], 0 offset:304
	buffer_load_dword v23, off, s[0:3], 0 offset:308
	buffer_load_dword v26, off, s[0:3], 0 offset:312
	buffer_load_dword v27, off, s[0:3], 0 offset:316
	buffer_load_dword v24, off, s[0:3], 0 offset:320
	buffer_load_dword v25, off, s[0:3], 0 offset:324
	buffer_load_dword v28, off, s[0:3], 0 offset:328
	buffer_load_dword v29, off, s[0:3], 0 offset:332
	buffer_load_dword v30, off, s[0:3], 0 offset:344
	buffer_load_dword v31, off, s[0:3], 0 offset:348
	buffer_load_dword v37, off, s[0:3], 0 offset:380
	buffer_load_dword v39, off, s[0:3], 0 offset:372
	buffer_load_dword v41, off, s[0:3], 0 offset:364
	buffer_load_dword v40, off, s[0:3], 0 offset:360
	buffer_load_dword v44, off, s[0:3], 0 offset:336
	buffer_load_dword v45, off, s[0:3], 0 offset:340
	buffer_load_dword v43, off, s[0:3], 0 offset:356
	buffer_load_dword v42, off, s[0:3], 0 offset:352
	buffer_load_dword v36, off, s[0:3], 0 offset:376
	buffer_load_dword v38, off, s[0:3], 0 offset:368
	buffer_load_dword v34, off, s[0:3], 0 offset:288
	buffer_load_dword v35, off, s[0:3], 0 offset:292
	buffer_load_dword v32, off, s[0:3], 0 offset:296
	buffer_load_dword v33, off, s[0:3], 0 offset:300
	buffer_load_dword v47, off, s[0:3], 0 offset:412
	buffer_load_dword v46, off, s[0:3], 0 offset:408
	buffer_load_dword v49, off, s[0:3], 0 offset:404
	buffer_load_dword v48, off, s[0:3], 0 offset:400
	buffer_load_dword v51, off, s[0:3], 0 offset:396
	buffer_load_dword v50, off, s[0:3], 0 offset:392
	buffer_load_dword v53, off, s[0:3], 0 offset:388
	buffer_load_dword v52, off, s[0:3], 0 offset:384
	buffer_load_dword v55, off, s[0:3], 0 offset:444
	buffer_load_dword v54, off, s[0:3], 0 offset:440
	buffer_load_dword v57, off, s[0:3], 0 offset:436
	buffer_load_dword v56, off, s[0:3], 0 offset:432
	buffer_load_dword v59, off, s[0:3], 0 offset:428
	buffer_load_dword v58, off, s[0:3], 0 offset:424
	buffer_load_dword v61, off, s[0:3], 0 offset:420
	buffer_load_dword v60, off, s[0:3], 0 offset:416
	buffer_load_dword v63, off, s[0:3], 0 offset:476
	buffer_load_dword v62, off, s[0:3], 0 offset:472
	buffer_load_dword v65, off, s[0:3], 0 offset:468
	buffer_load_dword v64, off, s[0:3], 0 offset:464
	buffer_load_dword v67, off, s[0:3], 0 offset:460
	buffer_load_dword v66, off, s[0:3], 0 offset:456
	buffer_load_dword v69, off, s[0:3], 0 offset:452
	buffer_load_dword v68, off, s[0:3], 0 offset:448
	buffer_load_dword v71, off, s[0:3], 0 offset:508
	buffer_load_dword v70, off, s[0:3], 0 offset:504
	buffer_load_dword v73, off, s[0:3], 0 offset:500
	buffer_load_dword v72, off, s[0:3], 0 offset:496
	buffer_load_dword v75, off, s[0:3], 0 offset:492
	buffer_load_dword v74, off, s[0:3], 0 offset:488
	buffer_load_dword v77, off, s[0:3], 0 offset:484
	buffer_load_dword v76, off, s[0:3], 0 offset:480
	buffer_load_dword v79, off, s[0:3], 0 offset:540
	buffer_load_dword v78, off, s[0:3], 0 offset:536
	buffer_load_dword v81, off, s[0:3], 0 offset:532
	buffer_load_dword v80, off, s[0:3], 0 offset:528
	buffer_load_dword v83, off, s[0:3], 0 offset:524
	buffer_load_dword v82, off, s[0:3], 0 offset:520
	buffer_load_dword v85, off, s[0:3], 0 offset:516
	buffer_load_dword v84, off, s[0:3], 0 offset:512
	v_mov_b32_e32 v114, 0
	ds_read_b128 v[18:21], v114 offset:976
	ds_read_b128 v[14:17], v114 offset:992
	;; [unrolled: 1-line block ×5, first 2 shown]
	v_cmp_lt_u32_e32 vcc, 16, v255
	s_waitcnt vmcnt(60) lgkmcnt(4)
	v_mul_f64 v[86:87], v[18:19], v[26:27]
	v_fmac_f64_e32 v[86:87], v[20:21], v[22:23]
	v_add_f64 v[86:87], v[86:87], 0
	v_mul_f64 v[20:21], v[20:21], v[26:27]
	s_waitcnt vmcnt(56) lgkmcnt(3)
	v_mul_f64 v[88:89], v[14:15], v[28:29]
	v_fmac_f64_e32 v[88:89], v[16:17], v[24:25]
	s_waitcnt vmcnt(54) lgkmcnt(2)
	v_mul_f64 v[90:91], v[10:11], v[30:31]
	v_add_f64 v[86:87], v[86:87], v[88:89]
	v_fma_f64 v[18:19], v[18:19], v[22:23], -v[20:21]
	v_mul_f64 v[16:17], v[16:17], v[28:29]
	s_waitcnt vmcnt(50) lgkmcnt(1)
	v_mul_f64 v[102:103], v[6:7], v[40:41]
	v_add_f64 v[18:19], v[18:19], 0
	s_waitcnt vmcnt(48)
	v_fmac_f64_e32 v[90:91], v[12:13], v[44:45]
	v_add_f64 v[104:105], v[86:87], v[90:91]
	buffer_load_dword v87, off, s[0:3], 0 offset:572
	buffer_load_dword v86, off, s[0:3], 0 offset:568
	buffer_load_dword v89, off, s[0:3], 0 offset:564
	buffer_load_dword v88, off, s[0:3], 0 offset:560
	buffer_load_dword v91, off, s[0:3], 0 offset:556
	buffer_load_dword v90, off, s[0:3], 0 offset:552
	buffer_load_dword v93, off, s[0:3], 0 offset:548
	buffer_load_dword v92, off, s[0:3], 0 offset:544
	buffer_load_dword v95, off, s[0:3], 0 offset:604
	buffer_load_dword v94, off, s[0:3], 0 offset:600
	buffer_load_dword v97, off, s[0:3], 0 offset:596
	buffer_load_dword v96, off, s[0:3], 0 offset:592
	buffer_load_dword v99, off, s[0:3], 0 offset:588
	buffer_load_dword v98, off, s[0:3], 0 offset:584
	buffer_load_dword v101, off, s[0:3], 0 offset:580
	buffer_load_dword v100, off, s[0:3], 0 offset:576
	buffer_load_dword v117, off, s[0:3], 0 offset:636
	buffer_load_dword v116, off, s[0:3], 0 offset:632
	buffer_load_dword v119, off, s[0:3], 0 offset:628
	buffer_load_dword v118, off, s[0:3], 0 offset:624
	buffer_load_dword v189, off, s[0:3], 0 offset:620
	buffer_load_dword v188, off, s[0:3], 0 offset:616
	buffer_load_dword v191, off, s[0:3], 0 offset:612
	buffer_load_dword v190, off, s[0:3], 0 offset:608
	buffer_load_dword v193, off, s[0:3], 0 offset:668
	buffer_load_dword v192, off, s[0:3], 0 offset:664
	buffer_load_dword v195, off, s[0:3], 0 offset:660
	buffer_load_dword v194, off, s[0:3], 0 offset:656
	buffer_load_dword v197, off, s[0:3], 0 offset:652
	buffer_load_dword v196, off, s[0:3], 0 offset:648
	buffer_load_dword v199, off, s[0:3], 0 offset:644
	buffer_load_dword v198, off, s[0:3], 0 offset:640
	buffer_load_dword v201, off, s[0:3], 0 offset:700
	buffer_load_dword v200, off, s[0:3], 0 offset:696
	buffer_load_dword v203, off, s[0:3], 0 offset:692
	buffer_load_dword v202, off, s[0:3], 0 offset:688
	buffer_load_dword v205, off, s[0:3], 0 offset:684
	buffer_load_dword v204, off, s[0:3], 0 offset:680
	buffer_load_dword v207, off, s[0:3], 0 offset:676
	buffer_load_dword v206, off, s[0:3], 0 offset:672
	s_waitcnt vmcnt(62)
	v_fmac_f64_e32 v[102:103], v[8:9], v[42:43]
	v_add_f64 v[106:107], v[104:105], v[102:103]
	ds_read_b128 v[102:105], v114 offset:1056
	s_waitcnt lgkmcnt(1)
	v_mul_f64 v[108:109], v[2:3], v[36:37]
	v_fmac_f64_e32 v[108:109], v[4:5], v[38:39]
	v_add_f64 v[110:111], v[106:107], v[108:109]
	ds_read_b128 v[106:109], v114 offset:1072
	s_waitcnt lgkmcnt(1)
	v_mul_f64 v[112:113], v[102:103], v[50:51]
	;; [unrolled: 5-line block ×5, first 2 shown]
	v_fmac_f64_e32 v[130:131], v[122:123], v[56:57]
	v_add_f64 v[132:133], v[128:129], v[130:131]
	ds_read_b128 v[128:131], v114 offset:1136
	s_waitcnt vmcnt(58) lgkmcnt(1)
	v_mul_f64 v[134:135], v[124:125], v[66:67]
	s_waitcnt vmcnt(56)
	v_fmac_f64_e32 v[134:135], v[126:127], v[68:69]
	v_add_f64 v[136:137], v[132:133], v[134:135]
	ds_read_b128 v[132:135], v114 offset:1152
	s_waitcnt lgkmcnt(1)
	v_mul_f64 v[138:139], v[128:129], v[62:63]
	v_fmac_f64_e32 v[138:139], v[130:131], v[64:65]
	v_add_f64 v[140:141], v[136:137], v[138:139]
	ds_read_b128 v[136:139], v114 offset:1168
	s_waitcnt vmcnt(50) lgkmcnt(1)
	v_mul_f64 v[142:143], v[132:133], v[74:75]
	s_waitcnt vmcnt(48)
	v_fmac_f64_e32 v[142:143], v[134:135], v[76:77]
	v_add_f64 v[144:145], v[140:141], v[142:143]
	ds_read_b128 v[140:143], v114 offset:1184
	v_fma_f64 v[14:15], v[14:15], v[24:25], -v[16:17]
	v_mul_f64 v[12:13], v[12:13], v[30:31]
	v_add_f64 v[14:15], v[18:19], v[14:15]
	v_fma_f64 v[10:11], v[10:11], v[44:45], -v[12:13]
	v_mul_f64 v[8:9], v[8:9], v[40:41]
	s_waitcnt lgkmcnt(1)
	v_mul_f64 v[146:147], v[136:137], v[70:71]
	v_add_f64 v[10:11], v[14:15], v[10:11]
	v_fma_f64 v[6:7], v[6:7], v[42:43], -v[8:9]
	v_mul_f64 v[4:5], v[4:5], v[36:37]
	v_fmac_f64_e32 v[146:147], v[138:139], v[72:73]
	v_add_f64 v[6:7], v[10:11], v[6:7]
	v_fma_f64 v[2:3], v[2:3], v[38:39], -v[4:5]
	v_mul_f64 v[4:5], v[104:105], v[50:51]
	v_add_f64 v[148:149], v[144:145], v[146:147]
	ds_read_b128 v[144:147], v114 offset:1200
	s_waitcnt vmcnt(42) lgkmcnt(1)
	v_mul_f64 v[150:151], v[140:141], v[82:83]
	v_add_f64 v[2:3], v[6:7], v[2:3]
	v_fma_f64 v[4:5], v[102:103], v[52:53], -v[4:5]
	s_waitcnt vmcnt(40)
	v_fmac_f64_e32 v[150:151], v[142:143], v[84:85]
	v_add_f64 v[2:3], v[2:3], v[4:5]
	v_mul_f64 v[4:5], v[108:109], v[46:47]
	v_add_f64 v[152:153], v[148:149], v[150:151]
	ds_read_b128 v[148:151], v114 offset:1216
	v_fma_f64 v[4:5], v[106:107], v[48:49], -v[4:5]
	v_add_f64 v[2:3], v[2:3], v[4:5]
	v_mul_f64 v[4:5], v[112:113], v[58:59]
	v_fma_f64 v[4:5], v[110:111], v[60:61], -v[4:5]
	s_waitcnt lgkmcnt(1)
	v_mul_f64 v[154:155], v[144:145], v[78:79]
	v_add_f64 v[2:3], v[2:3], v[4:5]
	v_mul_f64 v[4:5], v[122:123], v[54:55]
	v_fmac_f64_e32 v[154:155], v[146:147], v[80:81]
	v_fma_f64 v[4:5], v[120:121], v[56:57], -v[4:5]
	v_add_f64 v[156:157], v[152:153], v[154:155]
	ds_read_b128 v[152:155], v114 offset:1232
	s_waitcnt vmcnt(34) lgkmcnt(1)
	v_mul_f64 v[158:159], v[148:149], v[90:91]
	v_add_f64 v[2:3], v[2:3], v[4:5]
	v_mul_f64 v[4:5], v[126:127], v[66:67]
	s_waitcnt vmcnt(32)
	v_fmac_f64_e32 v[158:159], v[150:151], v[92:93]
	v_fma_f64 v[4:5], v[124:125], v[68:69], -v[4:5]
	v_add_f64 v[160:161], v[156:157], v[158:159]
	ds_read_b128 v[156:159], v114 offset:1248
	v_add_f64 v[2:3], v[2:3], v[4:5]
	v_mul_f64 v[4:5], v[130:131], v[62:63]
	v_fma_f64 v[4:5], v[128:129], v[64:65], -v[4:5]
	v_add_f64 v[2:3], v[2:3], v[4:5]
	v_mul_f64 v[4:5], v[134:135], v[74:75]
	s_waitcnt lgkmcnt(1)
	v_mul_f64 v[162:163], v[152:153], v[86:87]
	v_fma_f64 v[4:5], v[132:133], v[76:77], -v[4:5]
	v_fmac_f64_e32 v[162:163], v[154:155], v[88:89]
	v_add_f64 v[2:3], v[2:3], v[4:5]
	v_mul_f64 v[4:5], v[138:139], v[70:71]
	v_add_f64 v[164:165], v[160:161], v[162:163]
	ds_read_b128 v[160:163], v114 offset:1264
	s_waitcnt vmcnt(26) lgkmcnt(1)
	v_mul_f64 v[166:167], v[156:157], v[98:99]
	v_fma_f64 v[4:5], v[136:137], v[72:73], -v[4:5]
	s_waitcnt vmcnt(24)
	v_fmac_f64_e32 v[166:167], v[158:159], v[100:101]
	v_add_f64 v[2:3], v[2:3], v[4:5]
	v_mul_f64 v[4:5], v[142:143], v[82:83]
	v_add_f64 v[168:169], v[164:165], v[166:167]
	ds_read_b128 v[164:167], v114 offset:1280
	v_fma_f64 v[4:5], v[140:141], v[84:85], -v[4:5]
	v_add_f64 v[2:3], v[2:3], v[4:5]
	v_mul_f64 v[4:5], v[146:147], v[78:79]
	v_fma_f64 v[4:5], v[144:145], v[80:81], -v[4:5]
	s_waitcnt lgkmcnt(1)
	v_mul_f64 v[170:171], v[160:161], v[94:95]
	v_add_f64 v[2:3], v[2:3], v[4:5]
	v_mul_f64 v[4:5], v[150:151], v[90:91]
	v_fmac_f64_e32 v[170:171], v[162:163], v[96:97]
	v_fma_f64 v[4:5], v[148:149], v[92:93], -v[4:5]
	v_add_f64 v[172:173], v[168:169], v[170:171]
	ds_read_b128 v[168:171], v114 offset:1296
	s_waitcnt vmcnt(18) lgkmcnt(1)
	v_mul_f64 v[174:175], v[164:165], v[188:189]
	v_add_f64 v[2:3], v[2:3], v[4:5]
	v_mul_f64 v[4:5], v[154:155], v[86:87]
	s_waitcnt vmcnt(16)
	v_fmac_f64_e32 v[174:175], v[166:167], v[190:191]
	v_fma_f64 v[4:5], v[152:153], v[88:89], -v[4:5]
	v_add_f64 v[176:177], v[172:173], v[174:175]
	ds_read_b128 v[172:175], v114 offset:1312
	v_add_f64 v[2:3], v[2:3], v[4:5]
	v_mul_f64 v[4:5], v[158:159], v[98:99]
	v_fma_f64 v[4:5], v[156:157], v[100:101], -v[4:5]
	v_add_f64 v[2:3], v[2:3], v[4:5]
	v_mul_f64 v[4:5], v[162:163], v[94:95]
	s_waitcnt lgkmcnt(1)
	v_mul_f64 v[178:179], v[168:169], v[116:117]
	v_fma_f64 v[4:5], v[160:161], v[96:97], -v[4:5]
	v_fmac_f64_e32 v[178:179], v[170:171], v[118:119]
	v_add_f64 v[2:3], v[2:3], v[4:5]
	v_mul_f64 v[4:5], v[166:167], v[188:189]
	v_add_f64 v[180:181], v[176:177], v[178:179]
	ds_read_b128 v[176:179], v114 offset:1328
	s_waitcnt vmcnt(10) lgkmcnt(1)
	v_mul_f64 v[182:183], v[172:173], v[196:197]
	v_fma_f64 v[4:5], v[164:165], v[190:191], -v[4:5]
	s_waitcnt vmcnt(8)
	v_fmac_f64_e32 v[182:183], v[174:175], v[198:199]
	v_add_f64 v[2:3], v[2:3], v[4:5]
	v_mul_f64 v[4:5], v[170:171], v[116:117]
	v_add_f64 v[208:209], v[180:181], v[182:183]
	ds_read_b128 v[180:183], v114 offset:1344
	ds_read_b128 v[184:187], v114 offset:1360
	v_fma_f64 v[4:5], v[168:169], v[118:119], -v[4:5]
	v_add_f64 v[2:3], v[2:3], v[4:5]
	v_mul_f64 v[4:5], v[174:175], v[196:197]
	v_fma_f64 v[4:5], v[172:173], v[198:199], -v[4:5]
	v_add_f64 v[2:3], v[2:3], v[4:5]
	s_waitcnt lgkmcnt(2)
	v_mul_f64 v[4:5], v[178:179], v[192:193]
	v_mul_f64 v[210:211], v[176:177], v[192:193]
	v_fma_f64 v[4:5], v[176:177], v[194:195], -v[4:5]
	v_fmac_f64_e32 v[210:211], v[178:179], v[194:195]
	v_add_f64 v[2:3], v[2:3], v[4:5]
	s_waitcnt vmcnt(2) lgkmcnt(1)
	v_mul_f64 v[4:5], v[182:183], v[204:205]
	v_add_f64 v[208:209], v[208:209], v[210:211]
	v_mul_f64 v[210:211], v[180:181], v[204:205]
	s_waitcnt vmcnt(0)
	v_fma_f64 v[4:5], v[180:181], v[206:207], -v[4:5]
	v_fmac_f64_e32 v[210:211], v[182:183], v[206:207]
	v_add_f64 v[2:3], v[2:3], v[4:5]
	s_waitcnt lgkmcnt(0)
	v_mul_f64 v[4:5], v[186:187], v[200:201]
	v_add_f64 v[208:209], v[208:209], v[210:211]
	v_mul_f64 v[210:211], v[184:185], v[200:201]
	v_fma_f64 v[4:5], v[184:185], v[202:203], -v[4:5]
	v_fmac_f64_e32 v[210:211], v[186:187], v[202:203]
	v_add_f64 v[2:3], v[2:3], v[4:5]
	v_add_f64 v[208:209], v[208:209], v[210:211]
	v_add_f64 v[2:3], v[34:35], -v[2:3]
	v_add_f64 v[4:5], v[32:33], -v[208:209]
	buffer_store_dword v3, off, s[0:3], 0 offset:292
	buffer_store_dword v2, off, s[0:3], 0 offset:288
	;; [unrolled: 1-line block ×4, first 2 shown]
	s_and_saveexec_b64 s[4:5], vcc
	s_cbranch_execz .LBB106_239
; %bb.238:
	v_accvgpr_read_b32 v0, a112
	buffer_load_dword v2, v0, s[0:3], 0 offen
	buffer_load_dword v3, v0, s[0:3], 0 offen offset:4
	buffer_load_dword v4, v0, s[0:3], 0 offen offset:8
	;; [unrolled: 1-line block ×3, first 2 shown]
	v_accvgpr_read_b32 v0, a129
	buffer_store_dword v114, off, s[0:3], 0 offset:272
	buffer_store_dword v114, off, s[0:3], 0 offset:276
	;; [unrolled: 1-line block ×4, first 2 shown]
	s_waitcnt vmcnt(4)
	ds_write_b128 v0, v[2:5]
.LBB106_239:
	s_or_b64 exec, exec, s[4:5]
	s_waitcnt lgkmcnt(0)
	; wave barrier
	s_waitcnt lgkmcnt(0)
	buffer_load_dword v26, off, s[0:3], 0 offset:288
	buffer_load_dword v27, off, s[0:3], 0 offset:292
	;; [unrolled: 1-line block ×24, first 2 shown]
	ds_read_b128 v[22:25], v114 offset:960
	ds_read_b128 v[18:21], v114 offset:976
	;; [unrolled: 1-line block ×6, first 2 shown]
	buffer_load_dword v51, off, s[0:3], 0 offset:396
	buffer_load_dword v50, off, s[0:3], 0 offset:392
	;; [unrolled: 1-line block ×40, first 2 shown]
	v_cmp_lt_u32_e32 vcc, 15, v255
	s_waitcnt vmcnt(60) lgkmcnt(5)
	v_mul_f64 v[90:91], v[22:23], v[28:29]
	v_fmac_f64_e32 v[90:91], v[24:25], v[26:27]
	s_waitcnt vmcnt(58) lgkmcnt(4)
	v_mul_f64 v[92:93], v[18:19], v[30:31]
	v_add_f64 v[90:91], v[90:91], 0
	s_waitcnt vmcnt(56) lgkmcnt(3)
	v_mul_f64 v[94:95], v[10:11], v[32:33]
	v_mul_f64 v[24:25], v[24:25], v[28:29]
	v_fma_f64 v[22:23], v[22:23], v[26:27], -v[24:25]
	s_waitcnt vmcnt(54) lgkmcnt(1)
	v_mul_f64 v[116:117], v[2:3], v[38:39]
	v_add_f64 v[22:23], v[22:23], 0
	s_waitcnt vmcnt(51)
	v_mul_f64 v[96:97], v[6:7], v[42:43]
	s_waitcnt vmcnt(49)
	v_fmac_f64_e32 v[92:93], v[20:21], v[48:49]
	v_add_f64 v[90:91], v[90:91], v[92:93]
	s_waitcnt vmcnt(47)
	v_fmac_f64_e32 v[94:95], v[12:13], v[46:47]
	v_add_f64 v[90:91], v[90:91], v[94:95]
	;; [unrolled: 3-line block ×3, first 2 shown]
	buffer_load_dword v91, off, s[0:3], 0 offset:556
	buffer_load_dword v90, off, s[0:3], 0 offset:552
	;; [unrolled: 1-line block ×40, first 2 shown]
	ds_read_b128 v[120:123], v114 offset:1056
	buffer_load_dword v213, off, s[0:3], 0 offset:700
	buffer_load_dword v212, off, s[0:3], 0 offset:696
	;; [unrolled: 1-line block ×4, first 2 shown]
	v_mul_f64 v[20:21], v[20:21], v[30:31]
	v_fma_f64 v[18:19], v[18:19], v[48:49], -v[20:21]
	v_mul_f64 v[12:13], v[12:13], v[32:33]
	s_waitcnt vmcnt(62)
	v_fmac_f64_e32 v[116:117], v[4:5], v[40:41]
	ds_read_b128 v[124:127], v114 offset:1072
	ds_read_b128 v[128:131], v114 offset:1088
	v_add_f64 v[18:19], v[22:23], v[18:19]
	v_fma_f64 v[10:11], v[10:11], v[46:47], -v[12:13]
	v_mul_f64 v[8:9], v[8:9], v[42:43]
	v_add_f64 v[116:117], v[118:119], v[116:117]
	s_waitcnt lgkmcnt(3)
	v_mul_f64 v[118:119], v[14:15], v[54:55]
	v_add_f64 v[10:11], v[18:19], v[10:11]
	v_fma_f64 v[6:7], v[6:7], v[44:45], -v[8:9]
	v_mul_f64 v[4:5], v[4:5], v[38:39]
	v_fmac_f64_e32 v[118:119], v[16:17], v[56:57]
	v_add_f64 v[6:7], v[10:11], v[6:7]
	v_fma_f64 v[2:3], v[2:3], v[40:41], -v[4:5]
	v_mul_f64 v[4:5], v[16:17], v[54:55]
	v_add_f64 v[116:117], v[116:117], v[118:119]
	s_waitcnt lgkmcnt(2)
	v_mul_f64 v[118:119], v[120:121], v[50:51]
	v_add_f64 v[2:3], v[6:7], v[2:3]
	v_fma_f64 v[4:5], v[14:15], v[56:57], -v[4:5]
	v_fmac_f64_e32 v[118:119], v[122:123], v[52:53]
	ds_read_b128 v[132:135], v114 offset:1104
	ds_read_b128 v[136:139], v114 offset:1120
	v_add_f64 v[2:3], v[2:3], v[4:5]
	v_mul_f64 v[4:5], v[122:123], v[50:51]
	v_add_f64 v[116:117], v[116:117], v[118:119]
	s_waitcnt lgkmcnt(3)
	v_mul_f64 v[118:119], v[124:125], v[62:63]
	v_fma_f64 v[4:5], v[120:121], v[52:53], -v[4:5]
	v_fmac_f64_e32 v[118:119], v[126:127], v[64:65]
	v_add_f64 v[2:3], v[2:3], v[4:5]
	v_mul_f64 v[4:5], v[126:127], v[62:63]
	v_add_f64 v[116:117], v[116:117], v[118:119]
	s_waitcnt lgkmcnt(2)
	v_mul_f64 v[118:119], v[128:129], v[58:59]
	v_fma_f64 v[4:5], v[124:125], v[64:65], -v[4:5]
	v_fmac_f64_e32 v[118:119], v[130:131], v[60:61]
	ds_read_b128 v[140:143], v114 offset:1136
	ds_read_b128 v[144:147], v114 offset:1152
	v_add_f64 v[2:3], v[2:3], v[4:5]
	v_mul_f64 v[4:5], v[130:131], v[58:59]
	v_add_f64 v[116:117], v[116:117], v[118:119]
	s_waitcnt lgkmcnt(3)
	v_mul_f64 v[118:119], v[132:133], v[70:71]
	v_fma_f64 v[4:5], v[128:129], v[60:61], -v[4:5]
	s_waitcnt vmcnt(60)
	v_fmac_f64_e32 v[118:119], v[134:135], v[72:73]
	v_add_f64 v[2:3], v[2:3], v[4:5]
	v_mul_f64 v[4:5], v[134:135], v[70:71]
	v_add_f64 v[116:117], v[116:117], v[118:119]
	s_waitcnt lgkmcnt(2)
	v_mul_f64 v[118:119], v[136:137], v[66:67]
	v_fma_f64 v[4:5], v[132:133], v[72:73], -v[4:5]
	v_fmac_f64_e32 v[118:119], v[138:139], v[68:69]
	ds_read_b128 v[148:151], v114 offset:1168
	ds_read_b128 v[152:155], v114 offset:1184
	v_add_f64 v[2:3], v[2:3], v[4:5]
	v_mul_f64 v[4:5], v[138:139], v[66:67]
	v_add_f64 v[116:117], v[116:117], v[118:119]
	s_waitcnt vmcnt(54) lgkmcnt(3)
	v_mul_f64 v[118:119], v[140:141], v[78:79]
	v_fma_f64 v[4:5], v[136:137], v[68:69], -v[4:5]
	s_waitcnt vmcnt(52)
	v_fmac_f64_e32 v[118:119], v[142:143], v[80:81]
	v_add_f64 v[2:3], v[2:3], v[4:5]
	v_mul_f64 v[4:5], v[142:143], v[78:79]
	v_add_f64 v[116:117], v[116:117], v[118:119]
	s_waitcnt lgkmcnt(2)
	v_mul_f64 v[118:119], v[144:145], v[74:75]
	v_fma_f64 v[4:5], v[140:141], v[80:81], -v[4:5]
	v_fmac_f64_e32 v[118:119], v[146:147], v[76:77]
	ds_read_b128 v[156:159], v114 offset:1200
	ds_read_b128 v[160:163], v114 offset:1216
	v_add_f64 v[2:3], v[2:3], v[4:5]
	v_mul_f64 v[4:5], v[146:147], v[74:75]
	v_add_f64 v[116:117], v[116:117], v[118:119]
	s_waitcnt vmcnt(46) lgkmcnt(3)
	;; [unrolled: 17-line block ×5, first 2 shown]
	v_mul_f64 v[118:119], v[172:173], v[110:111]
	v_fma_f64 v[4:5], v[168:169], v[100:101], -v[4:5]
	s_waitcnt vmcnt(20)
	v_fmac_f64_e32 v[118:119], v[174:175], v[112:113]
	v_add_f64 v[2:3], v[2:3], v[4:5]
	v_mul_f64 v[4:5], v[174:175], v[110:111]
	v_add_f64 v[116:117], v[116:117], v[118:119]
	s_waitcnt lgkmcnt(2)
	v_mul_f64 v[118:119], v[176:177], v[106:107]
	v_fma_f64 v[4:5], v[172:173], v[112:113], -v[4:5]
	v_fmac_f64_e32 v[118:119], v[178:179], v[108:109]
	v_add_f64 v[2:3], v[2:3], v[4:5]
	v_mul_f64 v[4:5], v[178:179], v[106:107]
	v_add_f64 v[116:117], v[116:117], v[118:119]
	s_waitcnt vmcnt(14) lgkmcnt(1)
	v_mul_f64 v[118:119], v[180:181], v[200:201]
	ds_read_b128 v[188:191], v114 offset:1328
	ds_read_b128 v[192:195], v114 offset:1344
	v_fma_f64 v[4:5], v[176:177], v[108:109], -v[4:5]
	s_waitcnt vmcnt(12)
	v_fmac_f64_e32 v[118:119], v[182:183], v[202:203]
	v_add_f64 v[2:3], v[2:3], v[4:5]
	v_mul_f64 v[4:5], v[182:183], v[200:201]
	v_add_f64 v[116:117], v[116:117], v[118:119]
	s_waitcnt lgkmcnt(2)
	v_mul_f64 v[118:119], v[184:185], v[196:197]
	v_fma_f64 v[4:5], v[180:181], v[202:203], -v[4:5]
	v_fmac_f64_e32 v[118:119], v[186:187], v[198:199]
	v_add_f64 v[2:3], v[2:3], v[4:5]
	v_mul_f64 v[4:5], v[186:187], v[196:197]
	v_add_f64 v[118:119], v[116:117], v[118:119]
	ds_read_b128 v[114:117], v114 offset:1360
	v_fma_f64 v[4:5], v[184:185], v[198:199], -v[4:5]
	v_add_f64 v[2:3], v[2:3], v[4:5]
	s_waitcnt vmcnt(6) lgkmcnt(2)
	v_mul_f64 v[4:5], v[190:191], v[208:209]
	v_mul_f64 v[216:217], v[188:189], v[208:209]
	s_waitcnt vmcnt(4)
	v_fma_f64 v[4:5], v[188:189], v[210:211], -v[4:5]
	v_fmac_f64_e32 v[216:217], v[190:191], v[210:211]
	v_add_f64 v[2:3], v[2:3], v[4:5]
	s_waitcnt lgkmcnt(1)
	v_mul_f64 v[4:5], v[194:195], v[204:205]
	v_add_f64 v[118:119], v[118:119], v[216:217]
	v_mul_f64 v[216:217], v[192:193], v[204:205]
	v_fma_f64 v[4:5], v[192:193], v[206:207], -v[4:5]
	v_fmac_f64_e32 v[216:217], v[194:195], v[206:207]
	v_add_f64 v[2:3], v[2:3], v[4:5]
	s_waitcnt vmcnt(2) lgkmcnt(0)
	v_mul_f64 v[4:5], v[116:117], v[212:213]
	v_add_f64 v[118:119], v[118:119], v[216:217]
	v_mul_f64 v[216:217], v[114:115], v[212:213]
	s_waitcnt vmcnt(0)
	v_fma_f64 v[4:5], v[114:115], v[214:215], -v[4:5]
	v_fmac_f64_e32 v[216:217], v[116:117], v[214:215]
	v_add_f64 v[2:3], v[2:3], v[4:5]
	v_add_f64 v[118:119], v[118:119], v[216:217]
	v_add_f64 v[2:3], v[36:37], -v[2:3]
	v_add_f64 v[4:5], v[34:35], -v[118:119]
	buffer_store_dword v3, off, s[0:3], 0 offset:276
	buffer_store_dword v2, off, s[0:3], 0 offset:272
	;; [unrolled: 1-line block ×4, first 2 shown]
	s_and_saveexec_b64 s[4:5], vcc
	s_cbranch_execz .LBB106_241
; %bb.240:
	v_accvgpr_read_b32 v0, a113
	buffer_load_dword v2, v0, s[0:3], 0 offen
	buffer_load_dword v3, v0, s[0:3], 0 offen offset:4
	buffer_load_dword v4, v0, s[0:3], 0 offen offset:8
	;; [unrolled: 1-line block ×3, first 2 shown]
	v_mov_b32_e32 v0, 0
	v_accvgpr_read_b32 v1, a129
	buffer_store_dword v0, off, s[0:3], 0 offset:256
	buffer_store_dword v0, off, s[0:3], 0 offset:260
	;; [unrolled: 1-line block ×4, first 2 shown]
	s_waitcnt vmcnt(4)
	ds_write_b128 v1, v[2:5]
.LBB106_241:
	s_or_b64 exec, exec, s[4:5]
	s_waitcnt lgkmcnt(0)
	; wave barrier
	s_waitcnt lgkmcnt(0)
	buffer_load_dword v30, off, s[0:3], 0 offset:272
	buffer_load_dword v31, off, s[0:3], 0 offset:276
	;; [unrolled: 1-line block ×56, first 2 shown]
	v_mov_b32_e32 v136, 0
	ds_read_b128 v[26:29], v136 offset:944
	ds_read_b128 v[22:25], v136 offset:960
	;; [unrolled: 1-line block ×7, first 2 shown]
	v_cmp_lt_u32_e32 vcc, 14, v255
	s_waitcnt vmcnt(52) lgkmcnt(6)
	v_mul_f64 v[86:87], v[26:27], v[34:35]
	v_fmac_f64_e32 v[86:87], v[28:29], v[30:31]
	v_add_f64 v[86:87], v[86:87], 0
	v_mul_f64 v[28:29], v[28:29], v[34:35]
	s_waitcnt vmcnt(48) lgkmcnt(5)
	v_mul_f64 v[88:89], v[22:23], v[36:37]
	v_fmac_f64_e32 v[88:89], v[24:25], v[32:33]
	s_waitcnt vmcnt(46) lgkmcnt(4)
	v_mul_f64 v[90:91], v[18:19], v[38:39]
	v_add_f64 v[86:87], v[86:87], v[88:89]
	s_waitcnt vmcnt(44) lgkmcnt(2)
	v_mul_f64 v[94:95], v[10:11], v[40:41]
	v_fma_f64 v[26:27], v[26:27], v[30:31], -v[28:29]
	s_waitcnt vmcnt(42)
	v_fmac_f64_e32 v[94:95], v[12:13], v[42:43]
	v_mul_f64 v[24:25], v[24:25], v[36:37]
	s_waitcnt vmcnt(40)
	v_mul_f64 v[92:93], v[14:15], v[48:49]
	v_add_f64 v[26:27], v[26:27], 0
	v_fma_f64 v[22:23], v[22:23], v[32:33], -v[24:25]
	v_add_f64 v[22:23], v[26:27], v[22:23]
	s_waitcnt vmcnt(36) lgkmcnt(1)
	v_mul_f64 v[110:111], v[6:7], v[54:55]
	v_mul_f64 v[12:13], v[12:13], v[40:41]
	s_waitcnt vmcnt(34)
	v_fmac_f64_e32 v[90:91], v[20:21], v[60:61]
	v_add_f64 v[86:87], v[86:87], v[90:91]
	s_waitcnt vmcnt(32)
	v_fmac_f64_e32 v[92:93], v[16:17], v[58:59]
	v_add_f64 v[86:87], v[86:87], v[92:93]
	v_add_f64 v[116:117], v[86:87], v[94:95]
	buffer_load_dword v87, off, s[0:3], 0 offset:508
	buffer_load_dword v86, off, s[0:3], 0 offset:504
	;; [unrolled: 1-line block ×56, first 2 shown]
	ds_read_b128 v[126:129], v136 offset:1056
	ds_read_b128 v[130:133], v136 offset:1072
	v_mul_f64 v[20:21], v[20:21], v[38:39]
	v_fma_f64 v[18:19], v[18:19], v[60:61], -v[20:21]
	v_mul_f64 v[16:17], v[16:17], v[48:49]
	s_waitcnt vmcnt(62)
	v_fmac_f64_e32 v[110:111], v[8:9], v[56:57]
	v_add_f64 v[18:19], v[22:23], v[18:19]
	v_fma_f64 v[14:15], v[14:15], v[58:59], -v[16:17]
	v_add_f64 v[110:111], v[116:117], v[110:111]
	s_waitcnt lgkmcnt(2)
	v_mul_f64 v[116:117], v[2:3], v[50:51]
	v_add_f64 v[14:15], v[18:19], v[14:15]
	v_fma_f64 v[10:11], v[10:11], v[42:43], -v[12:13]
	v_mul_f64 v[8:9], v[8:9], v[54:55]
	v_fmac_f64_e32 v[116:117], v[4:5], v[52:53]
	ds_read_b128 v[138:141], v136 offset:1088
	ds_read_b128 v[142:145], v136 offset:1104
	v_add_f64 v[10:11], v[14:15], v[10:11]
	v_fma_f64 v[6:7], v[6:7], v[56:57], -v[8:9]
	v_mul_f64 v[4:5], v[4:5], v[50:51]
	v_add_f64 v[6:7], v[10:11], v[6:7]
	v_fma_f64 v[2:3], v[2:3], v[52:53], -v[4:5]
	s_waitcnt lgkmcnt(3)
	v_mul_f64 v[4:5], v[128:129], v[66:67]
	v_add_f64 v[110:111], v[110:111], v[116:117]
	v_mul_f64 v[116:117], v[126:127], v[66:67]
	v_add_f64 v[2:3], v[6:7], v[2:3]
	v_fma_f64 v[4:5], v[126:127], v[68:69], -v[4:5]
	v_fmac_f64_e32 v[116:117], v[128:129], v[68:69]
	v_add_f64 v[2:3], v[2:3], v[4:5]
	s_waitcnt lgkmcnt(2)
	v_mul_f64 v[4:5], v[132:133], v[62:63]
	v_add_f64 v[110:111], v[110:111], v[116:117]
	v_mul_f64 v[116:117], v[130:131], v[62:63]
	ds_read_b128 v[146:149], v136 offset:1120
	ds_read_b128 v[150:153], v136 offset:1136
	v_fma_f64 v[4:5], v[130:131], v[64:65], -v[4:5]
	v_fmac_f64_e32 v[116:117], v[132:133], v[64:65]
	v_add_f64 v[2:3], v[2:3], v[4:5]
	s_waitcnt lgkmcnt(3)
	v_mul_f64 v[4:5], v[140:141], v[74:75]
	v_add_f64 v[110:111], v[110:111], v[116:117]
	v_mul_f64 v[116:117], v[138:139], v[74:75]
	v_fma_f64 v[4:5], v[138:139], v[76:77], -v[4:5]
	v_fmac_f64_e32 v[116:117], v[140:141], v[76:77]
	v_add_f64 v[2:3], v[2:3], v[4:5]
	s_waitcnt lgkmcnt(2)
	v_mul_f64 v[4:5], v[144:145], v[70:71]
	v_add_f64 v[110:111], v[110:111], v[116:117]
	v_mul_f64 v[116:117], v[142:143], v[70:71]
	ds_read_b128 v[154:157], v136 offset:1152
	ds_read_b128 v[158:161], v136 offset:1168
	v_fma_f64 v[4:5], v[142:143], v[72:73], -v[4:5]
	v_fmac_f64_e32 v[116:117], v[144:145], v[72:73]
	v_add_f64 v[2:3], v[2:3], v[4:5]
	s_waitcnt vmcnt(58) lgkmcnt(3)
	v_mul_f64 v[4:5], v[148:149], v[82:83]
	v_add_f64 v[110:111], v[110:111], v[116:117]
	v_mul_f64 v[116:117], v[146:147], v[82:83]
	s_waitcnt vmcnt(56)
	v_fma_f64 v[4:5], v[146:147], v[84:85], -v[4:5]
	v_fmac_f64_e32 v[116:117], v[148:149], v[84:85]
	v_add_f64 v[2:3], v[2:3], v[4:5]
	s_waitcnt lgkmcnt(2)
	v_mul_f64 v[4:5], v[152:153], v[78:79]
	v_add_f64 v[110:111], v[110:111], v[116:117]
	v_mul_f64 v[116:117], v[150:151], v[78:79]
	ds_read_b128 v[162:165], v136 offset:1184
	ds_read_b128 v[166:169], v136 offset:1200
	v_fma_f64 v[4:5], v[150:151], v[80:81], -v[4:5]
	v_fmac_f64_e32 v[116:117], v[152:153], v[80:81]
	v_add_f64 v[2:3], v[2:3], v[4:5]
	s_waitcnt vmcnt(50) lgkmcnt(3)
	v_mul_f64 v[4:5], v[156:157], v[90:91]
	v_add_f64 v[110:111], v[110:111], v[116:117]
	v_mul_f64 v[116:117], v[154:155], v[90:91]
	s_waitcnt vmcnt(48)
	;; [unrolled: 17-line block ×7, first 2 shown]
	v_fma_f64 v[4:5], v[204:205], v[202:203], -v[4:5]
	v_fmac_f64_e32 v[116:117], v[206:207], v[202:203]
	v_add_f64 v[2:3], v[2:3], v[4:5]
	s_waitcnt lgkmcnt(2)
	v_mul_f64 v[4:5], v[210:211], v[196:197]
	v_add_f64 v[110:111], v[110:111], v[116:117]
	v_mul_f64 v[116:117], v[208:209], v[196:197]
	v_fma_f64 v[4:5], v[208:209], v[198:199], -v[4:5]
	v_fmac_f64_e32 v[116:117], v[210:211], v[198:199]
	v_add_f64 v[2:3], v[2:3], v[4:5]
	s_waitcnt vmcnt(2) lgkmcnt(1)
	v_mul_f64 v[4:5], v[214:215], v[224:225]
	v_add_f64 v[110:111], v[110:111], v[116:117]
	v_mul_f64 v[116:117], v[212:213], v[224:225]
	s_waitcnt vmcnt(0)
	v_fma_f64 v[4:5], v[212:213], v[226:227], -v[4:5]
	v_fmac_f64_e32 v[116:117], v[214:215], v[226:227]
	v_add_f64 v[2:3], v[2:3], v[4:5]
	s_waitcnt lgkmcnt(0)
	v_mul_f64 v[4:5], v[218:219], v[220:221]
	v_add_f64 v[110:111], v[110:111], v[116:117]
	v_mul_f64 v[116:117], v[216:217], v[220:221]
	v_fma_f64 v[4:5], v[216:217], v[222:223], -v[4:5]
	v_fmac_f64_e32 v[116:117], v[218:219], v[222:223]
	v_add_f64 v[2:3], v[2:3], v[4:5]
	v_add_f64 v[110:111], v[110:111], v[116:117]
	v_add_f64 v[2:3], v[46:47], -v[2:3]
	v_add_f64 v[4:5], v[44:45], -v[110:111]
	buffer_store_dword v3, off, s[0:3], 0 offset:260
	buffer_store_dword v2, off, s[0:3], 0 offset:256
	;; [unrolled: 1-line block ×4, first 2 shown]
	s_and_saveexec_b64 s[4:5], vcc
	s_cbranch_execz .LBB106_243
; %bb.242:
	v_accvgpr_read_b32 v0, a114
	buffer_load_dword v2, v0, s[0:3], 0 offen
	buffer_load_dword v3, v0, s[0:3], 0 offen offset:4
	buffer_load_dword v4, v0, s[0:3], 0 offen offset:8
	;; [unrolled: 1-line block ×3, first 2 shown]
	v_accvgpr_read_b32 v0, a129
	buffer_store_dword v136, off, s[0:3], 0 offset:240
	buffer_store_dword v136, off, s[0:3], 0 offset:244
	;; [unrolled: 1-line block ×4, first 2 shown]
	s_waitcnt vmcnt(4)
	ds_write_b128 v0, v[2:5]
.LBB106_243:
	s_or_b64 exec, exec, s[4:5]
	s_waitcnt lgkmcnt(0)
	; wave barrier
	s_waitcnt lgkmcnt(0)
	buffer_load_dword v34, off, s[0:3], 0 offset:256
	buffer_load_dword v35, off, s[0:3], 0 offset:260
	;; [unrolled: 1-line block ×32, first 2 shown]
	ds_read_b128 v[30:33], v136 offset:928
	ds_read_b128 v[26:29], v136 offset:944
	;; [unrolled: 1-line block ×8, first 2 shown]
	buffer_load_dword v67, off, s[0:3], 0 offset:396
	buffer_load_dword v66, off, s[0:3], 0 offset:392
	;; [unrolled: 1-line block ×24, first 2 shown]
	v_cmp_lt_u32_e32 vcc, 13, v255
	s_waitcnt vmcnt(52) lgkmcnt(7)
	v_mul_f64 v[90:91], v[30:31], v[38:39]
	v_fmac_f64_e32 v[90:91], v[32:33], v[34:35]
	v_add_f64 v[90:91], v[90:91], 0
	v_mul_f64 v[32:33], v[32:33], v[38:39]
	s_waitcnt vmcnt(48) lgkmcnt(6)
	v_mul_f64 v[92:93], v[26:27], v[40:41]
	v_fmac_f64_e32 v[92:93], v[28:29], v[36:37]
	s_waitcnt vmcnt(46) lgkmcnt(5)
	v_mul_f64 v[94:95], v[22:23], v[42:43]
	v_add_f64 v[90:91], v[90:91], v[92:93]
	s_waitcnt vmcnt(44) lgkmcnt(4)
	v_mul_f64 v[96:97], v[18:19], v[48:49]
	v_fma_f64 v[30:31], v[30:31], v[34:35], -v[32:33]
	s_waitcnt vmcnt(42) lgkmcnt(1)
	v_mul_f64 v[124:125], v[2:3], v[50:51]
	v_mul_f64 v[28:29], v[28:29], v[40:41]
	s_waitcnt vmcnt(18) lgkmcnt(0)
	v_mul_f64 v[140:141], v[14:15], v[70:71]
	v_mul_f64 v[100:101], v[6:7], v[54:55]
	s_waitcnt vmcnt(16)
	v_fmac_f64_e32 v[140:141], v[16:17], v[72:73]
	v_mul_f64 v[98:99], v[10:11], v[56:57]
	v_add_f64 v[30:31], v[30:31], 0
	v_fmac_f64_e32 v[98:99], v[12:13], v[58:59]
	v_fma_f64 v[26:27], v[26:27], v[36:37], -v[28:29]
	v_fmac_f64_e32 v[94:95], v[24:25], v[64:65]
	v_add_f64 v[90:91], v[90:91], v[94:95]
	v_fmac_f64_e32 v[96:97], v[20:21], v[62:63]
	v_add_f64 v[90:91], v[90:91], v[96:97]
	;; [unrolled: 2-line block ×3, first 2 shown]
	v_add_f64 v[126:127], v[90:91], v[100:101]
	buffer_load_dword v91, off, s[0:3], 0 offset:492
	buffer_load_dword v90, off, s[0:3], 0 offset:488
	;; [unrolled: 1-line block ×56, first 2 shown]
	v_fmac_f64_e32 v[124:125], v[4:5], v[52:53]
	v_add_f64 v[138:139], v[126:127], v[124:125]
	ds_read_b128 v[124:127], v136 offset:1056
	buffer_load_dword v229, off, s[0:3], 0 offset:700
	buffer_load_dword v228, off, s[0:3], 0 offset:696
	;; [unrolled: 1-line block ×4, first 2 shown]
	v_add_f64 v[142:143], v[138:139], v[140:141]
	ds_read_b128 v[138:141], v136 offset:1072
	v_mul_f64 v[24:25], v[24:25], v[42:43]
	s_waitcnt lgkmcnt(1)
	v_mul_f64 v[144:145], v[124:125], v[66:67]
	v_fmac_f64_e32 v[144:145], v[126:127], v[68:69]
	v_add_f64 v[146:147], v[142:143], v[144:145]
	ds_read_b128 v[142:145], v136 offset:1088
	s_waitcnt vmcnt(62) lgkmcnt(1)
	v_mul_f64 v[148:149], v[138:139], v[78:79]
	v_fmac_f64_e32 v[148:149], v[140:141], v[80:81]
	v_add_f64 v[150:151], v[146:147], v[148:149]
	ds_read_b128 v[146:149], v136 offset:1104
	s_waitcnt lgkmcnt(1)
	v_mul_f64 v[152:153], v[142:143], v[74:75]
	v_fmac_f64_e32 v[152:153], v[144:145], v[76:77]
	v_add_f64 v[154:155], v[150:151], v[152:153]
	ds_read_b128 v[150:153], v136 offset:1120
	s_waitcnt lgkmcnt(1)
	v_mul_f64 v[156:157], v[146:147], v[86:87]
	s_waitcnt vmcnt(60)
	v_fmac_f64_e32 v[156:157], v[148:149], v[88:89]
	v_add_f64 v[158:159], v[154:155], v[156:157]
	ds_read_b128 v[154:157], v136 offset:1136
	s_waitcnt lgkmcnt(1)
	v_mul_f64 v[160:161], v[150:151], v[82:83]
	v_fmac_f64_e32 v[160:161], v[152:153], v[84:85]
	v_add_f64 v[162:163], v[158:159], v[160:161]
	ds_read_b128 v[158:161], v136 offset:1152
	v_add_f64 v[26:27], v[30:31], v[26:27]
	v_fma_f64 v[22:23], v[22:23], v[64:65], -v[24:25]
	s_waitcnt vmcnt(54) lgkmcnt(1)
	v_mul_f64 v[164:165], v[154:155], v[94:95]
	v_mul_f64 v[20:21], v[20:21], v[48:49]
	s_waitcnt vmcnt(52)
	v_fmac_f64_e32 v[164:165], v[156:157], v[96:97]
	v_add_f64 v[166:167], v[162:163], v[164:165]
	ds_read_b128 v[162:165], v136 offset:1168
	s_waitcnt lgkmcnt(1)
	v_mul_f64 v[168:169], v[158:159], v[90:91]
	v_fmac_f64_e32 v[168:169], v[160:161], v[92:93]
	v_add_f64 v[22:23], v[26:27], v[22:23]
	v_fma_f64 v[18:19], v[18:19], v[62:63], -v[20:21]
	v_mul_f64 v[12:13], v[12:13], v[56:57]
	v_add_f64 v[170:171], v[166:167], v[168:169]
	ds_read_b128 v[166:169], v136 offset:1184
	v_add_f64 v[18:19], v[22:23], v[18:19]
	v_fma_f64 v[10:11], v[10:11], v[58:59], -v[12:13]
	v_mul_f64 v[8:9], v[8:9], v[54:55]
	v_add_f64 v[10:11], v[18:19], v[10:11]
	v_fma_f64 v[6:7], v[6:7], v[60:61], -v[8:9]
	v_mul_f64 v[4:5], v[4:5], v[50:51]
	;; [unrolled: 3-line block ×3, first 2 shown]
	s_waitcnt vmcnt(46) lgkmcnt(1)
	v_mul_f64 v[172:173], v[162:163], v[102:103]
	v_add_f64 v[2:3], v[6:7], v[2:3]
	v_fma_f64 v[4:5], v[14:15], v[72:73], -v[4:5]
	s_waitcnt vmcnt(44)
	v_fmac_f64_e32 v[172:173], v[164:165], v[104:105]
	v_add_f64 v[2:3], v[2:3], v[4:5]
	v_mul_f64 v[4:5], v[126:127], v[66:67]
	v_add_f64 v[174:175], v[170:171], v[172:173]
	ds_read_b128 v[170:173], v136 offset:1200
	s_waitcnt lgkmcnt(1)
	v_mul_f64 v[176:177], v[166:167], v[98:99]
	v_fma_f64 v[4:5], v[124:125], v[68:69], -v[4:5]
	v_fmac_f64_e32 v[176:177], v[168:169], v[100:101]
	v_add_f64 v[2:3], v[2:3], v[4:5]
	v_mul_f64 v[4:5], v[140:141], v[78:79]
	v_add_f64 v[178:179], v[174:175], v[176:177]
	ds_read_b128 v[174:177], v136 offset:1216
	v_fma_f64 v[4:5], v[138:139], v[80:81], -v[4:5]
	v_add_f64 v[2:3], v[2:3], v[4:5]
	v_mul_f64 v[4:5], v[144:145], v[74:75]
	v_fma_f64 v[4:5], v[142:143], v[76:77], -v[4:5]
	s_waitcnt vmcnt(38) lgkmcnt(1)
	v_mul_f64 v[180:181], v[170:171], v[110:111]
	v_add_f64 v[2:3], v[2:3], v[4:5]
	v_mul_f64 v[4:5], v[148:149], v[86:87]
	s_waitcnt vmcnt(36)
	v_fmac_f64_e32 v[180:181], v[172:173], v[112:113]
	v_fma_f64 v[4:5], v[146:147], v[88:89], -v[4:5]
	v_add_f64 v[182:183], v[178:179], v[180:181]
	ds_read_b128 v[178:181], v136 offset:1232
	s_waitcnt lgkmcnt(1)
	v_mul_f64 v[184:185], v[174:175], v[106:107]
	v_add_f64 v[2:3], v[2:3], v[4:5]
	v_mul_f64 v[4:5], v[152:153], v[82:83]
	v_fmac_f64_e32 v[184:185], v[176:177], v[108:109]
	v_fma_f64 v[4:5], v[150:151], v[84:85], -v[4:5]
	v_add_f64 v[186:187], v[182:183], v[184:185]
	ds_read_b128 v[182:185], v136 offset:1248
	v_add_f64 v[2:3], v[2:3], v[4:5]
	v_mul_f64 v[4:5], v[156:157], v[94:95]
	v_fma_f64 v[4:5], v[154:155], v[96:97], -v[4:5]
	v_add_f64 v[2:3], v[2:3], v[4:5]
	v_mul_f64 v[4:5], v[160:161], v[90:91]
	s_waitcnt vmcnt(30) lgkmcnt(1)
	v_mul_f64 v[188:189], v[178:179], v[120:121]
	v_fma_f64 v[4:5], v[158:159], v[92:93], -v[4:5]
	s_waitcnt vmcnt(28)
	v_fmac_f64_e32 v[188:189], v[180:181], v[122:123]
	v_add_f64 v[2:3], v[2:3], v[4:5]
	v_mul_f64 v[4:5], v[164:165], v[102:103]
	v_add_f64 v[190:191], v[186:187], v[188:189]
	ds_read_b128 v[186:189], v136 offset:1264
	s_waitcnt lgkmcnt(1)
	v_mul_f64 v[192:193], v[182:183], v[114:115]
	v_fma_f64 v[4:5], v[162:163], v[104:105], -v[4:5]
	v_fmac_f64_e32 v[192:193], v[184:185], v[116:117]
	v_add_f64 v[2:3], v[2:3], v[4:5]
	v_mul_f64 v[4:5], v[168:169], v[98:99]
	v_add_f64 v[204:205], v[190:191], v[192:193]
	ds_read_b128 v[190:193], v136 offset:1280
	v_fma_f64 v[4:5], v[166:167], v[100:101], -v[4:5]
	v_add_f64 v[2:3], v[2:3], v[4:5]
	v_mul_f64 v[4:5], v[172:173], v[110:111]
	v_fma_f64 v[4:5], v[170:171], v[112:113], -v[4:5]
	s_waitcnt vmcnt(22) lgkmcnt(1)
	v_mul_f64 v[206:207], v[186:187], v[132:133]
	v_add_f64 v[2:3], v[2:3], v[4:5]
	v_mul_f64 v[4:5], v[176:177], v[106:107]
	s_waitcnt vmcnt(20)
	v_fmac_f64_e32 v[206:207], v[188:189], v[134:135]
	v_fma_f64 v[4:5], v[174:175], v[108:109], -v[4:5]
	v_add_f64 v[208:209], v[204:205], v[206:207]
	ds_read_b128 v[204:207], v136 offset:1296
	s_waitcnt lgkmcnt(1)
	v_mul_f64 v[210:211], v[190:191], v[128:129]
	v_add_f64 v[2:3], v[2:3], v[4:5]
	v_mul_f64 v[4:5], v[180:181], v[120:121]
	v_fmac_f64_e32 v[210:211], v[192:193], v[130:131]
	v_fma_f64 v[4:5], v[178:179], v[122:123], -v[4:5]
	v_add_f64 v[212:213], v[208:209], v[210:211]
	ds_read_b128 v[208:211], v136 offset:1312
	v_add_f64 v[2:3], v[2:3], v[4:5]
	v_mul_f64 v[4:5], v[184:185], v[114:115]
	v_fma_f64 v[4:5], v[182:183], v[116:117], -v[4:5]
	v_add_f64 v[2:3], v[2:3], v[4:5]
	v_mul_f64 v[4:5], v[188:189], v[132:133]
	s_waitcnt vmcnt(14) lgkmcnt(1)
	v_mul_f64 v[214:215], v[204:205], v[196:197]
	v_fma_f64 v[4:5], v[186:187], v[134:135], -v[4:5]
	s_waitcnt vmcnt(12)
	v_fmac_f64_e32 v[214:215], v[206:207], v[198:199]
	v_add_f64 v[2:3], v[2:3], v[4:5]
	v_mul_f64 v[4:5], v[192:193], v[128:129]
	v_add_f64 v[216:217], v[212:213], v[214:215]
	ds_read_b128 v[212:215], v136 offset:1328
	s_waitcnt lgkmcnt(1)
	v_mul_f64 v[218:219], v[208:209], v[118:119]
	v_fma_f64 v[4:5], v[190:191], v[130:131], -v[4:5]
	v_fmac_f64_e32 v[218:219], v[210:211], v[194:195]
	v_add_f64 v[2:3], v[2:3], v[4:5]
	v_mul_f64 v[4:5], v[206:207], v[196:197]
	v_add_f64 v[232:233], v[216:217], v[218:219]
	ds_read_b128 v[216:219], v136 offset:1344
	v_fma_f64 v[4:5], v[204:205], v[198:199], -v[4:5]
	v_add_f64 v[2:3], v[2:3], v[4:5]
	v_mul_f64 v[4:5], v[210:211], v[118:119]
	ds_read_b128 v[220:223], v136 offset:1360
	v_fma_f64 v[4:5], v[208:209], v[194:195], -v[4:5]
	v_add_f64 v[2:3], v[2:3], v[4:5]
	s_waitcnt vmcnt(6) lgkmcnt(2)
	v_mul_f64 v[4:5], v[214:215], v[224:225]
	v_mul_f64 v[234:235], v[212:213], v[224:225]
	s_waitcnt vmcnt(4)
	v_fma_f64 v[4:5], v[212:213], v[226:227], -v[4:5]
	v_fmac_f64_e32 v[234:235], v[214:215], v[226:227]
	v_add_f64 v[2:3], v[2:3], v[4:5]
	s_waitcnt lgkmcnt(1)
	v_mul_f64 v[4:5], v[218:219], v[200:201]
	v_add_f64 v[136:137], v[232:233], v[234:235]
	v_mul_f64 v[232:233], v[216:217], v[200:201]
	v_fma_f64 v[4:5], v[216:217], v[202:203], -v[4:5]
	v_fmac_f64_e32 v[232:233], v[218:219], v[202:203]
	v_add_f64 v[2:3], v[2:3], v[4:5]
	s_waitcnt vmcnt(2) lgkmcnt(0)
	v_mul_f64 v[4:5], v[222:223], v[228:229]
	v_add_f64 v[136:137], v[136:137], v[232:233]
	v_mul_f64 v[232:233], v[220:221], v[228:229]
	s_waitcnt vmcnt(0)
	v_fma_f64 v[4:5], v[220:221], v[230:231], -v[4:5]
	v_fmac_f64_e32 v[232:233], v[222:223], v[230:231]
	v_add_f64 v[2:3], v[2:3], v[4:5]
	v_add_f64 v[136:137], v[136:137], v[232:233]
	v_add_f64 v[2:3], v[46:47], -v[2:3]
	v_add_f64 v[4:5], v[44:45], -v[136:137]
	buffer_store_dword v3, off, s[0:3], 0 offset:244
	buffer_store_dword v2, off, s[0:3], 0 offset:240
	;; [unrolled: 1-line block ×4, first 2 shown]
	s_and_saveexec_b64 s[4:5], vcc
	s_cbranch_execz .LBB106_245
; %bb.244:
	v_accvgpr_read_b32 v0, a115
	buffer_load_dword v2, v0, s[0:3], 0 offen
	buffer_load_dword v3, v0, s[0:3], 0 offen offset:4
	buffer_load_dword v4, v0, s[0:3], 0 offen offset:8
	;; [unrolled: 1-line block ×3, first 2 shown]
	v_mov_b32_e32 v0, 0
	v_accvgpr_read_b32 v1, a129
	buffer_store_dword v0, off, s[0:3], 0 offset:224
	buffer_store_dword v0, off, s[0:3], 0 offset:228
	;; [unrolled: 1-line block ×4, first 2 shown]
	s_waitcnt vmcnt(4)
	ds_write_b128 v1, v[2:5]
.LBB106_245:
	s_or_b64 exec, exec, s[4:5]
	s_waitcnt lgkmcnt(0)
	; wave barrier
	s_waitcnt lgkmcnt(0)
	buffer_load_dword v38, off, s[0:3], 0 offset:240
	buffer_load_dword v39, off, s[0:3], 0 offset:244
	;; [unrolled: 1-line block ×48, first 2 shown]
	v_mov_b32_e32 v152, 0
	ds_read_b128 v[34:37], v152 offset:912
	ds_read_b128 v[30:33], v152 offset:928
	;; [unrolled: 1-line block ×9, first 2 shown]
	v_cmp_lt_u32_e32 vcc, 12, v255
	s_waitcnt vmcnt(44) lgkmcnt(8)
	v_mul_f64 v[86:87], v[34:35], v[42:43]
	v_fmac_f64_e32 v[86:87], v[36:37], v[38:39]
	v_add_f64 v[86:87], v[86:87], 0
	v_mul_f64 v[36:37], v[36:37], v[42:43]
	s_waitcnt vmcnt(40) lgkmcnt(7)
	v_mul_f64 v[88:89], v[30:31], v[44:45]
	v_fmac_f64_e32 v[88:89], v[32:33], v[40:41]
	s_waitcnt vmcnt(38) lgkmcnt(6)
	v_mul_f64 v[90:91], v[26:27], v[46:47]
	v_add_f64 v[86:87], v[86:87], v[88:89]
	s_waitcnt vmcnt(36) lgkmcnt(4)
	v_mul_f64 v[94:95], v[18:19], v[48:49]
	v_fma_f64 v[34:35], v[34:35], v[38:39], -v[36:37]
	s_waitcnt vmcnt(34)
	v_fmac_f64_e32 v[94:95], v[20:21], v[50:51]
	v_mul_f64 v[32:33], v[32:33], v[44:45]
	s_waitcnt vmcnt(32)
	v_mul_f64 v[92:93], v[22:23], v[52:53]
	v_add_f64 v[34:35], v[34:35], 0
	s_waitcnt vmcnt(30) lgkmcnt(2)
	v_mul_f64 v[98:99], v[10:11], v[54:55]
	v_fma_f64 v[30:31], v[30:31], v[40:41], -v[32:33]
	s_waitcnt vmcnt(28)
	v_fmac_f64_e32 v[98:99], v[12:13], v[56:57]
	v_add_f64 v[30:31], v[34:35], v[30:31]
	s_waitcnt vmcnt(26)
	v_mul_f64 v[96:97], v[14:15], v[58:59]
	v_mul_f64 v[20:21], v[20:21], v[48:49]
	v_fma_f64 v[18:19], v[18:19], v[50:51], -v[20:21]
	v_mul_f64 v[12:13], v[12:13], v[54:55]
	s_waitcnt vmcnt(22) lgkmcnt(1)
	v_mul_f64 v[110:111], v[6:7], v[68:69]
	v_fma_f64 v[10:11], v[10:11], v[56:57], -v[12:13]
	s_waitcnt vmcnt(20)
	v_fmac_f64_e32 v[90:91], v[28:29], v[76:77]
	v_add_f64 v[86:87], v[86:87], v[90:91]
	s_waitcnt vmcnt(18)
	v_fmac_f64_e32 v[92:93], v[24:25], v[74:75]
	v_add_f64 v[86:87], v[86:87], v[92:93]
	;; [unrolled: 3-line block ×3, first 2 shown]
	v_add_f64 v[86:87], v[86:87], v[96:97]
	v_add_f64 v[112:113], v[86:87], v[98:99]
	buffer_load_dword v87, off, s[0:3], 0 offset:444
	buffer_load_dword v86, off, s[0:3], 0 offset:440
	;; [unrolled: 1-line block ×72, first 2 shown]
	s_waitcnt vmcnt(62)
	v_fmac_f64_e32 v[110:111], v[8:9], v[70:71]
	v_add_f64 v[144:145], v[112:113], v[110:111]
	ds_read_b128 v[110:113], v152 offset:1056
	s_waitcnt lgkmcnt(1)
	v_mul_f64 v[146:147], v[2:3], v[64:65]
	v_fmac_f64_e32 v[146:147], v[4:5], v[66:67]
	v_add_f64 v[148:149], v[144:145], v[146:147]
	ds_read_b128 v[144:147], v152 offset:1072
	s_waitcnt lgkmcnt(1)
	v_mul_f64 v[150:151], v[110:111], v[82:83]
	;; [unrolled: 5-line block ×5, first 2 shown]
	v_fmac_f64_e32 v[164:165], v[156:157], v[88:89]
	v_add_f64 v[166:167], v[162:163], v[164:165]
	ds_read_b128 v[162:165], v152 offset:1136
	s_waitcnt vmcnt(58) lgkmcnt(1)
	v_mul_f64 v[168:169], v[158:159], v[98:99]
	s_waitcnt vmcnt(56)
	v_fmac_f64_e32 v[168:169], v[160:161], v[100:101]
	v_add_f64 v[170:171], v[166:167], v[168:169]
	ds_read_b128 v[166:169], v152 offset:1152
	s_waitcnt lgkmcnt(1)
	v_mul_f64 v[172:173], v[162:163], v[94:95]
	v_fmac_f64_e32 v[172:173], v[164:165], v[96:97]
	v_mul_f64 v[28:29], v[28:29], v[46:47]
	v_add_f64 v[174:175], v[170:171], v[172:173]
	ds_read_b128 v[170:173], v152 offset:1168
	s_waitcnt vmcnt(50) lgkmcnt(1)
	v_mul_f64 v[176:177], v[166:167], v[106:107]
	v_fma_f64 v[26:27], v[26:27], v[76:77], -v[28:29]
	v_mul_f64 v[24:25], v[24:25], v[52:53]
	s_waitcnt vmcnt(48)
	v_fmac_f64_e32 v[176:177], v[168:169], v[108:109]
	v_add_f64 v[26:27], v[30:31], v[26:27]
	v_fma_f64 v[22:23], v[22:23], v[74:75], -v[24:25]
	v_add_f64 v[178:179], v[174:175], v[176:177]
	ds_read_b128 v[174:177], v152 offset:1184
	v_add_f64 v[22:23], v[26:27], v[22:23]
	v_mul_f64 v[16:17], v[16:17], v[58:59]
	v_add_f64 v[18:19], v[22:23], v[18:19]
	v_fma_f64 v[14:15], v[14:15], v[72:73], -v[16:17]
	v_add_f64 v[14:15], v[18:19], v[14:15]
	v_mul_f64 v[8:9], v[8:9], v[68:69]
	s_waitcnt lgkmcnt(1)
	v_mul_f64 v[180:181], v[170:171], v[102:103]
	v_add_f64 v[10:11], v[14:15], v[10:11]
	v_fma_f64 v[6:7], v[6:7], v[70:71], -v[8:9]
	v_mul_f64 v[4:5], v[4:5], v[64:65]
	v_fmac_f64_e32 v[180:181], v[172:173], v[104:105]
	v_add_f64 v[6:7], v[10:11], v[6:7]
	v_fma_f64 v[2:3], v[2:3], v[66:67], -v[4:5]
	v_mul_f64 v[4:5], v[112:113], v[82:83]
	v_add_f64 v[182:183], v[178:179], v[180:181]
	ds_read_b128 v[178:181], v152 offset:1200
	s_waitcnt vmcnt(42) lgkmcnt(1)
	v_mul_f64 v[184:185], v[174:175], v[120:121]
	v_add_f64 v[2:3], v[6:7], v[2:3]
	v_fma_f64 v[4:5], v[110:111], v[84:85], -v[4:5]
	s_waitcnt vmcnt(40)
	v_fmac_f64_e32 v[184:185], v[176:177], v[122:123]
	v_add_f64 v[2:3], v[2:3], v[4:5]
	v_mul_f64 v[4:5], v[146:147], v[78:79]
	v_add_f64 v[186:187], v[182:183], v[184:185]
	ds_read_b128 v[182:185], v152 offset:1216
	v_fma_f64 v[4:5], v[144:145], v[80:81], -v[4:5]
	v_add_f64 v[2:3], v[2:3], v[4:5]
	v_mul_f64 v[4:5], v[150:151], v[90:91]
	v_fma_f64 v[4:5], v[148:149], v[92:93], -v[4:5]
	s_waitcnt lgkmcnt(1)
	v_mul_f64 v[188:189], v[178:179], v[114:115]
	v_add_f64 v[2:3], v[2:3], v[4:5]
	v_mul_f64 v[4:5], v[156:157], v[86:87]
	v_fmac_f64_e32 v[188:189], v[180:181], v[116:117]
	v_fma_f64 v[4:5], v[154:155], v[88:89], -v[4:5]
	v_add_f64 v[190:191], v[186:187], v[188:189]
	ds_read_b128 v[186:189], v152 offset:1232
	s_waitcnt vmcnt(34) lgkmcnt(1)
	v_mul_f64 v[192:193], v[182:183], v[128:129]
	v_add_f64 v[2:3], v[2:3], v[4:5]
	v_mul_f64 v[4:5], v[160:161], v[98:99]
	s_waitcnt vmcnt(32)
	v_fmac_f64_e32 v[192:193], v[184:185], v[130:131]
	v_fma_f64 v[4:5], v[158:159], v[100:101], -v[4:5]
	v_add_f64 v[204:205], v[190:191], v[192:193]
	ds_read_b128 v[190:193], v152 offset:1248
	v_add_f64 v[2:3], v[2:3], v[4:5]
	v_mul_f64 v[4:5], v[164:165], v[94:95]
	v_fma_f64 v[4:5], v[162:163], v[96:97], -v[4:5]
	v_add_f64 v[2:3], v[2:3], v[4:5]
	v_mul_f64 v[4:5], v[168:169], v[106:107]
	s_waitcnt lgkmcnt(1)
	v_mul_f64 v[206:207], v[186:187], v[124:125]
	v_fma_f64 v[4:5], v[166:167], v[108:109], -v[4:5]
	v_fmac_f64_e32 v[206:207], v[188:189], v[126:127]
	v_add_f64 v[2:3], v[2:3], v[4:5]
	v_mul_f64 v[4:5], v[172:173], v[102:103]
	v_add_f64 v[208:209], v[204:205], v[206:207]
	ds_read_b128 v[204:207], v152 offset:1264
	s_waitcnt vmcnt(26) lgkmcnt(1)
	v_mul_f64 v[210:211], v[190:191], v[136:137]
	v_fma_f64 v[4:5], v[170:171], v[104:105], -v[4:5]
	s_waitcnt vmcnt(24)
	v_fmac_f64_e32 v[210:211], v[192:193], v[138:139]
	v_add_f64 v[2:3], v[2:3], v[4:5]
	v_mul_f64 v[4:5], v[176:177], v[120:121]
	v_add_f64 v[212:213], v[208:209], v[210:211]
	ds_read_b128 v[208:211], v152 offset:1280
	v_fma_f64 v[4:5], v[174:175], v[122:123], -v[4:5]
	v_add_f64 v[2:3], v[2:3], v[4:5]
	v_mul_f64 v[4:5], v[180:181], v[114:115]
	v_fma_f64 v[4:5], v[178:179], v[116:117], -v[4:5]
	s_waitcnt lgkmcnt(1)
	v_mul_f64 v[214:215], v[204:205], v[132:133]
	v_add_f64 v[2:3], v[2:3], v[4:5]
	v_mul_f64 v[4:5], v[184:185], v[128:129]
	v_fmac_f64_e32 v[214:215], v[206:207], v[134:135]
	v_fma_f64 v[4:5], v[182:183], v[130:131], -v[4:5]
	v_add_f64 v[216:217], v[212:213], v[214:215]
	ds_read_b128 v[212:215], v152 offset:1296
	s_waitcnt vmcnt(18) lgkmcnt(1)
	v_mul_f64 v[218:219], v[208:209], v[118:119]
	v_add_f64 v[2:3], v[2:3], v[4:5]
	v_mul_f64 v[4:5], v[188:189], v[124:125]
	s_waitcnt vmcnt(16)
	v_fmac_f64_e32 v[218:219], v[210:211], v[194:195]
	v_fma_f64 v[4:5], v[186:187], v[126:127], -v[4:5]
	v_add_f64 v[220:221], v[216:217], v[218:219]
	ds_read_b128 v[216:219], v152 offset:1312
	v_add_f64 v[2:3], v[2:3], v[4:5]
	v_mul_f64 v[4:5], v[192:193], v[136:137]
	v_fma_f64 v[4:5], v[190:191], v[138:139], -v[4:5]
	v_add_f64 v[2:3], v[2:3], v[4:5]
	v_mul_f64 v[4:5], v[206:207], v[132:133]
	s_waitcnt lgkmcnt(1)
	v_mul_f64 v[222:223], v[212:213], v[140:141]
	v_fma_f64 v[4:5], v[204:205], v[134:135], -v[4:5]
	v_fmac_f64_e32 v[222:223], v[214:215], v[142:143]
	v_add_f64 v[2:3], v[2:3], v[4:5]
	v_mul_f64 v[4:5], v[210:211], v[118:119]
	v_add_f64 v[224:225], v[220:221], v[222:223]
	ds_read_b128 v[220:223], v152 offset:1328
	s_waitcnt vmcnt(10) lgkmcnt(1)
	v_mul_f64 v[226:227], v[216:217], v[200:201]
	v_fma_f64 v[4:5], v[208:209], v[194:195], -v[4:5]
	s_waitcnt vmcnt(8)
	v_fmac_f64_e32 v[226:227], v[218:219], v[202:203]
	v_add_f64 v[2:3], v[2:3], v[4:5]
	v_mul_f64 v[4:5], v[214:215], v[140:141]
	v_add_f64 v[240:241], v[224:225], v[226:227]
	ds_read_b128 v[224:227], v152 offset:1344
	ds_read_b128 v[228:231], v152 offset:1360
	v_fma_f64 v[4:5], v[212:213], v[142:143], -v[4:5]
	v_add_f64 v[2:3], v[2:3], v[4:5]
	v_mul_f64 v[4:5], v[218:219], v[200:201]
	v_fma_f64 v[4:5], v[216:217], v[202:203], -v[4:5]
	v_add_f64 v[2:3], v[2:3], v[4:5]
	s_waitcnt lgkmcnt(2)
	v_mul_f64 v[4:5], v[222:223], v[196:197]
	v_mul_f64 v[242:243], v[220:221], v[196:197]
	v_fma_f64 v[4:5], v[220:221], v[198:199], -v[4:5]
	v_fmac_f64_e32 v[242:243], v[222:223], v[198:199]
	v_add_f64 v[2:3], v[2:3], v[4:5]
	s_waitcnt vmcnt(2) lgkmcnt(1)
	v_mul_f64 v[4:5], v[226:227], v[236:237]
	v_add_f64 v[240:241], v[240:241], v[242:243]
	v_mul_f64 v[242:243], v[224:225], v[236:237]
	s_waitcnt vmcnt(0)
	v_fma_f64 v[4:5], v[224:225], v[238:239], -v[4:5]
	v_fmac_f64_e32 v[242:243], v[226:227], v[238:239]
	v_add_f64 v[2:3], v[2:3], v[4:5]
	s_waitcnt lgkmcnt(0)
	v_mul_f64 v[4:5], v[230:231], v[232:233]
	v_add_f64 v[240:241], v[240:241], v[242:243]
	v_mul_f64 v[242:243], v[228:229], v[232:233]
	v_fma_f64 v[4:5], v[228:229], v[234:235], -v[4:5]
	v_fmac_f64_e32 v[242:243], v[230:231], v[234:235]
	v_add_f64 v[2:3], v[2:3], v[4:5]
	v_add_f64 v[240:241], v[240:241], v[242:243]
	v_add_f64 v[2:3], v[62:63], -v[2:3]
	v_add_f64 v[4:5], v[60:61], -v[240:241]
	buffer_store_dword v3, off, s[0:3], 0 offset:228
	buffer_store_dword v2, off, s[0:3], 0 offset:224
	;; [unrolled: 1-line block ×4, first 2 shown]
	s_and_saveexec_b64 s[4:5], vcc
	s_cbranch_execz .LBB106_247
; %bb.246:
	v_accvgpr_read_b32 v0, a116
	buffer_load_dword v2, v0, s[0:3], 0 offen
	buffer_load_dword v3, v0, s[0:3], 0 offen offset:4
	buffer_load_dword v4, v0, s[0:3], 0 offen offset:8
	buffer_load_dword v5, v0, s[0:3], 0 offen offset:12
	v_accvgpr_read_b32 v0, a129
	buffer_store_dword v152, off, s[0:3], 0 offset:208
	buffer_store_dword v152, off, s[0:3], 0 offset:212
	;; [unrolled: 1-line block ×4, first 2 shown]
	s_waitcnt vmcnt(4)
	ds_write_b128 v0, v[2:5]
.LBB106_247:
	s_or_b64 exec, exec, s[4:5]
	s_waitcnt lgkmcnt(0)
	; wave barrier
	s_waitcnt lgkmcnt(0)
	buffer_load_dword v48, off, s[0:3], 0 offset:224
	buffer_load_dword v49, off, s[0:3], 0 offset:228
	;; [unrolled: 1-line block ×40, first 2 shown]
	ds_read_b128 v[38:41], v152 offset:896
	ds_read_b128 v[34:37], v152 offset:912
	;; [unrolled: 1-line block ×10, first 2 shown]
	buffer_load_dword v83, off, s[0:3], 0 offset:396
	buffer_load_dword v82, off, s[0:3], 0 offset:392
	buffer_load_dword v85, off, s[0:3], 0 offset:388
	buffer_load_dword v84, off, s[0:3], 0 offset:384
	buffer_load_dword v87, off, s[0:3], 0 offset:380
	buffer_load_dword v86, off, s[0:3], 0 offset:376
	buffer_load_dword v89, off, s[0:3], 0 offset:372
	buffer_load_dword v88, off, s[0:3], 0 offset:368
	v_cmp_lt_u32_e32 vcc, 11, v255
	s_waitcnt vmcnt(44) lgkmcnt(9)
	v_mul_f64 v[90:91], v[38:39], v[50:51]
	v_fmac_f64_e32 v[90:91], v[40:41], v[48:49]
	v_add_f64 v[90:91], v[90:91], 0
	v_mul_f64 v[40:41], v[40:41], v[50:51]
	s_waitcnt vmcnt(40) lgkmcnt(8)
	v_mul_f64 v[92:93], v[34:35], v[44:45]
	v_fmac_f64_e32 v[92:93], v[36:37], v[42:43]
	s_waitcnt vmcnt(38) lgkmcnt(7)
	v_mul_f64 v[94:95], v[30:31], v[46:47]
	v_add_f64 v[90:91], v[90:91], v[92:93]
	s_waitcnt vmcnt(36) lgkmcnt(5)
	v_mul_f64 v[98:99], v[22:23], v[52:53]
	v_mul_f64 v[36:37], v[36:37], v[44:45]
	s_waitcnt vmcnt(34)
	v_fmac_f64_e32 v[98:99], v[24:25], v[54:55]
	v_fma_f64 v[34:35], v[34:35], v[42:43], -v[36:37]
	s_waitcnt vmcnt(32)
	v_mul_f64 v[96:97], v[26:27], v[56:57]
	v_mul_f64 v[24:25], v[24:25], v[52:53]
	s_waitcnt vmcnt(30) lgkmcnt(4)
	v_mul_f64 v[100:101], v[18:19], v[62:63]
	v_fma_f64 v[22:23], v[22:23], v[54:55], -v[24:25]
	s_waitcnt vmcnt(28) lgkmcnt(1)
	v_mul_f64 v[124:125], v[2:3], v[64:65]
	s_waitcnt vmcnt(25)
	v_mul_f64 v[104:105], v[6:7], v[68:69]
	s_waitcnt vmcnt(23)
	;; [unrolled: 2-line block ×3, first 2 shown]
	v_fmac_f64_e32 v[102:103], v[12:13], v[72:73]
	v_mul_f64 v[12:13], v[12:13], v[70:71]
	s_waitcnt vmcnt(19)
	v_fmac_f64_e32 v[94:95], v[32:33], v[80:81]
	v_add_f64 v[90:91], v[90:91], v[94:95]
	s_waitcnt vmcnt(17)
	v_fmac_f64_e32 v[96:97], v[28:29], v[78:79]
	v_add_f64 v[90:91], v[90:91], v[96:97]
	;; [unrolled: 3-line block ×3, first 2 shown]
	v_add_f64 v[90:91], v[90:91], v[100:101]
	s_waitcnt vmcnt(13)
	v_fmac_f64_e32 v[104:105], v[8:9], v[74:75]
	v_add_f64 v[90:91], v[90:91], v[102:103]
	v_add_f64 v[126:127], v[90:91], v[104:105]
	buffer_load_dword v91, off, s[0:3], 0 offset:428
	buffer_load_dword v90, off, s[0:3], 0 offset:424
	;; [unrolled: 1-line block ×72, first 2 shown]
	s_waitcnt vmcnt(62)
	v_fmac_f64_e32 v[124:125], v[4:5], v[66:67]
	v_add_f64 v[154:155], v[126:127], v[124:125]
	ds_read_b128 v[124:127], v152 offset:1056
	buffer_load_dword v237, off, s[0:3], 0 offset:700
	buffer_load_dword v236, off, s[0:3], 0 offset:696
	;; [unrolled: 1-line block ×4, first 2 shown]
	s_waitcnt lgkmcnt(1)
	v_mul_f64 v[156:157], v[14:15], v[86:87]
	v_fmac_f64_e32 v[156:157], v[16:17], v[88:89]
	v_add_f64 v[158:159], v[154:155], v[156:157]
	ds_read_b128 v[154:157], v152 offset:1072
	s_waitcnt lgkmcnt(1)
	v_mul_f64 v[160:161], v[124:125], v[82:83]
	v_fmac_f64_e32 v[160:161], v[126:127], v[84:85]
	v_add_f64 v[162:163], v[158:159], v[160:161]
	ds_read_b128 v[158:161], v152 offset:1088
	v_mul_f64 v[32:33], v[32:33], v[46:47]
	s_waitcnt lgkmcnt(1)
	v_mul_f64 v[164:165], v[154:155], v[94:95]
	v_fma_f64 v[30:31], v[30:31], v[80:81], -v[32:33]
	v_fmac_f64_e32 v[164:165], v[156:157], v[96:97]
	v_add_f64 v[166:167], v[162:163], v[164:165]
	ds_read_b128 v[162:165], v152 offset:1104
	s_waitcnt lgkmcnt(1)
	v_mul_f64 v[168:169], v[158:159], v[90:91]
	v_fmac_f64_e32 v[168:169], v[160:161], v[92:93]
	v_add_f64 v[170:171], v[166:167], v[168:169]
	ds_read_b128 v[166:169], v152 offset:1120
	s_waitcnt vmcnt(62) lgkmcnt(1)
	v_mul_f64 v[172:173], v[162:163], v[102:103]
	s_waitcnt vmcnt(60)
	v_fmac_f64_e32 v[172:173], v[164:165], v[104:105]
	v_add_f64 v[174:175], v[170:171], v[172:173]
	ds_read_b128 v[170:173], v152 offset:1136
	s_waitcnt lgkmcnt(1)
	v_mul_f64 v[176:177], v[166:167], v[98:99]
	v_fmac_f64_e32 v[176:177], v[168:169], v[100:101]
	v_add_f64 v[178:179], v[174:175], v[176:177]
	ds_read_b128 v[174:177], v152 offset:1152
	s_waitcnt vmcnt(54) lgkmcnt(1)
	v_mul_f64 v[180:181], v[170:171], v[110:111]
	s_waitcnt vmcnt(52)
	;; [unrolled: 11-line block ×7, first 2 shown]
	v_fmac_f64_e32 v[230:231], v[222:223], v[198:199]
	v_add_f64 v[240:241], v[228:229], v[230:231]
	ds_read_b128 v[228:231], v152 offset:1328
	s_waitcnt lgkmcnt(1)
	v_mul_f64 v[242:243], v[224:225], v[118:119]
	v_fmac_f64_e32 v[242:243], v[226:227], v[194:195]
	v_add_f64 v[240:241], v[240:241], v[242:243]
	v_fma_f64 v[242:243], v[38:39], v[48:49], -v[40:41]
	ds_read_b128 v[38:41], v152 offset:1344
	ds_read_b128 v[48:51], v152 offset:1360
	s_waitcnt vmcnt(6) lgkmcnt(2)
	v_mul_f64 v[244:245], v[228:229], v[232:233]
	s_waitcnt vmcnt(4)
	v_fmac_f64_e32 v[244:245], v[230:231], v[234:235]
	v_add_f64 v[152:153], v[240:241], v[244:245]
	s_waitcnt lgkmcnt(1)
	v_mul_f64 v[240:241], v[38:39], v[200:201]
	v_fmac_f64_e32 v[240:241], v[40:41], v[202:203]
	v_add_f64 v[152:153], v[152:153], v[240:241]
	s_waitcnt vmcnt(2) lgkmcnt(0)
	v_mul_f64 v[240:241], v[48:49], v[236:237]
	s_waitcnt vmcnt(0)
	v_fmac_f64_e32 v[240:241], v[50:51], v[238:239]
	v_add_f64 v[152:153], v[152:153], v[240:241]
	v_add_f64 v[240:241], v[242:243], 0
	;; [unrolled: 1-line block ×3, first 2 shown]
	v_mul_f64 v[28:29], v[28:29], v[56:57]
	v_add_f64 v[30:31], v[34:35], v[30:31]
	v_fma_f64 v[26:27], v[26:27], v[78:79], -v[28:29]
	v_add_f64 v[26:27], v[30:31], v[26:27]
	v_mul_f64 v[20:21], v[20:21], v[62:63]
	v_add_f64 v[22:23], v[26:27], v[22:23]
	v_fma_f64 v[18:19], v[18:19], v[76:77], -v[20:21]
	v_add_f64 v[18:19], v[22:23], v[18:19]
	v_fma_f64 v[10:11], v[10:11], v[72:73], -v[12:13]
	v_mul_f64 v[8:9], v[8:9], v[68:69]
	v_add_f64 v[10:11], v[18:19], v[10:11]
	v_fma_f64 v[6:7], v[6:7], v[74:75], -v[8:9]
	v_mul_f64 v[4:5], v[4:5], v[64:65]
	;; [unrolled: 3-line block ×3, first 2 shown]
	v_add_f64 v[2:3], v[6:7], v[2:3]
	v_fma_f64 v[4:5], v[14:15], v[88:89], -v[4:5]
	v_add_f64 v[2:3], v[2:3], v[4:5]
	v_mul_f64 v[4:5], v[126:127], v[82:83]
	v_fma_f64 v[4:5], v[124:125], v[84:85], -v[4:5]
	v_add_f64 v[2:3], v[2:3], v[4:5]
	v_mul_f64 v[4:5], v[156:157], v[94:95]
	;; [unrolled: 3-line block ×20, first 2 shown]
	v_fma_f64 v[4:5], v[48:49], v[238:239], -v[4:5]
	v_add_f64 v[2:3], v[2:3], v[4:5]
	v_add_f64 v[2:3], v[60:61], -v[2:3]
	v_add_f64 v[4:5], v[58:59], -v[152:153]
	buffer_store_dword v3, off, s[0:3], 0 offset:212
	buffer_store_dword v2, off, s[0:3], 0 offset:208
	;; [unrolled: 1-line block ×4, first 2 shown]
	s_and_saveexec_b64 s[4:5], vcc
	s_cbranch_execz .LBB106_249
; %bb.248:
	v_accvgpr_read_b32 v0, a117
	buffer_load_dword v2, v0, s[0:3], 0 offen
	buffer_load_dword v3, v0, s[0:3], 0 offen offset:4
	buffer_load_dword v4, v0, s[0:3], 0 offen offset:8
	;; [unrolled: 1-line block ×3, first 2 shown]
	v_mov_b32_e32 v0, 0
	v_accvgpr_read_b32 v1, a129
	buffer_store_dword v0, off, s[0:3], 0 offset:192
	buffer_store_dword v0, off, s[0:3], 0 offset:196
	;; [unrolled: 1-line block ×4, first 2 shown]
	s_waitcnt vmcnt(4)
	ds_write_b128 v1, v[2:5]
.LBB106_249:
	s_or_b64 exec, exec, s[4:5]
	s_waitcnt lgkmcnt(0)
	; wave barrier
	s_waitcnt lgkmcnt(0)
	buffer_load_dword v106, off, s[0:3], 0 offset:208
	buffer_load_dword v107, off, s[0:3], 0 offset:212
	;; [unrolled: 1-line block ×49, first 2 shown]
	v_mov_b32_e32 v254, 0
	ds_read_b128 v[110:113], v254 offset:880
	ds_read_b128 v[250:253], v254 offset:896
	;; [unrolled: 1-line block ×10, first 2 shown]
	buffer_load_dword v160, off, s[0:3], 0 offset:400
	buffer_load_dword v175, off, s[0:3], 0 offset:396
	;; [unrolled: 1-line block ×69, first 2 shown]
	v_accvgpr_write_b32 a128, v255
	v_cmp_lt_u32_e32 vcc, 10, v255
	s_waitcnt vmcnt(62) lgkmcnt(9)
	v_mul_f64 v[34:35], v[110:111], v[108:109]
	v_fmac_f64_e32 v[34:35], v[112:113], v[106:107]
	v_add_f64 v[34:35], v[34:35], 0
	v_mul_f64 v[108:109], v[112:113], v[108:109]
	s_waitcnt lgkmcnt(8)
	v_mul_f64 v[36:37], v[250:251], v[116:117]
	v_fmac_f64_e32 v[36:37], v[252:253], v[114:115]
	s_waitcnt lgkmcnt(7)
	v_mul_f64 v[38:39], v[30:31], v[120:121]
	v_add_f64 v[34:35], v[34:35], v[36:37]
	s_waitcnt lgkmcnt(5)
	v_mul_f64 v[42:43], v[22:23], v[122:123]
	v_mul_f64 v[116:117], v[252:253], v[116:117]
	v_fmac_f64_e32 v[42:43], v[24:25], v[124:125]
	v_fma_f64 v[248:249], v[110:111], v[106:107], -v[108:109]
	v_mul_f64 v[40:41], v[26:27], v[126:127]
	v_fma_f64 v[250:251], v[250:251], v[114:115], -v[116:117]
	s_waitcnt lgkmcnt(3)
	v_mul_f64 v[46:47], v[14:15], v[128:129]
	v_mul_f64 v[24:25], v[24:25], v[122:123]
	v_fmac_f64_e32 v[46:47], v[16:17], v[130:131]
	v_fma_f64 v[22:23], v[22:23], v[124:125], -v[24:25]
	v_mul_f64 v[44:45], v[18:19], v[132:133]
	v_mul_f64 v[16:17], v[16:17], v[128:129]
	s_waitcnt lgkmcnt(1)
	v_mul_f64 v[50:51], v[6:7], v[134:135]
	v_fma_f64 v[14:15], v[14:15], v[130:131], -v[16:17]
	v_fmac_f64_e32 v[50:51], v[8:9], v[136:137]
	v_mul_f64 v[8:9], v[8:9], v[134:135]
	v_mul_f64 v[48:49], v[10:11], v[142:143]
	v_fma_f64 v[6:7], v[6:7], v[136:137], -v[8:9]
	s_waitcnt lgkmcnt(0)
	v_mul_f64 v[52:53], v[2:3], v[138:139]
	v_fmac_f64_e32 v[38:39], v[32:33], v[154:155]
	v_add_f64 v[34:35], v[34:35], v[38:39]
	v_fmac_f64_e32 v[40:41], v[28:29], v[152:153]
	v_add_f64 v[34:35], v[34:35], v[40:41]
	;; [unrolled: 2-line block ×3, first 2 shown]
	v_add_f64 v[34:35], v[34:35], v[44:45]
	v_fmac_f64_e32 v[48:49], v[12:13], v[148:149]
	v_add_f64 v[34:35], v[34:35], v[46:47]
	v_add_f64 v[34:35], v[34:35], v[48:49]
	v_fmac_f64_e32 v[52:53], v[4:5], v[146:147]
	v_add_f64 v[34:35], v[34:35], v[50:51]
	v_add_f64 v[42:43], v[34:35], v[52:53]
	ds_read_b128 v[38:41], v254 offset:1040
	ds_read_b128 v[34:37], v254 offset:1056
	buffer_load_dword v231, off, s[0:3], 0 offset:700
	buffer_load_dword v230, off, s[0:3], 0 offset:696
	;; [unrolled: 1-line block ×8, first 2 shown]
	ds_read_b128 v[110:113], v254 offset:1328
	ds_read_b128 v[106:109], v254 offset:1344
	s_waitcnt lgkmcnt(3)
	v_mul_f64 v[44:45], v[38:39], v[144:145]
	v_fmac_f64_e32 v[44:45], v[40:41], v[156:157]
	v_add_f64 v[46:47], v[42:43], v[44:45]
	ds_read_b128 v[42:45], v254 offset:1072
	s_waitcnt lgkmcnt(3)
	v_mul_f64 v[48:49], v[34:35], v[174:175]
	v_fmac_f64_e32 v[48:49], v[36:37], v[178:179]
	v_add_f64 v[50:51], v[46:47], v[48:49]
	;; [unrolled: 5-line block ×3, first 2 shown]
	ds_read_b128 v[50:53], v254 offset:1104
	s_waitcnt vmcnt(62) lgkmcnt(1)
	v_mul_f64 v[56:57], v[46:47], v[182:183]
	v_fmac_f64_e32 v[56:57], v[48:49], v[186:187]
	v_add_f64 v[58:59], v[54:55], v[56:57]
	ds_read_b128 v[54:57], v254 offset:1120
	s_waitcnt lgkmcnt(1)
	v_mul_f64 v[60:61], v[50:51], v[162:163]
	v_fmac_f64_e32 v[60:61], v[52:53], v[164:165]
	v_add_f64 v[62:63], v[58:59], v[60:61]
	ds_read_b128 v[58:61], v254 offset:1136
	s_waitcnt vmcnt(58) lgkmcnt(1)
	v_mul_f64 v[64:65], v[54:55], v[190:191]
	s_waitcnt vmcnt(56)
	v_fmac_f64_e32 v[64:65], v[56:57], v[194:195]
	v_add_f64 v[66:67], v[62:63], v[64:65]
	ds_read_b128 v[62:65], v254 offset:1152
	s_waitcnt lgkmcnt(1)
	v_mul_f64 v[68:69], v[58:59], v[166:167]
	v_fmac_f64_e32 v[68:69], v[60:61], v[168:169]
	v_add_f64 v[70:71], v[66:67], v[68:69]
	ds_read_b128 v[66:69], v254 offset:1168
	s_waitcnt vmcnt(50) lgkmcnt(1)
	v_mul_f64 v[72:73], v[62:63], v[206:207]
	s_waitcnt vmcnt(48)
	;; [unrolled: 11-line block ×5, first 2 shown]
	v_fmac_f64_e32 v[96:97], v[88:89], v[228:229]
	v_add_f64 v[98:99], v[94:95], v[96:97]
	ds_read_b128 v[94:97], v254 offset:1280
	s_waitcnt lgkmcnt(1)
	v_mul_f64 v[100:101], v[90:91], v[192:193]
	v_fmac_f64_e32 v[100:101], v[92:93], v[204:205]
	v_add_f64 v[118:119], v[98:99], v[100:101]
	ds_read_b128 v[98:101], v254 offset:1296
	ds_read_b128 v[102:105], v254 offset:1312
	;; [unrolled: 1-line block ×3, first 2 shown]
	buffer_load_dword v252, off, s[0:3], 0 offset:200
	buffer_load_dword v253, off, s[0:3], 0 offset:204
	s_waitcnt vmcnt(20) lgkmcnt(3)
	v_mul_f64 v[196:197], v[94:95], v[232:233]
	s_waitcnt vmcnt(18)
	v_fmac_f64_e32 v[196:197], v[96:97], v[236:237]
	v_add_f64 v[118:119], v[118:119], v[196:197]
	s_waitcnt lgkmcnt(2)
	v_mul_f64 v[196:197], v[98:99], v[208:209]
	v_fmac_f64_e32 v[196:197], v[100:101], v[212:213]
	v_add_f64 v[118:119], v[118:119], v[196:197]
	s_waitcnt vmcnt(12) lgkmcnt(1)
	v_mul_f64 v[196:197], v[102:103], v[238:239]
	s_waitcnt vmcnt(10)
	v_fmac_f64_e32 v[196:197], v[104:105], v[240:241]
	v_add_f64 v[118:119], v[118:119], v[196:197]
	v_mul_f64 v[196:197], v[110:111], v[216:217]
	v_fmac_f64_e32 v[196:197], v[112:113], v[220:221]
	v_add_f64 v[118:119], v[118:119], v[196:197]
	s_waitcnt vmcnt(4)
	v_mul_f64 v[196:197], v[106:107], v[242:243]
	v_mul_f64 v[32:33], v[32:33], v[120:121]
	s_waitcnt vmcnt(2)
	v_fmac_f64_e32 v[196:197], v[108:109], v[244:245]
	v_add_f64 v[118:119], v[118:119], v[196:197]
	s_waitcnt lgkmcnt(0)
	v_mul_f64 v[196:197], v[114:115], v[230:231]
	v_fmac_f64_e32 v[196:197], v[116:117], v[234:235]
	v_add_f64 v[246:247], v[118:119], v[196:197]
	v_add_f64 v[118:119], v[248:249], 0
	;; [unrolled: 1-line block ×3, first 2 shown]
	v_fma_f64 v[30:31], v[30:31], v[154:155], -v[32:33]
	v_mul_f64 v[28:29], v[28:29], v[126:127]
	v_add_f64 v[30:31], v[118:119], v[30:31]
	v_fma_f64 v[26:27], v[26:27], v[152:153], -v[28:29]
	v_add_f64 v[26:27], v[30:31], v[26:27]
	v_mul_f64 v[20:21], v[20:21], v[132:133]
	v_add_f64 v[22:23], v[26:27], v[22:23]
	v_fma_f64 v[18:19], v[18:19], v[150:151], -v[20:21]
	v_add_f64 v[18:19], v[22:23], v[18:19]
	;; [unrolled: 4-line block ×3, first 2 shown]
	v_mul_f64 v[4:5], v[4:5], v[138:139]
	v_add_f64 v[6:7], v[10:11], v[6:7]
	v_fma_f64 v[2:3], v[2:3], v[146:147], -v[4:5]
	v_mul_f64 v[4:5], v[40:41], v[144:145]
	v_add_f64 v[2:3], v[6:7], v[2:3]
	v_fma_f64 v[4:5], v[38:39], v[156:157], -v[4:5]
	v_add_f64 v[2:3], v[2:3], v[4:5]
	v_mul_f64 v[4:5], v[36:37], v[174:175]
	v_fma_f64 v[4:5], v[34:35], v[178:179], -v[4:5]
	v_add_f64 v[2:3], v[2:3], v[4:5]
	v_mul_f64 v[4:5], v[44:45], v[158:159]
	;; [unrolled: 3-line block ×20, first 2 shown]
	v_fma_f64 v[4:5], v[114:115], v[234:235], -v[4:5]
	v_add_f64 v[2:3], v[2:3], v[4:5]
	v_add_f64 v[2:3], v[140:141], -v[2:3]
	s_waitcnt vmcnt(0)
	v_add_f64 v[4:5], v[252:253], -v[246:247]
	buffer_store_dword v3, off, s[0:3], 0 offset:196
	buffer_store_dword v2, off, s[0:3], 0 offset:192
	;; [unrolled: 1-line block ×4, first 2 shown]
	s_and_saveexec_b64 s[4:5], vcc
	s_cbranch_execz .LBB106_251
; %bb.250:
	v_accvgpr_read_b32 v0, a118
	buffer_load_dword v2, v0, s[0:3], 0 offen
	buffer_load_dword v3, v0, s[0:3], 0 offen offset:4
	buffer_load_dword v4, v0, s[0:3], 0 offen offset:8
	;; [unrolled: 1-line block ×3, first 2 shown]
	v_accvgpr_read_b32 v0, a129
	buffer_store_dword v254, off, s[0:3], 0 offset:176
	buffer_store_dword v254, off, s[0:3], 0 offset:180
	;; [unrolled: 1-line block ×4, first 2 shown]
	s_waitcnt vmcnt(4)
	ds_write_b128 v0, v[2:5]
.LBB106_251:
	s_or_b64 exec, exec, s[4:5]
	s_waitcnt lgkmcnt(0)
	; wave barrier
	s_waitcnt lgkmcnt(0)
	buffer_load_dword v112, off, s[0:3], 0 offset:192
	buffer_load_dword v113, off, s[0:3], 0 offset:196
	;; [unrolled: 1-line block ×36, first 2 shown]
	ds_read_b128 v[102:105], v254 offset:864
	ds_read_b128 v[106:109], v254 offset:880
	;; [unrolled: 1-line block ×9, first 2 shown]
	buffer_load_dword v145, off, s[0:3], 0 offset:364
	buffer_load_dword v144, off, s[0:3], 0 offset:360
	;; [unrolled: 1-line block ×78, first 2 shown]
	v_accvgpr_read_b32 v1, a128
	v_cmp_lt_u32_e32 vcc, 9, v1
	s_waitcnt vmcnt(62) lgkmcnt(8)
	v_mul_f64 v[26:27], v[102:103], v[246:247]
	v_fmac_f64_e32 v[26:27], v[104:105], v[112:113]
	v_add_f64 v[26:27], v[26:27], 0
	v_mul_f64 v[104:105], v[104:105], v[246:247]
	s_waitcnt lgkmcnt(7)
	v_mul_f64 v[28:29], v[106:107], v[248:249]
	v_fmac_f64_e32 v[28:29], v[108:109], v[110:111]
	s_waitcnt lgkmcnt(6)
	v_mul_f64 v[30:31], v[114:115], v[244:245]
	v_add_f64 v[26:27], v[26:27], v[28:29]
	s_waitcnt lgkmcnt(4)
	v_mul_f64 v[34:35], v[18:19], v[120:121]
	v_fma_f64 v[246:247], v[102:103], v[112:113], -v[104:105]
	v_fmac_f64_e32 v[34:35], v[20:21], v[122:123]
	v_mul_f64 v[108:109], v[108:109], v[248:249]
	v_mul_f64 v[32:33], v[22:23], v[124:125]
	v_fma_f64 v[248:249], v[106:107], v[110:111], -v[108:109]
	s_waitcnt lgkmcnt(2)
	v_mul_f64 v[38:39], v[10:11], v[126:127]
	v_mul_f64 v[20:21], v[20:21], v[120:121]
	v_fmac_f64_e32 v[38:39], v[12:13], v[128:129]
	v_fma_f64 v[18:19], v[18:19], v[122:123], -v[20:21]
	v_mul_f64 v[36:37], v[14:15], v[132:133]
	v_mul_f64 v[12:13], v[12:13], v[126:127]
	s_waitcnt lgkmcnt(1)
	v_mul_f64 v[40:41], v[6:7], v[130:131]
	v_fma_f64 v[10:11], v[10:11], v[128:129], -v[12:13]
	v_fmac_f64_e32 v[30:31], v[116:117], v[250:251]
	v_add_f64 v[26:27], v[26:27], v[30:31]
	v_fmac_f64_e32 v[32:33], v[24:25], v[140:141]
	v_add_f64 v[26:27], v[26:27], v[32:33]
	;; [unrolled: 2-line block ×3, first 2 shown]
	v_add_f64 v[26:27], v[26:27], v[36:37]
	v_fmac_f64_e32 v[40:41], v[8:9], v[136:137]
	v_add_f64 v[30:31], v[26:27], v[38:39]
	v_add_f64 v[30:31], v[30:31], v[40:41]
	s_waitcnt lgkmcnt(0)
	v_mul_f64 v[32:33], v[2:3], v[134:135]
	v_fmac_f64_e32 v[32:33], v[4:5], v[142:143]
	ds_read_b128 v[26:29], v254 offset:1008
	v_add_f64 v[34:35], v[30:31], v[32:33]
	ds_read_b128 v[30:33], v254 offset:1024
	buffer_load_dword v231, off, s[0:3], 0 offset:628
	buffer_load_dword v230, off, s[0:3], 0 offset:624
	v_mul_f64 v[116:117], v[116:117], v[244:245]
	s_waitcnt lgkmcnt(1)
	v_mul_f64 v[36:37], v[26:27], v[148:149]
	v_fmac_f64_e32 v[36:37], v[28:29], v[150:151]
	v_add_f64 v[38:39], v[34:35], v[36:37]
	ds_read_b128 v[34:37], v254 offset:1040
	s_waitcnt lgkmcnt(1)
	v_mul_f64 v[40:41], v[30:31], v[144:145]
	v_fmac_f64_e32 v[40:41], v[32:33], v[146:147]
	v_add_f64 v[42:43], v[38:39], v[40:41]
	ds_read_b128 v[38:41], v254 offset:1056
	;; [unrolled: 5-line block ×4, first 2 shown]
	buffer_load_dword v233, off, s[0:3], 0 offset:684
	buffer_load_dword v235, off, s[0:3], 0 offset:668
	buffer_load_dword v234, off, s[0:3], 0 offset:664
	buffer_load_dword v241, off, s[0:3], 0 offset:660
	buffer_load_dword v240, off, s[0:3], 0 offset:656
	buffer_load_dword v232, off, s[0:3], 0 offset:680
	buffer_load_dword v239, off, s[0:3], 0 offset:676
	buffer_load_dword v238, off, s[0:3], 0 offset:672
	buffer_load_dword v237, off, s[0:3], 0 offset:700
	buffer_load_dword v236, off, s[0:3], 0 offset:696
	buffer_load_dword v243, off, s[0:3], 0 offset:692
	buffer_load_dword v242, off, s[0:3], 0 offset:688
	s_waitcnt vmcnt(62) lgkmcnt(1)
	v_mul_f64 v[52:53], v[42:43], v[176:177]
	v_fmac_f64_e32 v[52:53], v[44:45], v[180:181]
	v_add_f64 v[54:55], v[50:51], v[52:53]
	ds_read_b128 v[50:53], v254 offset:1104
	s_waitcnt lgkmcnt(1)
	v_mul_f64 v[56:57], v[46:47], v[156:157]
	v_fmac_f64_e32 v[56:57], v[48:49], v[158:159]
	v_add_f64 v[58:59], v[54:55], v[56:57]
	ds_read_b128 v[54:57], v254 offset:1120
	s_waitcnt lgkmcnt(1)
	v_mul_f64 v[60:61], v[50:51], v[184:185]
	s_waitcnt vmcnt(60)
	v_fmac_f64_e32 v[60:61], v[52:53], v[188:189]
	v_add_f64 v[62:63], v[58:59], v[60:61]
	ds_read_b128 v[58:61], v254 offset:1136
	s_waitcnt lgkmcnt(1)
	v_mul_f64 v[64:65], v[54:55], v[164:165]
	v_fmac_f64_e32 v[64:65], v[56:57], v[166:167]
	v_add_f64 v[66:67], v[62:63], v[64:65]
	ds_read_b128 v[62:65], v254 offset:1152
	s_waitcnt vmcnt(54) lgkmcnt(1)
	v_mul_f64 v[68:69], v[58:59], v[192:193]
	s_waitcnt vmcnt(52)
	v_fmac_f64_e32 v[68:69], v[60:61], v[204:205]
	v_add_f64 v[70:71], v[66:67], v[68:69]
	ds_read_b128 v[66:69], v254 offset:1168
	s_waitcnt lgkmcnt(1)
	v_mul_f64 v[72:73], v[62:63], v[168:169]
	v_fmac_f64_e32 v[72:73], v[64:65], v[170:171]
	v_add_f64 v[74:75], v[70:71], v[72:73]
	ds_read_b128 v[70:73], v254 offset:1184
	s_waitcnt vmcnt(46) lgkmcnt(1)
	;; [unrolled: 11-line block ×4, first 2 shown]
	v_mul_f64 v[92:93], v[82:83], v[220:221]
	s_waitcnt vmcnt(28)
	v_fmac_f64_e32 v[92:93], v[84:85], v[222:223]
	v_add_f64 v[98:99], v[90:91], v[92:93]
	ds_read_b128 v[90:93], v254 offset:1264
	ds_read_b128 v[94:97], v254 offset:1280
	s_waitcnt lgkmcnt(2)
	v_mul_f64 v[100:101], v[86:87], v[186:187]
	v_fmac_f64_e32 v[100:101], v[88:89], v[190:191]
	v_add_f64 v[98:99], v[98:99], v[100:101]
	s_waitcnt vmcnt(22) lgkmcnt(1)
	v_mul_f64 v[100:101], v[90:91], v[224:225]
	s_waitcnt vmcnt(20)
	v_fmac_f64_e32 v[100:101], v[92:93], v[226:227]
	v_add_f64 v[98:99], v[98:99], v[100:101]
	s_waitcnt lgkmcnt(0)
	v_mul_f64 v[100:101], v[94:95], v[194:195]
	v_fmac_f64_e32 v[100:101], v[96:97], v[206:207]
	v_add_f64 v[118:119], v[98:99], v[100:101]
	ds_read_b128 v[98:101], v254 offset:1296
	ds_read_b128 v[102:105], v254 offset:1312
	;; [unrolled: 1-line block ×3, first 2 shown]
	v_fma_f64 v[250:251], v[114:115], v[250:251], -v[116:117]
	ds_read_b128 v[114:117], v254 offset:1360
	s_waitcnt vmcnt(14) lgkmcnt(3)
	v_mul_f64 v[112:113], v[98:99], v[228:229]
	s_waitcnt lgkmcnt(2)
	v_mul_f64 v[110:111], v[102:103], v[210:211]
	s_waitcnt vmcnt(12)
	v_fmac_f64_e32 v[112:113], v[100:101], v[230:231]
	v_add_f64 v[112:113], v[118:119], v[112:113]
	v_fmac_f64_e32 v[110:111], v[104:105], v[214:215]
	v_add_f64 v[118:119], v[112:113], v[110:111]
	ds_read_b128 v[110:113], v254 offset:1344
	buffer_load_dword v254, off, s[0:3], 0 offset:176
	buffer_load_dword v255, off, s[0:3], 0 offset:180
	;; [unrolled: 1-line block ×4, first 2 shown]
	v_mul_f64 v[24:25], v[24:25], v[124:125]
	v_fma_f64 v[22:23], v[22:23], v[140:141], -v[24:25]
	v_mul_f64 v[16:17], v[16:17], v[132:133]
	s_waitcnt vmcnt(13) lgkmcnt(2)
	v_mul_f64 v[196:197], v[106:107], v[234:235]
	v_fma_f64 v[14:15], v[14:15], v[138:139], -v[16:17]
	s_waitcnt vmcnt(11)
	v_fmac_f64_e32 v[196:197], v[108:109], v[240:241]
	v_add_f64 v[118:119], v[118:119], v[196:197]
	s_waitcnt vmcnt(10) lgkmcnt(0)
	v_mul_f64 v[196:197], v[110:111], v[232:233]
	s_waitcnt vmcnt(8)
	v_fmac_f64_e32 v[196:197], v[112:113], v[238:239]
	v_add_f64 v[118:119], v[118:119], v[196:197]
	s_waitcnt vmcnt(6)
	v_mul_f64 v[196:197], v[114:115], v[236:237]
	v_mul_f64 v[8:9], v[8:9], v[130:131]
	s_waitcnt vmcnt(4)
	v_fmac_f64_e32 v[196:197], v[116:117], v[242:243]
	v_add_f64 v[244:245], v[118:119], v[196:197]
	v_add_f64 v[118:119], v[246:247], 0
	;; [unrolled: 1-line block ×8, first 2 shown]
	v_fma_f64 v[6:7], v[6:7], v[136:137], -v[8:9]
	v_mul_f64 v[4:5], v[4:5], v[134:135]
	v_add_f64 v[6:7], v[10:11], v[6:7]
	v_fma_f64 v[2:3], v[2:3], v[142:143], -v[4:5]
	v_mul_f64 v[4:5], v[28:29], v[148:149]
	v_add_f64 v[2:3], v[6:7], v[2:3]
	v_fma_f64 v[4:5], v[26:27], v[150:151], -v[4:5]
	v_add_f64 v[2:3], v[2:3], v[4:5]
	v_mul_f64 v[4:5], v[32:33], v[144:145]
	v_fma_f64 v[4:5], v[30:31], v[146:147], -v[4:5]
	v_add_f64 v[2:3], v[2:3], v[4:5]
	v_mul_f64 v[4:5], v[36:37], v[160:161]
	;; [unrolled: 3-line block ×22, first 2 shown]
	v_fma_f64 v[4:5], v[114:115], v[242:243], -v[4:5]
	v_add_f64 v[2:3], v[2:3], v[4:5]
	s_waitcnt vmcnt(2)
	v_add_f64 v[2:3], v[254:255], -v[2:3]
	s_waitcnt vmcnt(0)
	v_add_f64 v[4:5], v[252:253], -v[244:245]
	buffer_store_dword v3, off, s[0:3], 0 offset:180
	buffer_store_dword v2, off, s[0:3], 0 offset:176
	;; [unrolled: 1-line block ×4, first 2 shown]
	s_and_saveexec_b64 s[4:5], vcc
	s_cbranch_execz .LBB106_253
; %bb.252:
	v_accvgpr_read_b32 v0, a119
	buffer_load_dword v2, v0, s[0:3], 0 offen
	buffer_load_dword v3, v0, s[0:3], 0 offen offset:4
	buffer_load_dword v4, v0, s[0:3], 0 offen offset:8
	;; [unrolled: 1-line block ×3, first 2 shown]
	v_mov_b32_e32 v0, 0
	v_accvgpr_read_b32 v6, a129
	buffer_store_dword v0, off, s[0:3], 0 offset:160
	buffer_store_dword v0, off, s[0:3], 0 offset:164
	;; [unrolled: 1-line block ×4, first 2 shown]
	s_waitcnt vmcnt(4)
	ds_write_b128 v6, v[2:5]
.LBB106_253:
	s_or_b64 exec, exec, s[4:5]
	s_waitcnt lgkmcnt(0)
	; wave barrier
	s_waitcnt lgkmcnt(0)
	buffer_load_dword v94, off, s[0:3], 0 offset:176
	buffer_load_dword v95, off, s[0:3], 0 offset:180
	;; [unrolled: 1-line block ×52, first 2 shown]
	v_mov_b32_e32 v254, 0
	ds_read_b128 v[102:105], v254 offset:848
	ds_read_b128 v[114:117], v254 offset:864
	;; [unrolled: 1-line block ×10, first 2 shown]
	v_cmp_lt_u32_e32 vcc, 8, v1
	s_waitcnt vmcnt(48) lgkmcnt(9)
	v_mul_f64 v[26:27], v[102:103], v[96:97]
	v_fmac_f64_e32 v[26:27], v[104:105], v[94:95]
	v_add_f64 v[26:27], v[26:27], 0
	v_mul_f64 v[96:97], v[104:105], v[96:97]
	s_waitcnt vmcnt(44) lgkmcnt(8)
	v_mul_f64 v[28:29], v[114:115], v[100:101]
	v_fmac_f64_e32 v[28:29], v[116:117], v[98:99]
	s_waitcnt vmcnt(42) lgkmcnt(7)
	v_mul_f64 v[30:31], v[244:245], v[106:107]
	v_add_f64 v[26:27], v[26:27], v[28:29]
	s_waitcnt vmcnt(40) lgkmcnt(5)
	v_mul_f64 v[34:35], v[22:23], v[122:123]
	v_fma_f64 v[196:197], v[102:103], v[94:95], -v[96:97]
	s_waitcnt vmcnt(38)
	v_fmac_f64_e32 v[34:35], v[24:25], v[126:127]
	v_mul_f64 v[100:101], v[116:117], v[100:101]
	s_waitcnt vmcnt(36)
	v_mul_f64 v[32:33], v[250:251], v[110:111]
	v_fma_f64 v[198:199], v[114:115], v[98:99], -v[100:101]
	s_waitcnt vmcnt(34) lgkmcnt(3)
	v_mul_f64 v[38:39], v[14:15], v[120:121]
	v_mul_f64 v[106:107], v[246:247], v[106:107]
	s_waitcnt vmcnt(32)
	v_fmac_f64_e32 v[38:39], v[16:17], v[124:125]
	v_mul_f64 v[110:111], v[252:253], v[110:111]
	s_waitcnt vmcnt(30)
	v_mul_f64 v[36:37], v[18:19], v[132:133]
	v_mul_f64 v[24:25], v[24:25], v[122:123]
	v_fma_f64 v[22:23], v[22:23], v[126:127], -v[24:25]
	s_waitcnt vmcnt(27) lgkmcnt(2)
	v_mul_f64 v[40:41], v[10:11], v[130:131]
	s_waitcnt vmcnt(26) lgkmcnt(1)
	v_mul_f64 v[42:43], v[6:7], v[128:129]
	v_mul_f64 v[16:17], v[16:17], v[120:121]
	s_waitcnt vmcnt(24)
	v_fmac_f64_e32 v[30:31], v[246:247], v[108:109]
	v_add_f64 v[26:27], v[26:27], v[30:31]
	s_waitcnt vmcnt(22)
	v_fmac_f64_e32 v[32:33], v[252:253], v[112:113]
	v_add_f64 v[26:27], v[26:27], v[32:33]
	;; [unrolled: 3-line block ×3, first 2 shown]
	v_add_f64 v[26:27], v[26:27], v[36:37]
	s_waitcnt vmcnt(18)
	v_fmac_f64_e32 v[40:41], v[12:13], v[134:135]
	v_add_f64 v[26:27], v[26:27], v[38:39]
	v_add_f64 v[26:27], v[26:27], v[40:41]
	s_waitcnt vmcnt(16)
	v_fmac_f64_e32 v[42:43], v[8:9], v[140:141]
	v_add_f64 v[34:35], v[26:27], v[42:43]
	ds_read_b128 v[26:29], v254 offset:1008
	ds_read_b128 v[30:33], v254 offset:1024
	buffer_load_dword v157, off, s[0:3], 0 offset:412
	buffer_load_dword v156, off, s[0:3], 0 offset:408
	buffer_load_dword v159, off, s[0:3], 0 offset:404
	buffer_load_dword v158, off, s[0:3], 0 offset:400
	buffer_load_dword v173, off, s[0:3], 0 offset:396
	buffer_load_dword v172, off, s[0:3], 0 offset:392
	buffer_load_dword v177, off, s[0:3], 0 offset:388
	buffer_load_dword v176, off, s[0:3], 0 offset:384
	buffer_load_dword v161, off, s[0:3], 0 offset:444
	buffer_load_dword v160, off, s[0:3], 0 offset:440
	buffer_load_dword v163, off, s[0:3], 0 offset:436
	buffer_load_dword v162, off, s[0:3], 0 offset:432
	buffer_load_dword v181, off, s[0:3], 0 offset:428
	buffer_load_dword v180, off, s[0:3], 0 offset:424
	buffer_load_dword v185, off, s[0:3], 0 offset:420
	buffer_load_dword v184, off, s[0:3], 0 offset:416
	buffer_load_dword v165, off, s[0:3], 0 offset:476
	buffer_load_dword v164, off, s[0:3], 0 offset:472
	buffer_load_dword v167, off, s[0:3], 0 offset:468
	buffer_load_dword v166, off, s[0:3], 0 offset:464
	buffer_load_dword v189, off, s[0:3], 0 offset:460
	buffer_load_dword v188, off, s[0:3], 0 offset:456
	buffer_load_dword v193, off, s[0:3], 0 offset:452
	buffer_load_dword v192, off, s[0:3], 0 offset:448
	buffer_load_dword v169, off, s[0:3], 0 offset:508
	buffer_load_dword v168, off, s[0:3], 0 offset:504
	buffer_load_dword v171, off, s[0:3], 0 offset:500
	buffer_load_dword v170, off, s[0:3], 0 offset:496
	buffer_load_dword v205, off, s[0:3], 0 offset:492
	buffer_load_dword v204, off, s[0:3], 0 offset:488
	buffer_load_dword v207, off, s[0:3], 0 offset:484
	buffer_load_dword v206, off, s[0:3], 0 offset:480
	buffer_load_dword v175, off, s[0:3], 0 offset:540
	buffer_load_dword v174, off, s[0:3], 0 offset:536
	buffer_load_dword v179, off, s[0:3], 0 offset:532
	buffer_load_dword v178, off, s[0:3], 0 offset:528
	buffer_load_dword v211, off, s[0:3], 0 offset:524
	buffer_load_dword v210, off, s[0:3], 0 offset:520
	buffer_load_dword v215, off, s[0:3], 0 offset:516
	buffer_load_dword v214, off, s[0:3], 0 offset:512
	buffer_load_dword v183, off, s[0:3], 0 offset:572
	buffer_load_dword v182, off, s[0:3], 0 offset:568
	buffer_load_dword v187, off, s[0:3], 0 offset:564
	buffer_load_dword v186, off, s[0:3], 0 offset:560
	buffer_load_dword v219, off, s[0:3], 0 offset:556
	buffer_load_dword v218, off, s[0:3], 0 offset:552
	buffer_load_dword v225, off, s[0:3], 0 offset:548
	buffer_load_dword v224, off, s[0:3], 0 offset:544
	buffer_load_dword v191, off, s[0:3], 0 offset:604
	buffer_load_dword v190, off, s[0:3], 0 offset:600
	buffer_load_dword v195, off, s[0:3], 0 offset:596
	buffer_load_dword v223, off, s[0:3], 0 offset:588
	buffer_load_dword v222, off, s[0:3], 0 offset:584
	buffer_load_dword v227, off, s[0:3], 0 offset:580
	buffer_load_dword v226, off, s[0:3], 0 offset:576
	buffer_load_dword v194, off, s[0:3], 0 offset:592
	s_waitcnt vmcnt(62) lgkmcnt(2)
	v_mul_f64 v[36:37], v[2:3], v[144:145]
	v_fmac_f64_e32 v[36:37], v[4:5], v[146:147]
	v_add_f64 v[34:35], v[34:35], v[36:37]
	s_waitcnt lgkmcnt(1)
	v_mul_f64 v[36:37], v[26:27], v[138:139]
	v_fmac_f64_e32 v[36:37], v[28:29], v[142:143]
	v_add_f64 v[34:35], v[34:35], v[36:37]
	s_waitcnt lgkmcnt(0)
	v_mul_f64 v[36:37], v[30:31], v[148:149]
	s_waitcnt vmcnt(60)
	v_fmac_f64_e32 v[36:37], v[32:33], v[152:153]
	v_add_f64 v[42:43], v[34:35], v[36:37]
	ds_read_b128 v[34:37], v254 offset:1040
	buffer_load_dword v209, off, s[0:3], 0 offset:636
	buffer_load_dword v208, off, s[0:3], 0 offset:632
	;; [unrolled: 1-line block ×16, first 2 shown]
	ds_read_b128 v[38:41], v254 offset:1056
	buffer_load_dword v231, off, s[0:3], 0 offset:700
	buffer_load_dword v230, off, s[0:3], 0 offset:696
	;; [unrolled: 1-line block ×8, first 2 shown]
	ds_read_b128 v[98:101], v254 offset:1296
	s_waitcnt vmcnt(62) lgkmcnt(2)
	v_mul_f64 v[44:45], v[34:35], v[150:151]
	v_fmac_f64_e32 v[44:45], v[36:37], v[154:155]
	v_add_f64 v[46:47], v[42:43], v[44:45]
	ds_read_b128 v[42:45], v254 offset:1072
	v_fma_f64 v[248:249], v[244:245], v[108:109], -v[106:107]
	ds_read_b128 v[106:109], v254 offset:1328
	v_fma_f64 v[246:247], v[250:251], v[112:113], -v[110:111]
	v_mul_f64 v[20:21], v[20:21], v[132:133]
	v_fma_f64 v[18:19], v[18:19], v[136:137], -v[20:21]
	v_fma_f64 v[14:15], v[14:15], v[124:125], -v[16:17]
	v_mul_f64 v[12:13], v[12:13], v[130:131]
	v_fma_f64 v[10:11], v[10:11], v[134:135], -v[12:13]
	v_mul_f64 v[8:9], v[8:9], v[128:129]
	v_fma_f64 v[6:7], v[6:7], v[140:141], -v[8:9]
	v_mul_f64 v[4:5], v[4:5], v[144:145]
	s_waitcnt lgkmcnt(3)
	v_mul_f64 v[48:49], v[38:39], v[172:173]
	v_fma_f64 v[2:3], v[2:3], v[146:147], -v[4:5]
	v_fmac_f64_e32 v[48:49], v[40:41], v[176:177]
	v_add_f64 v[50:51], v[46:47], v[48:49]
	ds_read_b128 v[46:49], v254 offset:1088
	s_waitcnt lgkmcnt(2)
	v_mul_f64 v[52:53], v[42:43], v[156:157]
	v_fmac_f64_e32 v[52:53], v[44:45], v[158:159]
	v_add_f64 v[54:55], v[50:51], v[52:53]
	ds_read_b128 v[50:53], v254 offset:1104
	s_waitcnt lgkmcnt(1)
	v_mul_f64 v[56:57], v[46:47], v[180:181]
	;; [unrolled: 5-line block ×3, first 2 shown]
	v_fmac_f64_e32 v[60:61], v[52:53], v[162:163]
	v_add_f64 v[62:63], v[58:59], v[60:61]
	ds_read_b128 v[58:61], v254 offset:1136
	s_waitcnt vmcnt(58) lgkmcnt(1)
	v_mul_f64 v[64:65], v[54:55], v[188:189]
	s_waitcnt vmcnt(56)
	v_fmac_f64_e32 v[64:65], v[56:57], v[192:193]
	v_add_f64 v[66:67], v[62:63], v[64:65]
	ds_read_b128 v[62:65], v254 offset:1152
	s_waitcnt lgkmcnt(1)
	v_mul_f64 v[68:69], v[58:59], v[164:165]
	v_fmac_f64_e32 v[68:69], v[60:61], v[166:167]
	v_add_f64 v[70:71], v[66:67], v[68:69]
	ds_read_b128 v[66:69], v254 offset:1168
	s_waitcnt vmcnt(50) lgkmcnt(1)
	v_mul_f64 v[72:73], v[62:63], v[204:205]
	s_waitcnt vmcnt(48)
	v_fmac_f64_e32 v[72:73], v[64:65], v[206:207]
	v_add_f64 v[74:75], v[70:71], v[72:73]
	ds_read_b128 v[70:73], v254 offset:1184
	s_waitcnt lgkmcnt(1)
	v_mul_f64 v[76:77], v[66:67], v[168:169]
	;; [unrolled: 11-line block ×3, first 2 shown]
	v_fmac_f64_e32 v[84:85], v[76:77], v[178:179]
	v_add_f64 v[90:91], v[82:83], v[84:85]
	ds_read_b128 v[82:85], v254 offset:1232
	ds_read_b128 v[86:89], v254 offset:1248
	s_waitcnt vmcnt(34) lgkmcnt(2)
	v_mul_f64 v[92:93], v[78:79], v[218:219]
	s_waitcnt vmcnt(32)
	v_fmac_f64_e32 v[92:93], v[80:81], v[224:225]
	v_add_f64 v[90:91], v[90:91], v[92:93]
	s_waitcnt lgkmcnt(1)
	v_mul_f64 v[92:93], v[82:83], v[182:183]
	v_fmac_f64_e32 v[92:93], v[84:85], v[186:187]
	v_add_f64 v[90:91], v[90:91], v[92:93]
	s_waitcnt vmcnt(27) lgkmcnt(0)
	v_mul_f64 v[92:93], v[86:87], v[222:223]
	s_waitcnt vmcnt(25)
	v_fmac_f64_e32 v[92:93], v[88:89], v[226:227]
	v_add_f64 v[118:119], v[90:91], v[92:93]
	ds_read_b128 v[90:93], v254 offset:1264
	ds_read_b128 v[94:97], v254 offset:1280
	;; [unrolled: 1-line block ×3, first 2 shown]
	v_mul_f64 v[4:5], v[28:29], v[138:139]
	v_fma_f64 v[4:5], v[26:27], v[142:143], -v[4:5]
	s_waitcnt lgkmcnt(2)
	v_mul_f64 v[102:103], v[90:91], v[190:191]
	s_waitcnt vmcnt(24)
	v_fmac_f64_e32 v[102:103], v[92:93], v[194:195]
	s_waitcnt vmcnt(18) lgkmcnt(1)
	v_mul_f64 v[104:105], v[94:95], v[228:229]
	v_add_f64 v[102:103], v[118:119], v[102:103]
	s_waitcnt vmcnt(16)
	v_fmac_f64_e32 v[104:105], v[96:97], v[232:233]
	v_add_f64 v[102:103], v[102:103], v[104:105]
	v_mul_f64 v[104:105], v[98:99], v[208:209]
	v_fmac_f64_e32 v[104:105], v[100:101], v[212:213]
	v_add_f64 v[114:115], v[102:103], v[104:105]
	ds_read_b128 v[102:105], v254 offset:1312
	s_waitcnt vmcnt(10) lgkmcnt(0)
	v_mul_f64 v[116:117], v[102:103], v[236:237]
	s_waitcnt vmcnt(8)
	v_fmac_f64_e32 v[116:117], v[104:105], v[238:239]
	v_add_f64 v[114:115], v[114:115], v[116:117]
	v_mul_f64 v[116:117], v[106:107], v[216:217]
	v_fmac_f64_e32 v[116:117], v[108:109], v[220:221]
	v_add_f64 v[114:115], v[114:115], v[116:117]
	s_waitcnt vmcnt(2)
	v_mul_f64 v[116:117], v[110:111], v[240:241]
	s_waitcnt vmcnt(0)
	v_fmac_f64_e32 v[116:117], v[112:113], v[242:243]
	v_add_f64 v[118:119], v[114:115], v[116:117]
	ds_read_b128 v[114:117], v254 offset:1360
	buffer_load_dword v252, off, s[0:3], 0 offset:160
	buffer_load_dword v253, off, s[0:3], 0 offset:164
	s_waitcnt lgkmcnt(0)
	v_mul_f64 v[200:201], v[114:115], v[230:231]
	v_fmac_f64_e32 v[200:201], v[116:117], v[234:235]
	v_add_f64 v[244:245], v[118:119], v[200:201]
	v_add_f64 v[118:119], v[196:197], 0
	;; [unrolled: 1-line block ×4, first 2 shown]
	buffer_load_dword v248, off, s[0:3], 0 offset:168
	buffer_load_dword v249, off, s[0:3], 0 offset:172
	v_add_f64 v[118:119], v[118:119], v[246:247]
	v_add_f64 v[22:23], v[118:119], v[22:23]
	;; [unrolled: 1-line block ×8, first 2 shown]
	v_mul_f64 v[4:5], v[32:33], v[148:149]
	v_fma_f64 v[4:5], v[30:31], v[152:153], -v[4:5]
	v_add_f64 v[2:3], v[2:3], v[4:5]
	v_mul_f64 v[4:5], v[36:37], v[150:151]
	v_fma_f64 v[4:5], v[34:35], v[154:155], -v[4:5]
	v_add_f64 v[2:3], v[2:3], v[4:5]
	;; [unrolled: 3-line block ×22, first 2 shown]
	s_waitcnt vmcnt(2)
	v_add_f64 v[2:3], v[252:253], -v[2:3]
	s_waitcnt vmcnt(0)
	v_add_f64 v[4:5], v[248:249], -v[244:245]
	buffer_store_dword v3, off, s[0:3], 0 offset:164
	buffer_store_dword v2, off, s[0:3], 0 offset:160
	;; [unrolled: 1-line block ×4, first 2 shown]
	s_and_saveexec_b64 s[4:5], vcc
	s_cbranch_execz .LBB106_255
; %bb.254:
	v_accvgpr_read_b32 v0, a120
	buffer_load_dword v2, v0, s[0:3], 0 offen
	buffer_load_dword v3, v0, s[0:3], 0 offen offset:4
	buffer_load_dword v4, v0, s[0:3], 0 offen offset:8
	;; [unrolled: 1-line block ×3, first 2 shown]
	v_accvgpr_read_b32 v0, a129
	buffer_store_dword v254, off, s[0:3], 0 offset:144
	buffer_store_dword v254, off, s[0:3], 0 offset:148
	;; [unrolled: 1-line block ×4, first 2 shown]
	s_waitcnt vmcnt(4)
	ds_write_b128 v0, v[2:5]
.LBB106_255:
	s_or_b64 exec, exec, s[4:5]
	s_waitcnt lgkmcnt(0)
	; wave barrier
	s_waitcnt lgkmcnt(0)
	buffer_load_dword v86, off, s[0:3], 0 offset:160
	buffer_load_dword v87, off, s[0:3], 0 offset:164
	buffer_load_dword v88, off, s[0:3], 0 offset:168
	buffer_load_dword v89, off, s[0:3], 0 offset:172
	buffer_load_dword v90, off, s[0:3], 0 offset:176
	buffer_load_dword v91, off, s[0:3], 0 offset:180
	buffer_load_dword v92, off, s[0:3], 0 offset:184
	buffer_load_dword v93, off, s[0:3], 0 offset:188
	buffer_load_dword v98, off, s[0:3], 0 offset:200
	buffer_load_dword v99, off, s[0:3], 0 offset:204
	buffer_load_dword v111, off, s[0:3], 0 offset:236
	buffer_load_dword v110, off, s[0:3], 0 offset:232
	buffer_load_dword v113, off, s[0:3], 0 offset:228
	buffer_load_dword v112, off, s[0:3], 0 offset:224
	buffer_load_dword v103, off, s[0:3], 0 offset:220
	buffer_load_dword v102, off, s[0:3], 0 offset:216
	buffer_load_dword v121, off, s[0:3], 0 offset:268
	buffer_load_dword v120, off, s[0:3], 0 offset:264
	buffer_load_dword v123, off, s[0:3], 0 offset:260
	buffer_load_dword v122, off, s[0:3], 0 offset:256
	buffer_load_dword v125, off, s[0:3], 0 offset:252
	buffer_load_dword v124, off, s[0:3], 0 offset:248
	buffer_load_dword v127, off, s[0:3], 0 offset:300
	buffer_load_dword v126, off, s[0:3], 0 offset:296
	buffer_load_dword v128, off, s[0:3], 0 offset:288
	buffer_load_dword v133, off, s[0:3], 0 offset:284
	buffer_load_dword v132, off, s[0:3], 0 offset:280
	buffer_load_dword v131, off, s[0:3], 0 offset:316
	buffer_load_dword v130, off, s[0:3], 0 offset:312
	buffer_load_dword v100, off, s[0:3], 0 offset:192
	buffer_load_dword v101, off, s[0:3], 0 offset:196
	buffer_load_dword v105, off, s[0:3], 0 offset:212
	buffer_load_dword v104, off, s[0:3], 0 offset:208
	buffer_load_dword v137, off, s[0:3], 0 offset:244
	buffer_load_dword v136, off, s[0:3], 0 offset:240
	buffer_load_dword v135, off, s[0:3], 0 offset:276
	buffer_load_dword v134, off, s[0:3], 0 offset:272
	buffer_load_dword v129, off, s[0:3], 0 offset:292
	buffer_load_dword v138, off, s[0:3], 0 offset:328
	buffer_load_dword v140, off, s[0:3], 0 offset:320
	buffer_load_dword v141, off, s[0:3], 0 offset:324
	buffer_load_dword v139, off, s[0:3], 0 offset:332
	ds_read_b128 v[94:97], v254 offset:832
	ds_read_b128 v[106:109], v254 offset:848
	;; [unrolled: 1-line block ×10, first 2 shown]
	buffer_load_dword v147, off, s[0:3], 0 offset:308
	buffer_load_dword v146, off, s[0:3], 0 offset:304
	ds_read_b128 v[6:9], v254 offset:992
	buffer_load_dword v143, off, s[0:3], 0 offset:364
	buffer_load_dword v142, off, s[0:3], 0 offset:360
	buffer_load_dword v145, off, s[0:3], 0 offset:356
	buffer_load_dword v144, off, s[0:3], 0 offset:352
	buffer_load_dword v149, off, s[0:3], 0 offset:348
	buffer_load_dword v148, off, s[0:3], 0 offset:344
	buffer_load_dword v165, off, s[0:3], 0 offset:340
	buffer_load_dword v164, off, s[0:3], 0 offset:336
	buffer_load_dword v151, off, s[0:3], 0 offset:396
	buffer_load_dword v150, off, s[0:3], 0 offset:392
	buffer_load_dword v153, off, s[0:3], 0 offset:388
	buffer_load_dword v152, off, s[0:3], 0 offset:384
	buffer_load_dword v169, off, s[0:3], 0 offset:380
	buffer_load_dword v168, off, s[0:3], 0 offset:376
	buffer_load_dword v173, off, s[0:3], 0 offset:372
	buffer_load_dword v172, off, s[0:3], 0 offset:368
	buffer_load_dword v155, off, s[0:3], 0 offset:428
	buffer_load_dword v154, off, s[0:3], 0 offset:424
	buffer_load_dword v157, off, s[0:3], 0 offset:420
	buffer_load_dword v156, off, s[0:3], 0 offset:416
	buffer_load_dword v177, off, s[0:3], 0 offset:412
	buffer_load_dword v176, off, s[0:3], 0 offset:408
	buffer_load_dword v181, off, s[0:3], 0 offset:404
	buffer_load_dword v180, off, s[0:3], 0 offset:400
	buffer_load_dword v159, off, s[0:3], 0 offset:460
	buffer_load_dword v158, off, s[0:3], 0 offset:456
	buffer_load_dword v161, off, s[0:3], 0 offset:452
	buffer_load_dword v160, off, s[0:3], 0 offset:448
	buffer_load_dword v185, off, s[0:3], 0 offset:444
	buffer_load_dword v184, off, s[0:3], 0 offset:440
	buffer_load_dword v189, off, s[0:3], 0 offset:436
	buffer_load_dword v188, off, s[0:3], 0 offset:432
	buffer_load_dword v163, off, s[0:3], 0 offset:492
	buffer_load_dword v162, off, s[0:3], 0 offset:488
	buffer_load_dword v167, off, s[0:3], 0 offset:484
	buffer_load_dword v166, off, s[0:3], 0 offset:480
	buffer_load_dword v193, off, s[0:3], 0 offset:476
	buffer_load_dword v192, off, s[0:3], 0 offset:472
	buffer_load_dword v205, off, s[0:3], 0 offset:468
	buffer_load_dword v204, off, s[0:3], 0 offset:464
	buffer_load_dword v171, off, s[0:3], 0 offset:524
	buffer_load_dword v170, off, s[0:3], 0 offset:520
	buffer_load_dword v175, off, s[0:3], 0 offset:516
	buffer_load_dword v174, off, s[0:3], 0 offset:512
	buffer_load_dword v209, off, s[0:3], 0 offset:508
	buffer_load_dword v208, off, s[0:3], 0 offset:504
	buffer_load_dword v213, off, s[0:3], 0 offset:500
	buffer_load_dword v212, off, s[0:3], 0 offset:496
	buffer_load_dword v179, off, s[0:3], 0 offset:556
	buffer_load_dword v178, off, s[0:3], 0 offset:552
	buffer_load_dword v183, off, s[0:3], 0 offset:548
	buffer_load_dword v182, off, s[0:3], 0 offset:544
	buffer_load_dword v217, off, s[0:3], 0 offset:540
	buffer_load_dword v216, off, s[0:3], 0 offset:536
	buffer_load_dword v219, off, s[0:3], 0 offset:532
	buffer_load_dword v218, off, s[0:3], 0 offset:528
	buffer_load_dword v187, off, s[0:3], 0 offset:588
	buffer_load_dword v186, off, s[0:3], 0 offset:584
	buffer_load_dword v191, off, s[0:3], 0 offset:580
	buffer_load_dword v190, off, s[0:3], 0 offset:576
	buffer_load_dword v221, off, s[0:3], 0 offset:572
	buffer_load_dword v220, off, s[0:3], 0 offset:568
	buffer_load_dword v223, off, s[0:3], 0 offset:564
	buffer_load_dword v222, off, s[0:3], 0 offset:560
	buffer_load_dword v195, off, s[0:3], 0 offset:620
	buffer_load_dword v194, off, s[0:3], 0 offset:616
	buffer_load_dword v207, off, s[0:3], 0 offset:612
	buffer_load_dword v206, off, s[0:3], 0 offset:608
	buffer_load_dword v225, off, s[0:3], 0 offset:604
	buffer_load_dword v224, off, s[0:3], 0 offset:600
	buffer_load_dword v227, off, s[0:3], 0 offset:596
	buffer_load_dword v226, off, s[0:3], 0 offset:592
	buffer_load_dword v211, off, s[0:3], 0 offset:652
	buffer_load_dword v210, off, s[0:3], 0 offset:648
	buffer_load_dword v215, off, s[0:3], 0 offset:644
	buffer_load_dword v214, off, s[0:3], 0 offset:640
	buffer_load_dword v229, off, s[0:3], 0 offset:636
	buffer_load_dword v228, off, s[0:3], 0 offset:632
	buffer_load_dword v231, off, s[0:3], 0 offset:628
	buffer_load_dword v230, off, s[0:3], 0 offset:624
	v_accvgpr_read_b32 v1, a128
	v_cmp_lt_u32_e32 vcc, 7, v1
	s_waitcnt vmcnt(62) lgkmcnt(10)
	v_mul_f64 v[26:27], v[94:95], v[88:89]
	v_fmac_f64_e32 v[26:27], v[96:97], v[86:87]
	v_add_f64 v[26:27], v[26:27], 0
	v_mul_f64 v[88:89], v[96:97], v[88:89]
	s_waitcnt lgkmcnt(9)
	v_mul_f64 v[28:29], v[106:107], v[92:93]
	v_fmac_f64_e32 v[28:29], v[108:109], v[90:91]
	s_waitcnt lgkmcnt(8)
	v_mul_f64 v[30:31], v[114:115], v[98:99]
	v_add_f64 v[26:27], v[26:27], v[28:29]
	s_waitcnt lgkmcnt(6)
	v_mul_f64 v[34:35], v[248:249], v[110:111]
	v_fma_f64 v[196:197], v[94:95], v[86:87], -v[88:89]
	v_fmac_f64_e32 v[34:35], v[250:251], v[112:113]
	v_mul_f64 v[92:93], v[108:109], v[92:93]
	v_mul_f64 v[32:33], v[244:245], v[102:103]
	;; [unrolled: 1-line block ×3, first 2 shown]
	s_waitcnt lgkmcnt(4)
	v_mul_f64 v[38:39], v[18:19], v[120:121]
	v_mul_f64 v[102:103], v[246:247], v[102:103]
	v_fmac_f64_e32 v[38:39], v[20:21], v[122:123]
	v_mul_f64 v[110:111], v[250:251], v[110:111]
	v_mul_f64 v[36:37], v[22:23], v[124:125]
	v_fma_f64 v[248:249], v[248:249], v[112:113], -v[110:111]
	s_waitcnt lgkmcnt(2)
	v_mul_f64 v[42:43], v[10:11], v[126:127]
	v_add_f64 v[196:197], v[196:197], 0
	v_mul_f64 v[20:21], v[20:21], v[120:121]
	v_mul_f64 v[40:41], v[14:15], v[132:133]
	v_fma_f64 v[18:19], v[18:19], v[122:123], -v[20:21]
	s_waitcnt lgkmcnt(1)
	v_mul_f64 v[44:45], v[2:3], v[130:131]
	v_fmac_f64_e32 v[30:31], v[116:117], v[100:101]
	v_add_f64 v[26:27], v[26:27], v[30:31]
	v_fmac_f64_e32 v[32:33], v[246:247], v[104:105]
	v_add_f64 v[26:27], v[26:27], v[32:33]
	;; [unrolled: 2-line block ×3, first 2 shown]
	v_add_f64 v[26:27], v[26:27], v[36:37]
	v_fmac_f64_e32 v[40:41], v[16:17], v[134:135]
	v_add_f64 v[26:27], v[26:27], v[38:39]
	v_fmac_f64_e32 v[42:43], v[12:13], v[128:129]
	v_add_f64 v[26:27], v[26:27], v[40:41]
	v_add_f64 v[26:27], v[26:27], v[42:43]
	s_waitcnt lgkmcnt(0)
	v_mul_f64 v[32:33], v[6:7], v[138:139]
	v_fmac_f64_e32 v[44:45], v[4:5], v[146:147]
	v_add_f64 v[30:31], v[26:27], v[44:45]
	ds_read_b128 v[26:29], v254 offset:1008
	v_fmac_f64_e32 v[32:33], v[8:9], v[140:141]
	v_add_f64 v[34:35], v[30:31], v[32:33]
	ds_read_b128 v[30:33], v254 offset:1024
	v_fma_f64 v[198:199], v[114:115], v[100:101], -v[98:99]
	s_waitcnt lgkmcnt(1)
	v_mul_f64 v[36:37], v[26:27], v[148:149]
	v_fmac_f64_e32 v[36:37], v[28:29], v[164:165]
	v_add_f64 v[38:39], v[34:35], v[36:37]
	ds_read_b128 v[34:37], v254 offset:1040
	s_waitcnt lgkmcnt(1)
	v_mul_f64 v[40:41], v[30:31], v[142:143]
	v_fmac_f64_e32 v[40:41], v[32:33], v[144:145]
	v_add_f64 v[42:43], v[38:39], v[40:41]
	ds_read_b128 v[38:41], v254 offset:1056
	;; [unrolled: 5-line block ×4, first 2 shown]
	s_waitcnt vmcnt(58) lgkmcnt(1)
	v_mul_f64 v[52:53], v[42:43], v[176:177]
	s_waitcnt vmcnt(56)
	v_fmac_f64_e32 v[52:53], v[44:45], v[180:181]
	v_add_f64 v[54:55], v[50:51], v[52:53]
	ds_read_b128 v[50:53], v254 offset:1104
	buffer_load_dword v232, off, s[0:3], 0 offset:680
	buffer_load_dword v237, off, s[0:3], 0 offset:668
	buffer_load_dword v236, off, s[0:3], 0 offset:664
	buffer_load_dword v239, off, s[0:3], 0 offset:660
	buffer_load_dword v238, off, s[0:3], 0 offset:656
	buffer_load_dword v234, off, s[0:3], 0 offset:672
	buffer_load_dword v233, off, s[0:3], 0 offset:684
	buffer_load_dword v235, off, s[0:3], 0 offset:676
	s_waitcnt lgkmcnt(1)
	v_mul_f64 v[56:57], v[46:47], v[154:155]
	v_fmac_f64_e32 v[56:57], v[48:49], v[156:157]
	v_add_f64 v[58:59], v[54:55], v[56:57]
	ds_read_b128 v[54:57], v254 offset:1120
	s_waitcnt vmcnt(58) lgkmcnt(1)
	v_mul_f64 v[60:61], v[50:51], v[184:185]
	s_waitcnt vmcnt(56)
	v_fmac_f64_e32 v[60:61], v[52:53], v[188:189]
	buffer_load_dword v241, off, s[0:3], 0 offset:700
	buffer_load_dword v240, off, s[0:3], 0 offset:696
	;; [unrolled: 1-line block ×4, first 2 shown]
	v_add_f64 v[62:63], v[58:59], v[60:61]
	ds_read_b128 v[58:61], v254 offset:1136
	s_waitcnt lgkmcnt(1)
	v_mul_f64 v[64:65], v[54:55], v[158:159]
	v_fmac_f64_e32 v[64:65], v[56:57], v[160:161]
	v_add_f64 v[66:67], v[62:63], v[64:65]
	ds_read_b128 v[62:65], v254 offset:1152
	s_waitcnt vmcnt(54) lgkmcnt(1)
	v_mul_f64 v[68:69], v[58:59], v[192:193]
	s_waitcnt vmcnt(52)
	v_fmac_f64_e32 v[68:69], v[60:61], v[204:205]
	v_add_f64 v[70:71], v[66:67], v[68:69]
	ds_read_b128 v[66:69], v254 offset:1168
	s_waitcnt lgkmcnt(1)
	v_mul_f64 v[72:73], v[62:63], v[162:163]
	v_fmac_f64_e32 v[72:73], v[64:65], v[166:167]
	v_add_f64 v[74:75], v[70:71], v[72:73]
	ds_read_b128 v[70:73], v254 offset:1184
	s_waitcnt vmcnt(46) lgkmcnt(1)
	v_mul_f64 v[76:77], v[66:67], v[208:209]
	s_waitcnt vmcnt(44)
	v_fmac_f64_e32 v[76:77], v[68:69], v[212:213]
	v_add_f64 v[82:83], v[74:75], v[76:77]
	ds_read_b128 v[74:77], v254 offset:1200
	ds_read_b128 v[78:81], v254 offset:1216
	s_waitcnt lgkmcnt(2)
	v_mul_f64 v[84:85], v[70:71], v[170:171]
	v_fmac_f64_e32 v[84:85], v[72:73], v[174:175]
	v_add_f64 v[82:83], v[82:83], v[84:85]
	s_waitcnt vmcnt(38) lgkmcnt(1)
	v_mul_f64 v[84:85], v[74:75], v[216:217]
	s_waitcnt vmcnt(36)
	v_fmac_f64_e32 v[84:85], v[76:77], v[218:219]
	v_add_f64 v[82:83], v[82:83], v[84:85]
	s_waitcnt lgkmcnt(0)
	v_mul_f64 v[84:85], v[78:79], v[178:179]
	v_fmac_f64_e32 v[84:85], v[80:81], v[182:183]
	v_add_f64 v[118:119], v[82:83], v[84:85]
	ds_read_b128 v[82:85], v254 offset:1232
	ds_read_b128 v[86:89], v254 offset:1248
	;; [unrolled: 1-line block ×3, first 2 shown]
	v_fma_f64 v[246:247], v[244:245], v[104:105], -v[102:103]
	ds_read_b128 v[102:105], v254 offset:1328
	ds_read_b128 v[110:113], v254 offset:1344
	s_waitcnt vmcnt(30) lgkmcnt(4)
	v_mul_f64 v[94:95], v[82:83], v[220:221]
	s_waitcnt vmcnt(28)
	v_fmac_f64_e32 v[94:95], v[84:85], v[222:223]
	v_add_f64 v[94:95], v[118:119], v[94:95]
	v_fma_f64 v[118:119], v[106:107], v[90:91], -v[92:93]
	ds_read_b128 v[90:93], v254 offset:1264
	s_waitcnt lgkmcnt(4)
	v_mul_f64 v[96:97], v[86:87], v[186:187]
	v_fmac_f64_e32 v[96:97], v[88:89], v[190:191]
	v_add_f64 v[106:107], v[94:95], v[96:97]
	ds_read_b128 v[94:97], v254 offset:1280
	s_waitcnt vmcnt(22) lgkmcnt(1)
	v_mul_f64 v[108:109], v[90:91], v[224:225]
	s_waitcnt vmcnt(20)
	v_fmac_f64_e32 v[108:109], v[92:93], v[226:227]
	v_add_f64 v[106:107], v[106:107], v[108:109]
	v_add_f64 v[118:119], v[196:197], v[118:119]
	s_waitcnt lgkmcnt(0)
	v_mul_f64 v[108:109], v[94:95], v[194:195]
	v_fmac_f64_e32 v[108:109], v[96:97], v[206:207]
	v_add_f64 v[114:115], v[106:107], v[108:109]
	ds_read_b128 v[106:109], v254 offset:1312
	s_waitcnt vmcnt(14)
	v_mul_f64 v[116:117], v[98:99], v[228:229]
	s_waitcnt vmcnt(12)
	v_fmac_f64_e32 v[116:117], v[100:101], v[230:231]
	v_add_f64 v[114:115], v[114:115], v[116:117]
	v_add_f64 v[250:251], v[118:119], v[198:199]
	s_waitcnt lgkmcnt(0)
	v_mul_f64 v[116:117], v[106:107], v[210:211]
	v_fmac_f64_e32 v[116:117], v[108:109], v[214:215]
	v_add_f64 v[114:115], v[114:115], v[116:117]
	v_add_f64 v[118:119], v[250:251], v[246:247]
	v_mul_f64 v[24:25], v[24:25], v[124:125]
	v_add_f64 v[118:119], v[118:119], v[248:249]
	v_fma_f64 v[22:23], v[22:23], v[136:137], -v[24:25]
	v_add_f64 v[22:23], v[118:119], v[22:23]
	v_mul_f64 v[16:17], v[16:17], v[132:133]
	v_add_f64 v[18:19], v[22:23], v[18:19]
	v_fma_f64 v[14:15], v[14:15], v[134:135], -v[16:17]
	v_mul_f64 v[12:13], v[12:13], v[126:127]
	s_waitcnt vmcnt(9)
	v_mul_f64 v[116:117], v[102:103], v[236:237]
	v_add_f64 v[14:15], v[18:19], v[14:15]
	s_waitcnt vmcnt(7)
	v_fmac_f64_e32 v[116:117], v[104:105], v[238:239]
	v_add_f64 v[114:115], v[114:115], v[116:117]
	s_waitcnt vmcnt(5)
	v_mul_f64 v[116:117], v[110:111], v[232:233]
	s_waitcnt vmcnt(4)
	v_fmac_f64_e32 v[116:117], v[112:113], v[234:235]
	v_add_f64 v[200:201], v[114:115], v[116:117]
	ds_read_b128 v[114:117], v254 offset:1360
	buffer_load_dword v254, off, s[0:3], 0 offset:144
	buffer_load_dword v255, off, s[0:3], 0 offset:148
	;; [unrolled: 1-line block ×4, first 2 shown]
	v_fma_f64 v[10:11], v[10:11], v[128:129], -v[12:13]
	v_mul_f64 v[4:5], v[4:5], v[130:131]
	v_add_f64 v[10:11], v[14:15], v[10:11]
	v_fma_f64 v[2:3], v[2:3], v[146:147], -v[4:5]
	v_mul_f64 v[4:5], v[8:9], v[138:139]
	v_add_f64 v[2:3], v[10:11], v[2:3]
	v_fma_f64 v[4:5], v[6:7], v[140:141], -v[4:5]
	v_add_f64 v[2:3], v[2:3], v[4:5]
	v_mul_f64 v[4:5], v[28:29], v[148:149]
	v_fma_f64 v[4:5], v[26:27], v[164:165], -v[4:5]
	v_add_f64 v[2:3], v[2:3], v[4:5]
	v_mul_f64 v[4:5], v[32:33], v[142:143]
	;; [unrolled: 3-line block ×22, first 2 shown]
	v_fma_f64 v[4:5], v[110:111], v[234:235], -v[4:5]
	v_add_f64 v[2:3], v[2:3], v[4:5]
	s_waitcnt vmcnt(6) lgkmcnt(0)
	v_mul_f64 v[4:5], v[116:117], v[240:241]
	v_mul_f64 v[202:203], v[114:115], v[240:241]
	s_waitcnt vmcnt(4)
	v_fma_f64 v[4:5], v[114:115], v[242:243], -v[4:5]
	v_fmac_f64_e32 v[202:203], v[116:117], v[242:243]
	v_add_f64 v[2:3], v[2:3], v[4:5]
	v_add_f64 v[244:245], v[200:201], v[202:203]
	s_waitcnt vmcnt(2)
	v_add_f64 v[2:3], v[254:255], -v[2:3]
	s_waitcnt vmcnt(0)
	v_add_f64 v[4:5], v[252:253], -v[244:245]
	buffer_store_dword v3, off, s[0:3], 0 offset:148
	buffer_store_dword v2, off, s[0:3], 0 offset:144
	;; [unrolled: 1-line block ×4, first 2 shown]
	s_and_saveexec_b64 s[4:5], vcc
	s_cbranch_execz .LBB106_257
; %bb.256:
	v_accvgpr_read_b32 v0, a121
	buffer_load_dword v2, v0, s[0:3], 0 offen
	buffer_load_dword v3, v0, s[0:3], 0 offen offset:4
	buffer_load_dword v4, v0, s[0:3], 0 offen offset:8
	buffer_load_dword v5, v0, s[0:3], 0 offen offset:12
	v_mov_b32_e32 v0, 0
	v_accvgpr_read_b32 v6, a129
	buffer_store_dword v0, off, s[0:3], 0 offset:128
	buffer_store_dword v0, off, s[0:3], 0 offset:132
	;; [unrolled: 1-line block ×4, first 2 shown]
	s_waitcnt vmcnt(4)
	ds_write_b128 v6, v[2:5]
.LBB106_257:
	s_or_b64 exec, exec, s[4:5]
	s_waitcnt lgkmcnt(0)
	; wave barrier
	s_waitcnt lgkmcnt(0)
	buffer_load_dword v82, off, s[0:3], 0 offset:144
	buffer_load_dword v83, off, s[0:3], 0 offset:148
	buffer_load_dword v84, off, s[0:3], 0 offset:152
	buffer_load_dword v85, off, s[0:3], 0 offset:156
	buffer_load_dword v86, off, s[0:3], 0 offset:160
	buffer_load_dword v87, off, s[0:3], 0 offset:164
	buffer_load_dword v88, off, s[0:3], 0 offset:168
	buffer_load_dword v89, off, s[0:3], 0 offset:172
	buffer_load_dword v94, off, s[0:3], 0 offset:184
	buffer_load_dword v95, off, s[0:3], 0 offset:188
	buffer_load_dword v103, off, s[0:3], 0 offset:220
	buffer_load_dword v102, off, s[0:3], 0 offset:216
	buffer_load_dword v105, off, s[0:3], 0 offset:212
	buffer_load_dword v104, off, s[0:3], 0 offset:208
	buffer_load_dword v99, off, s[0:3], 0 offset:204
	buffer_load_dword v98, off, s[0:3], 0 offset:200
	buffer_load_dword v121, off, s[0:3], 0 offset:252
	buffer_load_dword v120, off, s[0:3], 0 offset:248
	buffer_load_dword v123, off, s[0:3], 0 offset:244
	buffer_load_dword v122, off, s[0:3], 0 offset:240
	buffer_load_dword v111, off, s[0:3], 0 offset:236
	buffer_load_dword v110, off, s[0:3], 0 offset:232
	buffer_load_dword v125, off, s[0:3], 0 offset:268
	buffer_load_dword v124, off, s[0:3], 0 offset:264
	buffer_load_dword v96, off, s[0:3], 0 offset:176
	buffer_load_dword v97, off, s[0:3], 0 offset:180
	buffer_load_dword v101, off, s[0:3], 0 offset:196
	buffer_load_dword v100, off, s[0:3], 0 offset:192
	buffer_load_dword v113, off, s[0:3], 0 offset:228
	buffer_load_dword v112, off, s[0:3], 0 offset:224
	buffer_load_dword v129, off, s[0:3], 0 offset:260
	buffer_load_dword v128, off, s[0:3], 0 offset:256
	buffer_load_dword v126, off, s[0:3], 0 offset:280
	buffer_load_dword v130, off, s[0:3], 0 offset:272
	buffer_load_dword v131, off, s[0:3], 0 offset:276
	buffer_load_dword v127, off, s[0:3], 0 offset:284
	buffer_load_dword v133, off, s[0:3], 0 offset:316
	buffer_load_dword v132, off, s[0:3], 0 offset:312
	buffer_load_dword v135, off, s[0:3], 0 offset:308
	buffer_load_dword v134, off, s[0:3], 0 offset:304
	buffer_load_dword v137, off, s[0:3], 0 offset:300
	buffer_load_dword v136, off, s[0:3], 0 offset:296
	buffer_load_dword v139, off, s[0:3], 0 offset:292
	buffer_load_dword v138, off, s[0:3], 0 offset:288
	buffer_load_dword v141, off, s[0:3], 0 offset:348
	buffer_load_dword v140, off, s[0:3], 0 offset:344
	buffer_load_dword v143, off, s[0:3], 0 offset:340
	buffer_load_dword v142, off, s[0:3], 0 offset:336
	buffer_load_dword v147, off, s[0:3], 0 offset:332
	buffer_load_dword v146, off, s[0:3], 0 offset:328
	buffer_load_dword v149, off, s[0:3], 0 offset:324
	buffer_load_dword v148, off, s[0:3], 0 offset:320
	buffer_load_dword v145, off, s[0:3], 0 offset:380
	buffer_load_dword v144, off, s[0:3], 0 offset:376
	v_mov_b32_e32 v254, 0
	ds_read_b128 v[90:93], v254 offset:816
	ds_read_b128 v[106:109], v254 offset:832
	;; [unrolled: 1-line block ×9, first 2 shown]
	buffer_load_dword v151, off, s[0:3], 0 offset:372
	buffer_load_dword v150, off, s[0:3], 0 offset:368
	;; [unrolled: 1-line block ×62, first 2 shown]
	v_cmp_lt_u32_e32 vcc, 6, v1
	s_waitcnt vmcnt(62) lgkmcnt(8)
	v_mul_f64 v[14:15], v[90:91], v[84:85]
	v_fmac_f64_e32 v[14:15], v[92:93], v[82:83]
	v_add_f64 v[14:15], v[14:15], 0
	v_mul_f64 v[84:85], v[92:93], v[84:85]
	s_waitcnt lgkmcnt(7)
	v_mul_f64 v[16:17], v[106:107], v[88:89]
	v_fmac_f64_e32 v[16:17], v[108:109], v[86:87]
	s_waitcnt lgkmcnt(6)
	v_mul_f64 v[18:19], v[114:115], v[94:95]
	v_add_f64 v[14:15], v[14:15], v[16:17]
	s_waitcnt lgkmcnt(4)
	v_mul_f64 v[22:23], v[246:247], v[102:103]
	v_fma_f64 v[196:197], v[90:91], v[82:83], -v[84:85]
	v_fmac_f64_e32 v[22:23], v[248:249], v[104:105]
	v_mul_f64 v[88:89], v[108:109], v[88:89]
	v_mul_f64 v[20:21], v[242:243], v[98:99]
	v_fma_f64 v[198:199], v[106:107], v[86:87], -v[88:89]
	s_waitcnt lgkmcnt(2)
	v_mul_f64 v[26:27], v[10:11], v[120:121]
	v_mul_f64 v[94:95], v[116:117], v[94:95]
	v_fmac_f64_e32 v[26:27], v[12:13], v[122:123]
	v_mul_f64 v[98:99], v[244:245], v[98:99]
	v_mul_f64 v[24:25], v[250:251], v[110:111]
	;; [unrolled: 1-line block ×3, first 2 shown]
	s_waitcnt lgkmcnt(1)
	v_mul_f64 v[28:29], v[6:7], v[124:125]
	v_mul_f64 v[110:111], v[252:253], v[110:111]
	v_fmac_f64_e32 v[18:19], v[116:117], v[96:97]
	v_add_f64 v[14:15], v[14:15], v[18:19]
	v_fmac_f64_e32 v[20:21], v[244:245], v[100:101]
	v_add_f64 v[14:15], v[14:15], v[20:21]
	;; [unrolled: 2-line block ×3, first 2 shown]
	v_add_f64 v[14:15], v[14:15], v[24:25]
	v_fmac_f64_e32 v[28:29], v[8:9], v[128:129]
	v_add_f64 v[14:15], v[14:15], v[26:27]
	v_add_f64 v[18:19], v[14:15], v[28:29]
	ds_read_b128 v[14:17], v254 offset:960
	s_waitcnt lgkmcnt(1)
	v_mul_f64 v[20:21], v[2:3], v[126:127]
	v_fmac_f64_e32 v[20:21], v[4:5], v[130:131]
	v_add_f64 v[22:23], v[18:19], v[20:21]
	ds_read_b128 v[18:21], v254 offset:976
	s_waitcnt lgkmcnt(1)
	v_mul_f64 v[24:25], v[14:15], v[136:137]
	v_fmac_f64_e32 v[24:25], v[16:17], v[138:139]
	;; [unrolled: 5-line block ×5, first 2 shown]
	v_add_f64 v[38:39], v[34:35], v[36:37]
	ds_read_b128 v[34:37], v254 offset:1040
	s_waitcnt vmcnt(58) lgkmcnt(1)
	v_mul_f64 v[40:41], v[30:31], v[164:165]
	s_waitcnt vmcnt(56)
	v_fmac_f64_e32 v[40:41], v[32:33], v[168:169]
	v_add_f64 v[42:43], v[38:39], v[40:41]
	ds_read_b128 v[38:41], v254 offset:1056
	s_waitcnt lgkmcnt(1)
	v_mul_f64 v[44:45], v[34:35], v[144:145]
	v_fmac_f64_e32 v[44:45], v[36:37], v[150:151]
	v_add_f64 v[46:47], v[42:43], v[44:45]
	ds_read_b128 v[42:45], v254 offset:1072
	s_waitcnt vmcnt(50) lgkmcnt(1)
	v_mul_f64 v[48:49], v[38:39], v[172:173]
	s_waitcnt vmcnt(48)
	v_fmac_f64_e32 v[48:49], v[40:41], v[176:177]
	v_add_f64 v[50:51], v[46:47], v[48:49]
	ds_read_b128 v[46:49], v254 offset:1088
	buffer_load_dword v221, off, s[0:3], 0 offset:620
	buffer_load_dword v220, off, s[0:3], 0 offset:616
	;; [unrolled: 1-line block ×8, first 2 shown]
	s_waitcnt lgkmcnt(1)
	v_mul_f64 v[52:53], v[42:43], v[152:153]
	v_fmac_f64_e32 v[52:53], v[44:45], v[154:155]
	v_add_f64 v[54:55], v[50:51], v[52:53]
	ds_read_b128 v[50:53], v254 offset:1104
	s_waitcnt vmcnt(50) lgkmcnt(1)
	v_mul_f64 v[56:57], v[46:47], v[180:181]
	s_waitcnt vmcnt(48)
	v_fmac_f64_e32 v[56:57], v[48:49], v[184:185]
	buffer_load_dword v225, off, s[0:3], 0 offset:668
	buffer_load_dword v231, off, s[0:3], 0 offset:652
	;; [unrolled: 1-line block ×12, first 2 shown]
	v_add_f64 v[58:59], v[54:55], v[56:57]
	ds_read_b128 v[54:57], v254 offset:1120
	s_waitcnt lgkmcnt(1)
	v_mul_f64 v[60:61], v[50:51], v[156:157]
	v_fmac_f64_e32 v[60:61], v[52:53], v[158:159]
	v_add_f64 v[62:63], v[58:59], v[60:61]
	ds_read_b128 v[58:61], v254 offset:1136
	s_waitcnt vmcnt(54) lgkmcnt(1)
	v_mul_f64 v[64:65], v[54:55], v[188:189]
	s_waitcnt vmcnt(52)
	v_fmac_f64_e32 v[64:65], v[56:57], v[192:193]
	v_add_f64 v[66:67], v[62:63], v[64:65]
	ds_read_b128 v[62:65], v254 offset:1152
	s_waitcnt lgkmcnt(1)
	v_mul_f64 v[68:69], v[58:59], v[160:161]
	v_fmac_f64_e32 v[68:69], v[60:61], v[162:163]
	v_add_f64 v[70:71], v[66:67], v[68:69]
	ds_read_b128 v[66:69], v254 offset:1168
	s_waitcnt vmcnt(46) lgkmcnt(1)
	v_mul_f64 v[72:73], v[62:63], v[204:205]
	s_waitcnt vmcnt(44)
	v_fmac_f64_e32 v[72:73], v[64:65], v[206:207]
	v_add_f64 v[78:79], v[70:71], v[72:73]
	ds_read_b128 v[70:73], v254 offset:1184
	ds_read_b128 v[74:77], v254 offset:1200
	s_waitcnt lgkmcnt(2)
	v_mul_f64 v[80:81], v[66:67], v[166:167]
	v_fmac_f64_e32 v[80:81], v[68:69], v[170:171]
	v_add_f64 v[78:79], v[78:79], v[80:81]
	s_waitcnt vmcnt(38) lgkmcnt(1)
	v_mul_f64 v[80:81], v[70:71], v[208:209]
	s_waitcnt vmcnt(36)
	v_fmac_f64_e32 v[80:81], v[72:73], v[210:211]
	v_add_f64 v[78:79], v[78:79], v[80:81]
	s_waitcnt lgkmcnt(0)
	v_mul_f64 v[80:81], v[74:75], v[174:175]
	v_fmac_f64_e32 v[80:81], v[76:77], v[178:179]
	v_add_f64 v[118:119], v[78:79], v[80:81]
	ds_read_b128 v[78:81], v254 offset:1216
	ds_read_b128 v[82:85], v254 offset:1232
	;; [unrolled: 1-line block ×3, first 2 shown]
	v_fma_f64 v[200:201], v[242:243], v[100:101], -v[98:99]
	ds_read_b128 v[98:101], v254 offset:1296
	s_waitcnt vmcnt(30) lgkmcnt(3)
	v_mul_f64 v[90:91], v[78:79], v[212:213]
	s_waitcnt vmcnt(28)
	v_fmac_f64_e32 v[90:91], v[80:81], v[214:215]
	s_waitcnt lgkmcnt(2)
	v_mul_f64 v[92:93], v[82:83], v[182:183]
	v_add_f64 v[90:91], v[118:119], v[90:91]
	v_fmac_f64_e32 v[92:93], v[84:85], v[186:187]
	v_add_f64 v[90:91], v[90:91], v[92:93]
	v_fma_f64 v[118:119], v[114:115], v[96:97], -v[94:95]
	ds_read_b128 v[94:97], v254 offset:1280
	s_waitcnt vmcnt(22) lgkmcnt(2)
	v_mul_f64 v[92:93], v[86:87], v[216:217]
	s_waitcnt vmcnt(20)
	v_fmac_f64_e32 v[92:93], v[88:89], v[218:219]
	v_add_f64 v[106:107], v[90:91], v[92:93]
	ds_read_b128 v[90:93], v254 offset:1264
	buffer_load_dword v240, off, s[0:3], 0 offset:696
	v_fma_f64 v[202:203], v[246:247], v[104:105], -v[102:103]
	ds_read_b128 v[102:105], v254 offset:1312
	v_fma_f64 v[250:251], v[250:251], v[112:113], -v[110:111]
	s_waitcnt lgkmcnt(1)
	v_mul_f64 v[108:109], v[90:91], v[190:191]
	v_fmac_f64_e32 v[108:109], v[92:93], v[194:195]
	v_add_f64 v[106:107], v[106:107], v[108:109]
	ds_read_b128 v[110:113], v254 offset:1344
	v_add_f64 v[196:197], v[196:197], 0
	v_add_f64 v[196:197], v[196:197], v[198:199]
	;; [unrolled: 1-line block ×5, first 2 shown]
	v_mul_f64 v[12:13], v[12:13], v[120:121]
	v_add_f64 v[118:119], v[252:253], v[250:251]
	v_fma_f64 v[10:11], v[10:11], v[122:123], -v[12:13]
	v_mul_f64 v[8:9], v[8:9], v[124:125]
	v_add_f64 v[10:11], v[118:119], v[10:11]
	v_fma_f64 v[6:7], v[6:7], v[128:129], -v[8:9]
	;; [unrolled: 3-line block ×3, first 2 shown]
	v_mul_f64 v[4:5], v[16:17], v[136:137]
	v_add_f64 v[2:3], v[6:7], v[2:3]
	s_waitcnt vmcnt(19)
	v_mul_f64 v[108:109], v[94:95], v[220:221]
	v_fma_f64 v[4:5], v[14:15], v[138:139], -v[4:5]
	s_waitcnt vmcnt(17)
	v_fmac_f64_e32 v[108:109], v[96:97], v[222:223]
	v_add_f64 v[106:107], v[106:107], v[108:109]
	s_waitcnt vmcnt(15)
	v_mul_f64 v[108:109], v[98:99], v[226:227]
	s_waitcnt vmcnt(13)
	v_fmac_f64_e32 v[108:109], v[100:101], v[228:229]
	v_add_f64 v[114:115], v[106:107], v[108:109]
	ds_read_b128 v[106:109], v254 offset:1328
	buffer_load_dword v244, off, s[0:3], 0 offset:688
	buffer_load_dword v241, off, s[0:3], 0 offset:700
	;; [unrolled: 1-line block ×3, first 2 shown]
	s_waitcnt vmcnt(13) lgkmcnt(2)
	v_mul_f64 v[116:117], v[102:103], v[230:231]
	s_waitcnt vmcnt(11)
	v_fmac_f64_e32 v[116:117], v[104:105], v[236:237]
	v_add_f64 v[114:115], v[114:115], v[116:117]
	s_waitcnt vmcnt(10) lgkmcnt(0)
	v_mul_f64 v[116:117], v[106:107], v[224:225]
	s_waitcnt vmcnt(8)
	v_fmac_f64_e32 v[116:117], v[108:109], v[234:235]
	v_add_f64 v[114:115], v[114:115], v[116:117]
	s_waitcnt vmcnt(6)
	v_mul_f64 v[116:117], v[110:111], v[232:233]
	s_waitcnt vmcnt(4)
	v_fmac_f64_e32 v[116:117], v[112:113], v[238:239]
	v_add_f64 v[242:243], v[114:115], v[116:117]
	ds_read_b128 v[114:117], v254 offset:1360
	buffer_load_dword v248, off, s[0:3], 0 offset:128
	buffer_load_dword v249, off, s[0:3], 0 offset:132
	v_add_f64 v[2:3], v[2:3], v[4:5]
	v_mul_f64 v[4:5], v[20:21], v[132:133]
	v_fma_f64 v[4:5], v[18:19], v[134:135], -v[4:5]
	v_add_f64 v[2:3], v[2:3], v[4:5]
	v_mul_f64 v[4:5], v[24:25], v[146:147]
	v_fma_f64 v[4:5], v[22:23], v[148:149], -v[4:5]
	;; [unrolled: 3-line block ×22, first 2 shown]
	v_add_f64 v[2:3], v[2:3], v[4:5]
	s_waitcnt vmcnt(3) lgkmcnt(0)
	v_mul_f64 v[246:247], v[114:115], v[240:241]
	s_waitcnt vmcnt(2)
	v_fmac_f64_e32 v[246:247], v[116:117], v[244:245]
	v_add_f64 v[242:243], v[242:243], v[246:247]
	buffer_load_dword v246, off, s[0:3], 0 offset:136
	buffer_load_dword v247, off, s[0:3], 0 offset:140
	v_mul_f64 v[4:5], v[108:109], v[224:225]
	v_fma_f64 v[4:5], v[106:107], v[234:235], -v[4:5]
	v_add_f64 v[2:3], v[2:3], v[4:5]
	v_mul_f64 v[4:5], v[112:113], v[232:233]
	v_fma_f64 v[4:5], v[110:111], v[238:239], -v[4:5]
	v_add_f64 v[2:3], v[2:3], v[4:5]
	;; [unrolled: 3-line block ×3, first 2 shown]
	s_waitcnt vmcnt(2)
	v_add_f64 v[2:3], v[248:249], -v[2:3]
	s_waitcnt vmcnt(0)
	v_add_f64 v[4:5], v[246:247], -v[242:243]
	buffer_store_dword v3, off, s[0:3], 0 offset:132
	buffer_store_dword v2, off, s[0:3], 0 offset:128
	buffer_store_dword v5, off, s[0:3], 0 offset:140
	buffer_store_dword v4, off, s[0:3], 0 offset:136
	s_and_saveexec_b64 s[4:5], vcc
	s_cbranch_execz .LBB106_259
; %bb.258:
	v_accvgpr_read_b32 v0, a122
	buffer_load_dword v2, v0, s[0:3], 0 offen
	buffer_load_dword v3, v0, s[0:3], 0 offen offset:4
	buffer_load_dword v4, v0, s[0:3], 0 offen offset:8
	;; [unrolled: 1-line block ×3, first 2 shown]
	v_accvgpr_read_b32 v0, a129
	buffer_store_dword v254, off, s[0:3], 0 offset:112
	buffer_store_dword v254, off, s[0:3], 0 offset:116
	;; [unrolled: 1-line block ×4, first 2 shown]
	s_waitcnt vmcnt(4)
	ds_write_b128 v0, v[2:5]
.LBB106_259:
	s_or_b64 exec, exec, s[4:5]
	s_waitcnt lgkmcnt(0)
	; wave barrier
	s_waitcnt lgkmcnt(0)
	buffer_load_dword v84, off, s[0:3], 0 offset:128
	buffer_load_dword v85, off, s[0:3], 0 offset:132
	;; [unrolled: 1-line block ×34, first 2 shown]
	ds_read_b128 v[74:77], v254 offset:800
	ds_read_b128 v[78:81], v254 offset:816
	;; [unrolled: 1-line block ×8, first 2 shown]
	buffer_load_dword v127, off, s[0:3], 0 offset:244
	buffer_load_dword v126, off, s[0:3], 0 offset:240
	ds_read_b128 v[6:9], v254 offset:928
	buffer_load_dword v129, off, s[0:3], 0 offset:300
	buffer_load_dword v128, off, s[0:3], 0 offset:296
	;; [unrolled: 1-line block ×80, first 2 shown]
	s_waitcnt vmcnt(62) lgkmcnt(8)
	v_mul_f64 v[10:11], v[74:75], v[106:107]
	v_fmac_f64_e32 v[10:11], v[76:77], v[84:85]
	v_add_f64 v[10:11], v[10:11], 0
	v_mul_f64 v[76:77], v[76:77], v[106:107]
	s_waitcnt lgkmcnt(7)
	v_mul_f64 v[12:13], v[78:79], v[96:97]
	v_fmac_f64_e32 v[12:13], v[80:81], v[82:83]
	s_waitcnt lgkmcnt(6)
	v_mul_f64 v[14:15], v[86:87], v[94:95]
	v_add_f64 v[10:11], v[10:11], v[12:13]
	s_waitcnt lgkmcnt(4)
	v_mul_f64 v[18:19], v[98:99], v[108:109]
	v_fma_f64 v[196:197], v[74:75], v[84:85], -v[76:77]
	v_fmac_f64_e32 v[18:19], v[100:101], v[114:115]
	v_mul_f64 v[80:81], v[80:81], v[96:97]
	v_mul_f64 v[16:17], v[90:91], v[116:117]
	v_fma_f64 v[198:199], v[78:79], v[82:83], -v[80:81]
	s_waitcnt lgkmcnt(2)
	v_mul_f64 v[22:23], v[110:111], v[240:241]
	v_mul_f64 v[100:101], v[100:101], v[108:109]
	v_fma_f64 v[202:203], v[98:99], v[114:115], -v[100:101]
	v_mul_f64 v[20:21], v[102:103], v[244:245]
	v_add_f64 v[196:197], v[196:197], 0
	s_waitcnt lgkmcnt(1)
	v_mul_f64 v[24:25], v[2:3], v[120:121]
	v_add_f64 v[196:197], v[196:197], v[198:199]
	v_fmac_f64_e32 v[14:15], v[88:89], v[250:251]
	v_add_f64 v[10:11], v[10:11], v[14:15]
	v_fmac_f64_e32 v[16:17], v[92:93], v[248:249]
	;; [unrolled: 2-line block ×4, first 2 shown]
	v_add_f64 v[10:11], v[10:11], v[20:21]
	v_add_f64 v[10:11], v[10:11], v[22:23]
	s_waitcnt lgkmcnt(0)
	v_mul_f64 v[16:17], v[6:7], v[122:123]
	v_fmac_f64_e32 v[16:17], v[8:9], v[124:125]
	v_fmac_f64_e32 v[24:25], v[4:5], v[126:127]
	v_add_f64 v[14:15], v[10:11], v[24:25]
	ds_read_b128 v[10:13], v254 offset:944
	v_add_f64 v[18:19], v[14:15], v[16:17]
	ds_read_b128 v[14:17], v254 offset:960
	v_mul_f64 v[88:89], v[88:89], v[94:95]
	v_mul_f64 v[92:93], v[92:93], v[116:117]
	s_waitcnt lgkmcnt(1)
	v_mul_f64 v[20:21], v[10:11], v[132:133]
	v_fmac_f64_e32 v[20:21], v[12:13], v[134:135]
	s_waitcnt lgkmcnt(0)
	v_mul_f64 v[24:25], v[14:15], v[128:129]
	v_add_f64 v[22:23], v[18:19], v[20:21]
	ds_read_b128 v[18:21], v254 offset:976
	v_fmac_f64_e32 v[24:25], v[16:17], v[130:131]
	v_add_f64 v[26:27], v[22:23], v[24:25]
	ds_read_b128 v[22:25], v254 offset:992
	v_fma_f64 v[200:201], v[90:91], v[248:249], -v[92:93]
	s_waitcnt lgkmcnt(1)
	v_mul_f64 v[28:29], v[18:19], v[144:145]
	v_fmac_f64_e32 v[28:29], v[20:21], v[146:147]
	v_add_f64 v[30:31], v[26:27], v[28:29]
	s_waitcnt lgkmcnt(0)
	v_mul_f64 v[32:33], v[22:23], v[136:137]
	ds_read_b128 v[26:29], v254 offset:1008
	v_fmac_f64_e32 v[32:33], v[24:25], v[138:139]
	v_add_f64 v[34:35], v[30:31], v[32:33]
	ds_read_b128 v[30:33], v254 offset:1024
	v_mul_f64 v[104:105], v[104:105], v[244:245]
	s_waitcnt vmcnt(58) lgkmcnt(1)
	v_mul_f64 v[36:37], v[26:27], v[160:161]
	s_waitcnt vmcnt(56)
	v_fmac_f64_e32 v[36:37], v[28:29], v[164:165]
	v_add_f64 v[38:39], v[34:35], v[36:37]
	s_waitcnt lgkmcnt(0)
	v_mul_f64 v[40:41], v[30:31], v[140:141]
	ds_read_b128 v[34:37], v254 offset:1040
	v_fmac_f64_e32 v[40:41], v[32:33], v[142:143]
	v_add_f64 v[42:43], v[38:39], v[40:41]
	ds_read_b128 v[38:41], v254 offset:1056
	v_mul_f64 v[112:113], v[112:113], v[240:241]
	s_waitcnt vmcnt(50) lgkmcnt(1)
	v_mul_f64 v[44:45], v[34:35], v[168:169]
	s_waitcnt vmcnt(48)
	v_fmac_f64_e32 v[44:45], v[36:37], v[172:173]
	v_add_f64 v[46:47], v[42:43], v[44:45]
	s_waitcnt lgkmcnt(0)
	v_mul_f64 v[48:49], v[38:39], v[148:149]
	v_fmac_f64_e32 v[48:49], v[40:41], v[150:151]
	ds_read_b128 v[42:45], v254 offset:1072
	v_add_f64 v[50:51], v[46:47], v[48:49]
	ds_read_b128 v[46:49], v254 offset:1088
	buffer_load_dword v217, off, s[0:3], 0 offset:620
	buffer_load_dword v219, off, s[0:3], 0 offset:604
	;; [unrolled: 1-line block ×12, first 2 shown]
	v_fma_f64 v[252:253], v[110:111], v[242:243], -v[112:113]
	s_waitcnt vmcnt(54) lgkmcnt(1)
	v_mul_f64 v[52:53], v[42:43], v[176:177]
	s_waitcnt vmcnt(52)
	v_fmac_f64_e32 v[52:53], v[44:45], v[180:181]
	v_add_f64 v[54:55], v[50:51], v[52:53]
	ds_read_b128 v[50:53], v254 offset:1104
	s_waitcnt lgkmcnt(1)
	v_mul_f64 v[56:57], v[46:47], v[152:153]
	v_fmac_f64_e32 v[56:57], v[48:49], v[154:155]
	buffer_load_dword v231, off, s[0:3], 0 offset:652
	buffer_load_dword v230, off, s[0:3], 0 offset:648
	buffer_load_dword v233, off, s[0:3], 0 offset:644
	buffer_load_dword v232, off, s[0:3], 0 offset:640
	buffer_load_dword v228, off, s[0:3], 0 offset:680
	buffer_load_dword v237, off, s[0:3], 0 offset:668
	buffer_load_dword v236, off, s[0:3], 0 offset:664
	buffer_load_dword v239, off, s[0:3], 0 offset:660
	buffer_load_dword v238, off, s[0:3], 0 offset:656
	buffer_load_dword v234, off, s[0:3], 0 offset:672
	buffer_load_dword v229, off, s[0:3], 0 offset:684
	buffer_load_dword v235, off, s[0:3], 0 offset:676
	v_add_f64 v[58:59], v[54:55], v[56:57]
	ds_read_b128 v[54:57], v254 offset:1120
	s_waitcnt vmcnt(58) lgkmcnt(1)
	v_mul_f64 v[60:61], v[50:51], v[184:185]
	s_waitcnt vmcnt(56)
	v_fmac_f64_e32 v[60:61], v[52:53], v[188:189]
	v_add_f64 v[62:63], v[58:59], v[60:61]
	ds_read_b128 v[58:61], v254 offset:1136
	s_waitcnt lgkmcnt(1)
	v_mul_f64 v[64:65], v[54:55], v[156:157]
	v_fmac_f64_e32 v[64:65], v[56:57], v[158:159]
	v_add_f64 v[70:71], v[62:63], v[64:65]
	ds_read_b128 v[62:65], v254 offset:1152
	ds_read_b128 v[66:69], v254 offset:1168
	s_waitcnt vmcnt(50) lgkmcnt(2)
	v_mul_f64 v[72:73], v[58:59], v[192:193]
	s_waitcnt vmcnt(48)
	v_fmac_f64_e32 v[72:73], v[60:61], v[194:195]
	v_add_f64 v[70:71], v[70:71], v[72:73]
	s_waitcnt lgkmcnt(1)
	v_mul_f64 v[72:73], v[62:63], v[162:163]
	v_fmac_f64_e32 v[72:73], v[64:65], v[166:167]
	v_add_f64 v[70:71], v[70:71], v[72:73]
	s_waitcnt vmcnt(42) lgkmcnt(0)
	v_mul_f64 v[72:73], v[66:67], v[204:205]
	s_waitcnt vmcnt(40)
	v_fmac_f64_e32 v[72:73], v[68:69], v[206:207]
	v_add_f64 v[118:119], v[70:71], v[72:73]
	ds_read_b128 v[70:73], v254 offset:1184
	ds_read_b128 v[74:77], v254 offset:1200
	;; [unrolled: 1-line block ×5, first 2 shown]
	s_waitcnt lgkmcnt(4)
	v_mul_f64 v[84:85], v[70:71], v[170:171]
	v_fmac_f64_e32 v[84:85], v[72:73], v[174:175]
	v_add_f64 v[82:83], v[118:119], v[84:85]
	s_waitcnt vmcnt(34) lgkmcnt(3)
	v_mul_f64 v[84:85], v[74:75], v[208:209]
	s_waitcnt vmcnt(32)
	v_fmac_f64_e32 v[84:85], v[76:77], v[210:211]
	v_add_f64 v[82:83], v[82:83], v[84:85]
	v_fma_f64 v[118:119], v[86:87], v[250:251], -v[88:89]
	ds_read_b128 v[86:89], v254 offset:1248
	s_waitcnt lgkmcnt(3)
	v_mul_f64 v[84:85], v[78:79], v[178:179]
	v_fmac_f64_e32 v[84:85], v[80:81], v[182:183]
	v_add_f64 v[96:97], v[82:83], v[84:85]
	ds_read_b128 v[82:85], v254 offset:1232
	v_fma_f64 v[250:251], v[102:103], v[246:247], -v[104:105]
	ds_read_b128 v[110:113], v254 offset:1344
	v_add_f64 v[118:119], v[196:197], v[118:119]
	v_add_f64 v[118:119], v[118:119], v[200:201]
	s_waitcnt vmcnt(26) lgkmcnt(1)
	v_mul_f64 v[94:95], v[82:83], v[212:213]
	s_waitcnt vmcnt(24)
	v_fmac_f64_e32 v[94:95], v[84:85], v[214:215]
	v_add_f64 v[94:95], v[96:97], v[94:95]
	v_mul_f64 v[96:97], v[86:87], v[186:187]
	v_fmac_f64_e32 v[96:97], v[88:89], v[190:191]
	v_add_f64 v[106:107], v[94:95], v[96:97]
	ds_read_b128 v[94:97], v254 offset:1280
	v_mul_f64 v[4:5], v[4:5], v[120:121]
	v_fma_f64 v[2:3], v[2:3], v[126:127], -v[4:5]
	v_mul_f64 v[4:5], v[8:9], v[122:123]
	v_fma_f64 v[4:5], v[6:7], v[124:125], -v[4:5]
	ds_read_b128 v[102:105], v254 offset:1328
	s_waitcnt vmcnt(21)
	v_mul_f64 v[108:109], v[90:91], v[218:219]
	s_waitcnt vmcnt(19)
	v_fmac_f64_e32 v[108:109], v[92:93], v[224:225]
	v_add_f64 v[106:107], v[106:107], v[108:109]
	s_waitcnt vmcnt(18) lgkmcnt(1)
	v_mul_f64 v[108:109], v[94:95], v[216:217]
	s_waitcnt vmcnt(16)
	v_fmac_f64_e32 v[108:109], v[96:97], v[222:223]
	v_add_f64 v[114:115], v[106:107], v[108:109]
	ds_read_b128 v[106:109], v254 offset:1312
	buffer_load_dword v243, off, s[0:3], 0 offset:700
	buffer_load_dword v242, off, s[0:3], 0 offset:696
	;; [unrolled: 1-line block ×4, first 2 shown]
	s_waitcnt vmcnt(18)
	v_mul_f64 v[116:117], v[98:99], v[220:221]
	s_waitcnt vmcnt(16)
	v_fmac_f64_e32 v[116:117], v[100:101], v[226:227]
	v_add_f64 v[114:115], v[114:115], v[116:117]
	s_waitcnt vmcnt(14) lgkmcnt(0)
	v_mul_f64 v[116:117], v[106:107], v[230:231]
	s_waitcnt vmcnt(12)
	v_fmac_f64_e32 v[116:117], v[108:109], v[232:233]
	v_add_f64 v[114:115], v[114:115], v[116:117]
	s_waitcnt vmcnt(9)
	v_mul_f64 v[116:117], v[102:103], v[236:237]
	s_waitcnt vmcnt(7)
	v_fmac_f64_e32 v[116:117], v[104:105], v[238:239]
	v_add_f64 v[114:115], v[114:115], v[116:117]
	s_waitcnt vmcnt(5)
	v_mul_f64 v[116:117], v[110:111], v[228:229]
	s_waitcnt vmcnt(4)
	v_fmac_f64_e32 v[116:117], v[112:113], v[234:235]
	v_add_f64 v[240:241], v[114:115], v[116:117]
	ds_read_b128 v[114:117], v254 offset:1360
	v_add_f64 v[254:255], v[118:119], v[202:203]
	v_add_f64 v[118:119], v[254:255], v[250:251]
	;; [unrolled: 1-line block ×5, first 2 shown]
	v_mul_f64 v[4:5], v[12:13], v[132:133]
	v_fma_f64 v[4:5], v[10:11], v[134:135], -v[4:5]
	v_add_f64 v[2:3], v[2:3], v[4:5]
	v_mul_f64 v[4:5], v[16:17], v[128:129]
	v_fma_f64 v[4:5], v[14:15], v[130:131], -v[4:5]
	v_add_f64 v[2:3], v[2:3], v[4:5]
	;; [unrolled: 3-line block ×19, first 2 shown]
	v_mul_f64 v[4:5], v[88:89], v[186:187]
	v_fma_f64 v[4:5], v[86:87], v[190:191], -v[4:5]
	s_waitcnt vmcnt(2) lgkmcnt(0)
	v_mul_f64 v[246:247], v[114:115], v[242:243]
	v_add_f64 v[2:3], v[2:3], v[4:5]
	s_waitcnt vmcnt(0)
	v_fmac_f64_e32 v[246:247], v[116:117], v[244:245]
	v_add_f64 v[240:241], v[240:241], v[246:247]
	buffer_load_dword v248, off, s[0:3], 0 offset:112
	buffer_load_dword v249, off, s[0:3], 0 offset:116
	;; [unrolled: 1-line block ×4, first 2 shown]
	v_mul_f64 v[4:5], v[92:93], v[218:219]
	v_fma_f64 v[4:5], v[90:91], v[224:225], -v[4:5]
	v_add_f64 v[2:3], v[2:3], v[4:5]
	v_mul_f64 v[4:5], v[96:97], v[216:217]
	v_fma_f64 v[4:5], v[94:95], v[222:223], -v[4:5]
	v_add_f64 v[2:3], v[2:3], v[4:5]
	v_mul_f64 v[4:5], v[100:101], v[220:221]
	v_fma_f64 v[4:5], v[98:99], v[226:227], -v[4:5]
	v_add_f64 v[2:3], v[2:3], v[4:5]
	v_mul_f64 v[4:5], v[108:109], v[230:231]
	v_fma_f64 v[4:5], v[106:107], v[232:233], -v[4:5]
	v_add_f64 v[2:3], v[2:3], v[4:5]
	v_mul_f64 v[4:5], v[104:105], v[236:237]
	v_fma_f64 v[4:5], v[102:103], v[238:239], -v[4:5]
	v_add_f64 v[2:3], v[2:3], v[4:5]
	v_mul_f64 v[4:5], v[112:113], v[228:229]
	v_fma_f64 v[4:5], v[110:111], v[234:235], -v[4:5]
	v_add_f64 v[2:3], v[2:3], v[4:5]
	v_mul_f64 v[4:5], v[116:117], v[242:243]
	v_fma_f64 v[4:5], v[114:115], v[244:245], -v[4:5]
	v_add_f64 v[2:3], v[2:3], v[4:5]
	v_accvgpr_read_b32 v255, a128
	v_cmp_lt_u32_e32 vcc, 5, v255
	s_waitcnt vmcnt(2)
	v_add_f64 v[2:3], v[248:249], -v[2:3]
	s_waitcnt vmcnt(0)
	v_add_f64 v[4:5], v[246:247], -v[240:241]
	buffer_store_dword v3, off, s[0:3], 0 offset:116
	buffer_store_dword v2, off, s[0:3], 0 offset:112
	;; [unrolled: 1-line block ×4, first 2 shown]
	s_and_saveexec_b64 s[4:5], vcc
	s_cbranch_execz .LBB106_261
; %bb.260:
	v_accvgpr_read_b32 v0, a123
	buffer_load_dword v2, v0, s[0:3], 0 offen
	buffer_load_dword v3, v0, s[0:3], 0 offen offset:4
	buffer_load_dword v4, v0, s[0:3], 0 offen offset:8
	;; [unrolled: 1-line block ×3, first 2 shown]
	v_mov_b32_e32 v0, 0
	v_accvgpr_read_b32 v1, a129
	buffer_store_dword v0, off, s[0:3], 0 offset:96
	buffer_store_dword v0, off, s[0:3], 0 offset:100
	;; [unrolled: 1-line block ×4, first 2 shown]
	s_waitcnt vmcnt(4)
	ds_write_b128 v1, v[2:5]
.LBB106_261:
	s_or_b64 exec, exec, s[4:5]
	s_waitcnt lgkmcnt(0)
	; wave barrier
	s_waitcnt lgkmcnt(0)
	buffer_load_dword v66, off, s[0:3], 0 offset:112
	buffer_load_dword v67, off, s[0:3], 0 offset:116
	;; [unrolled: 1-line block ×55, first 2 shown]
	v_mov_b32_e32 v254, 0
	ds_read_b128 v[74:77], v254 offset:784
	ds_read_b128 v[86:89], v254 offset:800
	;; [unrolled: 1-line block ×9, first 2 shown]
	buffer_load_dword v138, off, s[0:3], 0 offset:336
	buffer_load_dword v157, off, s[0:3], 0 offset:332
	;; [unrolled: 1-line block ×61, first 2 shown]
	v_cmp_lt_u32_e32 vcc, 4, v255
	s_waitcnt vmcnt(62) lgkmcnt(8)
	v_mul_f64 v[6:7], v[74:75], v[68:69]
	v_fmac_f64_e32 v[6:7], v[76:77], v[66:67]
	v_add_f64 v[6:7], v[6:7], 0
	v_mul_f64 v[68:69], v[76:77], v[68:69]
	s_waitcnt lgkmcnt(7)
	v_mul_f64 v[8:9], v[86:87], v[72:73]
	v_fmac_f64_e32 v[8:9], v[88:89], v[70:71]
	s_waitcnt lgkmcnt(6)
	v_mul_f64 v[10:11], v[98:99], v[78:79]
	v_add_f64 v[6:7], v[6:7], v[8:9]
	s_waitcnt lgkmcnt(4)
	v_mul_f64 v[14:15], v[114:115], v[90:91]
	v_fma_f64 v[196:197], v[74:75], v[66:67], -v[68:69]
	v_fmac_f64_e32 v[14:15], v[116:117], v[92:93]
	v_mul_f64 v[72:73], v[88:89], v[72:73]
	v_mul_f64 v[12:13], v[110:111], v[82:83]
	;; [unrolled: 1-line block ×3, first 2 shown]
	s_waitcnt lgkmcnt(2)
	v_mul_f64 v[18:19], v[246:247], v[102:103]
	v_mul_f64 v[82:83], v[112:113], v[82:83]
	;; [unrolled: 1-line block ×4, first 2 shown]
	v_fma_f64 v[202:203], v[114:115], v[92:93], -v[90:91]
	s_waitcnt lgkmcnt(1)
	v_mul_f64 v[20:21], v[250:251], v[106:107]
	v_fmac_f64_e32 v[20:21], v[252:253], v[108:109]
	v_fmac_f64_e32 v[10:11], v[100:101], v[80:81]
	v_add_f64 v[6:7], v[6:7], v[10:11]
	v_fmac_f64_e32 v[12:13], v[112:113], v[84:85]
	v_add_f64 v[6:7], v[6:7], v[12:13]
	;; [unrolled: 2-line block ×4, first 2 shown]
	v_add_f64 v[6:7], v[6:7], v[18:19]
	v_add_f64 v[10:11], v[6:7], v[20:21]
	ds_read_b128 v[6:9], v254 offset:928
	s_waitcnt lgkmcnt(1)
	v_mul_f64 v[12:13], v[2:3], v[120:121]
	v_fmac_f64_e32 v[12:13], v[4:5], v[122:123]
	v_add_f64 v[14:15], v[10:11], v[12:13]
	ds_read_b128 v[10:13], v254 offset:944
	s_waitcnt lgkmcnt(1)
	v_mul_f64 v[16:17], v[6:7], v[128:129]
	v_fmac_f64_e32 v[16:17], v[8:9], v[130:131]
	;; [unrolled: 5-line block ×5, first 2 shown]
	v_add_f64 v[30:31], v[26:27], v[28:29]
	ds_read_b128 v[26:29], v254 offset:1008
	s_waitcnt vmcnt(58) lgkmcnt(1)
	v_mul_f64 v[32:33], v[22:23], v[156:157]
	s_waitcnt vmcnt(56)
	v_fmac_f64_e32 v[32:33], v[24:25], v[160:161]
	v_add_f64 v[34:35], v[30:31], v[32:33]
	ds_read_b128 v[30:33], v254 offset:1024
	s_waitcnt lgkmcnt(1)
	v_mul_f64 v[36:37], v[26:27], v[136:137]
	v_fmac_f64_e32 v[36:37], v[28:29], v[138:139]
	v_add_f64 v[38:39], v[34:35], v[36:37]
	ds_read_b128 v[34:37], v254 offset:1040
	s_waitcnt vmcnt(50) lgkmcnt(1)
	v_mul_f64 v[40:41], v[30:31], v[164:165]
	s_waitcnt vmcnt(48)
	v_fmac_f64_e32 v[40:41], v[32:33], v[168:169]
	v_add_f64 v[42:43], v[38:39], v[40:41]
	ds_read_b128 v[38:41], v254 offset:1056
	s_waitcnt lgkmcnt(1)
	v_mul_f64 v[44:45], v[34:35], v[144:145]
	v_fmac_f64_e32 v[44:45], v[36:37], v[146:147]
	v_add_f64 v[46:47], v[42:43], v[44:45]
	ds_read_b128 v[42:45], v254 offset:1072
	s_waitcnt vmcnt(42) lgkmcnt(1)
	v_mul_f64 v[48:49], v[38:39], v[172:173]
	s_waitcnt vmcnt(40)
	v_fmac_f64_e32 v[48:49], v[40:41], v[176:177]
	v_add_f64 v[50:51], v[46:47], v[48:49]
	ds_read_b128 v[46:49], v254 offset:1088
	buffer_load_dword v215, off, s[0:3], 0 offset:588
	buffer_load_dword v214, off, s[0:3], 0 offset:584
	;; [unrolled: 1-line block ×4, first 2 shown]
	s_waitcnt lgkmcnt(1)
	v_mul_f64 v[52:53], v[42:43], v[148:149]
	v_fmac_f64_e32 v[52:53], v[44:45], v[150:151]
	v_add_f64 v[54:55], v[50:51], v[52:53]
	ds_read_b128 v[50:53], v254 offset:1104
	buffer_load_dword v219, off, s[0:3], 0 offset:604
	buffer_load_dword v218, off, s[0:3], 0 offset:600
	;; [unrolled: 1-line block ×8, first 2 shown]
	s_waitcnt vmcnt(46) lgkmcnt(1)
	v_mul_f64 v[56:57], v[46:47], v[180:181]
	s_waitcnt vmcnt(44)
	v_fmac_f64_e32 v[56:57], v[48:49], v[184:185]
	v_add_f64 v[58:59], v[54:55], v[56:57]
	ds_read_b128 v[54:57], v254 offset:1120
	buffer_load_dword v229, off, s[0:3], 0 offset:636
	buffer_load_dword v228, off, s[0:3], 0 offset:632
	;; [unrolled: 1-line block ×12, first 2 shown]
	s_waitcnt lgkmcnt(1)
	v_mul_f64 v[60:61], v[50:51], v[152:153]
	v_fmac_f64_e32 v[60:61], v[52:53], v[154:155]
	v_add_f64 v[62:63], v[58:59], v[60:61]
	ds_read_b128 v[58:61], v254 offset:1136
	s_waitcnt vmcnt(50) lgkmcnt(1)
	v_mul_f64 v[64:65], v[54:55], v[188:189]
	s_waitcnt vmcnt(48)
	v_fmac_f64_e32 v[64:65], v[56:57], v[190:191]
	v_add_f64 v[62:63], v[62:63], v[64:65]
	buffer_load_dword v239, off, s[0:3], 0 offset:684
	buffer_load_dword v238, off, s[0:3], 0 offset:680
	;; [unrolled: 1-line block ×4, first 2 shown]
	s_waitcnt lgkmcnt(0)
	v_mul_f64 v[64:65], v[58:59], v[158:159]
	v_fmac_f64_e32 v[64:65], v[60:61], v[162:163]
	v_add_f64 v[118:119], v[62:63], v[64:65]
	ds_read_b128 v[62:65], v254 offset:1152
	ds_read_b128 v[66:69], v254 offset:1168
	v_fma_f64 v[198:199], v[98:99], v[80:81], -v[78:79]
	ds_read_b128 v[78:81], v254 offset:1216
	v_fma_f64 v[200:201], v[110:111], v[84:85], -v[82:83]
	ds_read_b128 v[82:85], v254 offset:1232
	s_waitcnt vmcnt(46) lgkmcnt(3)
	v_mul_f64 v[74:75], v[62:63], v[192:193]
	s_waitcnt vmcnt(44)
	v_fmac_f64_e32 v[74:75], v[64:65], v[204:205]
	v_add_f64 v[74:75], v[118:119], v[74:75]
	v_fma_f64 v[118:119], v[86:87], v[70:71], -v[72:73]
	ds_read_b128 v[70:73], v254 offset:1184
	s_waitcnt lgkmcnt(3)
	v_mul_f64 v[76:77], v[66:67], v[166:167]
	v_fmac_f64_e32 v[76:77], v[68:69], v[170:171]
	v_add_f64 v[86:87], v[74:75], v[76:77]
	ds_read_b128 v[74:77], v254 offset:1200
	s_waitcnt vmcnt(38) lgkmcnt(1)
	v_mul_f64 v[88:89], v[70:71], v[206:207]
	s_waitcnt vmcnt(36)
	v_fmac_f64_e32 v[88:89], v[72:73], v[208:209]
	v_add_f64 v[86:87], v[86:87], v[88:89]
	ds_read_b128 v[90:93], v254 offset:1264
	s_waitcnt lgkmcnt(1)
	v_mul_f64 v[88:89], v[74:75], v[174:175]
	v_fmac_f64_e32 v[88:89], v[76:77], v[178:179]
	v_add_f64 v[86:87], v[86:87], v[88:89]
	s_waitcnt vmcnt(30)
	v_mul_f64 v[88:89], v[78:79], v[210:211]
	s_waitcnt vmcnt(28)
	v_fmac_f64_e32 v[88:89], v[80:81], v[212:213]
	v_add_f64 v[86:87], v[86:87], v[88:89]
	v_mul_f64 v[88:89], v[82:83], v[182:183]
	v_fmac_f64_e32 v[88:89], v[84:85], v[186:187]
	v_add_f64 v[98:99], v[86:87], v[88:89]
	ds_read_b128 v[86:89], v254 offset:1248
	v_mul_f64 v[94:95], v[244:245], v[94:95]
	v_fma_f64 v[0:1], v[242:243], v[96:97], -v[94:95]
	ds_read_b128 v[94:97], v254 offset:1280
	v_mul_f64 v[102:103], v[248:249], v[102:103]
	v_fma_f64 v[246:247], v[246:247], v[104:105], -v[102:103]
	;; [unrolled: 3-line block ×3, first 2 shown]
	v_add_f64 v[196:197], v[196:197], 0
	v_add_f64 v[118:119], v[196:197], v[118:119]
	;; [unrolled: 1-line block ×7, first 2 shown]
	v_mul_f64 v[4:5], v[4:5], v[120:121]
	v_add_f64 v[0:1], v[252:253], v[250:251]
	v_fma_f64 v[2:3], v[2:3], v[122:123], -v[4:5]
	v_add_f64 v[0:1], v[0:1], v[2:3]
	v_mul_f64 v[2:3], v[8:9], v[128:129]
	v_fma_f64 v[2:3], v[6:7], v[130:131], -v[2:3]
	v_add_f64 v[0:1], v[0:1], v[2:3]
	ds_read_b128 v[106:109], v254 offset:1328
	v_mul_f64 v[2:3], v[12:13], v[124:125]
	v_fma_f64 v[2:3], v[10:11], v[126:127], -v[2:3]
	v_add_f64 v[0:1], v[0:1], v[2:3]
	s_waitcnt vmcnt(26) lgkmcnt(3)
	v_mul_f64 v[100:101], v[86:87], v[214:215]
	v_mul_f64 v[2:3], v[16:17], v[140:141]
	s_waitcnt vmcnt(24)
	v_fmac_f64_e32 v[100:101], v[88:89], v[216:217]
	v_add_f64 v[98:99], v[98:99], v[100:101]
	s_waitcnt vmcnt(22)
	v_mul_f64 v[100:101], v[90:91], v[218:219]
	s_waitcnt vmcnt(20)
	v_fmac_f64_e32 v[100:101], v[92:93], v[222:223]
	v_add_f64 v[98:99], v[98:99], v[100:101]
	s_waitcnt vmcnt(18) lgkmcnt(2)
	v_mul_f64 v[100:101], v[94:95], v[220:221]
	s_waitcnt vmcnt(16)
	v_fmac_f64_e32 v[100:101], v[96:97], v[224:225]
	v_add_f64 v[110:111], v[98:99], v[100:101]
	ds_read_b128 v[98:101], v254 offset:1296
	v_fma_f64 v[2:3], v[14:15], v[142:143], -v[2:3]
	v_add_f64 v[0:1], v[0:1], v[2:3]
	v_mul_f64 v[2:3], v[20:21], v[132:133]
	v_fma_f64 v[2:3], v[18:19], v[134:135], -v[2:3]
	s_waitcnt vmcnt(14) lgkmcnt(0)
	v_mul_f64 v[112:113], v[98:99], v[228:229]
	s_waitcnt vmcnt(12)
	v_fmac_f64_e32 v[112:113], v[100:101], v[230:231]
	v_add_f64 v[110:111], v[110:111], v[112:113]
	s_waitcnt vmcnt(9)
	v_mul_f64 v[112:113], v[102:103], v[234:235]
	s_waitcnt vmcnt(7)
	v_fmac_f64_e32 v[112:113], v[104:105], v[236:237]
	v_add_f64 v[110:111], v[110:111], v[112:113]
	s_waitcnt vmcnt(5)
	v_mul_f64 v[112:113], v[106:107], v[226:227]
	s_waitcnt vmcnt(4)
	v_fmac_f64_e32 v[112:113], v[108:109], v[232:233]
	v_add_f64 v[114:115], v[110:111], v[112:113]
	ds_read_b128 v[110:113], v254 offset:1344
	buffer_load_dword v242, off, s[0:3], 0 offset:696
	buffer_load_dword v243, off, s[0:3], 0 offset:700
	;; [unrolled: 1-line block ×4, first 2 shown]
	v_add_f64 v[0:1], v[0:1], v[2:3]
	v_mul_f64 v[2:3], v[24:25], v[156:157]
	v_fma_f64 v[2:3], v[22:23], v[160:161], -v[2:3]
	s_waitcnt vmcnt(6) lgkmcnt(0)
	v_mul_f64 v[116:117], v[110:111], v[238:239]
	s_waitcnt vmcnt(4)
	v_fmac_f64_e32 v[116:117], v[112:113], v[240:241]
	v_add_f64 v[194:195], v[114:115], v[116:117]
	ds_read_b128 v[114:117], v254 offset:1360
	v_add_f64 v[0:1], v[0:1], v[2:3]
	v_mul_f64 v[2:3], v[28:29], v[136:137]
	v_fma_f64 v[2:3], v[26:27], v[138:139], -v[2:3]
	v_add_f64 v[0:1], v[0:1], v[2:3]
	v_mul_f64 v[2:3], v[32:33], v[164:165]
	v_fma_f64 v[2:3], v[30:31], v[168:169], -v[2:3]
	;; [unrolled: 3-line block ×22, first 2 shown]
	v_add_f64 v[0:1], v[0:1], v[2:3]
	s_waitcnt vmcnt(2) lgkmcnt(0)
	v_mul_f64 v[248:249], v[114:115], v[242:243]
	v_mul_f64 v[2:3], v[116:117], v[242:243]
	s_waitcnt vmcnt(0)
	v_fmac_f64_e32 v[248:249], v[116:117], v[244:245]
	v_add_f64 v[194:195], v[194:195], v[248:249]
	buffer_load_dword v248, off, s[0:3], 0 offset:96
	buffer_load_dword v249, off, s[0:3], 0 offset:100
	;; [unrolled: 1-line block ×4, first 2 shown]
	v_fma_f64 v[2:3], v[114:115], v[244:245], -v[2:3]
	v_add_f64 v[0:1], v[0:1], v[2:3]
	s_waitcnt vmcnt(2)
	v_add_f64 v[0:1], v[248:249], -v[0:1]
	s_waitcnt vmcnt(0)
	v_add_f64 v[2:3], v[246:247], -v[194:195]
	buffer_store_dword v1, off, s[0:3], 0 offset:100
	buffer_store_dword v0, off, s[0:3], 0 offset:96
	;; [unrolled: 1-line block ×4, first 2 shown]
	s_and_saveexec_b64 s[4:5], vcc
	s_cbranch_execz .LBB106_263
; %bb.262:
	v_accvgpr_read_b32 v0, a124
	buffer_load_dword v2, v0, s[0:3], 0 offen
	buffer_load_dword v3, v0, s[0:3], 0 offen offset:4
	buffer_load_dword v4, v0, s[0:3], 0 offen offset:8
	;; [unrolled: 1-line block ×3, first 2 shown]
	v_accvgpr_read_b32 v0, a129
	buffer_store_dword v254, off, s[0:3], 0 offset:80
	buffer_store_dword v254, off, s[0:3], 0 offset:84
	;; [unrolled: 1-line block ×4, first 2 shown]
	s_waitcnt vmcnt(4)
	ds_write_b128 v0, v[2:5]
.LBB106_263:
	s_or_b64 exec, exec, s[4:5]
	s_waitcnt lgkmcnt(0)
	; wave barrier
	s_waitcnt lgkmcnt(0)
	buffer_load_dword v66, off, s[0:3], 0 offset:96
	buffer_load_dword v67, off, s[0:3], 0 offset:100
	;; [unrolled: 1-line block ×42, first 2 shown]
	ds_read_b128 v[78:81], v254 offset:768
	ds_read_b128 v[90:93], v254 offset:784
	;; [unrolled: 1-line block ×10, first 2 shown]
	buffer_load_dword v131, off, s[0:3], 0 offset:244
	buffer_load_dword v130, off, s[0:3], 0 offset:240
	ds_read_b128 v[6:9], v254 offset:928
	buffer_load_dword v127, off, s[0:3], 0 offset:300
	buffer_load_dword v126, off, s[0:3], 0 offset:296
	;; [unrolled: 1-line block ×80, first 2 shown]
	s_waitcnt vmcnt(62) lgkmcnt(9)
	v_mul_f64 v[10:11], v[90:91], v[64:65]
	v_fmac_f64_e32 v[10:11], v[92:93], v[62:63]
	s_waitcnt lgkmcnt(8)
	v_mul_f64 v[12:13], v[102:103], v[70:71]
	v_mul_f64 v[64:65], v[92:93], v[64:65]
	s_waitcnt lgkmcnt(6)
	v_mul_f64 v[16:17], v[114:115], v[82:83]
	v_fma_f64 v[198:199], v[90:91], v[62:63], -v[64:65]
	v_fmac_f64_e32 v[16:17], v[116:117], v[84:85]
	v_mul_f64 v[70:71], v[104:105], v[70:71]
	v_mul_f64 v[14:15], v[110:111], v[74:75]
	;; [unrolled: 1-line block ×3, first 2 shown]
	s_waitcnt lgkmcnt(4)
	v_mul_f64 v[20:21], v[246:247], v[94:95]
	v_mul_f64 v[82:83], v[116:117], v[82:83]
	v_fmac_f64_e32 v[20:21], v[248:249], v[96:97]
	v_mul_f64 v[94:95], v[248:249], v[94:95]
	v_mul_f64 v[18:19], v[242:243], v[86:87]
	v_mul_f64 v[86:87], v[244:245], v[86:87]
	s_waitcnt lgkmcnt(2)
	v_mul_f64 v[24:25], v[194:195], v[106:107]
	v_fma_f64 v[246:247], v[246:247], v[96:97], -v[94:95]
	v_mul_f64 v[106:107], v[196:197], v[106:107]
	v_mul_f64 v[22:23], v[250:251], v[98:99]
	;; [unrolled: 1-line block ×3, first 2 shown]
	s_waitcnt lgkmcnt(1)
	v_mul_f64 v[26:27], v[120:121], v[4:5]
	v_mul_f64 v[4:5], v[122:123], v[4:5]
	v_fmac_f64_e32 v[12:13], v[104:105], v[72:73]
	v_fma_f64 v[200:201], v[102:103], v[72:73], -v[70:71]
	v_fmac_f64_e32 v[14:15], v[112:113], v[76:77]
	v_fma_f64 v[202:203], v[110:111], v[76:77], -v[74:75]
	;; [unrolled: 2-line block ×3, first 2 shown]
	v_fmac_f64_e32 v[22:23], v[252:253], v[100:101]
	v_fmac_f64_e32 v[24:25], v[196:197], v[108:109]
	v_fma_f64 v[250:251], v[250:251], v[100:101], -v[98:99]
	v_fma_f64 v[252:253], v[194:195], v[108:109], -v[106:107]
	v_pk_mov_b32 v[2:3], v[0:1], v[0:1] op_sel:[0,1]
	v_mul_f64 v[0:1], v[78:79], v[68:69]
	v_fmac_f64_e32 v[0:1], v[80:81], v[66:67]
	v_add_f64 v[0:1], v[0:1], 0
	v_add_f64 v[0:1], v[0:1], v[10:11]
	;; [unrolled: 1-line block ×9, first 2 shown]
	v_fmac_f64_e32 v[26:27], v[122:123], v[130:131]
	ds_read_b128 v[10:13], v254 offset:944
	s_waitcnt lgkmcnt(1)
	v_mul_f64 v[14:15], v[6:7], v[2:3]
	v_add_f64 v[0:1], v[0:1], v[26:27]
	v_fmac_f64_e32 v[14:15], v[8:9], v[124:125]
	v_add_f64 v[0:1], v[0:1], v[14:15]
	ds_read_b128 v[14:17], v254 offset:960
	s_waitcnt lgkmcnt(1)
	v_mul_f64 v[18:19], v[10:11], v[132:133]
	v_fmac_f64_e32 v[18:19], v[12:13], v[148:149]
	v_add_f64 v[0:1], v[0:1], v[18:19]
	ds_read_b128 v[18:21], v254 offset:976
	s_waitcnt lgkmcnt(1)
	v_mul_f64 v[22:23], v[14:15], v[126:127]
	;; [unrolled: 5-line block ×4, first 2 shown]
	v_fmac_f64_e32 v[30:31], v[24:25], v[136:137]
	v_add_f64 v[0:1], v[0:1], v[30:31]
	ds_read_b128 v[30:33], v254 offset:1024
	s_waitcnt vmcnt(58) lgkmcnt(1)
	v_mul_f64 v[34:35], v[26:27], v[160:161]
	s_waitcnt vmcnt(56)
	v_fmac_f64_e32 v[34:35], v[28:29], v[164:165]
	v_add_f64 v[0:1], v[0:1], v[34:35]
	ds_read_b128 v[34:37], v254 offset:1040
	s_waitcnt lgkmcnt(1)
	v_mul_f64 v[38:39], v[30:31], v[138:139]
	v_fmac_f64_e32 v[38:39], v[32:33], v[140:141]
	v_add_f64 v[0:1], v[0:1], v[38:39]
	ds_read_b128 v[38:41], v254 offset:1056
	s_waitcnt vmcnt(50) lgkmcnt(1)
	v_mul_f64 v[42:43], v[34:35], v[168:169]
	s_waitcnt vmcnt(48)
	v_fmac_f64_e32 v[42:43], v[36:37], v[172:173]
	v_add_f64 v[0:1], v[0:1], v[42:43]
	ds_read_b128 v[42:45], v254 offset:1072
	s_waitcnt lgkmcnt(1)
	v_mul_f64 v[46:47], v[38:39], v[142:143]
	;; [unrolled: 11-line block ×3, first 2 shown]
	buffer_load_dword v193, off, s[0:3], 0 offset:604
	buffer_load_dword v192, off, s[0:3], 0 offset:600
	;; [unrolled: 1-line block ×4, first 2 shown]
	v_fmac_f64_e32 v[54:55], v[48:49], v[150:151]
	v_add_f64 v[0:1], v[0:1], v[54:55]
	ds_read_b128 v[54:57], v254 offset:1120
	buffer_load_dword v224, off, s[0:3], 0 offset:616
	buffer_load_dword v226, off, s[0:3], 0 offset:608
	;; [unrolled: 1-line block ×16, first 2 shown]
	s_waitcnt vmcnt(54) lgkmcnt(1)
	v_mul_f64 v[58:59], v[50:51], v[184:185]
	s_waitcnt vmcnt(52)
	v_fmac_f64_e32 v[58:59], v[52:53], v[188:189]
	v_add_f64 v[0:1], v[0:1], v[58:59]
	ds_read_b128 v[58:61], v254 offset:1136
	buffer_load_dword v238, off, s[0:3], 0 offset:680
	buffer_load_dword v240, off, s[0:3], 0 offset:672
	;; [unrolled: 1-line block ×4, first 2 shown]
	v_mul_f64 v[68:69], v[80:81], v[68:69]
	ds_read_b128 v[62:65], v254 offset:1152
	ds_read_b128 v[70:73], v254 offset:1184
	v_fma_f64 v[118:119], v[78:79], v[66:67], -v[68:69]
	s_waitcnt lgkmcnt(3)
	v_mul_f64 v[66:67], v[54:55], v[154:155]
	v_fmac_f64_e32 v[66:67], v[56:57], v[158:159]
	v_add_f64 v[0:1], v[0:1], v[66:67]
	s_waitcnt vmcnt(50) lgkmcnt(2)
	v_mul_f64 v[66:67], v[58:59], v[204:205]
	s_waitcnt vmcnt(48)
	v_fmac_f64_e32 v[66:67], v[60:61], v[206:207]
	v_add_f64 v[0:1], v[0:1], v[66:67]
	s_waitcnt lgkmcnt(1)
	v_mul_f64 v[66:67], v[62:63], v[162:163]
	v_fmac_f64_e32 v[66:67], v[64:65], v[166:167]
	v_add_f64 v[0:1], v[0:1], v[66:67]
	ds_read_b128 v[66:69], v254 offset:1168
	ds_read_b128 v[74:77], v254 offset:1200
	v_accvgpr_write_b32 a131, v3
	v_accvgpr_write_b32 a130, v2
	v_fma_f64 v[2:3], v[114:115], v[84:85], -v[82:83]
	s_waitcnt vmcnt(42) lgkmcnt(1)
	v_mul_f64 v[78:79], v[66:67], v[208:209]
	s_waitcnt vmcnt(40)
	v_fmac_f64_e32 v[78:79], v[68:69], v[210:211]
	v_add_f64 v[0:1], v[0:1], v[78:79]
	v_mul_f64 v[78:79], v[70:71], v[170:171]
	v_fmac_f64_e32 v[78:79], v[72:73], v[174:175]
	v_add_f64 v[0:1], v[0:1], v[78:79]
	ds_read_b128 v[78:81], v254 offset:1216
	ds_read_b128 v[82:85], v254 offset:1232
	s_waitcnt vmcnt(34) lgkmcnt(2)
	v_mul_f64 v[90:91], v[74:75], v[212:213]
	s_waitcnt vmcnt(32)
	v_fmac_f64_e32 v[90:91], v[76:77], v[214:215]
	ds_read_b128 v[86:89], v254 offset:1248
	ds_read_b128 v[94:97], v254 offset:1280
	v_add_f64 v[0:1], v[0:1], v[90:91]
	s_waitcnt lgkmcnt(3)
	v_mul_f64 v[90:91], v[78:79], v[178:179]
	v_fmac_f64_e32 v[90:91], v[80:81], v[182:183]
	v_add_f64 v[0:1], v[0:1], v[90:91]
	s_waitcnt vmcnt(26) lgkmcnt(2)
	v_mul_f64 v[90:91], v[82:83], v[216:217]
	s_waitcnt vmcnt(24)
	v_fmac_f64_e32 v[90:91], v[84:85], v[218:219]
	v_add_f64 v[0:1], v[0:1], v[90:91]
	s_waitcnt lgkmcnt(1)
	v_mul_f64 v[90:91], v[86:87], v[186:187]
	v_fmac_f64_e32 v[90:91], v[88:89], v[190:191]
	v_add_f64 v[0:1], v[0:1], v[90:91]
	ds_read_b128 v[90:93], v254 offset:1264
	ds_read_b128 v[98:101], v254 offset:1296
	v_add_f64 v[118:119], v[118:119], 0
	v_add_f64 v[118:119], v[118:119], v[198:199]
	;; [unrolled: 1-line block ×6, first 2 shown]
	v_fma_f64 v[4:5], v[120:121], v[130:131], -v[4:5]
	ds_read_b128 v[106:109], v254 offset:1328
	s_waitcnt vmcnt(13) lgkmcnt(1)
	v_mul_f64 v[110:111], v[98:99], v[228:229]
	v_mul_f64 v[102:103], v[90:91], v[192:193]
	s_waitcnt vmcnt(11)
	v_fmac_f64_e32 v[110:111], v[100:101], v[234:235]
	v_fmac_f64_e32 v[102:103], v[92:93], v[220:221]
	v_add_f64 v[0:1], v[0:1], v[102:103]
	v_mul_f64 v[102:103], v[94:95], v[224:225]
	v_fmac_f64_e32 v[102:103], v[96:97], v[226:227]
	v_add_f64 v[0:1], v[0:1], v[102:103]
	ds_read_b128 v[102:105], v254 offset:1312
	v_add_f64 v[0:1], v[0:1], v[110:111]
	s_waitcnt vmcnt(10) lgkmcnt(0)
	v_mul_f64 v[110:111], v[102:103], v[222:223]
	s_waitcnt vmcnt(8)
	v_fmac_f64_e32 v[110:111], v[104:105], v[232:233]
	v_add_f64 v[0:1], v[0:1], v[110:111]
	s_waitcnt vmcnt(6)
	v_mul_f64 v[110:111], v[106:107], v[230:231]
	s_waitcnt vmcnt(4)
	v_fmac_f64_e32 v[110:111], v[108:109], v[236:237]
	v_add_f64 v[0:1], v[0:1], v[110:111]
	ds_read_b128 v[110:113], v254 offset:1344
	s_waitcnt vmcnt(1) lgkmcnt(0)
	v_mul_f64 v[114:115], v[110:111], v[238:239]
	s_waitcnt vmcnt(0)
	v_fmac_f64_e32 v[114:115], v[112:113], v[240:241]
	v_add_f64 v[194:195], v[0:1], v[114:115]
	buffer_load_dword v1, off, s[0:3], 0 offset:700
	buffer_load_dword v0, off, s[0:3], 0 offset:696
	;; [unrolled: 1-line block ×4, first 2 shown]
	ds_read_b128 v[114:117], v254 offset:1360
	v_add_f64 v[254:255], v[2:3], v[246:247]
	buffer_load_dword v248, off, s[0:3], 0 offset:80
	buffer_load_dword v249, off, s[0:3], 0 offset:84
	;; [unrolled: 1-line block ×4, first 2 shown]
	v_add_f64 v[2:3], v[254:255], v[250:251]
	v_add_f64 v[2:3], v[2:3], v[252:253]
	;; [unrolled: 1-line block ×3, first 2 shown]
	v_accvgpr_read_b32 v4, a130
	v_accvgpr_read_b32 v5, a131
	v_mul_f64 v[4:5], v[8:9], v[4:5]
	v_fma_f64 v[4:5], v[6:7], v[124:125], -v[4:5]
	v_add_f64 v[2:3], v[2:3], v[4:5]
	v_mul_f64 v[4:5], v[12:13], v[132:133]
	v_fma_f64 v[4:5], v[10:11], v[148:149], -v[4:5]
	v_add_f64 v[2:3], v[2:3], v[4:5]
	;; [unrolled: 3-line block ×26, first 2 shown]
	v_mul_f64 v[4:5], v[112:113], v[238:239]
	s_waitcnt vmcnt(6) lgkmcnt(0)
	v_mul_f64 v[196:197], v[114:115], v[0:1]
	v_fma_f64 v[4:5], v[110:111], v[240:241], -v[4:5]
	v_mul_f64 v[0:1], v[116:117], v[0:1]
	v_add_f64 v[2:3], v[2:3], v[4:5]
	s_waitcnt vmcnt(4)
	v_fma_f64 v[0:1], v[114:115], v[244:245], -v[0:1]
	v_fmac_f64_e32 v[196:197], v[116:117], v[244:245]
	v_add_f64 v[0:1], v[2:3], v[0:1]
	v_add_f64 v[194:195], v[194:195], v[196:197]
	s_waitcnt vmcnt(2)
	v_add_f64 v[0:1], v[248:249], -v[0:1]
	s_waitcnt vmcnt(0)
	v_add_f64 v[2:3], v[246:247], -v[194:195]
	buffer_store_dword v1, off, s[0:3], 0 offset:84
	buffer_store_dword v0, off, s[0:3], 0 offset:80
	;; [unrolled: 1-line block ×4, first 2 shown]
	v_accvgpr_read_b32 v0, a128
	v_cmp_lt_u32_e32 vcc, 3, v0
	s_and_saveexec_b64 s[4:5], vcc
	s_cbranch_execz .LBB106_265
; %bb.264:
	v_accvgpr_read_b32 v0, a125
	buffer_load_dword v2, v0, s[0:3], 0 offen
	buffer_load_dword v3, v0, s[0:3], 0 offen offset:4
	buffer_load_dword v4, v0, s[0:3], 0 offen offset:8
	;; [unrolled: 1-line block ×3, first 2 shown]
	v_mov_b32_e32 v0, 0
	v_accvgpr_read_b32 v1, a129
	buffer_store_dword v0, off, s[0:3], 0 offset:64
	buffer_store_dword v0, off, s[0:3], 0 offset:68
	;; [unrolled: 1-line block ×4, first 2 shown]
	s_waitcnt vmcnt(4)
	ds_write_b128 v1, v[2:5]
.LBB106_265:
	s_or_b64 exec, exec, s[4:5]
	s_waitcnt lgkmcnt(0)
	; wave barrier
	s_waitcnt lgkmcnt(0)
	buffer_load_dword v54, off, s[0:3], 0 offset:80
	buffer_load_dword v55, off, s[0:3], 0 offset:84
	;; [unrolled: 1-line block ×49, first 2 shown]
	v_mov_b32_e32 v194, 0
	ds_read_b128 v[62:65], v194 offset:752
	ds_read_b128 v[74:77], v194 offset:768
	ds_read_b128 v[86:89], v194 offset:784
	ds_read_b128 v[98:101], v194 offset:800
	ds_read_b128 v[110:113], v194 offset:816
	ds_read_b128 v[114:117], v194 offset:832
	ds_read_b128 v[190:193], v194 offset:848
	ds_read_b128 v[242:245], v194 offset:864
	ds_read_b128 v[246:249], v194 offset:880
	ds_read_b128 v[250:253], v194 offset:896
	ds_read_b128 v[120:123], v194 offset:912
	buffer_load_dword v128, off, s[0:3], 0 offset:264
	buffer_load_dword v145, off, s[0:3], 0 offset:260
	;; [unrolled: 1-line block ×75, first 2 shown]
	s_waitcnt vmcnt(62) lgkmcnt(9)
	v_mul_f64 v[6:7], v[74:75], v[60:61]
	v_fmac_f64_e32 v[6:7], v[76:77], v[58:59]
	s_waitcnt lgkmcnt(8)
	v_mul_f64 v[8:9], v[86:87], v[66:67]
	v_mul_f64 v[60:61], v[76:77], v[60:61]
	s_waitcnt lgkmcnt(6)
	v_mul_f64 v[12:13], v[110:111], v[78:79]
	v_fma_f64 v[196:197], v[74:75], v[58:59], -v[60:61]
	v_fmac_f64_e32 v[12:13], v[112:113], v[80:81]
	v_mul_f64 v[66:67], v[88:89], v[66:67]
	v_mul_f64 v[10:11], v[98:99], v[70:71]
	;; [unrolled: 1-line block ×3, first 2 shown]
	s_waitcnt lgkmcnt(4)
	v_mul_f64 v[16:17], v[190:191], v[90:91]
	v_mul_f64 v[78:79], v[112:113], v[78:79]
	v_fmac_f64_e32 v[16:17], v[192:193], v[92:93]
	v_fma_f64 v[202:203], v[110:111], v[80:81], -v[78:79]
	v_mul_f64 v[14:15], v[114:115], v[82:83]
	v_mul_f64 v[82:83], v[116:117], v[82:83]
	s_waitcnt lgkmcnt(2)
	v_mul_f64 v[20:21], v[246:247], v[102:103]
	v_mul_f64 v[90:91], v[192:193], v[90:91]
	v_fma_f64 v[192:193], v[190:191], v[92:93], -v[90:91]
	v_mul_f64 v[18:19], v[242:243], v[94:95]
	v_mul_f64 v[94:95], v[244:245], v[94:95]
	s_waitcnt lgkmcnt(1)
	v_mul_f64 v[22:23], v[250:251], v[106:107]
	v_mul_f64 v[102:103], v[248:249], v[102:103]
	v_fmac_f64_e32 v[8:9], v[88:89], v[68:69]
	v_fma_f64 v[198:199], v[86:87], v[68:69], -v[66:67]
	v_fmac_f64_e32 v[10:11], v[100:101], v[72:73]
	v_fma_f64 v[200:201], v[98:99], v[72:73], -v[70:71]
	v_fmac_f64_e32 v[14:15], v[116:117], v[84:85]
	v_fma_f64 v[254:255], v[114:115], v[84:85], -v[82:83]
	v_fmac_f64_e32 v[18:19], v[244:245], v[96:97]
	v_fmac_f64_e32 v[20:21], v[248:249], v[104:105]
	;; [unrolled: 1-line block ×3, first 2 shown]
	v_fma_f64 v[244:245], v[242:243], v[96:97], -v[94:95]
	v_pk_mov_b32 v[2:3], v[0:1], v[0:1] op_sel:[0,1]
	v_mul_f64 v[0:1], v[62:63], v[56:57]
	v_fmac_f64_e32 v[0:1], v[64:65], v[54:55]
	v_add_f64 v[0:1], v[0:1], 0
	v_add_f64 v[0:1], v[0:1], v[6:7]
	;; [unrolled: 1-line block ×9, first 2 shown]
	ds_read_b128 v[6:9], v194 offset:928
	s_waitcnt lgkmcnt(1)
	v_mul_f64 v[10:11], v[120:121], v[4:5]
	v_add_f64 v[0:1], v[0:1], v[22:23]
	v_fmac_f64_e32 v[10:11], v[122:123], v[2:3]
	v_add_f64 v[0:1], v[0:1], v[10:11]
	ds_read_b128 v[10:13], v194 offset:944
	s_waitcnt lgkmcnt(1)
	v_mul_f64 v[14:15], v[6:7], v[128:129]
	v_fmac_f64_e32 v[14:15], v[8:9], v[144:145]
	v_add_f64 v[0:1], v[0:1], v[14:15]
	ds_read_b128 v[14:17], v194 offset:960
	s_waitcnt lgkmcnt(1)
	v_mul_f64 v[18:19], v[10:11], v[124:125]
	;; [unrolled: 5-line block ×4, first 2 shown]
	v_fmac_f64_e32 v[26:27], v[20:21], v[132:133]
	v_add_f64 v[0:1], v[0:1], v[26:27]
	ds_read_b128 v[26:29], v194 offset:1008
	s_waitcnt vmcnt(58) lgkmcnt(1)
	v_mul_f64 v[30:31], v[22:23], v[156:157]
	s_waitcnt vmcnt(56)
	v_fmac_f64_e32 v[30:31], v[24:25], v[160:161]
	v_add_f64 v[0:1], v[0:1], v[30:31]
	ds_read_b128 v[30:33], v194 offset:1024
	s_waitcnt lgkmcnt(1)
	v_mul_f64 v[34:35], v[26:27], v[134:135]
	v_fmac_f64_e32 v[34:35], v[28:29], v[136:137]
	v_add_f64 v[0:1], v[0:1], v[34:35]
	ds_read_b128 v[34:37], v194 offset:1040
	s_waitcnt vmcnt(50) lgkmcnt(1)
	v_mul_f64 v[38:39], v[30:31], v[164:165]
	s_waitcnt vmcnt(48)
	v_fmac_f64_e32 v[38:39], v[32:33], v[168:169]
	v_add_f64 v[0:1], v[0:1], v[38:39]
	ds_read_b128 v[38:41], v194 offset:1056
	s_waitcnt lgkmcnt(1)
	v_mul_f64 v[42:43], v[34:35], v[138:139]
	;; [unrolled: 11-line block ×3, first 2 shown]
	buffer_load_dword v177, off, s[0:3], 0 offset:588
	buffer_load_dword v176, off, s[0:3], 0 offset:584
	;; [unrolled: 1-line block ×4, first 2 shown]
	v_fmac_f64_e32 v[50:51], v[44:45], v[146:147]
	v_add_f64 v[0:1], v[0:1], v[50:51]
	ds_read_b128 v[50:53], v194 offset:1104
	buffer_load_dword v180, off, s[0:3], 0 offset:600
	buffer_load_dword v182, off, s[0:3], 0 offset:592
	;; [unrolled: 1-line block ×20, first 2 shown]
	s_waitcnt vmcnt(58) lgkmcnt(1)
	v_mul_f64 v[118:119], v[46:47], v[208:209]
	s_waitcnt vmcnt(56)
	v_fmac_f64_e32 v[118:119], v[48:49], v[212:213]
	v_mul_f64 v[56:57], v[64:65], v[56:57]
	v_add_f64 v[0:1], v[0:1], v[118:119]
	v_fma_f64 v[118:119], v[62:63], v[54:55], -v[56:57]
	ds_read_b128 v[54:57], v194 offset:1120
	ds_read_b128 v[58:61], v194 offset:1136
	s_waitcnt lgkmcnt(2)
	v_mul_f64 v[62:63], v[50:51], v[150:151]
	v_fmac_f64_e32 v[62:63], v[52:53], v[154:155]
	v_add_f64 v[0:1], v[0:1], v[62:63]
	s_waitcnt vmcnt(50) lgkmcnt(1)
	v_mul_f64 v[62:63], v[54:55], v[216:217]
	s_waitcnt vmcnt(48)
	v_fmac_f64_e32 v[62:63], v[56:57], v[218:219]
	v_add_f64 v[0:1], v[0:1], v[62:63]
	s_waitcnt lgkmcnt(0)
	v_mul_f64 v[62:63], v[58:59], v[158:159]
	v_fmac_f64_e32 v[62:63], v[60:61], v[162:163]
	v_add_f64 v[0:1], v[0:1], v[62:63]
	ds_read_b128 v[62:65], v194 offset:1152
	ds_read_b128 v[66:69], v194 offset:1168
	;; [unrolled: 1-line block ×5, first 2 shown]
	s_waitcnt vmcnt(42) lgkmcnt(4)
	v_mul_f64 v[74:75], v[62:63], v[220:221]
	s_waitcnt vmcnt(40)
	v_fmac_f64_e32 v[74:75], v[64:65], v[222:223]
	v_add_f64 v[0:1], v[0:1], v[74:75]
	s_waitcnt lgkmcnt(3)
	v_mul_f64 v[74:75], v[66:67], v[166:167]
	v_fmac_f64_e32 v[74:75], v[68:69], v[170:171]
	v_add_f64 v[0:1], v[0:1], v[74:75]
	ds_read_b128 v[74:77], v194 offset:1200
	s_waitcnt vmcnt(34) lgkmcnt(3)
	v_mul_f64 v[86:87], v[70:71], v[224:225]
	s_waitcnt vmcnt(32)
	v_fmac_f64_e32 v[86:87], v[72:73], v[226:227]
	v_add_f64 v[0:1], v[0:1], v[86:87]
	ds_read_b128 v[90:93], v194 offset:1264
	s_waitcnt lgkmcnt(1)
	v_mul_f64 v[86:87], v[74:75], v[174:175]
	v_fmac_f64_e32 v[86:87], v[76:77], v[206:207]
	v_add_f64 v[0:1], v[0:1], v[86:87]
	s_waitcnt vmcnt(26)
	v_mul_f64 v[86:87], v[78:79], v[228:229]
	s_waitcnt vmcnt(24)
	v_fmac_f64_e32 v[86:87], v[80:81], v[230:231]
	v_add_f64 v[0:1], v[0:1], v[86:87]
	v_mul_f64 v[86:87], v[82:83], v[210:211]
	v_fmac_f64_e32 v[86:87], v[84:85], v[214:215]
	v_add_f64 v[0:1], v[0:1], v[86:87]
	ds_read_b128 v[86:89], v194 offset:1248
	ds_read_b128 v[94:97], v194 offset:1280
	v_accvgpr_write_b32 a131, v3
	v_accvgpr_write_b32 a130, v2
	v_fma_f64 v[2:3], v[246:247], v[104:105], -v[102:103]
	ds_read_b128 v[102:105], v194 offset:1312
	v_mul_f64 v[106:107], v[252:253], v[106:107]
	v_fma_f64 v[252:253], v[250:251], v[108:109], -v[106:107]
	ds_read_b128 v[106:109], v194 offset:1328
	v_add_f64 v[118:119], v[118:119], 0
	v_add_f64 v[118:119], v[118:119], v[196:197]
	;; [unrolled: 1-line block ×9, first 2 shown]
	v_accvgpr_read_b32 v118, a130
	v_mul_f64 v[4:5], v[122:123], v[4:5]
	v_accvgpr_read_b32 v119, a131
	v_add_f64 v[2:3], v[254:255], v[252:253]
	v_fma_f64 v[4:5], v[120:121], v[118:119], -v[4:5]
	v_add_f64 v[2:3], v[2:3], v[4:5]
	v_mul_f64 v[4:5], v[8:9], v[128:129]
	v_fma_f64 v[4:5], v[6:7], v[144:145], -v[4:5]
	v_add_f64 v[2:3], v[2:3], v[4:5]
	v_mul_f64 v[4:5], v[12:13], v[124:125]
	v_fma_f64 v[4:5], v[10:11], v[126:127], -v[4:5]
	v_add_f64 v[2:3], v[2:3], v[4:5]
	s_waitcnt vmcnt(22) lgkmcnt(3)
	v_mul_f64 v[98:99], v[86:87], v[176:177]
	v_mul_f64 v[4:5], v[16:17], v[148:149]
	s_waitcnt vmcnt(20)
	v_fmac_f64_e32 v[98:99], v[88:89], v[178:179]
	v_add_f64 v[0:1], v[0:1], v[98:99]
	v_fma_f64 v[4:5], v[14:15], v[152:153], -v[4:5]
	s_waitcnt vmcnt(17)
	v_mul_f64 v[98:99], v[90:91], v[180:181]
	s_waitcnt vmcnt(16)
	v_fmac_f64_e32 v[98:99], v[92:93], v[182:183]
	v_add_f64 v[0:1], v[0:1], v[98:99]
	ds_read_b128 v[98:101], v194 offset:1296
	s_waitcnt vmcnt(14) lgkmcnt(3)
	v_mul_f64 v[110:111], v[94:95], v[232:233]
	s_waitcnt vmcnt(12)
	v_fmac_f64_e32 v[110:111], v[96:97], v[188:189]
	buffer_load_dword v191, off, s[0:3], 0 offset:684
	buffer_load_dword v190, off, s[0:3], 0 offset:680
	;; [unrolled: 1-line block ×4, first 2 shown]
	v_add_f64 v[0:1], v[0:1], v[110:111]
	s_waitcnt vmcnt(14) lgkmcnt(0)
	v_mul_f64 v[110:111], v[98:99], v[186:187]
	s_waitcnt vmcnt(12)
	v_fmac_f64_e32 v[110:111], v[100:101], v[234:235]
	v_add_f64 v[0:1], v[0:1], v[110:111]
	s_waitcnt vmcnt(9)
	v_mul_f64 v[110:111], v[102:103], v[238:239]
	s_waitcnt vmcnt(7)
	v_fmac_f64_e32 v[110:111], v[104:105], v[240:241]
	v_add_f64 v[0:1], v[0:1], v[110:111]
	s_waitcnt vmcnt(5)
	v_mul_f64 v[110:111], v[106:107], v[184:185]
	s_waitcnt vmcnt(4)
	v_fmac_f64_e32 v[110:111], v[108:109], v[236:237]
	v_add_f64 v[0:1], v[0:1], v[110:111]
	ds_read_b128 v[110:113], v194 offset:1344
	buffer_load_dword v246, off, s[0:3], 0 offset:696
	buffer_load_dword v247, off, s[0:3], 0 offset:700
	;; [unrolled: 1-line block ×4, first 2 shown]
	v_add_f64 v[2:3], v[2:3], v[4:5]
	v_mul_f64 v[4:5], v[20:21], v[130:131]
	v_fma_f64 v[4:5], v[18:19], v[132:133], -v[4:5]
	v_add_f64 v[2:3], v[2:3], v[4:5]
	v_mul_f64 v[4:5], v[24:25], v[156:157]
	v_fma_f64 v[4:5], v[22:23], v[160:161], -v[4:5]
	;; [unrolled: 3-line block ×21, first 2 shown]
	v_add_f64 v[2:3], v[2:3], v[4:5]
	v_mul_f64 v[4:5], v[104:105], v[238:239]
	s_waitcnt vmcnt(6) lgkmcnt(0)
	v_mul_f64 v[114:115], v[110:111], v[190:191]
	v_fma_f64 v[4:5], v[102:103], v[240:241], -v[4:5]
	s_waitcnt vmcnt(4)
	v_fmac_f64_e32 v[114:115], v[112:113], v[242:243]
	v_add_f64 v[0:1], v[0:1], v[114:115]
	ds_read_b128 v[114:117], v194 offset:1360
	v_add_f64 v[2:3], v[2:3], v[4:5]
	v_mul_f64 v[4:5], v[108:109], v[184:185]
	v_fma_f64 v[4:5], v[106:107], v[236:237], -v[4:5]
	v_add_f64 v[2:3], v[2:3], v[4:5]
	v_mul_f64 v[4:5], v[112:113], v[190:191]
	v_fma_f64 v[4:5], v[110:111], v[242:243], -v[4:5]
	v_add_f64 v[2:3], v[2:3], v[4:5]
	s_waitcnt vmcnt(2) lgkmcnt(0)
	v_mul_f64 v[250:251], v[114:115], v[246:247]
	v_mul_f64 v[4:5], v[116:117], v[246:247]
	s_waitcnt vmcnt(0)
	v_fmac_f64_e32 v[250:251], v[116:117], v[248:249]
	v_add_f64 v[0:1], v[0:1], v[250:251]
	buffer_load_dword v250, off, s[0:3], 0 offset:64
	buffer_load_dword v251, off, s[0:3], 0 offset:68
	;; [unrolled: 1-line block ×4, first 2 shown]
	v_fma_f64 v[4:5], v[114:115], v[248:249], -v[4:5]
	v_add_f64 v[2:3], v[2:3], v[4:5]
	s_waitcnt vmcnt(2)
	v_add_f64 v[2:3], v[250:251], -v[2:3]
	s_waitcnt vmcnt(0)
	v_add_f64 v[0:1], v[192:193], -v[0:1]
	buffer_store_dword v3, off, s[0:3], 0 offset:68
	buffer_store_dword v2, off, s[0:3], 0 offset:64
	;; [unrolled: 1-line block ×4, first 2 shown]
	v_accvgpr_read_b32 v0, a128
	v_cmp_lt_u32_e32 vcc, 2, v0
	s_and_saveexec_b64 s[4:5], vcc
	s_cbranch_execz .LBB106_267
; %bb.266:
	v_accvgpr_read_b32 v0, a126
	buffer_load_dword v2, v0, s[0:3], 0 offen
	buffer_load_dword v3, v0, s[0:3], 0 offen offset:4
	buffer_load_dword v4, v0, s[0:3], 0 offen offset:8
	;; [unrolled: 1-line block ×3, first 2 shown]
	v_accvgpr_read_b32 v0, a129
	buffer_store_dword v194, off, s[0:3], 0 offset:48
	buffer_store_dword v194, off, s[0:3], 0 offset:52
	;; [unrolled: 1-line block ×4, first 2 shown]
	s_waitcnt vmcnt(4)
	ds_write_b128 v0, v[2:5]
.LBB106_267:
	s_or_b64 exec, exec, s[4:5]
	s_waitcnt lgkmcnt(0)
	; wave barrier
	s_waitcnt lgkmcnt(0)
	buffer_load_dword v56, off, s[0:3], 0 offset:64
	buffer_load_dword v57, off, s[0:3], 0 offset:68
	;; [unrolled: 1-line block ×42, first 2 shown]
	ds_read_b128 v[78:81], v194 offset:736
	ds_read_b128 v[90:93], v194 offset:752
	;; [unrolled: 1-line block ×10, first 2 shown]
	buffer_load_dword v1, off, s[0:3], 0 offset:212
	buffer_load_dword v0, off, s[0:3], 0 offset:208
	ds_read_b128 v[106:109], v194 offset:896
	buffer_load_dword v3, off, s[0:3], 0 offset:268
	buffer_load_dword v2, off, s[0:3], 0 offset:264
	s_waitcnt vmcnt(38) lgkmcnt(9)
	v_mul_f64 v[4:5], v[90:91], v[62:63]
	v_fmac_f64_e32 v[4:5], v[92:93], v[54:55]
	s_waitcnt vmcnt(36) lgkmcnt(8)
	v_mul_f64 v[6:7], v[114:115], v[58:59]
	v_mul_f64 v[58:59], v[116:117], v[58:59]
	s_waitcnt vmcnt(34) lgkmcnt(6)
	v_mul_f64 v[10:11], v[242:243], v[70:71]
	v_mul_f64 v[70:71], v[244:245], v[70:71]
	s_waitcnt vmcnt(32)
	v_fmac_f64_e32 v[10:11], v[244:245], v[72:73]
	s_waitcnt vmcnt(30)
	v_mul_f64 v[8:9], v[190:191], v[64:65]
	s_waitcnt vmcnt(28) lgkmcnt(4)
	v_mul_f64 v[14:15], v[250:251], v[82:83]
	v_mul_f64 v[82:83], v[252:253], v[82:83]
	s_waitcnt vmcnt(26)
	v_fmac_f64_e32 v[14:15], v[252:253], v[84:85]
	v_fma_f64 v[250:251], v[250:251], v[84:85], -v[82:83]
	s_waitcnt vmcnt(24)
	v_mul_f64 v[12:13], v[246:247], v[74:75]
	v_mul_f64 v[74:75], v[248:249], v[74:75]
	s_waitcnt vmcnt(22) lgkmcnt(2)
	v_mul_f64 v[18:19], v[200:201], v[94:95]
	v_mul_f64 v[94:95], v[202:203], v[94:95]
	s_waitcnt vmcnt(19)
	v_mul_f64 v[16:17], v[196:197], v[86:87]
	v_mul_f64 v[86:87], v[198:199], v[86:87]
	s_waitcnt vmcnt(17) lgkmcnt(1)
	v_mul_f64 v[20:21], v[98:99], v[102:103]
	s_waitcnt vmcnt(15)
	v_fmac_f64_e32 v[6:7], v[116:117], v[68:69]
	s_waitcnt vmcnt(13)
	v_fmac_f64_e32 v[8:9], v[192:193], v[66:67]
	;; [unrolled: 2-line block ×3, first 2 shown]
	v_fma_f64 v[248:249], v[246:247], v[76:77], -v[74:75]
	s_waitcnt vmcnt(9)
	v_fmac_f64_e32 v[16:17], v[198:199], v[88:89]
	s_waitcnt vmcnt(8)
	v_fmac_f64_e32 v[18:19], v[202:203], v[96:97]
	v_fma_f64 v[200:201], v[200:201], v[96:97], -v[94:95]
	s_waitcnt vmcnt(2)
	v_fmac_f64_e32 v[20:21], v[100:101], v[0:1]
	v_mul_f64 v[100:101], v[100:101], v[102:103]
	s_waitcnt vmcnt(0)
	v_pk_mov_b32 v[22:23], v[2:3], v[2:3] op_sel:[0,1]
	buffer_load_dword v3, off, s[0:3], 0 offset:260
	buffer_load_dword v2, off, s[0:3], 0 offset:256
	;; [unrolled: 1-line block ×78, first 2 shown]
	ds_read_b128 v[120:123], v194 offset:912
	v_accvgpr_write_b32 a131, v23
	v_accvgpr_write_b32 a130, v22
	v_fma_f64 v[252:253], v[98:99], v[0:1], -v[100:101]
	s_waitcnt vmcnt(62)
	v_pk_mov_b32 v[24:25], v[2:3], v[2:3] op_sel:[0,1]
	v_mul_f64 v[2:3], v[78:79], v[60:61]
	v_fmac_f64_e32 v[2:3], v[80:81], v[56:57]
	v_add_f64 v[2:3], v[2:3], 0
	v_add_f64 v[2:3], v[2:3], v[4:5]
	;; [unrolled: 1-line block ×9, first 2 shown]
	s_waitcnt lgkmcnt(1)
	v_mul_f64 v[8:9], v[106:107], v[110:111]
	v_add_f64 v[6:7], v[2:3], v[20:21]
	v_fmac_f64_e32 v[8:9], v[108:109], v[112:113]
	v_add_f64 v[10:11], v[6:7], v[8:9]
	ds_read_b128 v[6:9], v194 offset:928
	s_waitcnt lgkmcnt(1)
	v_mul_f64 v[12:13], v[120:121], v[124:125]
	v_fmac_f64_e32 v[12:13], v[122:123], v[140:141]
	v_add_f64 v[14:15], v[10:11], v[12:13]
	ds_read_b128 v[10:13], v194 offset:944
	s_waitcnt lgkmcnt(1)
	v_mul_f64 v[16:17], v[6:7], v[22:23]
	;; [unrolled: 5-line block ×3, first 2 shown]
	v_fmac_f64_e32 v[20:21], v[12:13], v[148:149]
	v_add_f64 v[22:23], v[18:19], v[20:21]
	ds_read_b128 v[18:21], v194 offset:976
	v_accvgpr_write_b32 a133, v25
	v_accvgpr_write_b32 a132, v24
	s_waitcnt lgkmcnt(1)
	v_mul_f64 v[24:25], v[14:15], v[126:127]
	v_fmac_f64_e32 v[24:25], v[16:17], v[128:129]
	v_add_f64 v[26:27], v[22:23], v[24:25]
	ds_read_b128 v[22:25], v194 offset:992
	s_waitcnt vmcnt(58) lgkmcnt(1)
	v_mul_f64 v[28:29], v[18:19], v[152:153]
	s_waitcnt vmcnt(56)
	v_fmac_f64_e32 v[28:29], v[20:21], v[156:157]
	v_add_f64 v[30:31], v[26:27], v[28:29]
	ds_read_b128 v[26:29], v194 offset:1008
	s_waitcnt lgkmcnt(1)
	v_mul_f64 v[32:33], v[22:23], v[130:131]
	v_fmac_f64_e32 v[32:33], v[24:25], v[132:133]
	v_add_f64 v[34:35], v[30:31], v[32:33]
	ds_read_b128 v[30:33], v194 offset:1024
	s_waitcnt vmcnt(50) lgkmcnt(1)
	v_mul_f64 v[36:37], v[26:27], v[160:161]
	s_waitcnt vmcnt(48)
	v_fmac_f64_e32 v[36:37], v[28:29], v[164:165]
	v_add_f64 v[38:39], v[34:35], v[36:37]
	ds_read_b128 v[34:37], v194 offset:1040
	;; [unrolled: 11-line block ×4, first 2 shown]
	buffer_load_dword v176, off, s[0:3], 0 offset:584
	buffer_load_dword v181, off, s[0:3], 0 offset:572
	;; [unrolled: 1-line block ×28, first 2 shown]
	s_waitcnt lgkmcnt(1)
	v_mul_f64 v[118:119], v[46:47], v[146:147]
	v_fmac_f64_e32 v[118:119], v[48:49], v[150:151]
	v_mul_f64 v[60:61], v[80:81], v[60:61]
	v_add_f64 v[104:105], v[104:105], v[118:119]
	s_waitcnt vmcnt(54) lgkmcnt(0)
	v_mul_f64 v[118:119], v[50:51], v[212:213]
	v_fma_f64 v[254:255], v[78:79], v[56:57], -v[60:61]
	v_mul_f64 v[56:57], v[92:93], v[62:63]
	v_fma_f64 v[2:3], v[90:91], v[54:55], -v[56:57]
	s_waitcnt vmcnt(52)
	v_fmac_f64_e32 v[118:119], v[52:53], v[214:215]
	ds_read_b128 v[54:57], v194 offset:1120
	v_add_f64 v[4:5], v[104:105], v[118:119]
	v_fma_f64 v[118:119], v[114:115], v[68:69], -v[58:59]
	ds_read_b128 v[58:61], v194 offset:1136
	v_mul_f64 v[62:63], v[192:193], v[64:65]
	v_fma_f64 v[90:91], v[190:191], v[66:67], -v[62:63]
	ds_read_b128 v[62:65], v194 offset:1152
	s_waitcnt lgkmcnt(2)
	v_mul_f64 v[68:69], v[54:55], v[154:155]
	v_fmac_f64_e32 v[68:69], v[56:57], v[158:159]
	s_waitcnt vmcnt(46) lgkmcnt(1)
	v_mul_f64 v[66:67], v[58:59], v[216:217]
	v_add_f64 v[4:5], v[4:5], v[68:69]
	s_waitcnt vmcnt(44)
	v_fmac_f64_e32 v[66:67], v[60:61], v[218:219]
	v_add_f64 v[4:5], v[4:5], v[66:67]
	v_fma_f64 v[92:93], v[242:243], v[72:73], -v[70:71]
	ds_read_b128 v[70:73], v194 offset:1184
	s_waitcnt lgkmcnt(1)
	v_mul_f64 v[66:67], v[62:63], v[162:163]
	v_fmac_f64_e32 v[66:67], v[64:65], v[166:167]
	v_add_f64 v[4:5], v[4:5], v[66:67]
	ds_read_b128 v[66:69], v194 offset:1168
	ds_read_b128 v[74:77], v194 offset:1200
	;; [unrolled: 1-line block ×3, first 2 shown]
	v_fma_f64 v[242:243], v[196:197], v[88:89], -v[86:87]
	ds_read_b128 v[86:89], v194 offset:1248
	ds_read_b128 v[196:199], v194 offset:1264
	s_waitcnt vmcnt(38) lgkmcnt(4)
	v_mul_f64 v[78:79], v[66:67], v[220:221]
	s_waitcnt vmcnt(36)
	v_fmac_f64_e32 v[78:79], v[68:69], v[222:223]
	v_add_f64 v[4:5], v[4:5], v[78:79]
	v_mul_f64 v[78:79], v[70:71], v[170:171]
	v_fmac_f64_e32 v[78:79], v[72:73], v[174:175]
	v_add_f64 v[4:5], v[4:5], v[78:79]
	s_waitcnt vmcnt(30) lgkmcnt(3)
	v_mul_f64 v[78:79], v[74:75], v[224:225]
	s_waitcnt vmcnt(28)
	v_fmac_f64_e32 v[78:79], v[76:77], v[226:227]
	v_add_f64 v[4:5], v[4:5], v[78:79]
	ds_read_b128 v[78:81], v194 offset:1216
	ds_read_b128 v[94:97], v194 offset:1280
	;; [unrolled: 1-line block ×3, first 2 shown]
	s_waitcnt lgkmcnt(2)
	v_mul_f64 v[104:105], v[78:79], v[206:207]
	v_fmac_f64_e32 v[104:105], v[80:81], v[210:211]
	v_add_f64 v[4:5], v[4:5], v[104:105]
	s_waitcnt vmcnt(25)
	v_mul_f64 v[104:105], v[82:83], v[180:181]
	s_waitcnt vmcnt(23)
	v_fmac_f64_e32 v[104:105], v[84:85], v[182:183]
	v_add_f64 v[4:5], v[4:5], v[104:105]
	s_waitcnt vmcnt(21)
	v_mul_f64 v[104:105], v[86:87], v[176:177]
	s_waitcnt vmcnt(20)
	;; [unrolled: 5-line block ×3, first 2 shown]
	v_fmac_f64_e32 v[104:105], v[198:199], v[186:187]
	v_add_f64 v[0:1], v[4:5], v[104:105]
	s_waitcnt vmcnt(14) lgkmcnt(1)
	v_mul_f64 v[4:5], v[94:95], v[228:229]
	s_waitcnt vmcnt(12)
	v_fmac_f64_e32 v[4:5], v[96:97], v[230:231]
	ds_read_b128 v[102:105], v194 offset:1312
	v_add_f64 v[4:5], v[0:1], v[4:5]
	v_mul_f64 v[0:1], v[108:109], v[110:111]
	v_fma_f64 v[0:1], v[106:107], v[112:113], -v[0:1]
	ds_read_b128 v[106:109], v194 offset:1328
	buffer_load_dword v190, off, s[0:3], 0 offset:680
	buffer_load_dword v191, off, s[0:3], 0 offset:684
	;; [unrolled: 1-line block ×4, first 2 shown]
	s_waitcnt vmcnt(13) lgkmcnt(2)
	v_mul_f64 v[110:111], v[98:99], v[234:235]
	s_waitcnt vmcnt(11)
	v_fmac_f64_e32 v[110:111], v[100:101], v[238:239]
	v_add_f64 v[4:5], v[4:5], v[110:111]
	s_waitcnt vmcnt(9) lgkmcnt(1)
	v_mul_f64 v[110:111], v[102:103], v[188:189]
	s_waitcnt vmcnt(8)
	v_fmac_f64_e32 v[110:111], v[104:105], v[232:233]
	v_add_f64 v[4:5], v[4:5], v[110:111]
	;; [unrolled: 5-line block ×3, first 2 shown]
	ds_read_b128 v[110:113], v194 offset:1344
	buffer_load_dword v245, off, s[0:3], 0 offset:700
	buffer_load_dword v244, off, s[0:3], 0 offset:696
	;; [unrolled: 1-line block ×4, first 2 shown]
	s_waitcnt vmcnt(6) lgkmcnt(0)
	v_mul_f64 v[114:115], v[110:111], v[190:191]
	s_waitcnt vmcnt(4)
	v_fmac_f64_e32 v[114:115], v[112:113], v[192:193]
	v_add_f64 v[4:5], v[4:5], v[114:115]
	ds_read_b128 v[114:117], v194 offset:1360
	s_waitcnt vmcnt(2) lgkmcnt(0)
	v_mul_f64 v[194:195], v[114:115], v[244:245]
	s_waitcnt vmcnt(0)
	v_fmac_f64_e32 v[194:195], v[116:117], v[246:247]
	v_add_f64 v[4:5], v[4:5], v[194:195]
	v_add_f64 v[194:195], v[254:255], 0
	;; [unrolled: 1-line block ×8, first 2 shown]
	buffer_load_dword v250, off, s[0:3], 0 offset:48
	buffer_load_dword v251, off, s[0:3], 0 offset:52
	buffer_load_dword v248, off, s[0:3], 0 offset:56
	buffer_load_dword v249, off, s[0:3], 0 offset:60
	v_add_f64 v[2:3], v[2:3], v[242:243]
	v_add_f64 v[194:195], v[2:3], v[200:201]
	;; [unrolled: 1-line block ×4, first 2 shown]
	v_mul_f64 v[2:3], v[122:123], v[124:125]
	v_fma_f64 v[2:3], v[120:121], v[140:141], -v[2:3]
	v_add_f64 v[0:1], v[0:1], v[2:3]
	v_accvgpr_read_b32 v2, a130
	v_accvgpr_read_b32 v3, a131
	v_mul_f64 v[2:3], v[8:9], v[2:3]
	v_accvgpr_read_b32 v8, a132
	v_accvgpr_read_b32 v9, a133
	v_fma_f64 v[2:3], v[6:7], v[8:9], -v[2:3]
	v_add_f64 v[0:1], v[0:1], v[2:3]
	v_mul_f64 v[2:3], v[12:13], v[144:145]
	v_fma_f64 v[2:3], v[10:11], v[148:149], -v[2:3]
	v_add_f64 v[0:1], v[0:1], v[2:3]
	v_mul_f64 v[2:3], v[16:17], v[126:127]
	;; [unrolled: 3-line block ×27, first 2 shown]
	v_fma_f64 v[2:3], v[114:115], v[246:247], -v[2:3]
	v_add_f64 v[0:1], v[0:1], v[2:3]
	s_waitcnt vmcnt(2)
	v_add_f64 v[0:1], v[250:251], -v[0:1]
	s_waitcnt vmcnt(0)
	v_add_f64 v[2:3], v[248:249], -v[4:5]
	buffer_store_dword v1, off, s[0:3], 0 offset:52
	buffer_store_dword v0, off, s[0:3], 0 offset:48
	buffer_store_dword v3, off, s[0:3], 0 offset:60
	buffer_store_dword v2, off, s[0:3], 0 offset:56
	v_accvgpr_read_b32 v0, a128
	v_cmp_lt_u32_e32 vcc, 1, v0
	s_and_saveexec_b64 s[4:5], vcc
	s_cbranch_execz .LBB106_269
; %bb.268:
	v_accvgpr_read_b32 v0, a127
	buffer_load_dword v2, v0, s[0:3], 0 offen
	buffer_load_dword v3, v0, s[0:3], 0 offen offset:4
	buffer_load_dword v4, v0, s[0:3], 0 offen offset:8
	;; [unrolled: 1-line block ×3, first 2 shown]
	v_mov_b32_e32 v0, 0
	v_accvgpr_read_b32 v1, a129
	buffer_store_dword v0, off, s[0:3], 0 offset:32
	buffer_store_dword v0, off, s[0:3], 0 offset:36
	;; [unrolled: 1-line block ×4, first 2 shown]
	s_waitcnt vmcnt(4)
	ds_write_b128 v1, v[2:5]
.LBB106_269:
	s_or_b64 exec, exec, s[4:5]
	s_waitcnt lgkmcnt(0)
	; wave barrier
	s_waitcnt lgkmcnt(0)
	buffer_load_dword v54, off, s[0:3], 0 offset:48
	buffer_load_dword v55, off, s[0:3], 0 offset:52
	;; [unrolled: 1-line block ×46, first 2 shown]
	v_mov_b32_e32 v194, 0
	s_waitcnt vmcnt(0)
	v_pk_mov_b32 v[20:21], v[0:1], v[0:1] op_sel:[0,1]
	buffer_load_dword v1, off, s[0:3], 0 offset:244
	buffer_load_dword v0, off, s[0:3], 0 offset:240
	buffer_load_dword v107, off, s[0:3], 0 offset:236
	ds_read_b128 v[94:97], v194 offset:720
	ds_read_b128 v[108:111], v194 offset:736
	;; [unrolled: 1-line block ×11, first 2 shown]
	s_waitcnt lgkmcnt(9)
	v_mul_f64 v[2:3], v[108:109], v[62:63]
	s_waitcnt lgkmcnt(8)
	v_mul_f64 v[4:5], v[112:113], v[60:61]
	v_fmac_f64_e32 v[2:3], v[110:111], v[58:59]
	s_waitcnt lgkmcnt(7)
	v_mul_f64 v[6:7], v[172:173], v[68:69]
	v_fmac_f64_e32 v[4:5], v[114:115], v[84:85]
	;; [unrolled: 3-line block ×3, first 2 shown]
	v_fmac_f64_e32 v[8:9], v[178:179], v[66:67]
	s_waitcnt lgkmcnt(5)
	v_mul_f64 v[10:11], v[180:181], v[70:71]
	s_waitcnt lgkmcnt(4)
	v_mul_f64 v[12:13], v[184:185], v[74:75]
	v_fmac_f64_e32 v[10:11], v[182:183], v[72:73]
	s_waitcnt lgkmcnt(3)
	v_mul_f64 v[14:15], v[188:189], v[78:79]
	v_fmac_f64_e32 v[12:13], v[186:187], v[76:77]
	;; [unrolled: 3-line block ×4, first 2 shown]
	v_fmac_f64_e32 v[18:19], v[202:203], v[92:93]
	v_accvgpr_write_b32 a131, v21
	v_accvgpr_write_b32 a130, v20
	v_mul_f64 v[62:63], v[110:111], v[62:63]
	v_mul_f64 v[74:75], v[186:187], v[74:75]
	v_fma_f64 v[186:187], v[184:185], v[76:77], -v[74:75]
	v_mul_f64 v[78:79], v[190:191], v[78:79]
	v_fma_f64 v[188:189], v[188:189], v[80:81], -v[78:79]
	;; [unrolled: 2-line block ×3, first 2 shown]
	v_mul_f64 v[90:91], v[202:203], v[90:91]
	s_waitcnt vmcnt(1)
	v_pk_mov_b32 v[22:23], v[0:1], v[0:1] op_sel:[0,1]
	v_mul_f64 v[0:1], v[94:95], v[56:57]
	v_fmac_f64_e32 v[0:1], v[96:97], v[54:55]
	v_add_f64 v[0:1], v[0:1], 0
	v_add_f64 v[0:1], v[0:1], v[2:3]
	;; [unrolled: 1-line block ×5, first 2 shown]
	buffer_load_dword v106, off, s[0:3], 0 offset:232
	buffer_load_dword v193, off, s[0:3], 0 offset:228
	;; [unrolled: 1-line block ×75, first 2 shown]
	ds_read_b128 v[116:119], v194 offset:896
	ds_read_b128 v[208:211], v194 offset:912
	v_add_f64 v[0:1], v[0:1], v[10:11]
	v_add_f64 v[0:1], v[0:1], v[12:13]
	;; [unrolled: 1-line block ×5, first 2 shown]
	s_waitcnt lgkmcnt(0)
	v_mul_f64 v[10:11], v[208:209], v[20:21]
	ds_read_b128 v[204:207], v194 offset:928
	v_fmac_f64_e32 v[10:11], v[210:211], v[22:23]
	v_accvgpr_write_b32 a133, v23
	v_accvgpr_write_b32 a132, v22
	v_mul_f64 v[56:57], v[96:97], v[56:57]
	v_fma_f64 v[96:97], v[108:109], v[58:59], -v[62:63]
	v_mul_f64 v[58:59], v[114:115], v[60:61]
	v_fma_f64 v[108:109], v[112:113], v[84:85], -v[58:59]
	v_mul_f64 v[58:59], v[174:175], v[68:69]
	v_mul_f64 v[62:63], v[178:179], v[64:65]
	v_fma_f64 v[176:177], v[176:177], v[66:67], -v[62:63]
	v_mul_f64 v[66:67], v[182:183], v[70:71]
	v_fma_f64 v[180:181], v[180:181], v[72:73], -v[66:67]
	s_waitcnt vmcnt(62)
	v_mul_f64 v[6:7], v[116:117], v[106:107]
	v_fmac_f64_e32 v[6:7], v[118:119], v[192:193]
	v_pk_mov_b32 v[4:5], v[2:3], v[2:3] op_sel:[0,1]
	v_mul_f64 v[2:3], v[98:99], v[102:103]
	v_fmac_f64_e32 v[2:3], v[100:101], v[104:105]
	v_add_f64 v[0:1], v[0:1], v[2:3]
	v_add_f64 v[0:1], v[0:1], v[6:7]
	;; [unrolled: 1-line block ×3, first 2 shown]
	ds_read_b128 v[10:13], v194 offset:944
	s_waitcnt lgkmcnt(1)
	v_mul_f64 v[14:15], v[204:205], v[224:225]
	v_fmac_f64_e32 v[14:15], v[206:207], v[228:229]
	v_add_f64 v[0:1], v[0:1], v[14:15]
	ds_read_b128 v[14:17], v194 offset:960
	s_waitcnt lgkmcnt(1)
	v_mul_f64 v[18:19], v[10:11], v[8:9]
	v_fmac_f64_e32 v[18:19], v[12:13], v[4:5]
	v_add_f64 v[0:1], v[0:1], v[18:19]
	ds_read_b128 v[18:21], v194 offset:976
	s_waitcnt vmcnt(58) lgkmcnt(1)
	v_mul_f64 v[22:23], v[14:15], v[232:233]
	s_waitcnt vmcnt(56)
	v_fmac_f64_e32 v[22:23], v[16:17], v[236:237]
	v_add_f64 v[0:1], v[0:1], v[22:23]
	ds_read_b128 v[22:25], v194 offset:992
	s_waitcnt lgkmcnt(1)
	v_mul_f64 v[26:27], v[18:19], v[212:213]
	v_fmac_f64_e32 v[26:27], v[20:21], v[214:215]
	v_add_f64 v[0:1], v[0:1], v[26:27]
	ds_read_b128 v[26:29], v194 offset:1008
	s_waitcnt vmcnt(50) lgkmcnt(1)
	v_mul_f64 v[30:31], v[22:23], v[240:241]
	s_waitcnt vmcnt(48)
	;; [unrolled: 11-line block ×4, first 2 shown]
	v_fmac_f64_e32 v[46:47], v[40:41], v[124:125]
	v_add_f64 v[0:1], v[0:1], v[46:47]
	ds_read_b128 v[46:49], v194 offset:1088
	s_waitcnt lgkmcnt(1)
	v_mul_f64 v[50:51], v[42:43], v[226:227]
	v_fmac_f64_e32 v[50:51], v[44:45], v[230:231]
	v_add_f64 v[0:1], v[0:1], v[50:51]
	ds_read_b128 v[50:53], v194 offset:1104
	buffer_load_dword v145, off, s[0:3], 0 offset:556
	buffer_load_dword v144, off, s[0:3], 0 offset:552
	buffer_load_dword v147, off, s[0:3], 0 offset:548
	buffer_load_dword v146, off, s[0:3], 0 offset:544
	buffer_load_dword v150, off, s[0:3], 0 offset:568
	buffer_load_dword v152, off, s[0:3], 0 offset:560
	buffer_load_dword v151, off, s[0:3], 0 offset:572
	buffer_load_dword v153, off, s[0:3], 0 offset:564
	s_waitcnt vmcnt(34) lgkmcnt(1)
	v_mul_f64 v[148:149], v[46:47], v[128:129]
	s_waitcnt vmcnt(32)
	v_fmac_f64_e32 v[148:149], v[48:49], v[130:131]
	v_add_f64 v[0:1], v[0:1], v[148:149]
	buffer_load_dword v149, off, s[0:3], 0 offset:604
	buffer_load_dword v155, off, s[0:3], 0 offset:588
	;; [unrolled: 1-line block ×8, first 2 shown]
	v_fma_f64 v[6:7], v[94:95], v[54:55], -v[56:57]
	ds_read_b128 v[54:57], v194 offset:1120
	buffer_load_dword v161, off, s[0:3], 0 offset:620
	buffer_load_dword v160, off, s[0:3], 0 offset:616
	;; [unrolled: 1-line block ×4, first 2 shown]
	s_waitcnt lgkmcnt(1)
	v_mul_f64 v[94:95], v[50:51], v[234:235]
	buffer_load_dword v164, off, s[0:3], 0 offset:632
	buffer_load_dword v166, off, s[0:3], 0 offset:624
	;; [unrolled: 1-line block ×8, first 2 shown]
	v_fmac_f64_e32 v[94:95], v[52:53], v[238:239]
	v_add_f64 v[0:1], v[0:1], v[94:95]
	v_fma_f64 v[94:95], v[172:173], v[82:83], -v[58:59]
	buffer_load_dword v172, off, s[0:3], 0 offset:664
	buffer_load_dword v174, off, s[0:3], 0 offset:656
	;; [unrolled: 1-line block ×4, first 2 shown]
	s_waitcnt vmcnt(50) lgkmcnt(0)
	v_mul_f64 v[58:59], v[54:55], v[132:133]
	s_waitcnt vmcnt(48)
	v_fmac_f64_e32 v[58:59], v[56:57], v[134:135]
	v_add_f64 v[0:1], v[0:1], v[58:59]
	ds_read_b128 v[58:61], v194 offset:1136
	ds_read_b128 v[62:65], v194 offset:1152
	ds_read_b128 v[66:69], v194 offset:1168
	ds_read_b128 v[74:77], v194 offset:1200
	ds_read_b128 v[78:81], v194 offset:1216
	s_waitcnt lgkmcnt(4)
	v_mul_f64 v[82:83], v[58:59], v[242:243]
	v_fmac_f64_e32 v[82:83], v[60:61], v[246:247]
	s_waitcnt vmcnt(42) lgkmcnt(3)
	v_mul_f64 v[70:71], v[62:63], v[136:137]
	v_add_f64 v[0:1], v[0:1], v[82:83]
	s_waitcnt vmcnt(40)
	v_fmac_f64_e32 v[70:71], v[64:65], v[138:139]
	v_add_f64 v[0:1], v[0:1], v[70:71]
	s_waitcnt lgkmcnt(2)
	v_mul_f64 v[70:71], v[66:67], v[250:251]
	v_fmac_f64_e32 v[70:71], v[68:69], v[254:255]
	v_add_f64 v[0:1], v[0:1], v[70:71]
	ds_read_b128 v[70:73], v194 offset:1184
	v_accvgpr_write_b32 a135, v5
	v_accvgpr_write_b32 a134, v4
	v_fma_f64 v[4:5], v[200:201], v[92:93], -v[90:91]
	ds_read_b128 v[90:93], v194 offset:1264
	ds_read_b128 v[196:199], v194 offset:1280
	s_waitcnt vmcnt(34) lgkmcnt(2)
	v_mul_f64 v[82:83], v[70:71], v[140:141]
	s_waitcnt vmcnt(32)
	v_fmac_f64_e32 v[82:83], v[72:73], v[142:143]
	v_add_f64 v[0:1], v[0:1], v[82:83]
	v_mul_f64 v[82:83], v[74:75], v[122:123]
	v_fmac_f64_e32 v[82:83], v[76:77], v[126:127]
	v_add_f64 v[0:1], v[0:1], v[82:83]
	v_mul_f64 v[100:101], v[100:101], v[102:103]
	v_fma_f64 v[2:3], v[98:99], v[104:105], -v[100:101]
	ds_read_b128 v[98:101], v194 offset:1296
	v_mul_f64 v[102:103], v[118:119], v[106:107]
	v_fma_f64 v[118:119], v[116:117], v[192:193], -v[102:103]
	ds_read_b128 v[102:105], v194 offset:1312
	ds_read_b128 v[200:203], v194 offset:1328
	v_add_f64 v[6:7], v[6:7], 0
	v_add_f64 v[6:7], v[6:7], v[96:97]
	;; [unrolled: 1-line block ×10, first 2 shown]
	v_accvgpr_read_b32 v6, a132
	v_accvgpr_read_b32 v7, a133
	ds_read_b128 v[86:89], v194 offset:1248
	s_waitcnt vmcnt(30)
	v_mul_f64 v[82:83], v[78:79], v[144:145]
	s_waitcnt vmcnt(28)
	v_fmac_f64_e32 v[82:83], v[80:81], v[146:147]
	v_add_f64 v[0:1], v[0:1], v[82:83]
	ds_read_b128 v[82:85], v194 offset:1232
	s_waitcnt vmcnt(9) lgkmcnt(4)
	v_mul_f64 v[106:107], v[98:99], v[164:165]
	s_waitcnt vmcnt(8)
	v_fmac_f64_e32 v[106:107], v[100:101], v[166:167]
	s_waitcnt lgkmcnt(0)
	v_mul_f64 v[110:111], v[82:83], v[150:151]
	v_fmac_f64_e32 v[110:111], v[84:85], v[152:153]
	v_add_f64 v[0:1], v[0:1], v[110:111]
	v_mul_f64 v[110:111], v[86:87], v[154:155]
	v_fmac_f64_e32 v[110:111], v[88:89], v[158:159]
	v_add_f64 v[0:1], v[0:1], v[110:111]
	;; [unrolled: 3-line block ×4, first 2 shown]
	v_add_f64 v[0:1], v[0:1], v[106:107]
	s_waitcnt vmcnt(6)
	v_mul_f64 v[106:107], v[102:103], v[168:169]
	s_waitcnt vmcnt(4)
	v_fmac_f64_e32 v[106:107], v[104:105], v[170:171]
	v_add_f64 v[0:1], v[0:1], v[106:107]
	s_waitcnt vmcnt(1)
	v_mul_f64 v[106:107], v[200:201], v[172:173]
	s_waitcnt vmcnt(0)
	v_fmac_f64_e32 v[106:107], v[202:203], v[174:175]
	v_add_f64 v[106:107], v[0:1], v[106:107]
	buffer_load_dword v1, off, s[0:3], 0 offset:684
	buffer_load_dword v0, off, s[0:3], 0 offset:680
	;; [unrolled: 1-line block ×4, first 2 shown]
	ds_read_b128 v[110:113], v194 offset:1344
	buffer_load_dword v182, off, s[0:3], 0 offset:696
	buffer_load_dword v183, off, s[0:3], 0 offset:700
	buffer_load_dword v184, off, s[0:3], 0 offset:688
	buffer_load_dword v185, off, s[0:3], 0 offset:692
	s_waitcnt vmcnt(6) lgkmcnt(0)
	v_mul_f64 v[114:115], v[110:111], v[0:1]
	v_mul_f64 v[0:1], v[112:113], v[0:1]
	s_waitcnt vmcnt(4)
	v_fmac_f64_e32 v[114:115], v[112:113], v[178:179]
	v_add_f64 v[106:107], v[106:107], v[114:115]
	ds_read_b128 v[114:117], v194 offset:1360
	buffer_load_dword v188, off, s[0:3], 0 offset:32
	buffer_load_dword v189, off, s[0:3], 0 offset:36
	buffer_load_dword v186, off, s[0:3], 0 offset:40
	buffer_load_dword v187, off, s[0:3], 0 offset:44
	v_fma_f64 v[0:1], v[110:111], v[178:179], -v[0:1]
	s_waitcnt vmcnt(6) lgkmcnt(0)
	v_mul_f64 v[192:193], v[114:115], v[182:183]
	s_waitcnt vmcnt(4)
	v_fmac_f64_e32 v[192:193], v[116:117], v[184:185]
	v_add_f64 v[106:107], v[106:107], v[192:193]
	v_add_f64 v[192:193], v[4:5], v[2:3]
	v_accvgpr_read_b32 v4, a130
	v_accvgpr_read_b32 v5, a131
	v_mul_f64 v[4:5], v[210:211], v[4:5]
	v_add_f64 v[2:3], v[192:193], v[118:119]
	v_fma_f64 v[4:5], v[208:209], v[6:7], -v[4:5]
	v_add_f64 v[2:3], v[2:3], v[4:5]
	v_mul_f64 v[4:5], v[206:207], v[224:225]
	v_fma_f64 v[4:5], v[204:205], v[228:229], -v[4:5]
	v_accvgpr_read_b32 v6, a134
	v_add_f64 v[2:3], v[2:3], v[4:5]
	v_mul_f64 v[4:5], v[12:13], v[8:9]
	v_accvgpr_read_b32 v7, a135
	v_fma_f64 v[4:5], v[10:11], v[6:7], -v[4:5]
	v_add_f64 v[2:3], v[2:3], v[4:5]
	v_mul_f64 v[4:5], v[16:17], v[232:233]
	v_fma_f64 v[4:5], v[14:15], v[236:237], -v[4:5]
	v_add_f64 v[2:3], v[2:3], v[4:5]
	v_mul_f64 v[4:5], v[20:21], v[212:213]
	;; [unrolled: 3-line block ×24, first 2 shown]
	v_fma_f64 v[4:5], v[200:201], v[174:175], -v[4:5]
	v_add_f64 v[2:3], v[2:3], v[4:5]
	v_add_f64 v[0:1], v[2:3], v[0:1]
	v_mul_f64 v[2:3], v[116:117], v[182:183]
	v_fma_f64 v[2:3], v[114:115], v[184:185], -v[2:3]
	v_add_f64 v[0:1], v[0:1], v[2:3]
	s_waitcnt vmcnt(2)
	v_add_f64 v[0:1], v[188:189], -v[0:1]
	s_waitcnt vmcnt(0)
	v_add_f64 v[2:3], v[186:187], -v[106:107]
	buffer_store_dword v1, off, s[0:3], 0 offset:36
	buffer_store_dword v0, off, s[0:3], 0 offset:32
	;; [unrolled: 1-line block ×4, first 2 shown]
	v_accvgpr_read_b32 v0, a128
	v_cmp_ne_u32_e32 vcc, 0, v0
	s_and_saveexec_b64 s[4:5], vcc
	s_cbranch_execz .LBB106_271
; %bb.270:
	buffer_load_dword v2, off, s[0:3], 0 offset:16
	buffer_load_dword v3, off, s[0:3], 0 offset:20
	;; [unrolled: 1-line block ×4, first 2 shown]
	v_accvgpr_read_b32 v0, a129
	buffer_store_dword v194, off, s[0:3], 0 offset:16
	buffer_store_dword v194, off, s[0:3], 0 offset:20
	;; [unrolled: 1-line block ×4, first 2 shown]
	s_waitcnt vmcnt(4)
	ds_write_b128 v0, v[2:5]
.LBB106_271:
	s_or_b64 exec, exec, s[4:5]
	s_waitcnt lgkmcnt(0)
	; wave barrier
	s_waitcnt lgkmcnt(0)
	buffer_load_dword v54, off, s[0:3], 0 offset:32
	buffer_load_dword v55, off, s[0:3], 0 offset:36
	;; [unrolled: 1-line block ×42, first 2 shown]
	ds_read_b128 v[110:113], v194 offset:704
	ds_read_b128 v[156:159], v194 offset:720
	ds_read_b128 v[164:167], v194 offset:736
	ds_read_b128 v[170:173], v194 offset:752
	ds_read_b128 v[176:179], v194 offset:768
	ds_read_b128 v[180:183], v194 offset:784
	ds_read_b128 v[184:187], v194 offset:800
	ds_read_b128 v[188:191], v194 offset:816
	ds_read_b128 v[196:199], v194 offset:832
	ds_read_b128 v[84:87], v194 offset:848
	buffer_load_dword v109, off, s[0:3], 0 offset:180
	buffer_load_dword v108, off, s[0:3], 0 offset:176
	ds_read_b128 v[88:91], v194 offset:864
	buffer_load_dword v103, off, s[0:3], 0 offset:236
	buffer_load_dword v102, off, s[0:3], 0 offset:232
	;; [unrolled: 1-line block ×6, first 2 shown]
	s_and_b64 vcc, exec, s[16:17]
	s_waitcnt vmcnt(46) lgkmcnt(10)
	v_mul_f64 v[0:1], v[110:111], v[60:61]
	v_fmac_f64_e32 v[0:1], v[112:113], v[54:55]
	v_add_f64 v[0:1], v[0:1], 0
	v_mul_f64 v[60:61], v[112:113], v[60:61]
	s_waitcnt vmcnt(42) lgkmcnt(9)
	v_mul_f64 v[2:3], v[156:157], v[58:59]
	v_fmac_f64_e32 v[2:3], v[158:159], v[52:53]
	v_add_f64 v[0:1], v[0:1], v[2:3]
	buffer_load_dword v193, off, s[0:3], 0 offset:212
	buffer_load_dword v192, off, s[0:3], 0 offset:208
	;; [unrolled: 1-line block ×4, first 2 shown]
	s_waitcnt vmcnt(44) lgkmcnt(8)
	v_mul_f64 v[4:5], v[164:165], v[56:57]
	s_waitcnt vmcnt(42) lgkmcnt(6)
	v_mul_f64 v[8:9], v[176:177], v[62:63]
	s_waitcnt vmcnt(40)
	v_fmac_f64_e32 v[8:9], v[178:179], v[64:65]
	v_mul_f64 v[56:57], v[166:167], v[56:57]
	s_waitcnt vmcnt(38)
	v_mul_f64 v[6:7], v[170:171], v[66:67]
	s_waitcnt vmcnt(36) lgkmcnt(4)
	v_mul_f64 v[12:13], v[184:185], v[68:69]
	s_waitcnt vmcnt(34)
	v_fmac_f64_e32 v[12:13], v[186:187], v[70:71]
	s_waitcnt vmcnt(32)
	v_mul_f64 v[10:11], v[180:181], v[72:73]
	s_waitcnt vmcnt(30) lgkmcnt(2)
	v_mul_f64 v[16:17], v[196:197], v[76:77]
	v_mul_f64 v[76:77], v[198:199], v[76:77]
	s_waitcnt vmcnt(27)
	v_mul_f64 v[14:15], v[188:189], v[74:75]
	s_waitcnt vmcnt(25) lgkmcnt(1)
	v_mul_f64 v[18:19], v[84:85], v[92:93]
	s_waitcnt vmcnt(23)
	v_fmac_f64_e32 v[4:5], v[166:167], v[98:99]
	v_add_f64 v[0:1], v[0:1], v[4:5]
	s_waitcnt vmcnt(21)
	v_fmac_f64_e32 v[6:7], v[172:173], v[94:95]
	v_add_f64 v[0:1], v[0:1], v[6:7]
	;; [unrolled: 3-line block ×3, first 2 shown]
	v_add_f64 v[0:1], v[0:1], v[10:11]
	s_waitcnt vmcnt(17)
	v_fmac_f64_e32 v[14:15], v[190:191], v[80:81]
	v_add_f64 v[0:1], v[0:1], v[12:13]
	s_waitcnt vmcnt(16)
	v_fmac_f64_e32 v[16:17], v[198:199], v[78:79]
	v_add_f64 v[0:1], v[0:1], v[14:15]
	v_add_f64 v[0:1], v[0:1], v[16:17]
	v_fma_f64 v[98:99], v[164:165], v[98:99], -v[56:57]
	s_waitcnt vmcnt(10)
	v_fmac_f64_e32 v[18:19], v[86:87], v[108:109]
	v_add_f64 v[0:1], v[0:1], v[18:19]
	v_mul_f64 v[56:57], v[172:173], v[66:67]
	v_mul_f64 v[86:87], v[86:87], v[92:93]
	v_fma_f64 v[108:109], v[84:85], v[108:109], -v[86:87]
	s_waitcnt vmcnt(0)
	v_pk_mov_b32 v[16:17], v[2:3], v[2:3] op_sel:[0,1]
	buffer_load_dword v3, off, s[0:3], 0 offset:260
	buffer_load_dword v2, off, s[0:3], 0 offset:256
	v_accvgpr_write_b32 a129, v17
	v_accvgpr_write_b32 a128, v16
	s_waitcnt vmcnt(0)
	v_pk_mov_b32 v[20:21], v[2:3], v[2:3] op_sel:[0,1]
	buffer_load_dword v219, off, s[0:3], 0 offset:252
	buffer_load_dword v218, off, s[0:3], 0 offset:248
	;; [unrolled: 1-line block ×68, first 2 shown]
	ds_read_b128 v[200:203], v194 offset:880
	ds_read_b128 v[114:117], v194 offset:896
	;; [unrolled: 1-line block ×4, first 2 shown]
	v_accvgpr_write_b32 a131, v21
	v_accvgpr_write_b32 a130, v20
	s_waitcnt lgkmcnt(2)
	v_mul_f64 v[6:7], v[114:115], v[102:103]
	v_fmac_f64_e32 v[6:7], v[116:117], v[104:105]
	s_waitcnt lgkmcnt(0)
	v_mul_f64 v[14:15], v[144:145], v[16:17]
	v_fmac_f64_e32 v[14:15], v[146:147], v[20:21]
	s_waitcnt vmcnt(62)
	v_mul_f64 v[10:11], v[118:119], v[218:219]
	v_fmac_f64_e32 v[10:11], v[120:121], v[220:221]
	v_pk_mov_b32 v[24:25], v[2:3], v[2:3] op_sel:[0,1]
	v_mul_f64 v[2:3], v[88:89], v[96:97]
	v_fmac_f64_e32 v[2:3], v[90:91], v[100:101]
	v_add_f64 v[0:1], v[0:1], v[2:3]
	v_mul_f64 v[2:3], v[200:201], v[106:107]
	v_fmac_f64_e32 v[2:3], v[202:203], v[192:193]
	v_add_f64 v[4:5], v[0:1], v[2:3]
	v_add_f64 v[8:9], v[4:5], v[6:7]
	;; [unrolled: 1-line block ×3, first 2 shown]
	ds_read_b128 v[8:11], v194 offset:944
	v_add_f64 v[16:17], v[12:13], v[14:15]
	ds_read_b128 v[12:15], v194 offset:960
	v_accvgpr_write_b32 a133, v25
	v_accvgpr_write_b32 a132, v24
	s_waitcnt vmcnt(58) lgkmcnt(1)
	v_mul_f64 v[18:19], v[8:9], v[124:125]
	s_waitcnt vmcnt(56)
	v_fmac_f64_e32 v[18:19], v[10:11], v[128:129]
	v_add_f64 v[20:21], v[16:17], v[18:19]
	ds_read_b128 v[16:19], v194 offset:976
	s_waitcnt lgkmcnt(1)
	v_mul_f64 v[22:23], v[12:13], v[24:25]
	v_fmac_f64_e32 v[22:23], v[14:15], v[208:209]
	v_add_f64 v[24:25], v[20:21], v[22:23]
	ds_read_b128 v[20:23], v194 offset:992
	s_waitcnt vmcnt(50) lgkmcnt(1)
	v_mul_f64 v[26:27], v[16:17], v[222:223]
	s_waitcnt vmcnt(48)
	v_fmac_f64_e32 v[26:27], v[18:19], v[224:225]
	v_add_f64 v[28:29], v[24:25], v[26:27]
	ds_read_b128 v[24:27], v194 offset:1008
	s_waitcnt lgkmcnt(1)
	v_mul_f64 v[30:31], v[20:21], v[210:211]
	v_fmac_f64_e32 v[30:31], v[22:23], v[212:213]
	v_add_f64 v[32:33], v[28:29], v[30:31]
	ds_read_b128 v[28:31], v194 offset:1024
	;; [unrolled: 11-line block ×4, first 2 shown]
	s_waitcnt vmcnt(26) lgkmcnt(1)
	v_mul_f64 v[50:51], v[40:41], v[234:235]
	s_waitcnt vmcnt(24)
	v_fmac_f64_e32 v[50:51], v[42:43], v[236:237]
	v_add_f64 v[152:153], v[48:49], v[50:51]
	ds_read_b128 v[48:51], v194 offset:1104
	buffer_load_dword v6, off, s[0:3], 0 offset:552
	buffer_load_dword v149, off, s[0:3], 0 offset:540
	;; [unrolled: 1-line block ×8, first 2 shown]
	s_waitcnt lgkmcnt(1)
	v_mul_f64 v[154:155], v[44:45], v[126:127]
	v_fmac_f64_e32 v[154:155], v[46:47], v[130:131]
	v_add_f64 v[254:255], v[152:153], v[154:155]
	buffer_load_dword v153, off, s[0:3], 0 offset:572
	buffer_load_dword v152, off, s[0:3], 0 offset:568
	;; [unrolled: 1-line block ×4, first 2 shown]
	v_mul_f64 v[2:3], v[158:159], v[58:59]
	v_fma_f64 v[2:3], v[156:157], v[52:53], -v[2:3]
	buffer_load_dword v157, off, s[0:3], 0 offset:588
	buffer_load_dword v156, off, s[0:3], 0 offset:584
	;; [unrolled: 1-line block ×8, first 2 shown]
	v_fma_f64 v[4:5], v[110:111], v[54:55], -v[60:61]
	ds_read_b128 v[52:55], v194 offset:1120
	buffer_load_dword v166, off, s[0:3], 0 offset:616
	buffer_load_dword v168, off, s[0:3], 0 offset:608
	;; [unrolled: 1-line block ×4, first 2 shown]
	v_fma_f64 v[110:111], v[170:171], v[94:95], -v[56:57]
	buffer_load_dword v164, off, s[0:3], 0 offset:648
	buffer_load_dword v173, off, s[0:3], 0 offset:636
	;; [unrolled: 1-line block ×12, first 2 shown]
	s_waitcnt vmcnt(54) lgkmcnt(1)
	v_mul_f64 v[56:57], v[48:49], v[238:239]
	v_mul_f64 v[58:59], v[178:179], v[62:63]
	s_waitcnt vmcnt(52)
	v_fmac_f64_e32 v[56:57], v[50:51], v[240:241]
	v_fma_f64 v[176:177], v[176:177], v[64:65], -v[58:59]
	s_waitcnt lgkmcnt(0)
	v_mul_f64 v[58:59], v[52:53], v[132:133]
	v_add_f64 v[56:57], v[254:255], v[56:57]
	v_fmac_f64_e32 v[58:59], v[54:55], v[134:135]
	v_add_f64 v[94:95], v[56:57], v[58:59]
	ds_read_b128 v[56:59], v194 offset:1136
	v_mul_f64 v[60:61], v[182:183], v[72:73]
	v_fma_f64 v[180:181], v[180:181], v[82:83], -v[60:61]
	ds_read_b128 v[60:63], v194 offset:1152
	v_mul_f64 v[64:65], v[186:187], v[68:69]
	v_fma_f64 v[186:187], v[184:185], v[70:71], -v[64:65]
	ds_read_b128 v[64:67], v194 offset:1168
	s_waitcnt vmcnt(46) lgkmcnt(2)
	v_mul_f64 v[72:73], v[56:57], v[242:243]
	s_waitcnt vmcnt(44)
	v_fmac_f64_e32 v[72:73], v[58:59], v[244:245]
	s_waitcnt lgkmcnt(1)
	v_mul_f64 v[70:71], v[60:61], v[136:137]
	v_add_f64 v[68:69], v[94:95], v[72:73]
	v_fmac_f64_e32 v[70:71], v[62:63], v[138:139]
	v_mul_f64 v[72:73], v[190:191], v[74:75]
	v_add_f64 v[68:69], v[68:69], v[70:71]
	v_fma_f64 v[188:189], v[188:189], v[80:81], -v[72:73]
	ds_read_b128 v[72:75], v194 offset:1200
	s_waitcnt vmcnt(38) lgkmcnt(1)
	v_mul_f64 v[70:71], v[64:65], v[246:247]
	s_waitcnt vmcnt(36)
	v_fmac_f64_e32 v[70:71], v[66:67], v[248:249]
	v_add_f64 v[82:83], v[68:69], v[70:71]
	ds_read_b128 v[68:71], v194 offset:1184
	v_fma_f64 v[254:255], v[196:197], v[78:79], -v[76:77]
	ds_read_b128 v[76:79], v194 offset:1216
	v_mul_f64 v[90:91], v[90:91], v[96:97]
	v_fma_f64 v[0:1], v[88:89], v[100:101], -v[90:91]
	s_waitcnt lgkmcnt(1)
	v_mul_f64 v[80:81], v[68:69], v[140:141]
	v_fmac_f64_e32 v[80:81], v[70:71], v[142:143]
	v_add_f64 v[80:81], v[82:83], v[80:81]
	ds_read_b128 v[88:91], v194 offset:1264
	ds_read_b128 v[196:199], v194 offset:1296
	v_mul_f64 v[100:101], v[202:203], v[106:107]
	v_fma_f64 v[190:191], v[200:201], v[192:193], -v[100:101]
	v_mul_f64 v[100:101], v[116:117], v[102:103]
	v_fma_f64 v[116:117], v[114:115], v[104:105], -v[100:101]
	v_add_f64 v[4:5], v[4:5], 0
	v_add_f64 v[2:3], v[4:5], v[2:3]
	;; [unrolled: 1-line block ×10, first 2 shown]
	v_accvgpr_read_b32 v4, a130
	v_accvgpr_read_b32 v5, a131
	ds_read_b128 v[84:87], v194 offset:1248
	ds_read_b128 v[100:103], v194 offset:1312
	s_waitcnt vmcnt(33)
	v_mul_f64 v[82:83], v[72:73], v[148:149]
	s_waitcnt vmcnt(31)
	v_fmac_f64_e32 v[82:83], v[74:75], v[150:151]
	v_add_f64 v[80:81], v[80:81], v[82:83]
	s_waitcnt vmcnt(29) lgkmcnt(4)
	v_mul_f64 v[82:83], v[76:77], v[6:7]
	s_waitcnt vmcnt(28)
	v_fmac_f64_e32 v[82:83], v[78:79], v[122:123]
	v_add_f64 v[94:95], v[80:81], v[82:83]
	ds_read_b128 v[80:83], v194 offset:1232
	s_waitcnt vmcnt(26) lgkmcnt(0)
	v_mul_f64 v[92:93], v[80:81], v[152:153]
	s_waitcnt vmcnt(24)
	v_fmac_f64_e32 v[92:93], v[82:83], v[154:155]
	v_add_f64 v[92:93], v[94:95], v[92:93]
	s_waitcnt vmcnt(22)
	v_mul_f64 v[94:95], v[84:85], v[156:157]
	s_waitcnt vmcnt(20)
	v_fmac_f64_e32 v[94:95], v[86:87], v[160:161]
	v_add_f64 v[92:93], v[92:93], v[94:95]
	s_waitcnt vmcnt(18)
	v_mul_f64 v[94:95], v[88:89], v[158:159]
	s_waitcnt vmcnt(16)
	v_fmac_f64_e32 v[94:95], v[90:91], v[162:163]
	v_add_f64 v[96:97], v[92:93], v[94:95]
	ds_read_b128 v[92:95], v194 offset:1280
	s_waitcnt vmcnt(9)
	v_mul_f64 v[104:105], v[196:197], v[172:173]
	s_waitcnt vmcnt(7)
	v_fmac_f64_e32 v[104:105], v[198:199], v[174:175]
	s_waitcnt lgkmcnt(0)
	v_mul_f64 v[106:107], v[92:93], v[166:167]
	v_fmac_f64_e32 v[106:107], v[94:95], v[168:169]
	v_add_f64 v[96:97], v[96:97], v[106:107]
	v_add_f64 v[96:97], v[96:97], v[104:105]
	s_waitcnt vmcnt(5)
	v_mul_f64 v[104:105], v[100:101], v[164:165]
	s_waitcnt vmcnt(4)
	v_fmac_f64_e32 v[104:105], v[102:103], v[170:171]
	v_add_f64 v[96:97], v[96:97], v[104:105]
	ds_read_b128 v[104:107], v194 offset:1328
	s_waitcnt vmcnt(2) lgkmcnt(0)
	v_mul_f64 v[112:113], v[104:105], v[250:251]
	s_waitcnt vmcnt(0)
	v_fmac_f64_e32 v[112:113], v[106:107], v[252:253]
	v_add_f64 v[112:113], v[96:97], v[112:113]
	buffer_load_dword v96, off, s[0:3], 0 offset:680
	buffer_load_dword v97, off, s[0:3], 0 offset:684
	buffer_load_dword v178, off, s[0:3], 0 offset:672
	buffer_load_dword v179, off, s[0:3], 0 offset:676
	ds_read_b128 v[200:203], v194 offset:1344
	buffer_load_dword v183, off, s[0:3], 0 offset:700
	buffer_load_dword v182, off, s[0:3], 0 offset:696
	;; [unrolled: 1-line block ×4, first 2 shown]
	s_waitcnt vmcnt(6) lgkmcnt(0)
	v_mul_f64 v[114:115], v[200:201], v[96:97]
	s_waitcnt vmcnt(4)
	v_fmac_f64_e32 v[114:115], v[202:203], v[178:179]
	v_add_f64 v[192:193], v[112:113], v[114:115]
	ds_read_b128 v[112:115], v194 offset:1360
	buffer_load_dword v188, off, s[0:3], 0 offset:16
	buffer_load_dword v189, off, s[0:3], 0 offset:20
	;; [unrolled: 1-line block ×4, first 2 shown]
	s_waitcnt vmcnt(6) lgkmcnt(0)
	v_mul_f64 v[194:195], v[112:113], v[182:183]
	s_waitcnt vmcnt(4)
	v_fmac_f64_e32 v[194:195], v[114:115], v[184:185]
	v_add_f64 v[194:195], v[192:193], v[194:195]
	v_add_f64 v[192:193], v[2:3], v[0:1]
	;; [unrolled: 1-line block ×3, first 2 shown]
	v_mul_f64 v[2:3], v[120:121], v[218:219]
	v_add_f64 v[0:1], v[0:1], v[116:117]
	v_fma_f64 v[2:3], v[118:119], v[220:221], -v[2:3]
	v_add_f64 v[0:1], v[0:1], v[2:3]
	v_accvgpr_read_b32 v2, a128
	v_accvgpr_read_b32 v3, a129
	v_mul_f64 v[2:3], v[146:147], v[2:3]
	v_fma_f64 v[2:3], v[144:145], v[4:5], -v[2:3]
	v_add_f64 v[0:1], v[0:1], v[2:3]
	v_mul_f64 v[2:3], v[10:11], v[124:125]
	v_fma_f64 v[2:3], v[8:9], v[128:129], -v[2:3]
	v_add_f64 v[0:1], v[0:1], v[2:3]
	v_accvgpr_read_b32 v2, a132
	v_accvgpr_read_b32 v3, a133
	v_mul_f64 v[2:3], v[14:15], v[2:3]
	v_fma_f64 v[2:3], v[12:13], v[208:209], -v[2:3]
	v_add_f64 v[0:1], v[0:1], v[2:3]
	v_mul_f64 v[2:3], v[18:19], v[222:223]
	v_fma_f64 v[2:3], v[16:17], v[224:225], -v[2:3]
	v_add_f64 v[0:1], v[0:1], v[2:3]
	;; [unrolled: 3-line block ×26, first 2 shown]
	s_waitcnt vmcnt(2)
	v_add_f64 v[0:1], v[188:189], -v[0:1]
	s_waitcnt vmcnt(0)
	v_add_f64 v[2:3], v[186:187], -v[194:195]
	buffer_store_dword v1, off, s[0:3], 0 offset:20
	buffer_store_dword v0, off, s[0:3], 0 offset:16
	;; [unrolled: 1-line block ×4, first 2 shown]
	s_cbranch_vccz .LBB106_357
; %bb.272:
	v_pk_mov_b32 v[0:1], s[10:11], s[10:11] op_sel:[0,1]
	flat_load_dword v0, v[0:1] offset:164
	s_waitcnt vmcnt(0) lgkmcnt(0)
	v_add_u32_e32 v0, -1, v0
	v_cmp_ne_u32_e32 vcc, 41, v0
	s_and_saveexec_b64 s[4:5], vcc
	s_cbranch_execz .LBB106_274
; %bb.273:
	v_mov_b32_e32 v1, 16
	v_accvgpr_read_b32 v9, a87
	v_lshl_add_u32 v0, v0, 4, v1
	buffer_load_dword v1, v9, s[0:3], 0 offen offset:4
	buffer_load_dword v2, v9, s[0:3], 0 offen offset:8
	buffer_load_dword v3, v9, s[0:3], 0 offen offset:12
	buffer_load_dword v4, v0, s[0:3], 0 offen
	buffer_load_dword v5, v0, s[0:3], 0 offen offset:4
	buffer_load_dword v6, v0, s[0:3], 0 offen offset:8
	buffer_load_dword v7, v0, s[0:3], 0 offen offset:12
	buffer_load_dword v8, v9, s[0:3], 0 offen
	s_waitcnt vmcnt(4)
	buffer_store_dword v4, v9, s[0:3], 0 offen
	s_waitcnt vmcnt(4)
	buffer_store_dword v5, v9, s[0:3], 0 offen offset:4
	s_waitcnt vmcnt(4)
	buffer_store_dword v6, v9, s[0:3], 0 offen offset:8
	s_waitcnt vmcnt(4)
	buffer_store_dword v7, v9, s[0:3], 0 offen offset:12
	buffer_store_dword v3, v0, s[0:3], 0 offen offset:12
	buffer_store_dword v2, v0, s[0:3], 0 offen offset:8
	buffer_store_dword v1, v0, s[0:3], 0 offen offset:4
	s_waitcnt vmcnt(7)
	buffer_store_dword v8, v0, s[0:3], 0 offen
.LBB106_274:
	s_or_b64 exec, exec, s[4:5]
	v_pk_mov_b32 v[0:1], s[10:11], s[10:11] op_sel:[0,1]
	flat_load_dword v0, v[0:1] offset:160
	s_waitcnt vmcnt(0) lgkmcnt(0)
	v_add_u32_e32 v0, -1, v0
	v_cmp_ne_u32_e32 vcc, 40, v0
	s_and_saveexec_b64 s[4:5], vcc
	s_cbranch_execz .LBB106_276
; %bb.275:
	v_mov_b32_e32 v1, 16
	v_accvgpr_read_b32 v9, a88
	v_lshl_add_u32 v0, v0, 4, v1
	buffer_load_dword v1, v9, s[0:3], 0 offen offset:4
	buffer_load_dword v2, v9, s[0:3], 0 offen offset:8
	buffer_load_dword v3, v9, s[0:3], 0 offen offset:12
	buffer_load_dword v4, v0, s[0:3], 0 offen
	buffer_load_dword v5, v0, s[0:3], 0 offen offset:4
	buffer_load_dword v6, v0, s[0:3], 0 offen offset:8
	buffer_load_dword v7, v0, s[0:3], 0 offen offset:12
	buffer_load_dword v8, v9, s[0:3], 0 offen
	s_waitcnt vmcnt(4)
	buffer_store_dword v4, v9, s[0:3], 0 offen
	s_waitcnt vmcnt(4)
	buffer_store_dword v5, v9, s[0:3], 0 offen offset:4
	s_waitcnt vmcnt(4)
	buffer_store_dword v6, v9, s[0:3], 0 offen offset:8
	s_waitcnt vmcnt(4)
	buffer_store_dword v7, v9, s[0:3], 0 offen offset:12
	buffer_store_dword v3, v0, s[0:3], 0 offen offset:12
	buffer_store_dword v2, v0, s[0:3], 0 offen offset:8
	buffer_store_dword v1, v0, s[0:3], 0 offen offset:4
	s_waitcnt vmcnt(7)
	buffer_store_dword v8, v0, s[0:3], 0 offen
.LBB106_276:
	s_or_b64 exec, exec, s[4:5]
	;; [unrolled: 34-line block ×41, first 2 shown]
	v_pk_mov_b32 v[0:1], s[10:11], s[10:11] op_sel:[0,1]
	flat_load_dword v0, v[0:1]
	s_waitcnt vmcnt(0) lgkmcnt(0)
	v_add_u32_e32 v0, -1, v0
	v_cmp_ne_u32_e32 vcc, 0, v0
	s_and_saveexec_b64 s[4:5], vcc
	s_cbranch_execz .LBB106_356
; %bb.355:
	v_mov_b32_e32 v1, 16
	v_lshl_add_u32 v0, v0, 4, v1
	buffer_load_dword v1, v0, s[0:3], 0 offen
	buffer_load_dword v2, v0, s[0:3], 0 offen offset:4
	buffer_load_dword v3, v0, s[0:3], 0 offen offset:8
	;; [unrolled: 1-line block ×3, first 2 shown]
	buffer_load_dword v5, off, s[0:3], 0 offset:28
	buffer_load_dword v6, off, s[0:3], 0 offset:24
	;; [unrolled: 1-line block ×4, first 2 shown]
	s_waitcnt vmcnt(7)
	buffer_store_dword v1, off, s[0:3], 0 offset:16
	s_waitcnt vmcnt(7)
	buffer_store_dword v2, off, s[0:3], 0 offset:20
	;; [unrolled: 2-line block ×4, first 2 shown]
	s_waitcnt vmcnt(7)
	buffer_store_dword v5, v0, s[0:3], 0 offen offset:12
	s_waitcnt vmcnt(7)
	buffer_store_dword v6, v0, s[0:3], 0 offen offset:8
	;; [unrolled: 2-line block ×3, first 2 shown]
	s_waitcnt vmcnt(7)
	buffer_store_dword v8, v0, s[0:3], 0 offen
.LBB106_356:
	s_or_b64 exec, exec, s[4:5]
.LBB106_357:
	buffer_load_dword v0, off, s[0:3], 0 offset:16
	buffer_load_dword v1, off, s[0:3], 0 offset:20
	;; [unrolled: 1-line block ×4, first 2 shown]
	v_accvgpr_read_b32 v5, a1
	v_accvgpr_read_b32 v4, a0
	s_waitcnt vmcnt(0)
	global_store_dwordx4 v[4:5], v[0:3], off
	s_nop 0
	v_accvgpr_read_b32 v3, a127
	buffer_load_dword v0, v3, s[0:3], 0 offen
	buffer_load_dword v1, v3, s[0:3], 0 offen offset:4
	buffer_load_dword v2, v3, s[0:3], 0 offen offset:8
	s_nop 0
	buffer_load_dword v3, v3, s[0:3], 0 offen offset:12
	v_accvgpr_read_b32 v5, a3
	v_accvgpr_read_b32 v4, a2
	s_waitcnt vmcnt(0)
	global_store_dwordx4 v[4:5], v[0:3], off
	v_accvgpr_read_b32 v4, a126
	buffer_load_dword v0, v4, s[0:3], 0 offen
	buffer_load_dword v1, v4, s[0:3], 0 offen offset:4
	buffer_load_dword v2, v4, s[0:3], 0 offen offset:8
	buffer_load_dword v3, v4, s[0:3], 0 offen offset:12
	v_accvgpr_read_b32 v4, a4
	v_accvgpr_read_b32 v5, a5
	s_waitcnt vmcnt(0)
	global_store_dwordx4 v[4:5], v[0:3], off
	v_accvgpr_read_b32 v4, a125
	buffer_load_dword v0, v4, s[0:3], 0 offen
	buffer_load_dword v1, v4, s[0:3], 0 offen offset:4
	buffer_load_dword v2, v4, s[0:3], 0 offen offset:8
	;; [unrolled: 9-line block ×41, first 2 shown]
	buffer_load_dword v3, v4, s[0:3], 0 offen offset:12
	v_accvgpr_read_b32 v4, a46
	v_accvgpr_read_b32 v5, a47
	s_waitcnt vmcnt(0)
	global_store_dwordx4 v[4:5], v[0:3], off
	s_endpgm
	.section	.rodata,"a",@progbits
	.p2align	6, 0x0
	.amdhsa_kernel _ZN9rocsolver6v33100L18getri_kernel_smallILi43E19rocblas_complex_numIdEPKPS3_EEvT1_iilPiilS8_bb
		.amdhsa_group_segment_fixed_size 1384
		.amdhsa_private_segment_fixed_size 720
		.amdhsa_kernarg_size 60
		.amdhsa_user_sgpr_count 8
		.amdhsa_user_sgpr_private_segment_buffer 1
		.amdhsa_user_sgpr_dispatch_ptr 0
		.amdhsa_user_sgpr_queue_ptr 0
		.amdhsa_user_sgpr_kernarg_segment_ptr 1
		.amdhsa_user_sgpr_dispatch_id 0
		.amdhsa_user_sgpr_flat_scratch_init 1
		.amdhsa_user_sgpr_kernarg_preload_length 0
		.amdhsa_user_sgpr_kernarg_preload_offset 0
		.amdhsa_user_sgpr_private_segment_size 0
		.amdhsa_uses_dynamic_stack 0
		.amdhsa_system_sgpr_private_segment_wavefront_offset 1
		.amdhsa_system_sgpr_workgroup_id_x 1
		.amdhsa_system_sgpr_workgroup_id_y 0
		.amdhsa_system_sgpr_workgroup_id_z 0
		.amdhsa_system_sgpr_workgroup_info 0
		.amdhsa_system_vgpr_workitem_id 0
		.amdhsa_next_free_vgpr 392
		.amdhsa_next_free_sgpr 22
		.amdhsa_accum_offset 256
		.amdhsa_reserve_vcc 1
		.amdhsa_reserve_flat_scratch 1
		.amdhsa_float_round_mode_32 0
		.amdhsa_float_round_mode_16_64 0
		.amdhsa_float_denorm_mode_32 3
		.amdhsa_float_denorm_mode_16_64 3
		.amdhsa_dx10_clamp 1
		.amdhsa_ieee_mode 1
		.amdhsa_fp16_overflow 0
		.amdhsa_tg_split 0
		.amdhsa_exception_fp_ieee_invalid_op 0
		.amdhsa_exception_fp_denorm_src 0
		.amdhsa_exception_fp_ieee_div_zero 0
		.amdhsa_exception_fp_ieee_overflow 0
		.amdhsa_exception_fp_ieee_underflow 0
		.amdhsa_exception_fp_ieee_inexact 0
		.amdhsa_exception_int_div_zero 0
	.end_amdhsa_kernel
	.section	.text._ZN9rocsolver6v33100L18getri_kernel_smallILi43E19rocblas_complex_numIdEPKPS3_EEvT1_iilPiilS8_bb,"axG",@progbits,_ZN9rocsolver6v33100L18getri_kernel_smallILi43E19rocblas_complex_numIdEPKPS3_EEvT1_iilPiilS8_bb,comdat
.Lfunc_end106:
	.size	_ZN9rocsolver6v33100L18getri_kernel_smallILi43E19rocblas_complex_numIdEPKPS3_EEvT1_iilPiilS8_bb, .Lfunc_end106-_ZN9rocsolver6v33100L18getri_kernel_smallILi43E19rocblas_complex_numIdEPKPS3_EEvT1_iilPiilS8_bb
                                        ; -- End function
	.section	.AMDGPU.csdata,"",@progbits
; Kernel info:
; codeLenInByte = 120536
; NumSgprs: 28
; NumVgprs: 256
; NumAgprs: 136
; TotalNumVgprs: 392
; ScratchSize: 720
; MemoryBound: 0
; FloatMode: 240
; IeeeMode: 1
; LDSByteSize: 1384 bytes/workgroup (compile time only)
; SGPRBlocks: 3
; VGPRBlocks: 48
; NumSGPRsForWavesPerEU: 28
; NumVGPRsForWavesPerEU: 392
; AccumOffset: 256
; Occupancy: 1
; WaveLimiterHint : 1
; COMPUTE_PGM_RSRC2:SCRATCH_EN: 1
; COMPUTE_PGM_RSRC2:USER_SGPR: 8
; COMPUTE_PGM_RSRC2:TRAP_HANDLER: 0
; COMPUTE_PGM_RSRC2:TGID_X_EN: 1
; COMPUTE_PGM_RSRC2:TGID_Y_EN: 0
; COMPUTE_PGM_RSRC2:TGID_Z_EN: 0
; COMPUTE_PGM_RSRC2:TIDIG_COMP_CNT: 0
; COMPUTE_PGM_RSRC3_GFX90A:ACCUM_OFFSET: 63
; COMPUTE_PGM_RSRC3_GFX90A:TG_SPLIT: 0
	.section	.text._ZN9rocsolver6v33100L18getri_kernel_smallILi44E19rocblas_complex_numIdEPKPS3_EEvT1_iilPiilS8_bb,"axG",@progbits,_ZN9rocsolver6v33100L18getri_kernel_smallILi44E19rocblas_complex_numIdEPKPS3_EEvT1_iilPiilS8_bb,comdat
	.globl	_ZN9rocsolver6v33100L18getri_kernel_smallILi44E19rocblas_complex_numIdEPKPS3_EEvT1_iilPiilS8_bb ; -- Begin function _ZN9rocsolver6v33100L18getri_kernel_smallILi44E19rocblas_complex_numIdEPKPS3_EEvT1_iilPiilS8_bb
	.p2align	8
	.type	_ZN9rocsolver6v33100L18getri_kernel_smallILi44E19rocblas_complex_numIdEPKPS3_EEvT1_iilPiilS8_bb,@function
_ZN9rocsolver6v33100L18getri_kernel_smallILi44E19rocblas_complex_numIdEPKPS3_EEvT1_iilPiilS8_bb: ; @_ZN9rocsolver6v33100L18getri_kernel_smallILi44E19rocblas_complex_numIdEPKPS3_EEvT1_iilPiilS8_bb
; %bb.0:
	s_add_u32 flat_scratch_lo, s6, s9
	s_addc_u32 flat_scratch_hi, s7, 0
	s_add_u32 s0, s0, s9
	v_mov_b32_e32 v255, v0
	s_addc_u32 s1, s1, 0
	v_cmp_gt_u32_e32 vcc, 44, v255
	s_and_saveexec_b64 s[6:7], vcc
	s_cbranch_execz .LBB107_190
; %bb.1:
	s_load_dword s18, s[4:5], 0x38
	s_load_dwordx2 s[6:7], s[4:5], 0x0
	s_load_dwordx4 s[12:15], s[4:5], 0x28
	s_waitcnt lgkmcnt(0)
	s_bitcmp1_b32 s18, 8
	s_cselect_b64 s[16:17], -1, 0
	s_ashr_i32 s9, s8, 31
	s_lshl_b64 s[10:11], s[8:9], 3
	s_add_u32 s6, s6, s10
	s_addc_u32 s7, s7, s11
	s_load_dwordx2 s[6:7], s[6:7], 0x0
	s_bfe_u32 s10, s18, 0x10008
	s_cmp_eq_u32 s10, 0
                                        ; implicit-def: $sgpr10_sgpr11
	s_cbranch_scc1 .LBB107_3
; %bb.2:
	s_load_dword s10, s[4:5], 0x20
	s_load_dwordx2 s[20:21], s[4:5], 0x18
	s_mul_i32 s11, s8, s13
	s_mul_hi_u32 s13, s8, s12
	s_add_i32 s13, s13, s11
	s_mul_i32 s19, s9, s12
	s_add_i32 s13, s13, s19
	s_mul_i32 s12, s8, s12
	s_waitcnt lgkmcnt(0)
	s_ashr_i32 s11, s10, 31
	s_lshl_b64 s[12:13], s[12:13], 2
	s_add_u32 s12, s20, s12
	s_addc_u32 s13, s21, s13
	s_lshl_b64 s[10:11], s[10:11], 2
	s_add_u32 s10, s12, s10
	s_addc_u32 s11, s13, s11
.LBB107_3:
	s_load_dwordx2 s[4:5], s[4:5], 0x8
	v_lshlrev_b32_e32 v1, 4, v255
	s_waitcnt lgkmcnt(0)
	s_ashr_i32 s13, s4, 31
	s_mov_b32 s12, s4
	s_lshl_b64 s[12:13], s[12:13], 4
	s_add_u32 s6, s6, s12
	s_addc_u32 s7, s7, s13
	s_add_i32 s4, s5, s5
	v_add_u32_e32 v2, s4, v255
	v_ashrrev_i32_e32 v3, 31, v2
	global_load_dwordx4 v[6:9], v1, s[6:7]
	v_lshlrev_b64 v[4:5], 4, v[2:3]
	v_mov_b32_e32 v3, s7
	v_add_co_u32_e32 v12, vcc, s6, v1
	s_mov_b32 s12, s5
	s_ashr_i32 s13, s5, 31
	v_addc_co_u32_e32 v13, vcc, 0, v3, vcc
	s_lshl_b64 s[12:13], s[12:13], 4
	v_mov_b32_e32 v3, s13
	v_add_co_u32_e32 v10, vcc, s12, v12
	v_addc_co_u32_e32 v11, vcc, v13, v3, vcc
	global_load_dwordx4 v[54:57], v[10:11], off
	v_mov_b32_e32 v0, s7
	v_add_co_u32_e32 v4, vcc, s6, v4
	v_accvgpr_write_b32 a67, v13
	v_accvgpr_write_b32 a57, v11
	v_addc_co_u32_e32 v5, vcc, v0, v5, vcc
	v_accvgpr_write_b32 a66, v12
	v_accvgpr_write_b32 a56, v10
	global_load_dwordx4 v[10:13], v[4:5], off
	v_add_u32_e32 v2, s5, v2
	v_add_u32_e32 v58, s5, v2
	;; [unrolled: 1-line block ×39, first 2 shown]
	v_ashrrev_i32_e32 v3, 31, v2
	v_add_u32_e32 v14, s5, v16
	v_lshlrev_b64 v[60:61], 4, v[2:3]
	v_add_u32_e32 v2, s5, v14
	v_ashrrev_i32_e32 v3, 31, v2
	v_lshlrev_b64 v[2:3], 4, v[2:3]
	v_add_co_u32_e32 v2, vcc, s6, v2
	v_accvgpr_write_b32 a47, v5
	v_addc_co_u32_e32 v3, vcc, v0, v3, vcc
	v_accvgpr_write_b32 a0, v2
	v_accvgpr_write_b32 a46, v4
	v_mov_b32_e32 v15, s7
	v_accvgpr_write_b32 a1, v3
	global_load_dwordx4 v[2:5], v[2:3], off
	s_waitcnt vmcnt(3)
	buffer_store_dword v9, off, s[0:3], 0 offset:28
	buffer_store_dword v8, off, s[0:3], 0 offset:24
	;; [unrolled: 1-line block ×4, first 2 shown]
	s_waitcnt vmcnt(6)
	buffer_store_dword v57, off, s[0:3], 0 offset:44
	buffer_store_dword v56, off, s[0:3], 0 offset:40
	;; [unrolled: 1-line block ×4, first 2 shown]
	s_waitcnt vmcnt(9)
	buffer_store_dword v13, off, s[0:3], 0 offset:60
	v_add_co_u32_e32 v8, vcc, s6, v60
	v_addc_co_u32_e32 v9, vcc, v15, v61, vcc
	v_ashrrev_i32_e32 v59, 31, v58
	global_load_dwordx4 v[54:57], v[8:9], off
	v_lshlrev_b64 v[6:7], 4, v[58:59]
	v_add_co_u32_e32 v6, vcc, s6, v6
	v_addc_co_u32_e32 v7, vcc, v0, v7, vcc
	global_load_dwordx4 v[58:61], v[6:7], off
	v_accvgpr_write_b32 a83, v7
	v_ashrrev_i32_e32 v63, 31, v62
	v_accvgpr_write_b32 a87, v9
	v_accvgpr_write_b32 a82, v6
	v_lshlrev_b64 v[6:7], 4, v[62:63]
	v_accvgpr_write_b32 a86, v8
	v_add_co_u32_e32 v8, vcc, s6, v6
	v_addc_co_u32_e32 v9, vcc, v0, v7, vcc
	v_ashrrev_i32_e32 v65, 31, v64
	v_lshlrev_b64 v[6:7], 4, v[64:65]
	global_load_dwordx4 v[62:65], v[8:9], off
	v_add_co_u32_e32 v6, vcc, s6, v6
	v_addc_co_u32_e32 v7, vcc, v0, v7, vcc
	global_load_dwordx4 v[66:69], v[6:7], off
	v_accvgpr_write_b32 a79, v7
	v_ashrrev_i32_e32 v71, 31, v70
	v_accvgpr_write_b32 a85, v9
	v_accvgpr_write_b32 a78, v6
	v_lshlrev_b64 v[6:7], 4, v[70:71]
	v_accvgpr_write_b32 a84, v8
	v_add_co_u32_e32 v8, vcc, s6, v6
	v_addc_co_u32_e32 v9, vcc, v0, v7, vcc
	v_ashrrev_i32_e32 v73, 31, v72
	v_lshlrev_b64 v[6:7], 4, v[72:73]
	global_load_dwordx4 v[70:73], v[8:9], off
	;; [unrolled: 14-line block ×9, first 2 shown]
	v_add_co_u32_e32 v6, vcc, s6, v6
	v_addc_co_u32_e32 v7, vcc, v0, v7, vcc
	v_accvgpr_write_b32 a21, v9
	v_accvgpr_write_b32 a13, v7
	;; [unrolled: 1-line block ×4, first 2 shown]
	global_load_dwordx4 v[6:9], v[6:7], off
	v_ashrrev_i32_e32 v53, 31, v52
	buffer_store_dword v12, off, s[0:3], 0 offset:56
	buffer_store_dword v11, off, s[0:3], 0 offset:52
	buffer_store_dword v10, off, s[0:3], 0 offset:48
	s_waitcnt vmcnt(22)
	buffer_store_dword v57, off, s[0:3], 0 offset:76
	buffer_store_dword v56, off, s[0:3], 0 offset:72
	buffer_store_dword v55, off, s[0:3], 0 offset:68
	buffer_store_dword v54, off, s[0:3], 0 offset:64
	s_waitcnt vmcnt(25)
	buffer_store_dword v61, off, s[0:3], 0 offset:92
	;; [unrolled: 5-line block ×15, first 2 shown]
	buffer_store_dword v112, off, s[0:3], 0 offset:296
	buffer_store_dword v111, off, s[0:3], 0 offset:292
	;; [unrolled: 1-line block ×11, first 2 shown]
	s_waitcnt vmcnt(62)
	buffer_store_dword v125, off, s[0:3], 0 offset:348
	buffer_store_dword v124, off, s[0:3], 0 offset:344
	;; [unrolled: 1-line block ×9, first 2 shown]
	v_lshlrev_b64 v[10:11], 4, v[52:53]
	v_add_co_u32_e32 v12, vcc, s6, v10
	v_ashrrev_i32_e32 v51, 31, v50
	v_addc_co_u32_e32 v13, vcc, v0, v11, vcc
	v_lshlrev_b64 v[10:11], 4, v[50:51]
	v_add_co_u32_e32 v50, vcc, s6, v10
	v_accvgpr_write_b32 a77, v13
	v_addc_co_u32_e32 v51, vcc, v0, v11, vcc
	v_accvgpr_write_b32 a76, v12
	global_load_dwordx4 v[10:13], v[12:13], off
	v_accvgpr_write_b32 a69, v51
	v_ashrrev_i32_e32 v49, 31, v48
	v_accvgpr_write_b32 a68, v50
	global_load_dwordx4 v[50:53], v[50:51], off
	v_lshlrev_b64 v[48:49], 4, v[48:49]
	v_add_co_u32_e32 v48, vcc, s6, v48
	v_ashrrev_i32_e32 v47, 31, v46
	v_addc_co_u32_e32 v49, vcc, v0, v49, vcc
	v_lshlrev_b64 v[46:47], 4, v[46:47]
	v_add_co_u32_e32 v54, vcc, s6, v46
	v_accvgpr_write_b32 a71, v49
	v_addc_co_u32_e32 v55, vcc, v0, v47, vcc
	v_accvgpr_write_b32 a70, v48
	global_load_dwordx4 v[46:49], v[48:49], off
	v_accvgpr_write_b32 a59, v55
	v_ashrrev_i32_e32 v45, 31, v44
	v_accvgpr_write_b32 a58, v54
	global_load_dwordx4 v[54:57], v[54:55], off
	;; [unrolled: 14-line block ×8, first 2 shown]
	v_lshlrev_b64 v[20:21], 4, v[20:21]
	v_add_co_u32_e32 v20, vcc, s6, v20
	v_ashrrev_i32_e32 v19, 31, v18
	v_addc_co_u32_e32 v21, vcc, v0, v21, vcc
	v_lshlrev_b64 v[18:19], 4, v[18:19]
	v_add_co_u32_e32 v82, vcc, s6, v18
	v_accvgpr_write_b32 a10, v20
	v_addc_co_u32_e32 v83, vcc, v0, v19, vcc
	v_accvgpr_write_b32 a11, v21
	global_load_dwordx4 v[18:21], v[20:21], off
	v_accvgpr_write_b32 a4, v82
	v_accvgpr_write_b32 a5, v83
	global_load_dwordx4 v[82:85], v[82:83], off
	v_ashrrev_i32_e32 v17, 31, v16
	v_lshlrev_b64 v[16:17], 4, v[16:17]
	v_add_co_u32_e32 v16, vcc, s6, v16
	v_addc_co_u32_e32 v17, vcc, v0, v17, vcc
	v_ashrrev_i32_e32 v15, 31, v14
	v_accvgpr_write_b32 a6, v16
	v_lshlrev_b64 v[86:87], 4, v[14:15]
	v_accvgpr_write_b32 a7, v17
	global_load_dwordx4 v[14:17], v[16:17], off
	v_add_co_u32_e32 v86, vcc, s6, v86
	v_addc_co_u32_e32 v87, vcc, v0, v87, vcc
	v_accvgpr_write_b32 a2, v86
	v_accvgpr_write_b32 a3, v87
	global_load_dwordx4 v[86:89], v[86:87], off
	v_mov_b32_e32 v0, 16
	buffer_store_dword v8, off, s[0:3], 0 offset:376
	buffer_store_dword v7, off, s[0:3], 0 offset:372
	buffer_store_dword v6, off, s[0:3], 0 offset:368
	s_waitcnt vmcnt(22)
	buffer_store_dword v13, off, s[0:3], 0 offset:396
	buffer_store_dword v12, off, s[0:3], 0 offset:392
	buffer_store_dword v11, off, s[0:3], 0 offset:388
	buffer_store_dword v10, off, s[0:3], 0 offset:384
	s_waitcnt vmcnt(25)
	buffer_store_dword v53, off, s[0:3], 0 offset:412
	;; [unrolled: 5-line block ×15, first 2 shown]
	buffer_store_dword v24, off, s[0:3], 0 offset:616
	buffer_store_dword v23, off, s[0:3], 0 offset:612
	;; [unrolled: 1-line block ×11, first 2 shown]
	s_waitcnt vmcnt(62)
	buffer_store_dword v85, off, s[0:3], 0 offset:668
	buffer_store_dword v84, off, s[0:3], 0 offset:664
	;; [unrolled: 1-line block ×16, first 2 shown]
	v_add_u32_e32 v2, 16, v0
	v_accvgpr_write_b32 a130, v2
	v_add_u32_e32 v2, 32, v0
	v_accvgpr_write_b32 a129, v2
	;; [unrolled: 2-line block ×41, first 2 shown]
	v_add_u32_e32 v2, 0x2a0, v0
	v_add_u32_e32 v0, 0x2b0, v0
	v_accvgpr_write_b32 a89, v2
	v_accvgpr_write_b32 a88, v0
	s_bitcmp0_b32 s18, 0
	s_mov_b64 s[6:7], -1
	s_cbranch_scc1 .LBB107_188
; %bb.4:
	v_cmp_eq_u32_e64 s[4:5], 0, v255
	s_and_saveexec_b64 s[6:7], s[4:5]
	s_cbranch_execz .LBB107_6
; %bb.5:
	v_mov_b32_e32 v0, 0
	ds_write_b32 v0, v0 offset:1408
.LBB107_6:
	s_or_b64 exec, exec, s[6:7]
	v_mov_b32_e32 v0, 16
	v_lshl_add_u32 v12, v255, 4, v0
	s_waitcnt lgkmcnt(0)
	; wave barrier
	s_waitcnt lgkmcnt(0)
	buffer_load_dword v2, v12, s[0:3], 0 offen
	buffer_load_dword v3, v12, s[0:3], 0 offen offset:4
	buffer_load_dword v4, v12, s[0:3], 0 offen offset:8
	;; [unrolled: 1-line block ×3, first 2 shown]
	s_waitcnt vmcnt(2)
	v_cmp_eq_f64_e32 vcc, 0, v[2:3]
	s_waitcnt vmcnt(0)
	v_cmp_eq_f64_e64 s[6:7], 0, v[4:5]
	s_and_b64 s[6:7], vcc, s[6:7]
	s_and_saveexec_b64 s[12:13], s[6:7]
	s_cbranch_execz .LBB107_10
; %bb.7:
	v_mov_b32_e32 v2, 0
	ds_read_b32 v0, v2 offset:1408
	v_add_u32_e32 v3, 1, v255
	s_waitcnt lgkmcnt(0)
	v_readfirstlane_b32 s6, v0
	s_cmp_eq_u32 s6, 0
	s_cselect_b64 s[18:19], -1, 0
	v_cmp_gt_i32_e32 vcc, s6, v3
	s_or_b64 s[18:19], s[18:19], vcc
	s_and_b64 exec, exec, s[18:19]
	s_cbranch_execz .LBB107_10
; %bb.8:
	s_mov_b64 s[18:19], 0
	v_mov_b32_e32 v4, s6
.LBB107_9:                              ; =>This Inner Loop Header: Depth=1
	ds_cmpst_rtn_b32 v4, v2, v4, v3 offset:1408
	s_waitcnt lgkmcnt(0)
	v_cmp_ne_u32_e32 vcc, 0, v4
	v_cmp_le_i32_e64 s[6:7], v4, v3
	s_and_b64 s[6:7], vcc, s[6:7]
	s_and_b64 s[6:7], exec, s[6:7]
	s_or_b64 s[18:19], s[6:7], s[18:19]
	s_andn2_b64 exec, exec, s[18:19]
	s_cbranch_execnz .LBB107_9
.LBB107_10:
	s_or_b64 exec, exec, s[12:13]
	v_mov_b32_e32 v3, 0
	s_waitcnt lgkmcnt(0)
	; wave barrier
	ds_read_b32 v2, v3 offset:1408
	s_and_saveexec_b64 s[6:7], s[4:5]
	s_cbranch_execz .LBB107_12
; %bb.11:
	s_lshl_b64 s[12:13], s[8:9], 2
	s_add_u32 s12, s14, s12
	s_addc_u32 s13, s15, s13
	s_waitcnt lgkmcnt(0)
	global_store_dword v3, v2, s[12:13]
.LBB107_12:
	s_or_b64 exec, exec, s[6:7]
	s_waitcnt lgkmcnt(0)
	v_cmp_ne_u32_e32 vcc, 0, v2
	s_mov_b64 s[6:7], 0
	s_cbranch_vccnz .LBB107_188
; %bb.13:
	buffer_load_dword v7, v12, s[0:3], 0 offen offset:4
	buffer_load_dword v6, v12, s[0:3], 0 offen
	buffer_load_dword v9, v12, s[0:3], 0 offen offset:12
	buffer_load_dword v8, v12, s[0:3], 0 offen offset:8
                                        ; implicit-def: $vgpr10_vgpr11
	s_waitcnt vmcnt(3)
	v_xor_b32_e32 v0, 0x80000000, v7
	s_waitcnt vmcnt(2)
	v_cmp_gt_f64_e32 vcc, 0, v[6:7]
	s_waitcnt vmcnt(1)
	v_xor_b32_e32 v4, 0x80000000, v9
	v_cndmask_b32_e32 v3, v7, v0, vcc
	s_waitcnt vmcnt(0)
	v_cmp_gt_f64_e32 vcc, 0, v[8:9]
	v_mov_b32_e32 v2, v6
	v_cndmask_b32_e32 v5, v9, v4, vcc
	v_mov_b32_e32 v4, v8
	v_cmp_ngt_f64_e32 vcc, v[2:3], v[4:5]
                                        ; implicit-def: $vgpr4_vgpr5
	s_and_saveexec_b64 s[6:7], vcc
	s_xor_b64 s[6:7], exec, s[6:7]
	s_cbranch_execz .LBB107_15
; %bb.14:
	v_div_scale_f64 v[2:3], s[12:13], v[8:9], v[8:9], v[6:7]
	v_rcp_f64_e32 v[4:5], v[2:3]
	v_div_scale_f64 v[10:11], vcc, v[6:7], v[8:9], v[6:7]
	v_fma_f64 v[14:15], -v[2:3], v[4:5], 1.0
	v_fmac_f64_e32 v[4:5], v[4:5], v[14:15]
	v_fma_f64 v[14:15], -v[2:3], v[4:5], 1.0
	v_fmac_f64_e32 v[4:5], v[4:5], v[14:15]
	v_mul_f64 v[14:15], v[10:11], v[4:5]
	v_fma_f64 v[2:3], -v[2:3], v[14:15], v[10:11]
	v_div_fmas_f64 v[2:3], v[2:3], v[4:5], v[14:15]
	v_div_fixup_f64 v[2:3], v[2:3], v[8:9], v[6:7]
	v_fmac_f64_e32 v[8:9], v[6:7], v[2:3]
	v_div_scale_f64 v[4:5], s[12:13], v[8:9], v[8:9], 1.0
	v_rcp_f64_e32 v[6:7], v[4:5]
	v_fma_f64 v[10:11], -v[4:5], v[6:7], 1.0
	v_fmac_f64_e32 v[6:7], v[6:7], v[10:11]
	v_fma_f64 v[10:11], -v[4:5], v[6:7], 1.0
	v_fmac_f64_e32 v[6:7], v[6:7], v[10:11]
	v_div_scale_f64 v[10:11], vcc, 1.0, v[8:9], 1.0
	v_mul_f64 v[14:15], v[10:11], v[6:7]
	v_fma_f64 v[4:5], -v[4:5], v[14:15], v[10:11]
	s_nop 1
	v_div_fmas_f64 v[4:5], v[4:5], v[6:7], v[14:15]
	v_div_fixup_f64 v[4:5], v[4:5], v[8:9], 1.0
	v_mul_f64 v[10:11], v[2:3], v[4:5]
	v_xor_b32_e32 v5, 0x80000000, v5
	v_xor_b32_e32 v3, 0x80000000, v11
	v_mov_b32_e32 v2, v10
                                        ; implicit-def: $vgpr6_vgpr7
                                        ; implicit-def: $vgpr8_vgpr9
.LBB107_15:
	s_andn2_saveexec_b64 s[6:7], s[6:7]
	s_cbranch_execz .LBB107_17
; %bb.16:
	v_div_scale_f64 v[2:3], s[12:13], v[6:7], v[6:7], v[8:9]
	v_rcp_f64_e32 v[4:5], v[2:3]
	v_div_scale_f64 v[10:11], vcc, v[8:9], v[6:7], v[8:9]
	v_fma_f64 v[14:15], -v[2:3], v[4:5], 1.0
	v_fmac_f64_e32 v[4:5], v[4:5], v[14:15]
	v_fma_f64 v[14:15], -v[2:3], v[4:5], 1.0
	v_fmac_f64_e32 v[4:5], v[4:5], v[14:15]
	v_mul_f64 v[14:15], v[10:11], v[4:5]
	v_fma_f64 v[2:3], -v[2:3], v[14:15], v[10:11]
	v_div_fmas_f64 v[2:3], v[2:3], v[4:5], v[14:15]
	v_div_fixup_f64 v[4:5], v[2:3], v[6:7], v[8:9]
	v_fmac_f64_e32 v[6:7], v[8:9], v[4:5]
	v_div_scale_f64 v[2:3], s[12:13], v[6:7], v[6:7], 1.0
	v_rcp_f64_e32 v[8:9], v[2:3]
	v_fma_f64 v[10:11], -v[2:3], v[8:9], 1.0
	v_fmac_f64_e32 v[8:9], v[8:9], v[10:11]
	v_fma_f64 v[10:11], -v[2:3], v[8:9], 1.0
	v_fmac_f64_e32 v[8:9], v[8:9], v[10:11]
	v_div_scale_f64 v[10:11], vcc, 1.0, v[6:7], 1.0
	v_mul_f64 v[14:15], v[10:11], v[8:9]
	v_fma_f64 v[2:3], -v[2:3], v[14:15], v[10:11]
	s_nop 1
	v_div_fmas_f64 v[2:3], v[2:3], v[8:9], v[14:15]
	v_div_fixup_f64 v[10:11], v[2:3], v[6:7], 1.0
	v_xor_b32_e32 v3, 0x80000000, v11
	v_mov_b32_e32 v2, v10
	v_mul_f64 v[4:5], v[4:5], -v[10:11]
.LBB107_17:
	s_or_b64 exec, exec, s[6:7]
	buffer_store_dword v11, v12, s[0:3], 0 offen offset:4
	buffer_store_dword v10, v12, s[0:3], 0 offen
	buffer_store_dword v5, v12, s[0:3], 0 offen offset:12
	buffer_store_dword v4, v12, s[0:3], 0 offen offset:8
	v_accvgpr_read_b32 v0, a130
	buffer_load_dword v11, v0, s[0:3], 0 offen offset:12
	buffer_load_dword v10, v0, s[0:3], 0 offen offset:8
	;; [unrolled: 1-line block ×3, first 2 shown]
	buffer_load_dword v8, v0, s[0:3], 0 offen
	v_xor_b32_e32 v5, 0x80000000, v5
	v_add_u32_e32 v6, 0x2c0, v1
	ds_write_b128 v1, v[2:5]
	s_waitcnt vmcnt(0)
	ds_write_b128 v1, v[8:11] offset:704
	s_waitcnt lgkmcnt(0)
	; wave barrier
	s_waitcnt lgkmcnt(0)
	s_and_saveexec_b64 s[6:7], s[4:5]
	s_cbranch_execz .LBB107_19
; %bb.18:
	buffer_load_dword v14, v12, s[0:3], 0 offen offset:8
	buffer_load_dword v15, v12, s[0:3], 0 offen offset:12
	buffer_load_dword v16, v12, s[0:3], 0 offen
	buffer_load_dword v17, v12, s[0:3], 0 offen offset:4
	ds_read_b128 v[2:5], v6
	v_mov_b32_e32 v0, 0
	ds_read_b128 v[8:11], v0 offset:16
	s_waitcnt vmcnt(2) lgkmcnt(1)
	v_mul_f64 v[18:19], v[4:5], v[14:15]
	v_mul_f64 v[14:15], v[2:3], v[14:15]
	s_waitcnt vmcnt(0)
	v_fmac_f64_e32 v[14:15], v[4:5], v[16:17]
	v_fma_f64 v[2:3], v[2:3], v[16:17], -v[18:19]
	v_add_f64 v[4:5], v[14:15], 0
	v_add_f64 v[2:3], v[2:3], 0
	s_waitcnt lgkmcnt(0)
	v_mul_f64 v[14:15], v[4:5], v[10:11]
	v_mul_f64 v[10:11], v[2:3], v[10:11]
	v_fma_f64 v[2:3], v[2:3], v[8:9], -v[14:15]
	v_fmac_f64_e32 v[10:11], v[4:5], v[8:9]
	buffer_store_dword v2, off, s[0:3], 0 offset:32
	buffer_store_dword v3, off, s[0:3], 0 offset:36
	;; [unrolled: 1-line block ×4, first 2 shown]
.LBB107_19:
	s_or_b64 exec, exec, s[6:7]
	v_accvgpr_read_b32 v0, a129
	s_waitcnt lgkmcnt(0)
	; wave barrier
	buffer_load_dword v2, v0, s[0:3], 0 offen
	buffer_load_dword v3, v0, s[0:3], 0 offen offset:4
	buffer_load_dword v4, v0, s[0:3], 0 offen offset:8
	;; [unrolled: 1-line block ×3, first 2 shown]
	v_cmp_gt_u32_e32 vcc, 2, v255
	s_waitcnt vmcnt(0)
	ds_write_b128 v6, v[2:5]
	s_waitcnt lgkmcnt(0)
	; wave barrier
	s_waitcnt lgkmcnt(0)
	s_and_saveexec_b64 s[6:7], vcc
	s_cbranch_execz .LBB107_23
; %bb.20:
	buffer_load_dword v8, v12, s[0:3], 0 offen offset:8
	buffer_load_dword v9, v12, s[0:3], 0 offen offset:12
	buffer_load_dword v10, v12, s[0:3], 0 offen
	buffer_load_dword v11, v12, s[0:3], 0 offen offset:4
	ds_read_b128 v[2:5], v6
	s_waitcnt vmcnt(2) lgkmcnt(0)
	v_mul_f64 v[12:13], v[4:5], v[8:9]
	v_mul_f64 v[8:9], v[2:3], v[8:9]
	s_waitcnt vmcnt(0)
	v_fma_f64 v[2:3], v[2:3], v[10:11], -v[12:13]
	v_fmac_f64_e32 v[8:9], v[4:5], v[10:11]
	v_add_f64 v[4:5], v[2:3], 0
	v_add_f64 v[2:3], v[8:9], 0
	s_and_saveexec_b64 s[12:13], s[4:5]
	s_cbranch_execz .LBB107_22
; %bb.21:
	buffer_load_dword v12, off, s[0:3], 0 offset:40
	buffer_load_dword v13, off, s[0:3], 0 offset:44
	;; [unrolled: 1-line block ×4, first 2 shown]
	v_mov_b32_e32 v0, 0
	ds_read_b128 v[8:11], v0 offset:720
	s_waitcnt vmcnt(2) lgkmcnt(0)
	v_mul_f64 v[16:17], v[8:9], v[12:13]
	v_mul_f64 v[12:13], v[10:11], v[12:13]
	s_waitcnt vmcnt(0)
	v_fmac_f64_e32 v[16:17], v[10:11], v[14:15]
	v_fma_f64 v[8:9], v[8:9], v[14:15], -v[12:13]
	v_add_f64 v[2:3], v[2:3], v[16:17]
	v_add_f64 v[4:5], v[4:5], v[8:9]
.LBB107_22:
	s_or_b64 exec, exec, s[12:13]
	v_mov_b32_e32 v0, 0
	ds_read_b128 v[8:11], v0 offset:32
	s_waitcnt lgkmcnt(0)
	v_mul_f64 v[12:13], v[2:3], v[10:11]
	v_mul_f64 v[10:11], v[4:5], v[10:11]
	v_fma_f64 v[4:5], v[4:5], v[8:9], -v[12:13]
	v_fmac_f64_e32 v[10:11], v[2:3], v[8:9]
	buffer_store_dword v5, off, s[0:3], 0 offset:52
	buffer_store_dword v4, off, s[0:3], 0 offset:48
	;; [unrolled: 1-line block ×4, first 2 shown]
.LBB107_23:
	s_or_b64 exec, exec, s[6:7]
	v_accvgpr_read_b32 v0, a128
	s_waitcnt lgkmcnt(0)
	; wave barrier
	buffer_load_dword v2, v0, s[0:3], 0 offen
	buffer_load_dword v3, v0, s[0:3], 0 offen offset:4
	buffer_load_dword v4, v0, s[0:3], 0 offen offset:8
	;; [unrolled: 1-line block ×3, first 2 shown]
	v_cmp_gt_u32_e32 vcc, 3, v255
	v_add_u32_e32 v7, -1, v255
	s_waitcnt vmcnt(0)
	ds_write_b128 v6, v[2:5]
	s_waitcnt lgkmcnt(0)
	; wave barrier
	s_waitcnt lgkmcnt(0)
	s_and_saveexec_b64 s[4:5], vcc
	s_cbranch_execz .LBB107_27
; %bb.24:
	v_pk_mov_b32 v[2:3], 0, 0
	v_add_u32_e32 v8, -1, v255
	v_add_u32_e32 v9, 0x2c0, v1
	v_add_u32_e32 v10, 16, v1
	s_mov_b64 s[6:7], 0
	v_pk_mov_b32 v[4:5], v[2:3], v[2:3] op_sel:[0,1]
.LBB107_25:                             ; =>This Inner Loop Header: Depth=1
	buffer_load_dword v16, v10, s[0:3], 0 offen offset:8
	buffer_load_dword v17, v10, s[0:3], 0 offen offset:12
	buffer_load_dword v18, v10, s[0:3], 0 offen
	buffer_load_dword v19, v10, s[0:3], 0 offen offset:4
	ds_read_b128 v[12:15], v9
	v_add_u32_e32 v8, 1, v8
	v_cmp_lt_u32_e32 vcc, 1, v8
	v_add_u32_e32 v9, 16, v9
	v_add_u32_e32 v10, 16, v10
	s_or_b64 s[6:7], vcc, s[6:7]
	s_waitcnt vmcnt(2) lgkmcnt(0)
	v_mul_f64 v[20:21], v[14:15], v[16:17]
	v_mul_f64 v[16:17], v[12:13], v[16:17]
	s_waitcnt vmcnt(0)
	v_fma_f64 v[12:13], v[12:13], v[18:19], -v[20:21]
	v_fmac_f64_e32 v[16:17], v[14:15], v[18:19]
	v_add_f64 v[4:5], v[4:5], v[12:13]
	v_add_f64 v[2:3], v[2:3], v[16:17]
	s_andn2_b64 exec, exec, s[6:7]
	s_cbranch_execnz .LBB107_25
; %bb.26:
	s_or_b64 exec, exec, s[6:7]
	v_mov_b32_e32 v0, 0
	ds_read_b128 v[8:11], v0 offset:48
	s_waitcnt lgkmcnt(0)
	v_mul_f64 v[12:13], v[2:3], v[10:11]
	v_mul_f64 v[10:11], v[4:5], v[10:11]
	v_fma_f64 v[4:5], v[4:5], v[8:9], -v[12:13]
	v_fmac_f64_e32 v[10:11], v[2:3], v[8:9]
	buffer_store_dword v5, off, s[0:3], 0 offset:68
	buffer_store_dword v4, off, s[0:3], 0 offset:64
	buffer_store_dword v11, off, s[0:3], 0 offset:76
	buffer_store_dword v10, off, s[0:3], 0 offset:72
.LBB107_27:
	s_or_b64 exec, exec, s[4:5]
	v_accvgpr_read_b32 v0, a127
	s_waitcnt lgkmcnt(0)
	; wave barrier
	buffer_load_dword v2, v0, s[0:3], 0 offen
	buffer_load_dword v3, v0, s[0:3], 0 offen offset:4
	buffer_load_dword v4, v0, s[0:3], 0 offen offset:8
	buffer_load_dword v5, v0, s[0:3], 0 offen offset:12
	v_cmp_gt_u32_e32 vcc, 4, v255
	s_waitcnt vmcnt(0)
	ds_write_b128 v6, v[2:5]
	s_waitcnt lgkmcnt(0)
	; wave barrier
	s_waitcnt lgkmcnt(0)
	s_and_saveexec_b64 s[4:5], vcc
	s_cbranch_execz .LBB107_31
; %bb.28:
	v_pk_mov_b32 v[2:3], 0, 0
	v_add_u32_e32 v8, -1, v255
	v_add_u32_e32 v9, 0x2c0, v1
	v_add_u32_e32 v10, 16, v1
	s_mov_b64 s[6:7], 0
	v_pk_mov_b32 v[4:5], v[2:3], v[2:3] op_sel:[0,1]
.LBB107_29:                             ; =>This Inner Loop Header: Depth=1
	buffer_load_dword v16, v10, s[0:3], 0 offen offset:8
	buffer_load_dword v17, v10, s[0:3], 0 offen offset:12
	buffer_load_dword v18, v10, s[0:3], 0 offen
	buffer_load_dword v19, v10, s[0:3], 0 offen offset:4
	ds_read_b128 v[12:15], v9
	v_add_u32_e32 v8, 1, v8
	v_cmp_lt_u32_e32 vcc, 2, v8
	v_add_u32_e32 v9, 16, v9
	v_add_u32_e32 v10, 16, v10
	s_or_b64 s[6:7], vcc, s[6:7]
	s_waitcnt vmcnt(2) lgkmcnt(0)
	v_mul_f64 v[20:21], v[14:15], v[16:17]
	v_mul_f64 v[16:17], v[12:13], v[16:17]
	s_waitcnt vmcnt(0)
	v_fma_f64 v[12:13], v[12:13], v[18:19], -v[20:21]
	v_fmac_f64_e32 v[16:17], v[14:15], v[18:19]
	v_add_f64 v[4:5], v[4:5], v[12:13]
	v_add_f64 v[2:3], v[2:3], v[16:17]
	s_andn2_b64 exec, exec, s[6:7]
	s_cbranch_execnz .LBB107_29
; %bb.30:
	s_or_b64 exec, exec, s[6:7]
	v_mov_b32_e32 v0, 0
	ds_read_b128 v[8:11], v0 offset:64
	s_waitcnt lgkmcnt(0)
	v_mul_f64 v[12:13], v[2:3], v[10:11]
	v_mul_f64 v[10:11], v[4:5], v[10:11]
	v_fma_f64 v[4:5], v[4:5], v[8:9], -v[12:13]
	v_fmac_f64_e32 v[10:11], v[2:3], v[8:9]
	buffer_store_dword v5, off, s[0:3], 0 offset:84
	buffer_store_dword v4, off, s[0:3], 0 offset:80
	buffer_store_dword v11, off, s[0:3], 0 offset:92
	buffer_store_dword v10, off, s[0:3], 0 offset:88
.LBB107_31:
	s_or_b64 exec, exec, s[4:5]
	v_accvgpr_read_b32 v0, a126
	s_waitcnt lgkmcnt(0)
	; wave barrier
	buffer_load_dword v2, v0, s[0:3], 0 offen
	buffer_load_dword v3, v0, s[0:3], 0 offen offset:4
	buffer_load_dword v4, v0, s[0:3], 0 offen offset:8
	buffer_load_dword v5, v0, s[0:3], 0 offen offset:12
	v_cmp_gt_u32_e32 vcc, 5, v255
	;; [unrolled: 58-line block ×19, first 2 shown]
	s_waitcnt vmcnt(0)
	ds_write_b128 v6, v[2:5]
	s_waitcnt lgkmcnt(0)
	; wave barrier
	s_waitcnt lgkmcnt(0)
	s_and_saveexec_b64 s[4:5], vcc
	s_cbranch_execz .LBB107_103
; %bb.100:
	v_pk_mov_b32 v[2:3], 0, 0
	v_add_u32_e32 v8, -1, v255
	v_add_u32_e32 v9, 0x2c0, v1
	v_add_u32_e32 v10, 16, v1
	s_mov_b64 s[6:7], 0
	v_pk_mov_b32 v[4:5], v[2:3], v[2:3] op_sel:[0,1]
.LBB107_101:                            ; =>This Inner Loop Header: Depth=1
	buffer_load_dword v16, v10, s[0:3], 0 offen offset:8
	buffer_load_dword v17, v10, s[0:3], 0 offen offset:12
	buffer_load_dword v18, v10, s[0:3], 0 offen
	buffer_load_dword v19, v10, s[0:3], 0 offen offset:4
	ds_read_b128 v[12:15], v9
	v_add_u32_e32 v8, 1, v8
	v_cmp_lt_u32_e32 vcc, 20, v8
	v_add_u32_e32 v9, 16, v9
	v_add_u32_e32 v10, 16, v10
	s_or_b64 s[6:7], vcc, s[6:7]
	s_waitcnt vmcnt(2) lgkmcnt(0)
	v_mul_f64 v[20:21], v[14:15], v[16:17]
	v_mul_f64 v[16:17], v[12:13], v[16:17]
	s_waitcnt vmcnt(0)
	v_fma_f64 v[12:13], v[12:13], v[18:19], -v[20:21]
	v_fmac_f64_e32 v[16:17], v[14:15], v[18:19]
	v_add_f64 v[4:5], v[4:5], v[12:13]
	v_add_f64 v[2:3], v[2:3], v[16:17]
	s_andn2_b64 exec, exec, s[6:7]
	s_cbranch_execnz .LBB107_101
; %bb.102:
	s_or_b64 exec, exec, s[6:7]
	v_mov_b32_e32 v0, 0
	ds_read_b128 v[8:11], v0 offset:352
	s_waitcnt lgkmcnt(0)
	v_mul_f64 v[12:13], v[2:3], v[10:11]
	v_mul_f64 v[10:11], v[4:5], v[10:11]
	v_fma_f64 v[4:5], v[4:5], v[8:9], -v[12:13]
	v_fmac_f64_e32 v[10:11], v[2:3], v[8:9]
	buffer_store_dword v5, off, s[0:3], 0 offset:372
	buffer_store_dword v4, off, s[0:3], 0 offset:368
	buffer_store_dword v11, off, s[0:3], 0 offset:380
	buffer_store_dword v10, off, s[0:3], 0 offset:376
.LBB107_103:
	s_or_b64 exec, exec, s[4:5]
	v_accvgpr_read_b32 v0, a108
	s_waitcnt lgkmcnt(0)
	; wave barrier
	buffer_load_dword v2, v0, s[0:3], 0 offen
	buffer_load_dword v3, v0, s[0:3], 0 offen offset:4
	buffer_load_dword v4, v0, s[0:3], 0 offen offset:8
	buffer_load_dword v5, v0, s[0:3], 0 offen offset:12
	v_cmp_gt_u32_e32 vcc, 23, v255
	s_waitcnt vmcnt(0)
	ds_write_b128 v6, v[2:5]
	s_waitcnt lgkmcnt(0)
	; wave barrier
	s_waitcnt lgkmcnt(0)
	s_and_saveexec_b64 s[4:5], vcc
	s_cbranch_execz .LBB107_107
; %bb.104:
	v_pk_mov_b32 v[2:3], 0, 0
	v_add_u32_e32 v8, -1, v255
	v_add_u32_e32 v9, 0x2c0, v1
	v_add_u32_e32 v10, 16, v1
	s_mov_b64 s[6:7], 0
	v_pk_mov_b32 v[4:5], v[2:3], v[2:3] op_sel:[0,1]
.LBB107_105:                            ; =>This Inner Loop Header: Depth=1
	buffer_load_dword v16, v10, s[0:3], 0 offen offset:8
	buffer_load_dword v17, v10, s[0:3], 0 offen offset:12
	buffer_load_dword v18, v10, s[0:3], 0 offen
	buffer_load_dword v19, v10, s[0:3], 0 offen offset:4
	ds_read_b128 v[12:15], v9
	v_add_u32_e32 v8, 1, v8
	v_cmp_lt_u32_e32 vcc, 21, v8
	v_add_u32_e32 v9, 16, v9
	v_add_u32_e32 v10, 16, v10
	s_or_b64 s[6:7], vcc, s[6:7]
	s_waitcnt vmcnt(2) lgkmcnt(0)
	v_mul_f64 v[20:21], v[14:15], v[16:17]
	v_mul_f64 v[16:17], v[12:13], v[16:17]
	s_waitcnt vmcnt(0)
	v_fma_f64 v[12:13], v[12:13], v[18:19], -v[20:21]
	v_fmac_f64_e32 v[16:17], v[14:15], v[18:19]
	v_add_f64 v[4:5], v[4:5], v[12:13]
	v_add_f64 v[2:3], v[2:3], v[16:17]
	s_andn2_b64 exec, exec, s[6:7]
	s_cbranch_execnz .LBB107_105
; %bb.106:
	s_or_b64 exec, exec, s[6:7]
	v_mov_b32_e32 v0, 0
	ds_read_b128 v[8:11], v0 offset:368
	s_waitcnt lgkmcnt(0)
	v_mul_f64 v[12:13], v[2:3], v[10:11]
	v_mul_f64 v[10:11], v[4:5], v[10:11]
	v_fma_f64 v[4:5], v[4:5], v[8:9], -v[12:13]
	v_fmac_f64_e32 v[10:11], v[2:3], v[8:9]
	buffer_store_dword v5, off, s[0:3], 0 offset:388
	buffer_store_dword v4, off, s[0:3], 0 offset:384
	buffer_store_dword v11, off, s[0:3], 0 offset:396
	buffer_store_dword v10, off, s[0:3], 0 offset:392
.LBB107_107:
	s_or_b64 exec, exec, s[4:5]
	v_accvgpr_read_b32 v0, a107
	s_waitcnt lgkmcnt(0)
	; wave barrier
	buffer_load_dword v2, v0, s[0:3], 0 offen
	buffer_load_dword v3, v0, s[0:3], 0 offen offset:4
	buffer_load_dword v4, v0, s[0:3], 0 offen offset:8
	buffer_load_dword v5, v0, s[0:3], 0 offen offset:12
	v_cmp_gt_u32_e32 vcc, 24, v255
	;; [unrolled: 58-line block ×20, first 2 shown]
	s_waitcnt vmcnt(0)
	ds_write_b128 v6, v[2:5]
	s_waitcnt lgkmcnt(0)
	; wave barrier
	s_waitcnt lgkmcnt(0)
	s_and_saveexec_b64 s[4:5], vcc
	s_cbranch_execz .LBB107_183
; %bb.180:
	v_pk_mov_b32 v[2:3], 0, 0
	v_add_u32_e32 v8, -1, v255
	v_add_u32_e32 v9, 0x2c0, v1
	v_add_u32_e32 v10, 16, v1
	s_mov_b64 s[6:7], 0
	v_pk_mov_b32 v[4:5], v[2:3], v[2:3] op_sel:[0,1]
.LBB107_181:                            ; =>This Inner Loop Header: Depth=1
	buffer_load_dword v16, v10, s[0:3], 0 offen offset:8
	buffer_load_dword v17, v10, s[0:3], 0 offen offset:12
	buffer_load_dword v18, v10, s[0:3], 0 offen
	buffer_load_dword v19, v10, s[0:3], 0 offen offset:4
	ds_read_b128 v[12:15], v9
	v_add_u32_e32 v8, 1, v8
	v_cmp_lt_u32_e32 vcc, 40, v8
	v_add_u32_e32 v9, 16, v9
	v_add_u32_e32 v10, 16, v10
	s_or_b64 s[6:7], vcc, s[6:7]
	s_waitcnt vmcnt(2) lgkmcnt(0)
	v_mul_f64 v[20:21], v[14:15], v[16:17]
	v_mul_f64 v[16:17], v[12:13], v[16:17]
	s_waitcnt vmcnt(0)
	v_fma_f64 v[12:13], v[12:13], v[18:19], -v[20:21]
	v_fmac_f64_e32 v[16:17], v[14:15], v[18:19]
	v_add_f64 v[4:5], v[4:5], v[12:13]
	v_add_f64 v[2:3], v[2:3], v[16:17]
	s_andn2_b64 exec, exec, s[6:7]
	s_cbranch_execnz .LBB107_181
; %bb.182:
	s_or_b64 exec, exec, s[6:7]
	v_mov_b32_e32 v0, 0
	ds_read_b128 v[8:11], v0 offset:672
	s_waitcnt lgkmcnt(0)
	v_mul_f64 v[12:13], v[2:3], v[10:11]
	v_mul_f64 v[10:11], v[4:5], v[10:11]
	v_fma_f64 v[4:5], v[4:5], v[8:9], -v[12:13]
	v_fmac_f64_e32 v[10:11], v[2:3], v[8:9]
	buffer_store_dword v5, off, s[0:3], 0 offset:692
	buffer_store_dword v4, off, s[0:3], 0 offset:688
	;; [unrolled: 1-line block ×4, first 2 shown]
.LBB107_183:
	s_or_b64 exec, exec, s[4:5]
	v_accvgpr_read_b32 v0, a88
	s_waitcnt lgkmcnt(0)
	; wave barrier
	buffer_load_dword v2, v0, s[0:3], 0 offen
	buffer_load_dword v3, v0, s[0:3], 0 offen offset:4
	buffer_load_dword v4, v0, s[0:3], 0 offen offset:8
	;; [unrolled: 1-line block ×3, first 2 shown]
	v_cmp_ne_u32_e32 vcc, 43, v255
	s_waitcnt vmcnt(0)
	ds_write_b128 v6, v[2:5]
	s_waitcnt lgkmcnt(0)
	; wave barrier
	s_waitcnt lgkmcnt(0)
	s_and_saveexec_b64 s[4:5], vcc
	s_cbranch_execz .LBB107_187
; %bb.184:
	v_pk_mov_b32 v[2:3], 0, 0
	v_add_u32_e32 v6, 0x2c0, v1
	v_add_u32_e32 v1, 16, v1
	s_mov_b64 s[6:7], 0
	v_pk_mov_b32 v[4:5], v[2:3], v[2:3] op_sel:[0,1]
.LBB107_185:                            ; =>This Inner Loop Header: Depth=1
	buffer_load_dword v12, v1, s[0:3], 0 offen offset:8
	buffer_load_dword v13, v1, s[0:3], 0 offen offset:12
	buffer_load_dword v14, v1, s[0:3], 0 offen
	buffer_load_dword v15, v1, s[0:3], 0 offen offset:4
	ds_read_b128 v[8:11], v6
	v_add_u32_e32 v7, 1, v7
	v_cmp_lt_u32_e32 vcc, 41, v7
	v_add_u32_e32 v6, 16, v6
	v_add_u32_e32 v1, 16, v1
	s_or_b64 s[6:7], vcc, s[6:7]
	s_waitcnt vmcnt(2) lgkmcnt(0)
	v_mul_f64 v[16:17], v[10:11], v[12:13]
	v_mul_f64 v[12:13], v[8:9], v[12:13]
	s_waitcnt vmcnt(0)
	v_fma_f64 v[8:9], v[8:9], v[14:15], -v[16:17]
	v_fmac_f64_e32 v[12:13], v[10:11], v[14:15]
	v_add_f64 v[4:5], v[4:5], v[8:9]
	v_add_f64 v[2:3], v[2:3], v[12:13]
	s_andn2_b64 exec, exec, s[6:7]
	s_cbranch_execnz .LBB107_185
; %bb.186:
	s_or_b64 exec, exec, s[6:7]
	v_mov_b32_e32 v0, 0
	ds_read_b128 v[6:9], v0 offset:688
	s_waitcnt lgkmcnt(0)
	v_mul_f64 v[10:11], v[2:3], v[8:9]
	v_mul_f64 v[8:9], v[4:5], v[8:9]
	v_fma_f64 v[4:5], v[4:5], v[6:7], -v[10:11]
	v_fmac_f64_e32 v[8:9], v[2:3], v[6:7]
	buffer_store_dword v5, off, s[0:3], 0 offset:708
	buffer_store_dword v4, off, s[0:3], 0 offset:704
	;; [unrolled: 1-line block ×4, first 2 shown]
.LBB107_187:
	s_or_b64 exec, exec, s[4:5]
	s_mov_b64 s[6:7], -1
	s_waitcnt lgkmcnt(0)
	; wave barrier
.LBB107_188:
	s_and_b64 vcc, exec, s[6:7]
	s_cbranch_vccz .LBB107_190
; %bb.189:
	s_lshl_b64 s[4:5], s[8:9], 2
	s_add_u32 s4, s14, s4
	s_addc_u32 s5, s15, s5
	v_mov_b32_e32 v0, 0
	global_load_dword v0, v0, s[4:5]
	s_waitcnt vmcnt(0)
	v_cmp_ne_u32_e32 vcc, 0, v0
	s_cbranch_vccz .LBB107_191
.LBB107_190:
	s_endpgm
.LBB107_191:
	v_mov_b32_e32 v0, 0x2c0
	v_lshl_add_u32 v0, v255, 4, v0
	v_accvgpr_write_b32 a132, v0
	v_cmp_eq_u32_e32 vcc, 43, v255
	s_and_saveexec_b64 s[4:5], vcc
	s_cbranch_execz .LBB107_193
; %bb.192:
	v_accvgpr_read_b32 v0, a89
	buffer_load_dword v2, v0, s[0:3], 0 offen
	buffer_load_dword v3, v0, s[0:3], 0 offen offset:4
	buffer_load_dword v4, v0, s[0:3], 0 offen offset:8
	;; [unrolled: 1-line block ×3, first 2 shown]
	v_mov_b32_e32 v0, 0
	v_accvgpr_read_b32 v1, a132
	buffer_store_dword v0, off, s[0:3], 0 offset:688
	buffer_store_dword v0, off, s[0:3], 0 offset:692
	;; [unrolled: 1-line block ×4, first 2 shown]
	s_waitcnt vmcnt(4)
	ds_write_b128 v1, v[2:5]
.LBB107_193:
	s_or_b64 exec, exec, s[4:5]
	s_waitcnt lgkmcnt(0)
	; wave barrier
	s_waitcnt lgkmcnt(0)
	buffer_load_dword v8, off, s[0:3], 0 offset:712
	buffer_load_dword v9, off, s[0:3], 0 offset:716
	;; [unrolled: 1-line block ×8, first 2 shown]
	v_mov_b32_e32 v2, 0
	ds_read_b128 v[4:7], v2 offset:1392
	v_cmp_lt_u32_e32 vcc, 41, v255
	s_waitcnt vmcnt(6) lgkmcnt(0)
	v_mul_f64 v[16:17], v[4:5], v[8:9]
	v_mul_f64 v[8:9], v[6:7], v[8:9]
	s_waitcnt vmcnt(4)
	v_fma_f64 v[4:5], v[4:5], v[10:11], -v[8:9]
	v_fmac_f64_e32 v[16:17], v[6:7], v[10:11]
	v_add_f64 v[4:5], v[4:5], 0
	v_add_f64 v[6:7], v[16:17], 0
	s_waitcnt vmcnt(2)
	v_add_f64 v[4:5], v[12:13], -v[4:5]
	s_waitcnt vmcnt(0)
	v_add_f64 v[6:7], v[14:15], -v[6:7]
	buffer_store_dword v4, off, s[0:3], 0 offset:688
	buffer_store_dword v5, off, s[0:3], 0 offset:692
	;; [unrolled: 1-line block ×4, first 2 shown]
	s_and_saveexec_b64 s[4:5], vcc
	s_cbranch_execz .LBB107_195
; %bb.194:
	v_accvgpr_read_b32 v0, a90
	buffer_load_dword v4, v0, s[0:3], 0 offen
	buffer_load_dword v5, v0, s[0:3], 0 offen offset:4
	buffer_load_dword v6, v0, s[0:3], 0 offen offset:8
	;; [unrolled: 1-line block ×3, first 2 shown]
	v_accvgpr_read_b32 v0, a132
	buffer_store_dword v2, off, s[0:3], 0 offset:672
	buffer_store_dword v2, off, s[0:3], 0 offset:676
	;; [unrolled: 1-line block ×4, first 2 shown]
	s_waitcnt vmcnt(4)
	ds_write_b128 v0, v[4:7]
.LBB107_195:
	s_or_b64 exec, exec, s[4:5]
	s_waitcnt lgkmcnt(0)
	; wave barrier
	s_waitcnt lgkmcnt(0)
	buffer_load_dword v12, off, s[0:3], 0 offset:696
	buffer_load_dword v13, off, s[0:3], 0 offset:700
	;; [unrolled: 1-line block ×12, first 2 shown]
	ds_read_b128 v[4:7], v2 offset:1376
	ds_read_b128 v[8:11], v2 offset:1392
	v_cmp_lt_u32_e32 vcc, 40, v255
	s_waitcnt vmcnt(10) lgkmcnt(1)
	v_mul_f64 v[2:3], v[4:5], v[12:13]
	v_mul_f64 v[12:13], v[6:7], v[12:13]
	s_waitcnt vmcnt(8) lgkmcnt(0)
	v_mul_f64 v[24:25], v[8:9], v[14:15]
	v_mul_f64 v[14:15], v[10:11], v[14:15]
	s_waitcnt vmcnt(6)
	v_fma_f64 v[4:5], v[4:5], v[16:17], -v[12:13]
	v_fmac_f64_e32 v[2:3], v[6:7], v[16:17]
	s_waitcnt vmcnt(4)
	v_fma_f64 v[6:7], v[8:9], v[18:19], -v[14:15]
	v_add_f64 v[4:5], v[4:5], 0
	v_fmac_f64_e32 v[24:25], v[10:11], v[18:19]
	v_add_f64 v[2:3], v[2:3], 0
	v_add_f64 v[4:5], v[4:5], v[6:7]
	;; [unrolled: 1-line block ×3, first 2 shown]
	s_waitcnt vmcnt(2)
	v_add_f64 v[4:5], v[20:21], -v[4:5]
	s_waitcnt vmcnt(0)
	v_add_f64 v[2:3], v[22:23], -v[2:3]
	buffer_store_dword v4, off, s[0:3], 0 offset:672
	buffer_store_dword v5, off, s[0:3], 0 offset:676
	;; [unrolled: 1-line block ×4, first 2 shown]
	s_and_saveexec_b64 s[4:5], vcc
	s_cbranch_execz .LBB107_197
; %bb.196:
	v_accvgpr_read_b32 v0, a91
	buffer_load_dword v2, v0, s[0:3], 0 offen
	buffer_load_dword v3, v0, s[0:3], 0 offen offset:4
	buffer_load_dword v4, v0, s[0:3], 0 offen offset:8
	;; [unrolled: 1-line block ×3, first 2 shown]
	v_mov_b32_e32 v0, 0
	v_accvgpr_read_b32 v1, a132
	buffer_store_dword v0, off, s[0:3], 0 offset:656
	buffer_store_dword v0, off, s[0:3], 0 offset:660
	;; [unrolled: 1-line block ×4, first 2 shown]
	s_waitcnt vmcnt(4)
	ds_write_b128 v1, v[2:5]
.LBB107_197:
	s_or_b64 exec, exec, s[4:5]
	v_mov_b32_e32 v2, 0
	s_waitcnt lgkmcnt(0)
	; wave barrier
	s_waitcnt lgkmcnt(0)
	ds_read_b128 v[4:7], v2 offset:1360
	ds_read_b128 v[8:11], v2 offset:1376
	ds_read_b128 v[12:15], v2 offset:1392
	buffer_load_dword v16, off, s[0:3], 0 offset:656
	buffer_load_dword v17, off, s[0:3], 0 offset:660
	;; [unrolled: 1-line block ×16, first 2 shown]
	v_cmp_lt_u32_e32 vcc, 39, v255
	s_waitcnt vmcnt(8) lgkmcnt(2)
	v_mul_f64 v[32:33], v[4:5], v[22:23]
	v_fmac_f64_e32 v[32:33], v[6:7], v[20:21]
	v_mul_f64 v[6:7], v[6:7], v[22:23]
	v_fma_f64 v[4:5], v[4:5], v[20:21], -v[6:7]
	s_waitcnt vmcnt(4) lgkmcnt(1)
	v_mul_f64 v[6:7], v[10:11], v[26:27]
	v_mul_f64 v[34:35], v[8:9], v[26:27]
	v_add_f64 v[4:5], v[4:5], 0
	v_fma_f64 v[6:7], v[8:9], v[24:25], -v[6:7]
	v_add_f64 v[32:33], v[32:33], 0
	v_fmac_f64_e32 v[34:35], v[10:11], v[24:25]
	v_add_f64 v[4:5], v[4:5], v[6:7]
	s_waitcnt vmcnt(0) lgkmcnt(0)
	v_mul_f64 v[6:7], v[14:15], v[30:31]
	v_add_f64 v[32:33], v[32:33], v[34:35]
	v_mul_f64 v[34:35], v[12:13], v[30:31]
	v_fma_f64 v[6:7], v[12:13], v[28:29], -v[6:7]
	v_fmac_f64_e32 v[34:35], v[14:15], v[28:29]
	v_add_f64 v[4:5], v[4:5], v[6:7]
	v_add_f64 v[32:33], v[32:33], v[34:35]
	v_add_f64 v[4:5], v[16:17], -v[4:5]
	v_add_f64 v[6:7], v[18:19], -v[32:33]
	buffer_store_dword v4, off, s[0:3], 0 offset:656
	buffer_store_dword v5, off, s[0:3], 0 offset:660
	;; [unrolled: 1-line block ×4, first 2 shown]
	s_and_saveexec_b64 s[4:5], vcc
	s_cbranch_execz .LBB107_199
; %bb.198:
	v_accvgpr_read_b32 v0, a92
	buffer_load_dword v4, v0, s[0:3], 0 offen
	buffer_load_dword v5, v0, s[0:3], 0 offen offset:4
	buffer_load_dword v6, v0, s[0:3], 0 offen offset:8
	;; [unrolled: 1-line block ×3, first 2 shown]
	v_accvgpr_read_b32 v0, a132
	buffer_store_dword v2, off, s[0:3], 0 offset:640
	buffer_store_dword v2, off, s[0:3], 0 offset:644
	;; [unrolled: 1-line block ×4, first 2 shown]
	s_waitcnt vmcnt(4)
	ds_write_b128 v0, v[4:7]
.LBB107_199:
	s_or_b64 exec, exec, s[4:5]
	s_waitcnt lgkmcnt(0)
	; wave barrier
	s_waitcnt lgkmcnt(0)
	buffer_load_dword v20, off, s[0:3], 0 offset:664
	buffer_load_dword v21, off, s[0:3], 0 offset:668
	;; [unrolled: 1-line block ×20, first 2 shown]
	ds_read_b128 v[4:7], v2 offset:1344
	ds_read_b128 v[8:11], v2 offset:1360
	;; [unrolled: 1-line block ×4, first 2 shown]
	v_cmp_lt_u32_e32 vcc, 38, v255
	s_waitcnt vmcnt(18) lgkmcnt(3)
	v_mul_f64 v[2:3], v[4:5], v[20:21]
	v_mul_f64 v[20:21], v[6:7], v[20:21]
	s_waitcnt vmcnt(16) lgkmcnt(2)
	v_mul_f64 v[40:41], v[8:9], v[22:23]
	v_mul_f64 v[22:23], v[10:11], v[22:23]
	s_waitcnt vmcnt(14) lgkmcnt(1)
	v_mul_f64 v[42:43], v[12:13], v[24:25]
	v_mul_f64 v[24:25], v[14:15], v[24:25]
	s_waitcnt vmcnt(12) lgkmcnt(0)
	v_mul_f64 v[44:45], v[16:17], v[26:27]
	v_mul_f64 v[26:27], v[18:19], v[26:27]
	s_waitcnt vmcnt(10)
	v_fma_f64 v[4:5], v[4:5], v[28:29], -v[20:21]
	v_fmac_f64_e32 v[2:3], v[6:7], v[28:29]
	s_waitcnt vmcnt(8)
	v_fma_f64 v[6:7], v[8:9], v[30:31], -v[22:23]
	v_add_f64 v[4:5], v[4:5], 0
	v_fmac_f64_e32 v[40:41], v[10:11], v[30:31]
	s_waitcnt vmcnt(6)
	v_fma_f64 v[8:9], v[12:13], v[32:33], -v[24:25]
	v_add_f64 v[2:3], v[2:3], 0
	v_add_f64 v[4:5], v[4:5], v[6:7]
	v_fmac_f64_e32 v[42:43], v[14:15], v[32:33]
	s_waitcnt vmcnt(4)
	v_fma_f64 v[10:11], v[16:17], v[34:35], -v[26:27]
	v_add_f64 v[2:3], v[2:3], v[40:41]
	v_add_f64 v[4:5], v[4:5], v[8:9]
	v_fmac_f64_e32 v[44:45], v[18:19], v[34:35]
	v_add_f64 v[2:3], v[2:3], v[42:43]
	v_add_f64 v[4:5], v[4:5], v[10:11]
	;; [unrolled: 1-line block ×3, first 2 shown]
	s_waitcnt vmcnt(2)
	v_add_f64 v[4:5], v[36:37], -v[4:5]
	s_waitcnt vmcnt(0)
	v_add_f64 v[2:3], v[38:39], -v[2:3]
	buffer_store_dword v4, off, s[0:3], 0 offset:640
	buffer_store_dword v5, off, s[0:3], 0 offset:644
	;; [unrolled: 1-line block ×4, first 2 shown]
	s_and_saveexec_b64 s[4:5], vcc
	s_cbranch_execz .LBB107_201
; %bb.200:
	v_accvgpr_read_b32 v0, a93
	buffer_load_dword v2, v0, s[0:3], 0 offen
	buffer_load_dword v3, v0, s[0:3], 0 offen offset:4
	buffer_load_dword v4, v0, s[0:3], 0 offen offset:8
	;; [unrolled: 1-line block ×3, first 2 shown]
	v_mov_b32_e32 v0, 0
	v_accvgpr_read_b32 v1, a132
	buffer_store_dword v0, off, s[0:3], 0 offset:624
	buffer_store_dword v0, off, s[0:3], 0 offset:628
	;; [unrolled: 1-line block ×4, first 2 shown]
	s_waitcnt vmcnt(4)
	ds_write_b128 v1, v[2:5]
.LBB107_201:
	s_or_b64 exec, exec, s[4:5]
	s_waitcnt lgkmcnt(0)
	; wave barrier
	s_waitcnt lgkmcnt(0)
	buffer_load_dword v24, off, s[0:3], 0 offset:648
	buffer_load_dword v25, off, s[0:3], 0 offset:652
	;; [unrolled: 1-line block ×24, first 2 shown]
	v_mov_b32_e32 v2, 0
	ds_read_b128 v[4:7], v2 offset:1328
	ds_read_b128 v[8:11], v2 offset:1344
	;; [unrolled: 1-line block ×5, first 2 shown]
	v_cmp_lt_u32_e32 vcc, 37, v255
	s_waitcnt vmcnt(22) lgkmcnt(4)
	v_mul_f64 v[48:49], v[4:5], v[24:25]
	v_mul_f64 v[24:25], v[6:7], v[24:25]
	s_waitcnt vmcnt(20) lgkmcnt(3)
	v_mul_f64 v[50:51], v[8:9], v[26:27]
	v_mul_f64 v[26:27], v[10:11], v[26:27]
	;; [unrolled: 3-line block ×4, first 2 shown]
	s_waitcnt vmcnt(13) lgkmcnt(0)
	v_mul_f64 v[56:57], v[20:21], v[30:31]
	s_waitcnt vmcnt(11)
	v_fma_f64 v[4:5], v[4:5], v[36:37], -v[24:25]
	v_fmac_f64_e32 v[48:49], v[6:7], v[36:37]
	s_waitcnt vmcnt(9)
	v_fma_f64 v[6:7], v[8:9], v[38:39], -v[26:27]
	v_add_f64 v[4:5], v[4:5], 0
	v_fmac_f64_e32 v[50:51], v[10:11], v[38:39]
	s_waitcnt vmcnt(7)
	v_fmac_f64_e32 v[52:53], v[14:15], v[40:41]
	v_fma_f64 v[8:9], v[12:13], v[40:41], -v[28:29]
	v_add_f64 v[14:15], v[48:49], 0
	v_add_f64 v[4:5], v[4:5], v[6:7]
	v_mul_f64 v[30:31], v[22:23], v[30:31]
	s_waitcnt vmcnt(5)
	v_fma_f64 v[10:11], v[16:17], v[42:43], -v[34:35]
	v_add_f64 v[14:15], v[14:15], v[50:51]
	v_add_f64 v[4:5], v[4:5], v[8:9]
	v_fmac_f64_e32 v[54:55], v[18:19], v[42:43]
	s_waitcnt vmcnt(4)
	v_fma_f64 v[12:13], v[20:21], v[32:33], -v[30:31]
	v_add_f64 v[6:7], v[14:15], v[52:53]
	v_add_f64 v[4:5], v[4:5], v[10:11]
	v_fmac_f64_e32 v[56:57], v[22:23], v[32:33]
	v_add_f64 v[6:7], v[6:7], v[54:55]
	v_add_f64 v[4:5], v[4:5], v[12:13]
	;; [unrolled: 1-line block ×3, first 2 shown]
	s_waitcnt vmcnt(2)
	v_add_f64 v[4:5], v[44:45], -v[4:5]
	s_waitcnt vmcnt(0)
	v_add_f64 v[6:7], v[46:47], -v[6:7]
	buffer_store_dword v5, off, s[0:3], 0 offset:628
	buffer_store_dword v4, off, s[0:3], 0 offset:624
	;; [unrolled: 1-line block ×4, first 2 shown]
	s_and_saveexec_b64 s[4:5], vcc
	s_cbranch_execz .LBB107_203
; %bb.202:
	v_accvgpr_read_b32 v0, a94
	buffer_load_dword v4, v0, s[0:3], 0 offen
	buffer_load_dword v5, v0, s[0:3], 0 offen offset:4
	buffer_load_dword v6, v0, s[0:3], 0 offen offset:8
	;; [unrolled: 1-line block ×3, first 2 shown]
	v_accvgpr_read_b32 v0, a132
	buffer_store_dword v2, off, s[0:3], 0 offset:608
	buffer_store_dword v2, off, s[0:3], 0 offset:612
	;; [unrolled: 1-line block ×4, first 2 shown]
	s_waitcnt vmcnt(4)
	ds_write_b128 v0, v[4:7]
.LBB107_203:
	s_or_b64 exec, exec, s[4:5]
	s_waitcnt lgkmcnt(0)
	; wave barrier
	s_waitcnt lgkmcnt(0)
	buffer_load_dword v28, off, s[0:3], 0 offset:632
	buffer_load_dword v29, off, s[0:3], 0 offset:636
	;; [unrolled: 1-line block ×28, first 2 shown]
	ds_read_b128 v[4:7], v2 offset:1312
	ds_read_b128 v[8:11], v2 offset:1328
	;; [unrolled: 1-line block ×6, first 2 shown]
	v_cmp_lt_u32_e32 vcc, 36, v255
	s_waitcnt vmcnt(26) lgkmcnt(5)
	v_mul_f64 v[2:3], v[4:5], v[28:29]
	v_mul_f64 v[28:29], v[6:7], v[28:29]
	s_waitcnt vmcnt(24) lgkmcnt(4)
	v_mul_f64 v[56:57], v[8:9], v[30:31]
	v_mul_f64 v[30:31], v[10:11], v[30:31]
	s_waitcnt vmcnt(22) lgkmcnt(3)
	v_mul_f64 v[58:59], v[12:13], v[32:33]
	v_mul_f64 v[32:33], v[14:15], v[32:33]
	s_waitcnt vmcnt(20) lgkmcnt(1)
	v_mul_f64 v[62:63], v[20:21], v[34:35]
	v_mul_f64 v[34:35], v[22:23], v[34:35]
	s_waitcnt vmcnt(17)
	v_mul_f64 v[60:61], v[16:17], v[38:39]
	v_mul_f64 v[38:39], v[18:19], v[38:39]
	s_waitcnt vmcnt(15) lgkmcnt(0)
	v_mul_f64 v[64:65], v[24:25], v[40:41]
	v_mul_f64 v[40:41], v[26:27], v[40:41]
	s_waitcnt vmcnt(14)
	v_fmac_f64_e32 v[62:63], v[22:23], v[36:37]
	s_waitcnt vmcnt(12)
	v_fma_f64 v[4:5], v[4:5], v[42:43], -v[28:29]
	v_fmac_f64_e32 v[2:3], v[6:7], v[42:43]
	s_waitcnt vmcnt(10)
	v_fma_f64 v[6:7], v[8:9], v[44:45], -v[30:31]
	v_add_f64 v[4:5], v[4:5], 0
	v_fmac_f64_e32 v[56:57], v[10:11], v[44:45]
	s_waitcnt vmcnt(8)
	v_fma_f64 v[8:9], v[12:13], v[46:47], -v[32:33]
	v_add_f64 v[2:3], v[2:3], 0
	v_add_f64 v[4:5], v[4:5], v[6:7]
	v_fmac_f64_e32 v[58:59], v[14:15], v[46:47]
	s_waitcnt vmcnt(6)
	v_fma_f64 v[10:11], v[16:17], v[48:49], -v[38:39]
	v_add_f64 v[2:3], v[2:3], v[56:57]
	v_add_f64 v[4:5], v[4:5], v[8:9]
	v_fmac_f64_e32 v[60:61], v[18:19], v[48:49]
	v_fma_f64 v[12:13], v[20:21], v[36:37], -v[34:35]
	v_add_f64 v[2:3], v[2:3], v[58:59]
	v_add_f64 v[4:5], v[4:5], v[10:11]
	s_waitcnt vmcnt(4)
	v_fma_f64 v[14:15], v[24:25], v[50:51], -v[40:41]
	v_add_f64 v[2:3], v[2:3], v[60:61]
	v_add_f64 v[4:5], v[4:5], v[12:13]
	v_fmac_f64_e32 v[64:65], v[26:27], v[50:51]
	v_add_f64 v[2:3], v[2:3], v[62:63]
	v_add_f64 v[4:5], v[4:5], v[14:15]
	;; [unrolled: 1-line block ×3, first 2 shown]
	s_waitcnt vmcnt(2)
	v_add_f64 v[4:5], v[52:53], -v[4:5]
	s_waitcnt vmcnt(0)
	v_add_f64 v[2:3], v[54:55], -v[2:3]
	buffer_store_dword v5, off, s[0:3], 0 offset:612
	buffer_store_dword v4, off, s[0:3], 0 offset:608
	;; [unrolled: 1-line block ×4, first 2 shown]
	s_and_saveexec_b64 s[4:5], vcc
	s_cbranch_execz .LBB107_205
; %bb.204:
	v_accvgpr_read_b32 v0, a95
	buffer_load_dword v2, v0, s[0:3], 0 offen
	buffer_load_dword v3, v0, s[0:3], 0 offen offset:4
	buffer_load_dword v4, v0, s[0:3], 0 offen offset:8
	;; [unrolled: 1-line block ×3, first 2 shown]
	v_mov_b32_e32 v0, 0
	v_accvgpr_read_b32 v1, a132
	buffer_store_dword v0, off, s[0:3], 0 offset:592
	buffer_store_dword v0, off, s[0:3], 0 offset:596
	;; [unrolled: 1-line block ×4, first 2 shown]
	s_waitcnt vmcnt(4)
	ds_write_b128 v1, v[2:5]
.LBB107_205:
	s_or_b64 exec, exec, s[4:5]
	s_waitcnt lgkmcnt(0)
	; wave barrier
	s_waitcnt lgkmcnt(0)
	buffer_load_dword v32, off, s[0:3], 0 offset:616
	buffer_load_dword v33, off, s[0:3], 0 offset:620
	;; [unrolled: 1-line block ×32, first 2 shown]
	v_mov_b32_e32 v2, 0
	ds_read_b128 v[4:7], v2 offset:1296
	ds_read_b128 v[8:11], v2 offset:1312
	;; [unrolled: 1-line block ×7, first 2 shown]
	v_cmp_lt_u32_e32 vcc, 35, v255
	s_waitcnt vmcnt(30) lgkmcnt(6)
	v_mul_f64 v[64:65], v[4:5], v[32:33]
	v_mul_f64 v[32:33], v[6:7], v[32:33]
	s_waitcnt vmcnt(28) lgkmcnt(5)
	v_mul_f64 v[66:67], v[8:9], v[34:35]
	v_mul_f64 v[34:35], v[10:11], v[34:35]
	s_waitcnt vmcnt(26) lgkmcnt(4)
	v_mul_f64 v[68:69], v[12:13], v[36:37]
	v_mul_f64 v[36:37], v[14:15], v[36:37]
	s_waitcnt vmcnt(24) lgkmcnt(2)
	v_mul_f64 v[72:73], v[20:21], v[38:39]
	v_mul_f64 v[38:39], v[22:23], v[38:39]
	s_waitcnt vmcnt(21)
	v_mul_f64 v[70:71], v[16:17], v[42:43]
	v_mul_f64 v[42:43], v[18:19], v[42:43]
	s_waitcnt vmcnt(17) lgkmcnt(1)
	v_mul_f64 v[74:75], v[24:25], v[48:49]
	v_mul_f64 v[48:49], v[26:27], v[48:49]
	s_waitcnt vmcnt(16) lgkmcnt(0)
	v_mul_f64 v[76:77], v[28:29], v[44:45]
	v_mul_f64 v[44:45], v[30:31], v[44:45]
	s_waitcnt vmcnt(13)
	v_fma_f64 v[4:5], v[4:5], v[50:51], -v[32:33]
	v_fmac_f64_e32 v[64:65], v[6:7], v[50:51]
	s_waitcnt vmcnt(11)
	v_fma_f64 v[6:7], v[8:9], v[52:53], -v[34:35]
	v_add_f64 v[4:5], v[4:5], 0
	v_fmac_f64_e32 v[66:67], v[10:11], v[52:53]
	s_waitcnt vmcnt(9)
	v_fma_f64 v[8:9], v[12:13], v[54:55], -v[36:37]
	s_waitcnt vmcnt(7)
	v_fmac_f64_e32 v[70:71], v[18:19], v[56:57]
	v_add_f64 v[18:19], v[64:65], 0
	v_add_f64 v[4:5], v[4:5], v[6:7]
	v_fmac_f64_e32 v[68:69], v[14:15], v[54:55]
	v_fma_f64 v[10:11], v[16:17], v[56:57], -v[42:43]
	v_add_f64 v[18:19], v[18:19], v[66:67]
	v_add_f64 v[4:5], v[4:5], v[8:9]
	v_fma_f64 v[12:13], v[20:21], v[40:41], -v[38:39]
	v_add_f64 v[6:7], v[18:19], v[68:69]
	v_add_f64 v[4:5], v[4:5], v[10:11]
	v_fmac_f64_e32 v[72:73], v[22:23], v[40:41]
	s_waitcnt vmcnt(5)
	v_fma_f64 v[14:15], v[24:25], v[58:59], -v[48:49]
	v_add_f64 v[6:7], v[6:7], v[70:71]
	v_add_f64 v[4:5], v[4:5], v[12:13]
	v_fmac_f64_e32 v[74:75], v[26:27], v[58:59]
	s_waitcnt vmcnt(4)
	v_fma_f64 v[16:17], v[28:29], v[46:47], -v[44:45]
	v_add_f64 v[6:7], v[6:7], v[72:73]
	v_add_f64 v[4:5], v[4:5], v[14:15]
	v_fmac_f64_e32 v[76:77], v[30:31], v[46:47]
	v_add_f64 v[6:7], v[6:7], v[74:75]
	v_add_f64 v[4:5], v[4:5], v[16:17]
	;; [unrolled: 1-line block ×3, first 2 shown]
	s_waitcnt vmcnt(2)
	v_add_f64 v[4:5], v[60:61], -v[4:5]
	s_waitcnt vmcnt(0)
	v_add_f64 v[6:7], v[62:63], -v[6:7]
	buffer_store_dword v5, off, s[0:3], 0 offset:596
	buffer_store_dword v4, off, s[0:3], 0 offset:592
	;; [unrolled: 1-line block ×4, first 2 shown]
	s_and_saveexec_b64 s[4:5], vcc
	s_cbranch_execz .LBB107_207
; %bb.206:
	v_accvgpr_read_b32 v0, a96
	buffer_load_dword v4, v0, s[0:3], 0 offen
	buffer_load_dword v5, v0, s[0:3], 0 offen offset:4
	buffer_load_dword v6, v0, s[0:3], 0 offen offset:8
	;; [unrolled: 1-line block ×3, first 2 shown]
	v_accvgpr_read_b32 v0, a132
	buffer_store_dword v2, off, s[0:3], 0 offset:576
	buffer_store_dword v2, off, s[0:3], 0 offset:580
	;; [unrolled: 1-line block ×4, first 2 shown]
	s_waitcnt vmcnt(4)
	ds_write_b128 v0, v[4:7]
.LBB107_207:
	s_or_b64 exec, exec, s[4:5]
	s_waitcnt lgkmcnt(0)
	; wave barrier
	s_waitcnt lgkmcnt(0)
	buffer_load_dword v36, off, s[0:3], 0 offset:600
	buffer_load_dword v37, off, s[0:3], 0 offset:604
	;; [unrolled: 1-line block ×36, first 2 shown]
	ds_read_b128 v[4:7], v2 offset:1280
	ds_read_b128 v[8:11], v2 offset:1296
	;; [unrolled: 1-line block ×8, first 2 shown]
	v_cmp_lt_u32_e32 vcc, 34, v255
	s_waitcnt vmcnt(34) lgkmcnt(7)
	v_mul_f64 v[2:3], v[4:5], v[36:37]
	v_mul_f64 v[36:37], v[6:7], v[36:37]
	s_waitcnt vmcnt(32) lgkmcnt(6)
	v_mul_f64 v[72:73], v[8:9], v[38:39]
	v_mul_f64 v[38:39], v[10:11], v[38:39]
	;; [unrolled: 3-line block ×4, first 2 shown]
	s_waitcnt vmcnt(25)
	v_mul_f64 v[76:77], v[16:17], v[46:47]
	v_mul_f64 v[46:47], v[18:19], v[46:47]
	s_waitcnt vmcnt(23) lgkmcnt(1)
	v_mul_f64 v[82:83], v[28:29], v[48:49]
	v_mul_f64 v[48:49], v[30:31], v[48:49]
	s_waitcnt vmcnt(20)
	v_mul_f64 v[80:81], v[24:25], v[52:53]
	v_mul_f64 v[52:53], v[26:27], v[52:53]
	s_waitcnt vmcnt(18) lgkmcnt(0)
	v_mul_f64 v[84:85], v[32:33], v[54:55]
	s_waitcnt vmcnt(17)
	v_fmac_f64_e32 v[78:79], v[22:23], v[44:45]
	s_waitcnt vmcnt(16)
	v_fmac_f64_e32 v[82:83], v[30:31], v[50:51]
	s_waitcnt vmcnt(14)
	v_fma_f64 v[4:5], v[4:5], v[56:57], -v[36:37]
	v_fmac_f64_e32 v[2:3], v[6:7], v[56:57]
	s_waitcnt vmcnt(12)
	v_fma_f64 v[6:7], v[8:9], v[58:59], -v[38:39]
	v_add_f64 v[4:5], v[4:5], 0
	v_fmac_f64_e32 v[72:73], v[10:11], v[58:59]
	s_waitcnt vmcnt(10)
	v_fma_f64 v[8:9], v[12:13], v[60:61], -v[40:41]
	v_add_f64 v[2:3], v[2:3], 0
	v_add_f64 v[4:5], v[4:5], v[6:7]
	v_fmac_f64_e32 v[74:75], v[14:15], v[60:61]
	s_waitcnt vmcnt(8)
	v_fma_f64 v[10:11], v[16:17], v[62:63], -v[46:47]
	v_add_f64 v[2:3], v[2:3], v[72:73]
	v_add_f64 v[4:5], v[4:5], v[8:9]
	v_fmac_f64_e32 v[76:77], v[18:19], v[62:63]
	v_fma_f64 v[12:13], v[20:21], v[44:45], -v[42:43]
	v_add_f64 v[2:3], v[2:3], v[74:75]
	v_add_f64 v[4:5], v[4:5], v[10:11]
	s_waitcnt vmcnt(6)
	v_fma_f64 v[14:15], v[24:25], v[64:65], -v[52:53]
	v_add_f64 v[2:3], v[2:3], v[76:77]
	v_add_f64 v[4:5], v[4:5], v[12:13]
	v_fmac_f64_e32 v[80:81], v[26:27], v[64:65]
	v_fma_f64 v[16:17], v[28:29], v[50:51], -v[48:49]
	v_add_f64 v[2:3], v[2:3], v[78:79]
	v_add_f64 v[4:5], v[4:5], v[14:15]
	v_mul_f64 v[6:7], v[34:35], v[54:55]
	v_add_f64 v[2:3], v[2:3], v[80:81]
	v_add_f64 v[4:5], v[4:5], v[16:17]
	s_waitcnt vmcnt(4)
	v_fma_f64 v[6:7], v[32:33], v[66:67], -v[6:7]
	v_fmac_f64_e32 v[84:85], v[34:35], v[66:67]
	v_add_f64 v[2:3], v[2:3], v[82:83]
	v_add_f64 v[4:5], v[4:5], v[6:7]
	;; [unrolled: 1-line block ×3, first 2 shown]
	s_waitcnt vmcnt(2)
	v_add_f64 v[4:5], v[68:69], -v[4:5]
	s_waitcnt vmcnt(0)
	v_add_f64 v[2:3], v[70:71], -v[2:3]
	buffer_store_dword v5, off, s[0:3], 0 offset:580
	buffer_store_dword v4, off, s[0:3], 0 offset:576
	;; [unrolled: 1-line block ×4, first 2 shown]
	s_and_saveexec_b64 s[4:5], vcc
	s_cbranch_execz .LBB107_209
; %bb.208:
	v_accvgpr_read_b32 v0, a97
	buffer_load_dword v2, v0, s[0:3], 0 offen
	buffer_load_dword v3, v0, s[0:3], 0 offen offset:4
	buffer_load_dword v4, v0, s[0:3], 0 offen offset:8
	;; [unrolled: 1-line block ×3, first 2 shown]
	v_mov_b32_e32 v0, 0
	v_accvgpr_read_b32 v1, a132
	buffer_store_dword v0, off, s[0:3], 0 offset:560
	buffer_store_dword v0, off, s[0:3], 0 offset:564
	;; [unrolled: 1-line block ×4, first 2 shown]
	s_waitcnt vmcnt(4)
	ds_write_b128 v1, v[2:5]
.LBB107_209:
	s_or_b64 exec, exec, s[4:5]
	s_waitcnt lgkmcnt(0)
	; wave barrier
	s_waitcnt lgkmcnt(0)
	buffer_load_dword v40, off, s[0:3], 0 offset:584
	buffer_load_dword v41, off, s[0:3], 0 offset:588
	;; [unrolled: 1-line block ×40, first 2 shown]
	v_mov_b32_e32 v6, 0
	ds_read_b128 v[2:5], v6 offset:1264
	ds_read_b128 v[8:11], v6 offset:1280
	;; [unrolled: 1-line block ×9, first 2 shown]
	v_cmp_lt_u32_e32 vcc, 33, v255
	s_waitcnt vmcnt(38) lgkmcnt(8)
	v_mul_f64 v[80:81], v[2:3], v[40:41]
	v_mul_f64 v[40:41], v[4:5], v[40:41]
	s_waitcnt vmcnt(36) lgkmcnt(7)
	v_mul_f64 v[82:83], v[8:9], v[42:43]
	v_mul_f64 v[42:43], v[10:11], v[42:43]
	;; [unrolled: 3-line block ×3, first 2 shown]
	s_waitcnt vmcnt(32) lgkmcnt(4)
	v_mul_f64 v[88:89], v[20:21], v[46:47]
	s_waitcnt vmcnt(30)
	v_fmac_f64_e32 v[88:89], v[22:23], v[48:49]
	s_waitcnt vmcnt(28)
	v_mul_f64 v[86:87], v[16:17], v[50:51]
	v_mul_f64 v[50:51], v[18:19], v[50:51]
	s_waitcnt vmcnt(26) lgkmcnt(2)
	v_mul_f64 v[92:93], v[28:29], v[52:53]
	s_waitcnt vmcnt(24)
	v_fmac_f64_e32 v[92:93], v[30:31], v[54:55]
	s_waitcnt vmcnt(22)
	v_mul_f64 v[90:91], v[24:25], v[56:57]
	s_waitcnt vmcnt(18) lgkmcnt(1)
	v_mul_f64 v[94:95], v[32:33], v[62:63]
	s_waitcnt vmcnt(17) lgkmcnt(0)
	v_mul_f64 v[96:97], v[36:37], v[58:59]
	s_waitcnt vmcnt(15)
	v_fma_f64 v[2:3], v[2:3], v[64:65], -v[40:41]
	v_fmac_f64_e32 v[80:81], v[4:5], v[64:65]
	s_waitcnt vmcnt(13)
	v_fma_f64 v[4:5], v[8:9], v[66:67], -v[42:43]
	v_add_f64 v[2:3], v[2:3], 0
	s_waitcnt vmcnt(11)
	v_fma_f64 v[8:9], v[12:13], v[68:69], -v[44:45]
	v_add_f64 v[2:3], v[2:3], v[4:5]
	v_fmac_f64_e32 v[82:83], v[10:11], v[66:67]
	s_waitcnt vmcnt(9)
	v_fma_f64 v[10:11], v[16:17], v[70:71], -v[50:51]
	v_add_f64 v[2:3], v[2:3], v[8:9]
	v_mul_f64 v[8:9], v[22:23], v[46:47]
	v_add_f64 v[2:3], v[2:3], v[10:11]
	v_fma_f64 v[8:9], v[20:21], v[48:49], -v[8:9]
	v_add_f64 v[2:3], v[2:3], v[8:9]
	v_mul_f64 v[8:9], v[26:27], v[56:57]
	v_add_f64 v[12:13], v[80:81], 0
	s_waitcnt vmcnt(7)
	v_fma_f64 v[8:9], v[24:25], v[72:73], -v[8:9]
	v_fmac_f64_e32 v[84:85], v[14:15], v[68:69]
	v_add_f64 v[12:13], v[12:13], v[82:83]
	v_add_f64 v[2:3], v[2:3], v[8:9]
	v_mul_f64 v[8:9], v[30:31], v[52:53]
	v_fmac_f64_e32 v[86:87], v[18:19], v[70:71]
	v_add_f64 v[4:5], v[12:13], v[84:85]
	v_fma_f64 v[8:9], v[28:29], v[54:55], -v[8:9]
	v_add_f64 v[4:5], v[4:5], v[86:87]
	v_add_f64 v[2:3], v[2:3], v[8:9]
	v_mul_f64 v[8:9], v[34:35], v[62:63]
	v_fmac_f64_e32 v[90:91], v[26:27], v[72:73]
	v_add_f64 v[4:5], v[4:5], v[88:89]
	s_waitcnt vmcnt(5)
	v_fma_f64 v[8:9], v[32:33], v[74:75], -v[8:9]
	v_add_f64 v[4:5], v[4:5], v[90:91]
	v_add_f64 v[2:3], v[2:3], v[8:9]
	v_mul_f64 v[8:9], v[38:39], v[58:59]
	v_fmac_f64_e32 v[94:95], v[34:35], v[74:75]
	v_add_f64 v[4:5], v[4:5], v[92:93]
	s_waitcnt vmcnt(4)
	v_fma_f64 v[8:9], v[36:37], v[60:61], -v[8:9]
	v_fmac_f64_e32 v[96:97], v[38:39], v[60:61]
	v_add_f64 v[4:5], v[4:5], v[94:95]
	v_add_f64 v[2:3], v[2:3], v[8:9]
	;; [unrolled: 1-line block ×3, first 2 shown]
	s_waitcnt vmcnt(2)
	v_add_f64 v[2:3], v[76:77], -v[2:3]
	s_waitcnt vmcnt(0)
	v_add_f64 v[4:5], v[78:79], -v[4:5]
	buffer_store_dword v3, off, s[0:3], 0 offset:564
	buffer_store_dword v2, off, s[0:3], 0 offset:560
	;; [unrolled: 1-line block ×4, first 2 shown]
	s_and_saveexec_b64 s[4:5], vcc
	s_cbranch_execz .LBB107_211
; %bb.210:
	v_accvgpr_read_b32 v0, a98
	buffer_load_dword v2, v0, s[0:3], 0 offen
	buffer_load_dword v3, v0, s[0:3], 0 offen offset:4
	buffer_load_dword v4, v0, s[0:3], 0 offen offset:8
	;; [unrolled: 1-line block ×3, first 2 shown]
	v_accvgpr_read_b32 v0, a132
	buffer_store_dword v6, off, s[0:3], 0 offset:544
	buffer_store_dword v6, off, s[0:3], 0 offset:548
	;; [unrolled: 1-line block ×4, first 2 shown]
	s_waitcnt vmcnt(4)
	ds_write_b128 v0, v[2:5]
.LBB107_211:
	s_or_b64 exec, exec, s[4:5]
	s_waitcnt lgkmcnt(0)
	; wave barrier
	s_waitcnt lgkmcnt(0)
	buffer_load_dword v4, off, s[0:3], 0 offset:560
	buffer_load_dword v5, off, s[0:3], 0 offset:564
	;; [unrolled: 1-line block ×44, first 2 shown]
	ds_read_b128 v[8:11], v6 offset:1248
	ds_read_b128 v[12:15], v6 offset:1264
	;; [unrolled: 1-line block ×10, first 2 shown]
	v_cmp_lt_u32_e32 vcc, 32, v255
	s_waitcnt vmcnt(40) lgkmcnt(9)
	v_mul_f64 v[6:7], v[8:9], v[48:49]
	v_mul_f64 v[48:49], v[10:11], v[48:49]
	s_waitcnt vmcnt(38) lgkmcnt(8)
	v_mul_f64 v[88:89], v[12:13], v[50:51]
	v_mul_f64 v[50:51], v[14:15], v[50:51]
	v_fmac_f64_e32 v[6:7], v[10:11], v[4:5]
	v_fma_f64 v[4:5], v[8:9], v[4:5], -v[48:49]
	s_waitcnt vmcnt(36) lgkmcnt(7)
	v_mul_f64 v[90:91], v[16:17], v[2:3]
	v_add_f64 v[4:5], v[4:5], 0
	v_mul_f64 v[2:3], v[18:19], v[2:3]
	v_add_f64 v[6:7], v[6:7], 0
	s_waitcnt vmcnt(30) lgkmcnt(6)
	v_mul_f64 v[92:93], v[20:21], v[56:57]
	s_waitcnt lgkmcnt(5)
	v_mul_f64 v[94:95], v[24:25], v[52:53]
	v_fmac_f64_e32 v[94:95], v[26:27], v[54:55]
	s_waitcnt vmcnt(28) lgkmcnt(3)
	v_mul_f64 v[98:99], v[32:33], v[58:59]
	s_waitcnt vmcnt(26)
	v_fmac_f64_e32 v[98:99], v[34:35], v[60:61]
	s_waitcnt vmcnt(24)
	v_mul_f64 v[96:97], v[28:29], v[62:63]
	s_waitcnt vmcnt(22) lgkmcnt(1)
	v_mul_f64 v[102:103], v[40:41], v[64:65]
	s_waitcnt vmcnt(20)
	v_fmac_f64_e32 v[102:103], v[42:43], v[66:67]
	s_waitcnt vmcnt(18)
	v_mul_f64 v[100:101], v[36:37], v[68:69]
	s_waitcnt vmcnt(16) lgkmcnt(0)
	v_mul_f64 v[104:105], v[44:45], v[70:71]
	s_waitcnt vmcnt(14)
	v_fma_f64 v[8:9], v[12:13], v[72:73], -v[50:51]
	v_add_f64 v[4:5], v[4:5], v[8:9]
	s_waitcnt vmcnt(12)
	v_fma_f64 v[2:3], v[16:17], v[74:75], -v[2:3]
	v_add_f64 v[2:3], v[4:5], v[2:3]
	v_mul_f64 v[4:5], v[22:23], v[56:57]
	s_waitcnt vmcnt(10)
	v_fma_f64 v[4:5], v[20:21], v[76:77], -v[4:5]
	v_add_f64 v[2:3], v[2:3], v[4:5]
	v_mul_f64 v[4:5], v[26:27], v[52:53]
	v_fma_f64 v[4:5], v[24:25], v[54:55], -v[4:5]
	v_add_f64 v[2:3], v[2:3], v[4:5]
	v_mul_f64 v[4:5], v[30:31], v[62:63]
	s_waitcnt vmcnt(8)
	v_fma_f64 v[4:5], v[28:29], v[78:79], -v[4:5]
	v_fmac_f64_e32 v[88:89], v[14:15], v[72:73]
	v_add_f64 v[2:3], v[2:3], v[4:5]
	v_mul_f64 v[4:5], v[34:35], v[58:59]
	v_fmac_f64_e32 v[90:91], v[18:19], v[74:75]
	v_add_f64 v[6:7], v[6:7], v[88:89]
	v_fma_f64 v[4:5], v[32:33], v[60:61], -v[4:5]
	v_fmac_f64_e32 v[92:93], v[22:23], v[76:77]
	v_add_f64 v[6:7], v[6:7], v[90:91]
	v_add_f64 v[2:3], v[2:3], v[4:5]
	v_mul_f64 v[4:5], v[38:39], v[68:69]
	v_add_f64 v[6:7], v[6:7], v[92:93]
	s_waitcnt vmcnt(6)
	v_fma_f64 v[4:5], v[36:37], v[80:81], -v[4:5]
	v_fmac_f64_e32 v[96:97], v[30:31], v[78:79]
	v_add_f64 v[6:7], v[6:7], v[94:95]
	v_add_f64 v[2:3], v[2:3], v[4:5]
	v_mul_f64 v[4:5], v[42:43], v[64:65]
	v_add_f64 v[6:7], v[6:7], v[96:97]
	v_fma_f64 v[4:5], v[40:41], v[66:67], -v[4:5]
	v_fmac_f64_e32 v[100:101], v[38:39], v[80:81]
	v_add_f64 v[6:7], v[6:7], v[98:99]
	v_add_f64 v[2:3], v[2:3], v[4:5]
	v_mul_f64 v[4:5], v[46:47], v[70:71]
	v_add_f64 v[6:7], v[6:7], v[100:101]
	s_waitcnt vmcnt(4)
	v_fma_f64 v[4:5], v[44:45], v[82:83], -v[4:5]
	v_fmac_f64_e32 v[104:105], v[46:47], v[82:83]
	v_add_f64 v[6:7], v[6:7], v[102:103]
	v_add_f64 v[2:3], v[2:3], v[4:5]
	;; [unrolled: 1-line block ×3, first 2 shown]
	s_waitcnt vmcnt(2)
	v_add_f64 v[2:3], v[84:85], -v[2:3]
	s_waitcnt vmcnt(0)
	v_add_f64 v[4:5], v[86:87], -v[6:7]
	buffer_store_dword v3, off, s[0:3], 0 offset:548
	buffer_store_dword v2, off, s[0:3], 0 offset:544
	;; [unrolled: 1-line block ×4, first 2 shown]
	s_and_saveexec_b64 s[4:5], vcc
	s_cbranch_execz .LBB107_213
; %bb.212:
	v_accvgpr_read_b32 v0, a99
	buffer_load_dword v2, v0, s[0:3], 0 offen
	buffer_load_dword v3, v0, s[0:3], 0 offen offset:4
	buffer_load_dword v4, v0, s[0:3], 0 offen offset:8
	;; [unrolled: 1-line block ×3, first 2 shown]
	v_mov_b32_e32 v0, 0
	v_accvgpr_read_b32 v1, a132
	buffer_store_dword v0, off, s[0:3], 0 offset:528
	buffer_store_dword v0, off, s[0:3], 0 offset:532
	;; [unrolled: 1-line block ×4, first 2 shown]
	s_waitcnt vmcnt(4)
	ds_write_b128 v1, v[2:5]
.LBB107_213:
	s_or_b64 exec, exec, s[4:5]
	s_waitcnt lgkmcnt(0)
	; wave barrier
	s_waitcnt lgkmcnt(0)
	buffer_load_dword v2, off, s[0:3], 0 offset:544
	buffer_load_dword v3, off, s[0:3], 0 offset:548
	buffer_load_dword v6, off, s[0:3], 0 offset:552
	buffer_load_dword v7, off, s[0:3], 0 offset:556
	buffer_load_dword v4, off, s[0:3], 0 offset:560
	buffer_load_dword v5, off, s[0:3], 0 offset:564
	buffer_load_dword v8, off, s[0:3], 0 offset:568
	buffer_load_dword v9, off, s[0:3], 0 offset:572
	buffer_load_dword v10, off, s[0:3], 0 offset:584
	buffer_load_dword v11, off, s[0:3], 0 offset:588
	buffer_load_dword v59, off, s[0:3], 0 offset:620
	buffer_load_dword v58, off, s[0:3], 0 offset:616
	buffer_load_dword v61, off, s[0:3], 0 offset:612
	buffer_load_dword v60, off, s[0:3], 0 offset:608
	buffer_load_dword v63, off, s[0:3], 0 offset:604
	buffer_load_dword v62, off, s[0:3], 0 offset:600
	buffer_load_dword v65, off, s[0:3], 0 offset:652
	buffer_load_dword v64, off, s[0:3], 0 offset:648
	buffer_load_dword v67, off, s[0:3], 0 offset:644
	buffer_load_dword v66, off, s[0:3], 0 offset:640
	buffer_load_dword v69, off, s[0:3], 0 offset:636
	buffer_load_dword v68, off, s[0:3], 0 offset:632
	buffer_load_dword v71, off, s[0:3], 0 offset:684
	buffer_load_dword v70, off, s[0:3], 0 offset:680
	buffer_load_dword v73, off, s[0:3], 0 offset:676
	buffer_load_dword v72, off, s[0:3], 0 offset:672
	buffer_load_dword v75, off, s[0:3], 0 offset:668
	buffer_load_dword v74, off, s[0:3], 0 offset:664
	buffer_load_dword v76, off, s[0:3], 0 offset:712
	buffer_load_dword v78, off, s[0:3], 0 offset:704
	buffer_load_dword v81, off, s[0:3], 0 offset:700
	buffer_load_dword v80, off, s[0:3], 0 offset:696
	buffer_load_dword v82, off, s[0:3], 0 offset:576
	buffer_load_dword v83, off, s[0:3], 0 offset:580
	buffer_load_dword v85, off, s[0:3], 0 offset:596
	buffer_load_dword v84, off, s[0:3], 0 offset:592
	buffer_load_dword v87, off, s[0:3], 0 offset:628
	buffer_load_dword v86, off, s[0:3], 0 offset:624
	buffer_load_dword v89, off, s[0:3], 0 offset:660
	buffer_load_dword v88, off, s[0:3], 0 offset:656
	buffer_load_dword v91, off, s[0:3], 0 offset:692
	buffer_load_dword v90, off, s[0:3], 0 offset:688
	buffer_load_dword v77, off, s[0:3], 0 offset:716
	buffer_load_dword v79, off, s[0:3], 0 offset:708
	buffer_load_dword v92, off, s[0:3], 0 offset:528
	buffer_load_dword v93, off, s[0:3], 0 offset:532
	buffer_load_dword v94, off, s[0:3], 0 offset:536
	buffer_load_dword v95, off, s[0:3], 0 offset:540
	v_mov_b32_e32 v12, 0
	ds_read_b128 v[14:17], v12 offset:1232
	ds_read_b128 v[18:21], v12 offset:1248
	;; [unrolled: 1-line block ×11, first 2 shown]
	v_cmp_lt_u32_e32 vcc, 31, v255
	s_waitcnt vmcnt(44) lgkmcnt(10)
	v_mul_f64 v[96:97], v[14:15], v[6:7]
	v_mul_f64 v[6:7], v[16:17], v[6:7]
	v_fmac_f64_e32 v[96:97], v[16:17], v[2:3]
	v_fma_f64 v[2:3], v[14:15], v[2:3], -v[6:7]
	s_waitcnt vmcnt(40) lgkmcnt(9)
	v_mul_f64 v[98:99], v[18:19], v[8:9]
	v_mul_f64 v[6:7], v[20:21], v[8:9]
	v_fmac_f64_e32 v[98:99], v[20:21], v[4:5]
	v_add_f64 v[2:3], v[2:3], 0
	v_fma_f64 v[4:5], v[18:19], v[4:5], -v[6:7]
	v_add_f64 v[2:3], v[2:3], v[4:5]
	s_waitcnt vmcnt(38) lgkmcnt(8)
	v_mul_f64 v[4:5], v[24:25], v[10:11]
	v_mul_f64 v[100:101], v[22:23], v[10:11]
	v_add_f64 v[96:97], v[96:97], 0
	s_waitcnt vmcnt(32) lgkmcnt(7)
	v_mul_f64 v[102:103], v[26:27], v[62:63]
	v_add_f64 v[96:97], v[96:97], v[98:99]
	s_waitcnt lgkmcnt(6)
	v_mul_f64 v[104:105], v[30:31], v[58:59]
	v_fmac_f64_e32 v[104:105], v[32:33], v[60:61]
	s_waitcnt vmcnt(30) lgkmcnt(4)
	v_mul_f64 v[108:109], v[38:39], v[64:65]
	s_waitcnt vmcnt(26)
	v_mul_f64 v[106:107], v[34:35], v[68:69]
	v_fmac_f64_e32 v[108:109], v[40:41], v[66:67]
	s_waitcnt vmcnt(24) lgkmcnt(2)
	v_mul_f64 v[112:113], v[46:47], v[70:71]
	s_waitcnt vmcnt(22)
	v_fmac_f64_e32 v[112:113], v[48:49], v[72:73]
	s_waitcnt vmcnt(20)
	v_mul_f64 v[110:111], v[42:43], v[74:75]
	s_waitcnt vmcnt(16) lgkmcnt(1)
	v_mul_f64 v[114:115], v[50:51], v[80:81]
	s_waitcnt vmcnt(14)
	v_fma_f64 v[4:5], v[22:23], v[82:83], -v[4:5]
	v_add_f64 v[2:3], v[2:3], v[4:5]
	v_mul_f64 v[4:5], v[28:29], v[62:63]
	s_waitcnt vmcnt(12)
	v_fma_f64 v[4:5], v[26:27], v[84:85], -v[4:5]
	v_add_f64 v[2:3], v[2:3], v[4:5]
	v_mul_f64 v[4:5], v[32:33], v[58:59]
	v_fma_f64 v[4:5], v[30:31], v[60:61], -v[4:5]
	v_add_f64 v[2:3], v[2:3], v[4:5]
	v_mul_f64 v[4:5], v[36:37], v[68:69]
	s_waitcnt vmcnt(10)
	v_fma_f64 v[4:5], v[34:35], v[86:87], -v[4:5]
	v_add_f64 v[2:3], v[2:3], v[4:5]
	v_mul_f64 v[4:5], v[40:41], v[64:65]
	v_fma_f64 v[4:5], v[38:39], v[66:67], -v[4:5]
	v_fmac_f64_e32 v[100:101], v[24:25], v[82:83]
	v_add_f64 v[2:3], v[2:3], v[4:5]
	v_mul_f64 v[4:5], v[44:45], v[74:75]
	v_fmac_f64_e32 v[102:103], v[28:29], v[84:85]
	v_add_f64 v[96:97], v[96:97], v[100:101]
	s_waitcnt vmcnt(8)
	v_fma_f64 v[4:5], v[42:43], v[88:89], -v[4:5]
	v_add_f64 v[96:97], v[96:97], v[102:103]
	v_add_f64 v[2:3], v[2:3], v[4:5]
	v_mul_f64 v[4:5], v[48:49], v[70:71]
	v_fmac_f64_e32 v[106:107], v[36:37], v[86:87]
	v_add_f64 v[96:97], v[96:97], v[104:105]
	v_fma_f64 v[4:5], v[46:47], v[72:73], -v[4:5]
	v_add_f64 v[96:97], v[96:97], v[106:107]
	v_add_f64 v[2:3], v[2:3], v[4:5]
	v_mul_f64 v[4:5], v[52:53], v[80:81]
	v_fmac_f64_e32 v[110:111], v[44:45], v[88:89]
	v_add_f64 v[96:97], v[96:97], v[108:109]
	s_waitcnt vmcnt(6)
	v_fma_f64 v[4:5], v[50:51], v[90:91], -v[4:5]
	v_add_f64 v[96:97], v[96:97], v[110:111]
	v_add_f64 v[2:3], v[2:3], v[4:5]
	s_waitcnt vmcnt(5) lgkmcnt(0)
	v_mul_f64 v[4:5], v[56:57], v[76:77]
	v_fmac_f64_e32 v[114:115], v[52:53], v[90:91]
	v_add_f64 v[96:97], v[96:97], v[112:113]
	v_mul_f64 v[98:99], v[54:55], v[76:77]
	s_waitcnt vmcnt(4)
	v_fma_f64 v[4:5], v[54:55], v[78:79], -v[4:5]
	v_add_f64 v[96:97], v[96:97], v[114:115]
	v_fmac_f64_e32 v[98:99], v[56:57], v[78:79]
	v_add_f64 v[2:3], v[2:3], v[4:5]
	v_add_f64 v[96:97], v[96:97], v[98:99]
	s_waitcnt vmcnt(2)
	v_add_f64 v[2:3], v[92:93], -v[2:3]
	s_waitcnt vmcnt(0)
	v_add_f64 v[4:5], v[94:95], -v[96:97]
	buffer_store_dword v3, off, s[0:3], 0 offset:532
	buffer_store_dword v2, off, s[0:3], 0 offset:528
	;; [unrolled: 1-line block ×4, first 2 shown]
	s_and_saveexec_b64 s[4:5], vcc
	s_cbranch_execz .LBB107_215
; %bb.214:
	v_accvgpr_read_b32 v0, a100
	buffer_load_dword v2, v0, s[0:3], 0 offen
	buffer_load_dword v3, v0, s[0:3], 0 offen offset:4
	buffer_load_dword v4, v0, s[0:3], 0 offen offset:8
	;; [unrolled: 1-line block ×3, first 2 shown]
	v_accvgpr_read_b32 v0, a132
	buffer_store_dword v12, off, s[0:3], 0 offset:512
	buffer_store_dword v12, off, s[0:3], 0 offset:516
	;; [unrolled: 1-line block ×4, first 2 shown]
	s_waitcnt vmcnt(4)
	ds_write_b128 v0, v[2:5]
.LBB107_215:
	s_or_b64 exec, exec, s[4:5]
	s_waitcnt lgkmcnt(0)
	; wave barrier
	s_waitcnt lgkmcnt(0)
	buffer_load_dword v2, off, s[0:3], 0 offset:528
	buffer_load_dword v3, off, s[0:3], 0 offset:532
	;; [unrolled: 1-line block ×52, first 2 shown]
	ds_read_b128 v[14:17], v12 offset:1216
	ds_read_b128 v[18:21], v12 offset:1232
	;; [unrolled: 1-line block ×10, first 2 shown]
	v_cmp_lt_u32_e32 vcc, 30, v255
	s_waitcnt vmcnt(48) lgkmcnt(9)
	v_mul_f64 v[54:55], v[14:15], v[6:7]
	v_mul_f64 v[6:7], v[16:17], v[6:7]
	v_fmac_f64_e32 v[54:55], v[16:17], v[2:3]
	v_fma_f64 v[2:3], v[14:15], v[2:3], -v[6:7]
	s_waitcnt vmcnt(44) lgkmcnt(8)
	v_mul_f64 v[56:57], v[18:19], v[8:9]
	v_mul_f64 v[6:7], v[20:21], v[8:9]
	v_fmac_f64_e32 v[56:57], v[20:21], v[4:5]
	v_add_f64 v[2:3], v[2:3], 0
	v_fma_f64 v[4:5], v[18:19], v[4:5], -v[6:7]
	v_add_f64 v[2:3], v[2:3], v[4:5]
	s_waitcnt vmcnt(42) lgkmcnt(7)
	v_mul_f64 v[4:5], v[24:25], v[10:11]
	v_mul_f64 v[58:59], v[22:23], v[10:11]
	v_add_f64 v[54:55], v[54:55], 0
	s_waitcnt vmcnt(36) lgkmcnt(6)
	v_mul_f64 v[60:61], v[26:27], v[66:67]
	v_add_f64 v[54:55], v[54:55], v[56:57]
	s_waitcnt lgkmcnt(5)
	v_mul_f64 v[104:105], v[30:31], v[62:63]
	v_fmac_f64_e32 v[104:105], v[32:33], v[64:65]
	s_waitcnt vmcnt(34) lgkmcnt(3)
	v_mul_f64 v[108:109], v[38:39], v[68:69]
	s_waitcnt vmcnt(30)
	v_mul_f64 v[106:107], v[34:35], v[72:73]
	v_fmac_f64_e32 v[108:109], v[40:41], v[70:71]
	s_waitcnt vmcnt(26) lgkmcnt(2)
	v_mul_f64 v[110:111], v[42:43], v[78:79]
	s_waitcnt vmcnt(25) lgkmcnt(1)
	v_mul_f64 v[112:113], v[46:47], v[74:75]
	s_waitcnt vmcnt(23)
	v_fma_f64 v[4:5], v[22:23], v[80:81], -v[4:5]
	v_add_f64 v[2:3], v[2:3], v[4:5]
	v_mul_f64 v[4:5], v[28:29], v[66:67]
	s_waitcnt vmcnt(21)
	v_fma_f64 v[4:5], v[26:27], v[82:83], -v[4:5]
	v_fmac_f64_e32 v[58:59], v[24:25], v[80:81]
	v_add_f64 v[2:3], v[2:3], v[4:5]
	v_mul_f64 v[4:5], v[32:33], v[62:63]
	v_fmac_f64_e32 v[60:61], v[28:29], v[82:83]
	v_add_f64 v[54:55], v[54:55], v[58:59]
	v_fma_f64 v[4:5], v[30:31], v[64:65], -v[4:5]
	v_add_f64 v[54:55], v[54:55], v[60:61]
	v_add_f64 v[2:3], v[2:3], v[4:5]
	v_mul_f64 v[4:5], v[36:37], v[72:73]
	s_waitcnt vmcnt(19)
	v_fmac_f64_e32 v[106:107], v[36:37], v[84:85]
	v_add_f64 v[54:55], v[54:55], v[104:105]
	v_fma_f64 v[4:5], v[34:35], v[84:85], -v[4:5]
	v_add_f64 v[54:55], v[54:55], v[106:107]
	v_add_f64 v[2:3], v[2:3], v[4:5]
	v_mul_f64 v[4:5], v[40:41], v[68:69]
	s_waitcnt vmcnt(17)
	v_fmac_f64_e32 v[110:111], v[44:45], v[86:87]
	v_add_f64 v[54:55], v[54:55], v[108:109]
	v_fma_f64 v[4:5], v[38:39], v[70:71], -v[4:5]
	s_waitcnt vmcnt(16)
	v_fmac_f64_e32 v[112:113], v[48:49], v[76:77]
	v_add_f64 v[54:55], v[54:55], v[110:111]
	v_add_f64 v[2:3], v[2:3], v[4:5]
	v_mul_f64 v[4:5], v[44:45], v[78:79]
	v_add_f64 v[104:105], v[54:55], v[112:113]
	ds_read_b128 v[54:57], v12 offset:1376
	ds_read_b128 v[58:61], v12 offset:1392
	v_fma_f64 v[4:5], v[42:43], v[86:87], -v[4:5]
	v_add_f64 v[2:3], v[2:3], v[4:5]
	v_mul_f64 v[4:5], v[48:49], v[74:75]
	v_fma_f64 v[4:5], v[46:47], v[76:77], -v[4:5]
	v_add_f64 v[2:3], v[2:3], v[4:5]
	s_waitcnt vmcnt(12) lgkmcnt(2)
	v_mul_f64 v[4:5], v[52:53], v[92:93]
	v_mul_f64 v[106:107], v[50:51], v[92:93]
	s_waitcnt vmcnt(10)
	v_fma_f64 v[4:5], v[50:51], v[94:95], -v[4:5]
	v_fmac_f64_e32 v[106:107], v[52:53], v[94:95]
	v_add_f64 v[2:3], v[2:3], v[4:5]
	s_waitcnt vmcnt(8) lgkmcnt(1)
	v_mul_f64 v[4:5], v[56:57], v[88:89]
	v_add_f64 v[12:13], v[104:105], v[106:107]
	v_mul_f64 v[104:105], v[54:55], v[88:89]
	v_fma_f64 v[4:5], v[54:55], v[90:91], -v[4:5]
	v_fmac_f64_e32 v[104:105], v[56:57], v[90:91]
	v_add_f64 v[2:3], v[2:3], v[4:5]
	s_waitcnt vmcnt(6) lgkmcnt(0)
	v_mul_f64 v[4:5], v[60:61], v[96:97]
	v_add_f64 v[12:13], v[12:13], v[104:105]
	v_mul_f64 v[104:105], v[58:59], v[96:97]
	s_waitcnt vmcnt(4)
	v_fma_f64 v[4:5], v[58:59], v[98:99], -v[4:5]
	v_fmac_f64_e32 v[104:105], v[60:61], v[98:99]
	v_add_f64 v[2:3], v[2:3], v[4:5]
	v_add_f64 v[12:13], v[12:13], v[104:105]
	s_waitcnt vmcnt(2)
	v_add_f64 v[2:3], v[100:101], -v[2:3]
	s_waitcnt vmcnt(0)
	v_add_f64 v[4:5], v[102:103], -v[12:13]
	buffer_store_dword v3, off, s[0:3], 0 offset:516
	buffer_store_dword v2, off, s[0:3], 0 offset:512
	buffer_store_dword v5, off, s[0:3], 0 offset:524
	buffer_store_dword v4, off, s[0:3], 0 offset:520
	s_and_saveexec_b64 s[4:5], vcc
	s_cbranch_execz .LBB107_217
; %bb.216:
	v_accvgpr_read_b32 v0, a101
	buffer_load_dword v2, v0, s[0:3], 0 offen
	buffer_load_dword v3, v0, s[0:3], 0 offen offset:4
	buffer_load_dword v4, v0, s[0:3], 0 offen offset:8
	buffer_load_dword v5, v0, s[0:3], 0 offen offset:12
	v_mov_b32_e32 v0, 0
	v_accvgpr_read_b32 v1, a132
	buffer_store_dword v0, off, s[0:3], 0 offset:496
	buffer_store_dword v0, off, s[0:3], 0 offset:500
	;; [unrolled: 1-line block ×4, first 2 shown]
	s_waitcnt vmcnt(4)
	ds_write_b128 v1, v[2:5]
.LBB107_217:
	s_or_b64 exec, exec, s[4:5]
	s_waitcnt lgkmcnt(0)
	; wave barrier
	s_waitcnt lgkmcnt(0)
	buffer_load_dword v2, off, s[0:3], 0 offset:512
	buffer_load_dword v3, off, s[0:3], 0 offset:516
	;; [unrolled: 1-line block ×56, first 2 shown]
	v_mov_b32_e32 v24, 0
	ds_read_b128 v[18:21], v24 offset:1200
	ds_read_b128 v[26:29], v24 offset:1216
	;; [unrolled: 1-line block ×9, first 2 shown]
	v_cmp_lt_u32_e32 vcc, 29, v255
	s_waitcnt vmcnt(52) lgkmcnt(8)
	v_mul_f64 v[54:55], v[18:19], v[6:7]
	v_fmac_f64_e32 v[54:55], v[20:21], v[2:3]
	v_mul_f64 v[6:7], v[20:21], v[6:7]
	v_add_f64 v[54:55], v[54:55], 0
	s_waitcnt vmcnt(48) lgkmcnt(7)
	v_mul_f64 v[56:57], v[26:27], v[8:9]
	v_fmac_f64_e32 v[56:57], v[28:29], v[4:5]
	s_waitcnt vmcnt(46) lgkmcnt(6)
	v_mul_f64 v[58:59], v[30:31], v[10:11]
	v_fma_f64 v[2:3], v[18:19], v[2:3], -v[6:7]
	v_mul_f64 v[6:7], v[28:29], v[8:9]
	v_add_f64 v[54:55], v[54:55], v[56:57]
	v_add_f64 v[2:3], v[2:3], 0
	v_fma_f64 v[4:5], v[26:27], v[4:5], -v[6:7]
	s_waitcnt vmcnt(40) lgkmcnt(5)
	v_mul_f64 v[60:61], v[34:35], v[16:17]
	s_waitcnt lgkmcnt(4)
	v_mul_f64 v[62:63], v[38:39], v[12:13]
	v_add_f64 v[2:3], v[2:3], v[4:5]
	v_mul_f64 v[4:5], v[32:33], v[10:11]
	s_waitcnt vmcnt(36) lgkmcnt(3)
	v_mul_f64 v[64:65], v[42:43], v[76:77]
	v_fmac_f64_e32 v[62:63], v[40:41], v[14:15]
	s_waitcnt vmcnt(35) lgkmcnt(2)
	v_mul_f64 v[66:67], v[46:47], v[22:23]
	s_waitcnt vmcnt(33)
	v_fmac_f64_e32 v[58:59], v[32:33], v[78:79]
	v_add_f64 v[54:55], v[54:55], v[58:59]
	s_waitcnt vmcnt(31)
	v_fmac_f64_e32 v[60:61], v[36:37], v[80:81]
	v_add_f64 v[54:55], v[54:55], v[60:61]
	v_fma_f64 v[4:5], v[30:31], v[78:79], -v[4:5]
	s_waitcnt vmcnt(29)
	v_fmac_f64_e32 v[64:65], v[44:45], v[82:83]
	v_add_f64 v[54:55], v[54:55], v[62:63]
	v_add_f64 v[2:3], v[2:3], v[4:5]
	v_mul_f64 v[4:5], v[36:37], v[16:17]
	s_waitcnt vmcnt(28)
	v_fmac_f64_e32 v[66:67], v[48:49], v[74:75]
	v_add_f64 v[54:55], v[54:55], v[64:65]
	v_fma_f64 v[4:5], v[34:35], v[80:81], -v[4:5]
	v_add_f64 v[58:59], v[54:55], v[66:67]
	ds_read_b128 v[54:57], v24 offset:1328
	s_waitcnt vmcnt(24) lgkmcnt(2)
	v_mul_f64 v[60:61], v[50:51], v[88:89]
	v_add_f64 v[2:3], v[2:3], v[4:5]
	v_mul_f64 v[4:5], v[40:41], v[12:13]
	s_waitcnt vmcnt(22)
	v_fmac_f64_e32 v[60:61], v[52:53], v[90:91]
	v_fma_f64 v[4:5], v[38:39], v[14:15], -v[4:5]
	v_add_f64 v[62:63], v[58:59], v[60:61]
	ds_read_b128 v[58:61], v24 offset:1344
	v_add_f64 v[2:3], v[2:3], v[4:5]
	v_mul_f64 v[4:5], v[44:45], v[76:77]
	v_fma_f64 v[4:5], v[42:43], v[82:83], -v[4:5]
	v_add_f64 v[2:3], v[2:3], v[4:5]
	v_mul_f64 v[4:5], v[48:49], v[22:23]
	s_waitcnt vmcnt(20) lgkmcnt(1)
	v_mul_f64 v[64:65], v[54:55], v[84:85]
	v_fma_f64 v[4:5], v[46:47], v[74:75], -v[4:5]
	v_fmac_f64_e32 v[64:65], v[56:57], v[86:87]
	v_add_f64 v[2:3], v[2:3], v[4:5]
	v_mul_f64 v[4:5], v[52:53], v[88:89]
	v_add_f64 v[66:67], v[62:63], v[64:65]
	ds_read_b128 v[62:65], v24 offset:1360
	s_waitcnt vmcnt(16) lgkmcnt(1)
	v_mul_f64 v[68:69], v[58:59], v[96:97]
	v_fma_f64 v[4:5], v[50:51], v[90:91], -v[4:5]
	s_waitcnt vmcnt(14)
	v_fmac_f64_e32 v[68:69], v[60:61], v[98:99]
	v_add_f64 v[2:3], v[2:3], v[4:5]
	v_mul_f64 v[4:5], v[56:57], v[84:85]
	v_add_f64 v[112:113], v[66:67], v[68:69]
	ds_read_b128 v[66:69], v24 offset:1376
	v_fma_f64 v[4:5], v[54:55], v[86:87], -v[4:5]
	v_add_f64 v[2:3], v[2:3], v[4:5]
	v_mul_f64 v[4:5], v[60:61], v[96:97]
	v_fma_f64 v[4:5], v[58:59], v[98:99], -v[4:5]
	v_add_f64 v[2:3], v[2:3], v[4:5]
	s_waitcnt vmcnt(12) lgkmcnt(1)
	v_mul_f64 v[4:5], v[64:65], v[92:93]
	v_mul_f64 v[114:115], v[62:63], v[92:93]
	v_fma_f64 v[4:5], v[62:63], v[94:95], -v[4:5]
	v_fmac_f64_e32 v[114:115], v[64:65], v[94:95]
	v_add_f64 v[2:3], v[2:3], v[4:5]
	s_waitcnt vmcnt(8) lgkmcnt(0)
	v_mul_f64 v[4:5], v[68:69], v[104:105]
	v_add_f64 v[112:113], v[112:113], v[114:115]
	v_mul_f64 v[114:115], v[66:67], v[104:105]
	s_waitcnt vmcnt(6)
	v_fma_f64 v[4:5], v[66:67], v[106:107], -v[4:5]
	v_fmac_f64_e32 v[114:115], v[68:69], v[106:107]
	v_add_f64 v[2:3], v[2:3], v[4:5]
	s_waitcnt vmcnt(5)
	v_mul_f64 v[4:5], v[72:73], v[100:101]
	v_add_f64 v[112:113], v[112:113], v[114:115]
	v_mul_f64 v[114:115], v[70:71], v[100:101]
	s_waitcnt vmcnt(4)
	v_fma_f64 v[4:5], v[70:71], v[102:103], -v[4:5]
	v_fmac_f64_e32 v[114:115], v[72:73], v[102:103]
	v_add_f64 v[2:3], v[2:3], v[4:5]
	v_add_f64 v[112:113], v[112:113], v[114:115]
	s_waitcnt vmcnt(2)
	v_add_f64 v[2:3], v[108:109], -v[2:3]
	s_waitcnt vmcnt(0)
	v_add_f64 v[4:5], v[110:111], -v[112:113]
	buffer_store_dword v3, off, s[0:3], 0 offset:500
	buffer_store_dword v2, off, s[0:3], 0 offset:496
	;; [unrolled: 1-line block ×4, first 2 shown]
	s_and_saveexec_b64 s[4:5], vcc
	s_cbranch_execz .LBB107_219
; %bb.218:
	v_accvgpr_read_b32 v0, a102
	buffer_load_dword v2, v0, s[0:3], 0 offen
	buffer_load_dword v3, v0, s[0:3], 0 offen offset:4
	buffer_load_dword v4, v0, s[0:3], 0 offen offset:8
	;; [unrolled: 1-line block ×3, first 2 shown]
	v_accvgpr_read_b32 v0, a132
	buffer_store_dword v24, off, s[0:3], 0 offset:480
	buffer_store_dword v24, off, s[0:3], 0 offset:484
	buffer_store_dword v24, off, s[0:3], 0 offset:488
	buffer_store_dword v24, off, s[0:3], 0 offset:492
	s_waitcnt vmcnt(4)
	ds_write_b128 v0, v[2:5]
.LBB107_219:
	s_or_b64 exec, exec, s[4:5]
	s_waitcnt lgkmcnt(0)
	; wave barrier
	s_waitcnt lgkmcnt(0)
	buffer_load_dword v2, off, s[0:3], 0 offset:496
	buffer_load_dword v3, off, s[0:3], 0 offset:500
	;; [unrolled: 1-line block ×60, first 2 shown]
	ds_read_b128 v[26:29], v24 offset:1184
	ds_read_b128 v[30:33], v24 offset:1200
	;; [unrolled: 1-line block ×8, first 2 shown]
	v_cmp_lt_u32_e32 vcc, 28, v255
	ds_read_b128 v[78:81], v24 offset:1392
	s_waitcnt vmcnt(56) lgkmcnt(8)
	v_mul_f64 v[58:59], v[26:27], v[6:7]
	v_fmac_f64_e32 v[58:59], v[28:29], v[2:3]
	v_add_f64 v[58:59], v[58:59], 0
	v_mul_f64 v[6:7], v[28:29], v[6:7]
	s_waitcnt vmcnt(52) lgkmcnt(7)
	v_mul_f64 v[60:61], v[30:31], v[8:9]
	v_fmac_f64_e32 v[60:61], v[32:33], v[4:5]
	s_waitcnt vmcnt(50) lgkmcnt(6)
	v_mul_f64 v[62:63], v[34:35], v[10:11]
	v_add_f64 v[58:59], v[58:59], v[60:61]
	s_waitcnt vmcnt(48) lgkmcnt(4)
	v_mul_f64 v[66:67], v[42:43], v[12:13]
	v_fma_f64 v[2:3], v[26:27], v[2:3], -v[6:7]
	s_waitcnt vmcnt(46)
	v_fmac_f64_e32 v[66:67], v[44:45], v[14:15]
	v_mul_f64 v[6:7], v[32:33], v[8:9]
	s_waitcnt vmcnt(44)
	v_mul_f64 v[64:65], v[38:39], v[16:17]
	v_add_f64 v[2:3], v[2:3], 0
	v_fma_f64 v[4:5], v[30:31], v[4:5], -v[6:7]
	v_add_f64 v[2:3], v[2:3], v[4:5]
	s_waitcnt vmcnt(40) lgkmcnt(3)
	v_mul_f64 v[68:69], v[46:47], v[22:23]
	v_mul_f64 v[4:5], v[36:37], v[10:11]
	s_waitcnt vmcnt(38)
	v_fmac_f64_e32 v[62:63], v[36:37], v[82:83]
	v_add_f64 v[58:59], v[58:59], v[62:63]
	s_waitcnt vmcnt(36)
	v_fmac_f64_e32 v[64:65], v[40:41], v[84:85]
	v_add_f64 v[58:59], v[58:59], v[64:65]
	;; [unrolled: 3-line block ×3, first 2 shown]
	s_waitcnt vmcnt(32) lgkmcnt(2)
	v_mul_f64 v[60:61], v[50:51], v[18:19]
	v_add_f64 v[58:59], v[58:59], v[68:69]
	v_fmac_f64_e32 v[60:61], v[52:53], v[20:21]
	v_add_f64 v[62:63], v[58:59], v[60:61]
	ds_read_b128 v[58:61], v24 offset:1312
	v_fma_f64 v[4:5], v[34:35], v[82:83], -v[4:5]
	v_add_f64 v[2:3], v[2:3], v[4:5]
	v_mul_f64 v[4:5], v[40:41], v[16:17]
	v_fma_f64 v[4:5], v[38:39], v[84:85], -v[4:5]
	s_waitcnt vmcnt(28) lgkmcnt(2)
	v_mul_f64 v[64:65], v[54:55], v[92:93]
	v_add_f64 v[2:3], v[2:3], v[4:5]
	v_mul_f64 v[4:5], v[44:45], v[12:13]
	s_waitcnt vmcnt(26)
	v_fmac_f64_e32 v[64:65], v[56:57], v[94:95]
	v_fma_f64 v[4:5], v[42:43], v[14:15], -v[4:5]
	v_add_f64 v[66:67], v[62:63], v[64:65]
	ds_read_b128 v[62:65], v24 offset:1328
	s_waitcnt vmcnt(24) lgkmcnt(1)
	v_mul_f64 v[68:69], v[58:59], v[88:89]
	v_add_f64 v[2:3], v[2:3], v[4:5]
	v_mul_f64 v[4:5], v[48:49], v[22:23]
	v_fmac_f64_e32 v[68:69], v[60:61], v[90:91]
	v_fma_f64 v[4:5], v[46:47], v[86:87], -v[4:5]
	v_add_f64 v[70:71], v[66:67], v[68:69]
	ds_read_b128 v[66:69], v24 offset:1344
	v_add_f64 v[2:3], v[2:3], v[4:5]
	v_mul_f64 v[4:5], v[52:53], v[18:19]
	v_fma_f64 v[4:5], v[50:51], v[20:21], -v[4:5]
	v_add_f64 v[2:3], v[2:3], v[4:5]
	v_mul_f64 v[4:5], v[56:57], v[92:93]
	s_waitcnt vmcnt(20) lgkmcnt(1)
	v_mul_f64 v[72:73], v[62:63], v[100:101]
	v_fma_f64 v[4:5], v[54:55], v[94:95], -v[4:5]
	s_waitcnt vmcnt(18)
	v_fmac_f64_e32 v[72:73], v[64:65], v[102:103]
	v_add_f64 v[2:3], v[2:3], v[4:5]
	v_mul_f64 v[4:5], v[60:61], v[88:89]
	v_add_f64 v[74:75], v[70:71], v[72:73]
	ds_read_b128 v[70:73], v24 offset:1360
	s_waitcnt vmcnt(16) lgkmcnt(1)
	v_mul_f64 v[76:77], v[66:67], v[96:97]
	v_fma_f64 v[4:5], v[58:59], v[90:91], -v[4:5]
	v_fmac_f64_e32 v[76:77], v[68:69], v[98:99]
	v_add_f64 v[2:3], v[2:3], v[4:5]
	v_mul_f64 v[4:5], v[64:65], v[100:101]
	v_add_f64 v[120:121], v[74:75], v[76:77]
	ds_read_b128 v[74:77], v24 offset:1376
	v_fma_f64 v[4:5], v[62:63], v[102:103], -v[4:5]
	v_add_f64 v[2:3], v[2:3], v[4:5]
	v_mul_f64 v[4:5], v[68:69], v[96:97]
	v_fma_f64 v[4:5], v[66:67], v[98:99], -v[4:5]
	v_add_f64 v[2:3], v[2:3], v[4:5]
	s_waitcnt vmcnt(12) lgkmcnt(1)
	v_mul_f64 v[4:5], v[72:73], v[108:109]
	v_mul_f64 v[122:123], v[70:71], v[108:109]
	s_waitcnt vmcnt(10)
	v_fma_f64 v[4:5], v[70:71], v[110:111], -v[4:5]
	v_fmac_f64_e32 v[122:123], v[72:73], v[110:111]
	v_add_f64 v[2:3], v[2:3], v[4:5]
	s_waitcnt vmcnt(8) lgkmcnt(0)
	v_mul_f64 v[4:5], v[76:77], v[104:105]
	v_add_f64 v[24:25], v[120:121], v[122:123]
	v_mul_f64 v[120:121], v[74:75], v[104:105]
	v_fma_f64 v[4:5], v[74:75], v[106:107], -v[4:5]
	v_fmac_f64_e32 v[120:121], v[76:77], v[106:107]
	v_add_f64 v[2:3], v[2:3], v[4:5]
	s_waitcnt vmcnt(6)
	v_mul_f64 v[4:5], v[80:81], v[112:113]
	v_add_f64 v[24:25], v[24:25], v[120:121]
	v_mul_f64 v[120:121], v[78:79], v[112:113]
	s_waitcnt vmcnt(4)
	v_fma_f64 v[4:5], v[78:79], v[114:115], -v[4:5]
	v_fmac_f64_e32 v[120:121], v[80:81], v[114:115]
	v_add_f64 v[2:3], v[2:3], v[4:5]
	v_add_f64 v[24:25], v[24:25], v[120:121]
	s_waitcnt vmcnt(2)
	v_add_f64 v[2:3], v[116:117], -v[2:3]
	s_waitcnt vmcnt(0)
	v_add_f64 v[4:5], v[118:119], -v[24:25]
	buffer_store_dword v3, off, s[0:3], 0 offset:484
	buffer_store_dword v2, off, s[0:3], 0 offset:480
	;; [unrolled: 1-line block ×4, first 2 shown]
	s_and_saveexec_b64 s[4:5], vcc
	s_cbranch_execz .LBB107_221
; %bb.220:
	v_accvgpr_read_b32 v0, a103
	buffer_load_dword v2, v0, s[0:3], 0 offen
	buffer_load_dword v3, v0, s[0:3], 0 offen offset:4
	buffer_load_dword v4, v0, s[0:3], 0 offen offset:8
	;; [unrolled: 1-line block ×3, first 2 shown]
	v_mov_b32_e32 v0, 0
	v_accvgpr_read_b32 v1, a132
	buffer_store_dword v0, off, s[0:3], 0 offset:464
	buffer_store_dword v0, off, s[0:3], 0 offset:468
	;; [unrolled: 1-line block ×4, first 2 shown]
	s_waitcnt vmcnt(4)
	ds_write_b128 v1, v[2:5]
.LBB107_221:
	s_or_b64 exec, exec, s[4:5]
	s_waitcnt lgkmcnt(0)
	; wave barrier
	s_waitcnt lgkmcnt(0)
	buffer_load_dword v2, off, s[0:3], 0 offset:480
	buffer_load_dword v3, off, s[0:3], 0 offset:484
	;; [unrolled: 1-line block ×64, first 2 shown]
	v_mov_b32_e32 v46, 0
	ds_read_b128 v[38:41], v46 offset:1168
	ds_read_b128 v[42:45], v46 offset:1184
	;; [unrolled: 1-line block ×7, first 2 shown]
	v_cmp_lt_u32_e32 vcc, 27, v255
	s_waitcnt vmcnt(60) lgkmcnt(6)
	v_mul_f64 v[64:65], v[38:39], v[4:5]
	v_fmac_f64_e32 v[64:65], v[40:41], v[2:3]
	s_waitcnt vmcnt(58) lgkmcnt(5)
	v_mul_f64 v[66:67], v[42:43], v[6:7]
	v_add_f64 v[64:65], v[64:65], 0
	s_waitcnt vmcnt(56) lgkmcnt(4)
	v_mul_f64 v[68:69], v[48:49], v[8:9]
	v_mul_f64 v[4:5], v[40:41], v[4:5]
	s_waitcnt vmcnt(54) lgkmcnt(2)
	v_mul_f64 v[72:73], v[56:57], v[10:11]
	v_fma_f64 v[2:3], v[38:39], v[2:3], -v[4:5]
	v_mul_f64 v[4:5], v[44:45], v[6:7]
	s_waitcnt vmcnt(51)
	v_mul_f64 v[70:71], v[52:53], v[14:15]
	v_add_f64 v[2:3], v[2:3], 0
	s_waitcnt vmcnt(49)
	v_fmac_f64_e32 v[66:67], v[44:45], v[20:21]
	v_add_f64 v[64:65], v[64:65], v[66:67]
	s_waitcnt vmcnt(47)
	v_fmac_f64_e32 v[68:69], v[50:51], v[18:19]
	;; [unrolled: 3-line block ×4, first 2 shown]
	v_add_f64 v[68:69], v[64:65], v[72:73]
	ds_read_b128 v[64:67], v46 offset:1264
	s_waitcnt vmcnt(40) lgkmcnt(2)
	v_mul_f64 v[70:71], v[60:61], v[26:27]
	v_fma_f64 v[4:5], v[42:43], v[20:21], -v[4:5]
	s_waitcnt vmcnt(38)
	v_fmac_f64_e32 v[70:71], v[62:63], v[28:29]
	v_add_f64 v[72:73], v[68:69], v[70:71]
	ds_read_b128 v[68:71], v46 offset:1280
	s_waitcnt vmcnt(37) lgkmcnt(1)
	v_mul_f64 v[74:75], v[64:65], v[22:23]
	s_waitcnt vmcnt(36)
	v_fmac_f64_e32 v[74:75], v[66:67], v[24:25]
	v_add_f64 v[2:3], v[2:3], v[4:5]
	v_mul_f64 v[4:5], v[50:51], v[8:9]
	v_add_f64 v[76:77], v[72:73], v[74:75]
	ds_read_b128 v[72:75], v46 offset:1296
	s_waitcnt vmcnt(32) lgkmcnt(1)
	v_mul_f64 v[78:79], v[68:69], v[34:35]
	v_fma_f64 v[4:5], v[48:49], v[18:19], -v[4:5]
	s_waitcnt vmcnt(30)
	v_fmac_f64_e32 v[78:79], v[70:71], v[36:37]
	v_add_f64 v[2:3], v[2:3], v[4:5]
	v_mul_f64 v[4:5], v[54:55], v[14:15]
	v_add_f64 v[80:81], v[76:77], v[78:79]
	ds_read_b128 v[76:79], v46 offset:1312
	v_fma_f64 v[4:5], v[52:53], v[16:17], -v[4:5]
	v_add_f64 v[2:3], v[2:3], v[4:5]
	v_mul_f64 v[4:5], v[58:59], v[10:11]
	v_fma_f64 v[4:5], v[56:57], v[12:13], -v[4:5]
	s_waitcnt vmcnt(29) lgkmcnt(1)
	v_mul_f64 v[82:83], v[72:73], v[30:31]
	v_add_f64 v[2:3], v[2:3], v[4:5]
	v_mul_f64 v[4:5], v[62:63], v[26:27]
	s_waitcnt vmcnt(28)
	v_fmac_f64_e32 v[82:83], v[74:75], v[32:33]
	v_fma_f64 v[4:5], v[60:61], v[28:29], -v[4:5]
	v_add_f64 v[84:85], v[80:81], v[82:83]
	ds_read_b128 v[80:83], v46 offset:1328
	s_waitcnt vmcnt(24) lgkmcnt(1)
	v_mul_f64 v[86:87], v[76:77], v[104:105]
	v_add_f64 v[2:3], v[2:3], v[4:5]
	v_mul_f64 v[4:5], v[66:67], v[22:23]
	s_waitcnt vmcnt(22)
	v_fmac_f64_e32 v[86:87], v[78:79], v[106:107]
	v_fma_f64 v[4:5], v[64:65], v[24:25], -v[4:5]
	v_add_f64 v[88:89], v[84:85], v[86:87]
	ds_read_b128 v[84:87], v46 offset:1344
	v_add_f64 v[2:3], v[2:3], v[4:5]
	v_mul_f64 v[4:5], v[70:71], v[34:35]
	v_fma_f64 v[4:5], v[68:69], v[36:37], -v[4:5]
	v_add_f64 v[2:3], v[2:3], v[4:5]
	v_mul_f64 v[4:5], v[74:75], v[30:31]
	s_waitcnt vmcnt(21) lgkmcnt(1)
	v_mul_f64 v[90:91], v[80:81], v[100:101]
	v_fma_f64 v[4:5], v[72:73], v[32:33], -v[4:5]
	s_waitcnt vmcnt(20)
	v_fmac_f64_e32 v[90:91], v[82:83], v[102:103]
	v_add_f64 v[2:3], v[2:3], v[4:5]
	v_mul_f64 v[4:5], v[78:79], v[104:105]
	v_add_f64 v[92:93], v[88:89], v[90:91]
	ds_read_b128 v[88:91], v46 offset:1360
	s_waitcnt vmcnt(16) lgkmcnt(1)
	v_mul_f64 v[94:95], v[84:85], v[112:113]
	v_fma_f64 v[4:5], v[76:77], v[106:107], -v[4:5]
	s_waitcnt vmcnt(14)
	v_fmac_f64_e32 v[94:95], v[86:87], v[114:115]
	v_add_f64 v[2:3], v[2:3], v[4:5]
	v_mul_f64 v[4:5], v[82:83], v[100:101]
	v_add_f64 v[128:129], v[92:93], v[94:95]
	ds_read_b128 v[92:95], v46 offset:1376
	v_fma_f64 v[4:5], v[80:81], v[102:103], -v[4:5]
	v_add_f64 v[2:3], v[2:3], v[4:5]
	v_mul_f64 v[4:5], v[86:87], v[112:113]
	v_fma_f64 v[4:5], v[84:85], v[114:115], -v[4:5]
	v_add_f64 v[2:3], v[2:3], v[4:5]
	s_waitcnt vmcnt(13) lgkmcnt(1)
	v_mul_f64 v[4:5], v[90:91], v[108:109]
	v_mul_f64 v[130:131], v[88:89], v[108:109]
	s_waitcnt vmcnt(12)
	v_fma_f64 v[4:5], v[88:89], v[110:111], -v[4:5]
	v_fmac_f64_e32 v[130:131], v[90:91], v[110:111]
	v_add_f64 v[2:3], v[2:3], v[4:5]
	s_waitcnt vmcnt(8) lgkmcnt(0)
	v_mul_f64 v[4:5], v[94:95], v[120:121]
	v_add_f64 v[128:129], v[128:129], v[130:131]
	v_mul_f64 v[130:131], v[92:93], v[120:121]
	s_waitcnt vmcnt(6)
	v_fma_f64 v[4:5], v[92:93], v[122:123], -v[4:5]
	v_fmac_f64_e32 v[130:131], v[94:95], v[122:123]
	v_add_f64 v[2:3], v[2:3], v[4:5]
	s_waitcnt vmcnt(5)
	v_mul_f64 v[4:5], v[98:99], v[116:117]
	v_add_f64 v[128:129], v[128:129], v[130:131]
	v_mul_f64 v[130:131], v[96:97], v[116:117]
	s_waitcnt vmcnt(4)
	v_fma_f64 v[4:5], v[96:97], v[118:119], -v[4:5]
	v_fmac_f64_e32 v[130:131], v[98:99], v[118:119]
	v_add_f64 v[2:3], v[2:3], v[4:5]
	v_add_f64 v[128:129], v[128:129], v[130:131]
	s_waitcnt vmcnt(2)
	v_add_f64 v[2:3], v[124:125], -v[2:3]
	s_waitcnt vmcnt(0)
	v_add_f64 v[4:5], v[126:127], -v[128:129]
	buffer_store_dword v3, off, s[0:3], 0 offset:468
	buffer_store_dword v2, off, s[0:3], 0 offset:464
	;; [unrolled: 1-line block ×4, first 2 shown]
	s_and_saveexec_b64 s[4:5], vcc
	s_cbranch_execz .LBB107_223
; %bb.222:
	v_accvgpr_read_b32 v0, a104
	buffer_load_dword v2, v0, s[0:3], 0 offen
	buffer_load_dword v3, v0, s[0:3], 0 offen offset:4
	buffer_load_dword v4, v0, s[0:3], 0 offen offset:8
	buffer_load_dword v5, v0, s[0:3], 0 offen offset:12
	v_accvgpr_read_b32 v0, a132
	buffer_store_dword v46, off, s[0:3], 0 offset:448
	buffer_store_dword v46, off, s[0:3], 0 offset:452
	buffer_store_dword v46, off, s[0:3], 0 offset:456
	buffer_store_dword v46, off, s[0:3], 0 offset:460
	s_waitcnt vmcnt(4)
	ds_write_b128 v0, v[2:5]
.LBB107_223:
	s_or_b64 exec, exec, s[4:5]
	s_waitcnt lgkmcnt(0)
	; wave barrier
	s_waitcnt lgkmcnt(0)
	buffer_load_dword v2, off, s[0:3], 0 offset:464
	buffer_load_dword v3, off, s[0:3], 0 offset:468
	;; [unrolled: 1-line block ×64, first 2 shown]
	ds_read_b128 v[48:51], v46 offset:1152
	ds_read_b128 v[52:55], v46 offset:1168
	;; [unrolled: 1-line block ×4, first 2 shown]
	buffer_load_dword v132, off, s[0:3], 0 offset:448
	buffer_load_dword v133, off, s[0:3], 0 offset:452
	buffer_load_dword v134, off, s[0:3], 0 offset:456
	buffer_load_dword v135, off, s[0:3], 0 offset:460
	v_cmp_lt_u32_e32 vcc, 26, v255
	ds_read_b128 v[108:111], v46 offset:1392
	s_waitcnt vmcnt(62) lgkmcnt(4)
	v_mul_f64 v[64:65], v[48:49], v[4:5]
	v_fmac_f64_e32 v[64:65], v[50:51], v[2:3]
	v_add_f64 v[64:65], v[64:65], 0
	s_waitcnt lgkmcnt(2)
	v_mul_f64 v[68:69], v[56:57], v[6:7]
	v_mul_f64 v[4:5], v[50:51], v[4:5]
	v_fma_f64 v[2:3], v[48:49], v[2:3], -v[4:5]
	s_waitcnt vmcnt(58) lgkmcnt(1)
	v_mul_f64 v[70:71], v[60:61], v[12:13]
	v_add_f64 v[2:3], v[2:3], 0
	s_waitcnt vmcnt(56)
	v_mul_f64 v[66:67], v[52:53], v[18:19]
	v_mul_f64 v[4:5], v[54:55], v[18:19]
	s_waitcnt vmcnt(53)
	v_fmac_f64_e32 v[68:69], v[58:59], v[16:17]
	s_waitcnt vmcnt(52)
	v_fmac_f64_e32 v[66:67], v[54:55], v[20:21]
	v_add_f64 v[72:73], v[64:65], v[66:67]
	ds_read_b128 v[64:67], v46 offset:1216
	v_add_f64 v[68:69], v[72:73], v[68:69]
	s_waitcnt vmcnt(50)
	v_fmac_f64_e32 v[70:71], v[62:63], v[14:15]
	v_add_f64 v[72:73], v[68:69], v[70:71]
	ds_read_b128 v[68:71], v46 offset:1232
	s_waitcnt vmcnt(49) lgkmcnt(1)
	v_mul_f64 v[74:75], v[64:65], v[8:9]
	s_waitcnt vmcnt(48)
	v_fmac_f64_e32 v[74:75], v[66:67], v[10:11]
	v_add_f64 v[76:77], v[72:73], v[74:75]
	ds_read_b128 v[72:75], v46 offset:1248
	s_waitcnt vmcnt(44) lgkmcnt(1)
	v_mul_f64 v[78:79], v[68:69], v[26:27]
	;; [unrolled: 6-line block ×3, first 2 shown]
	s_waitcnt vmcnt(40)
	v_fmac_f64_e32 v[82:83], v[74:75], v[24:25]
	v_add_f64 v[84:85], v[80:81], v[82:83]
	ds_read_b128 v[80:83], v46 offset:1280
	v_fma_f64 v[4:5], v[52:53], v[20:21], -v[4:5]
	v_add_f64 v[2:3], v[2:3], v[4:5]
	v_mul_f64 v[4:5], v[58:59], v[6:7]
	s_waitcnt vmcnt(36) lgkmcnt(1)
	v_mul_f64 v[86:87], v[76:77], v[34:35]
	v_fma_f64 v[4:5], v[56:57], v[16:17], -v[4:5]
	s_waitcnt vmcnt(34)
	v_fmac_f64_e32 v[86:87], v[78:79], v[36:37]
	v_add_f64 v[2:3], v[2:3], v[4:5]
	v_mul_f64 v[4:5], v[62:63], v[12:13]
	v_add_f64 v[88:89], v[84:85], v[86:87]
	ds_read_b128 v[84:87], v46 offset:1296
	s_waitcnt vmcnt(33) lgkmcnt(1)
	v_mul_f64 v[90:91], v[80:81], v[30:31]
	v_fma_f64 v[4:5], v[60:61], v[14:15], -v[4:5]
	s_waitcnt vmcnt(32)
	v_fmac_f64_e32 v[90:91], v[82:83], v[32:33]
	v_add_f64 v[2:3], v[2:3], v[4:5]
	v_mul_f64 v[4:5], v[66:67], v[8:9]
	v_add_f64 v[92:93], v[88:89], v[90:91]
	ds_read_b128 v[88:91], v46 offset:1312
	v_fma_f64 v[4:5], v[64:65], v[10:11], -v[4:5]
	v_add_f64 v[2:3], v[2:3], v[4:5]
	v_mul_f64 v[4:5], v[70:71], v[26:27]
	v_fma_f64 v[4:5], v[68:69], v[28:29], -v[4:5]
	s_waitcnt vmcnt(28) lgkmcnt(1)
	v_mul_f64 v[94:95], v[84:85], v[42:43]
	v_add_f64 v[2:3], v[2:3], v[4:5]
	v_mul_f64 v[4:5], v[74:75], v[22:23]
	s_waitcnt vmcnt(26)
	v_fmac_f64_e32 v[94:95], v[86:87], v[44:45]
	v_fma_f64 v[4:5], v[72:73], v[24:25], -v[4:5]
	v_add_f64 v[96:97], v[92:93], v[94:95]
	ds_read_b128 v[92:95], v46 offset:1328
	s_waitcnt vmcnt(25) lgkmcnt(1)
	v_mul_f64 v[98:99], v[88:89], v[38:39]
	v_add_f64 v[2:3], v[2:3], v[4:5]
	v_mul_f64 v[4:5], v[78:79], v[34:35]
	s_waitcnt vmcnt(24)
	v_fmac_f64_e32 v[98:99], v[90:91], v[40:41]
	v_fma_f64 v[4:5], v[76:77], v[36:37], -v[4:5]
	v_add_f64 v[100:101], v[96:97], v[98:99]
	ds_read_b128 v[96:99], v46 offset:1344
	v_add_f64 v[2:3], v[2:3], v[4:5]
	v_mul_f64 v[4:5], v[82:83], v[30:31]
	v_fma_f64 v[4:5], v[80:81], v[32:33], -v[4:5]
	v_add_f64 v[2:3], v[2:3], v[4:5]
	v_mul_f64 v[4:5], v[86:87], v[42:43]
	s_waitcnt vmcnt(20) lgkmcnt(1)
	v_mul_f64 v[102:103], v[92:93], v[116:117]
	v_fma_f64 v[4:5], v[84:85], v[44:45], -v[4:5]
	s_waitcnt vmcnt(18)
	v_fmac_f64_e32 v[102:103], v[94:95], v[118:119]
	v_add_f64 v[2:3], v[2:3], v[4:5]
	v_mul_f64 v[4:5], v[90:91], v[38:39]
	v_add_f64 v[104:105], v[100:101], v[102:103]
	ds_read_b128 v[100:103], v46 offset:1360
	s_waitcnt vmcnt(17) lgkmcnt(1)
	v_mul_f64 v[106:107], v[96:97], v[112:113]
	v_fma_f64 v[4:5], v[88:89], v[40:41], -v[4:5]
	s_waitcnt vmcnt(16)
	v_fmac_f64_e32 v[106:107], v[98:99], v[114:115]
	v_add_f64 v[2:3], v[2:3], v[4:5]
	v_mul_f64 v[4:5], v[94:95], v[116:117]
	v_add_f64 v[136:137], v[104:105], v[106:107]
	ds_read_b128 v[104:107], v46 offset:1376
	v_fma_f64 v[4:5], v[92:93], v[118:119], -v[4:5]
	v_add_f64 v[2:3], v[2:3], v[4:5]
	v_mul_f64 v[4:5], v[98:99], v[112:113]
	v_fma_f64 v[4:5], v[96:97], v[114:115], -v[4:5]
	v_add_f64 v[2:3], v[2:3], v[4:5]
	s_waitcnt vmcnt(12) lgkmcnt(1)
	v_mul_f64 v[4:5], v[102:103], v[124:125]
	v_mul_f64 v[138:139], v[100:101], v[124:125]
	s_waitcnt vmcnt(10)
	v_fma_f64 v[4:5], v[100:101], v[126:127], -v[4:5]
	v_fmac_f64_e32 v[138:139], v[102:103], v[126:127]
	v_add_f64 v[2:3], v[2:3], v[4:5]
	s_waitcnt vmcnt(9) lgkmcnt(0)
	v_mul_f64 v[4:5], v[106:107], v[120:121]
	v_add_f64 v[46:47], v[136:137], v[138:139]
	v_mul_f64 v[136:137], v[104:105], v[120:121]
	s_waitcnt vmcnt(8)
	v_fma_f64 v[4:5], v[104:105], v[122:123], -v[4:5]
	v_fmac_f64_e32 v[136:137], v[106:107], v[122:123]
	v_add_f64 v[2:3], v[2:3], v[4:5]
	s_waitcnt vmcnt(6)
	v_mul_f64 v[4:5], v[110:111], v[128:129]
	v_add_f64 v[46:47], v[46:47], v[136:137]
	v_mul_f64 v[136:137], v[108:109], v[128:129]
	s_waitcnt vmcnt(4)
	v_fma_f64 v[4:5], v[108:109], v[130:131], -v[4:5]
	v_fmac_f64_e32 v[136:137], v[110:111], v[130:131]
	v_add_f64 v[2:3], v[2:3], v[4:5]
	v_add_f64 v[46:47], v[46:47], v[136:137]
	s_waitcnt vmcnt(2)
	v_add_f64 v[2:3], v[132:133], -v[2:3]
	s_waitcnt vmcnt(0)
	v_add_f64 v[4:5], v[134:135], -v[46:47]
	buffer_store_dword v3, off, s[0:3], 0 offset:452
	buffer_store_dword v2, off, s[0:3], 0 offset:448
	;; [unrolled: 1-line block ×4, first 2 shown]
	s_and_saveexec_b64 s[4:5], vcc
	s_cbranch_execz .LBB107_225
; %bb.224:
	v_accvgpr_read_b32 v0, a105
	buffer_load_dword v2, v0, s[0:3], 0 offen
	buffer_load_dword v3, v0, s[0:3], 0 offen offset:4
	buffer_load_dword v4, v0, s[0:3], 0 offen offset:8
	;; [unrolled: 1-line block ×3, first 2 shown]
	v_mov_b32_e32 v0, 0
	v_accvgpr_read_b32 v1, a132
	buffer_store_dword v0, off, s[0:3], 0 offset:432
	buffer_store_dword v0, off, s[0:3], 0 offset:436
	;; [unrolled: 1-line block ×4, first 2 shown]
	s_waitcnt vmcnt(4)
	ds_write_b128 v1, v[2:5]
.LBB107_225:
	s_or_b64 exec, exec, s[4:5]
	s_waitcnt lgkmcnt(0)
	; wave barrier
	s_waitcnt lgkmcnt(0)
	buffer_load_dword v2, off, s[0:3], 0 offset:448
	buffer_load_dword v3, off, s[0:3], 0 offset:452
	;; [unrolled: 1-line block ×68, first 2 shown]
	v_mov_b32_e32 v52, 0
	buffer_load_dword v140, off, s[0:3], 0 offset:432
	buffer_load_dword v141, off, s[0:3], 0 offset:436
	;; [unrolled: 1-line block ×3, first 2 shown]
	ds_read_b128 v[46:49], v52 offset:1136
	ds_read_b128 v[54:57], v52 offset:1152
	buffer_load_dword v143, off, s[0:3], 0 offset:444
	ds_read_b128 v[58:61], v52 offset:1168
	ds_read_b128 v[62:65], v52 offset:1184
	;; [unrolled: 1-line block ×3, first 2 shown]
	v_cmp_lt_u32_e32 vcc, 25, v255
	s_waitcnt vmcnt(62) lgkmcnt(4)
	v_mul_f64 v[66:67], v[46:47], v[6:7]
	v_fmac_f64_e32 v[66:67], v[48:49], v[2:3]
	v_add_f64 v[66:67], v[66:67], 0
	v_mul_f64 v[6:7], v[48:49], v[6:7]
	s_waitcnt lgkmcnt(3)
	v_mul_f64 v[68:69], v[54:55], v[10:11]
	v_fmac_f64_e32 v[68:69], v[56:57], v[4:5]
	v_add_f64 v[66:67], v[66:67], v[68:69]
	v_fma_f64 v[2:3], v[46:47], v[2:3], -v[6:7]
	s_waitcnt vmcnt(60) lgkmcnt(2)
	v_mul_f64 v[68:69], v[58:59], v[12:13]
	v_fmac_f64_e32 v[68:69], v[60:61], v[8:9]
	v_add_f64 v[70:71], v[66:67], v[68:69]
	ds_read_b128 v[66:69], v52 offset:1200
	s_waitcnt vmcnt(56) lgkmcnt(2)
	v_mul_f64 v[72:73], v[62:63], v[18:19]
	v_mul_f64 v[6:7], v[56:57], v[10:11]
	s_waitcnt vmcnt(54)
	v_fmac_f64_e32 v[72:73], v[64:65], v[20:21]
	v_add_f64 v[74:75], v[70:71], v[72:73]
	ds_read_b128 v[70:73], v52 offset:1216
	s_waitcnt vmcnt(53) lgkmcnt(1)
	v_mul_f64 v[76:77], v[66:67], v[14:15]
	s_waitcnt vmcnt(52)
	v_fmac_f64_e32 v[76:77], v[68:69], v[16:17]
	v_add_f64 v[78:79], v[74:75], v[76:77]
	ds_read_b128 v[74:77], v52 offset:1232
	s_waitcnt vmcnt(48) lgkmcnt(1)
	;; [unrolled: 6-line block ×4, first 2 shown]
	v_mul_f64 v[88:89], v[78:79], v[34:35]
	s_waitcnt vmcnt(38)
	v_fmac_f64_e32 v[88:89], v[80:81], v[36:37]
	v_add_f64 v[2:3], v[2:3], 0
	v_fma_f64 v[4:5], v[54:55], v[4:5], -v[6:7]
	v_add_f64 v[90:91], v[86:87], v[88:89]
	ds_read_b128 v[86:89], v52 offset:1280
	v_add_f64 v[2:3], v[2:3], v[4:5]
	v_mul_f64 v[4:5], v[60:61], v[12:13]
	v_fma_f64 v[4:5], v[58:59], v[8:9], -v[4:5]
	v_add_f64 v[2:3], v[2:3], v[4:5]
	v_mul_f64 v[4:5], v[64:65], v[18:19]
	s_waitcnt vmcnt(37) lgkmcnt(1)
	v_mul_f64 v[92:93], v[82:83], v[30:31]
	v_fma_f64 v[4:5], v[62:63], v[20:21], -v[4:5]
	s_waitcnt vmcnt(36)
	v_fmac_f64_e32 v[92:93], v[84:85], v[32:33]
	v_add_f64 v[2:3], v[2:3], v[4:5]
	v_mul_f64 v[4:5], v[68:69], v[14:15]
	v_add_f64 v[94:95], v[90:91], v[92:93]
	ds_read_b128 v[90:93], v52 offset:1296
	s_waitcnt vmcnt(32) lgkmcnt(1)
	v_mul_f64 v[96:97], v[86:87], v[42:43]
	v_fma_f64 v[4:5], v[66:67], v[16:17], -v[4:5]
	s_waitcnt vmcnt(30)
	v_fmac_f64_e32 v[96:97], v[88:89], v[44:45]
	v_add_f64 v[2:3], v[2:3], v[4:5]
	v_mul_f64 v[4:5], v[72:73], v[26:27]
	v_add_f64 v[98:99], v[94:95], v[96:97]
	ds_read_b128 v[94:97], v52 offset:1312
	v_fma_f64 v[4:5], v[70:71], v[28:29], -v[4:5]
	v_add_f64 v[2:3], v[2:3], v[4:5]
	v_mul_f64 v[4:5], v[76:77], v[22:23]
	v_fma_f64 v[4:5], v[74:75], v[24:25], -v[4:5]
	s_waitcnt vmcnt(29) lgkmcnt(1)
	v_mul_f64 v[100:101], v[90:91], v[38:39]
	v_add_f64 v[2:3], v[2:3], v[4:5]
	v_mul_f64 v[4:5], v[80:81], v[34:35]
	s_waitcnt vmcnt(28)
	v_fmac_f64_e32 v[100:101], v[92:93], v[40:41]
	v_fma_f64 v[4:5], v[78:79], v[36:37], -v[4:5]
	v_add_f64 v[102:103], v[98:99], v[100:101]
	ds_read_b128 v[98:101], v52 offset:1328
	s_waitcnt vmcnt(24) lgkmcnt(1)
	v_mul_f64 v[104:105], v[94:95], v[120:121]
	v_add_f64 v[2:3], v[2:3], v[4:5]
	v_mul_f64 v[4:5], v[84:85], v[30:31]
	s_waitcnt vmcnt(22)
	v_fmac_f64_e32 v[104:105], v[96:97], v[122:123]
	v_fma_f64 v[4:5], v[82:83], v[32:33], -v[4:5]
	v_add_f64 v[106:107], v[102:103], v[104:105]
	ds_read_b128 v[102:105], v52 offset:1344
	v_add_f64 v[2:3], v[2:3], v[4:5]
	v_mul_f64 v[4:5], v[88:89], v[42:43]
	v_fma_f64 v[4:5], v[86:87], v[44:45], -v[4:5]
	v_add_f64 v[2:3], v[2:3], v[4:5]
	v_mul_f64 v[4:5], v[92:93], v[38:39]
	s_waitcnt vmcnt(21) lgkmcnt(1)
	v_mul_f64 v[108:109], v[98:99], v[50:51]
	v_fma_f64 v[4:5], v[90:91], v[40:41], -v[4:5]
	s_waitcnt vmcnt(20)
	v_fmac_f64_e32 v[108:109], v[100:101], v[118:119]
	v_add_f64 v[2:3], v[2:3], v[4:5]
	v_mul_f64 v[4:5], v[96:97], v[120:121]
	v_add_f64 v[110:111], v[106:107], v[108:109]
	ds_read_b128 v[106:109], v52 offset:1360
	s_waitcnt vmcnt(16) lgkmcnt(1)
	v_mul_f64 v[112:113], v[102:103], v[128:129]
	v_fma_f64 v[4:5], v[94:95], v[122:123], -v[4:5]
	s_waitcnt vmcnt(14)
	v_fmac_f64_e32 v[112:113], v[104:105], v[130:131]
	v_add_f64 v[2:3], v[2:3], v[4:5]
	v_mul_f64 v[4:5], v[100:101], v[50:51]
	v_add_f64 v[144:145], v[110:111], v[112:113]
	ds_read_b128 v[110:113], v52 offset:1376
	v_fma_f64 v[4:5], v[98:99], v[118:119], -v[4:5]
	v_add_f64 v[2:3], v[2:3], v[4:5]
	v_mul_f64 v[4:5], v[104:105], v[128:129]
	v_fma_f64 v[4:5], v[102:103], v[130:131], -v[4:5]
	v_add_f64 v[2:3], v[2:3], v[4:5]
	s_waitcnt vmcnt(13) lgkmcnt(1)
	v_mul_f64 v[4:5], v[108:109], v[124:125]
	v_mul_f64 v[146:147], v[106:107], v[124:125]
	s_waitcnt vmcnt(12)
	v_fma_f64 v[4:5], v[106:107], v[126:127], -v[4:5]
	v_fmac_f64_e32 v[146:147], v[108:109], v[126:127]
	v_add_f64 v[2:3], v[2:3], v[4:5]
	s_waitcnt vmcnt(8) lgkmcnt(0)
	v_mul_f64 v[4:5], v[112:113], v[136:137]
	v_add_f64 v[144:145], v[144:145], v[146:147]
	v_mul_f64 v[146:147], v[110:111], v[136:137]
	s_waitcnt vmcnt(6)
	v_fma_f64 v[4:5], v[110:111], v[138:139], -v[4:5]
	v_fmac_f64_e32 v[146:147], v[112:113], v[138:139]
	v_add_f64 v[2:3], v[2:3], v[4:5]
	s_waitcnt vmcnt(5)
	v_mul_f64 v[4:5], v[116:117], v[132:133]
	v_add_f64 v[144:145], v[144:145], v[146:147]
	v_mul_f64 v[146:147], v[114:115], v[132:133]
	s_waitcnt vmcnt(4)
	v_fma_f64 v[4:5], v[114:115], v[134:135], -v[4:5]
	v_fmac_f64_e32 v[146:147], v[116:117], v[134:135]
	v_add_f64 v[2:3], v[2:3], v[4:5]
	v_add_f64 v[144:145], v[144:145], v[146:147]
	s_waitcnt vmcnt(2)
	v_add_f64 v[2:3], v[140:141], -v[2:3]
	s_waitcnt vmcnt(0)
	v_add_f64 v[4:5], v[142:143], -v[144:145]
	buffer_store_dword v3, off, s[0:3], 0 offset:436
	buffer_store_dword v2, off, s[0:3], 0 offset:432
	;; [unrolled: 1-line block ×4, first 2 shown]
	s_and_saveexec_b64 s[4:5], vcc
	s_cbranch_execz .LBB107_227
; %bb.226:
	v_accvgpr_read_b32 v0, a106
	buffer_load_dword v2, v0, s[0:3], 0 offen
	buffer_load_dword v3, v0, s[0:3], 0 offen offset:4
	buffer_load_dword v4, v0, s[0:3], 0 offen offset:8
	;; [unrolled: 1-line block ×3, first 2 shown]
	v_accvgpr_read_b32 v0, a132
	buffer_store_dword v52, off, s[0:3], 0 offset:416
	buffer_store_dword v52, off, s[0:3], 0 offset:420
	;; [unrolled: 1-line block ×4, first 2 shown]
	s_waitcnt vmcnt(4)
	ds_write_b128 v0, v[2:5]
.LBB107_227:
	s_or_b64 exec, exec, s[4:5]
	s_waitcnt lgkmcnt(0)
	; wave barrier
	s_waitcnt lgkmcnt(0)
	buffer_load_dword v2, off, s[0:3], 0 offset:432
	buffer_load_dword v3, off, s[0:3], 0 offset:436
	;; [unrolled: 1-line block ×72, first 2 shown]
	ds_read_b128 v[54:57], v52 offset:1120
	buffer_load_dword v148, off, s[0:3], 0 offset:416
	buffer_load_dword v149, off, s[0:3], 0 offset:420
	buffer_load_dword v150, off, s[0:3], 0 offset:424
	buffer_load_dword v151, off, s[0:3], 0 offset:428
	ds_read_b128 v[58:61], v52 offset:1136
	ds_read_b128 v[62:65], v52 offset:1152
	;; [unrolled: 1-line block ×3, first 2 shown]
	v_cmp_lt_u32_e32 vcc, 24, v255
	ds_read_b128 v[122:125], v52 offset:1392
	s_waitcnt vmcnt(62) lgkmcnt(4)
	v_mul_f64 v[70:71], v[54:55], v[8:9]
	v_fmac_f64_e32 v[70:71], v[56:57], v[2:3]
	v_add_f64 v[70:71], v[70:71], 0
	v_mul_f64 v[8:9], v[56:57], v[8:9]
	s_waitcnt lgkmcnt(3)
	v_mul_f64 v[72:73], v[58:59], v[10:11]
	v_fmac_f64_e32 v[72:73], v[60:61], v[4:5]
	v_add_f64 v[70:71], v[70:71], v[72:73]
	v_fma_f64 v[2:3], v[54:55], v[2:3], -v[8:9]
	s_waitcnt lgkmcnt(2)
	v_mul_f64 v[72:73], v[62:63], v[12:13]
	v_fmac_f64_e32 v[72:73], v[64:65], v[6:7]
	v_add_f64 v[74:75], v[70:71], v[72:73]
	ds_read_b128 v[70:73], v52 offset:1184
	s_waitcnt vmcnt(60) lgkmcnt(2)
	v_mul_f64 v[76:77], v[66:67], v[18:19]
	v_mul_f64 v[8:9], v[60:61], v[10:11]
	s_waitcnt vmcnt(58)
	v_fmac_f64_e32 v[76:77], v[68:69], v[20:21]
	v_add_f64 v[78:79], v[74:75], v[76:77]
	ds_read_b128 v[74:77], v52 offset:1200
	s_waitcnt vmcnt(57) lgkmcnt(1)
	v_mul_f64 v[80:81], v[70:71], v[14:15]
	s_waitcnt vmcnt(56)
	v_fmac_f64_e32 v[80:81], v[72:73], v[16:17]
	v_add_f64 v[82:83], v[78:79], v[80:81]
	ds_read_b128 v[78:81], v52 offset:1216
	s_waitcnt vmcnt(52) lgkmcnt(1)
	;; [unrolled: 6-line block ×4, first 2 shown]
	v_mul_f64 v[92:93], v[82:83], v[34:35]
	s_waitcnt vmcnt(42)
	v_fmac_f64_e32 v[92:93], v[84:85], v[36:37]
	v_add_f64 v[2:3], v[2:3], 0
	v_fma_f64 v[4:5], v[58:59], v[4:5], -v[8:9]
	v_add_f64 v[94:95], v[90:91], v[92:93]
	ds_read_b128 v[90:93], v52 offset:1264
	s_waitcnt vmcnt(41) lgkmcnt(1)
	v_mul_f64 v[96:97], v[86:87], v[30:31]
	v_add_f64 v[2:3], v[2:3], v[4:5]
	v_mul_f64 v[4:5], v[64:65], v[12:13]
	s_waitcnt vmcnt(40)
	v_fmac_f64_e32 v[96:97], v[88:89], v[32:33]
	v_fma_f64 v[4:5], v[62:63], v[6:7], -v[4:5]
	v_add_f64 v[98:99], v[94:95], v[96:97]
	ds_read_b128 v[94:97], v52 offset:1280
	v_add_f64 v[2:3], v[2:3], v[4:5]
	v_mul_f64 v[4:5], v[68:69], v[18:19]
	v_fma_f64 v[4:5], v[66:67], v[20:21], -v[4:5]
	v_add_f64 v[2:3], v[2:3], v[4:5]
	v_mul_f64 v[4:5], v[72:73], v[14:15]
	s_waitcnt vmcnt(36) lgkmcnt(1)
	v_mul_f64 v[100:101], v[90:91], v[42:43]
	v_fma_f64 v[4:5], v[70:71], v[16:17], -v[4:5]
	s_waitcnt vmcnt(34)
	v_fmac_f64_e32 v[100:101], v[92:93], v[44:45]
	v_add_f64 v[2:3], v[2:3], v[4:5]
	v_mul_f64 v[4:5], v[76:77], v[26:27]
	v_add_f64 v[102:103], v[98:99], v[100:101]
	ds_read_b128 v[98:101], v52 offset:1296
	s_waitcnt vmcnt(33) lgkmcnt(1)
	v_mul_f64 v[104:105], v[94:95], v[38:39]
	v_fma_f64 v[4:5], v[74:75], v[28:29], -v[4:5]
	s_waitcnt vmcnt(32)
	v_fmac_f64_e32 v[104:105], v[96:97], v[40:41]
	v_add_f64 v[2:3], v[2:3], v[4:5]
	v_mul_f64 v[4:5], v[80:81], v[22:23]
	v_add_f64 v[106:107], v[102:103], v[104:105]
	ds_read_b128 v[102:105], v52 offset:1312
	v_fma_f64 v[4:5], v[78:79], v[24:25], -v[4:5]
	v_add_f64 v[2:3], v[2:3], v[4:5]
	v_mul_f64 v[4:5], v[84:85], v[34:35]
	v_fma_f64 v[4:5], v[82:83], v[36:37], -v[4:5]
	s_waitcnt vmcnt(28) lgkmcnt(1)
	v_mul_f64 v[108:109], v[98:99], v[50:51]
	v_add_f64 v[2:3], v[2:3], v[4:5]
	v_mul_f64 v[4:5], v[88:89], v[30:31]
	s_waitcnt vmcnt(26)
	v_fmac_f64_e32 v[108:109], v[100:101], v[126:127]
	v_fma_f64 v[4:5], v[86:87], v[32:33], -v[4:5]
	v_add_f64 v[110:111], v[106:107], v[108:109]
	ds_read_b128 v[106:109], v52 offset:1328
	s_waitcnt vmcnt(25) lgkmcnt(1)
	v_mul_f64 v[112:113], v[102:103], v[46:47]
	v_add_f64 v[2:3], v[2:3], v[4:5]
	v_mul_f64 v[4:5], v[92:93], v[42:43]
	s_waitcnt vmcnt(24)
	v_fmac_f64_e32 v[112:113], v[104:105], v[48:49]
	v_fma_f64 v[4:5], v[90:91], v[44:45], -v[4:5]
	v_add_f64 v[114:115], v[110:111], v[112:113]
	ds_read_b128 v[110:113], v52 offset:1344
	v_add_f64 v[2:3], v[2:3], v[4:5]
	v_mul_f64 v[4:5], v[96:97], v[38:39]
	v_fma_f64 v[4:5], v[94:95], v[40:41], -v[4:5]
	v_add_f64 v[2:3], v[2:3], v[4:5]
	v_mul_f64 v[4:5], v[100:101], v[50:51]
	s_waitcnt vmcnt(20) lgkmcnt(1)
	v_mul_f64 v[116:117], v[106:107], v[132:133]
	v_fma_f64 v[4:5], v[98:99], v[126:127], -v[4:5]
	s_waitcnt vmcnt(18)
	v_fmac_f64_e32 v[116:117], v[108:109], v[134:135]
	v_add_f64 v[2:3], v[2:3], v[4:5]
	v_mul_f64 v[4:5], v[104:105], v[46:47]
	v_add_f64 v[118:119], v[114:115], v[116:117]
	ds_read_b128 v[114:117], v52 offset:1360
	s_waitcnt vmcnt(17) lgkmcnt(1)
	v_mul_f64 v[120:121], v[110:111], v[128:129]
	v_fma_f64 v[4:5], v[102:103], v[48:49], -v[4:5]
	s_waitcnt vmcnt(16)
	v_fmac_f64_e32 v[120:121], v[112:113], v[130:131]
	v_add_f64 v[2:3], v[2:3], v[4:5]
	v_mul_f64 v[4:5], v[108:109], v[132:133]
	v_add_f64 v[152:153], v[118:119], v[120:121]
	ds_read_b128 v[118:121], v52 offset:1376
	v_fma_f64 v[4:5], v[106:107], v[134:135], -v[4:5]
	v_add_f64 v[2:3], v[2:3], v[4:5]
	v_mul_f64 v[4:5], v[112:113], v[128:129]
	v_fma_f64 v[4:5], v[110:111], v[130:131], -v[4:5]
	v_add_f64 v[2:3], v[2:3], v[4:5]
	s_waitcnt vmcnt(12) lgkmcnt(1)
	v_mul_f64 v[4:5], v[116:117], v[140:141]
	v_mul_f64 v[154:155], v[114:115], v[140:141]
	s_waitcnt vmcnt(10)
	v_fma_f64 v[4:5], v[114:115], v[142:143], -v[4:5]
	v_fmac_f64_e32 v[154:155], v[116:117], v[142:143]
	v_add_f64 v[2:3], v[2:3], v[4:5]
	s_waitcnt vmcnt(9) lgkmcnt(0)
	v_mul_f64 v[4:5], v[120:121], v[136:137]
	v_add_f64 v[52:53], v[152:153], v[154:155]
	v_mul_f64 v[152:153], v[118:119], v[136:137]
	s_waitcnt vmcnt(8)
	v_fma_f64 v[4:5], v[118:119], v[138:139], -v[4:5]
	v_fmac_f64_e32 v[152:153], v[120:121], v[138:139]
	v_add_f64 v[2:3], v[2:3], v[4:5]
	s_waitcnt vmcnt(6)
	v_mul_f64 v[4:5], v[124:125], v[144:145]
	v_add_f64 v[52:53], v[52:53], v[152:153]
	v_mul_f64 v[152:153], v[122:123], v[144:145]
	s_waitcnt vmcnt(4)
	v_fma_f64 v[4:5], v[122:123], v[146:147], -v[4:5]
	v_fmac_f64_e32 v[152:153], v[124:125], v[146:147]
	v_add_f64 v[2:3], v[2:3], v[4:5]
	v_add_f64 v[52:53], v[52:53], v[152:153]
	s_waitcnt vmcnt(2)
	v_add_f64 v[2:3], v[148:149], -v[2:3]
	s_waitcnt vmcnt(0)
	v_add_f64 v[4:5], v[150:151], -v[52:53]
	buffer_store_dword v3, off, s[0:3], 0 offset:420
	buffer_store_dword v2, off, s[0:3], 0 offset:416
	;; [unrolled: 1-line block ×4, first 2 shown]
	s_and_saveexec_b64 s[4:5], vcc
	s_cbranch_execz .LBB107_229
; %bb.228:
	v_accvgpr_read_b32 v0, a107
	buffer_load_dword v2, v0, s[0:3], 0 offen
	buffer_load_dword v3, v0, s[0:3], 0 offen offset:4
	buffer_load_dword v4, v0, s[0:3], 0 offen offset:8
	;; [unrolled: 1-line block ×3, first 2 shown]
	v_mov_b32_e32 v0, 0
	v_accvgpr_read_b32 v1, a132
	buffer_store_dword v0, off, s[0:3], 0 offset:400
	buffer_store_dword v0, off, s[0:3], 0 offset:404
	;; [unrolled: 1-line block ×4, first 2 shown]
	s_waitcnt vmcnt(4)
	ds_write_b128 v1, v[2:5]
.LBB107_229:
	s_or_b64 exec, exec, s[4:5]
	s_waitcnt lgkmcnt(0)
	; wave barrier
	s_waitcnt lgkmcnt(0)
	buffer_load_dword v2, off, s[0:3], 0 offset:416
	buffer_load_dword v3, off, s[0:3], 0 offset:420
	;; [unrolled: 1-line block ×76, first 2 shown]
	v_mov_b32_e32 v54, 0
	ds_read_b128 v[56:59], v54 offset:1104
	buffer_load_dword v156, off, s[0:3], 0 offset:400
	buffer_load_dword v157, off, s[0:3], 0 offset:404
	;; [unrolled: 1-line block ×4, first 2 shown]
	ds_read_b128 v[60:63], v54 offset:1120
	ds_read_b128 v[64:67], v54 offset:1136
	;; [unrolled: 1-line block ×4, first 2 shown]
	v_cmp_lt_u32_e32 vcc, 23, v255
	s_waitcnt vmcnt(62) lgkmcnt(4)
	v_mul_f64 v[72:73], v[56:57], v[8:9]
	v_fmac_f64_e32 v[72:73], v[58:59], v[2:3]
	v_add_f64 v[72:73], v[72:73], 0
	v_mul_f64 v[8:9], v[58:59], v[8:9]
	s_waitcnt lgkmcnt(3)
	v_mul_f64 v[74:75], v[60:61], v[10:11]
	v_fmac_f64_e32 v[74:75], v[62:63], v[4:5]
	v_add_f64 v[72:73], v[72:73], v[74:75]
	v_fma_f64 v[2:3], v[56:57], v[2:3], -v[8:9]
	s_waitcnt lgkmcnt(2)
	v_mul_f64 v[74:75], v[64:65], v[12:13]
	v_fmac_f64_e32 v[74:75], v[66:67], v[6:7]
	v_add_f64 v[76:77], v[72:73], v[74:75]
	ds_read_b128 v[72:75], v54 offset:1168
	s_waitcnt lgkmcnt(2)
	v_mul_f64 v[78:79], v[68:69], v[18:19]
	v_mul_f64 v[8:9], v[62:63], v[10:11]
	v_fmac_f64_e32 v[78:79], v[70:71], v[20:21]
	v_add_f64 v[80:81], v[76:77], v[78:79]
	ds_read_b128 v[76:79], v54 offset:1184
	s_waitcnt vmcnt(61) lgkmcnt(1)
	v_mul_f64 v[82:83], v[72:73], v[14:15]
	s_waitcnt vmcnt(60)
	v_fmac_f64_e32 v[82:83], v[74:75], v[16:17]
	v_add_f64 v[84:85], v[80:81], v[82:83]
	ds_read_b128 v[80:83], v54 offset:1200
	s_waitcnt vmcnt(56) lgkmcnt(1)
	v_mul_f64 v[86:87], v[76:77], v[26:27]
	s_waitcnt vmcnt(54)
	;; [unrolled: 6-line block ×4, first 2 shown]
	v_fmac_f64_e32 v[94:95], v[86:87], v[36:37]
	v_add_f64 v[96:97], v[92:93], v[94:95]
	ds_read_b128 v[92:95], v54 offset:1248
	v_add_f64 v[2:3], v[2:3], 0
	v_fma_f64 v[4:5], v[60:61], v[4:5], -v[8:9]
	s_waitcnt vmcnt(45) lgkmcnt(1)
	v_mul_f64 v[98:99], v[88:89], v[30:31]
	v_add_f64 v[2:3], v[2:3], v[4:5]
	v_mul_f64 v[4:5], v[66:67], v[12:13]
	s_waitcnt vmcnt(44)
	v_fmac_f64_e32 v[98:99], v[90:91], v[32:33]
	v_fma_f64 v[4:5], v[64:65], v[6:7], -v[4:5]
	v_add_f64 v[100:101], v[96:97], v[98:99]
	ds_read_b128 v[96:99], v54 offset:1264
	s_waitcnt vmcnt(40) lgkmcnt(1)
	v_mul_f64 v[102:103], v[92:93], v[42:43]
	v_add_f64 v[2:3], v[2:3], v[4:5]
	v_mul_f64 v[4:5], v[70:71], v[18:19]
	s_waitcnt vmcnt(38)
	v_fmac_f64_e32 v[102:103], v[94:95], v[44:45]
	v_fma_f64 v[4:5], v[68:69], v[20:21], -v[4:5]
	v_add_f64 v[104:105], v[100:101], v[102:103]
	ds_read_b128 v[100:103], v54 offset:1280
	v_add_f64 v[2:3], v[2:3], v[4:5]
	v_mul_f64 v[4:5], v[74:75], v[14:15]
	v_fma_f64 v[4:5], v[72:73], v[16:17], -v[4:5]
	v_add_f64 v[2:3], v[2:3], v[4:5]
	v_mul_f64 v[4:5], v[78:79], v[26:27]
	s_waitcnt vmcnt(37) lgkmcnt(1)
	v_mul_f64 v[106:107], v[96:97], v[38:39]
	v_fma_f64 v[4:5], v[76:77], v[28:29], -v[4:5]
	s_waitcnt vmcnt(36)
	v_fmac_f64_e32 v[106:107], v[98:99], v[40:41]
	v_add_f64 v[2:3], v[2:3], v[4:5]
	v_mul_f64 v[4:5], v[82:83], v[22:23]
	v_add_f64 v[108:109], v[104:105], v[106:107]
	ds_read_b128 v[104:107], v54 offset:1296
	s_waitcnt vmcnt(32) lgkmcnt(1)
	v_mul_f64 v[110:111], v[100:101], v[50:51]
	v_fma_f64 v[4:5], v[80:81], v[24:25], -v[4:5]
	s_waitcnt vmcnt(30)
	v_fmac_f64_e32 v[110:111], v[102:103], v[52:53]
	v_add_f64 v[2:3], v[2:3], v[4:5]
	v_mul_f64 v[4:5], v[86:87], v[34:35]
	v_add_f64 v[112:113], v[108:109], v[110:111]
	ds_read_b128 v[108:111], v54 offset:1312
	v_fma_f64 v[4:5], v[84:85], v[36:37], -v[4:5]
	v_add_f64 v[2:3], v[2:3], v[4:5]
	v_mul_f64 v[4:5], v[90:91], v[30:31]
	v_fma_f64 v[4:5], v[88:89], v[32:33], -v[4:5]
	s_waitcnt vmcnt(29) lgkmcnt(1)
	v_mul_f64 v[114:115], v[104:105], v[46:47]
	v_add_f64 v[2:3], v[2:3], v[4:5]
	v_mul_f64 v[4:5], v[94:95], v[42:43]
	s_waitcnt vmcnt(28)
	v_fmac_f64_e32 v[114:115], v[106:107], v[48:49]
	v_fma_f64 v[4:5], v[92:93], v[44:45], -v[4:5]
	v_add_f64 v[116:117], v[112:113], v[114:115]
	ds_read_b128 v[112:115], v54 offset:1328
	s_waitcnt vmcnt(24) lgkmcnt(1)
	v_mul_f64 v[118:119], v[108:109], v[136:137]
	v_add_f64 v[2:3], v[2:3], v[4:5]
	v_mul_f64 v[4:5], v[98:99], v[38:39]
	s_waitcnt vmcnt(22)
	v_fmac_f64_e32 v[118:119], v[110:111], v[138:139]
	v_fma_f64 v[4:5], v[96:97], v[40:41], -v[4:5]
	v_add_f64 v[120:121], v[116:117], v[118:119]
	ds_read_b128 v[116:119], v54 offset:1344
	v_add_f64 v[2:3], v[2:3], v[4:5]
	v_mul_f64 v[4:5], v[102:103], v[50:51]
	v_fma_f64 v[4:5], v[100:101], v[52:53], -v[4:5]
	v_add_f64 v[2:3], v[2:3], v[4:5]
	v_mul_f64 v[4:5], v[106:107], v[46:47]
	s_waitcnt vmcnt(21) lgkmcnt(1)
	v_mul_f64 v[122:123], v[112:113], v[132:133]
	v_fma_f64 v[4:5], v[104:105], v[48:49], -v[4:5]
	s_waitcnt vmcnt(20)
	v_fmac_f64_e32 v[122:123], v[114:115], v[134:135]
	v_add_f64 v[2:3], v[2:3], v[4:5]
	v_mul_f64 v[4:5], v[110:111], v[136:137]
	v_add_f64 v[124:125], v[120:121], v[122:123]
	ds_read_b128 v[120:123], v54 offset:1360
	s_waitcnt vmcnt(16) lgkmcnt(1)
	v_mul_f64 v[126:127], v[116:117], v[144:145]
	v_fma_f64 v[4:5], v[108:109], v[138:139], -v[4:5]
	s_waitcnt vmcnt(14)
	v_fmac_f64_e32 v[126:127], v[118:119], v[146:147]
	v_add_f64 v[2:3], v[2:3], v[4:5]
	v_mul_f64 v[4:5], v[114:115], v[132:133]
	v_add_f64 v[160:161], v[124:125], v[126:127]
	ds_read_b128 v[124:127], v54 offset:1376
	v_fma_f64 v[4:5], v[112:113], v[134:135], -v[4:5]
	v_add_f64 v[2:3], v[2:3], v[4:5]
	v_mul_f64 v[4:5], v[118:119], v[144:145]
	v_fma_f64 v[4:5], v[116:117], v[146:147], -v[4:5]
	v_add_f64 v[2:3], v[2:3], v[4:5]
	s_waitcnt vmcnt(13) lgkmcnt(1)
	v_mul_f64 v[4:5], v[122:123], v[140:141]
	v_mul_f64 v[162:163], v[120:121], v[140:141]
	s_waitcnt vmcnt(12)
	v_fma_f64 v[4:5], v[120:121], v[142:143], -v[4:5]
	v_fmac_f64_e32 v[162:163], v[122:123], v[142:143]
	v_add_f64 v[2:3], v[2:3], v[4:5]
	s_waitcnt vmcnt(8) lgkmcnt(0)
	v_mul_f64 v[4:5], v[126:127], v[152:153]
	v_add_f64 v[160:161], v[160:161], v[162:163]
	v_mul_f64 v[162:163], v[124:125], v[152:153]
	s_waitcnt vmcnt(6)
	v_fma_f64 v[4:5], v[124:125], v[154:155], -v[4:5]
	v_fmac_f64_e32 v[162:163], v[126:127], v[154:155]
	v_add_f64 v[2:3], v[2:3], v[4:5]
	s_waitcnt vmcnt(5)
	v_mul_f64 v[4:5], v[130:131], v[148:149]
	v_add_f64 v[160:161], v[160:161], v[162:163]
	v_mul_f64 v[162:163], v[128:129], v[148:149]
	s_waitcnt vmcnt(4)
	v_fma_f64 v[4:5], v[128:129], v[150:151], -v[4:5]
	v_fmac_f64_e32 v[162:163], v[130:131], v[150:151]
	v_add_f64 v[2:3], v[2:3], v[4:5]
	v_add_f64 v[160:161], v[160:161], v[162:163]
	s_waitcnt vmcnt(2)
	v_add_f64 v[2:3], v[156:157], -v[2:3]
	s_waitcnt vmcnt(0)
	v_add_f64 v[4:5], v[158:159], -v[160:161]
	buffer_store_dword v3, off, s[0:3], 0 offset:404
	buffer_store_dword v2, off, s[0:3], 0 offset:400
	;; [unrolled: 1-line block ×4, first 2 shown]
	s_and_saveexec_b64 s[4:5], vcc
	s_cbranch_execz .LBB107_231
; %bb.230:
	v_accvgpr_read_b32 v0, a108
	buffer_load_dword v2, v0, s[0:3], 0 offen
	buffer_load_dword v3, v0, s[0:3], 0 offen offset:4
	buffer_load_dword v4, v0, s[0:3], 0 offen offset:8
	;; [unrolled: 1-line block ×3, first 2 shown]
	v_accvgpr_read_b32 v0, a132
	buffer_store_dword v54, off, s[0:3], 0 offset:384
	buffer_store_dword v54, off, s[0:3], 0 offset:388
	;; [unrolled: 1-line block ×4, first 2 shown]
	s_waitcnt vmcnt(4)
	ds_write_b128 v0, v[2:5]
.LBB107_231:
	s_or_b64 exec, exec, s[4:5]
	s_waitcnt lgkmcnt(0)
	; wave barrier
	s_waitcnt lgkmcnt(0)
	buffer_load_dword v2, off, s[0:3], 0 offset:400
	buffer_load_dword v3, off, s[0:3], 0 offset:404
	;; [unrolled: 1-line block ×76, first 2 shown]
	ds_read_b128 v[56:59], v54 offset:1088
	buffer_load_dword v161, off, s[0:3], 0 offset:716
	buffer_load_dword v160, off, s[0:3], 0 offset:712
	;; [unrolled: 1-line block ×8, first 2 shown]
	ds_read_b128 v[60:63], v54 offset:1104
	ds_read_b128 v[64:67], v54 offset:1120
	;; [unrolled: 1-line block ×3, first 2 shown]
	v_cmp_lt_u32_e32 vcc, 22, v255
	ds_read_b128 v[132:135], v54 offset:1392
	s_waitcnt vmcnt(62) lgkmcnt(4)
	v_mul_f64 v[72:73], v[56:57], v[8:9]
	v_fmac_f64_e32 v[72:73], v[58:59], v[2:3]
	v_add_f64 v[72:73], v[72:73], 0
	v_mul_f64 v[8:9], v[58:59], v[8:9]
	s_waitcnt lgkmcnt(3)
	v_mul_f64 v[74:75], v[60:61], v[10:11]
	v_fmac_f64_e32 v[74:75], v[62:63], v[4:5]
	v_add_f64 v[72:73], v[72:73], v[74:75]
	v_fma_f64 v[2:3], v[56:57], v[2:3], -v[8:9]
	s_waitcnt lgkmcnt(2)
	v_mul_f64 v[74:75], v[64:65], v[12:13]
	v_fmac_f64_e32 v[74:75], v[66:67], v[6:7]
	v_add_f64 v[76:77], v[72:73], v[74:75]
	ds_read_b128 v[72:75], v54 offset:1152
	v_mul_f64 v[8:9], v[62:63], v[10:11]
	v_add_f64 v[2:3], v[2:3], 0
	s_waitcnt lgkmcnt(2)
	v_mul_f64 v[78:79], v[68:69], v[18:19]
	v_fma_f64 v[4:5], v[60:61], v[4:5], -v[8:9]
	v_fmac_f64_e32 v[78:79], v[70:71], v[20:21]
	v_add_f64 v[80:81], v[76:77], v[78:79]
	ds_read_b128 v[76:79], v54 offset:1168
	s_waitcnt lgkmcnt(1)
	v_mul_f64 v[82:83], v[72:73], v[14:15]
	v_fmac_f64_e32 v[82:83], v[74:75], v[16:17]
	v_add_f64 v[84:85], v[80:81], v[82:83]
	ds_read_b128 v[80:83], v54 offset:1184
	s_waitcnt vmcnt(58) lgkmcnt(1)
	v_mul_f64 v[86:87], v[76:77], v[26:27]
	s_waitcnt vmcnt(56)
	v_fmac_f64_e32 v[86:87], v[78:79], v[28:29]
	v_add_f64 v[88:89], v[84:85], v[86:87]
	ds_read_b128 v[84:87], v54 offset:1200
	s_waitcnt lgkmcnt(1)
	v_mul_f64 v[90:91], v[80:81], v[22:23]
	v_fmac_f64_e32 v[90:91], v[82:83], v[24:25]
	v_add_f64 v[92:93], v[88:89], v[90:91]
	ds_read_b128 v[88:91], v54 offset:1216
	s_waitcnt vmcnt(50) lgkmcnt(1)
	v_mul_f64 v[94:95], v[84:85], v[34:35]
	s_waitcnt vmcnt(48)
	v_fmac_f64_e32 v[94:95], v[86:87], v[36:37]
	v_add_f64 v[96:97], v[92:93], v[94:95]
	ds_read_b128 v[92:95], v54 offset:1232
	s_waitcnt lgkmcnt(1)
	v_mul_f64 v[98:99], v[88:89], v[30:31]
	v_fmac_f64_e32 v[98:99], v[90:91], v[32:33]
	v_add_f64 v[100:101], v[96:97], v[98:99]
	ds_read_b128 v[96:99], v54 offset:1248
	v_add_f64 v[2:3], v[2:3], v[4:5]
	v_mul_f64 v[4:5], v[66:67], v[12:13]
	v_fma_f64 v[4:5], v[64:65], v[6:7], -v[4:5]
	s_waitcnt vmcnt(42) lgkmcnt(1)
	v_mul_f64 v[102:103], v[92:93], v[42:43]
	v_add_f64 v[2:3], v[2:3], v[4:5]
	v_mul_f64 v[4:5], v[70:71], v[18:19]
	s_waitcnt vmcnt(40)
	v_fmac_f64_e32 v[102:103], v[94:95], v[44:45]
	v_fma_f64 v[4:5], v[68:69], v[20:21], -v[4:5]
	v_add_f64 v[104:105], v[100:101], v[102:103]
	ds_read_b128 v[100:103], v54 offset:1264
	s_waitcnt lgkmcnt(1)
	v_mul_f64 v[106:107], v[96:97], v[38:39]
	v_add_f64 v[2:3], v[2:3], v[4:5]
	v_mul_f64 v[4:5], v[74:75], v[14:15]
	v_fmac_f64_e32 v[106:107], v[98:99], v[40:41]
	v_fma_f64 v[4:5], v[72:73], v[16:17], -v[4:5]
	v_add_f64 v[108:109], v[104:105], v[106:107]
	ds_read_b128 v[104:107], v54 offset:1280
	v_add_f64 v[2:3], v[2:3], v[4:5]
	v_mul_f64 v[4:5], v[78:79], v[26:27]
	v_fma_f64 v[4:5], v[76:77], v[28:29], -v[4:5]
	v_add_f64 v[2:3], v[2:3], v[4:5]
	v_mul_f64 v[4:5], v[82:83], v[22:23]
	s_waitcnt vmcnt(34) lgkmcnt(1)
	v_mul_f64 v[110:111], v[100:101], v[50:51]
	v_fma_f64 v[4:5], v[80:81], v[24:25], -v[4:5]
	s_waitcnt vmcnt(32)
	v_fmac_f64_e32 v[110:111], v[102:103], v[52:53]
	v_add_f64 v[2:3], v[2:3], v[4:5]
	v_mul_f64 v[4:5], v[86:87], v[34:35]
	v_add_f64 v[112:113], v[108:109], v[110:111]
	ds_read_b128 v[108:111], v54 offset:1296
	s_waitcnt lgkmcnt(1)
	v_mul_f64 v[114:115], v[104:105], v[46:47]
	v_fma_f64 v[4:5], v[84:85], v[36:37], -v[4:5]
	v_fmac_f64_e32 v[114:115], v[106:107], v[48:49]
	v_add_f64 v[2:3], v[2:3], v[4:5]
	v_mul_f64 v[4:5], v[90:91], v[30:31]
	v_add_f64 v[116:117], v[112:113], v[114:115]
	ds_read_b128 v[112:115], v54 offset:1312
	v_fma_f64 v[4:5], v[88:89], v[32:33], -v[4:5]
	v_add_f64 v[2:3], v[2:3], v[4:5]
	v_mul_f64 v[4:5], v[94:95], v[42:43]
	v_fma_f64 v[4:5], v[92:93], v[44:45], -v[4:5]
	s_waitcnt vmcnt(26) lgkmcnt(1)
	v_mul_f64 v[118:119], v[108:109], v[140:141]
	v_add_f64 v[2:3], v[2:3], v[4:5]
	v_mul_f64 v[4:5], v[98:99], v[38:39]
	s_waitcnt vmcnt(24)
	v_fmac_f64_e32 v[118:119], v[110:111], v[142:143]
	v_fma_f64 v[4:5], v[96:97], v[40:41], -v[4:5]
	v_add_f64 v[120:121], v[116:117], v[118:119]
	ds_read_b128 v[116:119], v54 offset:1328
	s_waitcnt lgkmcnt(1)
	v_mul_f64 v[122:123], v[112:113], v[136:137]
	v_add_f64 v[2:3], v[2:3], v[4:5]
	v_mul_f64 v[4:5], v[102:103], v[50:51]
	v_fmac_f64_e32 v[122:123], v[114:115], v[138:139]
	v_fma_f64 v[4:5], v[100:101], v[52:53], -v[4:5]
	v_add_f64 v[124:125], v[120:121], v[122:123]
	ds_read_b128 v[120:123], v54 offset:1344
	v_add_f64 v[2:3], v[2:3], v[4:5]
	v_mul_f64 v[4:5], v[106:107], v[46:47]
	v_fma_f64 v[4:5], v[104:105], v[48:49], -v[4:5]
	v_add_f64 v[2:3], v[2:3], v[4:5]
	v_mul_f64 v[4:5], v[110:111], v[140:141]
	s_waitcnt vmcnt(18) lgkmcnt(1)
	v_mul_f64 v[126:127], v[116:117], v[148:149]
	v_fma_f64 v[4:5], v[108:109], v[142:143], -v[4:5]
	s_waitcnt vmcnt(16)
	v_fmac_f64_e32 v[126:127], v[118:119], v[150:151]
	v_add_f64 v[2:3], v[2:3], v[4:5]
	v_mul_f64 v[4:5], v[114:115], v[136:137]
	v_add_f64 v[128:129], v[124:125], v[126:127]
	ds_read_b128 v[124:127], v54 offset:1360
	s_waitcnt lgkmcnt(1)
	v_mul_f64 v[130:131], v[120:121], v[144:145]
	v_fma_f64 v[4:5], v[112:113], v[138:139], -v[4:5]
	v_fmac_f64_e32 v[130:131], v[122:123], v[146:147]
	v_add_f64 v[2:3], v[2:3], v[4:5]
	v_mul_f64 v[4:5], v[118:119], v[148:149]
	v_add_f64 v[168:169], v[128:129], v[130:131]
	ds_read_b128 v[128:131], v54 offset:1376
	v_fma_f64 v[4:5], v[116:117], v[150:151], -v[4:5]
	v_add_f64 v[2:3], v[2:3], v[4:5]
	v_mul_f64 v[4:5], v[122:123], v[144:145]
	v_fma_f64 v[4:5], v[120:121], v[146:147], -v[4:5]
	v_add_f64 v[2:3], v[2:3], v[4:5]
	s_waitcnt vmcnt(10) lgkmcnt(1)
	v_mul_f64 v[4:5], v[126:127], v[156:157]
	v_mul_f64 v[170:171], v[124:125], v[156:157]
	s_waitcnt vmcnt(8)
	v_fma_f64 v[4:5], v[124:125], v[158:159], -v[4:5]
	v_fmac_f64_e32 v[170:171], v[126:127], v[158:159]
	v_add_f64 v[2:3], v[2:3], v[4:5]
	s_waitcnt lgkmcnt(0)
	v_mul_f64 v[4:5], v[130:131], v[152:153]
	v_add_f64 v[54:55], v[168:169], v[170:171]
	v_mul_f64 v[168:169], v[128:129], v[152:153]
	v_fma_f64 v[4:5], v[128:129], v[154:155], -v[4:5]
	v_fmac_f64_e32 v[168:169], v[130:131], v[154:155]
	v_add_f64 v[2:3], v[2:3], v[4:5]
	s_waitcnt vmcnt(6)
	v_mul_f64 v[4:5], v[134:135], v[160:161]
	v_add_f64 v[54:55], v[54:55], v[168:169]
	v_mul_f64 v[168:169], v[132:133], v[160:161]
	s_waitcnt vmcnt(4)
	v_fma_f64 v[4:5], v[132:133], v[162:163], -v[4:5]
	v_fmac_f64_e32 v[168:169], v[134:135], v[162:163]
	v_add_f64 v[2:3], v[2:3], v[4:5]
	v_add_f64 v[54:55], v[54:55], v[168:169]
	s_waitcnt vmcnt(2)
	v_add_f64 v[2:3], v[164:165], -v[2:3]
	s_waitcnt vmcnt(0)
	v_add_f64 v[4:5], v[166:167], -v[54:55]
	buffer_store_dword v3, off, s[0:3], 0 offset:388
	buffer_store_dword v2, off, s[0:3], 0 offset:384
	;; [unrolled: 1-line block ×4, first 2 shown]
	s_and_saveexec_b64 s[4:5], vcc
	s_cbranch_execz .LBB107_233
; %bb.232:
	v_accvgpr_read_b32 v0, a109
	buffer_load_dword v2, v0, s[0:3], 0 offen
	buffer_load_dword v3, v0, s[0:3], 0 offen offset:4
	buffer_load_dword v4, v0, s[0:3], 0 offen offset:8
	;; [unrolled: 1-line block ×3, first 2 shown]
	v_mov_b32_e32 v0, 0
	v_accvgpr_read_b32 v1, a132
	buffer_store_dword v0, off, s[0:3], 0 offset:368
	buffer_store_dword v0, off, s[0:3], 0 offset:372
	;; [unrolled: 1-line block ×4, first 2 shown]
	s_waitcnt vmcnt(4)
	ds_write_b128 v1, v[2:5]
.LBB107_233:
	s_or_b64 exec, exec, s[4:5]
	s_waitcnt lgkmcnt(0)
	; wave barrier
	s_waitcnt lgkmcnt(0)
	buffer_load_dword v4, off, s[0:3], 0 offset:368
	buffer_load_dword v5, off, s[0:3], 0 offset:372
	;; [unrolled: 1-line block ×84, first 2 shown]
	v_mov_b32_e32 v86, 0
	ds_read_b128 v[66:69], v86 offset:1072
	buffer_load_dword v173, off, s[0:3], 0 offset:716
	buffer_load_dword v172, off, s[0:3], 0 offset:712
	;; [unrolled: 1-line block ×4, first 2 shown]
	ds_read_b128 v[70:73], v86 offset:1088
	ds_read_b128 v[74:77], v86 offset:1104
	;; [unrolled: 1-line block ×4, first 2 shown]
	v_cmp_lt_u32_e32 vcc, 21, v255
	s_waitcnt vmcnt(62) lgkmcnt(4)
	v_mul_f64 v[82:83], v[66:67], v[12:13]
	v_fmac_f64_e32 v[82:83], v[68:69], v[6:7]
	s_waitcnt lgkmcnt(3)
	v_mul_f64 v[84:85], v[70:71], v[14:15]
	v_add_f64 v[82:83], v[82:83], 0
	v_fmac_f64_e32 v[84:85], v[72:73], v[8:9]
	v_add_f64 v[82:83], v[82:83], v[84:85]
	s_waitcnt lgkmcnt(2)
	v_mul_f64 v[84:85], v[74:75], v[16:17]
	v_fmac_f64_e32 v[84:85], v[76:77], v[10:11]
	v_add_f64 v[88:89], v[82:83], v[84:85]
	ds_read_b128 v[82:85], v86 offset:1136
	v_mul_f64 v[12:13], v[68:69], v[12:13]
	s_waitcnt lgkmcnt(2)
	v_mul_f64 v[90:91], v[78:79], v[22:23]
	v_fma_f64 v[6:7], v[66:67], v[6:7], -v[12:13]
	v_fmac_f64_e32 v[90:91], v[80:81], v[24:25]
	v_add_f64 v[92:93], v[88:89], v[90:91]
	ds_read_b128 v[88:91], v86 offset:1152
	s_waitcnt lgkmcnt(1)
	v_mul_f64 v[94:95], v[82:83], v[18:19]
	v_fmac_f64_e32 v[94:95], v[84:85], v[20:21]
	v_add_f64 v[96:97], v[92:93], v[94:95]
	ds_read_b128 v[92:95], v86 offset:1168
	s_waitcnt vmcnt(58) lgkmcnt(1)
	v_mul_f64 v[98:99], v[88:89], v[30:31]
	s_waitcnt vmcnt(56)
	v_fmac_f64_e32 v[98:99], v[90:91], v[32:33]
	v_add_f64 v[100:101], v[96:97], v[98:99]
	ds_read_b128 v[96:99], v86 offset:1184
	s_waitcnt lgkmcnt(1)
	v_mul_f64 v[102:103], v[92:93], v[26:27]
	v_fmac_f64_e32 v[102:103], v[94:95], v[28:29]
	v_add_f64 v[104:105], v[100:101], v[102:103]
	ds_read_b128 v[100:103], v86 offset:1200
	s_waitcnt vmcnt(50) lgkmcnt(1)
	v_mul_f64 v[106:107], v[96:97], v[38:39]
	s_waitcnt vmcnt(48)
	v_fmac_f64_e32 v[106:107], v[98:99], v[40:41]
	v_add_f64 v[108:109], v[104:105], v[106:107]
	ds_read_b128 v[104:107], v86 offset:1216
	s_waitcnt lgkmcnt(1)
	v_mul_f64 v[110:111], v[100:101], v[34:35]
	v_fmac_f64_e32 v[110:111], v[102:103], v[36:37]
	v_mul_f64 v[12:13], v[72:73], v[14:15]
	v_add_f64 v[112:113], v[108:109], v[110:111]
	ds_read_b128 v[108:111], v86 offset:1232
	s_waitcnt vmcnt(42) lgkmcnt(1)
	v_mul_f64 v[114:115], v[104:105], v[46:47]
	v_add_f64 v[6:7], v[6:7], 0
	v_fma_f64 v[8:9], v[70:71], v[8:9], -v[12:13]
	s_waitcnt vmcnt(40)
	v_fmac_f64_e32 v[114:115], v[106:107], v[48:49]
	v_add_f64 v[6:7], v[6:7], v[8:9]
	v_mul_f64 v[8:9], v[76:77], v[16:17]
	v_add_f64 v[116:117], v[112:113], v[114:115]
	ds_read_b128 v[112:115], v86 offset:1248
	v_fma_f64 v[8:9], v[74:75], v[10:11], -v[8:9]
	v_add_f64 v[6:7], v[6:7], v[8:9]
	v_mul_f64 v[8:9], v[80:81], v[22:23]
	v_fma_f64 v[8:9], v[78:79], v[24:25], -v[8:9]
	s_waitcnt lgkmcnt(1)
	v_mul_f64 v[118:119], v[108:109], v[42:43]
	v_add_f64 v[6:7], v[6:7], v[8:9]
	v_mul_f64 v[8:9], v[84:85], v[18:19]
	v_fmac_f64_e32 v[118:119], v[110:111], v[44:45]
	v_fma_f64 v[8:9], v[82:83], v[20:21], -v[8:9]
	v_add_f64 v[120:121], v[116:117], v[118:119]
	ds_read_b128 v[116:119], v86 offset:1264
	s_waitcnt vmcnt(34) lgkmcnt(1)
	v_mul_f64 v[122:123], v[112:113], v[54:55]
	v_add_f64 v[6:7], v[6:7], v[8:9]
	v_mul_f64 v[8:9], v[90:91], v[30:31]
	s_waitcnt vmcnt(32)
	v_fmac_f64_e32 v[122:123], v[114:115], v[56:57]
	v_fma_f64 v[8:9], v[88:89], v[32:33], -v[8:9]
	v_add_f64 v[124:125], v[120:121], v[122:123]
	ds_read_b128 v[120:123], v86 offset:1280
	v_add_f64 v[6:7], v[6:7], v[8:9]
	v_mul_f64 v[8:9], v[94:95], v[26:27]
	v_fma_f64 v[8:9], v[92:93], v[28:29], -v[8:9]
	v_add_f64 v[6:7], v[6:7], v[8:9]
	v_mul_f64 v[8:9], v[98:99], v[38:39]
	s_waitcnt lgkmcnt(1)
	v_mul_f64 v[126:127], v[116:117], v[50:51]
	v_fma_f64 v[8:9], v[96:97], v[40:41], -v[8:9]
	v_fmac_f64_e32 v[126:127], v[118:119], v[52:53]
	v_add_f64 v[6:7], v[6:7], v[8:9]
	v_mul_f64 v[8:9], v[102:103], v[34:35]
	v_add_f64 v[128:129], v[124:125], v[126:127]
	ds_read_b128 v[124:127], v86 offset:1296
	s_waitcnt vmcnt(26) lgkmcnt(1)
	v_mul_f64 v[130:131], v[120:121], v[62:63]
	v_fma_f64 v[8:9], v[100:101], v[36:37], -v[8:9]
	s_waitcnt vmcnt(24)
	v_fmac_f64_e32 v[130:131], v[122:123], v[64:65]
	v_add_f64 v[6:7], v[6:7], v[8:9]
	v_mul_f64 v[8:9], v[106:107], v[46:47]
	v_add_f64 v[132:133], v[128:129], v[130:131]
	ds_read_b128 v[128:131], v86 offset:1312
	v_fma_f64 v[8:9], v[104:105], v[48:49], -v[8:9]
	v_add_f64 v[6:7], v[6:7], v[8:9]
	v_mul_f64 v[8:9], v[110:111], v[42:43]
	v_fma_f64 v[8:9], v[108:109], v[44:45], -v[8:9]
	s_waitcnt lgkmcnt(1)
	v_mul_f64 v[134:135], v[124:125], v[58:59]
	v_add_f64 v[6:7], v[6:7], v[8:9]
	v_mul_f64 v[8:9], v[114:115], v[54:55]
	v_fmac_f64_e32 v[134:135], v[126:127], v[60:61]
	v_fma_f64 v[8:9], v[112:113], v[56:57], -v[8:9]
	v_add_f64 v[136:137], v[132:133], v[134:135]
	ds_read_b128 v[132:135], v86 offset:1328
	s_waitcnt vmcnt(18) lgkmcnt(1)
	v_mul_f64 v[138:139], v[128:129], v[156:157]
	v_add_f64 v[6:7], v[6:7], v[8:9]
	v_mul_f64 v[8:9], v[118:119], v[50:51]
	s_waitcnt vmcnt(16)
	v_fmac_f64_e32 v[138:139], v[130:131], v[158:159]
	v_fma_f64 v[8:9], v[116:117], v[52:53], -v[8:9]
	v_add_f64 v[140:141], v[136:137], v[138:139]
	ds_read_b128 v[136:139], v86 offset:1344
	v_add_f64 v[6:7], v[6:7], v[8:9]
	v_mul_f64 v[8:9], v[122:123], v[62:63]
	v_fma_f64 v[8:9], v[120:121], v[64:65], -v[8:9]
	v_add_f64 v[6:7], v[6:7], v[8:9]
	v_mul_f64 v[8:9], v[126:127], v[58:59]
	s_waitcnt lgkmcnt(1)
	v_mul_f64 v[142:143], v[132:133], v[152:153]
	v_fma_f64 v[8:9], v[124:125], v[60:61], -v[8:9]
	v_fmac_f64_e32 v[142:143], v[134:135], v[154:155]
	v_add_f64 v[6:7], v[6:7], v[8:9]
	v_mul_f64 v[8:9], v[130:131], v[156:157]
	v_add_f64 v[144:145], v[140:141], v[142:143]
	ds_read_b128 v[140:143], v86 offset:1360
	s_waitcnt vmcnt(10) lgkmcnt(1)
	v_mul_f64 v[146:147], v[136:137], v[164:165]
	v_fma_f64 v[8:9], v[128:129], v[158:159], -v[8:9]
	s_waitcnt vmcnt(8)
	v_fmac_f64_e32 v[146:147], v[138:139], v[166:167]
	v_add_f64 v[6:7], v[6:7], v[8:9]
	v_mul_f64 v[8:9], v[134:135], v[152:153]
	v_add_f64 v[176:177], v[144:145], v[146:147]
	ds_read_b128 v[144:147], v86 offset:1376
	v_fma_f64 v[8:9], v[132:133], v[154:155], -v[8:9]
	v_add_f64 v[6:7], v[6:7], v[8:9]
	v_mul_f64 v[8:9], v[138:139], v[164:165]
	v_fma_f64 v[8:9], v[136:137], v[166:167], -v[8:9]
	v_add_f64 v[6:7], v[6:7], v[8:9]
	s_waitcnt lgkmcnt(1)
	v_mul_f64 v[8:9], v[142:143], v[160:161]
	v_mul_f64 v[178:179], v[140:141], v[160:161]
	v_fma_f64 v[8:9], v[140:141], v[162:163], -v[8:9]
	v_fmac_f64_e32 v[178:179], v[142:143], v[162:163]
	v_add_f64 v[6:7], v[6:7], v[8:9]
	s_waitcnt vmcnt(6) lgkmcnt(0)
	v_mul_f64 v[8:9], v[146:147], v[168:169]
	v_add_f64 v[176:177], v[176:177], v[178:179]
	v_mul_f64 v[178:179], v[144:145], v[168:169]
	s_waitcnt vmcnt(4)
	v_fma_f64 v[8:9], v[144:145], v[170:171], -v[8:9]
	v_fmac_f64_e32 v[178:179], v[146:147], v[170:171]
	v_add_f64 v[6:7], v[6:7], v[8:9]
	s_waitcnt vmcnt(2)
	v_mul_f64 v[8:9], v[150:151], v[172:173]
	v_add_f64 v[176:177], v[176:177], v[178:179]
	v_mul_f64 v[178:179], v[148:149], v[172:173]
	s_waitcnt vmcnt(0)
	v_fma_f64 v[8:9], v[148:149], v[174:175], -v[8:9]
	v_fmac_f64_e32 v[178:179], v[150:151], v[174:175]
	v_add_f64 v[6:7], v[6:7], v[8:9]
	v_add_f64 v[176:177], v[176:177], v[178:179]
	v_add_f64 v[4:5], v[4:5], -v[6:7]
	v_add_f64 v[2:3], v[2:3], -v[176:177]
	buffer_store_dword v5, off, s[0:3], 0 offset:372
	buffer_store_dword v4, off, s[0:3], 0 offset:368
	;; [unrolled: 1-line block ×4, first 2 shown]
	s_and_saveexec_b64 s[4:5], vcc
	s_cbranch_execz .LBB107_235
; %bb.234:
	v_accvgpr_read_b32 v0, a110
	buffer_load_dword v2, v0, s[0:3], 0 offen
	buffer_load_dword v3, v0, s[0:3], 0 offen offset:4
	buffer_load_dword v4, v0, s[0:3], 0 offen offset:8
	buffer_load_dword v5, v0, s[0:3], 0 offen offset:12
	v_accvgpr_read_b32 v0, a132
	buffer_store_dword v86, off, s[0:3], 0 offset:352
	buffer_store_dword v86, off, s[0:3], 0 offset:356
	;; [unrolled: 1-line block ×4, first 2 shown]
	s_waitcnt vmcnt(4)
	ds_write_b128 v0, v[2:5]
.LBB107_235:
	s_or_b64 exec, exec, s[4:5]
	s_waitcnt lgkmcnt(0)
	; wave barrier
	s_waitcnt lgkmcnt(0)
	ds_read_b128 v[14:17], v86 offset:1056
	ds_read_b128 v[10:13], v86 offset:1072
	ds_read_b128 v[6:9], v86 offset:1088
	ds_read_b128 v[2:5], v86 offset:1104
	buffer_load_dword v20, off, s[0:3], 0 offset:352
	buffer_load_dword v21, off, s[0:3], 0 offset:356
	;; [unrolled: 1-line block ×92, first 2 shown]
	s_waitcnt vmcnt(62) lgkmcnt(3)
	v_mul_f64 v[88:89], v[14:15], v[28:29]
	v_fmac_f64_e32 v[88:89], v[16:17], v[22:23]
	s_waitcnt lgkmcnt(2)
	v_mul_f64 v[90:91], v[10:11], v[30:31]
	v_add_f64 v[88:89], v[88:89], 0
	v_fmac_f64_e32 v[90:91], v[12:13], v[24:25]
	v_add_f64 v[88:89], v[88:89], v[90:91]
	s_waitcnt lgkmcnt(1)
	v_mul_f64 v[90:91], v[6:7], v[32:33]
	v_fmac_f64_e32 v[90:91], v[8:9], v[26:27]
	v_add_f64 v[92:93], v[88:89], v[90:91]
	ds_read_b128 v[88:91], v86 offset:1120
	v_mul_f64 v[16:17], v[16:17], v[28:29]
	v_fma_f64 v[14:15], v[14:15], v[22:23], -v[16:17]
	s_waitcnt lgkmcnt(1)
	v_mul_f64 v[94:95], v[2:3], v[38:39]
	v_mul_f64 v[12:13], v[12:13], v[30:31]
	v_fmac_f64_e32 v[94:95], v[4:5], v[40:41]
	v_add_f64 v[96:97], v[92:93], v[94:95]
	ds_read_b128 v[92:95], v86 offset:1136
	s_waitcnt lgkmcnt(1)
	v_mul_f64 v[98:99], v[88:89], v[34:35]
	v_fmac_f64_e32 v[98:99], v[90:91], v[36:37]
	v_add_f64 v[100:101], v[96:97], v[98:99]
	ds_read_b128 v[96:99], v86 offset:1152
	s_waitcnt lgkmcnt(1)
	v_mul_f64 v[102:103], v[92:93], v[46:47]
	s_waitcnt vmcnt(60)
	v_fmac_f64_e32 v[102:103], v[94:95], v[48:49]
	v_add_f64 v[104:105], v[100:101], v[102:103]
	ds_read_b128 v[100:103], v86 offset:1168
	s_waitcnt lgkmcnt(1)
	v_mul_f64 v[106:107], v[96:97], v[42:43]
	v_fmac_f64_e32 v[106:107], v[98:99], v[44:45]
	v_add_f64 v[108:109], v[104:105], v[106:107]
	ds_read_b128 v[104:107], v86 offset:1184
	s_waitcnt vmcnt(54) lgkmcnt(1)
	v_mul_f64 v[110:111], v[100:101], v[54:55]
	s_waitcnt vmcnt(52)
	v_fmac_f64_e32 v[110:111], v[102:103], v[56:57]
	v_add_f64 v[112:113], v[108:109], v[110:111]
	ds_read_b128 v[108:111], v86 offset:1200
	s_waitcnt lgkmcnt(1)
	v_mul_f64 v[114:115], v[104:105], v[50:51]
	v_fmac_f64_e32 v[114:115], v[106:107], v[52:53]
	v_add_f64 v[116:117], v[112:113], v[114:115]
	ds_read_b128 v[112:115], v86 offset:1216
	s_waitcnt vmcnt(46) lgkmcnt(1)
	v_mul_f64 v[118:119], v[108:109], v[62:63]
	s_waitcnt vmcnt(44)
	v_fmac_f64_e32 v[118:119], v[110:111], v[64:65]
	v_add_f64 v[120:121], v[116:117], v[118:119]
	ds_read_b128 v[116:119], v86 offset:1232
	s_waitcnt lgkmcnt(1)
	v_mul_f64 v[122:123], v[112:113], v[58:59]
	v_fmac_f64_e32 v[122:123], v[114:115], v[60:61]
	v_add_f64 v[14:15], v[14:15], 0
	v_fma_f64 v[10:11], v[10:11], v[24:25], -v[12:13]
	v_mul_f64 v[8:9], v[8:9], v[32:33]
	v_add_f64 v[124:125], v[120:121], v[122:123]
	ds_read_b128 v[120:123], v86 offset:1248
	v_add_f64 v[10:11], v[14:15], v[10:11]
	v_fma_f64 v[6:7], v[6:7], v[26:27], -v[8:9]
	v_mul_f64 v[4:5], v[4:5], v[38:39]
	v_add_f64 v[6:7], v[10:11], v[6:7]
	v_fma_f64 v[2:3], v[2:3], v[40:41], -v[4:5]
	v_mul_f64 v[4:5], v[90:91], v[34:35]
	v_add_f64 v[2:3], v[6:7], v[2:3]
	v_fma_f64 v[4:5], v[88:89], v[36:37], -v[4:5]
	s_waitcnt vmcnt(38) lgkmcnt(1)
	v_mul_f64 v[126:127], v[116:117], v[70:71]
	v_add_f64 v[2:3], v[2:3], v[4:5]
	v_mul_f64 v[4:5], v[94:95], v[46:47]
	s_waitcnt vmcnt(36)
	v_fmac_f64_e32 v[126:127], v[118:119], v[72:73]
	v_fma_f64 v[4:5], v[92:93], v[48:49], -v[4:5]
	v_add_f64 v[128:129], v[124:125], v[126:127]
	ds_read_b128 v[124:127], v86 offset:1264
	s_waitcnt lgkmcnt(1)
	v_mul_f64 v[130:131], v[120:121], v[66:67]
	v_add_f64 v[2:3], v[2:3], v[4:5]
	v_mul_f64 v[4:5], v[98:99], v[42:43]
	v_fmac_f64_e32 v[130:131], v[122:123], v[68:69]
	v_fma_f64 v[4:5], v[96:97], v[44:45], -v[4:5]
	v_add_f64 v[132:133], v[128:129], v[130:131]
	ds_read_b128 v[128:131], v86 offset:1280
	v_add_f64 v[2:3], v[2:3], v[4:5]
	v_mul_f64 v[4:5], v[102:103], v[54:55]
	v_fma_f64 v[4:5], v[100:101], v[56:57], -v[4:5]
	v_add_f64 v[2:3], v[2:3], v[4:5]
	v_mul_f64 v[4:5], v[106:107], v[50:51]
	s_waitcnt vmcnt(30) lgkmcnt(1)
	v_mul_f64 v[134:135], v[124:125], v[78:79]
	v_fma_f64 v[4:5], v[104:105], v[52:53], -v[4:5]
	s_waitcnt vmcnt(28)
	v_fmac_f64_e32 v[134:135], v[126:127], v[80:81]
	v_add_f64 v[2:3], v[2:3], v[4:5]
	v_mul_f64 v[4:5], v[110:111], v[62:63]
	v_add_f64 v[136:137], v[132:133], v[134:135]
	ds_read_b128 v[132:135], v86 offset:1296
	s_waitcnt lgkmcnt(1)
	v_mul_f64 v[138:139], v[128:129], v[74:75]
	v_fma_f64 v[4:5], v[108:109], v[64:65], -v[4:5]
	v_fmac_f64_e32 v[138:139], v[130:131], v[76:77]
	v_add_f64 v[2:3], v[2:3], v[4:5]
	v_mul_f64 v[4:5], v[114:115], v[58:59]
	v_add_f64 v[140:141], v[136:137], v[138:139]
	ds_read_b128 v[136:139], v86 offset:1312
	v_fma_f64 v[4:5], v[112:113], v[60:61], -v[4:5]
	v_add_f64 v[2:3], v[2:3], v[4:5]
	v_mul_f64 v[4:5], v[118:119], v[70:71]
	v_fma_f64 v[4:5], v[116:117], v[72:73], -v[4:5]
	s_waitcnt vmcnt(22) lgkmcnt(1)
	v_mul_f64 v[142:143], v[132:133], v[160:161]
	v_add_f64 v[2:3], v[2:3], v[4:5]
	v_mul_f64 v[4:5], v[122:123], v[66:67]
	s_waitcnt vmcnt(20)
	v_fmac_f64_e32 v[142:143], v[134:135], v[162:163]
	v_fma_f64 v[4:5], v[120:121], v[68:69], -v[4:5]
	v_add_f64 v[144:145], v[140:141], v[142:143]
	ds_read_b128 v[140:143], v86 offset:1328
	s_waitcnt lgkmcnt(1)
	v_mul_f64 v[146:147], v[136:137], v[82:83]
	v_add_f64 v[2:3], v[2:3], v[4:5]
	v_mul_f64 v[4:5], v[126:127], v[78:79]
	v_fmac_f64_e32 v[146:147], v[138:139], v[84:85]
	v_fma_f64 v[4:5], v[124:125], v[80:81], -v[4:5]
	v_add_f64 v[148:149], v[144:145], v[146:147]
	ds_read_b128 v[144:147], v86 offset:1344
	v_add_f64 v[2:3], v[2:3], v[4:5]
	v_mul_f64 v[4:5], v[130:131], v[74:75]
	v_fma_f64 v[4:5], v[128:129], v[76:77], -v[4:5]
	v_add_f64 v[2:3], v[2:3], v[4:5]
	v_mul_f64 v[4:5], v[134:135], v[160:161]
	s_waitcnt vmcnt(14) lgkmcnt(1)
	v_mul_f64 v[150:151], v[140:141], v[168:169]
	v_fma_f64 v[4:5], v[132:133], v[162:163], -v[4:5]
	s_waitcnt vmcnt(12)
	v_fmac_f64_e32 v[150:151], v[142:143], v[170:171]
	v_add_f64 v[2:3], v[2:3], v[4:5]
	v_mul_f64 v[4:5], v[138:139], v[82:83]
	v_add_f64 v[152:153], v[148:149], v[150:151]
	ds_read_b128 v[148:151], v86 offset:1360
	s_waitcnt lgkmcnt(1)
	v_mul_f64 v[154:155], v[144:145], v[164:165]
	v_fma_f64 v[4:5], v[136:137], v[84:85], -v[4:5]
	v_fmac_f64_e32 v[154:155], v[146:147], v[166:167]
	v_add_f64 v[2:3], v[2:3], v[4:5]
	v_mul_f64 v[4:5], v[142:143], v[168:169]
	v_add_f64 v[184:185], v[152:153], v[154:155]
	ds_read_b128 v[152:155], v86 offset:1376
	ds_read_b128 v[156:159], v86 offset:1392
	v_fma_f64 v[4:5], v[140:141], v[170:171], -v[4:5]
	v_add_f64 v[2:3], v[2:3], v[4:5]
	v_mul_f64 v[4:5], v[146:147], v[164:165]
	v_fma_f64 v[4:5], v[144:145], v[166:167], -v[4:5]
	v_add_f64 v[2:3], v[2:3], v[4:5]
	s_waitcnt vmcnt(6) lgkmcnt(2)
	v_mul_f64 v[4:5], v[150:151], v[176:177]
	v_mul_f64 v[186:187], v[148:149], v[176:177]
	s_waitcnt vmcnt(4)
	v_fma_f64 v[4:5], v[148:149], v[178:179], -v[4:5]
	v_fmac_f64_e32 v[186:187], v[150:151], v[178:179]
	v_add_f64 v[2:3], v[2:3], v[4:5]
	s_waitcnt lgkmcnt(1)
	v_mul_f64 v[4:5], v[154:155], v[172:173]
	v_add_f64 v[86:87], v[184:185], v[186:187]
	v_mul_f64 v[184:185], v[152:153], v[172:173]
	v_fma_f64 v[4:5], v[152:153], v[174:175], -v[4:5]
	v_fmac_f64_e32 v[184:185], v[154:155], v[174:175]
	v_add_f64 v[2:3], v[2:3], v[4:5]
	s_waitcnt vmcnt(2) lgkmcnt(0)
	v_mul_f64 v[4:5], v[158:159], v[180:181]
	v_add_f64 v[86:87], v[86:87], v[184:185]
	v_mul_f64 v[184:185], v[156:157], v[180:181]
	s_waitcnt vmcnt(0)
	v_fma_f64 v[4:5], v[156:157], v[182:183], -v[4:5]
	v_fmac_f64_e32 v[184:185], v[158:159], v[182:183]
	v_add_f64 v[2:3], v[2:3], v[4:5]
	v_add_f64 v[86:87], v[86:87], v[184:185]
	v_add_f64 v[2:3], v[20:21], -v[2:3]
	v_cmp_lt_u32_e32 vcc, 20, v255
	v_add_f64 v[4:5], v[18:19], -v[86:87]
	buffer_store_dword v3, off, s[0:3], 0 offset:356
	buffer_store_dword v2, off, s[0:3], 0 offset:352
	;; [unrolled: 1-line block ×4, first 2 shown]
	s_and_saveexec_b64 s[4:5], vcc
	s_cbranch_execz .LBB107_237
; %bb.236:
	v_accvgpr_read_b32 v0, a111
	buffer_load_dword v2, v0, s[0:3], 0 offen
	buffer_load_dword v3, v0, s[0:3], 0 offen offset:4
	buffer_load_dword v4, v0, s[0:3], 0 offen offset:8
	;; [unrolled: 1-line block ×3, first 2 shown]
	v_mov_b32_e32 v0, 0
	v_accvgpr_read_b32 v1, a132
	buffer_store_dword v0, off, s[0:3], 0 offset:336
	buffer_store_dword v0, off, s[0:3], 0 offset:340
	;; [unrolled: 1-line block ×4, first 2 shown]
	s_waitcnt vmcnt(4)
	ds_write_b128 v1, v[2:5]
.LBB107_237:
	s_or_b64 exec, exec, s[4:5]
	s_waitcnt lgkmcnt(0)
	; wave barrier
	s_waitcnt lgkmcnt(0)
	buffer_load_dword v9, off, s[0:3], 0 offset:364
	buffer_load_dword v6, off, s[0:3], 0 offset:376
	;; [unrolled: 1-line block ×64, first 2 shown]
	v_mov_b32_e32 v98, 0
	ds_read_b128 v[74:77], v98 offset:1040
	ds_read_b128 v[78:81], v98 offset:1056
	buffer_load_dword v67, off, s[0:3], 0 offset:620
	buffer_load_dword v66, off, s[0:3], 0 offset:616
	;; [unrolled: 1-line block ×8, first 2 shown]
	ds_read_b128 v[82:85], v98 offset:1072
	ds_read_b128 v[86:89], v98 offset:1088
	buffer_load_dword v169, off, s[0:3], 0 offset:652
	buffer_load_dword v168, off, s[0:3], 0 offset:648
	;; [unrolled: 1-line block ×24, first 2 shown]
	ds_read_b128 v[164:167], v98 offset:1392
	v_cmp_lt_u32_e32 vcc, 19, v255
	s_waitcnt vmcnt(62) lgkmcnt(1)
	v_mul_f64 v[96:97], v[86:87], v[22:23]
	v_fmac_f64_e32 v[96:97], v[88:89], v[24:25]
	v_mul_f64 v[92:93], v[78:79], v[6:7]
	v_mul_f64 v[90:91], v[74:75], v[8:9]
	;; [unrolled: 1-line block ×3, first 2 shown]
	v_fmac_f64_e32 v[90:91], v[76:77], v[10:11]
	v_add_f64 v[90:91], v[90:91], 0
	v_fma_f64 v[8:9], v[74:75], v[10:11], -v[8:9]
	v_mul_f64 v[6:7], v[80:81], v[6:7]
	v_add_f64 v[8:9], v[8:9], 0
	v_fmac_f64_e32 v[92:93], v[80:81], v[14:15]
	v_add_f64 v[90:91], v[90:91], v[92:93]
	v_mul_f64 v[92:93], v[82:83], v[16:17]
	v_fmac_f64_e32 v[92:93], v[84:85], v[12:13]
	v_add_f64 v[94:95], v[90:91], v[92:93]
	ds_read_b128 v[90:93], v98 offset:1104
	v_add_f64 v[100:101], v[94:95], v[96:97]
	ds_read_b128 v[94:97], v98 offset:1120
	v_fma_f64 v[6:7], v[78:79], v[14:15], -v[6:7]
	v_add_f64 v[6:7], v[8:9], v[6:7]
	s_waitcnt lgkmcnt(1)
	v_mul_f64 v[102:103], v[90:91], v[18:19]
	v_fmac_f64_e32 v[102:103], v[92:93], v[20:21]
	v_add_f64 v[104:105], v[100:101], v[102:103]
	ds_read_b128 v[100:103], v98 offset:1136
	s_waitcnt lgkmcnt(1)
	v_mul_f64 v[106:107], v[94:95], v[30:31]
	v_fmac_f64_e32 v[106:107], v[96:97], v[32:33]
	v_add_f64 v[108:109], v[104:105], v[106:107]
	ds_read_b128 v[104:107], v98 offset:1152
	;; [unrolled: 5-line block ×3, first 2 shown]
	s_waitcnt vmcnt(58) lgkmcnt(1)
	v_mul_f64 v[114:115], v[104:105], v[38:39]
	s_waitcnt vmcnt(56)
	v_fmac_f64_e32 v[114:115], v[106:107], v[40:41]
	v_add_f64 v[116:117], v[112:113], v[114:115]
	ds_read_b128 v[112:115], v98 offset:1184
	s_waitcnt lgkmcnt(1)
	v_mul_f64 v[118:119], v[108:109], v[34:35]
	v_fmac_f64_e32 v[118:119], v[110:111], v[36:37]
	v_add_f64 v[120:121], v[116:117], v[118:119]
	ds_read_b128 v[116:119], v98 offset:1200
	s_waitcnt vmcnt(50) lgkmcnt(1)
	v_mul_f64 v[122:123], v[112:113], v[46:47]
	s_waitcnt vmcnt(48)
	v_fmac_f64_e32 v[122:123], v[114:115], v[48:49]
	v_add_f64 v[124:125], v[120:121], v[122:123]
	ds_read_b128 v[120:123], v98 offset:1216
	v_mul_f64 v[8:9], v[84:85], v[16:17]
	s_waitcnt lgkmcnt(1)
	v_mul_f64 v[126:127], v[116:117], v[42:43]
	v_fma_f64 v[8:9], v[82:83], v[12:13], -v[8:9]
	v_fmac_f64_e32 v[126:127], v[118:119], v[44:45]
	v_add_f64 v[6:7], v[6:7], v[8:9]
	v_mul_f64 v[8:9], v[88:89], v[22:23]
	v_add_f64 v[128:129], v[124:125], v[126:127]
	ds_read_b128 v[124:127], v98 offset:1232
	s_waitcnt vmcnt(42) lgkmcnt(1)
	v_mul_f64 v[130:131], v[120:121], v[54:55]
	v_fma_f64 v[8:9], v[86:87], v[24:25], -v[8:9]
	s_waitcnt vmcnt(40)
	v_fmac_f64_e32 v[130:131], v[122:123], v[56:57]
	v_add_f64 v[6:7], v[6:7], v[8:9]
	v_mul_f64 v[8:9], v[92:93], v[18:19]
	v_add_f64 v[132:133], v[128:129], v[130:131]
	ds_read_b128 v[128:131], v98 offset:1248
	v_fma_f64 v[8:9], v[90:91], v[20:21], -v[8:9]
	v_add_f64 v[6:7], v[6:7], v[8:9]
	v_mul_f64 v[8:9], v[96:97], v[30:31]
	v_fma_f64 v[8:9], v[94:95], v[32:33], -v[8:9]
	s_waitcnt lgkmcnt(1)
	v_mul_f64 v[134:135], v[124:125], v[50:51]
	v_add_f64 v[6:7], v[6:7], v[8:9]
	v_mul_f64 v[8:9], v[102:103], v[26:27]
	v_fmac_f64_e32 v[134:135], v[126:127], v[52:53]
	v_fma_f64 v[8:9], v[100:101], v[28:29], -v[8:9]
	v_add_f64 v[136:137], v[132:133], v[134:135]
	ds_read_b128 v[132:135], v98 offset:1264
	s_waitcnt vmcnt(34) lgkmcnt(1)
	v_mul_f64 v[138:139], v[128:129], v[62:63]
	v_add_f64 v[6:7], v[6:7], v[8:9]
	v_mul_f64 v[8:9], v[106:107], v[38:39]
	s_waitcnt vmcnt(32)
	v_fmac_f64_e32 v[138:139], v[130:131], v[64:65]
	v_fma_f64 v[8:9], v[104:105], v[40:41], -v[8:9]
	v_add_f64 v[140:141], v[136:137], v[138:139]
	ds_read_b128 v[136:139], v98 offset:1280
	v_add_f64 v[6:7], v[6:7], v[8:9]
	v_mul_f64 v[8:9], v[110:111], v[34:35]
	v_fma_f64 v[8:9], v[108:109], v[36:37], -v[8:9]
	v_add_f64 v[6:7], v[6:7], v[8:9]
	v_mul_f64 v[8:9], v[114:115], v[46:47]
	s_waitcnt lgkmcnt(1)
	v_mul_f64 v[142:143], v[132:133], v[58:59]
	v_fma_f64 v[8:9], v[112:113], v[48:49], -v[8:9]
	v_fmac_f64_e32 v[142:143], v[134:135], v[60:61]
	v_add_f64 v[6:7], v[6:7], v[8:9]
	v_mul_f64 v[8:9], v[118:119], v[42:43]
	v_add_f64 v[144:145], v[140:141], v[142:143]
	ds_read_b128 v[140:143], v98 offset:1296
	s_waitcnt vmcnt(26) lgkmcnt(1)
	v_mul_f64 v[146:147], v[136:137], v[70:71]
	v_fma_f64 v[8:9], v[116:117], v[44:45], -v[8:9]
	s_waitcnt vmcnt(24)
	v_fmac_f64_e32 v[146:147], v[138:139], v[72:73]
	v_add_f64 v[6:7], v[6:7], v[8:9]
	v_mul_f64 v[8:9], v[122:123], v[54:55]
	v_add_f64 v[148:149], v[144:145], v[146:147]
	ds_read_b128 v[144:147], v98 offset:1312
	v_fma_f64 v[8:9], v[120:121], v[56:57], -v[8:9]
	v_add_f64 v[6:7], v[6:7], v[8:9]
	v_mul_f64 v[8:9], v[126:127], v[50:51]
	v_fma_f64 v[8:9], v[124:125], v[52:53], -v[8:9]
	s_waitcnt lgkmcnt(1)
	v_mul_f64 v[150:151], v[140:141], v[66:67]
	v_add_f64 v[6:7], v[6:7], v[8:9]
	v_mul_f64 v[8:9], v[130:131], v[62:63]
	v_fmac_f64_e32 v[150:151], v[142:143], v[68:69]
	v_fma_f64 v[8:9], v[128:129], v[64:65], -v[8:9]
	v_add_f64 v[152:153], v[148:149], v[150:151]
	ds_read_b128 v[148:151], v98 offset:1328
	s_waitcnt vmcnt(18) lgkmcnt(1)
	v_mul_f64 v[154:155], v[144:145], v[172:173]
	v_add_f64 v[6:7], v[6:7], v[8:9]
	v_mul_f64 v[8:9], v[134:135], v[58:59]
	s_waitcnt vmcnt(16)
	v_fmac_f64_e32 v[154:155], v[146:147], v[174:175]
	v_fma_f64 v[8:9], v[132:133], v[60:61], -v[8:9]
	v_add_f64 v[156:157], v[152:153], v[154:155]
	ds_read_b128 v[152:155], v98 offset:1344
	v_add_f64 v[6:7], v[6:7], v[8:9]
	v_mul_f64 v[8:9], v[138:139], v[70:71]
	v_fma_f64 v[8:9], v[136:137], v[72:73], -v[8:9]
	v_add_f64 v[6:7], v[6:7], v[8:9]
	v_mul_f64 v[8:9], v[142:143], v[66:67]
	s_waitcnt lgkmcnt(1)
	v_mul_f64 v[158:159], v[148:149], v[168:169]
	v_fma_f64 v[8:9], v[140:141], v[68:69], -v[8:9]
	v_fmac_f64_e32 v[158:159], v[150:151], v[170:171]
	v_add_f64 v[6:7], v[6:7], v[8:9]
	v_mul_f64 v[8:9], v[146:147], v[172:173]
	v_add_f64 v[160:161], v[156:157], v[158:159]
	ds_read_b128 v[156:159], v98 offset:1360
	s_waitcnt vmcnt(10) lgkmcnt(1)
	v_mul_f64 v[162:163], v[152:153], v[180:181]
	v_fma_f64 v[8:9], v[144:145], v[174:175], -v[8:9]
	s_waitcnt vmcnt(8)
	v_fmac_f64_e32 v[162:163], v[154:155], v[182:183]
	v_add_f64 v[6:7], v[6:7], v[8:9]
	v_mul_f64 v[8:9], v[150:151], v[168:169]
	v_add_f64 v[192:193], v[160:161], v[162:163]
	ds_read_b128 v[160:163], v98 offset:1376
	v_fma_f64 v[8:9], v[148:149], v[170:171], -v[8:9]
	v_add_f64 v[6:7], v[6:7], v[8:9]
	v_mul_f64 v[8:9], v[154:155], v[180:181]
	v_fma_f64 v[8:9], v[152:153], v[182:183], -v[8:9]
	v_add_f64 v[6:7], v[6:7], v[8:9]
	s_waitcnt lgkmcnt(1)
	v_mul_f64 v[8:9], v[158:159], v[176:177]
	v_mul_f64 v[194:195], v[156:157], v[176:177]
	v_fma_f64 v[8:9], v[156:157], v[178:179], -v[8:9]
	v_fmac_f64_e32 v[194:195], v[158:159], v[178:179]
	v_add_f64 v[6:7], v[6:7], v[8:9]
	s_waitcnt vmcnt(2) lgkmcnt(0)
	v_mul_f64 v[8:9], v[162:163], v[188:189]
	v_add_f64 v[192:193], v[192:193], v[194:195]
	v_mul_f64 v[194:195], v[160:161], v[188:189]
	s_waitcnt vmcnt(0)
	v_fma_f64 v[8:9], v[160:161], v[190:191], -v[8:9]
	v_fmac_f64_e32 v[194:195], v[162:163], v[190:191]
	v_add_f64 v[6:7], v[6:7], v[8:9]
	v_mul_f64 v[8:9], v[166:167], v[184:185]
	v_add_f64 v[192:193], v[192:193], v[194:195]
	v_mul_f64 v[194:195], v[164:165], v[184:185]
	v_fma_f64 v[8:9], v[164:165], v[186:187], -v[8:9]
	v_fmac_f64_e32 v[194:195], v[166:167], v[186:187]
	v_add_f64 v[6:7], v[6:7], v[8:9]
	v_add_f64 v[192:193], v[192:193], v[194:195]
	v_add_f64 v[4:5], v[4:5], -v[6:7]
	v_add_f64 v[2:3], v[2:3], -v[192:193]
	buffer_store_dword v5, off, s[0:3], 0 offset:340
	buffer_store_dword v4, off, s[0:3], 0 offset:336
	;; [unrolled: 1-line block ×4, first 2 shown]
	s_and_saveexec_b64 s[4:5], vcc
	s_cbranch_execz .LBB107_239
; %bb.238:
	v_accvgpr_read_b32 v0, a112
	buffer_load_dword v2, v0, s[0:3], 0 offen
	buffer_load_dword v3, v0, s[0:3], 0 offen offset:4
	buffer_load_dword v4, v0, s[0:3], 0 offen offset:8
	;; [unrolled: 1-line block ×3, first 2 shown]
	v_accvgpr_read_b32 v0, a132
	buffer_store_dword v98, off, s[0:3], 0 offset:320
	buffer_store_dword v98, off, s[0:3], 0 offset:324
	buffer_store_dword v98, off, s[0:3], 0 offset:328
	buffer_store_dword v98, off, s[0:3], 0 offset:332
	s_waitcnt vmcnt(4)
	ds_write_b128 v0, v[2:5]
.LBB107_239:
	s_or_b64 exec, exec, s[4:5]
	s_waitcnt lgkmcnt(0)
	; wave barrier
	s_waitcnt lgkmcnt(0)
	buffer_load_dword v22, off, s[0:3], 0 offset:336
	buffer_load_dword v23, off, s[0:3], 0 offset:340
	;; [unrolled: 1-line block ×16, first 2 shown]
	ds_read_b128 v[2:5], v98 offset:1024
	ds_read_b128 v[6:9], v98 offset:1040
	;; [unrolled: 1-line block ×4, first 2 shown]
	buffer_load_dword v35, off, s[0:3], 0 offset:412
	buffer_load_dword v34, off, s[0:3], 0 offset:408
	;; [unrolled: 1-line block ×48, first 2 shown]
	v_cmp_lt_u32_e32 vcc, 18, v255
	s_waitcnt vmcnt(42) lgkmcnt(0)
	v_mul_f64 v[106:107], v[14:15], v[38:39]
	s_waitcnt vmcnt(40)
	v_fmac_f64_e32 v[106:107], v[16:17], v[40:41]
	v_mul_f64 v[82:83], v[2:3], v[24:25]
	v_fmac_f64_e32 v[82:83], v[4:5], v[22:23]
	v_add_f64 v[82:83], v[82:83], 0
	v_mul_f64 v[4:5], v[4:5], v[24:25]
	v_mul_f64 v[84:85], v[6:7], v[32:33]
	v_fma_f64 v[2:3], v[2:3], v[22:23], -v[4:5]
	v_mul_f64 v[100:101], v[10:11], v[26:27]
	v_fmac_f64_e32 v[100:101], v[12:13], v[30:31]
	v_fmac_f64_e32 v[84:85], v[8:9], v[28:29]
	v_add_f64 v[102:103], v[82:83], v[84:85]
	buffer_load_dword v83, off, s[0:3], 0 offset:604
	buffer_load_dword v82, off, s[0:3], 0 offset:600
	;; [unrolled: 1-line block ×32, first 2 shown]
	v_add_f64 v[104:105], v[102:103], v[100:101]
	ds_read_b128 v[100:103], v98 offset:1088
	buffer_load_dword v197, off, s[0:3], 0 offset:716
	buffer_load_dword v196, off, s[0:3], 0 offset:712
	;; [unrolled: 1-line block ×4, first 2 shown]
	v_add_f64 v[108:109], v[104:105], v[106:107]
	ds_read_b128 v[104:107], v98 offset:1104
	v_mul_f64 v[4:5], v[8:9], v[32:33]
	s_waitcnt lgkmcnt(1)
	v_mul_f64 v[110:111], v[100:101], v[34:35]
	v_fmac_f64_e32 v[110:111], v[102:103], v[36:37]
	v_add_f64 v[112:113], v[108:109], v[110:111]
	ds_read_b128 v[108:111], v98 offset:1120
	s_waitcnt vmcnt(62) lgkmcnt(1)
	v_mul_f64 v[114:115], v[104:105], v[46:47]
	v_fmac_f64_e32 v[114:115], v[106:107], v[48:49]
	v_add_f64 v[116:117], v[112:113], v[114:115]
	ds_read_b128 v[112:115], v98 offset:1136
	s_waitcnt lgkmcnt(1)
	v_mul_f64 v[118:119], v[108:109], v[42:43]
	v_fmac_f64_e32 v[118:119], v[110:111], v[44:45]
	v_add_f64 v[120:121], v[116:117], v[118:119]
	ds_read_b128 v[116:119], v98 offset:1152
	s_waitcnt lgkmcnt(1)
	v_mul_f64 v[122:123], v[112:113], v[54:55]
	s_waitcnt vmcnt(60)
	v_fmac_f64_e32 v[122:123], v[114:115], v[56:57]
	v_add_f64 v[124:125], v[120:121], v[122:123]
	ds_read_b128 v[120:123], v98 offset:1168
	s_waitcnt lgkmcnt(1)
	v_mul_f64 v[126:127], v[116:117], v[50:51]
	v_fmac_f64_e32 v[126:127], v[118:119], v[52:53]
	v_add_f64 v[128:129], v[124:125], v[126:127]
	ds_read_b128 v[124:127], v98 offset:1184
	s_waitcnt vmcnt(54) lgkmcnt(1)
	v_mul_f64 v[130:131], v[120:121], v[62:63]
	s_waitcnt vmcnt(52)
	v_fmac_f64_e32 v[130:131], v[122:123], v[64:65]
	v_add_f64 v[132:133], v[128:129], v[130:131]
	ds_read_b128 v[128:131], v98 offset:1200
	s_waitcnt lgkmcnt(1)
	v_mul_f64 v[134:135], v[124:125], v[58:59]
	v_fmac_f64_e32 v[134:135], v[126:127], v[60:61]
	v_add_f64 v[2:3], v[2:3], 0
	v_fma_f64 v[4:5], v[6:7], v[28:29], -v[4:5]
	v_add_f64 v[136:137], v[132:133], v[134:135]
	ds_read_b128 v[132:135], v98 offset:1216
	v_add_f64 v[2:3], v[2:3], v[4:5]
	v_mul_f64 v[4:5], v[12:13], v[26:27]
	v_fma_f64 v[4:5], v[10:11], v[30:31], -v[4:5]
	v_add_f64 v[2:3], v[2:3], v[4:5]
	v_mul_f64 v[4:5], v[16:17], v[38:39]
	s_waitcnt vmcnt(46) lgkmcnt(1)
	v_mul_f64 v[138:139], v[128:129], v[70:71]
	v_fma_f64 v[4:5], v[14:15], v[40:41], -v[4:5]
	s_waitcnt vmcnt(44)
	v_fmac_f64_e32 v[138:139], v[130:131], v[72:73]
	v_add_f64 v[2:3], v[2:3], v[4:5]
	v_mul_f64 v[4:5], v[102:103], v[34:35]
	v_add_f64 v[140:141], v[136:137], v[138:139]
	ds_read_b128 v[136:139], v98 offset:1232
	s_waitcnt lgkmcnt(1)
	v_mul_f64 v[142:143], v[132:133], v[66:67]
	v_fma_f64 v[4:5], v[100:101], v[36:37], -v[4:5]
	v_fmac_f64_e32 v[142:143], v[134:135], v[68:69]
	v_add_f64 v[2:3], v[2:3], v[4:5]
	v_mul_f64 v[4:5], v[106:107], v[46:47]
	v_add_f64 v[144:145], v[140:141], v[142:143]
	ds_read_b128 v[140:143], v98 offset:1248
	v_fma_f64 v[4:5], v[104:105], v[48:49], -v[4:5]
	v_add_f64 v[2:3], v[2:3], v[4:5]
	v_mul_f64 v[4:5], v[110:111], v[42:43]
	v_fma_f64 v[4:5], v[108:109], v[44:45], -v[4:5]
	s_waitcnt vmcnt(38) lgkmcnt(1)
	v_mul_f64 v[146:147], v[136:137], v[78:79]
	v_add_f64 v[2:3], v[2:3], v[4:5]
	v_mul_f64 v[4:5], v[114:115], v[54:55]
	s_waitcnt vmcnt(36)
	v_fmac_f64_e32 v[146:147], v[138:139], v[80:81]
	v_fma_f64 v[4:5], v[112:113], v[56:57], -v[4:5]
	v_add_f64 v[148:149], v[144:145], v[146:147]
	ds_read_b128 v[144:147], v98 offset:1264
	s_waitcnt lgkmcnt(1)
	v_mul_f64 v[150:151], v[140:141], v[74:75]
	v_add_f64 v[2:3], v[2:3], v[4:5]
	v_mul_f64 v[4:5], v[118:119], v[50:51]
	v_fmac_f64_e32 v[150:151], v[142:143], v[76:77]
	v_fma_f64 v[4:5], v[116:117], v[52:53], -v[4:5]
	v_add_f64 v[152:153], v[148:149], v[150:151]
	ds_read_b128 v[148:151], v98 offset:1280
	v_add_f64 v[2:3], v[2:3], v[4:5]
	v_mul_f64 v[4:5], v[122:123], v[62:63]
	v_fma_f64 v[4:5], v[120:121], v[64:65], -v[4:5]
	v_add_f64 v[2:3], v[2:3], v[4:5]
	v_mul_f64 v[4:5], v[126:127], v[58:59]
	s_waitcnt vmcnt(30) lgkmcnt(1)
	v_mul_f64 v[154:155], v[144:145], v[86:87]
	v_fma_f64 v[4:5], v[124:125], v[60:61], -v[4:5]
	s_waitcnt vmcnt(28)
	v_fmac_f64_e32 v[154:155], v[146:147], v[88:89]
	v_add_f64 v[2:3], v[2:3], v[4:5]
	v_mul_f64 v[4:5], v[130:131], v[70:71]
	v_add_f64 v[156:157], v[152:153], v[154:155]
	ds_read_b128 v[152:155], v98 offset:1296
	s_waitcnt lgkmcnt(1)
	v_mul_f64 v[158:159], v[148:149], v[82:83]
	v_fma_f64 v[4:5], v[128:129], v[72:73], -v[4:5]
	v_fmac_f64_e32 v[158:159], v[150:151], v[84:85]
	v_add_f64 v[2:3], v[2:3], v[4:5]
	v_mul_f64 v[4:5], v[134:135], v[66:67]
	v_add_f64 v[160:161], v[156:157], v[158:159]
	ds_read_b128 v[156:159], v98 offset:1312
	v_fma_f64 v[4:5], v[132:133], v[68:69], -v[4:5]
	v_add_f64 v[2:3], v[2:3], v[4:5]
	v_mul_f64 v[4:5], v[138:139], v[78:79]
	v_fma_f64 v[4:5], v[136:137], v[80:81], -v[4:5]
	s_waitcnt vmcnt(22) lgkmcnt(1)
	v_mul_f64 v[162:163], v[152:153], v[94:95]
	v_add_f64 v[2:3], v[2:3], v[4:5]
	v_mul_f64 v[4:5], v[142:143], v[74:75]
	s_waitcnt vmcnt(20)
	v_fmac_f64_e32 v[162:163], v[154:155], v[96:97]
	v_fma_f64 v[4:5], v[140:141], v[76:77], -v[4:5]
	v_add_f64 v[164:165], v[160:161], v[162:163]
	ds_read_b128 v[160:163], v98 offset:1328
	s_waitcnt lgkmcnt(1)
	v_mul_f64 v[166:167], v[156:157], v[90:91]
	v_add_f64 v[2:3], v[2:3], v[4:5]
	v_mul_f64 v[4:5], v[146:147], v[86:87]
	v_fmac_f64_e32 v[166:167], v[158:159], v[92:93]
	v_fma_f64 v[4:5], v[144:145], v[88:89], -v[4:5]
	v_add_f64 v[168:169], v[164:165], v[166:167]
	ds_read_b128 v[164:167], v98 offset:1344
	v_add_f64 v[2:3], v[2:3], v[4:5]
	v_mul_f64 v[4:5], v[150:151], v[82:83]
	v_fma_f64 v[4:5], v[148:149], v[84:85], -v[4:5]
	v_add_f64 v[2:3], v[2:3], v[4:5]
	v_mul_f64 v[4:5], v[154:155], v[94:95]
	s_waitcnt vmcnt(14) lgkmcnt(1)
	v_mul_f64 v[170:171], v[160:161], v[184:185]
	v_fma_f64 v[4:5], v[152:153], v[96:97], -v[4:5]
	s_waitcnt vmcnt(12)
	v_fmac_f64_e32 v[170:171], v[162:163], v[186:187]
	v_add_f64 v[2:3], v[2:3], v[4:5]
	v_mul_f64 v[4:5], v[158:159], v[90:91]
	v_add_f64 v[172:173], v[168:169], v[170:171]
	ds_read_b128 v[168:171], v98 offset:1360
	s_waitcnt lgkmcnt(1)
	v_mul_f64 v[174:175], v[164:165], v[180:181]
	v_fma_f64 v[4:5], v[156:157], v[92:93], -v[4:5]
	v_fmac_f64_e32 v[174:175], v[166:167], v[182:183]
	v_add_f64 v[2:3], v[2:3], v[4:5]
	v_mul_f64 v[4:5], v[162:163], v[184:185]
	v_add_f64 v[200:201], v[172:173], v[174:175]
	ds_read_b128 v[172:175], v98 offset:1376
	v_fma_f64 v[4:5], v[160:161], v[186:187], -v[4:5]
	v_add_f64 v[2:3], v[2:3], v[4:5]
	v_mul_f64 v[4:5], v[166:167], v[180:181]
	ds_read_b128 v[176:179], v98 offset:1392
	v_fma_f64 v[4:5], v[164:165], v[182:183], -v[4:5]
	v_add_f64 v[2:3], v[2:3], v[4:5]
	s_waitcnt vmcnt(6) lgkmcnt(2)
	v_mul_f64 v[4:5], v[170:171], v[192:193]
	v_mul_f64 v[202:203], v[168:169], v[192:193]
	s_waitcnt vmcnt(4)
	v_fma_f64 v[4:5], v[168:169], v[194:195], -v[4:5]
	v_fmac_f64_e32 v[202:203], v[170:171], v[194:195]
	v_add_f64 v[2:3], v[2:3], v[4:5]
	s_waitcnt lgkmcnt(1)
	v_mul_f64 v[4:5], v[174:175], v[188:189]
	v_add_f64 v[98:99], v[200:201], v[202:203]
	v_mul_f64 v[200:201], v[172:173], v[188:189]
	v_fma_f64 v[4:5], v[172:173], v[190:191], -v[4:5]
	v_fmac_f64_e32 v[200:201], v[174:175], v[190:191]
	v_add_f64 v[2:3], v[2:3], v[4:5]
	s_waitcnt vmcnt(2) lgkmcnt(0)
	v_mul_f64 v[4:5], v[178:179], v[196:197]
	v_add_f64 v[98:99], v[98:99], v[200:201]
	v_mul_f64 v[200:201], v[176:177], v[196:197]
	s_waitcnt vmcnt(0)
	v_fma_f64 v[4:5], v[176:177], v[198:199], -v[4:5]
	v_fmac_f64_e32 v[200:201], v[178:179], v[198:199]
	v_add_f64 v[2:3], v[2:3], v[4:5]
	v_add_f64 v[98:99], v[98:99], v[200:201]
	v_add_f64 v[2:3], v[20:21], -v[2:3]
	v_add_f64 v[4:5], v[18:19], -v[98:99]
	buffer_store_dword v3, off, s[0:3], 0 offset:324
	buffer_store_dword v2, off, s[0:3], 0 offset:320
	;; [unrolled: 1-line block ×4, first 2 shown]
	s_and_saveexec_b64 s[4:5], vcc
	s_cbranch_execz .LBB107_241
; %bb.240:
	v_accvgpr_read_b32 v0, a113
	buffer_load_dword v2, v0, s[0:3], 0 offen
	buffer_load_dword v3, v0, s[0:3], 0 offen offset:4
	buffer_load_dword v4, v0, s[0:3], 0 offen offset:8
	;; [unrolled: 1-line block ×3, first 2 shown]
	v_mov_b32_e32 v0, 0
	v_accvgpr_read_b32 v1, a132
	buffer_store_dword v0, off, s[0:3], 0 offset:304
	buffer_store_dword v0, off, s[0:3], 0 offset:308
	;; [unrolled: 1-line block ×4, first 2 shown]
	s_waitcnt vmcnt(4)
	ds_write_b128 v1, v[2:5]
.LBB107_241:
	s_or_b64 exec, exec, s[4:5]
	s_waitcnt lgkmcnt(0)
	; wave barrier
	s_waitcnt lgkmcnt(0)
	buffer_load_dword v22, off, s[0:3], 0 offset:320
	buffer_load_dword v23, off, s[0:3], 0 offset:324
	;; [unrolled: 1-line block ×64, first 2 shown]
	v_mov_b32_e32 v114, 0
	ds_read_b128 v[18:21], v114 offset:1008
	ds_read_b128 v[14:17], v114 offset:1024
	;; [unrolled: 1-line block ×5, first 2 shown]
	v_cmp_lt_u32_e32 vcc, 17, v255
	s_waitcnt vmcnt(60) lgkmcnt(4)
	v_mul_f64 v[86:87], v[18:19], v[26:27]
	v_fmac_f64_e32 v[86:87], v[20:21], v[22:23]
	v_add_f64 v[86:87], v[86:87], 0
	v_mul_f64 v[20:21], v[20:21], v[26:27]
	s_waitcnt vmcnt(56) lgkmcnt(3)
	v_mul_f64 v[88:89], v[14:15], v[28:29]
	v_fmac_f64_e32 v[88:89], v[16:17], v[24:25]
	s_waitcnt vmcnt(54) lgkmcnt(2)
	v_mul_f64 v[90:91], v[10:11], v[30:31]
	v_add_f64 v[86:87], v[86:87], v[88:89]
	v_fma_f64 v[18:19], v[18:19], v[22:23], -v[20:21]
	v_mul_f64 v[16:17], v[16:17], v[28:29]
	s_waitcnt vmcnt(50) lgkmcnt(1)
	v_mul_f64 v[102:103], v[6:7], v[40:41]
	v_add_f64 v[18:19], v[18:19], 0
	s_waitcnt vmcnt(48)
	v_fmac_f64_e32 v[90:91], v[12:13], v[44:45]
	v_add_f64 v[104:105], v[86:87], v[90:91]
	buffer_load_dword v87, off, s[0:3], 0 offset:588
	buffer_load_dword v86, off, s[0:3], 0 offset:584
	;; [unrolled: 1-line block ×40, first 2 shown]
	s_waitcnt vmcnt(62)
	v_fmac_f64_e32 v[102:103], v[8:9], v[42:43]
	v_add_f64 v[106:107], v[104:105], v[102:103]
	ds_read_b128 v[102:105], v114 offset:1088
	s_waitcnt lgkmcnt(1)
	v_mul_f64 v[108:109], v[2:3], v[36:37]
	v_fmac_f64_e32 v[108:109], v[4:5], v[38:39]
	v_add_f64 v[110:111], v[106:107], v[108:109]
	ds_read_b128 v[106:109], v114 offset:1104
	s_waitcnt lgkmcnt(1)
	v_mul_f64 v[112:113], v[102:103], v[50:51]
	;; [unrolled: 5-line block ×5, first 2 shown]
	v_fmac_f64_e32 v[126:127], v[118:119], v[56:57]
	v_add_f64 v[128:129], v[124:125], v[126:127]
	ds_read_b128 v[124:127], v114 offset:1168
	s_waitcnt vmcnt(58) lgkmcnt(1)
	v_mul_f64 v[130:131], v[120:121], v[66:67]
	s_waitcnt vmcnt(56)
	v_fmac_f64_e32 v[130:131], v[122:123], v[68:69]
	v_add_f64 v[132:133], v[128:129], v[130:131]
	ds_read_b128 v[128:131], v114 offset:1184
	s_waitcnt lgkmcnt(1)
	v_mul_f64 v[134:135], v[124:125], v[62:63]
	v_fmac_f64_e32 v[134:135], v[126:127], v[64:65]
	v_add_f64 v[136:137], v[132:133], v[134:135]
	ds_read_b128 v[132:135], v114 offset:1200
	s_waitcnt vmcnt(50) lgkmcnt(1)
	v_mul_f64 v[138:139], v[128:129], v[74:75]
	s_waitcnt vmcnt(48)
	v_fmac_f64_e32 v[138:139], v[130:131], v[76:77]
	v_add_f64 v[140:141], v[136:137], v[138:139]
	ds_read_b128 v[136:139], v114 offset:1216
	v_fma_f64 v[14:15], v[14:15], v[24:25], -v[16:17]
	v_mul_f64 v[12:13], v[12:13], v[30:31]
	v_add_f64 v[14:15], v[18:19], v[14:15]
	v_fma_f64 v[10:11], v[10:11], v[44:45], -v[12:13]
	v_mul_f64 v[8:9], v[8:9], v[40:41]
	s_waitcnt lgkmcnt(1)
	v_mul_f64 v[142:143], v[132:133], v[70:71]
	v_add_f64 v[10:11], v[14:15], v[10:11]
	v_fma_f64 v[6:7], v[6:7], v[42:43], -v[8:9]
	v_mul_f64 v[4:5], v[4:5], v[36:37]
	v_fmac_f64_e32 v[142:143], v[134:135], v[72:73]
	v_add_f64 v[6:7], v[10:11], v[6:7]
	v_fma_f64 v[2:3], v[2:3], v[38:39], -v[4:5]
	v_mul_f64 v[4:5], v[104:105], v[50:51]
	v_add_f64 v[144:145], v[140:141], v[142:143]
	ds_read_b128 v[140:143], v114 offset:1232
	s_waitcnt vmcnt(42) lgkmcnt(1)
	v_mul_f64 v[146:147], v[136:137], v[82:83]
	v_add_f64 v[2:3], v[6:7], v[2:3]
	v_fma_f64 v[4:5], v[102:103], v[52:53], -v[4:5]
	s_waitcnt vmcnt(40)
	v_fmac_f64_e32 v[146:147], v[138:139], v[84:85]
	v_add_f64 v[2:3], v[2:3], v[4:5]
	v_mul_f64 v[4:5], v[108:109], v[46:47]
	v_add_f64 v[148:149], v[144:145], v[146:147]
	ds_read_b128 v[144:147], v114 offset:1248
	v_fma_f64 v[4:5], v[106:107], v[48:49], -v[4:5]
	v_add_f64 v[2:3], v[2:3], v[4:5]
	v_mul_f64 v[4:5], v[112:113], v[58:59]
	v_fma_f64 v[4:5], v[110:111], v[60:61], -v[4:5]
	s_waitcnt lgkmcnt(1)
	v_mul_f64 v[150:151], v[140:141], v[78:79]
	v_add_f64 v[2:3], v[2:3], v[4:5]
	v_mul_f64 v[4:5], v[118:119], v[54:55]
	v_fmac_f64_e32 v[150:151], v[142:143], v[80:81]
	v_fma_f64 v[4:5], v[116:117], v[56:57], -v[4:5]
	v_add_f64 v[152:153], v[148:149], v[150:151]
	ds_read_b128 v[148:151], v114 offset:1264
	s_waitcnt vmcnt(34) lgkmcnt(1)
	v_mul_f64 v[154:155], v[144:145], v[90:91]
	v_add_f64 v[2:3], v[2:3], v[4:5]
	v_mul_f64 v[4:5], v[122:123], v[66:67]
	s_waitcnt vmcnt(32)
	v_fmac_f64_e32 v[154:155], v[146:147], v[92:93]
	v_fma_f64 v[4:5], v[120:121], v[68:69], -v[4:5]
	v_add_f64 v[156:157], v[152:153], v[154:155]
	ds_read_b128 v[152:155], v114 offset:1280
	v_add_f64 v[2:3], v[2:3], v[4:5]
	v_mul_f64 v[4:5], v[126:127], v[62:63]
	v_fma_f64 v[4:5], v[124:125], v[64:65], -v[4:5]
	v_add_f64 v[2:3], v[2:3], v[4:5]
	v_mul_f64 v[4:5], v[130:131], v[74:75]
	s_waitcnt lgkmcnt(1)
	v_mul_f64 v[158:159], v[148:149], v[86:87]
	v_fma_f64 v[4:5], v[128:129], v[76:77], -v[4:5]
	v_fmac_f64_e32 v[158:159], v[150:151], v[88:89]
	v_add_f64 v[2:3], v[2:3], v[4:5]
	v_mul_f64 v[4:5], v[134:135], v[70:71]
	v_add_f64 v[160:161], v[156:157], v[158:159]
	ds_read_b128 v[156:159], v114 offset:1296
	s_waitcnt vmcnt(26) lgkmcnt(1)
	v_mul_f64 v[162:163], v[152:153], v[98:99]
	v_fma_f64 v[4:5], v[132:133], v[72:73], -v[4:5]
	s_waitcnt vmcnt(24)
	v_fmac_f64_e32 v[162:163], v[154:155], v[100:101]
	v_add_f64 v[2:3], v[2:3], v[4:5]
	v_mul_f64 v[4:5], v[138:139], v[82:83]
	v_add_f64 v[164:165], v[160:161], v[162:163]
	ds_read_b128 v[160:163], v114 offset:1312
	v_fma_f64 v[4:5], v[136:137], v[84:85], -v[4:5]
	v_add_f64 v[2:3], v[2:3], v[4:5]
	v_mul_f64 v[4:5], v[142:143], v[78:79]
	v_fma_f64 v[4:5], v[140:141], v[80:81], -v[4:5]
	s_waitcnt lgkmcnt(1)
	v_mul_f64 v[166:167], v[156:157], v[94:95]
	v_add_f64 v[2:3], v[2:3], v[4:5]
	v_mul_f64 v[4:5], v[146:147], v[90:91]
	v_fmac_f64_e32 v[166:167], v[158:159], v[96:97]
	v_fma_f64 v[4:5], v[144:145], v[92:93], -v[4:5]
	v_add_f64 v[168:169], v[164:165], v[166:167]
	ds_read_b128 v[164:167], v114 offset:1328
	s_waitcnt vmcnt(18) lgkmcnt(1)
	v_mul_f64 v[170:171], v[160:161], v[188:189]
	v_add_f64 v[2:3], v[2:3], v[4:5]
	v_mul_f64 v[4:5], v[150:151], v[86:87]
	s_waitcnt vmcnt(16)
	v_fmac_f64_e32 v[170:171], v[162:163], v[190:191]
	v_fma_f64 v[4:5], v[148:149], v[88:89], -v[4:5]
	v_add_f64 v[172:173], v[168:169], v[170:171]
	ds_read_b128 v[168:171], v114 offset:1344
	v_add_f64 v[2:3], v[2:3], v[4:5]
	v_mul_f64 v[4:5], v[154:155], v[98:99]
	v_fma_f64 v[4:5], v[152:153], v[100:101], -v[4:5]
	v_add_f64 v[2:3], v[2:3], v[4:5]
	v_mul_f64 v[4:5], v[158:159], v[94:95]
	s_waitcnt lgkmcnt(1)
	v_mul_f64 v[174:175], v[164:165], v[184:185]
	v_fma_f64 v[4:5], v[156:157], v[96:97], -v[4:5]
	v_fmac_f64_e32 v[174:175], v[166:167], v[186:187]
	v_add_f64 v[2:3], v[2:3], v[4:5]
	v_mul_f64 v[4:5], v[162:163], v[188:189]
	v_add_f64 v[176:177], v[172:173], v[174:175]
	ds_read_b128 v[172:175], v114 offset:1360
	s_waitcnt vmcnt(10) lgkmcnt(1)
	v_mul_f64 v[178:179], v[168:169], v[196:197]
	v_fma_f64 v[4:5], v[160:161], v[190:191], -v[4:5]
	s_waitcnt vmcnt(8)
	v_fmac_f64_e32 v[178:179], v[170:171], v[198:199]
	v_add_f64 v[2:3], v[2:3], v[4:5]
	v_mul_f64 v[4:5], v[166:167], v[184:185]
	v_add_f64 v[208:209], v[176:177], v[178:179]
	ds_read_b128 v[176:179], v114 offset:1376
	ds_read_b128 v[180:183], v114 offset:1392
	v_fma_f64 v[4:5], v[164:165], v[186:187], -v[4:5]
	v_add_f64 v[2:3], v[2:3], v[4:5]
	v_mul_f64 v[4:5], v[170:171], v[196:197]
	v_fma_f64 v[4:5], v[168:169], v[198:199], -v[4:5]
	v_add_f64 v[2:3], v[2:3], v[4:5]
	s_waitcnt lgkmcnt(2)
	v_mul_f64 v[4:5], v[174:175], v[192:193]
	v_mul_f64 v[210:211], v[172:173], v[192:193]
	v_fma_f64 v[4:5], v[172:173], v[194:195], -v[4:5]
	v_fmac_f64_e32 v[210:211], v[174:175], v[194:195]
	v_add_f64 v[2:3], v[2:3], v[4:5]
	s_waitcnt vmcnt(2) lgkmcnt(1)
	v_mul_f64 v[4:5], v[178:179], v[204:205]
	v_add_f64 v[208:209], v[208:209], v[210:211]
	v_mul_f64 v[210:211], v[176:177], v[204:205]
	s_waitcnt vmcnt(0)
	v_fma_f64 v[4:5], v[176:177], v[206:207], -v[4:5]
	v_fmac_f64_e32 v[210:211], v[178:179], v[206:207]
	v_add_f64 v[2:3], v[2:3], v[4:5]
	s_waitcnt lgkmcnt(0)
	v_mul_f64 v[4:5], v[182:183], v[200:201]
	v_add_f64 v[208:209], v[208:209], v[210:211]
	v_mul_f64 v[210:211], v[180:181], v[200:201]
	v_fma_f64 v[4:5], v[180:181], v[202:203], -v[4:5]
	v_fmac_f64_e32 v[210:211], v[182:183], v[202:203]
	v_add_f64 v[2:3], v[2:3], v[4:5]
	v_add_f64 v[208:209], v[208:209], v[210:211]
	v_add_f64 v[2:3], v[34:35], -v[2:3]
	v_add_f64 v[4:5], v[32:33], -v[208:209]
	buffer_store_dword v3, off, s[0:3], 0 offset:308
	buffer_store_dword v2, off, s[0:3], 0 offset:304
	buffer_store_dword v5, off, s[0:3], 0 offset:316
	buffer_store_dword v4, off, s[0:3], 0 offset:312
	s_and_saveexec_b64 s[4:5], vcc
	s_cbranch_execz .LBB107_243
; %bb.242:
	v_accvgpr_read_b32 v0, a114
	buffer_load_dword v2, v0, s[0:3], 0 offen
	buffer_load_dword v3, v0, s[0:3], 0 offen offset:4
	buffer_load_dword v4, v0, s[0:3], 0 offen offset:8
	;; [unrolled: 1-line block ×3, first 2 shown]
	v_accvgpr_read_b32 v0, a132
	buffer_store_dword v114, off, s[0:3], 0 offset:288
	buffer_store_dword v114, off, s[0:3], 0 offset:292
	;; [unrolled: 1-line block ×4, first 2 shown]
	s_waitcnt vmcnt(4)
	ds_write_b128 v0, v[2:5]
.LBB107_243:
	s_or_b64 exec, exec, s[4:5]
	s_waitcnt lgkmcnt(0)
	; wave barrier
	s_waitcnt lgkmcnt(0)
	buffer_load_dword v26, off, s[0:3], 0 offset:304
	buffer_load_dword v27, off, s[0:3], 0 offset:308
	;; [unrolled: 1-line block ×24, first 2 shown]
	ds_read_b128 v[22:25], v114 offset:992
	ds_read_b128 v[18:21], v114 offset:1008
	;; [unrolled: 1-line block ×6, first 2 shown]
	buffer_load_dword v51, off, s[0:3], 0 offset:412
	buffer_load_dword v50, off, s[0:3], 0 offset:408
	;; [unrolled: 1-line block ×40, first 2 shown]
	v_cmp_lt_u32_e32 vcc, 16, v255
	s_waitcnt vmcnt(34) lgkmcnt(0)
	v_mul_f64 v[122:123], v[14:15], v[54:55]
	s_waitcnt vmcnt(32)
	v_fmac_f64_e32 v[122:123], v[16:17], v[56:57]
	v_mul_f64 v[90:91], v[22:23], v[28:29]
	v_fmac_f64_e32 v[90:91], v[24:25], v[26:27]
	v_mul_f64 v[92:93], v[18:19], v[30:31]
	v_add_f64 v[90:91], v[90:91], 0
	v_mul_f64 v[94:95], v[10:11], v[32:33]
	v_mul_f64 v[24:25], v[24:25], v[28:29]
	;; [unrolled: 1-line block ×3, first 2 shown]
	v_fma_f64 v[22:23], v[22:23], v[26:27], -v[24:25]
	v_add_f64 v[22:23], v[22:23], 0
	v_mul_f64 v[96:97], v[6:7], v[42:43]
	v_fmac_f64_e32 v[92:93], v[20:21], v[48:49]
	v_add_f64 v[90:91], v[90:91], v[92:93]
	v_fmac_f64_e32 v[94:95], v[12:13], v[46:47]
	v_add_f64 v[90:91], v[90:91], v[94:95]
	;; [unrolled: 2-line block ×3, first 2 shown]
	buffer_load_dword v91, off, s[0:3], 0 offset:572
	buffer_load_dword v90, off, s[0:3], 0 offset:568
	;; [unrolled: 1-line block ×40, first 2 shown]
	v_fmac_f64_e32 v[116:117], v[4:5], v[40:41]
	v_add_f64 v[120:121], v[118:119], v[116:117]
	ds_read_b128 v[116:119], v114 offset:1088
	buffer_load_dword v213, off, s[0:3], 0 offset:716
	buffer_load_dword v212, off, s[0:3], 0 offset:712
	buffer_load_dword v215, off, s[0:3], 0 offset:708
	buffer_load_dword v214, off, s[0:3], 0 offset:704
	v_add_f64 v[124:125], v[120:121], v[122:123]
	ds_read_b128 v[120:123], v114 offset:1104
	v_mul_f64 v[20:21], v[20:21], v[30:31]
	s_waitcnt lgkmcnt(1)
	v_mul_f64 v[126:127], v[116:117], v[50:51]
	v_fmac_f64_e32 v[126:127], v[118:119], v[52:53]
	v_add_f64 v[128:129], v[124:125], v[126:127]
	ds_read_b128 v[124:127], v114 offset:1120
	s_waitcnt vmcnt(62) lgkmcnt(1)
	v_mul_f64 v[130:131], v[120:121], v[62:63]
	v_fmac_f64_e32 v[130:131], v[122:123], v[64:65]
	v_add_f64 v[132:133], v[128:129], v[130:131]
	ds_read_b128 v[128:131], v114 offset:1136
	s_waitcnt lgkmcnt(1)
	v_mul_f64 v[134:135], v[124:125], v[58:59]
	v_fmac_f64_e32 v[134:135], v[126:127], v[60:61]
	v_add_f64 v[136:137], v[132:133], v[134:135]
	ds_read_b128 v[132:135], v114 offset:1152
	s_waitcnt lgkmcnt(1)
	v_mul_f64 v[138:139], v[128:129], v[70:71]
	s_waitcnt vmcnt(60)
	v_fmac_f64_e32 v[138:139], v[130:131], v[72:73]
	v_add_f64 v[140:141], v[136:137], v[138:139]
	ds_read_b128 v[136:139], v114 offset:1168
	s_waitcnt lgkmcnt(1)
	v_mul_f64 v[142:143], v[132:133], v[66:67]
	v_fmac_f64_e32 v[142:143], v[134:135], v[68:69]
	v_add_f64 v[144:145], v[140:141], v[142:143]
	ds_read_b128 v[140:143], v114 offset:1184
	s_waitcnt vmcnt(54) lgkmcnt(1)
	v_mul_f64 v[146:147], v[136:137], v[78:79]
	s_waitcnt vmcnt(52)
	v_fmac_f64_e32 v[146:147], v[138:139], v[80:81]
	v_add_f64 v[148:149], v[144:145], v[146:147]
	ds_read_b128 v[144:147], v114 offset:1200
	s_waitcnt lgkmcnt(1)
	v_mul_f64 v[150:151], v[140:141], v[74:75]
	v_fmac_f64_e32 v[150:151], v[142:143], v[76:77]
	v_fma_f64 v[18:19], v[18:19], v[48:49], -v[20:21]
	v_mul_f64 v[12:13], v[12:13], v[32:33]
	v_add_f64 v[152:153], v[148:149], v[150:151]
	ds_read_b128 v[148:151], v114 offset:1216
	v_add_f64 v[18:19], v[22:23], v[18:19]
	v_fma_f64 v[10:11], v[10:11], v[46:47], -v[12:13]
	v_mul_f64 v[8:9], v[8:9], v[42:43]
	v_add_f64 v[10:11], v[18:19], v[10:11]
	v_fma_f64 v[6:7], v[6:7], v[44:45], -v[8:9]
	v_mul_f64 v[4:5], v[4:5], v[38:39]
	;; [unrolled: 3-line block ×3, first 2 shown]
	s_waitcnt vmcnt(46) lgkmcnt(1)
	v_mul_f64 v[154:155], v[144:145], v[86:87]
	v_add_f64 v[2:3], v[6:7], v[2:3]
	v_fma_f64 v[4:5], v[14:15], v[56:57], -v[4:5]
	s_waitcnt vmcnt(44)
	v_fmac_f64_e32 v[154:155], v[146:147], v[88:89]
	v_add_f64 v[2:3], v[2:3], v[4:5]
	v_mul_f64 v[4:5], v[118:119], v[50:51]
	v_add_f64 v[156:157], v[152:153], v[154:155]
	ds_read_b128 v[152:155], v114 offset:1232
	s_waitcnt lgkmcnt(1)
	v_mul_f64 v[158:159], v[148:149], v[82:83]
	v_fma_f64 v[4:5], v[116:117], v[52:53], -v[4:5]
	v_fmac_f64_e32 v[158:159], v[150:151], v[84:85]
	v_add_f64 v[2:3], v[2:3], v[4:5]
	v_mul_f64 v[4:5], v[122:123], v[62:63]
	v_add_f64 v[160:161], v[156:157], v[158:159]
	ds_read_b128 v[156:159], v114 offset:1248
	v_fma_f64 v[4:5], v[120:121], v[64:65], -v[4:5]
	v_add_f64 v[2:3], v[2:3], v[4:5]
	v_mul_f64 v[4:5], v[126:127], v[58:59]
	v_fma_f64 v[4:5], v[124:125], v[60:61], -v[4:5]
	s_waitcnt vmcnt(38) lgkmcnt(1)
	v_mul_f64 v[162:163], v[152:153], v[94:95]
	v_add_f64 v[2:3], v[2:3], v[4:5]
	v_mul_f64 v[4:5], v[130:131], v[70:71]
	s_waitcnt vmcnt(36)
	v_fmac_f64_e32 v[162:163], v[154:155], v[96:97]
	v_fma_f64 v[4:5], v[128:129], v[72:73], -v[4:5]
	v_add_f64 v[164:165], v[160:161], v[162:163]
	ds_read_b128 v[160:163], v114 offset:1264
	s_waitcnt lgkmcnt(1)
	v_mul_f64 v[166:167], v[156:157], v[90:91]
	v_add_f64 v[2:3], v[2:3], v[4:5]
	v_mul_f64 v[4:5], v[134:135], v[66:67]
	v_fmac_f64_e32 v[166:167], v[158:159], v[92:93]
	v_fma_f64 v[4:5], v[132:133], v[68:69], -v[4:5]
	v_add_f64 v[168:169], v[164:165], v[166:167]
	ds_read_b128 v[164:167], v114 offset:1280
	v_add_f64 v[2:3], v[2:3], v[4:5]
	v_mul_f64 v[4:5], v[138:139], v[78:79]
	v_fma_f64 v[4:5], v[136:137], v[80:81], -v[4:5]
	v_add_f64 v[2:3], v[2:3], v[4:5]
	v_mul_f64 v[4:5], v[142:143], v[74:75]
	s_waitcnt vmcnt(30) lgkmcnt(1)
	v_mul_f64 v[170:171], v[160:161], v[102:103]
	v_fma_f64 v[4:5], v[140:141], v[76:77], -v[4:5]
	s_waitcnt vmcnt(28)
	v_fmac_f64_e32 v[170:171], v[162:163], v[104:105]
	v_add_f64 v[2:3], v[2:3], v[4:5]
	v_mul_f64 v[4:5], v[146:147], v[86:87]
	v_add_f64 v[172:173], v[168:169], v[170:171]
	ds_read_b128 v[168:171], v114 offset:1296
	s_waitcnt lgkmcnt(1)
	v_mul_f64 v[174:175], v[164:165], v[98:99]
	v_fma_f64 v[4:5], v[144:145], v[88:89], -v[4:5]
	v_fmac_f64_e32 v[174:175], v[166:167], v[100:101]
	v_add_f64 v[2:3], v[2:3], v[4:5]
	v_mul_f64 v[4:5], v[150:151], v[82:83]
	v_add_f64 v[176:177], v[172:173], v[174:175]
	ds_read_b128 v[172:175], v114 offset:1312
	v_fma_f64 v[4:5], v[148:149], v[84:85], -v[4:5]
	v_add_f64 v[2:3], v[2:3], v[4:5]
	v_mul_f64 v[4:5], v[154:155], v[94:95]
	v_fma_f64 v[4:5], v[152:153], v[96:97], -v[4:5]
	s_waitcnt vmcnt(22) lgkmcnt(1)
	v_mul_f64 v[178:179], v[168:169], v[110:111]
	v_add_f64 v[2:3], v[2:3], v[4:5]
	v_mul_f64 v[4:5], v[158:159], v[90:91]
	s_waitcnt vmcnt(20)
	v_fmac_f64_e32 v[178:179], v[170:171], v[112:113]
	v_fma_f64 v[4:5], v[156:157], v[92:93], -v[4:5]
	v_add_f64 v[180:181], v[176:177], v[178:179]
	ds_read_b128 v[176:179], v114 offset:1328
	s_waitcnt lgkmcnt(1)
	v_mul_f64 v[182:183], v[172:173], v[106:107]
	v_add_f64 v[2:3], v[2:3], v[4:5]
	v_mul_f64 v[4:5], v[162:163], v[102:103]
	v_fmac_f64_e32 v[182:183], v[174:175], v[108:109]
	v_fma_f64 v[4:5], v[160:161], v[104:105], -v[4:5]
	v_add_f64 v[186:187], v[180:181], v[182:183]
	ds_read_b128 v[180:183], v114 offset:1344
	v_add_f64 v[2:3], v[2:3], v[4:5]
	v_mul_f64 v[4:5], v[166:167], v[98:99]
	v_fma_f64 v[4:5], v[164:165], v[100:101], -v[4:5]
	v_add_f64 v[2:3], v[2:3], v[4:5]
	v_mul_f64 v[4:5], v[170:171], v[110:111]
	s_waitcnt vmcnt(14) lgkmcnt(1)
	v_mul_f64 v[188:189], v[176:177], v[200:201]
	v_fma_f64 v[4:5], v[168:169], v[112:113], -v[4:5]
	s_waitcnt vmcnt(12)
	v_fmac_f64_e32 v[188:189], v[178:179], v[202:203]
	v_add_f64 v[2:3], v[2:3], v[4:5]
	v_mul_f64 v[4:5], v[174:175], v[106:107]
	v_add_f64 v[190:191], v[186:187], v[188:189]
	ds_read_b128 v[186:189], v114 offset:1360
	s_waitcnt lgkmcnt(1)
	v_mul_f64 v[192:193], v[180:181], v[184:185]
	v_fma_f64 v[4:5], v[172:173], v[108:109], -v[4:5]
	v_fmac_f64_e32 v[192:193], v[182:183], v[198:199]
	v_add_f64 v[2:3], v[2:3], v[4:5]
	v_mul_f64 v[4:5], v[178:179], v[200:201]
	v_add_f64 v[216:217], v[190:191], v[192:193]
	ds_read_b128 v[190:193], v114 offset:1376
	v_fma_f64 v[4:5], v[176:177], v[202:203], -v[4:5]
	v_add_f64 v[2:3], v[2:3], v[4:5]
	v_mul_f64 v[4:5], v[182:183], v[184:185]
	ds_read_b128 v[194:197], v114 offset:1392
	v_fma_f64 v[4:5], v[180:181], v[198:199], -v[4:5]
	v_add_f64 v[2:3], v[2:3], v[4:5]
	s_waitcnt vmcnt(6) lgkmcnt(2)
	v_mul_f64 v[4:5], v[188:189], v[208:209]
	v_mul_f64 v[218:219], v[186:187], v[208:209]
	s_waitcnt vmcnt(4)
	v_fma_f64 v[4:5], v[186:187], v[210:211], -v[4:5]
	v_fmac_f64_e32 v[218:219], v[188:189], v[210:211]
	v_add_f64 v[2:3], v[2:3], v[4:5]
	s_waitcnt lgkmcnt(1)
	v_mul_f64 v[4:5], v[192:193], v[204:205]
	v_add_f64 v[114:115], v[216:217], v[218:219]
	v_mul_f64 v[216:217], v[190:191], v[204:205]
	v_fma_f64 v[4:5], v[190:191], v[206:207], -v[4:5]
	v_fmac_f64_e32 v[216:217], v[192:193], v[206:207]
	v_add_f64 v[2:3], v[2:3], v[4:5]
	s_waitcnt vmcnt(2) lgkmcnt(0)
	v_mul_f64 v[4:5], v[196:197], v[212:213]
	v_add_f64 v[114:115], v[114:115], v[216:217]
	v_mul_f64 v[216:217], v[194:195], v[212:213]
	s_waitcnt vmcnt(0)
	v_fma_f64 v[4:5], v[194:195], v[214:215], -v[4:5]
	v_fmac_f64_e32 v[216:217], v[196:197], v[214:215]
	v_add_f64 v[2:3], v[2:3], v[4:5]
	v_add_f64 v[114:115], v[114:115], v[216:217]
	v_add_f64 v[2:3], v[36:37], -v[2:3]
	v_add_f64 v[4:5], v[34:35], -v[114:115]
	buffer_store_dword v3, off, s[0:3], 0 offset:292
	buffer_store_dword v2, off, s[0:3], 0 offset:288
	;; [unrolled: 1-line block ×4, first 2 shown]
	s_and_saveexec_b64 s[4:5], vcc
	s_cbranch_execz .LBB107_245
; %bb.244:
	v_accvgpr_read_b32 v0, a115
	buffer_load_dword v2, v0, s[0:3], 0 offen
	buffer_load_dword v3, v0, s[0:3], 0 offen offset:4
	buffer_load_dword v4, v0, s[0:3], 0 offen offset:8
	;; [unrolled: 1-line block ×3, first 2 shown]
	v_mov_b32_e32 v0, 0
	v_accvgpr_read_b32 v1, a132
	buffer_store_dword v0, off, s[0:3], 0 offset:272
	buffer_store_dword v0, off, s[0:3], 0 offset:276
	;; [unrolled: 1-line block ×4, first 2 shown]
	s_waitcnt vmcnt(4)
	ds_write_b128 v1, v[2:5]
.LBB107_245:
	s_or_b64 exec, exec, s[4:5]
	s_waitcnt lgkmcnt(0)
	; wave barrier
	s_waitcnt lgkmcnt(0)
	buffer_load_dword v30, off, s[0:3], 0 offset:288
	buffer_load_dword v31, off, s[0:3], 0 offset:292
	;; [unrolled: 1-line block ×56, first 2 shown]
	v_mov_b32_e32 v134, 0
	ds_read_b128 v[26:29], v134 offset:976
	ds_read_b128 v[22:25], v134 offset:992
	;; [unrolled: 1-line block ×7, first 2 shown]
	v_cmp_lt_u32_e32 vcc, 15, v255
	s_waitcnt vmcnt(52) lgkmcnt(6)
	v_mul_f64 v[86:87], v[26:27], v[34:35]
	v_fmac_f64_e32 v[86:87], v[28:29], v[30:31]
	v_add_f64 v[86:87], v[86:87], 0
	v_mul_f64 v[28:29], v[28:29], v[34:35]
	s_waitcnt vmcnt(48) lgkmcnt(5)
	v_mul_f64 v[88:89], v[22:23], v[36:37]
	v_fmac_f64_e32 v[88:89], v[24:25], v[32:33]
	s_waitcnt vmcnt(46) lgkmcnt(4)
	v_mul_f64 v[90:91], v[18:19], v[38:39]
	v_add_f64 v[86:87], v[86:87], v[88:89]
	s_waitcnt vmcnt(44) lgkmcnt(2)
	v_mul_f64 v[94:95], v[10:11], v[40:41]
	v_fma_f64 v[26:27], v[26:27], v[30:31], -v[28:29]
	s_waitcnt vmcnt(42)
	v_fmac_f64_e32 v[94:95], v[12:13], v[42:43]
	v_mul_f64 v[24:25], v[24:25], v[36:37]
	s_waitcnt vmcnt(40)
	v_mul_f64 v[92:93], v[14:15], v[48:49]
	v_add_f64 v[26:27], v[26:27], 0
	v_fma_f64 v[22:23], v[22:23], v[32:33], -v[24:25]
	v_add_f64 v[22:23], v[26:27], v[22:23]
	s_waitcnt vmcnt(36) lgkmcnt(1)
	v_mul_f64 v[110:111], v[6:7], v[54:55]
	v_mul_f64 v[12:13], v[12:13], v[40:41]
	s_waitcnt vmcnt(34)
	v_fmac_f64_e32 v[90:91], v[20:21], v[60:61]
	v_add_f64 v[86:87], v[86:87], v[90:91]
	s_waitcnt vmcnt(32)
	v_fmac_f64_e32 v[92:93], v[16:17], v[58:59]
	v_add_f64 v[86:87], v[86:87], v[92:93]
	v_add_f64 v[116:117], v[86:87], v[94:95]
	buffer_load_dword v87, off, s[0:3], 0 offset:524
	buffer_load_dword v86, off, s[0:3], 0 offset:520
	;; [unrolled: 1-line block ×56, first 2 shown]
	ds_read_b128 v[124:127], v134 offset:1088
	ds_read_b128 v[128:131], v134 offset:1104
	v_mul_f64 v[20:21], v[20:21], v[38:39]
	v_fma_f64 v[18:19], v[18:19], v[60:61], -v[20:21]
	v_mul_f64 v[16:17], v[16:17], v[48:49]
	s_waitcnt vmcnt(62)
	v_fmac_f64_e32 v[110:111], v[8:9], v[56:57]
	v_add_f64 v[18:19], v[22:23], v[18:19]
	v_fma_f64 v[14:15], v[14:15], v[58:59], -v[16:17]
	v_add_f64 v[110:111], v[116:117], v[110:111]
	s_waitcnt lgkmcnt(2)
	v_mul_f64 v[116:117], v[2:3], v[50:51]
	v_add_f64 v[14:15], v[18:19], v[14:15]
	v_fma_f64 v[10:11], v[10:11], v[42:43], -v[12:13]
	v_mul_f64 v[8:9], v[8:9], v[54:55]
	v_fmac_f64_e32 v[116:117], v[4:5], v[52:53]
	ds_read_b128 v[136:139], v134 offset:1120
	ds_read_b128 v[140:143], v134 offset:1136
	v_add_f64 v[10:11], v[14:15], v[10:11]
	v_fma_f64 v[6:7], v[6:7], v[56:57], -v[8:9]
	v_mul_f64 v[4:5], v[4:5], v[50:51]
	v_add_f64 v[6:7], v[10:11], v[6:7]
	v_fma_f64 v[2:3], v[2:3], v[52:53], -v[4:5]
	s_waitcnt lgkmcnt(3)
	v_mul_f64 v[4:5], v[126:127], v[66:67]
	v_add_f64 v[110:111], v[110:111], v[116:117]
	v_mul_f64 v[116:117], v[124:125], v[66:67]
	v_add_f64 v[2:3], v[6:7], v[2:3]
	v_fma_f64 v[4:5], v[124:125], v[68:69], -v[4:5]
	v_fmac_f64_e32 v[116:117], v[126:127], v[68:69]
	v_add_f64 v[2:3], v[2:3], v[4:5]
	s_waitcnt lgkmcnt(2)
	v_mul_f64 v[4:5], v[130:131], v[62:63]
	v_add_f64 v[110:111], v[110:111], v[116:117]
	v_mul_f64 v[116:117], v[128:129], v[62:63]
	ds_read_b128 v[144:147], v134 offset:1152
	ds_read_b128 v[148:151], v134 offset:1168
	v_fma_f64 v[4:5], v[128:129], v[64:65], -v[4:5]
	v_fmac_f64_e32 v[116:117], v[130:131], v[64:65]
	v_add_f64 v[2:3], v[2:3], v[4:5]
	s_waitcnt lgkmcnt(3)
	v_mul_f64 v[4:5], v[138:139], v[74:75]
	v_add_f64 v[110:111], v[110:111], v[116:117]
	v_mul_f64 v[116:117], v[136:137], v[74:75]
	v_fma_f64 v[4:5], v[136:137], v[76:77], -v[4:5]
	v_fmac_f64_e32 v[116:117], v[138:139], v[76:77]
	v_add_f64 v[2:3], v[2:3], v[4:5]
	s_waitcnt lgkmcnt(2)
	v_mul_f64 v[4:5], v[142:143], v[70:71]
	v_add_f64 v[110:111], v[110:111], v[116:117]
	v_mul_f64 v[116:117], v[140:141], v[70:71]
	ds_read_b128 v[152:155], v134 offset:1184
	ds_read_b128 v[156:159], v134 offset:1200
	v_fma_f64 v[4:5], v[140:141], v[72:73], -v[4:5]
	v_fmac_f64_e32 v[116:117], v[142:143], v[72:73]
	v_add_f64 v[2:3], v[2:3], v[4:5]
	s_waitcnt vmcnt(58) lgkmcnt(3)
	v_mul_f64 v[4:5], v[146:147], v[82:83]
	v_add_f64 v[110:111], v[110:111], v[116:117]
	v_mul_f64 v[116:117], v[144:145], v[82:83]
	s_waitcnt vmcnt(56)
	v_fma_f64 v[4:5], v[144:145], v[84:85], -v[4:5]
	v_fmac_f64_e32 v[116:117], v[146:147], v[84:85]
	v_add_f64 v[2:3], v[2:3], v[4:5]
	s_waitcnt lgkmcnt(2)
	v_mul_f64 v[4:5], v[150:151], v[78:79]
	v_add_f64 v[110:111], v[110:111], v[116:117]
	v_mul_f64 v[116:117], v[148:149], v[78:79]
	ds_read_b128 v[160:163], v134 offset:1216
	ds_read_b128 v[164:167], v134 offset:1232
	v_fma_f64 v[4:5], v[148:149], v[80:81], -v[4:5]
	v_fmac_f64_e32 v[116:117], v[150:151], v[80:81]
	v_add_f64 v[2:3], v[2:3], v[4:5]
	s_waitcnt vmcnt(50) lgkmcnt(3)
	v_mul_f64 v[4:5], v[154:155], v[90:91]
	v_add_f64 v[110:111], v[110:111], v[116:117]
	v_mul_f64 v[116:117], v[152:153], v[90:91]
	s_waitcnt vmcnt(48)
	;; [unrolled: 17-line block ×7, first 2 shown]
	v_fma_f64 v[4:5], v[194:195], v[218:219], -v[4:5]
	v_fmac_f64_e32 v[116:117], v[196:197], v[218:219]
	v_add_f64 v[2:3], v[2:3], v[4:5]
	s_waitcnt lgkmcnt(2)
	v_mul_f64 v[4:5], v[208:209], v[200:201]
	v_add_f64 v[110:111], v[110:111], v[116:117]
	v_mul_f64 v[116:117], v[206:207], v[200:201]
	v_fma_f64 v[4:5], v[206:207], v[202:203], -v[4:5]
	v_fmac_f64_e32 v[116:117], v[208:209], v[202:203]
	v_add_f64 v[2:3], v[2:3], v[4:5]
	s_waitcnt vmcnt(2) lgkmcnt(1)
	v_mul_f64 v[4:5], v[212:213], v[224:225]
	v_add_f64 v[110:111], v[110:111], v[116:117]
	v_mul_f64 v[116:117], v[210:211], v[224:225]
	s_waitcnt vmcnt(0)
	v_fma_f64 v[4:5], v[210:211], v[226:227], -v[4:5]
	v_fmac_f64_e32 v[116:117], v[212:213], v[226:227]
	v_add_f64 v[2:3], v[2:3], v[4:5]
	s_waitcnt lgkmcnt(0)
	v_mul_f64 v[4:5], v[216:217], v[220:221]
	v_add_f64 v[110:111], v[110:111], v[116:117]
	v_mul_f64 v[116:117], v[214:215], v[220:221]
	v_fma_f64 v[4:5], v[214:215], v[222:223], -v[4:5]
	v_fmac_f64_e32 v[116:117], v[216:217], v[222:223]
	v_add_f64 v[2:3], v[2:3], v[4:5]
	v_add_f64 v[110:111], v[110:111], v[116:117]
	v_add_f64 v[2:3], v[46:47], -v[2:3]
	v_add_f64 v[4:5], v[44:45], -v[110:111]
	buffer_store_dword v3, off, s[0:3], 0 offset:276
	buffer_store_dword v2, off, s[0:3], 0 offset:272
	;; [unrolled: 1-line block ×4, first 2 shown]
	s_and_saveexec_b64 s[4:5], vcc
	s_cbranch_execz .LBB107_247
; %bb.246:
	v_accvgpr_read_b32 v0, a116
	buffer_load_dword v2, v0, s[0:3], 0 offen
	buffer_load_dword v3, v0, s[0:3], 0 offen offset:4
	buffer_load_dword v4, v0, s[0:3], 0 offen offset:8
	;; [unrolled: 1-line block ×3, first 2 shown]
	v_accvgpr_read_b32 v0, a132
	buffer_store_dword v134, off, s[0:3], 0 offset:256
	buffer_store_dword v134, off, s[0:3], 0 offset:260
	;; [unrolled: 1-line block ×4, first 2 shown]
	s_waitcnt vmcnt(4)
	ds_write_b128 v0, v[2:5]
.LBB107_247:
	s_or_b64 exec, exec, s[4:5]
	s_waitcnt lgkmcnt(0)
	; wave barrier
	s_waitcnt lgkmcnt(0)
	buffer_load_dword v34, off, s[0:3], 0 offset:272
	buffer_load_dword v35, off, s[0:3], 0 offset:276
	;; [unrolled: 1-line block ×32, first 2 shown]
	ds_read_b128 v[30:33], v134 offset:960
	ds_read_b128 v[26:29], v134 offset:976
	;; [unrolled: 1-line block ×8, first 2 shown]
	buffer_load_dword v67, off, s[0:3], 0 offset:412
	buffer_load_dword v66, off, s[0:3], 0 offset:408
	;; [unrolled: 1-line block ×24, first 2 shown]
	v_cmp_lt_u32_e32 vcc, 14, v255
	s_waitcnt vmcnt(52) lgkmcnt(7)
	v_mul_f64 v[90:91], v[30:31], v[38:39]
	v_fmac_f64_e32 v[90:91], v[32:33], v[34:35]
	v_add_f64 v[90:91], v[90:91], 0
	v_mul_f64 v[32:33], v[32:33], v[38:39]
	s_waitcnt vmcnt(48) lgkmcnt(6)
	v_mul_f64 v[92:93], v[26:27], v[40:41]
	v_fmac_f64_e32 v[92:93], v[28:29], v[36:37]
	s_waitcnt vmcnt(46) lgkmcnt(5)
	v_mul_f64 v[94:95], v[22:23], v[42:43]
	v_add_f64 v[90:91], v[90:91], v[92:93]
	s_waitcnt vmcnt(44) lgkmcnt(4)
	v_mul_f64 v[96:97], v[18:19], v[48:49]
	v_fma_f64 v[30:31], v[30:31], v[34:35], -v[32:33]
	s_waitcnt vmcnt(42) lgkmcnt(1)
	v_mul_f64 v[122:123], v[2:3], v[50:51]
	v_mul_f64 v[28:29], v[28:29], v[40:41]
	s_waitcnt vmcnt(18) lgkmcnt(0)
	v_mul_f64 v[138:139], v[14:15], v[70:71]
	v_mul_f64 v[100:101], v[6:7], v[54:55]
	s_waitcnt vmcnt(16)
	v_fmac_f64_e32 v[138:139], v[16:17], v[72:73]
	v_mul_f64 v[98:99], v[10:11], v[56:57]
	v_add_f64 v[30:31], v[30:31], 0
	v_fmac_f64_e32 v[98:99], v[12:13], v[58:59]
	v_fma_f64 v[26:27], v[26:27], v[36:37], -v[28:29]
	v_fmac_f64_e32 v[94:95], v[24:25], v[64:65]
	v_add_f64 v[90:91], v[90:91], v[94:95]
	v_fmac_f64_e32 v[96:97], v[20:21], v[62:63]
	v_add_f64 v[90:91], v[90:91], v[96:97]
	;; [unrolled: 2-line block ×3, first 2 shown]
	v_add_f64 v[124:125], v[90:91], v[100:101]
	buffer_load_dword v91, off, s[0:3], 0 offset:508
	buffer_load_dword v90, off, s[0:3], 0 offset:504
	;; [unrolled: 1-line block ×56, first 2 shown]
	v_fmac_f64_e32 v[122:123], v[4:5], v[52:53]
	v_add_f64 v[136:137], v[124:125], v[122:123]
	ds_read_b128 v[122:125], v134 offset:1088
	buffer_load_dword v229, off, s[0:3], 0 offset:716
	buffer_load_dword v228, off, s[0:3], 0 offset:712
	;; [unrolled: 1-line block ×4, first 2 shown]
	v_add_f64 v[140:141], v[136:137], v[138:139]
	ds_read_b128 v[136:139], v134 offset:1104
	v_mul_f64 v[24:25], v[24:25], v[42:43]
	s_waitcnt lgkmcnt(1)
	v_mul_f64 v[142:143], v[122:123], v[66:67]
	v_fmac_f64_e32 v[142:143], v[124:125], v[68:69]
	v_add_f64 v[144:145], v[140:141], v[142:143]
	ds_read_b128 v[140:143], v134 offset:1120
	s_waitcnt vmcnt(62) lgkmcnt(1)
	v_mul_f64 v[146:147], v[136:137], v[78:79]
	v_fmac_f64_e32 v[146:147], v[138:139], v[80:81]
	v_add_f64 v[148:149], v[144:145], v[146:147]
	ds_read_b128 v[144:147], v134 offset:1136
	s_waitcnt lgkmcnt(1)
	v_mul_f64 v[150:151], v[140:141], v[74:75]
	v_fmac_f64_e32 v[150:151], v[142:143], v[76:77]
	v_add_f64 v[152:153], v[148:149], v[150:151]
	ds_read_b128 v[148:151], v134 offset:1152
	s_waitcnt lgkmcnt(1)
	v_mul_f64 v[154:155], v[144:145], v[86:87]
	s_waitcnt vmcnt(60)
	v_fmac_f64_e32 v[154:155], v[146:147], v[88:89]
	v_add_f64 v[156:157], v[152:153], v[154:155]
	ds_read_b128 v[152:155], v134 offset:1168
	s_waitcnt lgkmcnt(1)
	v_mul_f64 v[158:159], v[148:149], v[82:83]
	v_fmac_f64_e32 v[158:159], v[150:151], v[84:85]
	v_add_f64 v[160:161], v[156:157], v[158:159]
	ds_read_b128 v[156:159], v134 offset:1184
	v_add_f64 v[26:27], v[30:31], v[26:27]
	v_fma_f64 v[22:23], v[22:23], v[64:65], -v[24:25]
	s_waitcnt vmcnt(54) lgkmcnt(1)
	v_mul_f64 v[162:163], v[152:153], v[94:95]
	v_mul_f64 v[20:21], v[20:21], v[48:49]
	s_waitcnt vmcnt(52)
	v_fmac_f64_e32 v[162:163], v[154:155], v[96:97]
	v_add_f64 v[164:165], v[160:161], v[162:163]
	ds_read_b128 v[160:163], v134 offset:1200
	s_waitcnt lgkmcnt(1)
	v_mul_f64 v[166:167], v[156:157], v[90:91]
	v_fmac_f64_e32 v[166:167], v[158:159], v[92:93]
	v_add_f64 v[22:23], v[26:27], v[22:23]
	v_fma_f64 v[18:19], v[18:19], v[62:63], -v[20:21]
	v_mul_f64 v[12:13], v[12:13], v[56:57]
	v_add_f64 v[168:169], v[164:165], v[166:167]
	ds_read_b128 v[164:167], v134 offset:1216
	v_add_f64 v[18:19], v[22:23], v[18:19]
	v_fma_f64 v[10:11], v[10:11], v[58:59], -v[12:13]
	v_mul_f64 v[8:9], v[8:9], v[54:55]
	v_add_f64 v[10:11], v[18:19], v[10:11]
	v_fma_f64 v[6:7], v[6:7], v[60:61], -v[8:9]
	v_mul_f64 v[4:5], v[4:5], v[50:51]
	;; [unrolled: 3-line block ×3, first 2 shown]
	s_waitcnt vmcnt(46) lgkmcnt(1)
	v_mul_f64 v[170:171], v[160:161], v[102:103]
	v_add_f64 v[2:3], v[6:7], v[2:3]
	v_fma_f64 v[4:5], v[14:15], v[72:73], -v[4:5]
	s_waitcnt vmcnt(44)
	v_fmac_f64_e32 v[170:171], v[162:163], v[104:105]
	v_add_f64 v[2:3], v[2:3], v[4:5]
	v_mul_f64 v[4:5], v[124:125], v[66:67]
	v_add_f64 v[172:173], v[168:169], v[170:171]
	ds_read_b128 v[168:171], v134 offset:1232
	s_waitcnt lgkmcnt(1)
	v_mul_f64 v[174:175], v[164:165], v[98:99]
	v_fma_f64 v[4:5], v[122:123], v[68:69], -v[4:5]
	v_fmac_f64_e32 v[174:175], v[166:167], v[100:101]
	v_add_f64 v[2:3], v[2:3], v[4:5]
	v_mul_f64 v[4:5], v[138:139], v[78:79]
	v_add_f64 v[176:177], v[172:173], v[174:175]
	ds_read_b128 v[172:175], v134 offset:1248
	v_fma_f64 v[4:5], v[136:137], v[80:81], -v[4:5]
	v_add_f64 v[2:3], v[2:3], v[4:5]
	v_mul_f64 v[4:5], v[142:143], v[74:75]
	v_fma_f64 v[4:5], v[140:141], v[76:77], -v[4:5]
	s_waitcnt vmcnt(38) lgkmcnt(1)
	v_mul_f64 v[178:179], v[168:169], v[110:111]
	v_add_f64 v[2:3], v[2:3], v[4:5]
	v_mul_f64 v[4:5], v[146:147], v[86:87]
	s_waitcnt vmcnt(36)
	v_fmac_f64_e32 v[178:179], v[170:171], v[112:113]
	v_fma_f64 v[4:5], v[144:145], v[88:89], -v[4:5]
	v_add_f64 v[180:181], v[176:177], v[178:179]
	ds_read_b128 v[176:179], v134 offset:1264
	s_waitcnt lgkmcnt(1)
	v_mul_f64 v[182:183], v[172:173], v[106:107]
	v_add_f64 v[2:3], v[2:3], v[4:5]
	v_mul_f64 v[4:5], v[150:151], v[82:83]
	v_fmac_f64_e32 v[182:183], v[174:175], v[108:109]
	v_fma_f64 v[4:5], v[148:149], v[84:85], -v[4:5]
	v_add_f64 v[186:187], v[180:181], v[182:183]
	ds_read_b128 v[180:183], v134 offset:1280
	v_add_f64 v[2:3], v[2:3], v[4:5]
	v_mul_f64 v[4:5], v[154:155], v[94:95]
	v_fma_f64 v[4:5], v[152:153], v[96:97], -v[4:5]
	v_add_f64 v[2:3], v[2:3], v[4:5]
	v_mul_f64 v[4:5], v[158:159], v[90:91]
	s_waitcnt vmcnt(30) lgkmcnt(1)
	v_mul_f64 v[188:189], v[176:177], v[118:119]
	v_fma_f64 v[4:5], v[156:157], v[92:93], -v[4:5]
	s_waitcnt vmcnt(28)
	v_fmac_f64_e32 v[188:189], v[178:179], v[120:121]
	v_add_f64 v[2:3], v[2:3], v[4:5]
	v_mul_f64 v[4:5], v[162:163], v[102:103]
	v_add_f64 v[190:191], v[186:187], v[188:189]
	ds_read_b128 v[186:189], v134 offset:1296
	s_waitcnt lgkmcnt(1)
	v_mul_f64 v[192:193], v[180:181], v[114:115]
	v_fma_f64 v[4:5], v[160:161], v[104:105], -v[4:5]
	v_fmac_f64_e32 v[192:193], v[182:183], v[116:117]
	v_add_f64 v[2:3], v[2:3], v[4:5]
	v_mul_f64 v[4:5], v[166:167], v[98:99]
	v_add_f64 v[194:195], v[190:191], v[192:193]
	ds_read_b128 v[190:193], v134 offset:1312
	v_fma_f64 v[4:5], v[164:165], v[100:101], -v[4:5]
	v_add_f64 v[2:3], v[2:3], v[4:5]
	v_mul_f64 v[4:5], v[170:171], v[110:111]
	v_fma_f64 v[4:5], v[168:169], v[112:113], -v[4:5]
	s_waitcnt vmcnt(22) lgkmcnt(1)
	v_mul_f64 v[196:197], v[186:187], v[130:131]
	v_add_f64 v[2:3], v[2:3], v[4:5]
	v_mul_f64 v[4:5], v[174:175], v[106:107]
	s_waitcnt vmcnt(20)
	v_fmac_f64_e32 v[196:197], v[188:189], v[132:133]
	v_fma_f64 v[4:5], v[172:173], v[108:109], -v[4:5]
	v_add_f64 v[206:207], v[194:195], v[196:197]
	ds_read_b128 v[194:197], v134 offset:1328
	s_waitcnt lgkmcnt(1)
	v_mul_f64 v[208:209], v[190:191], v[126:127]
	v_add_f64 v[2:3], v[2:3], v[4:5]
	v_mul_f64 v[4:5], v[178:179], v[118:119]
	v_fmac_f64_e32 v[208:209], v[192:193], v[128:129]
	v_fma_f64 v[4:5], v[176:177], v[120:121], -v[4:5]
	v_add_f64 v[210:211], v[206:207], v[208:209]
	ds_read_b128 v[206:209], v134 offset:1344
	v_add_f64 v[2:3], v[2:3], v[4:5]
	v_mul_f64 v[4:5], v[182:183], v[114:115]
	v_fma_f64 v[4:5], v[180:181], v[116:117], -v[4:5]
	v_add_f64 v[2:3], v[2:3], v[4:5]
	v_mul_f64 v[4:5], v[188:189], v[130:131]
	s_waitcnt vmcnt(14) lgkmcnt(1)
	v_mul_f64 v[212:213], v[194:195], v[200:201]
	v_fma_f64 v[4:5], v[186:187], v[132:133], -v[4:5]
	s_waitcnt vmcnt(12)
	v_fmac_f64_e32 v[212:213], v[196:197], v[202:203]
	v_add_f64 v[2:3], v[2:3], v[4:5]
	v_mul_f64 v[4:5], v[192:193], v[126:127]
	v_add_f64 v[214:215], v[210:211], v[212:213]
	ds_read_b128 v[210:213], v134 offset:1360
	s_waitcnt lgkmcnt(1)
	v_mul_f64 v[216:217], v[206:207], v[184:185]
	v_fma_f64 v[4:5], v[190:191], v[128:129], -v[4:5]
	v_fmac_f64_e32 v[216:217], v[208:209], v[198:199]
	v_add_f64 v[2:3], v[2:3], v[4:5]
	v_mul_f64 v[4:5], v[196:197], v[200:201]
	v_add_f64 v[232:233], v[214:215], v[216:217]
	ds_read_b128 v[214:217], v134 offset:1376
	v_fma_f64 v[4:5], v[194:195], v[202:203], -v[4:5]
	v_add_f64 v[2:3], v[2:3], v[4:5]
	v_mul_f64 v[4:5], v[208:209], v[184:185]
	ds_read_b128 v[218:221], v134 offset:1392
	v_fma_f64 v[4:5], v[206:207], v[198:199], -v[4:5]
	v_add_f64 v[2:3], v[2:3], v[4:5]
	s_waitcnt vmcnt(6) lgkmcnt(2)
	v_mul_f64 v[4:5], v[212:213], v[224:225]
	v_mul_f64 v[234:235], v[210:211], v[224:225]
	s_waitcnt vmcnt(4)
	v_fma_f64 v[4:5], v[210:211], v[226:227], -v[4:5]
	v_fmac_f64_e32 v[234:235], v[212:213], v[226:227]
	v_add_f64 v[2:3], v[2:3], v[4:5]
	s_waitcnt lgkmcnt(1)
	v_mul_f64 v[4:5], v[216:217], v[204:205]
	v_add_f64 v[134:135], v[232:233], v[234:235]
	v_mul_f64 v[232:233], v[214:215], v[204:205]
	v_fma_f64 v[4:5], v[214:215], v[222:223], -v[4:5]
	v_fmac_f64_e32 v[232:233], v[216:217], v[222:223]
	v_add_f64 v[2:3], v[2:3], v[4:5]
	s_waitcnt vmcnt(2) lgkmcnt(0)
	v_mul_f64 v[4:5], v[220:221], v[228:229]
	v_add_f64 v[134:135], v[134:135], v[232:233]
	v_mul_f64 v[232:233], v[218:219], v[228:229]
	s_waitcnt vmcnt(0)
	v_fma_f64 v[4:5], v[218:219], v[230:231], -v[4:5]
	v_fmac_f64_e32 v[232:233], v[220:221], v[230:231]
	v_add_f64 v[2:3], v[2:3], v[4:5]
	v_add_f64 v[134:135], v[134:135], v[232:233]
	v_add_f64 v[2:3], v[46:47], -v[2:3]
	v_add_f64 v[4:5], v[44:45], -v[134:135]
	buffer_store_dword v3, off, s[0:3], 0 offset:260
	buffer_store_dword v2, off, s[0:3], 0 offset:256
	;; [unrolled: 1-line block ×4, first 2 shown]
	s_and_saveexec_b64 s[4:5], vcc
	s_cbranch_execz .LBB107_249
; %bb.248:
	v_accvgpr_read_b32 v0, a117
	buffer_load_dword v2, v0, s[0:3], 0 offen
	buffer_load_dword v3, v0, s[0:3], 0 offen offset:4
	buffer_load_dword v4, v0, s[0:3], 0 offen offset:8
	;; [unrolled: 1-line block ×3, first 2 shown]
	v_mov_b32_e32 v0, 0
	v_accvgpr_read_b32 v1, a132
	buffer_store_dword v0, off, s[0:3], 0 offset:240
	buffer_store_dword v0, off, s[0:3], 0 offset:244
	;; [unrolled: 1-line block ×4, first 2 shown]
	s_waitcnt vmcnt(4)
	ds_write_b128 v1, v[2:5]
.LBB107_249:
	s_or_b64 exec, exec, s[4:5]
	s_waitcnt lgkmcnt(0)
	; wave barrier
	s_waitcnt lgkmcnt(0)
	buffer_load_dword v38, off, s[0:3], 0 offset:256
	buffer_load_dword v39, off, s[0:3], 0 offset:260
	;; [unrolled: 1-line block ×48, first 2 shown]
	v_mov_b32_e32 v150, 0
	ds_read_b128 v[34:37], v150 offset:944
	ds_read_b128 v[30:33], v150 offset:960
	ds_read_b128 v[26:29], v150 offset:976
	ds_read_b128 v[22:25], v150 offset:992
	ds_read_b128 v[18:21], v150 offset:1008
	ds_read_b128 v[14:17], v150 offset:1024
	ds_read_b128 v[10:13], v150 offset:1040
	ds_read_b128 v[6:9], v150 offset:1056
	ds_read_b128 v[2:5], v150 offset:1072
	v_cmp_lt_u32_e32 vcc, 13, v255
	s_waitcnt vmcnt(44) lgkmcnt(8)
	v_mul_f64 v[86:87], v[34:35], v[42:43]
	v_fmac_f64_e32 v[86:87], v[36:37], v[38:39]
	v_add_f64 v[86:87], v[86:87], 0
	v_mul_f64 v[36:37], v[36:37], v[42:43]
	s_waitcnt vmcnt(40) lgkmcnt(7)
	v_mul_f64 v[88:89], v[30:31], v[44:45]
	v_fmac_f64_e32 v[88:89], v[32:33], v[40:41]
	s_waitcnt vmcnt(38) lgkmcnt(6)
	v_mul_f64 v[90:91], v[26:27], v[46:47]
	v_add_f64 v[86:87], v[86:87], v[88:89]
	s_waitcnt vmcnt(36) lgkmcnt(4)
	v_mul_f64 v[94:95], v[18:19], v[48:49]
	v_fma_f64 v[34:35], v[34:35], v[38:39], -v[36:37]
	s_waitcnt vmcnt(34)
	v_fmac_f64_e32 v[94:95], v[20:21], v[50:51]
	v_mul_f64 v[32:33], v[32:33], v[44:45]
	s_waitcnt vmcnt(32)
	v_mul_f64 v[92:93], v[22:23], v[52:53]
	v_add_f64 v[34:35], v[34:35], 0
	s_waitcnt vmcnt(30) lgkmcnt(2)
	v_mul_f64 v[98:99], v[10:11], v[54:55]
	v_fma_f64 v[30:31], v[30:31], v[40:41], -v[32:33]
	s_waitcnt vmcnt(28)
	v_fmac_f64_e32 v[98:99], v[12:13], v[56:57]
	v_add_f64 v[30:31], v[34:35], v[30:31]
	s_waitcnt vmcnt(26)
	v_mul_f64 v[96:97], v[14:15], v[58:59]
	v_mul_f64 v[20:21], v[20:21], v[48:49]
	v_fma_f64 v[18:19], v[18:19], v[50:51], -v[20:21]
	v_mul_f64 v[12:13], v[12:13], v[54:55]
	s_waitcnt vmcnt(22) lgkmcnt(1)
	v_mul_f64 v[110:111], v[6:7], v[68:69]
	v_fma_f64 v[10:11], v[10:11], v[56:57], -v[12:13]
	s_waitcnt vmcnt(20)
	v_fmac_f64_e32 v[90:91], v[28:29], v[76:77]
	v_add_f64 v[86:87], v[86:87], v[90:91]
	s_waitcnt vmcnt(18)
	v_fmac_f64_e32 v[92:93], v[24:25], v[74:75]
	v_add_f64 v[86:87], v[86:87], v[92:93]
	;; [unrolled: 3-line block ×3, first 2 shown]
	v_add_f64 v[86:87], v[86:87], v[96:97]
	v_add_f64 v[112:113], v[86:87], v[98:99]
	buffer_load_dword v87, off, s[0:3], 0 offset:460
	buffer_load_dword v86, off, s[0:3], 0 offset:456
	buffer_load_dword v89, off, s[0:3], 0 offset:452
	buffer_load_dword v88, off, s[0:3], 0 offset:448
	buffer_load_dword v91, off, s[0:3], 0 offset:444
	buffer_load_dword v90, off, s[0:3], 0 offset:440
	buffer_load_dword v93, off, s[0:3], 0 offset:436
	buffer_load_dword v92, off, s[0:3], 0 offset:432
	buffer_load_dword v95, off, s[0:3], 0 offset:492
	buffer_load_dword v94, off, s[0:3], 0 offset:488
	buffer_load_dword v97, off, s[0:3], 0 offset:484
	buffer_load_dword v96, off, s[0:3], 0 offset:480
	buffer_load_dword v99, off, s[0:3], 0 offset:476
	buffer_load_dword v98, off, s[0:3], 0 offset:472
	buffer_load_dword v101, off, s[0:3], 0 offset:468
	buffer_load_dword v100, off, s[0:3], 0 offset:464
	buffer_load_dword v103, off, s[0:3], 0 offset:524
	buffer_load_dword v102, off, s[0:3], 0 offset:520
	buffer_load_dword v105, off, s[0:3], 0 offset:516
	buffer_load_dword v104, off, s[0:3], 0 offset:512
	buffer_load_dword v107, off, s[0:3], 0 offset:508
	buffer_load_dword v106, off, s[0:3], 0 offset:504
	buffer_load_dword v109, off, s[0:3], 0 offset:500
	buffer_load_dword v108, off, s[0:3], 0 offset:496
	buffer_load_dword v115, off, s[0:3], 0 offset:556
	buffer_load_dword v114, off, s[0:3], 0 offset:552
	buffer_load_dword v117, off, s[0:3], 0 offset:548
	buffer_load_dword v116, off, s[0:3], 0 offset:544
	buffer_load_dword v119, off, s[0:3], 0 offset:540
	buffer_load_dword v118, off, s[0:3], 0 offset:536
	buffer_load_dword v121, off, s[0:3], 0 offset:532
	buffer_load_dword v120, off, s[0:3], 0 offset:528
	buffer_load_dword v123, off, s[0:3], 0 offset:588
	buffer_load_dword v122, off, s[0:3], 0 offset:584
	buffer_load_dword v125, off, s[0:3], 0 offset:580
	buffer_load_dword v124, off, s[0:3], 0 offset:576
	buffer_load_dword v127, off, s[0:3], 0 offset:572
	buffer_load_dword v126, off, s[0:3], 0 offset:568
	buffer_load_dword v129, off, s[0:3], 0 offset:564
	buffer_load_dword v128, off, s[0:3], 0 offset:560
	buffer_load_dword v131, off, s[0:3], 0 offset:620
	buffer_load_dword v130, off, s[0:3], 0 offset:616
	buffer_load_dword v133, off, s[0:3], 0 offset:612
	buffer_load_dword v132, off, s[0:3], 0 offset:608
	buffer_load_dword v135, off, s[0:3], 0 offset:604
	buffer_load_dword v134, off, s[0:3], 0 offset:600
	buffer_load_dword v137, off, s[0:3], 0 offset:596
	buffer_load_dword v136, off, s[0:3], 0 offset:592
	buffer_load_dword v139, off, s[0:3], 0 offset:652
	buffer_load_dword v138, off, s[0:3], 0 offset:648
	buffer_load_dword v141, off, s[0:3], 0 offset:644
	buffer_load_dword v140, off, s[0:3], 0 offset:640
	buffer_load_dword v185, off, s[0:3], 0 offset:636
	buffer_load_dword v184, off, s[0:3], 0 offset:632
	buffer_load_dword v199, off, s[0:3], 0 offset:628
	buffer_load_dword v198, off, s[0:3], 0 offset:624
	buffer_load_dword v201, off, s[0:3], 0 offset:684
	buffer_load_dword v200, off, s[0:3], 0 offset:680
	buffer_load_dword v203, off, s[0:3], 0 offset:676
	buffer_load_dword v202, off, s[0:3], 0 offset:672
	buffer_load_dword v205, off, s[0:3], 0 offset:668
	buffer_load_dword v204, off, s[0:3], 0 offset:664
	buffer_load_dword v231, off, s[0:3], 0 offset:660
	buffer_load_dword v230, off, s[0:3], 0 offset:656
	buffer_load_dword v233, off, s[0:3], 0 offset:716
	buffer_load_dword v232, off, s[0:3], 0 offset:712
	buffer_load_dword v235, off, s[0:3], 0 offset:708
	buffer_load_dword v234, off, s[0:3], 0 offset:704
	buffer_load_dword v237, off, s[0:3], 0 offset:700
	buffer_load_dword v236, off, s[0:3], 0 offset:696
	buffer_load_dword v239, off, s[0:3], 0 offset:692
	buffer_load_dword v238, off, s[0:3], 0 offset:688
	s_waitcnt vmcnt(62)
	v_fmac_f64_e32 v[110:111], v[8:9], v[70:71]
	v_add_f64 v[142:143], v[112:113], v[110:111]
	ds_read_b128 v[110:113], v150 offset:1088
	s_waitcnt lgkmcnt(1)
	v_mul_f64 v[144:145], v[2:3], v[64:65]
	v_fmac_f64_e32 v[144:145], v[4:5], v[66:67]
	v_add_f64 v[146:147], v[142:143], v[144:145]
	ds_read_b128 v[142:145], v150 offset:1104
	s_waitcnt lgkmcnt(1)
	v_mul_f64 v[148:149], v[110:111], v[82:83]
	;; [unrolled: 5-line block ×5, first 2 shown]
	v_fmac_f64_e32 v[162:163], v[154:155], v[88:89]
	v_add_f64 v[164:165], v[160:161], v[162:163]
	ds_read_b128 v[160:163], v150 offset:1168
	s_waitcnt vmcnt(58) lgkmcnt(1)
	v_mul_f64 v[166:167], v[156:157], v[98:99]
	s_waitcnt vmcnt(56)
	v_fmac_f64_e32 v[166:167], v[158:159], v[100:101]
	v_add_f64 v[168:169], v[164:165], v[166:167]
	ds_read_b128 v[164:167], v150 offset:1184
	s_waitcnt lgkmcnt(1)
	v_mul_f64 v[170:171], v[160:161], v[94:95]
	v_fmac_f64_e32 v[170:171], v[162:163], v[96:97]
	v_mul_f64 v[28:29], v[28:29], v[46:47]
	v_add_f64 v[172:173], v[168:169], v[170:171]
	ds_read_b128 v[168:171], v150 offset:1200
	s_waitcnt vmcnt(50) lgkmcnt(1)
	v_mul_f64 v[174:175], v[164:165], v[106:107]
	v_fma_f64 v[26:27], v[26:27], v[76:77], -v[28:29]
	v_mul_f64 v[24:25], v[24:25], v[52:53]
	s_waitcnt vmcnt(48)
	v_fmac_f64_e32 v[174:175], v[166:167], v[108:109]
	v_add_f64 v[26:27], v[30:31], v[26:27]
	v_fma_f64 v[22:23], v[22:23], v[74:75], -v[24:25]
	v_add_f64 v[176:177], v[172:173], v[174:175]
	ds_read_b128 v[172:175], v150 offset:1216
	v_add_f64 v[22:23], v[26:27], v[22:23]
	v_mul_f64 v[16:17], v[16:17], v[58:59]
	v_add_f64 v[18:19], v[22:23], v[18:19]
	v_fma_f64 v[14:15], v[14:15], v[72:73], -v[16:17]
	v_add_f64 v[14:15], v[18:19], v[14:15]
	v_mul_f64 v[8:9], v[8:9], v[68:69]
	s_waitcnt lgkmcnt(1)
	v_mul_f64 v[178:179], v[168:169], v[102:103]
	v_add_f64 v[10:11], v[14:15], v[10:11]
	v_fma_f64 v[6:7], v[6:7], v[70:71], -v[8:9]
	v_mul_f64 v[4:5], v[4:5], v[64:65]
	v_fmac_f64_e32 v[178:179], v[170:171], v[104:105]
	v_add_f64 v[6:7], v[10:11], v[6:7]
	v_fma_f64 v[2:3], v[2:3], v[66:67], -v[4:5]
	v_mul_f64 v[4:5], v[112:113], v[82:83]
	v_add_f64 v[180:181], v[176:177], v[178:179]
	ds_read_b128 v[176:179], v150 offset:1232
	s_waitcnt vmcnt(42) lgkmcnt(1)
	v_mul_f64 v[182:183], v[172:173], v[118:119]
	v_add_f64 v[2:3], v[6:7], v[2:3]
	v_fma_f64 v[4:5], v[110:111], v[84:85], -v[4:5]
	s_waitcnt vmcnt(40)
	v_fmac_f64_e32 v[182:183], v[174:175], v[120:121]
	v_add_f64 v[2:3], v[2:3], v[4:5]
	v_mul_f64 v[4:5], v[144:145], v[78:79]
	v_add_f64 v[186:187], v[180:181], v[182:183]
	ds_read_b128 v[180:183], v150 offset:1248
	v_fma_f64 v[4:5], v[142:143], v[80:81], -v[4:5]
	v_add_f64 v[2:3], v[2:3], v[4:5]
	v_mul_f64 v[4:5], v[148:149], v[90:91]
	v_fma_f64 v[4:5], v[146:147], v[92:93], -v[4:5]
	s_waitcnt lgkmcnt(1)
	v_mul_f64 v[188:189], v[176:177], v[114:115]
	v_add_f64 v[2:3], v[2:3], v[4:5]
	v_mul_f64 v[4:5], v[154:155], v[86:87]
	v_fmac_f64_e32 v[188:189], v[178:179], v[116:117]
	v_fma_f64 v[4:5], v[152:153], v[88:89], -v[4:5]
	v_add_f64 v[190:191], v[186:187], v[188:189]
	ds_read_b128 v[186:189], v150 offset:1264
	s_waitcnt vmcnt(34) lgkmcnt(1)
	v_mul_f64 v[192:193], v[180:181], v[126:127]
	v_add_f64 v[2:3], v[2:3], v[4:5]
	v_mul_f64 v[4:5], v[158:159], v[98:99]
	s_waitcnt vmcnt(32)
	v_fmac_f64_e32 v[192:193], v[182:183], v[128:129]
	v_fma_f64 v[4:5], v[156:157], v[100:101], -v[4:5]
	v_add_f64 v[194:195], v[190:191], v[192:193]
	ds_read_b128 v[190:193], v150 offset:1280
	v_add_f64 v[2:3], v[2:3], v[4:5]
	v_mul_f64 v[4:5], v[162:163], v[94:95]
	v_fma_f64 v[4:5], v[160:161], v[96:97], -v[4:5]
	v_add_f64 v[2:3], v[2:3], v[4:5]
	v_mul_f64 v[4:5], v[166:167], v[106:107]
	s_waitcnt lgkmcnt(1)
	v_mul_f64 v[196:197], v[186:187], v[122:123]
	v_fma_f64 v[4:5], v[164:165], v[108:109], -v[4:5]
	v_fmac_f64_e32 v[196:197], v[188:189], v[124:125]
	v_add_f64 v[2:3], v[2:3], v[4:5]
	v_mul_f64 v[4:5], v[170:171], v[102:103]
	v_add_f64 v[206:207], v[194:195], v[196:197]
	ds_read_b128 v[194:197], v150 offset:1296
	s_waitcnt vmcnt(26) lgkmcnt(1)
	v_mul_f64 v[208:209], v[190:191], v[134:135]
	v_fma_f64 v[4:5], v[168:169], v[104:105], -v[4:5]
	s_waitcnt vmcnt(24)
	v_fmac_f64_e32 v[208:209], v[192:193], v[136:137]
	v_add_f64 v[2:3], v[2:3], v[4:5]
	v_mul_f64 v[4:5], v[174:175], v[118:119]
	v_add_f64 v[210:211], v[206:207], v[208:209]
	ds_read_b128 v[206:209], v150 offset:1312
	v_fma_f64 v[4:5], v[172:173], v[120:121], -v[4:5]
	v_add_f64 v[2:3], v[2:3], v[4:5]
	v_mul_f64 v[4:5], v[178:179], v[114:115]
	v_fma_f64 v[4:5], v[176:177], v[116:117], -v[4:5]
	s_waitcnt lgkmcnt(1)
	v_mul_f64 v[212:213], v[194:195], v[130:131]
	v_add_f64 v[2:3], v[2:3], v[4:5]
	v_mul_f64 v[4:5], v[182:183], v[126:127]
	v_fmac_f64_e32 v[212:213], v[196:197], v[132:133]
	v_fma_f64 v[4:5], v[180:181], v[128:129], -v[4:5]
	v_add_f64 v[214:215], v[210:211], v[212:213]
	ds_read_b128 v[210:213], v150 offset:1328
	s_waitcnt vmcnt(18) lgkmcnt(1)
	v_mul_f64 v[216:217], v[206:207], v[184:185]
	v_add_f64 v[2:3], v[2:3], v[4:5]
	v_mul_f64 v[4:5], v[188:189], v[122:123]
	s_waitcnt vmcnt(16)
	v_fmac_f64_e32 v[216:217], v[208:209], v[198:199]
	v_fma_f64 v[4:5], v[186:187], v[124:125], -v[4:5]
	v_add_f64 v[218:219], v[214:215], v[216:217]
	ds_read_b128 v[214:217], v150 offset:1344
	v_add_f64 v[2:3], v[2:3], v[4:5]
	v_mul_f64 v[4:5], v[192:193], v[134:135]
	v_fma_f64 v[4:5], v[190:191], v[136:137], -v[4:5]
	v_add_f64 v[2:3], v[2:3], v[4:5]
	v_mul_f64 v[4:5], v[196:197], v[130:131]
	s_waitcnt lgkmcnt(1)
	v_mul_f64 v[220:221], v[210:211], v[138:139]
	v_fma_f64 v[4:5], v[194:195], v[132:133], -v[4:5]
	v_fmac_f64_e32 v[220:221], v[212:213], v[140:141]
	v_add_f64 v[2:3], v[2:3], v[4:5]
	v_mul_f64 v[4:5], v[208:209], v[184:185]
	v_add_f64 v[222:223], v[218:219], v[220:221]
	ds_read_b128 v[218:221], v150 offset:1360
	s_waitcnt vmcnt(10) lgkmcnt(1)
	v_mul_f64 v[224:225], v[214:215], v[204:205]
	v_fma_f64 v[4:5], v[206:207], v[198:199], -v[4:5]
	s_waitcnt vmcnt(8)
	v_fmac_f64_e32 v[224:225], v[216:217], v[230:231]
	v_add_f64 v[2:3], v[2:3], v[4:5]
	v_mul_f64 v[4:5], v[212:213], v[138:139]
	v_add_f64 v[240:241], v[222:223], v[224:225]
	ds_read_b128 v[222:225], v150 offset:1376
	ds_read_b128 v[226:229], v150 offset:1392
	v_fma_f64 v[4:5], v[210:211], v[140:141], -v[4:5]
	v_add_f64 v[2:3], v[2:3], v[4:5]
	v_mul_f64 v[4:5], v[216:217], v[204:205]
	v_fma_f64 v[4:5], v[214:215], v[230:231], -v[4:5]
	v_add_f64 v[2:3], v[2:3], v[4:5]
	s_waitcnt lgkmcnt(2)
	v_mul_f64 v[4:5], v[220:221], v[200:201]
	v_mul_f64 v[242:243], v[218:219], v[200:201]
	v_fma_f64 v[4:5], v[218:219], v[202:203], -v[4:5]
	v_fmac_f64_e32 v[242:243], v[220:221], v[202:203]
	v_add_f64 v[2:3], v[2:3], v[4:5]
	s_waitcnt vmcnt(2) lgkmcnt(1)
	v_mul_f64 v[4:5], v[224:225], v[236:237]
	v_add_f64 v[240:241], v[240:241], v[242:243]
	v_mul_f64 v[242:243], v[222:223], v[236:237]
	s_waitcnt vmcnt(0)
	v_fma_f64 v[4:5], v[222:223], v[238:239], -v[4:5]
	v_fmac_f64_e32 v[242:243], v[224:225], v[238:239]
	v_add_f64 v[2:3], v[2:3], v[4:5]
	s_waitcnt lgkmcnt(0)
	v_mul_f64 v[4:5], v[228:229], v[232:233]
	v_add_f64 v[240:241], v[240:241], v[242:243]
	v_mul_f64 v[242:243], v[226:227], v[232:233]
	v_fma_f64 v[4:5], v[226:227], v[234:235], -v[4:5]
	v_fmac_f64_e32 v[242:243], v[228:229], v[234:235]
	v_add_f64 v[2:3], v[2:3], v[4:5]
	v_add_f64 v[240:241], v[240:241], v[242:243]
	v_add_f64 v[2:3], v[62:63], -v[2:3]
	v_add_f64 v[4:5], v[60:61], -v[240:241]
	buffer_store_dword v3, off, s[0:3], 0 offset:244
	buffer_store_dword v2, off, s[0:3], 0 offset:240
	;; [unrolled: 1-line block ×4, first 2 shown]
	s_and_saveexec_b64 s[4:5], vcc
	s_cbranch_execz .LBB107_251
; %bb.250:
	v_accvgpr_read_b32 v0, a118
	buffer_load_dword v2, v0, s[0:3], 0 offen
	buffer_load_dword v3, v0, s[0:3], 0 offen offset:4
	buffer_load_dword v4, v0, s[0:3], 0 offen offset:8
	;; [unrolled: 1-line block ×3, first 2 shown]
	v_accvgpr_read_b32 v0, a132
	buffer_store_dword v150, off, s[0:3], 0 offset:224
	buffer_store_dword v150, off, s[0:3], 0 offset:228
	;; [unrolled: 1-line block ×4, first 2 shown]
	s_waitcnt vmcnt(4)
	ds_write_b128 v0, v[2:5]
.LBB107_251:
	s_or_b64 exec, exec, s[4:5]
	s_waitcnt lgkmcnt(0)
	; wave barrier
	s_waitcnt lgkmcnt(0)
	buffer_load_dword v48, off, s[0:3], 0 offset:240
	buffer_load_dword v49, off, s[0:3], 0 offset:244
	;; [unrolled: 1-line block ×40, first 2 shown]
	ds_read_b128 v[38:41], v150 offset:928
	ds_read_b128 v[34:37], v150 offset:944
	;; [unrolled: 1-line block ×10, first 2 shown]
	buffer_load_dword v83, off, s[0:3], 0 offset:412
	buffer_load_dword v82, off, s[0:3], 0 offset:408
	;; [unrolled: 1-line block ×8, first 2 shown]
	v_cmp_lt_u32_e32 vcc, 12, v255
	s_waitcnt vmcnt(44) lgkmcnt(9)
	v_mul_f64 v[90:91], v[38:39], v[50:51]
	v_fmac_f64_e32 v[90:91], v[40:41], v[48:49]
	v_add_f64 v[90:91], v[90:91], 0
	v_mul_f64 v[40:41], v[40:41], v[50:51]
	s_waitcnt vmcnt(40) lgkmcnt(8)
	v_mul_f64 v[92:93], v[34:35], v[44:45]
	v_fmac_f64_e32 v[92:93], v[36:37], v[42:43]
	s_waitcnt vmcnt(38) lgkmcnt(7)
	v_mul_f64 v[94:95], v[30:31], v[46:47]
	v_add_f64 v[90:91], v[90:91], v[92:93]
	s_waitcnt vmcnt(36) lgkmcnt(5)
	v_mul_f64 v[98:99], v[22:23], v[52:53]
	v_mul_f64 v[36:37], v[36:37], v[44:45]
	s_waitcnt vmcnt(34)
	v_fmac_f64_e32 v[98:99], v[24:25], v[54:55]
	v_fma_f64 v[34:35], v[34:35], v[42:43], -v[36:37]
	s_waitcnt vmcnt(32)
	v_mul_f64 v[96:97], v[26:27], v[56:57]
	v_mul_f64 v[24:25], v[24:25], v[52:53]
	s_waitcnt vmcnt(30) lgkmcnt(4)
	v_mul_f64 v[100:101], v[18:19], v[62:63]
	v_fma_f64 v[22:23], v[22:23], v[54:55], -v[24:25]
	s_waitcnt vmcnt(28) lgkmcnt(1)
	v_mul_f64 v[122:123], v[2:3], v[64:65]
	s_waitcnt vmcnt(25)
	v_mul_f64 v[104:105], v[6:7], v[68:69]
	s_waitcnt vmcnt(23)
	v_mul_f64 v[102:103], v[10:11], v[70:71]
	s_waitcnt vmcnt(21)
	v_fmac_f64_e32 v[102:103], v[12:13], v[72:73]
	v_mul_f64 v[12:13], v[12:13], v[70:71]
	s_waitcnt vmcnt(19)
	v_fmac_f64_e32 v[94:95], v[32:33], v[80:81]
	v_add_f64 v[90:91], v[90:91], v[94:95]
	s_waitcnt vmcnt(17)
	v_fmac_f64_e32 v[96:97], v[28:29], v[78:79]
	v_add_f64 v[90:91], v[90:91], v[96:97]
	;; [unrolled: 3-line block ×3, first 2 shown]
	v_add_f64 v[90:91], v[90:91], v[100:101]
	s_waitcnt vmcnt(13)
	v_fmac_f64_e32 v[104:105], v[8:9], v[74:75]
	v_add_f64 v[90:91], v[90:91], v[102:103]
	v_add_f64 v[124:125], v[90:91], v[104:105]
	buffer_load_dword v91, off, s[0:3], 0 offset:444
	buffer_load_dword v90, off, s[0:3], 0 offset:440
	;; [unrolled: 1-line block ×72, first 2 shown]
	s_waitcnt vmcnt(62)
	v_fmac_f64_e32 v[122:123], v[4:5], v[66:67]
	v_add_f64 v[152:153], v[124:125], v[122:123]
	ds_read_b128 v[122:125], v150 offset:1088
	buffer_load_dword v237, off, s[0:3], 0 offset:716
	buffer_load_dword v236, off, s[0:3], 0 offset:712
	;; [unrolled: 1-line block ×4, first 2 shown]
	s_waitcnt lgkmcnt(1)
	v_mul_f64 v[154:155], v[14:15], v[86:87]
	v_fmac_f64_e32 v[154:155], v[16:17], v[88:89]
	v_add_f64 v[156:157], v[152:153], v[154:155]
	ds_read_b128 v[152:155], v150 offset:1104
	s_waitcnt lgkmcnt(1)
	v_mul_f64 v[158:159], v[122:123], v[82:83]
	v_fmac_f64_e32 v[158:159], v[124:125], v[84:85]
	v_add_f64 v[160:161], v[156:157], v[158:159]
	ds_read_b128 v[156:159], v150 offset:1120
	v_mul_f64 v[32:33], v[32:33], v[46:47]
	s_waitcnt lgkmcnt(1)
	v_mul_f64 v[162:163], v[152:153], v[94:95]
	v_fma_f64 v[30:31], v[30:31], v[80:81], -v[32:33]
	v_fmac_f64_e32 v[162:163], v[154:155], v[96:97]
	v_add_f64 v[164:165], v[160:161], v[162:163]
	ds_read_b128 v[160:163], v150 offset:1136
	s_waitcnt lgkmcnt(1)
	v_mul_f64 v[166:167], v[156:157], v[90:91]
	v_fmac_f64_e32 v[166:167], v[158:159], v[92:93]
	v_add_f64 v[168:169], v[164:165], v[166:167]
	ds_read_b128 v[164:167], v150 offset:1152
	s_waitcnt vmcnt(62) lgkmcnt(1)
	v_mul_f64 v[170:171], v[160:161], v[102:103]
	s_waitcnt vmcnt(60)
	v_fmac_f64_e32 v[170:171], v[162:163], v[104:105]
	v_add_f64 v[172:173], v[168:169], v[170:171]
	ds_read_b128 v[168:171], v150 offset:1168
	s_waitcnt lgkmcnt(1)
	v_mul_f64 v[174:175], v[164:165], v[98:99]
	v_fmac_f64_e32 v[174:175], v[166:167], v[100:101]
	v_add_f64 v[176:177], v[172:173], v[174:175]
	ds_read_b128 v[172:175], v150 offset:1184
	s_waitcnt vmcnt(54) lgkmcnt(1)
	v_mul_f64 v[178:179], v[168:169], v[110:111]
	s_waitcnt vmcnt(52)
	;; [unrolled: 11-line block ×7, first 2 shown]
	v_fmac_f64_e32 v[228:229], v[220:221], v[202:203]
	v_add_f64 v[240:241], v[226:227], v[228:229]
	ds_read_b128 v[226:229], v150 offset:1360
	s_waitcnt lgkmcnt(1)
	v_mul_f64 v[242:243], v[222:223], v[184:185]
	v_fmac_f64_e32 v[242:243], v[224:225], v[198:199]
	v_add_f64 v[240:241], v[240:241], v[242:243]
	v_fma_f64 v[242:243], v[38:39], v[48:49], -v[40:41]
	ds_read_b128 v[38:41], v150 offset:1376
	ds_read_b128 v[48:51], v150 offset:1392
	s_waitcnt vmcnt(6) lgkmcnt(2)
	v_mul_f64 v[244:245], v[226:227], v[232:233]
	s_waitcnt vmcnt(4)
	v_fmac_f64_e32 v[244:245], v[228:229], v[234:235]
	v_add_f64 v[150:151], v[240:241], v[244:245]
	s_waitcnt lgkmcnt(1)
	v_mul_f64 v[240:241], v[38:39], v[204:205]
	v_fmac_f64_e32 v[240:241], v[40:41], v[230:231]
	v_add_f64 v[150:151], v[150:151], v[240:241]
	s_waitcnt vmcnt(2) lgkmcnt(0)
	v_mul_f64 v[240:241], v[48:49], v[236:237]
	s_waitcnt vmcnt(0)
	v_fmac_f64_e32 v[240:241], v[50:51], v[238:239]
	v_add_f64 v[150:151], v[150:151], v[240:241]
	v_add_f64 v[240:241], v[242:243], 0
	;; [unrolled: 1-line block ×3, first 2 shown]
	v_mul_f64 v[28:29], v[28:29], v[56:57]
	v_add_f64 v[30:31], v[34:35], v[30:31]
	v_fma_f64 v[26:27], v[26:27], v[78:79], -v[28:29]
	v_add_f64 v[26:27], v[30:31], v[26:27]
	v_mul_f64 v[20:21], v[20:21], v[62:63]
	v_add_f64 v[22:23], v[26:27], v[22:23]
	v_fma_f64 v[18:19], v[18:19], v[76:77], -v[20:21]
	v_add_f64 v[18:19], v[22:23], v[18:19]
	v_fma_f64 v[10:11], v[10:11], v[72:73], -v[12:13]
	v_mul_f64 v[8:9], v[8:9], v[68:69]
	v_add_f64 v[10:11], v[18:19], v[10:11]
	v_fma_f64 v[6:7], v[6:7], v[74:75], -v[8:9]
	v_mul_f64 v[4:5], v[4:5], v[64:65]
	;; [unrolled: 3-line block ×3, first 2 shown]
	v_add_f64 v[2:3], v[6:7], v[2:3]
	v_fma_f64 v[4:5], v[14:15], v[88:89], -v[4:5]
	v_add_f64 v[2:3], v[2:3], v[4:5]
	v_mul_f64 v[4:5], v[124:125], v[82:83]
	v_fma_f64 v[4:5], v[122:123], v[84:85], -v[4:5]
	v_add_f64 v[2:3], v[2:3], v[4:5]
	v_mul_f64 v[4:5], v[154:155], v[94:95]
	;; [unrolled: 3-line block ×20, first 2 shown]
	v_fma_f64 v[4:5], v[48:49], v[238:239], -v[4:5]
	v_add_f64 v[2:3], v[2:3], v[4:5]
	v_add_f64 v[2:3], v[60:61], -v[2:3]
	v_add_f64 v[4:5], v[58:59], -v[150:151]
	buffer_store_dword v3, off, s[0:3], 0 offset:228
	buffer_store_dword v2, off, s[0:3], 0 offset:224
	;; [unrolled: 1-line block ×4, first 2 shown]
	s_and_saveexec_b64 s[4:5], vcc
	s_cbranch_execz .LBB107_253
; %bb.252:
	v_accvgpr_read_b32 v0, a119
	buffer_load_dword v2, v0, s[0:3], 0 offen
	buffer_load_dword v3, v0, s[0:3], 0 offen offset:4
	buffer_load_dword v4, v0, s[0:3], 0 offen offset:8
	;; [unrolled: 1-line block ×3, first 2 shown]
	v_mov_b32_e32 v0, 0
	v_accvgpr_read_b32 v1, a132
	buffer_store_dword v0, off, s[0:3], 0 offset:208
	buffer_store_dword v0, off, s[0:3], 0 offset:212
	;; [unrolled: 1-line block ×4, first 2 shown]
	s_waitcnt vmcnt(4)
	ds_write_b128 v1, v[2:5]
.LBB107_253:
	s_or_b64 exec, exec, s[4:5]
	s_waitcnt lgkmcnt(0)
	; wave barrier
	s_waitcnt lgkmcnt(0)
	buffer_load_dword v106, off, s[0:3], 0 offset:224
	buffer_load_dword v107, off, s[0:3], 0 offset:228
	;; [unrolled: 1-line block ×49, first 2 shown]
	v_mov_b32_e32 v254, 0
	ds_read_b128 v[110:113], v254 offset:912
	ds_read_b128 v[250:253], v254 offset:928
	;; [unrolled: 1-line block ×10, first 2 shown]
	buffer_load_dword v158, off, s[0:3], 0 offset:416
	buffer_load_dword v173, off, s[0:3], 0 offset:412
	;; [unrolled: 1-line block ×69, first 2 shown]
	v_accvgpr_write_b32 a131, v255
	v_cmp_lt_u32_e32 vcc, 11, v255
	s_waitcnt vmcnt(62) lgkmcnt(9)
	v_mul_f64 v[34:35], v[110:111], v[108:109]
	v_fmac_f64_e32 v[34:35], v[112:113], v[106:107]
	v_add_f64 v[34:35], v[34:35], 0
	v_mul_f64 v[108:109], v[112:113], v[108:109]
	s_waitcnt lgkmcnt(8)
	v_mul_f64 v[36:37], v[250:251], v[116:117]
	v_fmac_f64_e32 v[36:37], v[252:253], v[114:115]
	s_waitcnt lgkmcnt(7)
	v_mul_f64 v[38:39], v[30:31], v[118:119]
	v_add_f64 v[34:35], v[34:35], v[36:37]
	s_waitcnt lgkmcnt(5)
	v_mul_f64 v[42:43], v[22:23], v[120:121]
	v_mul_f64 v[116:117], v[252:253], v[116:117]
	v_fmac_f64_e32 v[42:43], v[24:25], v[122:123]
	v_fma_f64 v[248:249], v[110:111], v[106:107], -v[108:109]
	v_mul_f64 v[40:41], v[26:27], v[124:125]
	v_fma_f64 v[250:251], v[250:251], v[114:115], -v[116:117]
	s_waitcnt lgkmcnt(3)
	v_mul_f64 v[46:47], v[14:15], v[126:127]
	v_mul_f64 v[24:25], v[24:25], v[120:121]
	v_fmac_f64_e32 v[46:47], v[16:17], v[128:129]
	v_fma_f64 v[22:23], v[22:23], v[122:123], -v[24:25]
	v_mul_f64 v[44:45], v[18:19], v[130:131]
	v_mul_f64 v[16:17], v[16:17], v[126:127]
	s_waitcnt lgkmcnt(1)
	v_mul_f64 v[50:51], v[6:7], v[132:133]
	v_fma_f64 v[14:15], v[14:15], v[128:129], -v[16:17]
	v_fmac_f64_e32 v[50:51], v[8:9], v[134:135]
	v_mul_f64 v[8:9], v[8:9], v[132:133]
	v_mul_f64 v[48:49], v[10:11], v[140:141]
	v_fma_f64 v[6:7], v[6:7], v[134:135], -v[8:9]
	s_waitcnt lgkmcnt(0)
	v_mul_f64 v[52:53], v[2:3], v[136:137]
	v_fmac_f64_e32 v[38:39], v[32:33], v[152:153]
	v_add_f64 v[34:35], v[34:35], v[38:39]
	v_fmac_f64_e32 v[40:41], v[28:29], v[150:151]
	v_add_f64 v[34:35], v[34:35], v[40:41]
	;; [unrolled: 2-line block ×3, first 2 shown]
	v_add_f64 v[34:35], v[34:35], v[44:45]
	v_fmac_f64_e32 v[48:49], v[12:13], v[146:147]
	v_add_f64 v[34:35], v[34:35], v[46:47]
	v_add_f64 v[34:35], v[34:35], v[48:49]
	v_fmac_f64_e32 v[52:53], v[4:5], v[144:145]
	v_add_f64 v[34:35], v[34:35], v[50:51]
	v_add_f64 v[42:43], v[34:35], v[52:53]
	ds_read_b128 v[38:41], v254 offset:1072
	ds_read_b128 v[34:37], v254 offset:1088
	buffer_load_dword v231, off, s[0:3], 0 offset:716
	buffer_load_dword v230, off, s[0:3], 0 offset:712
	;; [unrolled: 1-line block ×8, first 2 shown]
	ds_read_b128 v[110:113], v254 offset:1360
	ds_read_b128 v[106:109], v254 offset:1376
	s_waitcnt lgkmcnt(3)
	v_mul_f64 v[44:45], v[38:39], v[142:143]
	v_fmac_f64_e32 v[44:45], v[40:41], v[154:155]
	v_add_f64 v[46:47], v[42:43], v[44:45]
	ds_read_b128 v[42:45], v254 offset:1104
	s_waitcnt lgkmcnt(3)
	v_mul_f64 v[48:49], v[34:35], v[172:173]
	v_fmac_f64_e32 v[48:49], v[36:37], v[176:177]
	v_add_f64 v[50:51], v[46:47], v[48:49]
	;; [unrolled: 5-line block ×3, first 2 shown]
	ds_read_b128 v[50:53], v254 offset:1136
	s_waitcnt vmcnt(62) lgkmcnt(1)
	v_mul_f64 v[56:57], v[46:47], v[180:181]
	v_fmac_f64_e32 v[56:57], v[48:49], v[186:187]
	v_add_f64 v[58:59], v[54:55], v[56:57]
	ds_read_b128 v[54:57], v254 offset:1152
	s_waitcnt lgkmcnt(1)
	v_mul_f64 v[60:61], v[50:51], v[160:161]
	v_fmac_f64_e32 v[60:61], v[52:53], v[162:163]
	v_add_f64 v[62:63], v[58:59], v[60:61]
	ds_read_b128 v[58:61], v254 offset:1168
	s_waitcnt vmcnt(58) lgkmcnt(1)
	v_mul_f64 v[64:65], v[54:55], v[190:191]
	s_waitcnt vmcnt(56)
	v_fmac_f64_e32 v[64:65], v[56:57], v[194:195]
	v_add_f64 v[66:67], v[62:63], v[64:65]
	ds_read_b128 v[62:65], v254 offset:1184
	s_waitcnt lgkmcnt(1)
	v_mul_f64 v[68:69], v[58:59], v[164:165]
	v_fmac_f64_e32 v[68:69], v[60:61], v[166:167]
	v_add_f64 v[70:71], v[66:67], v[68:69]
	ds_read_b128 v[66:69], v254 offset:1200
	s_waitcnt vmcnt(50) lgkmcnt(1)
	v_mul_f64 v[72:73], v[62:63], v[206:207]
	s_waitcnt vmcnt(48)
	;; [unrolled: 11-line block ×5, first 2 shown]
	v_fmac_f64_e32 v[96:97], v[88:89], v[228:229]
	v_add_f64 v[98:99], v[94:95], v[96:97]
	ds_read_b128 v[94:97], v254 offset:1312
	s_waitcnt lgkmcnt(1)
	v_mul_f64 v[100:101], v[90:91], v[192:193]
	v_fmac_f64_e32 v[100:101], v[92:93], v[196:197]
	v_add_f64 v[184:185], v[98:99], v[100:101]
	ds_read_b128 v[98:101], v254 offset:1328
	ds_read_b128 v[102:105], v254 offset:1344
	;; [unrolled: 1-line block ×3, first 2 shown]
	buffer_load_dword v252, off, s[0:3], 0 offset:216
	buffer_load_dword v253, off, s[0:3], 0 offset:220
	s_waitcnt vmcnt(20) lgkmcnt(3)
	v_mul_f64 v[198:199], v[94:95], v[232:233]
	s_waitcnt vmcnt(18)
	v_fmac_f64_e32 v[198:199], v[96:97], v[236:237]
	v_add_f64 v[184:185], v[184:185], v[198:199]
	s_waitcnt lgkmcnt(2)
	v_mul_f64 v[198:199], v[98:99], v[208:209]
	v_fmac_f64_e32 v[198:199], v[100:101], v[212:213]
	v_add_f64 v[184:185], v[184:185], v[198:199]
	s_waitcnt vmcnt(12) lgkmcnt(1)
	v_mul_f64 v[198:199], v[102:103], v[238:239]
	s_waitcnt vmcnt(10)
	v_fmac_f64_e32 v[198:199], v[104:105], v[240:241]
	v_add_f64 v[184:185], v[184:185], v[198:199]
	v_mul_f64 v[198:199], v[110:111], v[216:217]
	v_fmac_f64_e32 v[198:199], v[112:113], v[220:221]
	v_add_f64 v[184:185], v[184:185], v[198:199]
	s_waitcnt vmcnt(4)
	v_mul_f64 v[198:199], v[106:107], v[242:243]
	v_mul_f64 v[32:33], v[32:33], v[118:119]
	s_waitcnt vmcnt(2)
	v_fmac_f64_e32 v[198:199], v[108:109], v[244:245]
	v_add_f64 v[184:185], v[184:185], v[198:199]
	s_waitcnt lgkmcnt(0)
	v_mul_f64 v[198:199], v[114:115], v[230:231]
	v_fmac_f64_e32 v[198:199], v[116:117], v[234:235]
	v_add_f64 v[246:247], v[184:185], v[198:199]
	v_add_f64 v[184:185], v[248:249], 0
	v_add_f64 v[184:185], v[184:185], v[250:251]
	v_fma_f64 v[30:31], v[30:31], v[152:153], -v[32:33]
	v_mul_f64 v[28:29], v[28:29], v[124:125]
	v_add_f64 v[30:31], v[184:185], v[30:31]
	v_fma_f64 v[26:27], v[26:27], v[150:151], -v[28:29]
	v_add_f64 v[26:27], v[30:31], v[26:27]
	v_mul_f64 v[20:21], v[20:21], v[130:131]
	v_add_f64 v[22:23], v[26:27], v[22:23]
	v_fma_f64 v[18:19], v[18:19], v[148:149], -v[20:21]
	v_add_f64 v[18:19], v[22:23], v[18:19]
	;; [unrolled: 4-line block ×3, first 2 shown]
	v_mul_f64 v[4:5], v[4:5], v[136:137]
	v_add_f64 v[6:7], v[10:11], v[6:7]
	v_fma_f64 v[2:3], v[2:3], v[144:145], -v[4:5]
	v_mul_f64 v[4:5], v[40:41], v[142:143]
	v_add_f64 v[2:3], v[6:7], v[2:3]
	v_fma_f64 v[4:5], v[38:39], v[154:155], -v[4:5]
	v_add_f64 v[2:3], v[2:3], v[4:5]
	v_mul_f64 v[4:5], v[36:37], v[172:173]
	v_fma_f64 v[4:5], v[34:35], v[176:177], -v[4:5]
	v_add_f64 v[2:3], v[2:3], v[4:5]
	v_mul_f64 v[4:5], v[44:45], v[156:157]
	;; [unrolled: 3-line block ×20, first 2 shown]
	v_fma_f64 v[4:5], v[114:115], v[234:235], -v[4:5]
	v_add_f64 v[2:3], v[2:3], v[4:5]
	v_add_f64 v[2:3], v[138:139], -v[2:3]
	s_waitcnt vmcnt(0)
	v_add_f64 v[4:5], v[252:253], -v[246:247]
	buffer_store_dword v3, off, s[0:3], 0 offset:212
	buffer_store_dword v2, off, s[0:3], 0 offset:208
	;; [unrolled: 1-line block ×4, first 2 shown]
	s_and_saveexec_b64 s[4:5], vcc
	s_cbranch_execz .LBB107_255
; %bb.254:
	v_accvgpr_read_b32 v0, a120
	buffer_load_dword v2, v0, s[0:3], 0 offen
	buffer_load_dword v3, v0, s[0:3], 0 offen offset:4
	buffer_load_dword v4, v0, s[0:3], 0 offen offset:8
	;; [unrolled: 1-line block ×3, first 2 shown]
	v_accvgpr_read_b32 v0, a132
	buffer_store_dword v254, off, s[0:3], 0 offset:192
	buffer_store_dword v254, off, s[0:3], 0 offset:196
	;; [unrolled: 1-line block ×4, first 2 shown]
	s_waitcnt vmcnt(4)
	ds_write_b128 v0, v[2:5]
.LBB107_255:
	s_or_b64 exec, exec, s[4:5]
	s_waitcnt lgkmcnt(0)
	; wave barrier
	s_waitcnt lgkmcnt(0)
	buffer_load_dword v112, off, s[0:3], 0 offset:208
	buffer_load_dword v113, off, s[0:3], 0 offset:212
	;; [unrolled: 1-line block ×36, first 2 shown]
	ds_read_b128 v[102:105], v254 offset:896
	ds_read_b128 v[106:109], v254 offset:912
	;; [unrolled: 1-line block ×9, first 2 shown]
	buffer_load_dword v143, off, s[0:3], 0 offset:380
	buffer_load_dword v142, off, s[0:3], 0 offset:376
	;; [unrolled: 1-line block ×78, first 2 shown]
	v_accvgpr_read_b32 v1, a131
	v_cmp_lt_u32_e32 vcc, 10, v1
	s_waitcnt vmcnt(62) lgkmcnt(8)
	v_mul_f64 v[26:27], v[102:103], v[246:247]
	v_fmac_f64_e32 v[26:27], v[104:105], v[112:113]
	v_add_f64 v[26:27], v[26:27], 0
	v_mul_f64 v[104:105], v[104:105], v[246:247]
	s_waitcnt lgkmcnt(7)
	v_mul_f64 v[28:29], v[106:107], v[248:249]
	v_fmac_f64_e32 v[28:29], v[108:109], v[110:111]
	s_waitcnt lgkmcnt(6)
	v_mul_f64 v[30:31], v[114:115], v[244:245]
	v_add_f64 v[26:27], v[26:27], v[28:29]
	s_waitcnt lgkmcnt(4)
	v_mul_f64 v[34:35], v[18:19], v[118:119]
	v_fma_f64 v[246:247], v[102:103], v[112:113], -v[104:105]
	v_fmac_f64_e32 v[34:35], v[20:21], v[120:121]
	v_mul_f64 v[108:109], v[108:109], v[248:249]
	v_mul_f64 v[32:33], v[22:23], v[122:123]
	v_fma_f64 v[248:249], v[106:107], v[110:111], -v[108:109]
	s_waitcnt lgkmcnt(2)
	v_mul_f64 v[38:39], v[10:11], v[124:125]
	v_mul_f64 v[20:21], v[20:21], v[118:119]
	v_fmac_f64_e32 v[38:39], v[12:13], v[126:127]
	v_fma_f64 v[18:19], v[18:19], v[120:121], -v[20:21]
	v_mul_f64 v[36:37], v[14:15], v[130:131]
	v_mul_f64 v[12:13], v[12:13], v[124:125]
	s_waitcnt lgkmcnt(1)
	v_mul_f64 v[40:41], v[6:7], v[128:129]
	v_fma_f64 v[10:11], v[10:11], v[126:127], -v[12:13]
	v_fmac_f64_e32 v[30:31], v[116:117], v[250:251]
	v_add_f64 v[26:27], v[26:27], v[30:31]
	v_fmac_f64_e32 v[32:33], v[24:25], v[138:139]
	v_add_f64 v[26:27], v[26:27], v[32:33]
	;; [unrolled: 2-line block ×3, first 2 shown]
	v_add_f64 v[26:27], v[26:27], v[36:37]
	v_fmac_f64_e32 v[40:41], v[8:9], v[134:135]
	v_add_f64 v[30:31], v[26:27], v[38:39]
	v_add_f64 v[30:31], v[30:31], v[40:41]
	s_waitcnt lgkmcnt(0)
	v_mul_f64 v[32:33], v[2:3], v[132:133]
	v_fmac_f64_e32 v[32:33], v[4:5], v[140:141]
	ds_read_b128 v[26:29], v254 offset:1040
	v_add_f64 v[34:35], v[30:31], v[32:33]
	ds_read_b128 v[30:33], v254 offset:1056
	buffer_load_dword v231, off, s[0:3], 0 offset:644
	buffer_load_dword v230, off, s[0:3], 0 offset:640
	v_mul_f64 v[116:117], v[116:117], v[244:245]
	s_waitcnt lgkmcnt(1)
	v_mul_f64 v[36:37], v[26:27], v[146:147]
	v_fmac_f64_e32 v[36:37], v[28:29], v[148:149]
	v_add_f64 v[38:39], v[34:35], v[36:37]
	ds_read_b128 v[34:37], v254 offset:1072
	s_waitcnt lgkmcnt(1)
	v_mul_f64 v[40:41], v[30:31], v[142:143]
	v_fmac_f64_e32 v[40:41], v[32:33], v[144:145]
	v_add_f64 v[42:43], v[38:39], v[40:41]
	ds_read_b128 v[38:41], v254 offset:1088
	;; [unrolled: 5-line block ×4, first 2 shown]
	buffer_load_dword v233, off, s[0:3], 0 offset:700
	buffer_load_dword v235, off, s[0:3], 0 offset:684
	;; [unrolled: 1-line block ×12, first 2 shown]
	s_waitcnt vmcnt(62) lgkmcnt(1)
	v_mul_f64 v[52:53], v[42:43], v[174:175]
	v_fmac_f64_e32 v[52:53], v[44:45], v[178:179]
	v_add_f64 v[54:55], v[50:51], v[52:53]
	ds_read_b128 v[50:53], v254 offset:1136
	s_waitcnt lgkmcnt(1)
	v_mul_f64 v[56:57], v[46:47], v[154:155]
	v_fmac_f64_e32 v[56:57], v[48:49], v[156:157]
	v_add_f64 v[58:59], v[54:55], v[56:57]
	ds_read_b128 v[54:57], v254 offset:1152
	s_waitcnt lgkmcnt(1)
	v_mul_f64 v[60:61], v[50:51], v[182:183]
	s_waitcnt vmcnt(60)
	v_fmac_f64_e32 v[60:61], v[52:53], v[188:189]
	v_add_f64 v[62:63], v[58:59], v[60:61]
	ds_read_b128 v[58:61], v254 offset:1168
	s_waitcnt lgkmcnt(1)
	v_mul_f64 v[64:65], v[54:55], v[162:163]
	v_fmac_f64_e32 v[64:65], v[56:57], v[164:165]
	v_add_f64 v[66:67], v[62:63], v[64:65]
	ds_read_b128 v[62:65], v254 offset:1184
	s_waitcnt vmcnt(54) lgkmcnt(1)
	v_mul_f64 v[68:69], v[58:59], v[192:193]
	s_waitcnt vmcnt(52)
	v_fmac_f64_e32 v[68:69], v[60:61], v[196:197]
	v_add_f64 v[70:71], v[66:67], v[68:69]
	ds_read_b128 v[66:69], v254 offset:1200
	s_waitcnt lgkmcnt(1)
	v_mul_f64 v[72:73], v[62:63], v[166:167]
	v_fmac_f64_e32 v[72:73], v[64:65], v[168:169]
	v_add_f64 v[74:75], v[70:71], v[72:73]
	ds_read_b128 v[70:73], v254 offset:1216
	s_waitcnt vmcnt(46) lgkmcnt(1)
	;; [unrolled: 11-line block ×4, first 2 shown]
	v_mul_f64 v[92:93], v[82:83], v[220:221]
	s_waitcnt vmcnt(28)
	v_fmac_f64_e32 v[92:93], v[84:85], v[222:223]
	v_add_f64 v[98:99], v[90:91], v[92:93]
	ds_read_b128 v[90:93], v254 offset:1296
	ds_read_b128 v[94:97], v254 offset:1312
	s_waitcnt lgkmcnt(2)
	v_mul_f64 v[100:101], v[86:87], v[186:187]
	v_fmac_f64_e32 v[100:101], v[88:89], v[190:191]
	v_add_f64 v[98:99], v[98:99], v[100:101]
	s_waitcnt vmcnt(22) lgkmcnt(1)
	v_mul_f64 v[100:101], v[90:91], v[224:225]
	s_waitcnt vmcnt(20)
	v_fmac_f64_e32 v[100:101], v[92:93], v[226:227]
	v_add_f64 v[98:99], v[98:99], v[100:101]
	s_waitcnt lgkmcnt(0)
	v_mul_f64 v[100:101], v[94:95], v[194:195]
	v_fmac_f64_e32 v[100:101], v[96:97], v[206:207]
	v_add_f64 v[184:185], v[98:99], v[100:101]
	ds_read_b128 v[98:101], v254 offset:1328
	ds_read_b128 v[102:105], v254 offset:1344
	;; [unrolled: 1-line block ×3, first 2 shown]
	v_fma_f64 v[250:251], v[114:115], v[250:251], -v[116:117]
	ds_read_b128 v[114:117], v254 offset:1392
	s_waitcnt vmcnt(14) lgkmcnt(3)
	v_mul_f64 v[112:113], v[98:99], v[228:229]
	s_waitcnt lgkmcnt(2)
	v_mul_f64 v[110:111], v[102:103], v[210:211]
	s_waitcnt vmcnt(12)
	v_fmac_f64_e32 v[112:113], v[100:101], v[230:231]
	v_add_f64 v[112:113], v[184:185], v[112:113]
	v_fmac_f64_e32 v[110:111], v[104:105], v[214:215]
	v_add_f64 v[184:185], v[112:113], v[110:111]
	ds_read_b128 v[110:113], v254 offset:1376
	buffer_load_dword v254, off, s[0:3], 0 offset:192
	buffer_load_dword v255, off, s[0:3], 0 offset:196
	;; [unrolled: 1-line block ×4, first 2 shown]
	v_mul_f64 v[24:25], v[24:25], v[122:123]
	v_fma_f64 v[22:23], v[22:23], v[138:139], -v[24:25]
	v_mul_f64 v[16:17], v[16:17], v[130:131]
	s_waitcnt vmcnt(13) lgkmcnt(2)
	v_mul_f64 v[198:199], v[106:107], v[234:235]
	v_fma_f64 v[14:15], v[14:15], v[136:137], -v[16:17]
	s_waitcnt vmcnt(11)
	v_fmac_f64_e32 v[198:199], v[108:109], v[240:241]
	v_add_f64 v[184:185], v[184:185], v[198:199]
	s_waitcnt vmcnt(10) lgkmcnt(0)
	v_mul_f64 v[198:199], v[110:111], v[232:233]
	s_waitcnt vmcnt(8)
	v_fmac_f64_e32 v[198:199], v[112:113], v[238:239]
	v_add_f64 v[184:185], v[184:185], v[198:199]
	s_waitcnt vmcnt(6)
	v_mul_f64 v[198:199], v[114:115], v[236:237]
	v_mul_f64 v[8:9], v[8:9], v[128:129]
	s_waitcnt vmcnt(4)
	v_fmac_f64_e32 v[198:199], v[116:117], v[242:243]
	v_add_f64 v[244:245], v[184:185], v[198:199]
	v_add_f64 v[184:185], v[246:247], 0
	;; [unrolled: 1-line block ×8, first 2 shown]
	v_fma_f64 v[6:7], v[6:7], v[134:135], -v[8:9]
	v_mul_f64 v[4:5], v[4:5], v[132:133]
	v_add_f64 v[6:7], v[10:11], v[6:7]
	v_fma_f64 v[2:3], v[2:3], v[140:141], -v[4:5]
	v_mul_f64 v[4:5], v[28:29], v[146:147]
	v_add_f64 v[2:3], v[6:7], v[2:3]
	v_fma_f64 v[4:5], v[26:27], v[148:149], -v[4:5]
	v_add_f64 v[2:3], v[2:3], v[4:5]
	v_mul_f64 v[4:5], v[32:33], v[142:143]
	v_fma_f64 v[4:5], v[30:31], v[144:145], -v[4:5]
	v_add_f64 v[2:3], v[2:3], v[4:5]
	v_mul_f64 v[4:5], v[36:37], v[158:159]
	;; [unrolled: 3-line block ×22, first 2 shown]
	v_fma_f64 v[4:5], v[114:115], v[242:243], -v[4:5]
	v_add_f64 v[2:3], v[2:3], v[4:5]
	s_waitcnt vmcnt(2)
	v_add_f64 v[2:3], v[254:255], -v[2:3]
	s_waitcnt vmcnt(0)
	v_add_f64 v[4:5], v[252:253], -v[244:245]
	buffer_store_dword v3, off, s[0:3], 0 offset:196
	buffer_store_dword v2, off, s[0:3], 0 offset:192
	;; [unrolled: 1-line block ×4, first 2 shown]
	s_and_saveexec_b64 s[4:5], vcc
	s_cbranch_execz .LBB107_257
; %bb.256:
	v_accvgpr_read_b32 v0, a121
	buffer_load_dword v2, v0, s[0:3], 0 offen
	buffer_load_dword v3, v0, s[0:3], 0 offen offset:4
	buffer_load_dword v4, v0, s[0:3], 0 offen offset:8
	;; [unrolled: 1-line block ×3, first 2 shown]
	v_mov_b32_e32 v0, 0
	v_accvgpr_read_b32 v6, a132
	buffer_store_dword v0, off, s[0:3], 0 offset:176
	buffer_store_dword v0, off, s[0:3], 0 offset:180
	;; [unrolled: 1-line block ×4, first 2 shown]
	s_waitcnt vmcnt(4)
	ds_write_b128 v6, v[2:5]
.LBB107_257:
	s_or_b64 exec, exec, s[4:5]
	s_waitcnt lgkmcnt(0)
	; wave barrier
	s_waitcnt lgkmcnt(0)
	buffer_load_dword v94, off, s[0:3], 0 offset:192
	buffer_load_dword v95, off, s[0:3], 0 offset:196
	;; [unrolled: 1-line block ×52, first 2 shown]
	v_mov_b32_e32 v254, 0
	ds_read_b128 v[102:105], v254 offset:880
	ds_read_b128 v[114:117], v254 offset:896
	ds_read_b128 v[244:247], v254 offset:912
	ds_read_b128 v[250:253], v254 offset:928
	ds_read_b128 v[22:25], v254 offset:944
	ds_read_b128 v[18:21], v254 offset:960
	ds_read_b128 v[14:17], v254 offset:976
	ds_read_b128 v[10:13], v254 offset:992
	ds_read_b128 v[6:9], v254 offset:1008
	ds_read_b128 v[2:5], v254 offset:1024
	v_cmp_lt_u32_e32 vcc, 9, v1
	s_waitcnt vmcnt(48) lgkmcnt(9)
	v_mul_f64 v[26:27], v[102:103], v[96:97]
	v_fmac_f64_e32 v[26:27], v[104:105], v[94:95]
	v_add_f64 v[26:27], v[26:27], 0
	v_mul_f64 v[96:97], v[104:105], v[96:97]
	s_waitcnt vmcnt(44) lgkmcnt(8)
	v_mul_f64 v[28:29], v[114:115], v[100:101]
	v_fmac_f64_e32 v[28:29], v[116:117], v[98:99]
	s_waitcnt vmcnt(42) lgkmcnt(7)
	v_mul_f64 v[30:31], v[244:245], v[106:107]
	v_add_f64 v[26:27], v[26:27], v[28:29]
	s_waitcnt vmcnt(40) lgkmcnt(5)
	v_mul_f64 v[34:35], v[22:23], v[120:121]
	v_fma_f64 v[198:199], v[102:103], v[94:95], -v[96:97]
	s_waitcnt vmcnt(38)
	v_fmac_f64_e32 v[34:35], v[24:25], v[124:125]
	v_mul_f64 v[100:101], v[116:117], v[100:101]
	s_waitcnt vmcnt(36)
	v_mul_f64 v[32:33], v[250:251], v[110:111]
	v_fma_f64 v[200:201], v[114:115], v[98:99], -v[100:101]
	s_waitcnt vmcnt(34) lgkmcnt(3)
	v_mul_f64 v[38:39], v[14:15], v[118:119]
	v_mul_f64 v[106:107], v[246:247], v[106:107]
	s_waitcnt vmcnt(32)
	v_fmac_f64_e32 v[38:39], v[16:17], v[122:123]
	v_mul_f64 v[110:111], v[252:253], v[110:111]
	s_waitcnt vmcnt(30)
	v_mul_f64 v[36:37], v[18:19], v[130:131]
	v_mul_f64 v[24:25], v[24:25], v[120:121]
	v_fma_f64 v[22:23], v[22:23], v[124:125], -v[24:25]
	s_waitcnt vmcnt(27) lgkmcnt(2)
	v_mul_f64 v[40:41], v[10:11], v[128:129]
	s_waitcnt vmcnt(26) lgkmcnt(1)
	v_mul_f64 v[42:43], v[6:7], v[126:127]
	v_mul_f64 v[16:17], v[16:17], v[118:119]
	s_waitcnt vmcnt(24)
	v_fmac_f64_e32 v[30:31], v[246:247], v[108:109]
	v_add_f64 v[26:27], v[26:27], v[30:31]
	s_waitcnt vmcnt(22)
	v_fmac_f64_e32 v[32:33], v[252:253], v[112:113]
	v_add_f64 v[26:27], v[26:27], v[32:33]
	;; [unrolled: 3-line block ×3, first 2 shown]
	v_add_f64 v[26:27], v[26:27], v[36:37]
	s_waitcnt vmcnt(18)
	v_fmac_f64_e32 v[40:41], v[12:13], v[132:133]
	v_add_f64 v[26:27], v[26:27], v[38:39]
	v_add_f64 v[26:27], v[26:27], v[40:41]
	s_waitcnt vmcnt(16)
	v_fmac_f64_e32 v[42:43], v[8:9], v[138:139]
	v_add_f64 v[34:35], v[26:27], v[42:43]
	ds_read_b128 v[26:29], v254 offset:1040
	ds_read_b128 v[30:33], v254 offset:1056
	buffer_load_dword v155, off, s[0:3], 0 offset:428
	buffer_load_dword v154, off, s[0:3], 0 offset:424
	;; [unrolled: 1-line block ×56, first 2 shown]
	s_waitcnt vmcnt(62) lgkmcnt(2)
	v_mul_f64 v[36:37], v[2:3], v[142:143]
	v_fmac_f64_e32 v[36:37], v[4:5], v[144:145]
	v_add_f64 v[34:35], v[34:35], v[36:37]
	s_waitcnt lgkmcnt(1)
	v_mul_f64 v[36:37], v[26:27], v[136:137]
	v_fmac_f64_e32 v[36:37], v[28:29], v[140:141]
	v_add_f64 v[34:35], v[34:35], v[36:37]
	s_waitcnt lgkmcnt(0)
	v_mul_f64 v[36:37], v[30:31], v[146:147]
	s_waitcnt vmcnt(60)
	v_fmac_f64_e32 v[36:37], v[32:33], v[150:151]
	v_add_f64 v[42:43], v[34:35], v[36:37]
	ds_read_b128 v[34:37], v254 offset:1072
	buffer_load_dword v209, off, s[0:3], 0 offset:652
	buffer_load_dword v208, off, s[0:3], 0 offset:648
	;; [unrolled: 1-line block ×16, first 2 shown]
	ds_read_b128 v[38:41], v254 offset:1088
	buffer_load_dword v231, off, s[0:3], 0 offset:716
	buffer_load_dword v230, off, s[0:3], 0 offset:712
	;; [unrolled: 1-line block ×8, first 2 shown]
	ds_read_b128 v[98:101], v254 offset:1328
	s_waitcnt vmcnt(62) lgkmcnt(2)
	v_mul_f64 v[44:45], v[34:35], v[148:149]
	v_fmac_f64_e32 v[44:45], v[36:37], v[152:153]
	v_add_f64 v[46:47], v[42:43], v[44:45]
	ds_read_b128 v[42:45], v254 offset:1104
	v_fma_f64 v[248:249], v[244:245], v[108:109], -v[106:107]
	ds_read_b128 v[106:109], v254 offset:1360
	v_fma_f64 v[246:247], v[250:251], v[112:113], -v[110:111]
	v_mul_f64 v[20:21], v[20:21], v[130:131]
	v_fma_f64 v[18:19], v[18:19], v[134:135], -v[20:21]
	v_fma_f64 v[14:15], v[14:15], v[122:123], -v[16:17]
	v_mul_f64 v[12:13], v[12:13], v[128:129]
	v_fma_f64 v[10:11], v[10:11], v[132:133], -v[12:13]
	v_mul_f64 v[8:9], v[8:9], v[126:127]
	;; [unrolled: 2-line block ×3, first 2 shown]
	s_waitcnt lgkmcnt(3)
	v_mul_f64 v[48:49], v[38:39], v[170:171]
	v_fma_f64 v[2:3], v[2:3], v[144:145], -v[4:5]
	v_fmac_f64_e32 v[48:49], v[40:41], v[174:175]
	v_add_f64 v[50:51], v[46:47], v[48:49]
	ds_read_b128 v[46:49], v254 offset:1120
	s_waitcnt lgkmcnt(2)
	v_mul_f64 v[52:53], v[42:43], v[154:155]
	v_fmac_f64_e32 v[52:53], v[44:45], v[156:157]
	v_add_f64 v[54:55], v[50:51], v[52:53]
	ds_read_b128 v[50:53], v254 offset:1136
	s_waitcnt lgkmcnt(1)
	v_mul_f64 v[56:57], v[46:47], v[178:179]
	;; [unrolled: 5-line block ×3, first 2 shown]
	v_fmac_f64_e32 v[60:61], v[52:53], v[160:161]
	v_add_f64 v[62:63], v[58:59], v[60:61]
	ds_read_b128 v[58:61], v254 offset:1168
	s_waitcnt vmcnt(58) lgkmcnt(1)
	v_mul_f64 v[64:65], v[54:55], v[188:189]
	s_waitcnt vmcnt(56)
	v_fmac_f64_e32 v[64:65], v[56:57], v[192:193]
	v_add_f64 v[66:67], v[62:63], v[64:65]
	ds_read_b128 v[62:65], v254 offset:1184
	s_waitcnt lgkmcnt(1)
	v_mul_f64 v[68:69], v[58:59], v[162:163]
	v_fmac_f64_e32 v[68:69], v[60:61], v[164:165]
	v_add_f64 v[70:71], v[66:67], v[68:69]
	ds_read_b128 v[66:69], v254 offset:1200
	s_waitcnt vmcnt(50) lgkmcnt(1)
	v_mul_f64 v[72:73], v[62:63], v[196:197]
	s_waitcnt vmcnt(48)
	v_fmac_f64_e32 v[72:73], v[64:65], v[206:207]
	v_add_f64 v[74:75], v[70:71], v[72:73]
	ds_read_b128 v[70:73], v254 offset:1216
	s_waitcnt lgkmcnt(1)
	v_mul_f64 v[76:77], v[66:67], v[166:167]
	;; [unrolled: 11-line block ×3, first 2 shown]
	v_fmac_f64_e32 v[84:85], v[76:77], v[176:177]
	v_add_f64 v[90:91], v[82:83], v[84:85]
	ds_read_b128 v[82:85], v254 offset:1264
	ds_read_b128 v[86:89], v254 offset:1280
	s_waitcnt vmcnt(34) lgkmcnt(2)
	v_mul_f64 v[92:93], v[78:79], v[218:219]
	s_waitcnt vmcnt(32)
	v_fmac_f64_e32 v[92:93], v[80:81], v[224:225]
	v_add_f64 v[90:91], v[90:91], v[92:93]
	s_waitcnt lgkmcnt(1)
	v_mul_f64 v[92:93], v[82:83], v[180:181]
	v_fmac_f64_e32 v[92:93], v[84:85], v[186:187]
	v_add_f64 v[90:91], v[90:91], v[92:93]
	s_waitcnt vmcnt(27) lgkmcnt(0)
	v_mul_f64 v[92:93], v[86:87], v[222:223]
	s_waitcnt vmcnt(25)
	v_fmac_f64_e32 v[92:93], v[88:89], v[226:227]
	v_add_f64 v[184:185], v[90:91], v[92:93]
	ds_read_b128 v[90:93], v254 offset:1296
	ds_read_b128 v[94:97], v254 offset:1312
	;; [unrolled: 1-line block ×3, first 2 shown]
	v_mul_f64 v[4:5], v[28:29], v[136:137]
	v_fma_f64 v[4:5], v[26:27], v[140:141], -v[4:5]
	s_waitcnt lgkmcnt(2)
	v_mul_f64 v[102:103], v[90:91], v[190:191]
	s_waitcnt vmcnt(24)
	v_fmac_f64_e32 v[102:103], v[92:93], v[194:195]
	s_waitcnt vmcnt(18) lgkmcnt(1)
	v_mul_f64 v[104:105], v[94:95], v[228:229]
	v_add_f64 v[102:103], v[184:185], v[102:103]
	s_waitcnt vmcnt(16)
	v_fmac_f64_e32 v[104:105], v[96:97], v[232:233]
	v_add_f64 v[102:103], v[102:103], v[104:105]
	v_mul_f64 v[104:105], v[98:99], v[208:209]
	v_fmac_f64_e32 v[104:105], v[100:101], v[212:213]
	v_add_f64 v[114:115], v[102:103], v[104:105]
	ds_read_b128 v[102:105], v254 offset:1344
	s_waitcnt vmcnt(10) lgkmcnt(0)
	v_mul_f64 v[116:117], v[102:103], v[236:237]
	s_waitcnt vmcnt(8)
	v_fmac_f64_e32 v[116:117], v[104:105], v[238:239]
	v_add_f64 v[114:115], v[114:115], v[116:117]
	v_mul_f64 v[116:117], v[106:107], v[216:217]
	v_fmac_f64_e32 v[116:117], v[108:109], v[220:221]
	v_add_f64 v[114:115], v[114:115], v[116:117]
	s_waitcnt vmcnt(2)
	v_mul_f64 v[116:117], v[110:111], v[240:241]
	s_waitcnt vmcnt(0)
	v_fmac_f64_e32 v[116:117], v[112:113], v[242:243]
	v_add_f64 v[184:185], v[114:115], v[116:117]
	ds_read_b128 v[114:117], v254 offset:1392
	buffer_load_dword v252, off, s[0:3], 0 offset:176
	buffer_load_dword v253, off, s[0:3], 0 offset:180
	s_waitcnt lgkmcnt(0)
	v_mul_f64 v[202:203], v[114:115], v[230:231]
	v_fmac_f64_e32 v[202:203], v[116:117], v[234:235]
	v_add_f64 v[244:245], v[184:185], v[202:203]
	v_add_f64 v[184:185], v[198:199], 0
	v_add_f64 v[250:251], v[184:185], v[200:201]
	v_add_f64 v[184:185], v[250:251], v[248:249]
	buffer_load_dword v248, off, s[0:3], 0 offset:184
	buffer_load_dword v249, off, s[0:3], 0 offset:188
	v_add_f64 v[184:185], v[184:185], v[246:247]
	v_add_f64 v[22:23], v[184:185], v[22:23]
	;; [unrolled: 1-line block ×8, first 2 shown]
	v_mul_f64 v[4:5], v[32:33], v[146:147]
	v_fma_f64 v[4:5], v[30:31], v[150:151], -v[4:5]
	v_add_f64 v[2:3], v[2:3], v[4:5]
	v_mul_f64 v[4:5], v[36:37], v[148:149]
	v_fma_f64 v[4:5], v[34:35], v[152:153], -v[4:5]
	v_add_f64 v[2:3], v[2:3], v[4:5]
	;; [unrolled: 3-line block ×22, first 2 shown]
	s_waitcnt vmcnt(2)
	v_add_f64 v[2:3], v[252:253], -v[2:3]
	s_waitcnt vmcnt(0)
	v_add_f64 v[4:5], v[248:249], -v[244:245]
	buffer_store_dword v3, off, s[0:3], 0 offset:180
	buffer_store_dword v2, off, s[0:3], 0 offset:176
	;; [unrolled: 1-line block ×4, first 2 shown]
	s_and_saveexec_b64 s[4:5], vcc
	s_cbranch_execz .LBB107_259
; %bb.258:
	v_accvgpr_read_b32 v0, a122
	buffer_load_dword v2, v0, s[0:3], 0 offen
	buffer_load_dword v3, v0, s[0:3], 0 offen offset:4
	buffer_load_dword v4, v0, s[0:3], 0 offen offset:8
	;; [unrolled: 1-line block ×3, first 2 shown]
	v_accvgpr_read_b32 v0, a132
	buffer_store_dword v254, off, s[0:3], 0 offset:160
	buffer_store_dword v254, off, s[0:3], 0 offset:164
	;; [unrolled: 1-line block ×4, first 2 shown]
	s_waitcnt vmcnt(4)
	ds_write_b128 v0, v[2:5]
.LBB107_259:
	s_or_b64 exec, exec, s[4:5]
	s_waitcnt lgkmcnt(0)
	; wave barrier
	s_waitcnt lgkmcnt(0)
	buffer_load_dword v86, off, s[0:3], 0 offset:176
	buffer_load_dword v87, off, s[0:3], 0 offset:180
	;; [unrolled: 1-line block ×42, first 2 shown]
	ds_read_b128 v[94:97], v254 offset:864
	ds_read_b128 v[106:109], v254 offset:880
	;; [unrolled: 1-line block ×10, first 2 shown]
	buffer_load_dword v145, off, s[0:3], 0 offset:324
	buffer_load_dword v144, off, s[0:3], 0 offset:320
	ds_read_b128 v[6:9], v254 offset:1024
	buffer_load_dword v141, off, s[0:3], 0 offset:380
	buffer_load_dword v140, off, s[0:3], 0 offset:376
	;; [unrolled: 1-line block ×80, first 2 shown]
	v_accvgpr_read_b32 v1, a131
	v_cmp_lt_u32_e32 vcc, 8, v1
	s_waitcnt vmcnt(62) lgkmcnt(10)
	v_mul_f64 v[26:27], v[94:95], v[88:89]
	v_fmac_f64_e32 v[26:27], v[96:97], v[86:87]
	v_add_f64 v[26:27], v[26:27], 0
	v_mul_f64 v[88:89], v[96:97], v[88:89]
	s_waitcnt lgkmcnt(9)
	v_mul_f64 v[28:29], v[106:107], v[92:93]
	v_fmac_f64_e32 v[28:29], v[108:109], v[90:91]
	s_waitcnt lgkmcnt(8)
	v_mul_f64 v[30:31], v[114:115], v[98:99]
	v_add_f64 v[26:27], v[26:27], v[28:29]
	s_waitcnt lgkmcnt(6)
	v_mul_f64 v[34:35], v[248:249], v[110:111]
	v_fma_f64 v[198:199], v[94:95], v[86:87], -v[88:89]
	v_fmac_f64_e32 v[34:35], v[250:251], v[112:113]
	v_mul_f64 v[92:93], v[108:109], v[92:93]
	v_mul_f64 v[32:33], v[244:245], v[102:103]
	v_mul_f64 v[98:99], v[116:117], v[98:99]
	s_waitcnt lgkmcnt(4)
	v_mul_f64 v[38:39], v[18:19], v[118:119]
	v_mul_f64 v[102:103], v[246:247], v[102:103]
	v_fmac_f64_e32 v[38:39], v[20:21], v[120:121]
	v_mul_f64 v[110:111], v[250:251], v[110:111]
	v_mul_f64 v[36:37], v[22:23], v[122:123]
	v_fma_f64 v[248:249], v[248:249], v[112:113], -v[110:111]
	s_waitcnt lgkmcnt(2)
	v_mul_f64 v[42:43], v[10:11], v[124:125]
	v_add_f64 v[198:199], v[198:199], 0
	v_mul_f64 v[20:21], v[20:21], v[118:119]
	v_mul_f64 v[40:41], v[14:15], v[130:131]
	v_fma_f64 v[18:19], v[18:19], v[120:121], -v[20:21]
	s_waitcnt lgkmcnt(1)
	v_mul_f64 v[44:45], v[2:3], v[128:129]
	v_fmac_f64_e32 v[30:31], v[116:117], v[100:101]
	v_add_f64 v[26:27], v[26:27], v[30:31]
	v_fmac_f64_e32 v[32:33], v[246:247], v[104:105]
	v_add_f64 v[26:27], v[26:27], v[32:33]
	;; [unrolled: 2-line block ×3, first 2 shown]
	v_add_f64 v[26:27], v[26:27], v[36:37]
	v_fmac_f64_e32 v[40:41], v[16:17], v[132:133]
	v_add_f64 v[26:27], v[26:27], v[38:39]
	v_fmac_f64_e32 v[42:43], v[12:13], v[126:127]
	v_add_f64 v[26:27], v[26:27], v[40:41]
	v_add_f64 v[26:27], v[26:27], v[42:43]
	s_waitcnt lgkmcnt(0)
	v_mul_f64 v[32:33], v[6:7], v[136:137]
	v_fmac_f64_e32 v[44:45], v[4:5], v[144:145]
	v_add_f64 v[30:31], v[26:27], v[44:45]
	ds_read_b128 v[26:29], v254 offset:1040
	v_fmac_f64_e32 v[32:33], v[8:9], v[138:139]
	v_add_f64 v[34:35], v[30:31], v[32:33]
	ds_read_b128 v[30:33], v254 offset:1056
	v_fma_f64 v[200:201], v[114:115], v[100:101], -v[98:99]
	s_waitcnt lgkmcnt(1)
	v_mul_f64 v[36:37], v[26:27], v[146:147]
	v_fmac_f64_e32 v[36:37], v[28:29], v[162:163]
	v_add_f64 v[38:39], v[34:35], v[36:37]
	ds_read_b128 v[34:37], v254 offset:1072
	s_waitcnt lgkmcnt(1)
	v_mul_f64 v[40:41], v[30:31], v[140:141]
	v_fmac_f64_e32 v[40:41], v[32:33], v[142:143]
	v_add_f64 v[42:43], v[38:39], v[40:41]
	ds_read_b128 v[38:41], v254 offset:1088
	;; [unrolled: 5-line block ×4, first 2 shown]
	s_waitcnt vmcnt(58) lgkmcnt(1)
	v_mul_f64 v[52:53], v[42:43], v[174:175]
	s_waitcnt vmcnt(56)
	v_fmac_f64_e32 v[52:53], v[44:45], v[178:179]
	v_add_f64 v[54:55], v[50:51], v[52:53]
	ds_read_b128 v[50:53], v254 offset:1136
	buffer_load_dword v232, off, s[0:3], 0 offset:696
	buffer_load_dword v237, off, s[0:3], 0 offset:684
	;; [unrolled: 1-line block ×8, first 2 shown]
	s_waitcnt lgkmcnt(1)
	v_mul_f64 v[56:57], v[46:47], v[152:153]
	v_fmac_f64_e32 v[56:57], v[48:49], v[154:155]
	v_add_f64 v[58:59], v[54:55], v[56:57]
	ds_read_b128 v[54:57], v254 offset:1152
	s_waitcnt vmcnt(58) lgkmcnt(1)
	v_mul_f64 v[60:61], v[50:51], v[182:183]
	s_waitcnt vmcnt(56)
	v_fmac_f64_e32 v[60:61], v[52:53], v[188:189]
	buffer_load_dword v241, off, s[0:3], 0 offset:716
	buffer_load_dword v240, off, s[0:3], 0 offset:712
	;; [unrolled: 1-line block ×4, first 2 shown]
	v_add_f64 v[62:63], v[58:59], v[60:61]
	ds_read_b128 v[58:61], v254 offset:1168
	s_waitcnt lgkmcnt(1)
	v_mul_f64 v[64:65], v[54:55], v[156:157]
	v_fmac_f64_e32 v[64:65], v[56:57], v[158:159]
	v_add_f64 v[66:67], v[62:63], v[64:65]
	ds_read_b128 v[62:65], v254 offset:1184
	s_waitcnt vmcnt(54) lgkmcnt(1)
	v_mul_f64 v[68:69], v[58:59], v[192:193]
	s_waitcnt vmcnt(52)
	v_fmac_f64_e32 v[68:69], v[60:61], v[196:197]
	v_add_f64 v[70:71], v[66:67], v[68:69]
	ds_read_b128 v[66:69], v254 offset:1200
	s_waitcnt lgkmcnt(1)
	v_mul_f64 v[72:73], v[62:63], v[160:161]
	v_fmac_f64_e32 v[72:73], v[64:65], v[164:165]
	v_add_f64 v[74:75], v[70:71], v[72:73]
	ds_read_b128 v[70:73], v254 offset:1216
	s_waitcnt vmcnt(46) lgkmcnt(1)
	v_mul_f64 v[76:77], v[66:67], v[208:209]
	s_waitcnt vmcnt(44)
	v_fmac_f64_e32 v[76:77], v[68:69], v[212:213]
	v_add_f64 v[82:83], v[74:75], v[76:77]
	ds_read_b128 v[74:77], v254 offset:1232
	ds_read_b128 v[78:81], v254 offset:1248
	s_waitcnt lgkmcnt(2)
	v_mul_f64 v[84:85], v[70:71], v[168:169]
	v_fmac_f64_e32 v[84:85], v[72:73], v[172:173]
	v_add_f64 v[82:83], v[82:83], v[84:85]
	s_waitcnt vmcnt(38) lgkmcnt(1)
	v_mul_f64 v[84:85], v[74:75], v[216:217]
	s_waitcnt vmcnt(36)
	v_fmac_f64_e32 v[84:85], v[76:77], v[218:219]
	v_add_f64 v[82:83], v[82:83], v[84:85]
	s_waitcnt lgkmcnt(0)
	v_mul_f64 v[84:85], v[78:79], v[176:177]
	v_fmac_f64_e32 v[84:85], v[80:81], v[180:181]
	v_add_f64 v[184:185], v[82:83], v[84:85]
	ds_read_b128 v[82:85], v254 offset:1264
	ds_read_b128 v[86:89], v254 offset:1280
	;; [unrolled: 1-line block ×3, first 2 shown]
	v_fma_f64 v[246:247], v[244:245], v[104:105], -v[102:103]
	ds_read_b128 v[102:105], v254 offset:1360
	ds_read_b128 v[110:113], v254 offset:1376
	s_waitcnt vmcnt(30) lgkmcnt(4)
	v_mul_f64 v[94:95], v[82:83], v[220:221]
	s_waitcnt vmcnt(28)
	v_fmac_f64_e32 v[94:95], v[84:85], v[222:223]
	v_add_f64 v[94:95], v[184:185], v[94:95]
	v_fma_f64 v[184:185], v[106:107], v[90:91], -v[92:93]
	ds_read_b128 v[90:93], v254 offset:1296
	s_waitcnt lgkmcnt(4)
	v_mul_f64 v[96:97], v[86:87], v[186:187]
	v_fmac_f64_e32 v[96:97], v[88:89], v[190:191]
	v_add_f64 v[106:107], v[94:95], v[96:97]
	ds_read_b128 v[94:97], v254 offset:1312
	s_waitcnt vmcnt(22) lgkmcnt(1)
	v_mul_f64 v[108:109], v[90:91], v[224:225]
	s_waitcnt vmcnt(20)
	v_fmac_f64_e32 v[108:109], v[92:93], v[226:227]
	v_add_f64 v[106:107], v[106:107], v[108:109]
	v_add_f64 v[184:185], v[198:199], v[184:185]
	s_waitcnt lgkmcnt(0)
	v_mul_f64 v[108:109], v[94:95], v[194:195]
	v_fmac_f64_e32 v[108:109], v[96:97], v[206:207]
	v_add_f64 v[114:115], v[106:107], v[108:109]
	ds_read_b128 v[106:109], v254 offset:1344
	s_waitcnt vmcnt(14)
	v_mul_f64 v[116:117], v[98:99], v[228:229]
	s_waitcnt vmcnt(12)
	v_fmac_f64_e32 v[116:117], v[100:101], v[230:231]
	v_add_f64 v[114:115], v[114:115], v[116:117]
	v_add_f64 v[250:251], v[184:185], v[200:201]
	s_waitcnt lgkmcnt(0)
	v_mul_f64 v[116:117], v[106:107], v[210:211]
	v_fmac_f64_e32 v[116:117], v[108:109], v[214:215]
	v_add_f64 v[114:115], v[114:115], v[116:117]
	v_add_f64 v[184:185], v[250:251], v[246:247]
	v_mul_f64 v[24:25], v[24:25], v[122:123]
	v_add_f64 v[184:185], v[184:185], v[248:249]
	v_fma_f64 v[22:23], v[22:23], v[134:135], -v[24:25]
	v_add_f64 v[22:23], v[184:185], v[22:23]
	v_mul_f64 v[16:17], v[16:17], v[130:131]
	v_add_f64 v[18:19], v[22:23], v[18:19]
	v_fma_f64 v[14:15], v[14:15], v[132:133], -v[16:17]
	v_mul_f64 v[12:13], v[12:13], v[124:125]
	s_waitcnt vmcnt(9)
	v_mul_f64 v[116:117], v[102:103], v[236:237]
	v_add_f64 v[14:15], v[18:19], v[14:15]
	s_waitcnt vmcnt(7)
	v_fmac_f64_e32 v[116:117], v[104:105], v[238:239]
	v_add_f64 v[114:115], v[114:115], v[116:117]
	s_waitcnt vmcnt(5)
	v_mul_f64 v[116:117], v[110:111], v[232:233]
	s_waitcnt vmcnt(4)
	v_fmac_f64_e32 v[116:117], v[112:113], v[234:235]
	v_add_f64 v[202:203], v[114:115], v[116:117]
	ds_read_b128 v[114:117], v254 offset:1392
	buffer_load_dword v254, off, s[0:3], 0 offset:160
	buffer_load_dword v255, off, s[0:3], 0 offset:164
	;; [unrolled: 1-line block ×4, first 2 shown]
	v_fma_f64 v[10:11], v[10:11], v[126:127], -v[12:13]
	v_mul_f64 v[4:5], v[4:5], v[128:129]
	v_add_f64 v[10:11], v[14:15], v[10:11]
	v_fma_f64 v[2:3], v[2:3], v[144:145], -v[4:5]
	v_mul_f64 v[4:5], v[8:9], v[136:137]
	v_add_f64 v[2:3], v[10:11], v[2:3]
	v_fma_f64 v[4:5], v[6:7], v[138:139], -v[4:5]
	v_add_f64 v[2:3], v[2:3], v[4:5]
	v_mul_f64 v[4:5], v[28:29], v[146:147]
	v_fma_f64 v[4:5], v[26:27], v[162:163], -v[4:5]
	v_add_f64 v[2:3], v[2:3], v[4:5]
	v_mul_f64 v[4:5], v[32:33], v[140:141]
	;; [unrolled: 3-line block ×22, first 2 shown]
	v_fma_f64 v[4:5], v[110:111], v[234:235], -v[4:5]
	v_add_f64 v[2:3], v[2:3], v[4:5]
	s_waitcnt vmcnt(6) lgkmcnt(0)
	v_mul_f64 v[4:5], v[116:117], v[240:241]
	v_mul_f64 v[204:205], v[114:115], v[240:241]
	s_waitcnt vmcnt(4)
	v_fma_f64 v[4:5], v[114:115], v[242:243], -v[4:5]
	v_fmac_f64_e32 v[204:205], v[116:117], v[242:243]
	v_add_f64 v[2:3], v[2:3], v[4:5]
	v_add_f64 v[244:245], v[202:203], v[204:205]
	s_waitcnt vmcnt(2)
	v_add_f64 v[2:3], v[254:255], -v[2:3]
	s_waitcnt vmcnt(0)
	v_add_f64 v[4:5], v[252:253], -v[244:245]
	buffer_store_dword v3, off, s[0:3], 0 offset:164
	buffer_store_dword v2, off, s[0:3], 0 offset:160
	;; [unrolled: 1-line block ×4, first 2 shown]
	s_and_saveexec_b64 s[4:5], vcc
	s_cbranch_execz .LBB107_261
; %bb.260:
	v_accvgpr_read_b32 v0, a123
	buffer_load_dword v2, v0, s[0:3], 0 offen
	buffer_load_dword v3, v0, s[0:3], 0 offen offset:4
	buffer_load_dword v4, v0, s[0:3], 0 offen offset:8
	;; [unrolled: 1-line block ×3, first 2 shown]
	v_mov_b32_e32 v0, 0
	v_accvgpr_read_b32 v6, a132
	buffer_store_dword v0, off, s[0:3], 0 offset:144
	buffer_store_dword v0, off, s[0:3], 0 offset:148
	;; [unrolled: 1-line block ×4, first 2 shown]
	s_waitcnt vmcnt(4)
	ds_write_b128 v6, v[2:5]
.LBB107_261:
	s_or_b64 exec, exec, s[4:5]
	s_waitcnt lgkmcnt(0)
	; wave barrier
	s_waitcnt lgkmcnt(0)
	buffer_load_dword v82, off, s[0:3], 0 offset:160
	buffer_load_dword v83, off, s[0:3], 0 offset:164
	buffer_load_dword v84, off, s[0:3], 0 offset:168
	buffer_load_dword v85, off, s[0:3], 0 offset:172
	buffer_load_dword v86, off, s[0:3], 0 offset:176
	buffer_load_dword v87, off, s[0:3], 0 offset:180
	buffer_load_dword v88, off, s[0:3], 0 offset:184
	buffer_load_dword v89, off, s[0:3], 0 offset:188
	buffer_load_dword v94, off, s[0:3], 0 offset:200
	buffer_load_dword v95, off, s[0:3], 0 offset:204
	buffer_load_dword v103, off, s[0:3], 0 offset:236
	buffer_load_dword v102, off, s[0:3], 0 offset:232
	buffer_load_dword v105, off, s[0:3], 0 offset:228
	buffer_load_dword v104, off, s[0:3], 0 offset:224
	buffer_load_dword v99, off, s[0:3], 0 offset:220
	buffer_load_dword v98, off, s[0:3], 0 offset:216
	buffer_load_dword v119, off, s[0:3], 0 offset:268
	buffer_load_dword v118, off, s[0:3], 0 offset:264
	buffer_load_dword v121, off, s[0:3], 0 offset:260
	buffer_load_dword v120, off, s[0:3], 0 offset:256
	buffer_load_dword v111, off, s[0:3], 0 offset:252
	buffer_load_dword v110, off, s[0:3], 0 offset:248
	buffer_load_dword v123, off, s[0:3], 0 offset:284
	buffer_load_dword v122, off, s[0:3], 0 offset:280
	buffer_load_dword v96, off, s[0:3], 0 offset:192
	buffer_load_dword v97, off, s[0:3], 0 offset:196
	buffer_load_dword v101, off, s[0:3], 0 offset:212
	buffer_load_dword v100, off, s[0:3], 0 offset:208
	buffer_load_dword v113, off, s[0:3], 0 offset:244
	buffer_load_dword v112, off, s[0:3], 0 offset:240
	buffer_load_dword v127, off, s[0:3], 0 offset:276
	buffer_load_dword v126, off, s[0:3], 0 offset:272
	buffer_load_dword v124, off, s[0:3], 0 offset:296
	buffer_load_dword v128, off, s[0:3], 0 offset:288
	buffer_load_dword v129, off, s[0:3], 0 offset:292
	buffer_load_dword v125, off, s[0:3], 0 offset:300
	buffer_load_dword v131, off, s[0:3], 0 offset:332
	buffer_load_dword v130, off, s[0:3], 0 offset:328
	buffer_load_dword v133, off, s[0:3], 0 offset:324
	buffer_load_dword v132, off, s[0:3], 0 offset:320
	buffer_load_dword v135, off, s[0:3], 0 offset:316
	buffer_load_dword v134, off, s[0:3], 0 offset:312
	buffer_load_dword v137, off, s[0:3], 0 offset:308
	buffer_load_dword v136, off, s[0:3], 0 offset:304
	buffer_load_dword v139, off, s[0:3], 0 offset:364
	buffer_load_dword v138, off, s[0:3], 0 offset:360
	buffer_load_dword v141, off, s[0:3], 0 offset:356
	buffer_load_dword v140, off, s[0:3], 0 offset:352
	buffer_load_dword v145, off, s[0:3], 0 offset:348
	buffer_load_dword v144, off, s[0:3], 0 offset:344
	buffer_load_dword v147, off, s[0:3], 0 offset:340
	buffer_load_dword v146, off, s[0:3], 0 offset:336
	buffer_load_dword v143, off, s[0:3], 0 offset:396
	buffer_load_dword v142, off, s[0:3], 0 offset:392
	v_mov_b32_e32 v254, 0
	ds_read_b128 v[90:93], v254 offset:848
	ds_read_b128 v[106:109], v254 offset:864
	;; [unrolled: 1-line block ×9, first 2 shown]
	buffer_load_dword v149, off, s[0:3], 0 offset:388
	buffer_load_dword v148, off, s[0:3], 0 offset:384
	;; [unrolled: 1-line block ×62, first 2 shown]
	v_cmp_lt_u32_e32 vcc, 7, v1
	s_waitcnt vmcnt(62) lgkmcnt(8)
	v_mul_f64 v[14:15], v[90:91], v[84:85]
	v_fmac_f64_e32 v[14:15], v[92:93], v[82:83]
	v_add_f64 v[14:15], v[14:15], 0
	v_mul_f64 v[84:85], v[92:93], v[84:85]
	s_waitcnt lgkmcnt(7)
	v_mul_f64 v[16:17], v[106:107], v[88:89]
	v_fmac_f64_e32 v[16:17], v[108:109], v[86:87]
	s_waitcnt lgkmcnt(6)
	v_mul_f64 v[18:19], v[114:115], v[94:95]
	v_add_f64 v[14:15], v[14:15], v[16:17]
	s_waitcnt lgkmcnt(4)
	v_mul_f64 v[22:23], v[246:247], v[102:103]
	v_fma_f64 v[198:199], v[90:91], v[82:83], -v[84:85]
	v_fmac_f64_e32 v[22:23], v[248:249], v[104:105]
	v_mul_f64 v[88:89], v[108:109], v[88:89]
	v_mul_f64 v[20:21], v[242:243], v[98:99]
	v_fma_f64 v[200:201], v[106:107], v[86:87], -v[88:89]
	s_waitcnt lgkmcnt(2)
	v_mul_f64 v[26:27], v[10:11], v[118:119]
	v_mul_f64 v[94:95], v[116:117], v[94:95]
	v_fmac_f64_e32 v[26:27], v[12:13], v[120:121]
	v_mul_f64 v[98:99], v[244:245], v[98:99]
	v_mul_f64 v[24:25], v[250:251], v[110:111]
	;; [unrolled: 1-line block ×3, first 2 shown]
	s_waitcnt lgkmcnt(1)
	v_mul_f64 v[28:29], v[6:7], v[122:123]
	v_mul_f64 v[110:111], v[252:253], v[110:111]
	v_fmac_f64_e32 v[18:19], v[116:117], v[96:97]
	v_add_f64 v[14:15], v[14:15], v[18:19]
	v_fmac_f64_e32 v[20:21], v[244:245], v[100:101]
	v_add_f64 v[14:15], v[14:15], v[20:21]
	;; [unrolled: 2-line block ×3, first 2 shown]
	v_add_f64 v[14:15], v[14:15], v[24:25]
	v_fmac_f64_e32 v[28:29], v[8:9], v[126:127]
	v_add_f64 v[14:15], v[14:15], v[26:27]
	v_add_f64 v[18:19], v[14:15], v[28:29]
	ds_read_b128 v[14:17], v254 offset:992
	s_waitcnt lgkmcnt(1)
	v_mul_f64 v[20:21], v[2:3], v[124:125]
	v_fmac_f64_e32 v[20:21], v[4:5], v[128:129]
	v_add_f64 v[22:23], v[18:19], v[20:21]
	ds_read_b128 v[18:21], v254 offset:1008
	s_waitcnt lgkmcnt(1)
	v_mul_f64 v[24:25], v[14:15], v[134:135]
	v_fmac_f64_e32 v[24:25], v[16:17], v[136:137]
	;; [unrolled: 5-line block ×5, first 2 shown]
	v_add_f64 v[38:39], v[34:35], v[36:37]
	ds_read_b128 v[34:37], v254 offset:1072
	s_waitcnt vmcnt(58) lgkmcnt(1)
	v_mul_f64 v[40:41], v[30:31], v[162:163]
	s_waitcnt vmcnt(56)
	v_fmac_f64_e32 v[40:41], v[32:33], v[166:167]
	v_add_f64 v[42:43], v[38:39], v[40:41]
	ds_read_b128 v[38:41], v254 offset:1088
	s_waitcnt lgkmcnt(1)
	v_mul_f64 v[44:45], v[34:35], v[142:143]
	v_fmac_f64_e32 v[44:45], v[36:37], v[148:149]
	v_add_f64 v[46:47], v[42:43], v[44:45]
	ds_read_b128 v[42:45], v254 offset:1104
	s_waitcnt vmcnt(50) lgkmcnt(1)
	v_mul_f64 v[48:49], v[38:39], v[170:171]
	s_waitcnt vmcnt(48)
	v_fmac_f64_e32 v[48:49], v[40:41], v[174:175]
	v_add_f64 v[50:51], v[46:47], v[48:49]
	ds_read_b128 v[46:49], v254 offset:1120
	buffer_load_dword v221, off, s[0:3], 0 offset:636
	buffer_load_dword v220, off, s[0:3], 0 offset:632
	;; [unrolled: 1-line block ×8, first 2 shown]
	s_waitcnt lgkmcnt(1)
	v_mul_f64 v[52:53], v[42:43], v[150:151]
	v_fmac_f64_e32 v[52:53], v[44:45], v[152:153]
	v_add_f64 v[54:55], v[50:51], v[52:53]
	ds_read_b128 v[50:53], v254 offset:1136
	s_waitcnt vmcnt(50) lgkmcnt(1)
	v_mul_f64 v[56:57], v[46:47], v[178:179]
	s_waitcnt vmcnt(48)
	v_fmac_f64_e32 v[56:57], v[48:49], v[182:183]
	buffer_load_dword v225, off, s[0:3], 0 offset:684
	buffer_load_dword v231, off, s[0:3], 0 offset:668
	;; [unrolled: 1-line block ×12, first 2 shown]
	v_add_f64 v[58:59], v[54:55], v[56:57]
	ds_read_b128 v[54:57], v254 offset:1152
	s_waitcnt lgkmcnt(1)
	v_mul_f64 v[60:61], v[50:51], v[154:155]
	v_fmac_f64_e32 v[60:61], v[52:53], v[156:157]
	v_add_f64 v[62:63], v[58:59], v[60:61]
	ds_read_b128 v[58:61], v254 offset:1168
	s_waitcnt vmcnt(54) lgkmcnt(1)
	v_mul_f64 v[64:65], v[54:55], v[188:189]
	s_waitcnt vmcnt(52)
	v_fmac_f64_e32 v[64:65], v[56:57], v[192:193]
	v_add_f64 v[66:67], v[62:63], v[64:65]
	ds_read_b128 v[62:65], v254 offset:1184
	s_waitcnt lgkmcnt(1)
	v_mul_f64 v[68:69], v[58:59], v[158:159]
	v_fmac_f64_e32 v[68:69], v[60:61], v[160:161]
	v_add_f64 v[70:71], v[66:67], v[68:69]
	ds_read_b128 v[66:69], v254 offset:1200
	s_waitcnt vmcnt(46) lgkmcnt(1)
	v_mul_f64 v[72:73], v[62:63], v[196:197]
	s_waitcnt vmcnt(44)
	v_fmac_f64_e32 v[72:73], v[64:65], v[206:207]
	v_add_f64 v[78:79], v[70:71], v[72:73]
	ds_read_b128 v[70:73], v254 offset:1216
	ds_read_b128 v[74:77], v254 offset:1232
	s_waitcnt lgkmcnt(2)
	v_mul_f64 v[80:81], v[66:67], v[164:165]
	v_fmac_f64_e32 v[80:81], v[68:69], v[168:169]
	v_add_f64 v[78:79], v[78:79], v[80:81]
	s_waitcnt vmcnt(38) lgkmcnt(1)
	v_mul_f64 v[80:81], v[70:71], v[208:209]
	s_waitcnt vmcnt(36)
	v_fmac_f64_e32 v[80:81], v[72:73], v[210:211]
	v_add_f64 v[78:79], v[78:79], v[80:81]
	s_waitcnt lgkmcnt(0)
	v_mul_f64 v[80:81], v[74:75], v[172:173]
	v_fmac_f64_e32 v[80:81], v[76:77], v[176:177]
	v_add_f64 v[184:185], v[78:79], v[80:81]
	ds_read_b128 v[78:81], v254 offset:1248
	ds_read_b128 v[82:85], v254 offset:1264
	;; [unrolled: 1-line block ×3, first 2 shown]
	v_fma_f64 v[202:203], v[242:243], v[100:101], -v[98:99]
	ds_read_b128 v[98:101], v254 offset:1328
	s_waitcnt vmcnt(30) lgkmcnt(3)
	v_mul_f64 v[90:91], v[78:79], v[212:213]
	s_waitcnt vmcnt(28)
	v_fmac_f64_e32 v[90:91], v[80:81], v[214:215]
	s_waitcnt lgkmcnt(2)
	v_mul_f64 v[92:93], v[82:83], v[180:181]
	v_add_f64 v[90:91], v[184:185], v[90:91]
	v_fmac_f64_e32 v[92:93], v[84:85], v[186:187]
	v_add_f64 v[90:91], v[90:91], v[92:93]
	v_fma_f64 v[184:185], v[114:115], v[96:97], -v[94:95]
	ds_read_b128 v[94:97], v254 offset:1312
	s_waitcnt vmcnt(22) lgkmcnt(2)
	v_mul_f64 v[92:93], v[86:87], v[216:217]
	s_waitcnt vmcnt(20)
	v_fmac_f64_e32 v[92:93], v[88:89], v[218:219]
	v_add_f64 v[106:107], v[90:91], v[92:93]
	ds_read_b128 v[90:93], v254 offset:1296
	buffer_load_dword v240, off, s[0:3], 0 offset:712
	v_fma_f64 v[204:205], v[246:247], v[104:105], -v[102:103]
	ds_read_b128 v[102:105], v254 offset:1344
	v_fma_f64 v[250:251], v[250:251], v[112:113], -v[110:111]
	s_waitcnt lgkmcnt(1)
	v_mul_f64 v[108:109], v[90:91], v[190:191]
	v_fmac_f64_e32 v[108:109], v[92:93], v[194:195]
	v_add_f64 v[106:107], v[106:107], v[108:109]
	ds_read_b128 v[110:113], v254 offset:1376
	v_add_f64 v[198:199], v[198:199], 0
	v_add_f64 v[198:199], v[198:199], v[200:201]
	;; [unrolled: 1-line block ×5, first 2 shown]
	v_mul_f64 v[12:13], v[12:13], v[118:119]
	v_add_f64 v[184:185], v[252:253], v[250:251]
	v_fma_f64 v[10:11], v[10:11], v[120:121], -v[12:13]
	v_mul_f64 v[8:9], v[8:9], v[122:123]
	v_add_f64 v[10:11], v[184:185], v[10:11]
	v_fma_f64 v[6:7], v[6:7], v[126:127], -v[8:9]
	;; [unrolled: 3-line block ×3, first 2 shown]
	v_mul_f64 v[4:5], v[16:17], v[134:135]
	v_add_f64 v[2:3], v[6:7], v[2:3]
	s_waitcnt vmcnt(19)
	v_mul_f64 v[108:109], v[94:95], v[220:221]
	v_fma_f64 v[4:5], v[14:15], v[136:137], -v[4:5]
	s_waitcnt vmcnt(17)
	v_fmac_f64_e32 v[108:109], v[96:97], v[222:223]
	v_add_f64 v[106:107], v[106:107], v[108:109]
	s_waitcnt vmcnt(15)
	v_mul_f64 v[108:109], v[98:99], v[226:227]
	s_waitcnt vmcnt(13)
	v_fmac_f64_e32 v[108:109], v[100:101], v[228:229]
	v_add_f64 v[114:115], v[106:107], v[108:109]
	ds_read_b128 v[106:109], v254 offset:1360
	buffer_load_dword v244, off, s[0:3], 0 offset:704
	buffer_load_dword v241, off, s[0:3], 0 offset:716
	;; [unrolled: 1-line block ×3, first 2 shown]
	s_waitcnt vmcnt(13) lgkmcnt(2)
	v_mul_f64 v[116:117], v[102:103], v[230:231]
	s_waitcnt vmcnt(11)
	v_fmac_f64_e32 v[116:117], v[104:105], v[236:237]
	v_add_f64 v[114:115], v[114:115], v[116:117]
	s_waitcnt vmcnt(10) lgkmcnt(0)
	v_mul_f64 v[116:117], v[106:107], v[224:225]
	s_waitcnt vmcnt(8)
	v_fmac_f64_e32 v[116:117], v[108:109], v[234:235]
	v_add_f64 v[114:115], v[114:115], v[116:117]
	s_waitcnt vmcnt(6)
	v_mul_f64 v[116:117], v[110:111], v[232:233]
	s_waitcnt vmcnt(4)
	v_fmac_f64_e32 v[116:117], v[112:113], v[238:239]
	v_add_f64 v[242:243], v[114:115], v[116:117]
	ds_read_b128 v[114:117], v254 offset:1392
	buffer_load_dword v248, off, s[0:3], 0 offset:144
	buffer_load_dword v249, off, s[0:3], 0 offset:148
	v_add_f64 v[2:3], v[2:3], v[4:5]
	v_mul_f64 v[4:5], v[20:21], v[130:131]
	v_fma_f64 v[4:5], v[18:19], v[132:133], -v[4:5]
	v_add_f64 v[2:3], v[2:3], v[4:5]
	v_mul_f64 v[4:5], v[24:25], v[144:145]
	v_fma_f64 v[4:5], v[22:23], v[146:147], -v[4:5]
	;; [unrolled: 3-line block ×22, first 2 shown]
	v_add_f64 v[2:3], v[2:3], v[4:5]
	s_waitcnt vmcnt(3) lgkmcnt(0)
	v_mul_f64 v[246:247], v[114:115], v[240:241]
	s_waitcnt vmcnt(2)
	v_fmac_f64_e32 v[246:247], v[116:117], v[244:245]
	v_add_f64 v[242:243], v[242:243], v[246:247]
	buffer_load_dword v246, off, s[0:3], 0 offset:152
	buffer_load_dword v247, off, s[0:3], 0 offset:156
	v_mul_f64 v[4:5], v[108:109], v[224:225]
	v_fma_f64 v[4:5], v[106:107], v[234:235], -v[4:5]
	v_add_f64 v[2:3], v[2:3], v[4:5]
	v_mul_f64 v[4:5], v[112:113], v[232:233]
	v_fma_f64 v[4:5], v[110:111], v[238:239], -v[4:5]
	v_add_f64 v[2:3], v[2:3], v[4:5]
	;; [unrolled: 3-line block ×3, first 2 shown]
	s_waitcnt vmcnt(2)
	v_add_f64 v[2:3], v[248:249], -v[2:3]
	s_waitcnt vmcnt(0)
	v_add_f64 v[4:5], v[246:247], -v[242:243]
	buffer_store_dword v3, off, s[0:3], 0 offset:148
	buffer_store_dword v2, off, s[0:3], 0 offset:144
	;; [unrolled: 1-line block ×4, first 2 shown]
	s_and_saveexec_b64 s[4:5], vcc
	s_cbranch_execz .LBB107_263
; %bb.262:
	v_accvgpr_read_b32 v0, a124
	buffer_load_dword v2, v0, s[0:3], 0 offen
	buffer_load_dword v3, v0, s[0:3], 0 offen offset:4
	buffer_load_dword v4, v0, s[0:3], 0 offen offset:8
	;; [unrolled: 1-line block ×3, first 2 shown]
	v_accvgpr_read_b32 v0, a132
	buffer_store_dword v254, off, s[0:3], 0 offset:128
	buffer_store_dword v254, off, s[0:3], 0 offset:132
	;; [unrolled: 1-line block ×4, first 2 shown]
	s_waitcnt vmcnt(4)
	ds_write_b128 v0, v[2:5]
.LBB107_263:
	s_or_b64 exec, exec, s[4:5]
	s_waitcnt lgkmcnt(0)
	; wave barrier
	s_waitcnt lgkmcnt(0)
	buffer_load_dword v84, off, s[0:3], 0 offset:144
	buffer_load_dword v85, off, s[0:3], 0 offset:148
	;; [unrolled: 1-line block ×34, first 2 shown]
	ds_read_b128 v[74:77], v254 offset:832
	ds_read_b128 v[78:81], v254 offset:848
	;; [unrolled: 1-line block ×8, first 2 shown]
	buffer_load_dword v125, off, s[0:3], 0 offset:260
	buffer_load_dword v124, off, s[0:3], 0 offset:256
	ds_read_b128 v[6:9], v254 offset:960
	buffer_load_dword v127, off, s[0:3], 0 offset:316
	buffer_load_dword v126, off, s[0:3], 0 offset:312
	;; [unrolled: 1-line block ×80, first 2 shown]
	v_accvgpr_read_b32 v1, a131
	v_cmp_lt_u32_e32 vcc, 6, v1
	s_waitcnt vmcnt(62) lgkmcnt(8)
	v_mul_f64 v[10:11], v[74:75], v[106:107]
	v_fmac_f64_e32 v[10:11], v[76:77], v[84:85]
	v_add_f64 v[10:11], v[10:11], 0
	v_mul_f64 v[76:77], v[76:77], v[106:107]
	s_waitcnt lgkmcnt(7)
	v_mul_f64 v[12:13], v[78:79], v[96:97]
	v_fmac_f64_e32 v[12:13], v[80:81], v[82:83]
	s_waitcnt lgkmcnt(6)
	v_mul_f64 v[14:15], v[86:87], v[94:95]
	v_add_f64 v[10:11], v[10:11], v[12:13]
	s_waitcnt lgkmcnt(4)
	v_mul_f64 v[18:19], v[98:99], v[108:109]
	v_fma_f64 v[198:199], v[74:75], v[84:85], -v[76:77]
	v_fmac_f64_e32 v[18:19], v[100:101], v[114:115]
	v_mul_f64 v[80:81], v[80:81], v[96:97]
	v_mul_f64 v[16:17], v[90:91], v[116:117]
	v_fma_f64 v[200:201], v[78:79], v[82:83], -v[80:81]
	s_waitcnt lgkmcnt(2)
	v_mul_f64 v[22:23], v[110:111], v[240:241]
	v_mul_f64 v[100:101], v[100:101], v[108:109]
	v_fma_f64 v[204:205], v[98:99], v[114:115], -v[100:101]
	v_mul_f64 v[20:21], v[102:103], v[244:245]
	v_add_f64 v[198:199], v[198:199], 0
	s_waitcnt lgkmcnt(1)
	v_mul_f64 v[24:25], v[2:3], v[118:119]
	v_add_f64 v[198:199], v[198:199], v[200:201]
	v_fmac_f64_e32 v[14:15], v[88:89], v[250:251]
	v_add_f64 v[10:11], v[10:11], v[14:15]
	v_fmac_f64_e32 v[16:17], v[92:93], v[248:249]
	;; [unrolled: 2-line block ×4, first 2 shown]
	v_add_f64 v[10:11], v[10:11], v[20:21]
	v_add_f64 v[10:11], v[10:11], v[22:23]
	s_waitcnt lgkmcnt(0)
	v_mul_f64 v[16:17], v[6:7], v[120:121]
	v_fmac_f64_e32 v[16:17], v[8:9], v[122:123]
	v_fmac_f64_e32 v[24:25], v[4:5], v[124:125]
	v_add_f64 v[14:15], v[10:11], v[24:25]
	ds_read_b128 v[10:13], v254 offset:976
	v_add_f64 v[18:19], v[14:15], v[16:17]
	ds_read_b128 v[14:17], v254 offset:992
	v_mul_f64 v[88:89], v[88:89], v[94:95]
	v_mul_f64 v[92:93], v[92:93], v[116:117]
	s_waitcnt lgkmcnt(1)
	v_mul_f64 v[20:21], v[10:11], v[130:131]
	v_fmac_f64_e32 v[20:21], v[12:13], v[132:133]
	s_waitcnt lgkmcnt(0)
	v_mul_f64 v[24:25], v[14:15], v[126:127]
	v_add_f64 v[22:23], v[18:19], v[20:21]
	ds_read_b128 v[18:21], v254 offset:1008
	v_fmac_f64_e32 v[24:25], v[16:17], v[128:129]
	v_add_f64 v[26:27], v[22:23], v[24:25]
	ds_read_b128 v[22:25], v254 offset:1024
	v_fma_f64 v[202:203], v[90:91], v[248:249], -v[92:93]
	s_waitcnt lgkmcnt(1)
	v_mul_f64 v[28:29], v[18:19], v[142:143]
	v_fmac_f64_e32 v[28:29], v[20:21], v[144:145]
	v_add_f64 v[30:31], v[26:27], v[28:29]
	s_waitcnt lgkmcnt(0)
	v_mul_f64 v[32:33], v[22:23], v[134:135]
	ds_read_b128 v[26:29], v254 offset:1040
	v_fmac_f64_e32 v[32:33], v[24:25], v[136:137]
	v_add_f64 v[34:35], v[30:31], v[32:33]
	ds_read_b128 v[30:33], v254 offset:1056
	v_mul_f64 v[104:105], v[104:105], v[244:245]
	s_waitcnt vmcnt(58) lgkmcnt(1)
	v_mul_f64 v[36:37], v[26:27], v[158:159]
	s_waitcnt vmcnt(56)
	v_fmac_f64_e32 v[36:37], v[28:29], v[162:163]
	v_add_f64 v[38:39], v[34:35], v[36:37]
	s_waitcnt lgkmcnt(0)
	v_mul_f64 v[40:41], v[30:31], v[138:139]
	ds_read_b128 v[34:37], v254 offset:1072
	v_fmac_f64_e32 v[40:41], v[32:33], v[140:141]
	v_add_f64 v[42:43], v[38:39], v[40:41]
	ds_read_b128 v[38:41], v254 offset:1088
	v_mul_f64 v[112:113], v[112:113], v[240:241]
	s_waitcnt vmcnt(50) lgkmcnt(1)
	v_mul_f64 v[44:45], v[34:35], v[166:167]
	s_waitcnt vmcnt(48)
	v_fmac_f64_e32 v[44:45], v[36:37], v[170:171]
	v_add_f64 v[46:47], v[42:43], v[44:45]
	s_waitcnt lgkmcnt(0)
	v_mul_f64 v[48:49], v[38:39], v[146:147]
	v_fmac_f64_e32 v[48:49], v[40:41], v[148:149]
	ds_read_b128 v[42:45], v254 offset:1104
	v_add_f64 v[50:51], v[46:47], v[48:49]
	ds_read_b128 v[46:49], v254 offset:1120
	buffer_load_dword v217, off, s[0:3], 0 offset:636
	buffer_load_dword v219, off, s[0:3], 0 offset:620
	buffer_load_dword v218, off, s[0:3], 0 offset:616
	buffer_load_dword v225, off, s[0:3], 0 offset:612
	buffer_load_dword v224, off, s[0:3], 0 offset:608
	buffer_load_dword v216, off, s[0:3], 0 offset:632
	buffer_load_dword v223, off, s[0:3], 0 offset:628
	buffer_load_dword v222, off, s[0:3], 0 offset:624
	buffer_load_dword v221, off, s[0:3], 0 offset:652
	buffer_load_dword v220, off, s[0:3], 0 offset:648
	buffer_load_dword v227, off, s[0:3], 0 offset:644
	buffer_load_dword v226, off, s[0:3], 0 offset:640
	v_fma_f64 v[252:253], v[110:111], v[242:243], -v[112:113]
	s_waitcnt vmcnt(54) lgkmcnt(1)
	v_mul_f64 v[52:53], v[42:43], v[174:175]
	s_waitcnt vmcnt(52)
	v_fmac_f64_e32 v[52:53], v[44:45], v[178:179]
	v_add_f64 v[54:55], v[50:51], v[52:53]
	ds_read_b128 v[50:53], v254 offset:1136
	s_waitcnt lgkmcnt(1)
	v_mul_f64 v[56:57], v[46:47], v[150:151]
	v_fmac_f64_e32 v[56:57], v[48:49], v[152:153]
	buffer_load_dword v231, off, s[0:3], 0 offset:668
	buffer_load_dword v230, off, s[0:3], 0 offset:664
	;; [unrolled: 1-line block ×12, first 2 shown]
	v_add_f64 v[58:59], v[54:55], v[56:57]
	ds_read_b128 v[54:57], v254 offset:1152
	s_waitcnt vmcnt(58) lgkmcnt(1)
	v_mul_f64 v[60:61], v[50:51], v[182:183]
	s_waitcnt vmcnt(56)
	v_fmac_f64_e32 v[60:61], v[52:53], v[188:189]
	v_add_f64 v[62:63], v[58:59], v[60:61]
	ds_read_b128 v[58:61], v254 offset:1168
	s_waitcnt lgkmcnt(1)
	v_mul_f64 v[64:65], v[54:55], v[154:155]
	v_fmac_f64_e32 v[64:65], v[56:57], v[156:157]
	v_add_f64 v[70:71], v[62:63], v[64:65]
	ds_read_b128 v[62:65], v254 offset:1184
	ds_read_b128 v[66:69], v254 offset:1200
	s_waitcnt vmcnt(50) lgkmcnt(2)
	v_mul_f64 v[72:73], v[58:59], v[192:193]
	s_waitcnt vmcnt(48)
	v_fmac_f64_e32 v[72:73], v[60:61], v[194:195]
	v_add_f64 v[70:71], v[70:71], v[72:73]
	s_waitcnt lgkmcnt(1)
	v_mul_f64 v[72:73], v[62:63], v[160:161]
	v_fmac_f64_e32 v[72:73], v[64:65], v[164:165]
	v_add_f64 v[70:71], v[70:71], v[72:73]
	s_waitcnt vmcnt(42) lgkmcnt(0)
	v_mul_f64 v[72:73], v[66:67], v[196:197]
	s_waitcnt vmcnt(40)
	v_fmac_f64_e32 v[72:73], v[68:69], v[206:207]
	v_add_f64 v[184:185], v[70:71], v[72:73]
	ds_read_b128 v[70:73], v254 offset:1216
	ds_read_b128 v[74:77], v254 offset:1232
	;; [unrolled: 1-line block ×5, first 2 shown]
	s_waitcnt lgkmcnt(4)
	v_mul_f64 v[84:85], v[70:71], v[168:169]
	v_fmac_f64_e32 v[84:85], v[72:73], v[172:173]
	v_add_f64 v[82:83], v[184:185], v[84:85]
	s_waitcnt vmcnt(34) lgkmcnt(3)
	v_mul_f64 v[84:85], v[74:75], v[208:209]
	s_waitcnt vmcnt(32)
	v_fmac_f64_e32 v[84:85], v[76:77], v[210:211]
	v_add_f64 v[82:83], v[82:83], v[84:85]
	v_fma_f64 v[184:185], v[86:87], v[250:251], -v[88:89]
	ds_read_b128 v[86:89], v254 offset:1280
	s_waitcnt lgkmcnt(3)
	v_mul_f64 v[84:85], v[78:79], v[176:177]
	v_fmac_f64_e32 v[84:85], v[80:81], v[180:181]
	v_add_f64 v[96:97], v[82:83], v[84:85]
	ds_read_b128 v[82:85], v254 offset:1264
	v_fma_f64 v[250:251], v[102:103], v[246:247], -v[104:105]
	ds_read_b128 v[110:113], v254 offset:1376
	v_add_f64 v[184:185], v[198:199], v[184:185]
	v_add_f64 v[184:185], v[184:185], v[202:203]
	s_waitcnt vmcnt(26) lgkmcnt(1)
	v_mul_f64 v[94:95], v[82:83], v[212:213]
	s_waitcnt vmcnt(24)
	v_fmac_f64_e32 v[94:95], v[84:85], v[214:215]
	v_add_f64 v[94:95], v[96:97], v[94:95]
	v_mul_f64 v[96:97], v[86:87], v[186:187]
	v_fmac_f64_e32 v[96:97], v[88:89], v[190:191]
	v_add_f64 v[106:107], v[94:95], v[96:97]
	ds_read_b128 v[94:97], v254 offset:1312
	v_mul_f64 v[4:5], v[4:5], v[118:119]
	v_fma_f64 v[2:3], v[2:3], v[124:125], -v[4:5]
	v_mul_f64 v[4:5], v[8:9], v[120:121]
	v_fma_f64 v[4:5], v[6:7], v[122:123], -v[4:5]
	ds_read_b128 v[102:105], v254 offset:1360
	s_waitcnt vmcnt(21)
	v_mul_f64 v[108:109], v[90:91], v[218:219]
	s_waitcnt vmcnt(19)
	v_fmac_f64_e32 v[108:109], v[92:93], v[224:225]
	v_add_f64 v[106:107], v[106:107], v[108:109]
	s_waitcnt vmcnt(18) lgkmcnt(1)
	v_mul_f64 v[108:109], v[94:95], v[216:217]
	s_waitcnt vmcnt(16)
	v_fmac_f64_e32 v[108:109], v[96:97], v[222:223]
	v_add_f64 v[114:115], v[106:107], v[108:109]
	ds_read_b128 v[106:109], v254 offset:1344
	buffer_load_dword v243, off, s[0:3], 0 offset:716
	buffer_load_dword v242, off, s[0:3], 0 offset:712
	;; [unrolled: 1-line block ×4, first 2 shown]
	s_waitcnt vmcnt(18)
	v_mul_f64 v[116:117], v[98:99], v[220:221]
	s_waitcnt vmcnt(16)
	v_fmac_f64_e32 v[116:117], v[100:101], v[226:227]
	v_add_f64 v[114:115], v[114:115], v[116:117]
	s_waitcnt vmcnt(14) lgkmcnt(0)
	v_mul_f64 v[116:117], v[106:107], v[230:231]
	s_waitcnt vmcnt(12)
	v_fmac_f64_e32 v[116:117], v[108:109], v[232:233]
	v_add_f64 v[114:115], v[114:115], v[116:117]
	s_waitcnt vmcnt(9)
	v_mul_f64 v[116:117], v[102:103], v[236:237]
	s_waitcnt vmcnt(7)
	v_fmac_f64_e32 v[116:117], v[104:105], v[238:239]
	v_add_f64 v[114:115], v[114:115], v[116:117]
	s_waitcnt vmcnt(5)
	v_mul_f64 v[116:117], v[110:111], v[228:229]
	s_waitcnt vmcnt(4)
	v_fmac_f64_e32 v[116:117], v[112:113], v[234:235]
	v_add_f64 v[240:241], v[114:115], v[116:117]
	ds_read_b128 v[114:117], v254 offset:1392
	v_add_f64 v[254:255], v[184:185], v[204:205]
	v_add_f64 v[184:185], v[254:255], v[250:251]
	;; [unrolled: 1-line block ×5, first 2 shown]
	v_mul_f64 v[4:5], v[12:13], v[130:131]
	v_fma_f64 v[4:5], v[10:11], v[132:133], -v[4:5]
	v_add_f64 v[2:3], v[2:3], v[4:5]
	v_mul_f64 v[4:5], v[16:17], v[126:127]
	v_fma_f64 v[4:5], v[14:15], v[128:129], -v[4:5]
	v_add_f64 v[2:3], v[2:3], v[4:5]
	;; [unrolled: 3-line block ×19, first 2 shown]
	v_mul_f64 v[4:5], v[88:89], v[186:187]
	v_fma_f64 v[4:5], v[86:87], v[190:191], -v[4:5]
	s_waitcnt vmcnt(2) lgkmcnt(0)
	v_mul_f64 v[246:247], v[114:115], v[242:243]
	v_add_f64 v[2:3], v[2:3], v[4:5]
	s_waitcnt vmcnt(0)
	v_fmac_f64_e32 v[246:247], v[116:117], v[244:245]
	v_add_f64 v[240:241], v[240:241], v[246:247]
	buffer_load_dword v248, off, s[0:3], 0 offset:128
	buffer_load_dword v249, off, s[0:3], 0 offset:132
	;; [unrolled: 1-line block ×4, first 2 shown]
	v_mul_f64 v[4:5], v[92:93], v[218:219]
	v_fma_f64 v[4:5], v[90:91], v[224:225], -v[4:5]
	v_add_f64 v[2:3], v[2:3], v[4:5]
	v_mul_f64 v[4:5], v[96:97], v[216:217]
	v_fma_f64 v[4:5], v[94:95], v[222:223], -v[4:5]
	v_add_f64 v[2:3], v[2:3], v[4:5]
	v_mul_f64 v[4:5], v[100:101], v[220:221]
	v_fma_f64 v[4:5], v[98:99], v[226:227], -v[4:5]
	v_add_f64 v[2:3], v[2:3], v[4:5]
	v_mul_f64 v[4:5], v[108:109], v[230:231]
	v_fma_f64 v[4:5], v[106:107], v[232:233], -v[4:5]
	v_add_f64 v[2:3], v[2:3], v[4:5]
	v_mul_f64 v[4:5], v[104:105], v[236:237]
	v_fma_f64 v[4:5], v[102:103], v[238:239], -v[4:5]
	v_add_f64 v[2:3], v[2:3], v[4:5]
	v_mul_f64 v[4:5], v[112:113], v[228:229]
	v_fma_f64 v[4:5], v[110:111], v[234:235], -v[4:5]
	v_add_f64 v[2:3], v[2:3], v[4:5]
	v_mul_f64 v[4:5], v[116:117], v[242:243]
	v_fma_f64 v[4:5], v[114:115], v[244:245], -v[4:5]
	v_add_f64 v[2:3], v[2:3], v[4:5]
	s_waitcnt vmcnt(2)
	v_add_f64 v[2:3], v[248:249], -v[2:3]
	s_waitcnt vmcnt(0)
	v_add_f64 v[4:5], v[246:247], -v[240:241]
	buffer_store_dword v3, off, s[0:3], 0 offset:132
	buffer_store_dword v2, off, s[0:3], 0 offset:128
	;; [unrolled: 1-line block ×4, first 2 shown]
	s_and_saveexec_b64 s[4:5], vcc
	s_cbranch_execz .LBB107_265
; %bb.264:
	v_accvgpr_read_b32 v0, a125
	buffer_load_dword v2, v0, s[0:3], 0 offen
	buffer_load_dword v3, v0, s[0:3], 0 offen offset:4
	buffer_load_dword v4, v0, s[0:3], 0 offen offset:8
	buffer_load_dword v5, v0, s[0:3], 0 offen offset:12
	v_mov_b32_e32 v0, 0
	v_accvgpr_read_b32 v6, a132
	buffer_store_dword v0, off, s[0:3], 0 offset:112
	buffer_store_dword v0, off, s[0:3], 0 offset:116
	;; [unrolled: 1-line block ×4, first 2 shown]
	s_waitcnt vmcnt(4)
	ds_write_b128 v6, v[2:5]
.LBB107_265:
	s_or_b64 exec, exec, s[4:5]
	s_waitcnt lgkmcnt(0)
	; wave barrier
	s_waitcnt lgkmcnt(0)
	buffer_load_dword v66, off, s[0:3], 0 offset:128
	buffer_load_dword v67, off, s[0:3], 0 offset:132
	;; [unrolled: 1-line block ×55, first 2 shown]
	v_mov_b32_e32 v254, 0
	ds_read_b128 v[74:77], v254 offset:816
	ds_read_b128 v[86:89], v254 offset:832
	;; [unrolled: 1-line block ×9, first 2 shown]
	buffer_load_dword v136, off, s[0:3], 0 offset:352
	buffer_load_dword v155, off, s[0:3], 0 offset:348
	;; [unrolled: 1-line block ×61, first 2 shown]
	v_cmp_lt_u32_e32 vcc, 5, v1
	s_waitcnt vmcnt(62) lgkmcnt(8)
	v_mul_f64 v[6:7], v[74:75], v[68:69]
	v_fmac_f64_e32 v[6:7], v[76:77], v[66:67]
	v_add_f64 v[6:7], v[6:7], 0
	v_mul_f64 v[68:69], v[76:77], v[68:69]
	s_waitcnt lgkmcnt(7)
	v_mul_f64 v[8:9], v[86:87], v[72:73]
	v_fmac_f64_e32 v[8:9], v[88:89], v[70:71]
	s_waitcnt lgkmcnt(6)
	v_mul_f64 v[10:11], v[98:99], v[78:79]
	v_add_f64 v[6:7], v[6:7], v[8:9]
	s_waitcnt lgkmcnt(4)
	v_mul_f64 v[14:15], v[114:115], v[90:91]
	v_fma_f64 v[198:199], v[74:75], v[66:67], -v[68:69]
	v_fmac_f64_e32 v[14:15], v[116:117], v[92:93]
	v_mul_f64 v[72:73], v[88:89], v[72:73]
	v_mul_f64 v[12:13], v[110:111], v[82:83]
	;; [unrolled: 1-line block ×3, first 2 shown]
	s_waitcnt lgkmcnt(2)
	v_mul_f64 v[18:19], v[244:245], v[102:103]
	v_mul_f64 v[82:83], v[112:113], v[82:83]
	;; [unrolled: 1-line block ×4, first 2 shown]
	v_fma_f64 v[204:205], v[114:115], v[92:93], -v[90:91]
	s_waitcnt lgkmcnt(1)
	v_mul_f64 v[20:21], v[248:249], v[106:107]
	v_fmac_f64_e32 v[20:21], v[250:251], v[108:109]
	v_fmac_f64_e32 v[10:11], v[100:101], v[80:81]
	v_add_f64 v[6:7], v[6:7], v[10:11]
	v_fmac_f64_e32 v[12:13], v[112:113], v[84:85]
	v_add_f64 v[6:7], v[6:7], v[12:13]
	;; [unrolled: 2-line block ×4, first 2 shown]
	v_add_f64 v[6:7], v[6:7], v[18:19]
	v_add_f64 v[10:11], v[6:7], v[20:21]
	ds_read_b128 v[6:9], v254 offset:960
	s_waitcnt lgkmcnt(1)
	v_mul_f64 v[12:13], v[2:3], v[118:119]
	v_fmac_f64_e32 v[12:13], v[4:5], v[120:121]
	v_add_f64 v[14:15], v[10:11], v[12:13]
	ds_read_b128 v[10:13], v254 offset:976
	s_waitcnt lgkmcnt(1)
	v_mul_f64 v[16:17], v[6:7], v[126:127]
	v_fmac_f64_e32 v[16:17], v[8:9], v[128:129]
	;; [unrolled: 5-line block ×5, first 2 shown]
	v_add_f64 v[30:31], v[26:27], v[28:29]
	ds_read_b128 v[26:29], v254 offset:1040
	s_waitcnt vmcnt(58) lgkmcnt(1)
	v_mul_f64 v[32:33], v[22:23], v[154:155]
	s_waitcnt vmcnt(56)
	v_fmac_f64_e32 v[32:33], v[24:25], v[158:159]
	v_add_f64 v[34:35], v[30:31], v[32:33]
	ds_read_b128 v[30:33], v254 offset:1056
	s_waitcnt lgkmcnt(1)
	v_mul_f64 v[36:37], v[26:27], v[134:135]
	v_fmac_f64_e32 v[36:37], v[28:29], v[136:137]
	v_add_f64 v[38:39], v[34:35], v[36:37]
	ds_read_b128 v[34:37], v254 offset:1072
	s_waitcnt vmcnt(50) lgkmcnt(1)
	v_mul_f64 v[40:41], v[30:31], v[162:163]
	s_waitcnt vmcnt(48)
	v_fmac_f64_e32 v[40:41], v[32:33], v[166:167]
	v_add_f64 v[42:43], v[38:39], v[40:41]
	ds_read_b128 v[38:41], v254 offset:1088
	s_waitcnt lgkmcnt(1)
	v_mul_f64 v[44:45], v[34:35], v[142:143]
	v_fmac_f64_e32 v[44:45], v[36:37], v[144:145]
	v_add_f64 v[46:47], v[42:43], v[44:45]
	ds_read_b128 v[42:45], v254 offset:1104
	s_waitcnt vmcnt(42) lgkmcnt(1)
	v_mul_f64 v[48:49], v[38:39], v[170:171]
	s_waitcnt vmcnt(40)
	v_fmac_f64_e32 v[48:49], v[40:41], v[174:175]
	v_add_f64 v[50:51], v[46:47], v[48:49]
	ds_read_b128 v[46:49], v254 offset:1120
	buffer_load_dword v213, off, s[0:3], 0 offset:604
	buffer_load_dword v212, off, s[0:3], 0 offset:600
	;; [unrolled: 1-line block ×4, first 2 shown]
	s_waitcnt lgkmcnt(1)
	v_mul_f64 v[52:53], v[42:43], v[146:147]
	v_fmac_f64_e32 v[52:53], v[44:45], v[148:149]
	v_add_f64 v[54:55], v[50:51], v[52:53]
	ds_read_b128 v[50:53], v254 offset:1136
	buffer_load_dword v217, off, s[0:3], 0 offset:620
	buffer_load_dword v216, off, s[0:3], 0 offset:616
	;; [unrolled: 1-line block ×8, first 2 shown]
	s_waitcnt vmcnt(46) lgkmcnt(1)
	v_mul_f64 v[56:57], v[46:47], v[178:179]
	s_waitcnt vmcnt(44)
	v_fmac_f64_e32 v[56:57], v[48:49], v[182:183]
	v_add_f64 v[58:59], v[54:55], v[56:57]
	ds_read_b128 v[54:57], v254 offset:1152
	buffer_load_dword v227, off, s[0:3], 0 offset:652
	buffer_load_dword v226, off, s[0:3], 0 offset:648
	;; [unrolled: 1-line block ×12, first 2 shown]
	s_waitcnt lgkmcnt(1)
	v_mul_f64 v[60:61], v[50:51], v[150:151]
	v_fmac_f64_e32 v[60:61], v[52:53], v[152:153]
	v_add_f64 v[62:63], v[58:59], v[60:61]
	ds_read_b128 v[58:61], v254 offset:1168
	s_waitcnt vmcnt(50) lgkmcnt(1)
	v_mul_f64 v[64:65], v[54:55], v[188:189]
	s_waitcnt vmcnt(48)
	v_fmac_f64_e32 v[64:65], v[56:57], v[190:191]
	v_add_f64 v[62:63], v[62:63], v[64:65]
	buffer_load_dword v237, off, s[0:3], 0 offset:700
	buffer_load_dword v236, off, s[0:3], 0 offset:696
	buffer_load_dword v239, off, s[0:3], 0 offset:692
	buffer_load_dword v238, off, s[0:3], 0 offset:688
	s_waitcnt lgkmcnt(0)
	v_mul_f64 v[64:65], v[58:59], v[156:157]
	v_fmac_f64_e32 v[64:65], v[60:61], v[160:161]
	v_add_f64 v[184:185], v[62:63], v[64:65]
	ds_read_b128 v[62:65], v254 offset:1184
	ds_read_b128 v[66:69], v254 offset:1200
	v_fma_f64 v[200:201], v[98:99], v[80:81], -v[78:79]
	ds_read_b128 v[78:81], v254 offset:1248
	v_fma_f64 v[202:203], v[110:111], v[84:85], -v[82:83]
	ds_read_b128 v[82:85], v254 offset:1264
	s_waitcnt vmcnt(46) lgkmcnt(3)
	v_mul_f64 v[74:75], v[62:63], v[192:193]
	s_waitcnt vmcnt(44)
	v_fmac_f64_e32 v[74:75], v[64:65], v[194:195]
	v_add_f64 v[74:75], v[184:185], v[74:75]
	v_fma_f64 v[184:185], v[86:87], v[70:71], -v[72:73]
	ds_read_b128 v[70:73], v254 offset:1216
	s_waitcnt lgkmcnt(3)
	v_mul_f64 v[76:77], v[66:67], v[164:165]
	v_fmac_f64_e32 v[76:77], v[68:69], v[168:169]
	v_add_f64 v[86:87], v[74:75], v[76:77]
	ds_read_b128 v[74:77], v254 offset:1232
	s_waitcnt vmcnt(38) lgkmcnt(1)
	v_mul_f64 v[88:89], v[70:71], v[196:197]
	s_waitcnt vmcnt(36)
	v_fmac_f64_e32 v[88:89], v[72:73], v[206:207]
	v_add_f64 v[86:87], v[86:87], v[88:89]
	ds_read_b128 v[90:93], v254 offset:1296
	s_waitcnt lgkmcnt(1)
	v_mul_f64 v[88:89], v[74:75], v[172:173]
	v_fmac_f64_e32 v[88:89], v[76:77], v[176:177]
	v_add_f64 v[86:87], v[86:87], v[88:89]
	s_waitcnt vmcnt(30)
	v_mul_f64 v[88:89], v[78:79], v[208:209]
	s_waitcnt vmcnt(28)
	v_fmac_f64_e32 v[88:89], v[80:81], v[210:211]
	v_add_f64 v[86:87], v[86:87], v[88:89]
	v_mul_f64 v[88:89], v[82:83], v[180:181]
	v_fmac_f64_e32 v[88:89], v[84:85], v[186:187]
	v_add_f64 v[98:99], v[86:87], v[88:89]
	ds_read_b128 v[86:89], v254 offset:1280
	v_mul_f64 v[94:95], v[242:243], v[94:95]
	v_fma_f64 v[252:253], v[240:241], v[96:97], -v[94:95]
	ds_read_b128 v[94:97], v254 offset:1312
	v_mul_f64 v[102:103], v[246:247], v[102:103]
	v_fma_f64 v[246:247], v[244:245], v[104:105], -v[102:103]
	;; [unrolled: 3-line block ×3, first 2 shown]
	v_add_f64 v[198:199], v[198:199], 0
	v_add_f64 v[184:185], v[198:199], v[184:185]
	;; [unrolled: 1-line block ×7, first 2 shown]
	v_mul_f64 v[4:5], v[4:5], v[118:119]
	v_add_f64 v[184:185], v[252:253], v[250:251]
	v_fma_f64 v[2:3], v[2:3], v[120:121], -v[4:5]
	v_mul_f64 v[4:5], v[8:9], v[126:127]
	v_add_f64 v[2:3], v[184:185], v[2:3]
	v_fma_f64 v[4:5], v[6:7], v[128:129], -v[4:5]
	v_add_f64 v[2:3], v[2:3], v[4:5]
	ds_read_b128 v[106:109], v254 offset:1360
	v_mul_f64 v[4:5], v[12:13], v[122:123]
	v_fma_f64 v[4:5], v[10:11], v[124:125], -v[4:5]
	v_add_f64 v[2:3], v[2:3], v[4:5]
	s_waitcnt vmcnt(26) lgkmcnt(3)
	v_mul_f64 v[100:101], v[86:87], v[212:213]
	v_mul_f64 v[4:5], v[16:17], v[138:139]
	s_waitcnt vmcnt(24)
	v_fmac_f64_e32 v[100:101], v[88:89], v[214:215]
	v_add_f64 v[98:99], v[98:99], v[100:101]
	s_waitcnt vmcnt(22)
	v_mul_f64 v[100:101], v[90:91], v[216:217]
	s_waitcnt vmcnt(20)
	v_fmac_f64_e32 v[100:101], v[92:93], v[220:221]
	v_add_f64 v[98:99], v[98:99], v[100:101]
	s_waitcnt vmcnt(18) lgkmcnt(2)
	v_mul_f64 v[100:101], v[94:95], v[218:219]
	s_waitcnt vmcnt(16)
	v_fmac_f64_e32 v[100:101], v[96:97], v[222:223]
	v_add_f64 v[110:111], v[98:99], v[100:101]
	ds_read_b128 v[98:101], v254 offset:1328
	v_fma_f64 v[4:5], v[14:15], v[140:141], -v[4:5]
	v_add_f64 v[2:3], v[2:3], v[4:5]
	v_mul_f64 v[4:5], v[20:21], v[130:131]
	v_fma_f64 v[4:5], v[18:19], v[132:133], -v[4:5]
	s_waitcnt vmcnt(14) lgkmcnt(0)
	v_mul_f64 v[112:113], v[98:99], v[226:227]
	s_waitcnt vmcnt(12)
	v_fmac_f64_e32 v[112:113], v[100:101], v[228:229]
	v_add_f64 v[110:111], v[110:111], v[112:113]
	s_waitcnt vmcnt(9)
	v_mul_f64 v[112:113], v[102:103], v[232:233]
	s_waitcnt vmcnt(7)
	v_fmac_f64_e32 v[112:113], v[104:105], v[234:235]
	v_add_f64 v[110:111], v[110:111], v[112:113]
	s_waitcnt vmcnt(5)
	v_mul_f64 v[112:113], v[106:107], v[224:225]
	s_waitcnt vmcnt(4)
	v_fmac_f64_e32 v[112:113], v[108:109], v[230:231]
	v_add_f64 v[114:115], v[110:111], v[112:113]
	ds_read_b128 v[110:113], v254 offset:1376
	buffer_load_dword v242, off, s[0:3], 0 offset:712
	buffer_load_dword v243, off, s[0:3], 0 offset:716
	;; [unrolled: 1-line block ×4, first 2 shown]
	v_add_f64 v[2:3], v[2:3], v[4:5]
	v_mul_f64 v[4:5], v[24:25], v[154:155]
	v_fma_f64 v[4:5], v[22:23], v[158:159], -v[4:5]
	s_waitcnt vmcnt(6) lgkmcnt(0)
	v_mul_f64 v[116:117], v[110:111], v[236:237]
	s_waitcnt vmcnt(4)
	v_fmac_f64_e32 v[116:117], v[112:113], v[238:239]
	v_add_f64 v[240:241], v[114:115], v[116:117]
	ds_read_b128 v[114:117], v254 offset:1392
	v_add_f64 v[2:3], v[2:3], v[4:5]
	v_mul_f64 v[4:5], v[28:29], v[134:135]
	v_fma_f64 v[4:5], v[26:27], v[136:137], -v[4:5]
	v_add_f64 v[2:3], v[2:3], v[4:5]
	v_mul_f64 v[4:5], v[32:33], v[162:163]
	v_fma_f64 v[4:5], v[30:31], v[166:167], -v[4:5]
	;; [unrolled: 3-line block ×22, first 2 shown]
	v_add_f64 v[2:3], v[2:3], v[4:5]
	s_waitcnt vmcnt(2) lgkmcnt(0)
	v_mul_f64 v[248:249], v[114:115], v[242:243]
	v_mul_f64 v[4:5], v[116:117], v[242:243]
	s_waitcnt vmcnt(0)
	v_fmac_f64_e32 v[248:249], v[116:117], v[244:245]
	v_add_f64 v[240:241], v[240:241], v[248:249]
	buffer_load_dword v248, off, s[0:3], 0 offset:112
	buffer_load_dword v249, off, s[0:3], 0 offset:116
	;; [unrolled: 1-line block ×4, first 2 shown]
	v_fma_f64 v[4:5], v[114:115], v[244:245], -v[4:5]
	v_add_f64 v[2:3], v[2:3], v[4:5]
	s_waitcnt vmcnt(2)
	v_add_f64 v[2:3], v[248:249], -v[2:3]
	s_waitcnt vmcnt(0)
	v_add_f64 v[4:5], v[246:247], -v[240:241]
	buffer_store_dword v3, off, s[0:3], 0 offset:116
	buffer_store_dword v2, off, s[0:3], 0 offset:112
	;; [unrolled: 1-line block ×4, first 2 shown]
	s_and_saveexec_b64 s[4:5], vcc
	s_cbranch_execz .LBB107_267
; %bb.266:
	v_accvgpr_read_b32 v0, a126
	buffer_load_dword v2, v0, s[0:3], 0 offen
	buffer_load_dword v3, v0, s[0:3], 0 offen offset:4
	buffer_load_dword v4, v0, s[0:3], 0 offen offset:8
	;; [unrolled: 1-line block ×3, first 2 shown]
	v_accvgpr_read_b32 v0, a132
	buffer_store_dword v254, off, s[0:3], 0 offset:96
	buffer_store_dword v254, off, s[0:3], 0 offset:100
	;; [unrolled: 1-line block ×4, first 2 shown]
	s_waitcnt vmcnt(4)
	ds_write_b128 v0, v[2:5]
.LBB107_267:
	s_or_b64 exec, exec, s[4:5]
	s_waitcnt lgkmcnt(0)
	; wave barrier
	s_waitcnt lgkmcnt(0)
	buffer_load_dword v66, off, s[0:3], 0 offset:112
	buffer_load_dword v67, off, s[0:3], 0 offset:116
	;; [unrolled: 1-line block ×42, first 2 shown]
	ds_read_b128 v[78:81], v254 offset:800
	ds_read_b128 v[90:93], v254 offset:816
	ds_read_b128 v[102:105], v254 offset:832
	ds_read_b128 v[110:113], v254 offset:848
	ds_read_b128 v[114:117], v254 offset:864
	ds_read_b128 v[240:243], v254 offset:880
	ds_read_b128 v[244:247], v254 offset:896
	ds_read_b128 v[248:251], v254 offset:912
	ds_read_b128 v[198:201], v254 offset:928
	ds_read_b128 v[2:5], v254 offset:944
	buffer_load_dword v129, off, s[0:3], 0 offset:260
	buffer_load_dword v128, off, s[0:3], 0 offset:256
	ds_read_b128 v[6:9], v254 offset:960
	buffer_load_dword v125, off, s[0:3], 0 offset:316
	buffer_load_dword v124, off, s[0:3], 0 offset:312
	buffer_load_dword v127, off, s[0:3], 0 offset:308
	buffer_load_dword v126, off, s[0:3], 0 offset:304
	buffer_load_dword v131, off, s[0:3], 0 offset:300
	buffer_load_dword v130, off, s[0:3], 0 offset:296
	buffer_load_dword v147, off, s[0:3], 0 offset:292
	buffer_load_dword v146, off, s[0:3], 0 offset:288
	buffer_load_dword v133, off, s[0:3], 0 offset:348
	buffer_load_dword v132, off, s[0:3], 0 offset:344
	buffer_load_dword v135, off, s[0:3], 0 offset:340
	buffer_load_dword v134, off, s[0:3], 0 offset:336
	buffer_load_dword v151, off, s[0:3], 0 offset:332
	buffer_load_dword v150, off, s[0:3], 0 offset:328
	buffer_load_dword v155, off, s[0:3], 0 offset:324
	buffer_load_dword v154, off, s[0:3], 0 offset:320
	buffer_load_dword v137, off, s[0:3], 0 offset:380
	buffer_load_dword v136, off, s[0:3], 0 offset:376
	buffer_load_dword v139, off, s[0:3], 0 offset:372
	buffer_load_dword v138, off, s[0:3], 0 offset:368
	buffer_load_dword v159, off, s[0:3], 0 offset:364
	buffer_load_dword v158, off, s[0:3], 0 offset:360
	buffer_load_dword v163, off, s[0:3], 0 offset:356
	buffer_load_dword v162, off, s[0:3], 0 offset:352
	buffer_load_dword v141, off, s[0:3], 0 offset:412
	buffer_load_dword v140, off, s[0:3], 0 offset:408
	buffer_load_dword v143, off, s[0:3], 0 offset:404
	buffer_load_dword v142, off, s[0:3], 0 offset:400
	buffer_load_dword v167, off, s[0:3], 0 offset:396
	buffer_load_dword v166, off, s[0:3], 0 offset:392
	buffer_load_dword v171, off, s[0:3], 0 offset:388
	buffer_load_dword v170, off, s[0:3], 0 offset:384
	buffer_load_dword v145, off, s[0:3], 0 offset:444
	buffer_load_dword v144, off, s[0:3], 0 offset:440
	buffer_load_dword v149, off, s[0:3], 0 offset:436
	buffer_load_dword v148, off, s[0:3], 0 offset:432
	buffer_load_dword v175, off, s[0:3], 0 offset:428
	buffer_load_dword v174, off, s[0:3], 0 offset:424
	buffer_load_dword v179, off, s[0:3], 0 offset:420
	buffer_load_dword v178, off, s[0:3], 0 offset:416
	buffer_load_dword v153, off, s[0:3], 0 offset:476
	buffer_load_dword v152, off, s[0:3], 0 offset:472
	buffer_load_dword v157, off, s[0:3], 0 offset:468
	buffer_load_dword v156, off, s[0:3], 0 offset:464
	buffer_load_dword v183, off, s[0:3], 0 offset:460
	buffer_load_dword v182, off, s[0:3], 0 offset:456
	buffer_load_dword v189, off, s[0:3], 0 offset:452
	buffer_load_dword v188, off, s[0:3], 0 offset:448
	buffer_load_dword v161, off, s[0:3], 0 offset:508
	buffer_load_dword v160, off, s[0:3], 0 offset:504
	buffer_load_dword v165, off, s[0:3], 0 offset:500
	buffer_load_dword v164, off, s[0:3], 0 offset:496
	buffer_load_dword v193, off, s[0:3], 0 offset:492
	buffer_load_dword v192, off, s[0:3], 0 offset:488
	buffer_load_dword v195, off, s[0:3], 0 offset:484
	buffer_load_dword v194, off, s[0:3], 0 offset:480
	buffer_load_dword v169, off, s[0:3], 0 offset:540
	buffer_load_dword v168, off, s[0:3], 0 offset:536
	buffer_load_dword v173, off, s[0:3], 0 offset:532
	buffer_load_dword v172, off, s[0:3], 0 offset:528
	buffer_load_dword v207, off, s[0:3], 0 offset:524
	buffer_load_dword v206, off, s[0:3], 0 offset:520
	buffer_load_dword v209, off, s[0:3], 0 offset:516
	buffer_load_dword v208, off, s[0:3], 0 offset:512
	buffer_load_dword v177, off, s[0:3], 0 offset:572
	buffer_load_dword v176, off, s[0:3], 0 offset:568
	buffer_load_dword v181, off, s[0:3], 0 offset:564
	buffer_load_dword v180, off, s[0:3], 0 offset:560
	buffer_load_dword v211, off, s[0:3], 0 offset:556
	buffer_load_dword v210, off, s[0:3], 0 offset:552
	buffer_load_dword v213, off, s[0:3], 0 offset:548
	buffer_load_dword v212, off, s[0:3], 0 offset:544
	buffer_load_dword v187, off, s[0:3], 0 offset:604
	buffer_load_dword v186, off, s[0:3], 0 offset:600
	buffer_load_dword v191, off, s[0:3], 0 offset:596
	buffer_load_dword v190, off, s[0:3], 0 offset:592
	buffer_load_dword v215, off, s[0:3], 0 offset:588
	buffer_load_dword v214, off, s[0:3], 0 offset:584
	buffer_load_dword v217, off, s[0:3], 0 offset:580
	buffer_load_dword v216, off, s[0:3], 0 offset:576
	s_waitcnt vmcnt(62) lgkmcnt(10)
	v_mul_f64 v[10:11], v[78:79], v[68:69]
	v_fmac_f64_e32 v[10:11], v[80:81], v[66:67]
	v_add_f64 v[10:11], v[10:11], 0
	v_mul_f64 v[68:69], v[80:81], v[68:69]
	s_waitcnt lgkmcnt(9)
	v_mul_f64 v[12:13], v[90:91], v[64:65]
	v_fmac_f64_e32 v[12:13], v[92:93], v[62:63]
	s_waitcnt lgkmcnt(8)
	v_mul_f64 v[14:15], v[102:103], v[70:71]
	v_add_f64 v[10:11], v[10:11], v[12:13]
	s_waitcnt lgkmcnt(6)
	v_mul_f64 v[18:19], v[114:115], v[82:83]
	v_mul_f64 v[64:65], v[92:93], v[64:65]
	v_fmac_f64_e32 v[18:19], v[116:117], v[84:85]
	v_fma_f64 v[204:205], v[90:91], v[62:63], -v[64:65]
	v_mul_f64 v[16:17], v[110:111], v[74:75]
	v_fma_f64 v[202:203], v[78:79], v[66:67], -v[68:69]
	s_waitcnt lgkmcnt(4)
	v_mul_f64 v[22:23], v[244:245], v[94:95]
	v_mul_f64 v[70:71], v[104:105], v[70:71]
	v_fmac_f64_e32 v[22:23], v[246:247], v[96:97]
	v_mul_f64 v[74:75], v[112:113], v[74:75]
	v_mul_f64 v[20:21], v[240:241], v[86:87]
	;; [unrolled: 1-line block ×3, first 2 shown]
	s_waitcnt lgkmcnt(2)
	v_mul_f64 v[26:27], v[198:199], v[106:107]
	v_fma_f64 v[0:1], v[114:115], v[84:85], -v[82:83]
	v_mul_f64 v[86:87], v[242:243], v[86:87]
	v_mul_f64 v[24:25], v[248:249], v[98:99]
	;; [unrolled: 1-line block ×3, first 2 shown]
	s_waitcnt lgkmcnt(1)
	v_mul_f64 v[28:29], v[2:3], v[118:119]
	v_fma_f64 v[246:247], v[244:245], v[96:97], -v[94:95]
	v_fmac_f64_e32 v[14:15], v[104:105], v[72:73]
	v_add_f64 v[10:11], v[10:11], v[14:15]
	v_fmac_f64_e32 v[16:17], v[112:113], v[76:77]
	v_add_f64 v[10:11], v[10:11], v[16:17]
	;; [unrolled: 2-line block ×3, first 2 shown]
	v_add_f64 v[10:11], v[10:11], v[20:21]
	v_fmac_f64_e32 v[24:25], v[250:251], v[100:101]
	v_add_f64 v[10:11], v[10:11], v[22:23]
	v_fmac_f64_e32 v[26:27], v[200:201], v[108:109]
	v_add_f64 v[10:11], v[10:11], v[24:25]
	v_add_f64 v[10:11], v[10:11], v[26:27]
	s_waitcnt lgkmcnt(0)
	v_mul_f64 v[16:17], v[6:7], v[120:121]
	v_fmac_f64_e32 v[28:29], v[4:5], v[128:129]
	v_add_f64 v[14:15], v[10:11], v[28:29]
	ds_read_b128 v[10:13], v254 offset:976
	v_fmac_f64_e32 v[16:17], v[8:9], v[122:123]
	v_add_f64 v[18:19], v[14:15], v[16:17]
	ds_read_b128 v[14:17], v254 offset:992
	v_fma_f64 v[252:253], v[110:111], v[76:77], -v[74:75]
	s_waitcnt lgkmcnt(1)
	v_mul_f64 v[20:21], v[10:11], v[130:131]
	v_fmac_f64_e32 v[20:21], v[12:13], v[146:147]
	v_add_f64 v[22:23], v[18:19], v[20:21]
	ds_read_b128 v[18:21], v254 offset:1008
	s_waitcnt lgkmcnt(1)
	v_mul_f64 v[24:25], v[14:15], v[124:125]
	v_fmac_f64_e32 v[24:25], v[16:17], v[126:127]
	v_add_f64 v[26:27], v[22:23], v[24:25]
	ds_read_b128 v[22:25], v254 offset:1024
	;; [unrolled: 5-line block ×4, first 2 shown]
	s_waitcnt vmcnt(58) lgkmcnt(1)
	v_mul_f64 v[36:37], v[26:27], v[158:159]
	s_waitcnt vmcnt(56)
	v_fmac_f64_e32 v[36:37], v[28:29], v[162:163]
	v_add_f64 v[38:39], v[34:35], v[36:37]
	ds_read_b128 v[34:37], v254 offset:1072
	s_waitcnt lgkmcnt(1)
	v_mul_f64 v[40:41], v[30:31], v[136:137]
	v_fmac_f64_e32 v[40:41], v[32:33], v[138:139]
	v_add_f64 v[42:43], v[38:39], v[40:41]
	ds_read_b128 v[38:41], v254 offset:1088
	s_waitcnt vmcnt(50) lgkmcnt(1)
	v_mul_f64 v[44:45], v[34:35], v[166:167]
	s_waitcnt vmcnt(48)
	v_fmac_f64_e32 v[44:45], v[36:37], v[170:171]
	v_add_f64 v[46:47], v[42:43], v[44:45]
	ds_read_b128 v[42:45], v254 offset:1104
	s_waitcnt lgkmcnt(1)
	v_mul_f64 v[48:49], v[38:39], v[140:141]
	v_fmac_f64_e32 v[48:49], v[40:41], v[142:143]
	v_add_f64 v[50:51], v[46:47], v[48:49]
	ds_read_b128 v[46:49], v254 offset:1120
	s_waitcnt vmcnt(42) lgkmcnt(1)
	v_mul_f64 v[52:53], v[42:43], v[174:175]
	s_waitcnt vmcnt(40)
	v_fmac_f64_e32 v[52:53], v[44:45], v[178:179]
	v_add_f64 v[54:55], v[50:51], v[52:53]
	ds_read_b128 v[50:53], v254 offset:1136
	s_waitcnt lgkmcnt(1)
	v_mul_f64 v[56:57], v[46:47], v[144:145]
	buffer_load_dword v197, off, s[0:3], 0 offset:620
	buffer_load_dword v196, off, s[0:3], 0 offset:616
	;; [unrolled: 1-line block ×4, first 2 shown]
	v_fmac_f64_e32 v[56:57], v[48:49], v[148:149]
	v_add_f64 v[58:59], v[54:55], v[56:57]
	ds_read_b128 v[54:57], v254 offset:1152
	buffer_load_dword v222, off, s[0:3], 0 offset:632
	buffer_load_dword v224, off, s[0:3], 0 offset:624
	;; [unrolled: 1-line block ×16, first 2 shown]
	s_waitcnt vmcnt(54) lgkmcnt(1)
	v_mul_f64 v[60:61], v[50:51], v[182:183]
	s_waitcnt vmcnt(52)
	v_fmac_f64_e32 v[60:61], v[52:53], v[188:189]
	v_add_f64 v[184:185], v[58:59], v[60:61]
	ds_read_b128 v[58:61], v254 offset:1168
	buffer_load_dword v236, off, s[0:3], 0 offset:696
	buffer_load_dword v238, off, s[0:3], 0 offset:688
	;; [unrolled: 1-line block ×4, first 2 shown]
	ds_read_b128 v[62:65], v254 offset:1184
	s_waitcnt lgkmcnt(2)
	v_mul_f64 v[66:67], v[54:55], v[152:153]
	v_fmac_f64_e32 v[66:67], v[56:57], v[156:157]
	s_waitcnt vmcnt(50) lgkmcnt(1)
	v_mul_f64 v[68:69], v[58:59], v[192:193]
	v_add_f64 v[66:67], v[184:185], v[66:67]
	s_waitcnt vmcnt(48)
	v_fmac_f64_e32 v[68:69], v[60:61], v[194:195]
	v_add_f64 v[66:67], v[66:67], v[68:69]
	v_fma_f64 v[184:185], v[102:103], v[72:73], -v[70:71]
	ds_read_b128 v[70:73], v254 offset:1216
	s_waitcnt lgkmcnt(1)
	v_mul_f64 v[68:69], v[62:63], v[160:161]
	v_fmac_f64_e32 v[68:69], v[64:65], v[164:165]
	v_add_f64 v[78:79], v[66:67], v[68:69]
	ds_read_b128 v[66:69], v254 offset:1200
	ds_read_b128 v[74:77], v254 offset:1232
	;; [unrolled: 1-line block ×3, first 2 shown]
	v_fma_f64 v[240:241], v[240:241], v[88:89], -v[86:87]
	ds_read_b128 v[86:89], v254 offset:1280
	ds_read_b128 v[94:97], v254 offset:1312
	s_waitcnt vmcnt(42) lgkmcnt(4)
	v_mul_f64 v[80:81], v[66:67], v[206:207]
	s_waitcnt vmcnt(40)
	v_fmac_f64_e32 v[80:81], v[68:69], v[208:209]
	v_add_f64 v[78:79], v[78:79], v[80:81]
	v_mul_f64 v[80:81], v[70:71], v[168:169]
	v_fmac_f64_e32 v[80:81], v[72:73], v[172:173]
	v_add_f64 v[90:91], v[78:79], v[80:81]
	ds_read_b128 v[78:81], v254 offset:1248
	s_waitcnt vmcnt(34) lgkmcnt(4)
	v_mul_f64 v[92:93], v[74:75], v[210:211]
	s_waitcnt vmcnt(32)
	v_fmac_f64_e32 v[92:93], v[76:77], v[212:213]
	v_add_f64 v[90:91], v[90:91], v[92:93]
	v_mul_f64 v[98:99], v[250:251], v[98:99]
	s_waitcnt lgkmcnt(0)
	v_mul_f64 v[92:93], v[78:79], v[176:177]
	v_fmac_f64_e32 v[92:93], v[80:81], v[180:181]
	v_add_f64 v[90:91], v[90:91], v[92:93]
	s_waitcnt vmcnt(26)
	v_mul_f64 v[92:93], v[82:83], v[214:215]
	s_waitcnt vmcnt(24)
	v_fmac_f64_e32 v[92:93], v[84:85], v[216:217]
	v_add_f64 v[90:91], v[90:91], v[92:93]
	v_mul_f64 v[92:93], v[86:87], v[186:187]
	v_fmac_f64_e32 v[92:93], v[88:89], v[190:191]
	v_add_f64 v[102:103], v[90:91], v[92:93]
	ds_read_b128 v[90:93], v254 offset:1296
	v_fma_f64 v[250:251], v[248:249], v[100:101], -v[98:99]
	ds_read_b128 v[98:101], v254 offset:1328
	v_mul_f64 v[106:107], v[200:201], v[106:107]
	v_fma_f64 v[198:199], v[198:199], v[108:109], -v[106:107]
	v_add_f64 v[202:203], v[202:203], 0
	v_add_f64 v[202:203], v[202:203], v[204:205]
	;; [unrolled: 1-line block ×6, first 2 shown]
	v_mul_f64 v[4:5], v[4:5], v[118:119]
	v_fma_f64 v[2:3], v[2:3], v[128:129], -v[4:5]
	ds_read_b128 v[106:109], v254 offset:1360
	s_waitcnt vmcnt(13) lgkmcnt(1)
	v_mul_f64 v[112:113], v[98:99], v[226:227]
	v_mul_f64 v[104:105], v[90:91], v[196:197]
	s_waitcnt vmcnt(11)
	v_fmac_f64_e32 v[112:113], v[100:101], v[232:233]
	v_fmac_f64_e32 v[104:105], v[92:93], v[218:219]
	v_add_f64 v[102:103], v[102:103], v[104:105]
	v_mul_f64 v[104:105], v[94:95], v[222:223]
	v_fmac_f64_e32 v[104:105], v[96:97], v[224:225]
	v_add_f64 v[110:111], v[102:103], v[104:105]
	ds_read_b128 v[102:105], v254 offset:1344
	v_add_f64 v[110:111], v[110:111], v[112:113]
	s_waitcnt vmcnt(10) lgkmcnt(0)
	v_mul_f64 v[112:113], v[102:103], v[220:221]
	s_waitcnt vmcnt(8)
	v_fmac_f64_e32 v[112:113], v[104:105], v[230:231]
	v_add_f64 v[110:111], v[110:111], v[112:113]
	s_waitcnt vmcnt(6)
	v_mul_f64 v[112:113], v[106:107], v[228:229]
	s_waitcnt vmcnt(4)
	v_fmac_f64_e32 v[112:113], v[108:109], v[234:235]
	v_add_f64 v[114:115], v[110:111], v[112:113]
	ds_read_b128 v[110:113], v254 offset:1376
	buffer_load_dword v243, off, s[0:3], 0 offset:716
	buffer_load_dword v242, off, s[0:3], 0 offset:712
	;; [unrolled: 1-line block ×4, first 2 shown]
	s_waitcnt vmcnt(5) lgkmcnt(0)
	v_mul_f64 v[116:117], v[110:111], v[236:237]
	s_waitcnt vmcnt(4)
	v_fmac_f64_e32 v[116:117], v[112:113], v[238:239]
	v_add_f64 v[200:201], v[114:115], v[116:117]
	ds_read_b128 v[114:117], v254 offset:1392
	v_add_f64 v[254:255], v[0:1], v[246:247]
	v_add_f64 v[0:1], v[254:255], v[250:251]
	;; [unrolled: 1-line block ×4, first 2 shown]
	v_mul_f64 v[2:3], v[8:9], v[120:121]
	v_fma_f64 v[2:3], v[6:7], v[122:123], -v[2:3]
	v_add_f64 v[0:1], v[0:1], v[2:3]
	v_mul_f64 v[2:3], v[12:13], v[130:131]
	v_fma_f64 v[2:3], v[10:11], v[146:147], -v[2:3]
	v_add_f64 v[0:1], v[0:1], v[2:3]
	;; [unrolled: 3-line block ×22, first 2 shown]
	s_waitcnt vmcnt(2) lgkmcnt(0)
	v_mul_f64 v[248:249], v[114:115], v[242:243]
	v_mul_f64 v[2:3], v[96:97], v[222:223]
	s_waitcnt vmcnt(0)
	v_fmac_f64_e32 v[248:249], v[116:117], v[244:245]
	v_add_f64 v[200:201], v[200:201], v[248:249]
	buffer_load_dword v248, off, s[0:3], 0 offset:96
	buffer_load_dword v249, off, s[0:3], 0 offset:100
	;; [unrolled: 1-line block ×4, first 2 shown]
	v_fma_f64 v[2:3], v[94:95], v[224:225], -v[2:3]
	v_add_f64 v[0:1], v[0:1], v[2:3]
	v_mul_f64 v[2:3], v[100:101], v[226:227]
	v_fma_f64 v[2:3], v[98:99], v[232:233], -v[2:3]
	v_add_f64 v[0:1], v[0:1], v[2:3]
	v_mul_f64 v[2:3], v[104:105], v[220:221]
	;; [unrolled: 3-line block ×5, first 2 shown]
	v_fma_f64 v[2:3], v[114:115], v[244:245], -v[2:3]
	v_add_f64 v[0:1], v[0:1], v[2:3]
	v_accvgpr_read_b32 v255, a131
	v_cmp_lt_u32_e32 vcc, 4, v255
	s_waitcnt vmcnt(2)
	v_add_f64 v[0:1], v[248:249], -v[0:1]
	s_waitcnt vmcnt(0)
	v_add_f64 v[2:3], v[246:247], -v[200:201]
	buffer_store_dword v1, off, s[0:3], 0 offset:100
	buffer_store_dword v0, off, s[0:3], 0 offset:96
	;; [unrolled: 1-line block ×4, first 2 shown]
	s_and_saveexec_b64 s[4:5], vcc
	s_cbranch_execz .LBB107_269
; %bb.268:
	v_accvgpr_read_b32 v0, a127
	buffer_load_dword v2, v0, s[0:3], 0 offen
	buffer_load_dword v3, v0, s[0:3], 0 offen offset:4
	buffer_load_dword v4, v0, s[0:3], 0 offen offset:8
	;; [unrolled: 1-line block ×3, first 2 shown]
	v_mov_b32_e32 v0, 0
	v_accvgpr_read_b32 v1, a132
	buffer_store_dword v0, off, s[0:3], 0 offset:80
	buffer_store_dword v0, off, s[0:3], 0 offset:84
	;; [unrolled: 1-line block ×4, first 2 shown]
	s_waitcnt vmcnt(4)
	ds_write_b128 v1, v[2:5]
.LBB107_269:
	s_or_b64 exec, exec, s[4:5]
	s_waitcnt lgkmcnt(0)
	; wave barrier
	s_waitcnt lgkmcnt(0)
	buffer_load_dword v54, off, s[0:3], 0 offset:96
	buffer_load_dword v55, off, s[0:3], 0 offset:100
	;; [unrolled: 1-line block ×49, first 2 shown]
	v_mov_b32_e32 v254, 0
	ds_read_b128 v[62:65], v254 offset:784
	ds_read_b128 v[74:77], v254 offset:800
	;; [unrolled: 1-line block ×11, first 2 shown]
	buffer_load_dword v126, off, s[0:3], 0 offset:280
	buffer_load_dword v143, off, s[0:3], 0 offset:276
	;; [unrolled: 1-line block ×75, first 2 shown]
	v_cmp_lt_u32_e32 vcc, 3, v255
	s_waitcnt vmcnt(62) lgkmcnt(9)
	v_mul_f64 v[6:7], v[74:75], v[60:61]
	v_fmac_f64_e32 v[6:7], v[76:77], v[58:59]
	s_waitcnt lgkmcnt(8)
	v_mul_f64 v[8:9], v[86:87], v[66:67]
	v_mul_f64 v[60:61], v[76:77], v[60:61]
	s_waitcnt lgkmcnt(6)
	v_mul_f64 v[12:13], v[110:111], v[78:79]
	v_fma_f64 v[200:201], v[74:75], v[58:59], -v[60:61]
	v_fmac_f64_e32 v[12:13], v[112:113], v[80:81]
	v_mul_f64 v[66:67], v[88:89], v[66:67]
	v_mul_f64 v[10:11], v[98:99], v[70:71]
	;; [unrolled: 1-line block ×3, first 2 shown]
	s_waitcnt lgkmcnt(4)
	v_mul_f64 v[16:17], v[192:193], v[90:91]
	v_mul_f64 v[78:79], v[112:113], v[78:79]
	v_fmac_f64_e32 v[16:17], v[194:195], v[92:93]
	v_fma_f64 v[250:251], v[110:111], v[80:81], -v[78:79]
	v_mul_f64 v[14:15], v[114:115], v[82:83]
	v_mul_f64 v[82:83], v[116:117], v[82:83]
	s_waitcnt lgkmcnt(2)
	v_mul_f64 v[20:21], v[242:243], v[102:103]
	v_mul_f64 v[90:91], v[194:195], v[90:91]
	;; [unrolled: 1-line block ×5, first 2 shown]
	s_waitcnt lgkmcnt(1)
	v_mul_f64 v[22:23], v[246:247], v[106:107]
	v_mul_f64 v[106:107], v[248:249], v[106:107]
	v_fmac_f64_e32 v[8:9], v[88:89], v[68:69]
	v_fma_f64 v[202:203], v[86:87], v[68:69], -v[66:67]
	v_fmac_f64_e32 v[10:11], v[100:101], v[72:73]
	v_fma_f64 v[204:205], v[98:99], v[72:73], -v[70:71]
	;; [unrolled: 2-line block ×3, first 2 shown]
	v_fmac_f64_e32 v[18:19], v[198:199], v[96:97]
	v_fmac_f64_e32 v[20:21], v[244:245], v[104:105]
	;; [unrolled: 1-line block ×3, first 2 shown]
	v_fma_f64 v[198:199], v[196:197], v[96:97], -v[94:95]
	v_pk_mov_b32 v[2:3], v[0:1], v[0:1] op_sel:[0,1]
	v_mul_f64 v[0:1], v[62:63], v[56:57]
	v_fmac_f64_e32 v[0:1], v[64:65], v[54:55]
	v_add_f64 v[0:1], v[0:1], 0
	v_add_f64 v[0:1], v[0:1], v[6:7]
	;; [unrolled: 1-line block ×9, first 2 shown]
	ds_read_b128 v[6:9], v254 offset:960
	s_waitcnt lgkmcnt(1)
	v_mul_f64 v[10:11], v[118:119], v[4:5]
	v_add_f64 v[0:1], v[0:1], v[22:23]
	v_fmac_f64_e32 v[10:11], v[120:121], v[2:3]
	v_add_f64 v[0:1], v[0:1], v[10:11]
	ds_read_b128 v[10:13], v254 offset:976
	s_waitcnt lgkmcnt(1)
	v_mul_f64 v[14:15], v[6:7], v[126:127]
	v_fmac_f64_e32 v[14:15], v[8:9], v[142:143]
	v_add_f64 v[0:1], v[0:1], v[14:15]
	ds_read_b128 v[14:17], v254 offset:992
	s_waitcnt lgkmcnt(1)
	v_mul_f64 v[18:19], v[10:11], v[122:123]
	;; [unrolled: 5-line block ×4, first 2 shown]
	v_fmac_f64_e32 v[26:27], v[20:21], v[130:131]
	v_add_f64 v[0:1], v[0:1], v[26:27]
	ds_read_b128 v[26:29], v254 offset:1040
	s_waitcnt vmcnt(58) lgkmcnt(1)
	v_mul_f64 v[30:31], v[22:23], v[154:155]
	s_waitcnt vmcnt(56)
	v_fmac_f64_e32 v[30:31], v[24:25], v[158:159]
	v_add_f64 v[0:1], v[0:1], v[30:31]
	ds_read_b128 v[30:33], v254 offset:1056
	s_waitcnt lgkmcnt(1)
	v_mul_f64 v[34:35], v[26:27], v[132:133]
	v_fmac_f64_e32 v[34:35], v[28:29], v[134:135]
	v_add_f64 v[0:1], v[0:1], v[34:35]
	ds_read_b128 v[34:37], v254 offset:1072
	s_waitcnt vmcnt(50) lgkmcnt(1)
	v_mul_f64 v[38:39], v[30:31], v[162:163]
	s_waitcnt vmcnt(48)
	v_fmac_f64_e32 v[38:39], v[32:33], v[166:167]
	v_add_f64 v[0:1], v[0:1], v[38:39]
	ds_read_b128 v[38:41], v254 offset:1088
	s_waitcnt lgkmcnt(1)
	v_mul_f64 v[42:43], v[34:35], v[136:137]
	;; [unrolled: 11-line block ×3, first 2 shown]
	buffer_load_dword v177, off, s[0:3], 0 offset:604
	buffer_load_dword v176, off, s[0:3], 0 offset:600
	;; [unrolled: 1-line block ×4, first 2 shown]
	v_fmac_f64_e32 v[50:51], v[44:45], v[144:145]
	v_add_f64 v[0:1], v[0:1], v[50:51]
	ds_read_b128 v[50:53], v254 offset:1136
	buffer_load_dword v180, off, s[0:3], 0 offset:616
	buffer_load_dword v182, off, s[0:3], 0 offset:608
	;; [unrolled: 1-line block ×20, first 2 shown]
	s_waitcnt vmcnt(58) lgkmcnt(1)
	v_mul_f64 v[184:185], v[46:47], v[208:209]
	s_waitcnt vmcnt(56)
	v_fmac_f64_e32 v[184:185], v[48:49], v[212:213]
	v_mul_f64 v[56:57], v[64:65], v[56:57]
	v_add_f64 v[0:1], v[0:1], v[184:185]
	v_fma_f64 v[184:185], v[62:63], v[54:55], -v[56:57]
	ds_read_b128 v[54:57], v254 offset:1152
	ds_read_b128 v[58:61], v254 offset:1168
	s_waitcnt lgkmcnt(2)
	v_mul_f64 v[62:63], v[50:51], v[148:149]
	v_fmac_f64_e32 v[62:63], v[52:53], v[152:153]
	v_add_f64 v[0:1], v[0:1], v[62:63]
	s_waitcnt vmcnt(50) lgkmcnt(1)
	v_mul_f64 v[62:63], v[54:55], v[216:217]
	s_waitcnt vmcnt(48)
	v_fmac_f64_e32 v[62:63], v[56:57], v[218:219]
	v_add_f64 v[0:1], v[0:1], v[62:63]
	s_waitcnt lgkmcnt(0)
	v_mul_f64 v[62:63], v[58:59], v[156:157]
	v_fmac_f64_e32 v[62:63], v[60:61], v[160:161]
	v_add_f64 v[0:1], v[0:1], v[62:63]
	ds_read_b128 v[62:65], v254 offset:1184
	ds_read_b128 v[66:69], v254 offset:1200
	;; [unrolled: 1-line block ×5, first 2 shown]
	s_waitcnt vmcnt(42) lgkmcnt(4)
	v_mul_f64 v[74:75], v[62:63], v[220:221]
	s_waitcnt vmcnt(40)
	v_fmac_f64_e32 v[74:75], v[64:65], v[222:223]
	v_add_f64 v[0:1], v[0:1], v[74:75]
	s_waitcnt lgkmcnt(3)
	v_mul_f64 v[74:75], v[66:67], v[164:165]
	v_fmac_f64_e32 v[74:75], v[68:69], v[168:169]
	v_add_f64 v[0:1], v[0:1], v[74:75]
	ds_read_b128 v[74:77], v254 offset:1232
	s_waitcnt vmcnt(34) lgkmcnt(3)
	v_mul_f64 v[86:87], v[70:71], v[224:225]
	s_waitcnt vmcnt(32)
	v_fmac_f64_e32 v[86:87], v[72:73], v[226:227]
	v_add_f64 v[0:1], v[0:1], v[86:87]
	v_accvgpr_write_b32 a135, v3
	s_waitcnt lgkmcnt(0)
	v_mul_f64 v[86:87], v[74:75], v[172:173]
	v_fmac_f64_e32 v[86:87], v[76:77], v[206:207]
	v_add_f64 v[0:1], v[0:1], v[86:87]
	s_waitcnt vmcnt(26)
	v_mul_f64 v[86:87], v[78:79], v[228:229]
	s_waitcnt vmcnt(24)
	v_fmac_f64_e32 v[86:87], v[80:81], v[230:231]
	v_add_f64 v[0:1], v[0:1], v[86:87]
	v_mul_f64 v[86:87], v[82:83], v[210:211]
	v_fmac_f64_e32 v[86:87], v[84:85], v[214:215]
	v_add_f64 v[0:1], v[0:1], v[86:87]
	ds_read_b128 v[86:89], v254 offset:1280
	v_accvgpr_write_b32 a134, v2
	v_fma_f64 v[2:3], v[192:193], v[92:93], -v[90:91]
	ds_read_b128 v[90:93], v254 offset:1296
	ds_read_b128 v[94:97], v254 offset:1312
	v_fma_f64 v[242:243], v[242:243], v[104:105], -v[102:103]
	ds_read_b128 v[102:105], v254 offset:1344
	v_fma_f64 v[196:197], v[246:247], v[108:109], -v[106:107]
	ds_read_b128 v[106:109], v254 offset:1360
	v_add_f64 v[184:185], v[184:185], 0
	v_add_f64 v[184:185], v[184:185], v[200:201]
	;; [unrolled: 1-line block ×8, first 2 shown]
	v_mul_f64 v[4:5], v[120:121], v[4:5]
	v_accvgpr_read_b32 v120, a134
	v_add_f64 v[252:253], v[2:3], v[242:243]
	v_accvgpr_read_b32 v121, a135
	v_add_f64 v[2:3], v[252:253], v[196:197]
	v_fma_f64 v[4:5], v[118:119], v[120:121], -v[4:5]
	v_add_f64 v[2:3], v[2:3], v[4:5]
	v_mul_f64 v[4:5], v[8:9], v[126:127]
	v_fma_f64 v[4:5], v[6:7], v[142:143], -v[4:5]
	v_add_f64 v[2:3], v[2:3], v[4:5]
	v_mul_f64 v[4:5], v[12:13], v[122:123]
	v_fma_f64 v[4:5], v[10:11], v[124:125], -v[4:5]
	v_add_f64 v[2:3], v[2:3], v[4:5]
	s_waitcnt vmcnt(22) lgkmcnt(4)
	v_mul_f64 v[98:99], v[86:87], v[176:177]
	v_mul_f64 v[4:5], v[16:17], v[146:147]
	s_waitcnt vmcnt(20)
	v_fmac_f64_e32 v[98:99], v[88:89], v[178:179]
	v_add_f64 v[0:1], v[0:1], v[98:99]
	v_fma_f64 v[4:5], v[14:15], v[150:151], -v[4:5]
	s_waitcnt vmcnt(17) lgkmcnt(3)
	v_mul_f64 v[98:99], v[90:91], v[180:181]
	s_waitcnt vmcnt(16)
	v_fmac_f64_e32 v[98:99], v[92:93], v[182:183]
	v_add_f64 v[0:1], v[0:1], v[98:99]
	ds_read_b128 v[98:101], v254 offset:1328
	s_waitcnt vmcnt(14) lgkmcnt(3)
	v_mul_f64 v[110:111], v[94:95], v[232:233]
	s_waitcnt vmcnt(12)
	v_fmac_f64_e32 v[110:111], v[96:97], v[190:191]
	buffer_load_dword v193, off, s[0:3], 0 offset:700
	buffer_load_dword v192, off, s[0:3], 0 offset:696
	;; [unrolled: 1-line block ×4, first 2 shown]
	v_add_f64 v[0:1], v[0:1], v[110:111]
	s_waitcnt vmcnt(14) lgkmcnt(0)
	v_mul_f64 v[110:111], v[98:99], v[188:189]
	s_waitcnt vmcnt(12)
	v_fmac_f64_e32 v[110:111], v[100:101], v[234:235]
	v_add_f64 v[0:1], v[0:1], v[110:111]
	s_waitcnt vmcnt(9)
	v_mul_f64 v[110:111], v[102:103], v[238:239]
	s_waitcnt vmcnt(7)
	v_fmac_f64_e32 v[110:111], v[104:105], v[240:241]
	v_add_f64 v[0:1], v[0:1], v[110:111]
	s_waitcnt vmcnt(5)
	v_mul_f64 v[110:111], v[106:107], v[186:187]
	s_waitcnt vmcnt(4)
	v_fmac_f64_e32 v[110:111], v[108:109], v[236:237]
	v_add_f64 v[0:1], v[0:1], v[110:111]
	ds_read_b128 v[110:113], v254 offset:1376
	buffer_load_dword v244, off, s[0:3], 0 offset:712
	buffer_load_dword v245, off, s[0:3], 0 offset:716
	;; [unrolled: 1-line block ×4, first 2 shown]
	v_add_f64 v[2:3], v[2:3], v[4:5]
	v_mul_f64 v[4:5], v[20:21], v[128:129]
	v_fma_f64 v[4:5], v[18:19], v[130:131], -v[4:5]
	v_add_f64 v[2:3], v[2:3], v[4:5]
	v_mul_f64 v[4:5], v[24:25], v[154:155]
	v_fma_f64 v[4:5], v[22:23], v[158:159], -v[4:5]
	;; [unrolled: 3-line block ×21, first 2 shown]
	v_add_f64 v[2:3], v[2:3], v[4:5]
	v_mul_f64 v[4:5], v[104:105], v[238:239]
	s_waitcnt vmcnt(6) lgkmcnt(0)
	v_mul_f64 v[114:115], v[110:111], v[192:193]
	v_fma_f64 v[4:5], v[102:103], v[240:241], -v[4:5]
	s_waitcnt vmcnt(4)
	v_fmac_f64_e32 v[114:115], v[112:113], v[194:195]
	v_add_f64 v[0:1], v[0:1], v[114:115]
	ds_read_b128 v[114:117], v254 offset:1392
	buffer_load_dword v250, off, s[0:3], 0 offset:80
	buffer_load_dword v251, off, s[0:3], 0 offset:84
	v_add_f64 v[2:3], v[2:3], v[4:5]
	v_mul_f64 v[4:5], v[108:109], v[186:187]
	v_fma_f64 v[4:5], v[106:107], v[236:237], -v[4:5]
	v_add_f64 v[2:3], v[2:3], v[4:5]
	v_mul_f64 v[4:5], v[112:113], v[192:193]
	v_fma_f64 v[4:5], v[110:111], v[194:195], -v[4:5]
	s_waitcnt vmcnt(4) lgkmcnt(0)
	v_mul_f64 v[248:249], v[114:115], v[244:245]
	v_add_f64 v[2:3], v[2:3], v[4:5]
	s_waitcnt vmcnt(2)
	v_fmac_f64_e32 v[248:249], v[116:117], v[246:247]
	v_add_f64 v[0:1], v[0:1], v[248:249]
	buffer_load_dword v248, off, s[0:3], 0 offset:88
	buffer_load_dword v249, off, s[0:3], 0 offset:92
	v_mul_f64 v[4:5], v[116:117], v[244:245]
	v_fma_f64 v[4:5], v[114:115], v[246:247], -v[4:5]
	v_add_f64 v[2:3], v[2:3], v[4:5]
	s_waitcnt vmcnt(2)
	v_add_f64 v[2:3], v[250:251], -v[2:3]
	s_waitcnt vmcnt(0)
	v_add_f64 v[0:1], v[248:249], -v[0:1]
	buffer_store_dword v3, off, s[0:3], 0 offset:84
	buffer_store_dword v2, off, s[0:3], 0 offset:80
	;; [unrolled: 1-line block ×4, first 2 shown]
	s_and_saveexec_b64 s[4:5], vcc
	s_cbranch_execz .LBB107_271
; %bb.270:
	v_accvgpr_read_b32 v0, a128
	buffer_load_dword v2, v0, s[0:3], 0 offen
	buffer_load_dword v3, v0, s[0:3], 0 offen offset:4
	buffer_load_dword v4, v0, s[0:3], 0 offen offset:8
	;; [unrolled: 1-line block ×3, first 2 shown]
	v_accvgpr_read_b32 v0, a132
	buffer_store_dword v254, off, s[0:3], 0 offset:64
	buffer_store_dword v254, off, s[0:3], 0 offset:68
	;; [unrolled: 1-line block ×4, first 2 shown]
	s_waitcnt vmcnt(4)
	ds_write_b128 v0, v[2:5]
.LBB107_271:
	s_or_b64 exec, exec, s[4:5]
	s_waitcnt lgkmcnt(0)
	; wave barrier
	s_waitcnt lgkmcnt(0)
	buffer_load_dword v56, off, s[0:3], 0 offset:80
	buffer_load_dword v57, off, s[0:3], 0 offset:84
	;; [unrolled: 1-line block ×42, first 2 shown]
	ds_read_b128 v[78:81], v254 offset:768
	ds_read_b128 v[90:93], v254 offset:784
	;; [unrolled: 1-line block ×10, first 2 shown]
	buffer_load_dword v1, off, s[0:3], 0 offset:228
	buffer_load_dword v0, off, s[0:3], 0 offset:224
	ds_read_b128 v[106:109], v254 offset:928
	buffer_load_dword v3, off, s[0:3], 0 offset:284
	buffer_load_dword v2, off, s[0:3], 0 offset:280
	s_waitcnt vmcnt(38) lgkmcnt(9)
	v_mul_f64 v[4:5], v[90:91], v[62:63]
	v_fmac_f64_e32 v[4:5], v[92:93], v[54:55]
	s_waitcnt vmcnt(36) lgkmcnt(8)
	v_mul_f64 v[6:7], v[114:115], v[58:59]
	v_mul_f64 v[58:59], v[116:117], v[58:59]
	s_waitcnt vmcnt(34) lgkmcnt(6)
	v_mul_f64 v[10:11], v[196:197], v[70:71]
	v_mul_f64 v[70:71], v[198:199], v[70:71]
	s_waitcnt vmcnt(32)
	v_fmac_f64_e32 v[10:11], v[198:199], v[72:73]
	v_fma_f64 v[196:197], v[196:197], v[72:73], -v[70:71]
	s_waitcnt vmcnt(30)
	v_mul_f64 v[8:9], v[192:193], v[64:65]
	s_waitcnt vmcnt(28) lgkmcnt(4)
	v_mul_f64 v[14:15], v[246:247], v[82:83]
	v_mul_f64 v[82:83], v[248:249], v[82:83]
	s_waitcnt vmcnt(26)
	v_fmac_f64_e32 v[14:15], v[248:249], v[84:85]
	v_fma_f64 v[248:249], v[246:247], v[84:85], -v[82:83]
	s_waitcnt vmcnt(24)
	v_mul_f64 v[12:13], v[242:243], v[74:75]
	v_mul_f64 v[74:75], v[244:245], v[74:75]
	s_waitcnt vmcnt(22) lgkmcnt(2)
	v_mul_f64 v[18:19], v[200:201], v[94:95]
	s_waitcnt vmcnt(19)
	v_mul_f64 v[16:17], v[250:251], v[86:87]
	v_mul_f64 v[86:87], v[252:253], v[86:87]
	s_waitcnt vmcnt(17) lgkmcnt(1)
	v_mul_f64 v[20:21], v[98:99], v[102:103]
	s_waitcnt vmcnt(15)
	v_fmac_f64_e32 v[6:7], v[116:117], v[68:69]
	s_waitcnt vmcnt(13)
	v_fmac_f64_e32 v[8:9], v[194:195], v[66:67]
	;; [unrolled: 2-line block ×3, first 2 shown]
	v_fma_f64 v[242:243], v[242:243], v[76:77], -v[74:75]
	s_waitcnt vmcnt(9)
	v_fmac_f64_e32 v[16:17], v[252:253], v[88:89]
	s_waitcnt vmcnt(8)
	v_fmac_f64_e32 v[18:19], v[202:203], v[96:97]
	v_fma_f64 v[250:251], v[250:251], v[88:89], -v[86:87]
	s_waitcnt vmcnt(2)
	v_fmac_f64_e32 v[20:21], v[100:101], v[0:1]
	s_waitcnt vmcnt(0)
	v_pk_mov_b32 v[22:23], v[2:3], v[2:3] op_sel:[0,1]
	buffer_load_dword v3, off, s[0:3], 0 offset:276
	buffer_load_dword v2, off, s[0:3], 0 offset:272
	;; [unrolled: 1-line block ×78, first 2 shown]
	ds_read_b128 v[118:121], v254 offset:944
	v_accvgpr_write_b32 a135, v23
	v_accvgpr_write_b32 a134, v22
	s_waitcnt vmcnt(62)
	v_pk_mov_b32 v[24:25], v[2:3], v[2:3] op_sel:[0,1]
	v_mul_f64 v[2:3], v[78:79], v[60:61]
	v_fmac_f64_e32 v[2:3], v[80:81], v[56:57]
	v_add_f64 v[2:3], v[2:3], 0
	v_add_f64 v[2:3], v[2:3], v[4:5]
	;; [unrolled: 1-line block ×9, first 2 shown]
	s_waitcnt lgkmcnt(1)
	v_mul_f64 v[8:9], v[106:107], v[110:111]
	v_add_f64 v[6:7], v[2:3], v[20:21]
	v_fmac_f64_e32 v[8:9], v[108:109], v[112:113]
	v_add_f64 v[10:11], v[6:7], v[8:9]
	ds_read_b128 v[6:9], v254 offset:960
	s_waitcnt lgkmcnt(1)
	v_mul_f64 v[12:13], v[118:119], v[122:123]
	v_fmac_f64_e32 v[12:13], v[120:121], v[138:139]
	v_add_f64 v[14:15], v[10:11], v[12:13]
	ds_read_b128 v[10:13], v254 offset:976
	s_waitcnt lgkmcnt(1)
	v_mul_f64 v[16:17], v[6:7], v[22:23]
	;; [unrolled: 5-line block ×3, first 2 shown]
	v_fmac_f64_e32 v[20:21], v[12:13], v[146:147]
	v_add_f64 v[22:23], v[18:19], v[20:21]
	ds_read_b128 v[18:21], v254 offset:1008
	v_accvgpr_write_b32 a137, v25
	v_accvgpr_write_b32 a136, v24
	s_waitcnt lgkmcnt(1)
	v_mul_f64 v[24:25], v[14:15], v[124:125]
	v_fmac_f64_e32 v[24:25], v[16:17], v[126:127]
	v_add_f64 v[26:27], v[22:23], v[24:25]
	ds_read_b128 v[22:25], v254 offset:1024
	s_waitcnt vmcnt(58) lgkmcnt(1)
	v_mul_f64 v[28:29], v[18:19], v[150:151]
	s_waitcnt vmcnt(56)
	v_fmac_f64_e32 v[28:29], v[20:21], v[154:155]
	v_add_f64 v[30:31], v[26:27], v[28:29]
	ds_read_b128 v[26:29], v254 offset:1040
	s_waitcnt lgkmcnt(1)
	v_mul_f64 v[32:33], v[22:23], v[128:129]
	v_fmac_f64_e32 v[32:33], v[24:25], v[130:131]
	v_add_f64 v[34:35], v[30:31], v[32:33]
	ds_read_b128 v[30:33], v254 offset:1056
	s_waitcnt vmcnt(50) lgkmcnt(1)
	v_mul_f64 v[36:37], v[26:27], v[158:159]
	s_waitcnt vmcnt(48)
	v_fmac_f64_e32 v[36:37], v[28:29], v[162:163]
	v_add_f64 v[38:39], v[34:35], v[36:37]
	ds_read_b128 v[34:37], v254 offset:1072
	;; [unrolled: 11-line block ×4, first 2 shown]
	buffer_load_dword v176, off, s[0:3], 0 offset:600
	buffer_load_dword v181, off, s[0:3], 0 offset:588
	;; [unrolled: 1-line block ×16, first 2 shown]
	s_waitcnt lgkmcnt(1)
	v_mul_f64 v[184:185], v[46:47], v[144:145]
	v_fmac_f64_e32 v[184:185], v[48:49], v[148:149]
	v_mul_f64 v[60:61], v[80:81], v[60:61]
	v_add_f64 v[104:105], v[104:105], v[184:185]
	s_waitcnt vmcnt(42) lgkmcnt(0)
	v_mul_f64 v[184:185], v[50:51], v[212:213]
	v_fma_f64 v[204:205], v[78:79], v[56:57], -v[60:61]
	v_mul_f64 v[56:57], v[92:93], v[62:63]
	v_fma_f64 v[2:3], v[90:91], v[54:55], -v[56:57]
	buffer_load_dword v190, off, s[0:3], 0 offset:664
	buffer_load_dword v235, off, s[0:3], 0 offset:652
	;; [unrolled: 1-line block ×12, first 2 shown]
	s_waitcnt vmcnt(52)
	v_fmac_f64_e32 v[184:185], v[52:53], v[214:215]
	ds_read_b128 v[54:57], v254 offset:1152
	v_add_f64 v[4:5], v[104:105], v[184:185]
	v_fma_f64 v[184:185], v[114:115], v[68:69], -v[58:59]
	ds_read_b128 v[58:61], v254 offset:1168
	v_mul_f64 v[62:63], v[194:195], v[64:65]
	v_fma_f64 v[104:105], v[192:193], v[66:67], -v[62:63]
	ds_read_b128 v[62:65], v254 offset:1184
	ds_read_b128 v[70:73], v254 offset:1216
	s_waitcnt lgkmcnt(3)
	v_mul_f64 v[68:69], v[54:55], v[152:153]
	v_fmac_f64_e32 v[68:69], v[56:57], v[156:157]
	s_waitcnt vmcnt(46) lgkmcnt(2)
	v_mul_f64 v[66:67], v[58:59], v[216:217]
	v_add_f64 v[4:5], v[4:5], v[68:69]
	s_waitcnt vmcnt(44)
	v_fmac_f64_e32 v[66:67], v[60:61], v[218:219]
	v_add_f64 v[4:5], v[4:5], v[66:67]
	s_waitcnt lgkmcnt(1)
	v_mul_f64 v[66:67], v[62:63], v[160:161]
	v_fmac_f64_e32 v[66:67], v[64:65], v[164:165]
	v_add_f64 v[4:5], v[4:5], v[66:67]
	ds_read_b128 v[66:69], v254 offset:1200
	ds_read_b128 v[74:77], v254 offset:1232
	;; [unrolled: 1-line block ×4, first 2 shown]
	s_waitcnt vmcnt(38) lgkmcnt(3)
	v_mul_f64 v[78:79], v[66:67], v[220:221]
	s_waitcnt vmcnt(36)
	v_fmac_f64_e32 v[78:79], v[68:69], v[222:223]
	v_add_f64 v[4:5], v[4:5], v[78:79]
	v_mul_f64 v[78:79], v[70:71], v[168:169]
	v_fmac_f64_e32 v[78:79], v[72:73], v[172:173]
	v_add_f64 v[4:5], v[4:5], v[78:79]
	s_waitcnt vmcnt(30) lgkmcnt(2)
	v_mul_f64 v[78:79], v[74:75], v[224:225]
	s_waitcnt vmcnt(28)
	v_fmac_f64_e32 v[78:79], v[76:77], v[226:227]
	v_add_f64 v[4:5], v[4:5], v[78:79]
	ds_read_b128 v[78:81], v254 offset:1248
	s_waitcnt lgkmcnt(0)
	v_mul_f64 v[90:91], v[78:79], v[206:207]
	v_fmac_f64_e32 v[90:91], v[80:81], v[210:211]
	v_add_f64 v[4:5], v[4:5], v[90:91]
	s_waitcnt vmcnt(25)
	v_mul_f64 v[90:91], v[82:83], v[180:181]
	s_waitcnt vmcnt(23)
	v_fmac_f64_e32 v[90:91], v[84:85], v[182:183]
	v_add_f64 v[4:5], v[4:5], v[90:91]
	s_waitcnt vmcnt(21)
	v_mul_f64 v[90:91], v[86:87], v[176:177]
	s_waitcnt vmcnt(20)
	v_fmac_f64_e32 v[90:91], v[88:89], v[178:179]
	v_add_f64 v[114:115], v[4:5], v[90:91]
	ds_read_b128 v[90:93], v254 offset:1296
	v_mul_f64 v[4:5], v[202:203], v[94:95]
	v_fma_f64 v[202:203], v[200:201], v[96:97], -v[4:5]
	ds_read_b128 v[94:97], v254 offset:1312
	v_mul_f64 v[4:5], v[100:101], v[102:103]
	s_waitcnt vmcnt(18) lgkmcnt(1)
	v_mul_f64 v[116:117], v[90:91], v[186:187]
	s_waitcnt vmcnt(16)
	v_fmac_f64_e32 v[116:117], v[92:93], v[188:189]
	v_fma_f64 v[4:5], v[98:99], v[0:1], -v[4:5]
	s_waitcnt vmcnt(14) lgkmcnt(0)
	v_mul_f64 v[102:103], v[94:95], v[228:229]
	v_add_f64 v[0:1], v[114:115], v[116:117]
	s_waitcnt vmcnt(12)
	v_fmac_f64_e32 v[102:103], v[96:97], v[230:231]
	v_add_f64 v[0:1], v[0:1], v[102:103]
	v_mul_f64 v[102:103], v[108:109], v[110:111]
	ds_read_b128 v[98:101], v254 offset:1328
	ds_read_b128 v[198:201], v254 offset:1344
	v_fma_f64 v[252:253], v[106:107], v[112:113], -v[102:103]
	ds_read_b128 v[106:109], v254 offset:1360
	buffer_load_dword v192, off, s[0:3], 0 offset:696
	buffer_load_dword v193, off, s[0:3], 0 offset:700
	;; [unrolled: 1-line block ×4, first 2 shown]
	ds_read_b128 v[110:113], v254 offset:1376
	buffer_load_dword v245, off, s[0:3], 0 offset:716
	buffer_load_dword v244, off, s[0:3], 0 offset:712
	;; [unrolled: 1-line block ×4, first 2 shown]
	s_waitcnt vmcnt(17) lgkmcnt(3)
	v_mul_f64 v[102:103], v[98:99], v[234:235]
	s_waitcnt vmcnt(15)
	v_fmac_f64_e32 v[102:103], v[100:101], v[238:239]
	v_add_f64 v[0:1], v[0:1], v[102:103]
	s_waitcnt vmcnt(13) lgkmcnt(2)
	v_mul_f64 v[102:103], v[198:199], v[190:191]
	s_waitcnt vmcnt(12)
	v_fmac_f64_e32 v[102:103], v[200:201], v[232:233]
	ds_read_b128 v[114:117], v254 offset:1392
	v_add_f64 v[0:1], v[0:1], v[102:103]
	s_waitcnt vmcnt(10) lgkmcnt(2)
	v_mul_f64 v[102:103], v[106:107], v[236:237]
	s_waitcnt vmcnt(8)
	v_fmac_f64_e32 v[102:103], v[108:109], v[240:241]
	v_add_f64 v[0:1], v[0:1], v[102:103]
	s_waitcnt vmcnt(6) lgkmcnt(1)
	v_mul_f64 v[102:103], v[110:111], v[192:193]
	s_waitcnt vmcnt(4)
	v_fmac_f64_e32 v[102:103], v[112:113], v[194:195]
	;; [unrolled: 5-line block ×3, first 2 shown]
	v_add_f64 v[0:1], v[0:1], v[102:103]
	v_add_f64 v[102:103], v[204:205], 0
	;; [unrolled: 1-line block ×8, first 2 shown]
	buffer_load_dword v248, off, s[0:3], 0 offset:64
	buffer_load_dword v249, off, s[0:3], 0 offset:68
	;; [unrolled: 1-line block ×4, first 2 shown]
	v_add_f64 v[2:3], v[2:3], v[250:251]
	v_add_f64 v[254:255], v[2:3], v[202:203]
	v_add_f64 v[2:3], v[254:255], v[4:5]
	v_mul_f64 v[4:5], v[120:121], v[122:123]
	v_add_f64 v[2:3], v[2:3], v[252:253]
	v_fma_f64 v[4:5], v[118:119], v[138:139], -v[4:5]
	v_add_f64 v[2:3], v[2:3], v[4:5]
	v_accvgpr_read_b32 v4, a134
	v_accvgpr_read_b32 v5, a135
	v_mul_f64 v[4:5], v[8:9], v[4:5]
	v_accvgpr_read_b32 v8, a136
	v_accvgpr_read_b32 v9, a137
	v_fma_f64 v[4:5], v[6:7], v[8:9], -v[4:5]
	v_add_f64 v[2:3], v[2:3], v[4:5]
	v_mul_f64 v[4:5], v[12:13], v[142:143]
	v_fma_f64 v[4:5], v[10:11], v[146:147], -v[4:5]
	v_add_f64 v[2:3], v[2:3], v[4:5]
	v_mul_f64 v[4:5], v[16:17], v[124:125]
	;; [unrolled: 3-line block ×27, first 2 shown]
	v_fma_f64 v[4:5], v[114:115], v[246:247], -v[4:5]
	v_add_f64 v[2:3], v[2:3], v[4:5]
	s_waitcnt vmcnt(2)
	v_add_f64 v[2:3], v[248:249], -v[2:3]
	s_waitcnt vmcnt(0)
	v_add_f64 v[0:1], v[196:197], -v[0:1]
	buffer_store_dword v3, off, s[0:3], 0 offset:68
	buffer_store_dword v2, off, s[0:3], 0 offset:64
	;; [unrolled: 1-line block ×4, first 2 shown]
	v_accvgpr_read_b32 v0, a131
	v_cmp_lt_u32_e32 vcc, 2, v0
	s_and_saveexec_b64 s[4:5], vcc
	s_cbranch_execz .LBB107_273
; %bb.272:
	v_accvgpr_read_b32 v0, a129
	buffer_load_dword v2, v0, s[0:3], 0 offen
	buffer_load_dword v3, v0, s[0:3], 0 offen offset:4
	buffer_load_dword v4, v0, s[0:3], 0 offen offset:8
	;; [unrolled: 1-line block ×3, first 2 shown]
	v_mov_b32_e32 v0, 0
	v_accvgpr_read_b32 v1, a132
	buffer_store_dword v0, off, s[0:3], 0 offset:48
	buffer_store_dword v0, off, s[0:3], 0 offset:52
	;; [unrolled: 1-line block ×4, first 2 shown]
	s_waitcnt vmcnt(4)
	ds_write_b128 v1, v[2:5]
.LBB107_273:
	s_or_b64 exec, exec, s[4:5]
	s_waitcnt lgkmcnt(0)
	; wave barrier
	s_waitcnt lgkmcnt(0)
	buffer_load_dword v54, off, s[0:3], 0 offset:64
	buffer_load_dword v55, off, s[0:3], 0 offset:68
	;; [unrolled: 1-line block ×46, first 2 shown]
	v_mov_b32_e32 v196, 0
	s_waitcnt vmcnt(0)
	v_pk_mov_b32 v[20:21], v[0:1], v[0:1] op_sel:[0,1]
	buffer_load_dword v1, off, s[0:3], 0 offset:260
	buffer_load_dword v0, off, s[0:3], 0 offset:256
	;; [unrolled: 1-line block ×3, first 2 shown]
	ds_read_b128 v[94:97], v196 offset:752
	ds_read_b128 v[108:111], v196 offset:768
	;; [unrolled: 1-line block ×11, first 2 shown]
	buffer_load_dword v106, off, s[0:3], 0 offset:248
	buffer_load_dword v185, off, s[0:3], 0 offset:244
	;; [unrolled: 1-line block ×75, first 2 shown]
	s_waitcnt lgkmcnt(9)
	v_mul_f64 v[2:3], v[108:109], v[62:63]
	s_waitcnt lgkmcnt(8)
	v_mul_f64 v[4:5], v[112:113], v[60:61]
	v_fmac_f64_e32 v[2:3], v[110:111], v[58:59]
	s_waitcnt lgkmcnt(7)
	v_mul_f64 v[6:7], v[172:173], v[68:69]
	v_fmac_f64_e32 v[4:5], v[114:115], v[84:85]
	;; [unrolled: 3-line block ×5, first 2 shown]
	ds_read_b128 v[86:89], v196 offset:928
	ds_read_b128 v[118:121], v196 offset:944
	s_waitcnt lgkmcnt(5)
	v_mul_f64 v[14:15], v[190:191], v[78:79]
	v_fmac_f64_e32 v[12:13], v[188:189], v[76:77]
	s_waitcnt lgkmcnt(4)
	v_mul_f64 v[16:17], v[198:199], v[116:117]
	v_fmac_f64_e32 v[14:15], v[192:193], v[80:81]
	;; [unrolled: 3-line block ×3, first 2 shown]
	v_fmac_f64_e32 v[18:19], v[204:205], v[92:93]
	v_accvgpr_write_b32 a135, v21
	v_accvgpr_write_b32 a134, v20
	v_mul_f64 v[62:63], v[110:111], v[62:63]
	v_mul_f64 v[74:75], v[188:189], v[74:75]
	v_fma_f64 v[188:189], v[186:187], v[76:77], -v[74:75]
	v_mul_f64 v[78:79], v[192:193], v[78:79]
	v_fma_f64 v[190:191], v[190:191], v[80:81], -v[78:79]
	;; [unrolled: 2-line block ×4, first 2 shown]
	s_waitcnt vmcnt(62)
	v_pk_mov_b32 v[22:23], v[0:1], v[0:1] op_sel:[0,1]
	v_mul_f64 v[0:1], v[94:95], v[56:57]
	v_fmac_f64_e32 v[0:1], v[96:97], v[54:55]
	v_add_f64 v[0:1], v[0:1], 0
	v_add_f64 v[0:1], v[0:1], v[2:3]
	;; [unrolled: 1-line block ×9, first 2 shown]
	s_waitcnt lgkmcnt(2)
	v_mul_f64 v[2:3], v[98:99], v[102:103]
	v_add_f64 v[0:1], v[0:1], v[18:19]
	v_fmac_f64_e32 v[2:3], v[100:101], v[104:105]
	s_waitcnt lgkmcnt(1)
	v_mul_f64 v[6:7], v[86:87], v[106:107]
	v_add_f64 v[0:1], v[0:1], v[2:3]
	v_fmac_f64_e32 v[6:7], v[88:89], v[184:185]
	s_waitcnt lgkmcnt(0)
	v_mul_f64 v[10:11], v[118:119], v[20:21]
	v_add_f64 v[0:1], v[0:1], v[6:7]
	ds_read_b128 v[6:9], v196 offset:960
	v_fmac_f64_e32 v[10:11], v[120:121], v[22:23]
	v_add_f64 v[0:1], v[0:1], v[10:11]
	ds_read_b128 v[10:13], v196 offset:976
	v_accvgpr_write_b32 a137, v23
	s_waitcnt lgkmcnt(1)
	v_mul_f64 v[14:15], v[6:7], v[218:219]
	v_fmac_f64_e32 v[14:15], v[8:9], v[222:223]
	v_add_f64 v[0:1], v[0:1], v[14:15]
	s_waitcnt lgkmcnt(0)
	v_mul_f64 v[18:19], v[10:11], v[208:209]
	ds_read_b128 v[14:17], v196 offset:992
	v_fmac_f64_e32 v[18:19], v[12:13], v[206:207]
	v_add_f64 v[0:1], v[0:1], v[18:19]
	ds_read_b128 v[18:21], v196 offset:1008
	v_accvgpr_write_b32 a136, v22
	s_waitcnt vmcnt(58) lgkmcnt(1)
	v_mul_f64 v[22:23], v[14:15], v[226:227]
	s_waitcnt vmcnt(56)
	v_fmac_f64_e32 v[22:23], v[16:17], v[230:231]
	v_add_f64 v[0:1], v[0:1], v[22:23]
	s_waitcnt lgkmcnt(0)
	v_mul_f64 v[26:27], v[18:19], v[122:123]
	ds_read_b128 v[22:25], v196 offset:1024
	v_fmac_f64_e32 v[26:27], v[20:21], v[124:125]
	v_add_f64 v[0:1], v[0:1], v[26:27]
	ds_read_b128 v[26:29], v196 offset:1040
	v_mul_f64 v[56:57], v[96:97], v[56:57]
	s_waitcnt vmcnt(50) lgkmcnt(1)
	v_mul_f64 v[30:31], v[22:23], v[234:235]
	s_waitcnt vmcnt(48)
	v_fmac_f64_e32 v[30:31], v[24:25], v[238:239]
	v_add_f64 v[0:1], v[0:1], v[30:31]
	s_waitcnt lgkmcnt(0)
	v_mul_f64 v[34:35], v[26:27], v[210:211]
	ds_read_b128 v[30:33], v196 offset:1056
	v_fmac_f64_e32 v[34:35], v[28:29], v[212:213]
	v_add_f64 v[0:1], v[0:1], v[34:35]
	ds_read_b128 v[34:37], v196 offset:1072
	v_fma_f64 v[4:5], v[94:95], v[54:55], -v[56:57]
	s_waitcnt vmcnt(42) lgkmcnt(1)
	v_mul_f64 v[38:39], v[30:31], v[242:243]
	s_waitcnt vmcnt(40)
	v_fmac_f64_e32 v[38:39], v[32:33], v[246:247]
	v_add_f64 v[0:1], v[0:1], v[38:39]
	s_waitcnt lgkmcnt(0)
	v_mul_f64 v[42:43], v[34:35], v[214:215]
	ds_read_b128 v[38:41], v196 offset:1088
	v_fmac_f64_e32 v[42:43], v[36:37], v[216:217]
	v_add_f64 v[0:1], v[0:1], v[42:43]
	ds_read_b128 v[42:45], v196 offset:1104
	v_fma_f64 v[96:97], v[108:109], v[58:59], -v[62:63]
	s_waitcnt vmcnt(34) lgkmcnt(1)
	v_mul_f64 v[46:47], v[38:39], v[250:251]
	s_waitcnt vmcnt(32)
	v_fmac_f64_e32 v[46:47], v[40:41], v[254:255]
	v_add_f64 v[0:1], v[0:1], v[46:47]
	s_waitcnt lgkmcnt(0)
	v_mul_f64 v[50:51], v[42:43], v[220:221]
	v_fmac_f64_e32 v[50:51], v[44:45], v[224:225]
	ds_read_b128 v[46:49], v196 offset:1120
	v_add_f64 v[0:1], v[0:1], v[50:51]
	ds_read_b128 v[50:53], v196 offset:1136
	buffer_load_dword v145, off, s[0:3], 0 offset:572
	buffer_load_dword v144, off, s[0:3], 0 offset:568
	buffer_load_dword v147, off, s[0:3], 0 offset:564
	buffer_load_dword v146, off, s[0:3], 0 offset:560
	buffer_load_dword v150, off, s[0:3], 0 offset:584
	buffer_load_dword v152, off, s[0:3], 0 offset:576
	buffer_load_dword v151, off, s[0:3], 0 offset:588
	buffer_load_dword v153, off, s[0:3], 0 offset:580
	s_waitcnt vmcnt(34) lgkmcnt(1)
	v_mul_f64 v[148:149], v[46:47], v[128:129]
	s_waitcnt vmcnt(32)
	v_fmac_f64_e32 v[148:149], v[48:49], v[130:131]
	v_add_f64 v[0:1], v[0:1], v[148:149]
	buffer_load_dword v149, off, s[0:3], 0 offset:620
	buffer_load_dword v155, off, s[0:3], 0 offset:604
	;; [unrolled: 1-line block ×8, first 2 shown]
	ds_read_b128 v[54:57], v196 offset:1152
	buffer_load_dword v161, off, s[0:3], 0 offset:636
	buffer_load_dword v160, off, s[0:3], 0 offset:632
	;; [unrolled: 1-line block ×12, first 2 shown]
	s_waitcnt lgkmcnt(1)
	v_mul_f64 v[94:95], v[50:51], v[228:229]
	v_mul_f64 v[58:59], v[114:115], v[60:61]
	v_fma_f64 v[108:109], v[112:113], v[84:85], -v[58:59]
	v_fmac_f64_e32 v[94:95], v[52:53], v[232:233]
	v_mul_f64 v[58:59], v[174:175], v[68:69]
	v_add_f64 v[0:1], v[0:1], v[94:95]
	v_fma_f64 v[94:95], v[172:173], v[82:83], -v[58:59]
	buffer_load_dword v172, off, s[0:3], 0 offset:680
	buffer_load_dword v174, off, s[0:3], 0 offset:672
	;; [unrolled: 1-line block ×4, first 2 shown]
	s_waitcnt vmcnt(50) lgkmcnt(0)
	v_mul_f64 v[58:59], v[54:55], v[132:133]
	s_waitcnt vmcnt(48)
	v_fmac_f64_e32 v[58:59], v[56:57], v[134:135]
	v_add_f64 v[0:1], v[0:1], v[58:59]
	ds_read_b128 v[58:61], v196 offset:1168
	v_mul_f64 v[62:63], v[178:179], v[64:65]
	v_fma_f64 v[176:177], v[176:177], v[66:67], -v[62:63]
	ds_read_b128 v[62:65], v196 offset:1184
	v_mul_f64 v[66:67], v[182:183], v[70:71]
	v_fma_f64 v[180:181], v[180:181], v[72:73], -v[66:67]
	ds_read_b128 v[66:69], v196 offset:1200
	ds_read_b128 v[74:77], v196 offset:1232
	s_waitcnt lgkmcnt(3)
	v_mul_f64 v[82:83], v[58:59], v[236:237]
	v_fmac_f64_e32 v[82:83], v[60:61], v[240:241]
	s_waitcnt vmcnt(42) lgkmcnt(2)
	v_mul_f64 v[70:71], v[62:63], v[136:137]
	v_add_f64 v[0:1], v[0:1], v[82:83]
	s_waitcnt vmcnt(40)
	v_fmac_f64_e32 v[70:71], v[64:65], v[138:139]
	v_add_f64 v[0:1], v[0:1], v[70:71]
	s_waitcnt lgkmcnt(1)
	v_mul_f64 v[70:71], v[66:67], v[244:245]
	v_fmac_f64_e32 v[70:71], v[68:69], v[248:249]
	v_add_f64 v[0:1], v[0:1], v[70:71]
	ds_read_b128 v[70:73], v196 offset:1216
	ds_read_b128 v[78:81], v196 offset:1248
	;; [unrolled: 1-line block ×4, first 2 shown]
	v_mul_f64 v[100:101], v[100:101], v[102:103]
	s_waitcnt vmcnt(34) lgkmcnt(3)
	v_mul_f64 v[82:83], v[70:71], v[140:141]
	s_waitcnt vmcnt(32)
	v_fmac_f64_e32 v[82:83], v[72:73], v[142:143]
	v_add_f64 v[0:1], v[0:1], v[82:83]
	v_mul_f64 v[82:83], v[74:75], v[252:253]
	v_fmac_f64_e32 v[82:83], v[76:77], v[126:127]
	v_add_f64 v[0:1], v[0:1], v[82:83]
	v_fma_f64 v[2:3], v[98:99], v[104:105], -v[100:101]
	ds_read_b128 v[98:101], v196 offset:1328
	ds_read_b128 v[102:105], v196 offset:1344
	v_mul_f64 v[88:89], v[88:89], v[106:107]
	v_fma_f64 v[86:87], v[86:87], v[184:185], -v[88:89]
	v_accvgpr_write_b32 a139, v87
	v_accvgpr_write_b32 a138, v86
	v_add_f64 v[4:5], v[4:5], 0
	v_add_f64 v[4:5], v[4:5], v[96:97]
	ds_read_b128 v[198:201], v196 offset:1280
	v_add_f64 v[4:5], v[4:5], v[108:109]
	v_add_f64 v[4:5], v[4:5], v[94:95]
	;; [unrolled: 1-line block ×9, first 2 shown]
	v_accvgpr_read_b32 v4, a134
	v_accvgpr_read_b32 v2, a138
	;; [unrolled: 1-line block ×5, first 2 shown]
	v_mul_f64 v[4:5], v[120:121], v[4:5]
	v_accvgpr_read_b32 v95, a137
	v_add_f64 v[2:3], v[194:195], v[2:3]
	v_fma_f64 v[4:5], v[118:119], v[94:95], -v[4:5]
	v_add_f64 v[2:3], v[2:3], v[4:5]
	v_mul_f64 v[4:5], v[8:9], v[218:219]
	s_waitcnt vmcnt(30) lgkmcnt(5)
	v_mul_f64 v[82:83], v[78:79], v[144:145]
	v_fma_f64 v[4:5], v[6:7], v[222:223], -v[4:5]
	s_waitcnt vmcnt(28)
	v_fmac_f64_e32 v[82:83], v[80:81], v[146:147]
	v_add_f64 v[0:1], v[0:1], v[82:83]
	ds_read_b128 v[82:85], v196 offset:1264
	s_waitcnt vmcnt(9) lgkmcnt(3)
	v_mul_f64 v[86:87], v[98:99], v[164:165]
	s_waitcnt vmcnt(8)
	v_fmac_f64_e32 v[86:87], v[100:101], v[166:167]
	v_add_f64 v[2:3], v[2:3], v[4:5]
	v_mul_f64 v[4:5], v[12:13], v[208:209]
	s_waitcnt lgkmcnt(0)
	v_mul_f64 v[110:111], v[82:83], v[150:151]
	v_fmac_f64_e32 v[110:111], v[84:85], v[152:153]
	v_add_f64 v[0:1], v[0:1], v[110:111]
	v_mul_f64 v[110:111], v[198:199], v[154:155]
	v_fmac_f64_e32 v[110:111], v[200:201], v[158:159]
	v_add_f64 v[0:1], v[0:1], v[110:111]
	;; [unrolled: 3-line block ×4, first 2 shown]
	v_add_f64 v[0:1], v[0:1], v[86:87]
	s_waitcnt vmcnt(6)
	v_mul_f64 v[86:87], v[102:103], v[168:169]
	s_waitcnt vmcnt(4)
	v_fmac_f64_e32 v[86:87], v[104:105], v[170:171]
	v_add_f64 v[0:1], v[0:1], v[86:87]
	ds_read_b128 v[86:89], v196 offset:1360
	v_fma_f64 v[4:5], v[10:11], v[206:207], -v[4:5]
	v_add_f64 v[2:3], v[2:3], v[4:5]
	v_mul_f64 v[4:5], v[16:17], v[226:227]
	v_fma_f64 v[4:5], v[14:15], v[230:231], -v[4:5]
	s_waitcnt vmcnt(1) lgkmcnt(0)
	v_mul_f64 v[106:107], v[86:87], v[172:173]
	s_waitcnt vmcnt(0)
	v_fmac_f64_e32 v[106:107], v[88:89], v[174:175]
	v_add_f64 v[106:107], v[0:1], v[106:107]
	buffer_load_dword v1, off, s[0:3], 0 offset:700
	buffer_load_dword v0, off, s[0:3], 0 offset:696
	;; [unrolled: 1-line block ×4, first 2 shown]
	ds_read_b128 v[110:113], v196 offset:1376
	buffer_load_dword v182, off, s[0:3], 0 offset:712
	buffer_load_dword v183, off, s[0:3], 0 offset:716
	;; [unrolled: 1-line block ×4, first 2 shown]
	v_add_f64 v[2:3], v[2:3], v[4:5]
	v_mul_f64 v[4:5], v[20:21], v[122:123]
	v_fma_f64 v[4:5], v[18:19], v[124:125], -v[4:5]
	v_add_f64 v[2:3], v[2:3], v[4:5]
	v_mul_f64 v[4:5], v[24:25], v[234:235]
	v_fma_f64 v[4:5], v[22:23], v[238:239], -v[4:5]
	;; [unrolled: 3-line block ×23, first 2 shown]
	v_add_f64 v[2:3], v[2:3], v[4:5]
	s_waitcnt vmcnt(6) lgkmcnt(0)
	v_mul_f64 v[114:115], v[110:111], v[0:1]
	v_mul_f64 v[0:1], v[112:113], v[0:1]
	s_waitcnt vmcnt(4)
	v_fmac_f64_e32 v[114:115], v[112:113], v[178:179]
	v_add_f64 v[106:107], v[106:107], v[114:115]
	ds_read_b128 v[114:117], v196 offset:1392
	buffer_load_dword v190, off, s[0:3], 0 offset:48
	buffer_load_dword v191, off, s[0:3], 0 offset:52
	;; [unrolled: 1-line block ×4, first 2 shown]
	v_fma_f64 v[0:1], v[110:111], v[178:179], -v[0:1]
	v_add_f64 v[0:1], v[2:3], v[0:1]
	s_waitcnt vmcnt(6) lgkmcnt(0)
	v_mul_f64 v[2:3], v[116:117], v[182:183]
	v_mul_f64 v[184:185], v[114:115], v[182:183]
	s_waitcnt vmcnt(4)
	v_fma_f64 v[2:3], v[114:115], v[186:187], -v[2:3]
	v_fmac_f64_e32 v[184:185], v[116:117], v[186:187]
	v_add_f64 v[0:1], v[0:1], v[2:3]
	v_add_f64 v[106:107], v[106:107], v[184:185]
	s_waitcnt vmcnt(2)
	v_add_f64 v[0:1], v[190:191], -v[0:1]
	s_waitcnt vmcnt(0)
	v_add_f64 v[2:3], v[188:189], -v[106:107]
	buffer_store_dword v1, off, s[0:3], 0 offset:52
	buffer_store_dword v0, off, s[0:3], 0 offset:48
	;; [unrolled: 1-line block ×4, first 2 shown]
	v_accvgpr_read_b32 v0, a131
	v_cmp_lt_u32_e32 vcc, 1, v0
	s_and_saveexec_b64 s[4:5], vcc
	s_cbranch_execz .LBB107_275
; %bb.274:
	v_accvgpr_read_b32 v0, a130
	buffer_load_dword v2, v0, s[0:3], 0 offen
	buffer_load_dword v3, v0, s[0:3], 0 offen offset:4
	buffer_load_dword v4, v0, s[0:3], 0 offen offset:8
	;; [unrolled: 1-line block ×3, first 2 shown]
	v_accvgpr_read_b32 v0, a132
	buffer_store_dword v196, off, s[0:3], 0 offset:32
	buffer_store_dword v196, off, s[0:3], 0 offset:36
	buffer_store_dword v196, off, s[0:3], 0 offset:40
	buffer_store_dword v196, off, s[0:3], 0 offset:44
	s_waitcnt vmcnt(4)
	ds_write_b128 v0, v[2:5]
.LBB107_275:
	s_or_b64 exec, exec, s[4:5]
	s_waitcnt lgkmcnt(0)
	; wave barrier
	s_waitcnt lgkmcnt(0)
	buffer_load_dword v58, off, s[0:3], 0 offset:48
	buffer_load_dword v59, off, s[0:3], 0 offset:52
	;; [unrolled: 1-line block ×42, first 2 shown]
	ds_read_b128 v[110:113], v196 offset:736
	ds_read_b128 v[114:117], v196 offset:752
	ds_read_b128 v[164:167], v196 offset:768
	ds_read_b128 v[168:171], v196 offset:784
	ds_read_b128 v[176:179], v196 offset:800
	ds_read_b128 v[180:183], v196 offset:816
	ds_read_b128 v[186:189], v196 offset:832
	ds_read_b128 v[190:193], v196 offset:848
	ds_read_b128 v[198:201], v196 offset:864
	ds_read_b128 v[82:85], v196 offset:880
	buffer_load_dword v1, off, s[0:3], 0 offset:196
	buffer_load_dword v0, off, s[0:3], 0 offset:192
	ds_read_b128 v[90:93], v196 offset:896
	buffer_load_dword v105, off, s[0:3], 0 offset:252
	buffer_load_dword v104, off, s[0:3], 0 offset:248
	;; [unrolled: 1-line block ×6, first 2 shown]
	s_waitcnt vmcnt(46) lgkmcnt(10)
	v_mul_f64 v[2:3], v[110:111], v[60:61]
	v_fmac_f64_e32 v[2:3], v[112:113], v[58:59]
	v_add_f64 v[2:3], v[2:3], 0
	v_mul_f64 v[60:61], v[112:113], v[60:61]
	s_waitcnt vmcnt(42) lgkmcnt(9)
	v_mul_f64 v[4:5], v[114:115], v[62:63]
	v_fmac_f64_e32 v[4:5], v[116:117], v[56:57]
	v_add_f64 v[2:3], v[2:3], v[4:5]
	buffer_load_dword v99, off, s[0:3], 0 offset:228
	buffer_load_dword v98, off, s[0:3], 0 offset:224
	;; [unrolled: 1-line block ×4, first 2 shown]
	s_waitcnt vmcnt(44) lgkmcnt(8)
	v_mul_f64 v[6:7], v[164:165], v[54:55]
	s_waitcnt vmcnt(42) lgkmcnt(6)
	v_mul_f64 v[10:11], v[176:177], v[64:65]
	s_waitcnt vmcnt(40)
	v_fmac_f64_e32 v[10:11], v[178:179], v[66:67]
	v_mul_f64 v[54:55], v[166:167], v[54:55]
	s_waitcnt vmcnt(38)
	v_mul_f64 v[8:9], v[168:169], v[68:69]
	s_waitcnt vmcnt(36) lgkmcnt(4)
	v_mul_f64 v[14:15], v[186:187], v[70:71]
	s_waitcnt vmcnt(34)
	v_fmac_f64_e32 v[14:15], v[188:189], v[72:73]
	s_waitcnt vmcnt(32)
	v_mul_f64 v[12:13], v[180:181], v[74:75]
	s_waitcnt vmcnt(30) lgkmcnt(2)
	v_mul_f64 v[18:19], v[198:199], v[194:195]
	s_waitcnt vmcnt(27)
	v_mul_f64 v[16:17], v[190:191], v[76:77]
	s_waitcnt vmcnt(25) lgkmcnt(1)
	v_mul_f64 v[20:21], v[82:83], v[86:87]
	s_waitcnt vmcnt(23)
	v_fmac_f64_e32 v[6:7], v[166:167], v[100:101]
	v_add_f64 v[2:3], v[2:3], v[6:7]
	s_waitcnt vmcnt(21)
	v_fmac_f64_e32 v[8:9], v[170:171], v[172:173]
	v_add_f64 v[2:3], v[2:3], v[8:9]
	;; [unrolled: 3-line block ×3, first 2 shown]
	v_add_f64 v[2:3], v[2:3], v[12:13]
	s_waitcnt vmcnt(17)
	v_fmac_f64_e32 v[16:17], v[192:193], v[88:89]
	v_add_f64 v[2:3], v[2:3], v[14:15]
	s_waitcnt vmcnt(16)
	v_fmac_f64_e32 v[18:19], v[200:201], v[184:185]
	v_add_f64 v[2:3], v[2:3], v[16:17]
	v_add_f64 v[2:3], v[2:3], v[18:19]
	v_fma_f64 v[100:101], v[164:165], v[100:101], -v[54:55]
	s_waitcnt vmcnt(10)
	v_fmac_f64_e32 v[20:21], v[84:85], v[0:1]
	v_add_f64 v[2:3], v[2:3], v[20:21]
	v_mul_f64 v[54:55], v[170:171], v[68:69]
	v_mul_f64 v[84:85], v[84:85], v[86:87]
	s_waitcnt vmcnt(0)
	v_pk_mov_b32 v[18:19], v[4:5], v[4:5] op_sel:[0,1]
	buffer_load_dword v5, off, s[0:3], 0 offset:276
	buffer_load_dword v4, off, s[0:3], 0 offset:272
	v_accvgpr_write_b32 a135, v19
	v_accvgpr_write_b32 a134, v18
	s_waitcnt vmcnt(0)
	v_pk_mov_b32 v[22:23], v[4:5], v[4:5] op_sel:[0,1]
	buffer_load_dword v215, off, s[0:3], 0 offset:268
	buffer_load_dword v214, off, s[0:3], 0 offset:264
	buffer_load_dword v219, off, s[0:3], 0 offset:260
	buffer_load_dword v218, off, s[0:3], 0 offset:256
	buffer_load_dword v5, off, s[0:3], 0 offset:316
	buffer_load_dword v4, off, s[0:3], 0 offset:312
	buffer_load_dword v125, off, s[0:3], 0 offset:308
	buffer_load_dword v124, off, s[0:3], 0 offset:304
	buffer_load_dword v223, off, s[0:3], 0 offset:300
	buffer_load_dword v222, off, s[0:3], 0 offset:296
	buffer_load_dword v129, off, s[0:3], 0 offset:292
	buffer_load_dword v128, off, s[0:3], 0 offset:288
	buffer_load_dword v207, off, s[0:3], 0 offset:348
	buffer_load_dword v206, off, s[0:3], 0 offset:344
	buffer_load_dword v209, off, s[0:3], 0 offset:340
	buffer_load_dword v208, off, s[0:3], 0 offset:336
	buffer_load_dword v225, off, s[0:3], 0 offset:332
	buffer_load_dword v224, off, s[0:3], 0 offset:328
	buffer_load_dword v227, off, s[0:3], 0 offset:324
	buffer_load_dword v226, off, s[0:3], 0 offset:320
	buffer_load_dword v211, off, s[0:3], 0 offset:380
	buffer_load_dword v210, off, s[0:3], 0 offset:376
	buffer_load_dword v213, off, s[0:3], 0 offset:372
	buffer_load_dword v212, off, s[0:3], 0 offset:368
	buffer_load_dword v229, off, s[0:3], 0 offset:364
	buffer_load_dword v228, off, s[0:3], 0 offset:360
	buffer_load_dword v231, off, s[0:3], 0 offset:356
	buffer_load_dword v230, off, s[0:3], 0 offset:352
	buffer_load_dword v217, off, s[0:3], 0 offset:412
	buffer_load_dword v216, off, s[0:3], 0 offset:408
	buffer_load_dword v221, off, s[0:3], 0 offset:404
	buffer_load_dword v220, off, s[0:3], 0 offset:400
	buffer_load_dword v233, off, s[0:3], 0 offset:396
	buffer_load_dword v232, off, s[0:3], 0 offset:392
	buffer_load_dword v235, off, s[0:3], 0 offset:388
	buffer_load_dword v234, off, s[0:3], 0 offset:384
	buffer_load_dword v127, off, s[0:3], 0 offset:444
	buffer_load_dword v126, off, s[0:3], 0 offset:440
	buffer_load_dword v131, off, s[0:3], 0 offset:436
	buffer_load_dword v130, off, s[0:3], 0 offset:432
	buffer_load_dword v237, off, s[0:3], 0 offset:428
	buffer_load_dword v236, off, s[0:3], 0 offset:424
	buffer_load_dword v239, off, s[0:3], 0 offset:420
	buffer_load_dword v238, off, s[0:3], 0 offset:416
	buffer_load_dword v133, off, s[0:3], 0 offset:476
	buffer_load_dword v132, off, s[0:3], 0 offset:472
	buffer_load_dword v135, off, s[0:3], 0 offset:468
	buffer_load_dword v134, off, s[0:3], 0 offset:464
	buffer_load_dword v241, off, s[0:3], 0 offset:460
	buffer_load_dword v240, off, s[0:3], 0 offset:456
	buffer_load_dword v243, off, s[0:3], 0 offset:452
	buffer_load_dword v242, off, s[0:3], 0 offset:448
	buffer_load_dword v137, off, s[0:3], 0 offset:508
	buffer_load_dword v136, off, s[0:3], 0 offset:504
	buffer_load_dword v139, off, s[0:3], 0 offset:500
	buffer_load_dword v138, off, s[0:3], 0 offset:496
	buffer_load_dword v245, off, s[0:3], 0 offset:492
	buffer_load_dword v244, off, s[0:3], 0 offset:488
	buffer_load_dword v247, off, s[0:3], 0 offset:484
	buffer_load_dword v246, off, s[0:3], 0 offset:480
	buffer_load_dword v141, off, s[0:3], 0 offset:540
	buffer_load_dword v140, off, s[0:3], 0 offset:536
	buffer_load_dword v143, off, s[0:3], 0 offset:532
	buffer_load_dword v142, off, s[0:3], 0 offset:528
	buffer_load_dword v249, off, s[0:3], 0 offset:524
	buffer_load_dword v248, off, s[0:3], 0 offset:520
	buffer_load_dword v251, off, s[0:3], 0 offset:516
	buffer_load_dword v250, off, s[0:3], 0 offset:512
	ds_read_b128 v[202:205], v196 offset:912
	ds_read_b128 v[78:81], v196 offset:928
	;; [unrolled: 1-line block ×4, first 2 shown]
	v_accvgpr_write_b32 a137, v23
	v_accvgpr_write_b32 a136, v22
	s_waitcnt lgkmcnt(2)
	v_mul_f64 v[8:9], v[78:79], v[104:105]
	v_fmac_f64_e32 v[8:9], v[80:81], v[106:107]
	s_waitcnt lgkmcnt(0)
	v_mul_f64 v[16:17], v[144:145], v[18:19]
	v_fmac_f64_e32 v[16:17], v[146:147], v[22:23]
	v_mul_f64 v[80:81], v[80:81], v[104:105]
	s_waitcnt vmcnt(62)
	v_mul_f64 v[12:13], v[118:119], v[214:215]
	v_fmac_f64_e32 v[12:13], v[120:121], v[218:219]
	v_pk_mov_b32 v[26:27], v[4:5], v[4:5] op_sel:[0,1]
	v_mul_f64 v[4:5], v[90:91], v[96:97]
	v_fmac_f64_e32 v[4:5], v[92:93], v[102:103]
	v_add_f64 v[2:3], v[2:3], v[4:5]
	v_mul_f64 v[4:5], v[202:203], v[108:109]
	v_fmac_f64_e32 v[4:5], v[204:205], v[98:99]
	v_add_f64 v[6:7], v[2:3], v[4:5]
	v_add_f64 v[10:11], v[6:7], v[8:9]
	;; [unrolled: 1-line block ×3, first 2 shown]
	ds_read_b128 v[10:13], v196 offset:976
	v_add_f64 v[18:19], v[14:15], v[16:17]
	ds_read_b128 v[14:17], v196 offset:992
	v_accvgpr_write_b32 a139, v27
	v_accvgpr_write_b32 a138, v26
	s_waitcnt vmcnt(58) lgkmcnt(1)
	v_mul_f64 v[20:21], v[10:11], v[222:223]
	s_waitcnt vmcnt(56)
	v_fmac_f64_e32 v[20:21], v[12:13], v[128:129]
	v_add_f64 v[22:23], v[18:19], v[20:21]
	ds_read_b128 v[18:21], v196 offset:1008
	s_waitcnt lgkmcnt(1)
	v_mul_f64 v[24:25], v[14:15], v[26:27]
	v_fmac_f64_e32 v[24:25], v[16:17], v[124:125]
	v_add_f64 v[26:27], v[22:23], v[24:25]
	ds_read_b128 v[22:25], v196 offset:1024
	s_waitcnt vmcnt(50) lgkmcnt(1)
	v_mul_f64 v[28:29], v[18:19], v[224:225]
	s_waitcnt vmcnt(48)
	v_fmac_f64_e32 v[28:29], v[20:21], v[226:227]
	v_add_f64 v[30:31], v[26:27], v[28:29]
	ds_read_b128 v[26:29], v196 offset:1040
	s_waitcnt lgkmcnt(1)
	v_mul_f64 v[32:33], v[22:23], v[206:207]
	v_fmac_f64_e32 v[32:33], v[24:25], v[208:209]
	v_add_f64 v[34:35], v[30:31], v[32:33]
	ds_read_b128 v[30:33], v196 offset:1056
	;; [unrolled: 11-line block ×4, first 2 shown]
	s_waitcnt vmcnt(26) lgkmcnt(1)
	v_mul_f64 v[52:53], v[42:43], v[236:237]
	s_waitcnt vmcnt(24)
	v_fmac_f64_e32 v[52:53], v[44:45], v[238:239]
	v_add_f64 v[252:253], v[50:51], v[52:53]
	ds_read_b128 v[50:53], v196 offset:1136
	buffer_load_dword v9, off, s[0:3], 0 offset:556
	buffer_load_dword v8, off, s[0:3], 0 offset:552
	;; [unrolled: 1-line block ×20, first 2 shown]
	s_waitcnt lgkmcnt(1)
	v_mul_f64 v[254:255], v[46:47], v[126:127]
	v_fma_f64 v[6:7], v[110:111], v[58:59], -v[60:61]
	v_fma_f64 v[110:111], v[168:169], v[172:173], -v[54:55]
	buffer_load_dword v166, off, s[0:3], 0 offset:632
	buffer_load_dword v168, off, s[0:3], 0 offset:624
	;; [unrolled: 1-line block ×12, first 2 shown]
	v_fmac_f64_e32 v[254:255], v[48:49], v[130:131]
	v_add_f64 v[58:59], v[252:253], v[254:255]
	buffer_load_dword v253, off, s[0:3], 0 offset:684
	buffer_load_dword v252, off, s[0:3], 0 offset:680
	;; [unrolled: 1-line block ×4, first 2 shown]
	v_mul_f64 v[4:5], v[116:117], v[62:63]
	v_mul_f64 v[54:55], v[178:179], v[64:65]
	s_waitcnt vmcnt(54) lgkmcnt(0)
	v_mul_f64 v[60:61], v[50:51], v[240:241]
	v_fma_f64 v[4:5], v[114:115], v[56:57], -v[4:5]
	v_fma_f64 v[112:113], v[176:177], v[66:67], -v[54:55]
	ds_read_b128 v[54:57], v196 offset:1152
	s_waitcnt vmcnt(52)
	v_fmac_f64_e32 v[60:61], v[52:53], v[242:243]
	v_add_f64 v[62:63], v[58:59], v[60:61]
	v_mul_f64 v[58:59], v[182:183], v[74:75]
	v_fma_f64 v[180:181], v[180:181], v[94:95], -v[58:59]
	ds_read_b128 v[58:61], v196 offset:1168
	s_waitcnt lgkmcnt(1)
	v_mul_f64 v[64:65], v[54:55], v[132:133]
	v_fmac_f64_e32 v[64:65], v[56:57], v[134:135]
	v_add_f64 v[74:75], v[62:63], v[64:65]
	ds_read_b128 v[62:65], v196 offset:1184
	v_mul_f64 v[66:67], v[188:189], v[70:71]
	s_waitcnt vmcnt(46) lgkmcnt(1)
	v_mul_f64 v[70:71], v[58:59], v[244:245]
	v_fma_f64 v[188:189], v[186:187], v[72:73], -v[66:67]
	ds_read_b128 v[66:69], v196 offset:1200
	s_waitcnt vmcnt(44)
	v_fmac_f64_e32 v[70:71], v[60:61], v[246:247]
	v_add_f64 v[74:75], v[74:75], v[70:71]
	v_mul_f64 v[70:71], v[192:193], v[76:77]
	v_fma_f64 v[190:191], v[190:191], v[88:89], -v[70:71]
	ds_read_b128 v[70:73], v196 offset:1216
	s_waitcnt lgkmcnt(2)
	v_mul_f64 v[94:95], v[62:63], v[136:137]
	v_fmac_f64_e32 v[94:95], v[64:65], v[138:139]
	s_waitcnt vmcnt(38) lgkmcnt(1)
	v_mul_f64 v[76:77], v[66:67], v[248:249]
	v_add_f64 v[74:75], v[74:75], v[94:95]
	s_waitcnt vmcnt(36)
	v_fmac_f64_e32 v[76:77], v[68:69], v[250:251]
	v_mul_f64 v[94:95], v[200:201], v[194:195]
	v_add_f64 v[74:75], v[74:75], v[76:77]
	v_fma_f64 v[184:185], v[198:199], v[184:185], -v[94:95]
	ds_read_b128 v[198:201], v196 offset:1248
	s_waitcnt lgkmcnt(1)
	v_mul_f64 v[76:77], v[70:71], v[140:141]
	v_fmac_f64_e32 v[76:77], v[72:73], v[142:143]
	v_add_f64 v[88:89], v[74:75], v[76:77]
	ds_read_b128 v[74:77], v196 offset:1232
	v_fma_f64 v[2:3], v[82:83], v[0:1], -v[84:85]
	ds_read_b128 v[82:85], v196 offset:1264
	v_mul_f64 v[92:93], v[92:93], v[96:97]
	v_fma_f64 v[0:1], v[90:91], v[102:103], -v[92:93]
	v_mul_f64 v[102:103], v[204:205], v[108:109]
	v_fma_f64 v[192:193], v[202:203], v[98:99], -v[102:103]
	ds_read_b128 v[202:205], v196 offset:1312
	v_fma_f64 v[194:195], v[78:79], v[106:107], -v[80:81]
	ds_read_b128 v[102:105], v196 offset:1344
	ds_read_b128 v[106:109], v196 offset:1360
	v_add_f64 v[6:7], v[6:7], 0
	v_add_f64 v[4:5], v[6:7], v[4:5]
	;; [unrolled: 1-line block ×10, first 2 shown]
	ds_read_b128 v[90:93], v196 offset:1296
	v_accvgpr_read_b32 v4, a136
	v_accvgpr_read_b32 v5, a137
	s_waitcnt vmcnt(25) lgkmcnt(4)
	v_mul_f64 v[96:97], v[82:83], v[154:155]
	s_waitcnt vmcnt(23)
	v_fmac_f64_e32 v[96:97], v[84:85], v[160:161]
	v_mul_f64 v[94:95], v[74:75], v[8:9]
	v_fmac_f64_e32 v[94:95], v[76:77], v[122:123]
	v_mul_f64 v[86:87], v[198:199], v[150:151]
	v_add_f64 v[88:89], v[88:89], v[94:95]
	v_fmac_f64_e32 v[86:87], v[200:201], v[152:153]
	v_add_f64 v[94:95], v[88:89], v[86:87]
	ds_read_b128 v[86:89], v196 offset:1280
	v_add_f64 v[94:95], v[94:95], v[96:97]
	s_waitcnt vmcnt(22) lgkmcnt(0)
	v_mul_f64 v[96:97], v[86:87], v[148:149]
	s_waitcnt vmcnt(20)
	v_fmac_f64_e32 v[96:97], v[88:89], v[158:159]
	v_add_f64 v[94:95], v[94:95], v[96:97]
	s_waitcnt vmcnt(18)
	v_mul_f64 v[96:97], v[90:91], v[156:157]
	s_waitcnt vmcnt(16)
	v_fmac_f64_e32 v[96:97], v[92:93], v[162:163]
	v_add_f64 v[98:99], v[94:95], v[96:97]
	ds_read_b128 v[94:97], v196 offset:1328
	buffer_load_dword v176, off, s[0:3], 0 offset:696
	buffer_load_dword v177, off, s[0:3], 0 offset:700
	;; [unrolled: 1-line block ×4, first 2 shown]
	s_waitcnt vmcnt(17)
	v_mul_f64 v[78:79], v[202:203], v[166:167]
	s_waitcnt vmcnt(16)
	v_fmac_f64_e32 v[78:79], v[204:205], v[168:169]
	v_add_f64 v[78:79], v[98:99], v[78:79]
	s_waitcnt vmcnt(13) lgkmcnt(0)
	v_mul_f64 v[80:81], v[94:95], v[172:173]
	s_waitcnt vmcnt(11)
	v_fmac_f64_e32 v[80:81], v[96:97], v[174:175]
	v_add_f64 v[78:79], v[78:79], v[80:81]
	s_waitcnt vmcnt(9)
	v_mul_f64 v[80:81], v[102:103], v[164:165]
	s_waitcnt vmcnt(8)
	v_fmac_f64_e32 v[80:81], v[104:105], v[170:171]
	v_add_f64 v[78:79], v[78:79], v[80:81]
	s_waitcnt vmcnt(6)
	v_mul_f64 v[80:81], v[106:107], v[252:253]
	s_waitcnt vmcnt(4)
	v_fmac_f64_e32 v[80:81], v[108:109], v[254:255]
	v_add_f64 v[98:99], v[78:79], v[80:81]
	ds_read_b128 v[78:81], v196 offset:1376
	buffer_load_dword v183, off, s[0:3], 0 offset:716
	buffer_load_dword v182, off, s[0:3], 0 offset:712
	;; [unrolled: 1-line block ×4, first 2 shown]
	s_waitcnt vmcnt(6) lgkmcnt(0)
	v_mul_f64 v[114:115], v[78:79], v[176:177]
	s_waitcnt vmcnt(4)
	v_fmac_f64_e32 v[114:115], v[80:81], v[178:179]
	v_add_f64 v[98:99], v[98:99], v[114:115]
	ds_read_b128 v[114:117], v196 offset:1392
	buffer_load_dword v190, off, s[0:3], 0 offset:32
	buffer_load_dword v191, off, s[0:3], 0 offset:36
	;; [unrolled: 1-line block ×4, first 2 shown]
	s_waitcnt vmcnt(6) lgkmcnt(0)
	v_mul_f64 v[196:197], v[114:115], v[182:183]
	s_waitcnt vmcnt(4)
	v_fmac_f64_e32 v[196:197], v[116:117], v[186:187]
	v_add_f64 v[98:99], v[98:99], v[196:197]
	v_add_f64 v[196:197], v[2:3], v[0:1]
	;; [unrolled: 1-line block ×3, first 2 shown]
	v_mul_f64 v[2:3], v[120:121], v[214:215]
	v_add_f64 v[0:1], v[0:1], v[194:195]
	v_fma_f64 v[2:3], v[118:119], v[218:219], -v[2:3]
	v_add_f64 v[0:1], v[0:1], v[2:3]
	v_accvgpr_read_b32 v2, a134
	v_accvgpr_read_b32 v3, a135
	v_mul_f64 v[2:3], v[146:147], v[2:3]
	v_fma_f64 v[2:3], v[144:145], v[4:5], -v[2:3]
	v_add_f64 v[0:1], v[0:1], v[2:3]
	v_mul_f64 v[2:3], v[12:13], v[222:223]
	v_fma_f64 v[2:3], v[10:11], v[128:129], -v[2:3]
	v_add_f64 v[0:1], v[0:1], v[2:3]
	v_accvgpr_read_b32 v2, a138
	v_accvgpr_read_b32 v3, a139
	v_mul_f64 v[2:3], v[16:17], v[2:3]
	v_fma_f64 v[2:3], v[14:15], v[124:125], -v[2:3]
	v_add_f64 v[0:1], v[0:1], v[2:3]
	v_mul_f64 v[2:3], v[20:21], v[224:225]
	v_fma_f64 v[2:3], v[18:19], v[226:227], -v[2:3]
	v_add_f64 v[0:1], v[0:1], v[2:3]
	;; [unrolled: 3-line block ×26, first 2 shown]
	s_waitcnt vmcnt(2)
	v_add_f64 v[0:1], v[190:191], -v[0:1]
	s_waitcnt vmcnt(0)
	v_add_f64 v[2:3], v[188:189], -v[98:99]
	buffer_store_dword v1, off, s[0:3], 0 offset:36
	buffer_store_dword v0, off, s[0:3], 0 offset:32
	;; [unrolled: 1-line block ×4, first 2 shown]
	v_accvgpr_read_b32 v0, a131
	v_cmp_ne_u32_e32 vcc, 0, v0
	s_and_saveexec_b64 s[4:5], vcc
	s_cbranch_execz .LBB107_277
; %bb.276:
	buffer_load_dword v2, off, s[0:3], 0 offset:16
	buffer_load_dword v3, off, s[0:3], 0 offset:20
	;; [unrolled: 1-line block ×4, first 2 shown]
	v_mov_b32_e32 v0, 0
	v_accvgpr_read_b32 v1, a132
	buffer_store_dword v0, off, s[0:3], 0 offset:16
	buffer_store_dword v0, off, s[0:3], 0 offset:20
	;; [unrolled: 1-line block ×4, first 2 shown]
	s_waitcnt vmcnt(4)
	ds_write_b128 v1, v[2:5]
.LBB107_277:
	s_or_b64 exec, exec, s[4:5]
	s_waitcnt lgkmcnt(0)
	; wave barrier
	s_waitcnt lgkmcnt(0)
	buffer_load_dword v58, off, s[0:3], 0 offset:32
	buffer_load_dword v59, off, s[0:3], 0 offset:36
	;; [unrolled: 1-line block ×54, first 2 shown]
	v_mov_b32_e32 v16, 0
	ds_read_b128 v[104:107], v16 offset:720
	ds_read_b128 v[108:111], v16 offset:736
	;; [unrolled: 1-line block ×9, first 2 shown]
	s_and_b64 vcc, exec, s[16:17]
	s_waitcnt vmcnt(46) lgkmcnt(7)
	v_mul_f64 v[2:3], v[108:109], v[54:55]
	v_fmac_f64_e32 v[2:3], v[110:111], v[52:53]
	s_waitcnt vmcnt(44) lgkmcnt(6)
	v_mul_f64 v[4:5], v[112:113], v[56:57]
	v_mul_f64 v[54:55], v[110:111], v[54:55]
	s_waitcnt vmcnt(42) lgkmcnt(4)
	v_mul_f64 v[8:9], v[160:161], v[64:65]
	s_waitcnt vmcnt(40)
	v_fmac_f64_e32 v[8:9], v[162:163], v[62:63]
	s_waitcnt vmcnt(38)
	v_mul_f64 v[6:7], v[154:155], v[66:67]
	s_waitcnt vmcnt(36) lgkmcnt(2)
	v_mul_f64 v[12:13], v[174:175], v[72:73]
	s_waitcnt vmcnt(34)
	v_fmac_f64_e32 v[12:13], v[176:177], v[74:75]
	s_waitcnt vmcnt(32)
	;; [unrolled: 6-line block ×3, first 2 shown]
	v_fmac_f64_e32 v[6:7], v[156:157], v[82:83]
	s_waitcnt vmcnt(24)
	v_fmac_f64_e32 v[10:11], v[172:173], v[80:81]
	s_waitcnt vmcnt(22)
	v_fmac_f64_e32 v[14:15], v[180:181], v[76:77]
	s_waitcnt vmcnt(0)
	v_pk_mov_b32 v[18:19], v[0:1], v[0:1] op_sel:[0,1]
	v_mul_f64 v[0:1], v[104:105], v[60:61]
	v_fmac_f64_e32 v[0:1], v[106:107], v[58:59]
	v_add_f64 v[0:1], v[0:1], 0
	v_add_f64 v[0:1], v[0:1], v[2:3]
	;; [unrolled: 1-line block ×7, first 2 shown]
	buffer_load_dword v1, off, s[0:3], 0 offset:260
	buffer_load_dword v0, off, s[0:3], 0 offset:256
	v_add_f64 v[4:5], v[4:5], v[14:15]
	v_accvgpr_write_b32 a133, v19
	v_accvgpr_write_b32 a132, v18
	s_waitcnt vmcnt(0)
	v_pk_mov_b32 v[12:13], v[0:1], v[0:1] op_sel:[0,1]
	buffer_load_dword v3, off, s[0:3], 0 offset:252
	buffer_load_dword v2, off, s[0:3], 0 offset:248
	;; [unrolled: 1-line block ×6, first 2 shown]
	v_accvgpr_write_b32 a135, v13
	v_accvgpr_write_b32 a134, v12
	s_waitcnt vmcnt(0)
	v_pk_mov_b32 v[20:21], v[6:7], v[6:7] op_sel:[0,1]
	buffer_load_dword v7, off, s[0:3], 0 offset:292
	buffer_load_dword v6, off, s[0:3], 0 offset:288
	v_accvgpr_write_b32 a137, v21
	v_accvgpr_write_b32 a136, v20
	s_waitcnt vmcnt(0)
	v_pk_mov_b32 v[22:23], v[6:7], v[6:7] op_sel:[0,1]
	buffer_load_dword v225, off, s[0:3], 0 offset:284
	buffer_load_dword v224, off, s[0:3], 0 offset:280
	;; [unrolled: 1-line block ×6, first 2 shown]
	v_accvgpr_write_b32 a139, v23
	v_accvgpr_write_b32 a138, v22
	s_waitcnt vmcnt(0)
	v_pk_mov_b32 v[28:29], v[6:7], v[6:7] op_sel:[0,1]
	buffer_load_dword v7, off, s[0:3], 0 offset:324
	buffer_load_dword v6, off, s[0:3], 0 offset:320
	;; [unrolled: 1-line block ×46, first 2 shown]
	ds_read_b128 v[186:189], v16 offset:864
	ds_read_b128 v[190:193], v16 offset:880
	;; [unrolled: 1-line block ×8, first 2 shown]
	s_waitcnt lgkmcnt(2)
	v_mul_f64 v[10:11], v[206:207], v[18:19]
	v_fmac_f64_e32 v[10:11], v[208:209], v[12:13]
	s_waitcnt vmcnt(44)
	v_pk_mov_b32 v[30:31], v[6:7], v[6:7] op_sel:[0,1]
	v_mul_f64 v[6:7], v[182:183], v[70:71]
	v_fmac_f64_e32 v[6:7], v[184:185], v[86:87]
	v_add_f64 v[4:5], v[4:5], v[6:7]
	v_mul_f64 v[6:7], v[186:187], v[92:93]
	v_fmac_f64_e32 v[6:7], v[188:189], v[94:95]
	v_add_f64 v[4:5], v[4:5], v[6:7]
	;; [unrolled: 3-line block ×6, first 2 shown]
	v_add_f64 v[12:13], v[8:9], v[10:11]
	ds_read_b128 v[8:11], v16 offset:976
	s_waitcnt lgkmcnt(2)
	v_mul_f64 v[14:15], v[120:121], v[224:225]
	v_fmac_f64_e32 v[14:15], v[122:123], v[228:229]
	v_add_f64 v[4:5], v[12:13], v[14:15]
	ds_read_b128 v[12:15], v16 offset:1008
	s_waitcnt lgkmcnt(1)
	v_mul_f64 v[18:19], v[8:9], v[20:21]
	v_fmac_f64_e32 v[18:19], v[10:11], v[22:23]
	s_waitcnt vmcnt(42)
	v_mul_f64 v[22:23], v[116:117], v[232:233]
	v_add_f64 v[20:21], v[4:5], v[18:19]
	s_waitcnt vmcnt(40)
	v_fmac_f64_e32 v[22:23], v[118:119], v[236:237]
	v_add_f64 v[24:25], v[20:21], v[22:23]
	ds_read_b128 v[20:23], v16 offset:1024
	s_waitcnt lgkmcnt(1)
	v_mul_f64 v[26:27], v[12:13], v[28:29]
	v_fmac_f64_e32 v[26:27], v[14:15], v[30:31]
	v_accvgpr_write_b32 a141, v31
	v_pk_mov_b32 v[18:19], v[28:29], v[28:29] op_sel:[0,1]
	v_accvgpr_write_b32 a140, v30
	v_add_f64 v[28:29], v[24:25], v[26:27]
	ds_read_b128 v[24:27], v16 offset:1040
	s_waitcnt vmcnt(34) lgkmcnt(1)
	v_mul_f64 v[30:31], v[20:21], v[240:241]
	s_waitcnt vmcnt(32)
	v_fmac_f64_e32 v[30:31], v[22:23], v[244:245]
	v_add_f64 v[32:33], v[28:29], v[30:31]
	ds_read_b128 v[28:31], v16 offset:1056
	s_waitcnt lgkmcnt(1)
	v_mul_f64 v[34:35], v[24:25], v[216:217]
	v_fmac_f64_e32 v[34:35], v[26:27], v[218:219]
	v_add_f64 v[36:37], v[32:33], v[34:35]
	ds_read_b128 v[32:35], v16 offset:1072
	s_waitcnt vmcnt(26) lgkmcnt(1)
	v_mul_f64 v[38:39], v[28:29], v[248:249]
	s_waitcnt vmcnt(24)
	v_fmac_f64_e32 v[38:39], v[30:31], v[250:251]
	v_add_f64 v[40:41], v[36:37], v[38:39]
	ds_read_b128 v[36:39], v16 offset:1088
	s_waitcnt lgkmcnt(1)
	v_mul_f64 v[42:43], v[32:33], v[220:221]
	v_fmac_f64_e32 v[42:43], v[34:35], v[222:223]
	v_add_f64 v[44:45], v[40:41], v[42:43]
	ds_read_b128 v[40:43], v16 offset:1104
	s_waitcnt vmcnt(18) lgkmcnt(1)
	v_mul_f64 v[46:47], v[36:37], v[252:253]
	s_waitcnt vmcnt(16)
	v_fmac_f64_e32 v[46:47], v[38:39], v[254:255]
	v_add_f64 v[48:49], v[44:45], v[46:47]
	ds_read_b128 v[44:47], v16 offset:1120
	buffer_load_dword v127, off, s[0:3], 0 offset:508
	buffer_load_dword v126, off, s[0:3], 0 offset:504
	;; [unrolled: 1-line block ×4, first 2 shown]
	s_waitcnt lgkmcnt(1)
	v_mul_f64 v[50:51], v[40:41], v[226:227]
	v_fmac_f64_e32 v[50:51], v[42:43], v[230:231]
	v_add_f64 v[130:131], v[48:49], v[50:51]
	ds_read_b128 v[48:51], v16 offset:1136
	buffer_load_dword v133, off, s[0:3], 0 offset:524
	buffer_load_dword v132, off, s[0:3], 0 offset:520
	;; [unrolled: 1-line block ×4, first 2 shown]
	s_waitcnt vmcnt(18) lgkmcnt(1)
	v_mul_f64 v[136:137], v[44:45], v[212:213]
	s_waitcnt vmcnt(16)
	v_fmac_f64_e32 v[136:137], v[46:47], v[210:211]
	v_add_f64 v[4:5], v[130:131], v[136:137]
	buffer_load_dword v131, off, s[0:3], 0 offset:556
	buffer_load_dword v139, off, s[0:3], 0 offset:540
	;; [unrolled: 1-line block ×16, first 2 shown]
	v_mul_f64 v[6:7], v[106:107], v[60:61]
	buffer_load_dword v151, off, s[0:3], 0 offset:604
	buffer_load_dword v150, off, s[0:3], 0 offset:600
	;; [unrolled: 1-line block ×4, first 2 shown]
	v_fma_f64 v[6:7], v[104:105], v[58:59], -v[6:7]
	v_fma_f64 v[104:105], v[108:109], v[52:53], -v[54:55]
	v_mul_f64 v[52:53], v[114:115], v[56:57]
	v_fma_f64 v[106:107], v[112:113], v[84:85], -v[52:53]
	v_mul_f64 v[52:53], v[156:157], v[66:67]
	buffer_load_dword v157, off, s[0:3], 0 offset:620
	buffer_load_dword v156, off, s[0:3], 0 offset:616
	;; [unrolled: 1-line block ×4, first 2 shown]
	v_fma_f64 v[108:109], v[154:155], v[82:83], -v[52:53]
	v_mul_f64 v[52:53], v[162:163], v[64:65]
	v_fma_f64 v[110:111], v[160:161], v[62:63], -v[52:53]
	buffer_load_dword v155, off, s[0:3], 0 offset:652
	buffer_load_dword v161, off, s[0:3], 0 offset:636
	;; [unrolled: 1-line block ×12, first 2 shown]
	v_mul_f64 v[56:57], v[172:173], v[78:79]
	ds_read_b128 v[52:55], v16 offset:1152
	v_fma_f64 v[112:113], v[170:171], v[80:81], -v[56:57]
	buffer_load_dword v170, off, s[0:3], 0 offset:680
	buffer_load_dword v172, off, s[0:3], 0 offset:672
	;; [unrolled: 1-line block ×4, first 2 shown]
	v_mul_f64 v[56:57], v[176:177], v[72:73]
	v_fma_f64 v[114:115], v[174:175], v[74:75], -v[56:57]
	ds_read_b128 v[56:59], v16 offset:1168
	s_waitcnt lgkmcnt(2)
	v_mul_f64 v[60:61], v[48:49], v[234:235]
	v_fmac_f64_e32 v[60:61], v[50:51], v[238:239]
	v_add_f64 v[4:5], v[4:5], v[60:61]
	s_waitcnt vmcnt(50) lgkmcnt(1)
	v_mul_f64 v[60:61], v[52:53], v[214:215]
	s_waitcnt vmcnt(48)
	v_fmac_f64_e32 v[60:61], v[54:55], v[124:125]
	v_mul_f64 v[64:65], v[180:181], v[68:69]
	v_add_f64 v[4:5], v[4:5], v[60:61]
	v_fma_f64 v[178:179], v[178:179], v[76:77], -v[64:65]
	ds_read_b128 v[64:67], v16 offset:1200
	s_waitcnt lgkmcnt(1)
	v_mul_f64 v[60:61], v[56:57], v[242:243]
	v_fmac_f64_e32 v[60:61], v[58:59], v[246:247]
	v_add_f64 v[4:5], v[4:5], v[60:61]
	ds_read_b128 v[60:63], v16 offset:1184
	v_mul_f64 v[76:77], v[188:189], v[92:93]
	v_fma_f64 v[186:187], v[186:187], v[94:95], -v[76:77]
	ds_read_b128 v[76:79], v16 offset:1248
	v_mul_f64 v[2:3], v[204:205], v[2:3]
	v_add_f64 v[6:7], v[6:7], 0
	v_add_f64 v[6:7], v[6:7], v[104:105]
	;; [unrolled: 1-line block ×8, first 2 shown]
	s_waitcnt vmcnt(46) lgkmcnt(1)
	v_mul_f64 v[68:69], v[60:61], v[126:127]
	s_waitcnt vmcnt(44)
	v_fmac_f64_e32 v[68:69], v[62:63], v[128:129]
	v_add_f64 v[4:5], v[4:5], v[68:69]
	v_mul_f64 v[68:69], v[184:185], v[70:71]
	v_fma_f64 v[184:185], v[182:183], v[86:87], -v[68:69]
	ds_read_b128 v[68:71], v16 offset:1216
	s_waitcnt vmcnt(42)
	v_mul_f64 v[72:73], v[64:65], v[132:133]
	s_waitcnt vmcnt(40)
	v_fmac_f64_e32 v[72:73], v[66:67], v[134:135]
	v_add_f64 v[4:5], v[4:5], v[72:73]
	ds_read_b128 v[72:75], v16 offset:1232
	s_waitcnt vmcnt(37) lgkmcnt(1)
	v_mul_f64 v[80:81], v[68:69], v[138:139]
	s_waitcnt vmcnt(35)
	v_fmac_f64_e32 v[80:81], v[70:71], v[142:143]
	v_add_f64 v[4:5], v[4:5], v[80:81]
	v_mul_f64 v[80:81], v[192:193], v[88:89]
	v_fma_f64 v[188:189], v[190:191], v[90:91], -v[80:81]
	ds_read_b128 v[80:83], v16 offset:1264
	s_waitcnt vmcnt(34) lgkmcnt(1)
	v_mul_f64 v[84:85], v[72:73], v[130:131]
	s_waitcnt vmcnt(32)
	v_fmac_f64_e32 v[84:85], v[74:75], v[140:141]
	v_add_f64 v[4:5], v[4:5], v[84:85]
	s_waitcnt vmcnt(29)
	v_mul_f64 v[84:85], v[76:77], v[146:147]
	s_waitcnt vmcnt(27)
	v_fmac_f64_e32 v[84:85], v[78:79], v[148:149]
	v_mul_f64 v[88:89], v[196:197], v[100:101]
	v_add_f64 v[4:5], v[4:5], v[84:85]
	v_fma_f64 v[194:195], v[194:195], v[102:103], -v[88:89]
	ds_read_b128 v[88:91], v16 offset:1296
	s_waitcnt vmcnt(25) lgkmcnt(1)
	v_mul_f64 v[84:85], v[80:81], v[136:137]
	s_waitcnt vmcnt(24)
	v_fmac_f64_e32 v[84:85], v[82:83], v[144:145]
	v_add_f64 v[4:5], v[4:5], v[84:85]
	ds_read_b128 v[84:87], v16 offset:1280
	ds_read_b128 v[100:103], v16 offset:1344
	v_fma_f64 v[192:193], v[202:203], v[0:1], -v[2:3]
	v_add_f64 v[6:7], v[6:7], v[184:185]
	v_add_f64 v[6:7], v[6:7], v[186:187]
	s_waitcnt vmcnt(22) lgkmcnt(1)
	v_mul_f64 v[92:93], v[84:85], v[150:151]
	s_waitcnt vmcnt(20)
	v_fmac_f64_e32 v[92:93], v[86:87], v[152:153]
	v_add_f64 v[4:5], v[4:5], v[92:93]
	v_mul_f64 v[92:93], v[200:201], v[96:97]
	s_waitcnt vmcnt(18)
	v_mul_f64 v[96:97], v[88:89], v[156:157]
	v_fma_f64 v[190:191], v[198:199], v[98:99], -v[92:93]
	ds_read_b128 v[92:95], v16 offset:1312
	s_waitcnt vmcnt(16)
	v_fmac_f64_e32 v[96:97], v[90:91], v[158:159]
	v_add_f64 v[4:5], v[4:5], v[96:97]
	ds_read_b128 v[96:99], v16 offset:1328
	v_add_f64 v[6:7], v[6:7], v[188:189]
	s_waitcnt vmcnt(13) lgkmcnt(1)
	v_mul_f64 v[0:1], v[92:93], v[160:161]
	s_waitcnt vmcnt(11)
	v_fmac_f64_e32 v[0:1], v[94:95], v[166:167]
	v_add_f64 v[0:1], v[4:5], v[0:1]
	s_waitcnt vmcnt(10) lgkmcnt(0)
	v_mul_f64 v[2:3], v[96:97], v[154:155]
	s_waitcnt vmcnt(8)
	v_fmac_f64_e32 v[2:3], v[98:99], v[164:165]
	v_add_f64 v[0:1], v[0:1], v[2:3]
	s_waitcnt vmcnt(6)
	v_mul_f64 v[2:3], v[100:101], v[162:163]
	s_waitcnt vmcnt(4)
	v_fmac_f64_e32 v[2:3], v[102:103], v[168:169]
	v_add_f64 v[4:5], v[0:1], v[2:3]
	ds_read_b128 v[0:3], v16 offset:1360
	v_add_f64 v[194:195], v[6:7], v[194:195]
	v_add_f64 v[6:7], v[194:195], v[190:191]
	;; [unrolled: 1-line block ×3, first 2 shown]
	s_waitcnt vmcnt(1) lgkmcnt(0)
	v_mul_f64 v[174:175], v[0:1], v[170:171]
	s_waitcnt vmcnt(0)
	v_fmac_f64_e32 v[174:175], v[2:3], v[172:173]
	v_add_f64 v[4:5], v[4:5], v[174:175]
	buffer_load_dword v175, off, s[0:3], 0 offset:700
	buffer_load_dword v174, off, s[0:3], 0 offset:696
	;; [unrolled: 1-line block ×4, first 2 shown]
	ds_read_b128 v[196:199], v16 offset:1376
	v_mul_f64 v[2:3], v[2:3], v[170:171]
	v_fma_f64 v[0:1], v[0:1], v[172:173], -v[2:3]
	s_waitcnt vmcnt(2) lgkmcnt(0)
	v_mul_f64 v[180:181], v[196:197], v[174:175]
	v_mul_f64 v[2:3], v[198:199], v[174:175]
	s_waitcnt vmcnt(0)
	v_fmac_f64_e32 v[180:181], v[198:199], v[176:177]
	v_add_f64 v[4:5], v[4:5], v[180:181]
	buffer_load_dword v180, off, s[0:3], 0 offset:712
	buffer_load_dword v181, off, s[0:3], 0 offset:716
	;; [unrolled: 1-line block ×4, first 2 shown]
	ds_read_b128 v[200:203], v16 offset:1392
	buffer_load_dword v188, off, s[0:3], 0 offset:16
	buffer_load_dword v189, off, s[0:3], 0 offset:20
	;; [unrolled: 1-line block ×4, first 2 shown]
	v_accvgpr_read_b32 v16, a132
	v_accvgpr_read_b32 v17, a133
	v_mul_f64 v[104:105], v[208:209], v[16:17]
	v_accvgpr_read_b32 v16, a134
	v_accvgpr_read_b32 v17, a135
	v_fma_f64 v[104:105], v[206:207], v[16:17], -v[104:105]
	v_accvgpr_read_b32 v16, a136
	v_accvgpr_read_b32 v17, a137
	v_add_f64 v[6:7], v[6:7], v[104:105]
	v_mul_f64 v[104:105], v[122:123], v[224:225]
	v_mul_f64 v[10:11], v[10:11], v[16:17]
	v_accvgpr_read_b32 v16, a138
	v_fma_f64 v[104:105], v[120:121], v[228:229], -v[104:105]
	v_accvgpr_read_b32 v17, a139
	v_add_f64 v[6:7], v[6:7], v[104:105]
	v_fma_f64 v[8:9], v[8:9], v[16:17], -v[10:11]
	v_add_f64 v[6:7], v[6:7], v[8:9]
	v_mul_f64 v[8:9], v[118:119], v[232:233]
	v_fma_f64 v[8:9], v[116:117], v[236:237], -v[8:9]
	v_accvgpr_read_b32 v10, a140
	v_add_f64 v[6:7], v[6:7], v[8:9]
	v_mul_f64 v[8:9], v[14:15], v[18:19]
	v_accvgpr_read_b32 v11, a141
	v_fma_f64 v[8:9], v[12:13], v[10:11], -v[8:9]
	v_add_f64 v[6:7], v[6:7], v[8:9]
	v_mul_f64 v[8:9], v[22:23], v[240:241]
	v_fma_f64 v[8:9], v[20:21], v[244:245], -v[8:9]
	v_add_f64 v[6:7], v[6:7], v[8:9]
	v_mul_f64 v[8:9], v[26:27], v[216:217]
	;; [unrolled: 3-line block ×21, first 2 shown]
	v_fma_f64 v[8:9], v[100:101], v[168:169], -v[8:9]
	v_add_f64 v[6:7], v[6:7], v[8:9]
	v_add_f64 v[0:1], v[6:7], v[0:1]
	v_fma_f64 v[2:3], v[196:197], v[176:177], -v[2:3]
	v_add_f64 v[0:1], v[0:1], v[2:3]
	s_waitcnt vmcnt(6) lgkmcnt(0)
	v_mul_f64 v[2:3], v[202:203], v[180:181]
	v_mul_f64 v[204:205], v[200:201], v[180:181]
	s_waitcnt vmcnt(4)
	v_fma_f64 v[2:3], v[200:201], v[182:183], -v[2:3]
	v_fmac_f64_e32 v[204:205], v[202:203], v[182:183]
	v_add_f64 v[0:1], v[0:1], v[2:3]
	v_add_f64 v[4:5], v[4:5], v[204:205]
	s_waitcnt vmcnt(2)
	v_add_f64 v[0:1], v[188:189], -v[0:1]
	s_waitcnt vmcnt(0)
	v_add_f64 v[2:3], v[186:187], -v[4:5]
	buffer_store_dword v1, off, s[0:3], 0 offset:20
	buffer_store_dword v0, off, s[0:3], 0 offset:16
	;; [unrolled: 1-line block ×4, first 2 shown]
	s_cbranch_vccz .LBB107_365
; %bb.278:
	v_pk_mov_b32 v[0:1], s[10:11], s[10:11] op_sel:[0,1]
	flat_load_dword v0, v[0:1] offset:168
	s_waitcnt vmcnt(0) lgkmcnt(0)
	v_add_u32_e32 v0, -1, v0
	v_cmp_ne_u32_e32 vcc, 42, v0
	s_and_saveexec_b64 s[4:5], vcc
	s_cbranch_execz .LBB107_280
; %bb.279:
	v_mov_b32_e32 v1, 16
	v_accvgpr_read_b32 v9, a89
	v_lshl_add_u32 v0, v0, 4, v1
	buffer_load_dword v1, v9, s[0:3], 0 offen offset:4
	buffer_load_dword v2, v9, s[0:3], 0 offen offset:8
	buffer_load_dword v3, v9, s[0:3], 0 offen offset:12
	buffer_load_dword v4, v0, s[0:3], 0 offen
	buffer_load_dword v5, v0, s[0:3], 0 offen offset:4
	buffer_load_dword v6, v0, s[0:3], 0 offen offset:8
	buffer_load_dword v7, v0, s[0:3], 0 offen offset:12
	buffer_load_dword v8, v9, s[0:3], 0 offen
	s_waitcnt vmcnt(4)
	buffer_store_dword v4, v9, s[0:3], 0 offen
	s_waitcnt vmcnt(4)
	buffer_store_dword v5, v9, s[0:3], 0 offen offset:4
	s_waitcnt vmcnt(4)
	buffer_store_dword v6, v9, s[0:3], 0 offen offset:8
	s_waitcnt vmcnt(4)
	buffer_store_dword v7, v9, s[0:3], 0 offen offset:12
	buffer_store_dword v3, v0, s[0:3], 0 offen offset:12
	buffer_store_dword v2, v0, s[0:3], 0 offen offset:8
	buffer_store_dword v1, v0, s[0:3], 0 offen offset:4
	s_waitcnt vmcnt(7)
	buffer_store_dword v8, v0, s[0:3], 0 offen
.LBB107_280:
	s_or_b64 exec, exec, s[4:5]
	v_pk_mov_b32 v[0:1], s[10:11], s[10:11] op_sel:[0,1]
	flat_load_dword v0, v[0:1] offset:164
	s_waitcnt vmcnt(0) lgkmcnt(0)
	v_add_u32_e32 v0, -1, v0
	v_cmp_ne_u32_e32 vcc, 41, v0
	s_and_saveexec_b64 s[4:5], vcc
	s_cbranch_execz .LBB107_282
; %bb.281:
	v_mov_b32_e32 v1, 16
	v_accvgpr_read_b32 v9, a90
	v_lshl_add_u32 v0, v0, 4, v1
	buffer_load_dword v1, v9, s[0:3], 0 offen offset:4
	buffer_load_dword v2, v9, s[0:3], 0 offen offset:8
	buffer_load_dword v3, v9, s[0:3], 0 offen offset:12
	buffer_load_dword v4, v0, s[0:3], 0 offen
	buffer_load_dword v5, v0, s[0:3], 0 offen offset:4
	buffer_load_dword v6, v0, s[0:3], 0 offen offset:8
	buffer_load_dword v7, v0, s[0:3], 0 offen offset:12
	buffer_load_dword v8, v9, s[0:3], 0 offen
	s_waitcnt vmcnt(4)
	buffer_store_dword v4, v9, s[0:3], 0 offen
	s_waitcnt vmcnt(4)
	buffer_store_dword v5, v9, s[0:3], 0 offen offset:4
	s_waitcnt vmcnt(4)
	buffer_store_dword v6, v9, s[0:3], 0 offen offset:8
	s_waitcnt vmcnt(4)
	buffer_store_dword v7, v9, s[0:3], 0 offen offset:12
	buffer_store_dword v3, v0, s[0:3], 0 offen offset:12
	buffer_store_dword v2, v0, s[0:3], 0 offen offset:8
	buffer_store_dword v1, v0, s[0:3], 0 offen offset:4
	s_waitcnt vmcnt(7)
	buffer_store_dword v8, v0, s[0:3], 0 offen
.LBB107_282:
	s_or_b64 exec, exec, s[4:5]
	;; [unrolled: 34-line block ×42, first 2 shown]
	v_pk_mov_b32 v[0:1], s[10:11], s[10:11] op_sel:[0,1]
	flat_load_dword v0, v[0:1]
	s_waitcnt vmcnt(0) lgkmcnt(0)
	v_add_u32_e32 v0, -1, v0
	v_cmp_ne_u32_e32 vcc, 0, v0
	s_and_saveexec_b64 s[4:5], vcc
	s_cbranch_execz .LBB107_364
; %bb.363:
	v_mov_b32_e32 v1, 16
	v_lshl_add_u32 v0, v0, 4, v1
	buffer_load_dword v1, v0, s[0:3], 0 offen
	buffer_load_dword v2, v0, s[0:3], 0 offen offset:4
	buffer_load_dword v3, v0, s[0:3], 0 offen offset:8
	;; [unrolled: 1-line block ×3, first 2 shown]
	buffer_load_dword v5, off, s[0:3], 0 offset:28
	buffer_load_dword v6, off, s[0:3], 0 offset:24
	;; [unrolled: 1-line block ×4, first 2 shown]
	s_waitcnt vmcnt(7)
	buffer_store_dword v1, off, s[0:3], 0 offset:16
	s_waitcnt vmcnt(7)
	buffer_store_dword v2, off, s[0:3], 0 offset:20
	;; [unrolled: 2-line block ×4, first 2 shown]
	s_waitcnt vmcnt(7)
	buffer_store_dword v5, v0, s[0:3], 0 offen offset:12
	s_waitcnt vmcnt(7)
	buffer_store_dword v6, v0, s[0:3], 0 offen offset:8
	;; [unrolled: 2-line block ×3, first 2 shown]
	s_waitcnt vmcnt(7)
	buffer_store_dword v8, v0, s[0:3], 0 offen
.LBB107_364:
	s_or_b64 exec, exec, s[4:5]
.LBB107_365:
	buffer_load_dword v0, off, s[0:3], 0 offset:16
	buffer_load_dword v1, off, s[0:3], 0 offset:20
	;; [unrolled: 1-line block ×4, first 2 shown]
	v_accvgpr_read_b32 v4, a66
	v_accvgpr_read_b32 v5, a67
	s_waitcnt vmcnt(0)
	global_store_dwordx4 v[4:5], v[0:3], off
	s_nop 0
	v_accvgpr_read_b32 v3, a130
	buffer_load_dword v0, v3, s[0:3], 0 offen
	buffer_load_dword v1, v3, s[0:3], 0 offen offset:4
	buffer_load_dword v2, v3, s[0:3], 0 offen offset:8
	s_nop 0
	buffer_load_dword v3, v3, s[0:3], 0 offen offset:12
	v_accvgpr_read_b32 v4, a56
	v_accvgpr_read_b32 v5, a57
	s_waitcnt vmcnt(0)
	global_store_dwordx4 v[4:5], v[0:3], off
	s_nop 0
	v_accvgpr_read_b32 v3, a129
	buffer_load_dword v0, v3, s[0:3], 0 offen
	buffer_load_dword v1, v3, s[0:3], 0 offen offset:4
	buffer_load_dword v2, v3, s[0:3], 0 offen offset:8
	s_nop 0
	buffer_load_dword v3, v3, s[0:3], 0 offen offset:12
	v_accvgpr_read_b32 v4, a46
	v_accvgpr_read_b32 v5, a47
	s_waitcnt vmcnt(0)
	global_store_dwordx4 v[4:5], v[0:3], off
	v_accvgpr_read_b32 v4, a128
	buffer_load_dword v0, v4, s[0:3], 0 offen
	buffer_load_dword v1, v4, s[0:3], 0 offen offset:4
	buffer_load_dword v2, v4, s[0:3], 0 offen offset:8
	buffer_load_dword v3, v4, s[0:3], 0 offen offset:12
	v_accvgpr_read_b32 v4, a86
	v_accvgpr_read_b32 v5, a87
	s_waitcnt vmcnt(0)
	global_store_dwordx4 v[4:5], v[0:3], off
	v_accvgpr_read_b32 v4, a127
	buffer_load_dword v0, v4, s[0:3], 0 offen
	buffer_load_dword v1, v4, s[0:3], 0 offen offset:4
	buffer_load_dword v2, v4, s[0:3], 0 offen offset:8
	;; [unrolled: 9-line block ×41, first 2 shown]
	buffer_load_dword v3, v4, s[0:3], 0 offen offset:12
	v_accvgpr_read_b32 v5, a1
	v_accvgpr_read_b32 v4, a0
	s_waitcnt vmcnt(0)
	global_store_dwordx4 v[4:5], v[0:3], off
	s_endpgm
	.section	.rodata,"a",@progbits
	.p2align	6, 0x0
	.amdhsa_kernel _ZN9rocsolver6v33100L18getri_kernel_smallILi44E19rocblas_complex_numIdEPKPS3_EEvT1_iilPiilS8_bb
		.amdhsa_group_segment_fixed_size 1416
		.amdhsa_private_segment_fixed_size 736
		.amdhsa_kernarg_size 60
		.amdhsa_user_sgpr_count 8
		.amdhsa_user_sgpr_private_segment_buffer 1
		.amdhsa_user_sgpr_dispatch_ptr 0
		.amdhsa_user_sgpr_queue_ptr 0
		.amdhsa_user_sgpr_kernarg_segment_ptr 1
		.amdhsa_user_sgpr_dispatch_id 0
		.amdhsa_user_sgpr_flat_scratch_init 1
		.amdhsa_user_sgpr_kernarg_preload_length 0
		.amdhsa_user_sgpr_kernarg_preload_offset 0
		.amdhsa_user_sgpr_private_segment_size 0
		.amdhsa_uses_dynamic_stack 0
		.amdhsa_system_sgpr_private_segment_wavefront_offset 1
		.amdhsa_system_sgpr_workgroup_id_x 1
		.amdhsa_system_sgpr_workgroup_id_y 0
		.amdhsa_system_sgpr_workgroup_id_z 0
		.amdhsa_system_sgpr_workgroup_info 0
		.amdhsa_system_vgpr_workitem_id 0
		.amdhsa_next_free_vgpr 398
		.amdhsa_next_free_sgpr 22
		.amdhsa_accum_offset 256
		.amdhsa_reserve_vcc 1
		.amdhsa_reserve_flat_scratch 1
		.amdhsa_float_round_mode_32 0
		.amdhsa_float_round_mode_16_64 0
		.amdhsa_float_denorm_mode_32 3
		.amdhsa_float_denorm_mode_16_64 3
		.amdhsa_dx10_clamp 1
		.amdhsa_ieee_mode 1
		.amdhsa_fp16_overflow 0
		.amdhsa_tg_split 0
		.amdhsa_exception_fp_ieee_invalid_op 0
		.amdhsa_exception_fp_denorm_src 0
		.amdhsa_exception_fp_ieee_div_zero 0
		.amdhsa_exception_fp_ieee_overflow 0
		.amdhsa_exception_fp_ieee_underflow 0
		.amdhsa_exception_fp_ieee_inexact 0
		.amdhsa_exception_int_div_zero 0
	.end_amdhsa_kernel
	.section	.text._ZN9rocsolver6v33100L18getri_kernel_smallILi44E19rocblas_complex_numIdEPKPS3_EEvT1_iilPiilS8_bb,"axG",@progbits,_ZN9rocsolver6v33100L18getri_kernel_smallILi44E19rocblas_complex_numIdEPKPS3_EEvT1_iilPiilS8_bb,comdat
.Lfunc_end107:
	.size	_ZN9rocsolver6v33100L18getri_kernel_smallILi44E19rocblas_complex_numIdEPKPS3_EEvT1_iilPiilS8_bb, .Lfunc_end107-_ZN9rocsolver6v33100L18getri_kernel_smallILi44E19rocblas_complex_numIdEPKPS3_EEvT1_iilPiilS8_bb
                                        ; -- End function
	.section	.AMDGPU.csdata,"",@progbits
; Kernel info:
; codeLenInByte = 125420
; NumSgprs: 28
; NumVgprs: 256
; NumAgprs: 142
; TotalNumVgprs: 398
; ScratchSize: 736
; MemoryBound: 0
; FloatMode: 240
; IeeeMode: 1
; LDSByteSize: 1416 bytes/workgroup (compile time only)
; SGPRBlocks: 3
; VGPRBlocks: 49
; NumSGPRsForWavesPerEU: 28
; NumVGPRsForWavesPerEU: 398
; AccumOffset: 256
; Occupancy: 1
; WaveLimiterHint : 1
; COMPUTE_PGM_RSRC2:SCRATCH_EN: 1
; COMPUTE_PGM_RSRC2:USER_SGPR: 8
; COMPUTE_PGM_RSRC2:TRAP_HANDLER: 0
; COMPUTE_PGM_RSRC2:TGID_X_EN: 1
; COMPUTE_PGM_RSRC2:TGID_Y_EN: 0
; COMPUTE_PGM_RSRC2:TGID_Z_EN: 0
; COMPUTE_PGM_RSRC2:TIDIG_COMP_CNT: 0
; COMPUTE_PGM_RSRC3_GFX90A:ACCUM_OFFSET: 63
; COMPUTE_PGM_RSRC3_GFX90A:TG_SPLIT: 0
	.section	.text._ZN9rocsolver6v33100L18getri_kernel_smallILi45E19rocblas_complex_numIdEPKPS3_EEvT1_iilPiilS8_bb,"axG",@progbits,_ZN9rocsolver6v33100L18getri_kernel_smallILi45E19rocblas_complex_numIdEPKPS3_EEvT1_iilPiilS8_bb,comdat
	.globl	_ZN9rocsolver6v33100L18getri_kernel_smallILi45E19rocblas_complex_numIdEPKPS3_EEvT1_iilPiilS8_bb ; -- Begin function _ZN9rocsolver6v33100L18getri_kernel_smallILi45E19rocblas_complex_numIdEPKPS3_EEvT1_iilPiilS8_bb
	.p2align	8
	.type	_ZN9rocsolver6v33100L18getri_kernel_smallILi45E19rocblas_complex_numIdEPKPS3_EEvT1_iilPiilS8_bb,@function
_ZN9rocsolver6v33100L18getri_kernel_smallILi45E19rocblas_complex_numIdEPKPS3_EEvT1_iilPiilS8_bb: ; @_ZN9rocsolver6v33100L18getri_kernel_smallILi45E19rocblas_complex_numIdEPKPS3_EEvT1_iilPiilS8_bb
; %bb.0:
	s_add_u32 flat_scratch_lo, s6, s9
	s_addc_u32 flat_scratch_hi, s7, 0
	s_add_u32 s0, s0, s9
	v_mov_b32_e32 v255, v0
	s_addc_u32 s1, s1, 0
	v_cmp_gt_u32_e32 vcc, 45, v255
	s_and_saveexec_b64 s[6:7], vcc
	s_cbranch_execz .LBB108_194
; %bb.1:
	s_load_dword s18, s[4:5], 0x38
	s_load_dwordx2 s[6:7], s[4:5], 0x0
	s_load_dwordx4 s[12:15], s[4:5], 0x28
	s_waitcnt lgkmcnt(0)
	s_bitcmp1_b32 s18, 8
	s_cselect_b64 s[16:17], -1, 0
	s_ashr_i32 s9, s8, 31
	s_lshl_b64 s[10:11], s[8:9], 3
	s_add_u32 s6, s6, s10
	s_addc_u32 s7, s7, s11
	s_load_dwordx2 s[6:7], s[6:7], 0x0
	s_bfe_u32 s10, s18, 0x10008
	s_cmp_eq_u32 s10, 0
                                        ; implicit-def: $sgpr10_sgpr11
	s_cbranch_scc1 .LBB108_3
; %bb.2:
	s_load_dword s10, s[4:5], 0x20
	s_load_dwordx2 s[20:21], s[4:5], 0x18
	s_mul_i32 s11, s8, s13
	s_mul_hi_u32 s13, s8, s12
	s_add_i32 s13, s13, s11
	s_mul_i32 s19, s9, s12
	s_add_i32 s13, s13, s19
	s_mul_i32 s12, s8, s12
	s_waitcnt lgkmcnt(0)
	s_ashr_i32 s11, s10, 31
	s_lshl_b64 s[12:13], s[12:13], 2
	s_add_u32 s12, s20, s12
	s_addc_u32 s13, s21, s13
	s_lshl_b64 s[10:11], s[10:11], 2
	s_add_u32 s10, s12, s10
	s_addc_u32 s11, s13, s11
.LBB108_3:
	s_load_dwordx2 s[4:5], s[4:5], 0x8
	v_lshlrev_b32_e32 v1, 4, v255
	s_waitcnt lgkmcnt(0)
	s_ashr_i32 s13, s4, 31
	s_mov_b32 s12, s4
	s_lshl_b64 s[12:13], s[12:13], 4
	s_add_u32 s6, s6, s12
	s_addc_u32 s7, s7, s13
	v_mov_b32_e32 v0, s7
	v_add_co_u32_e32 v6, vcc, s6, v1
	global_load_dwordx4 v[2:5], v1, s[6:7]
	s_ashr_i32 s13, s5, 31
	s_mov_b32 s12, s5
	v_addc_co_u32_e32 v7, vcc, 0, v0, vcc
	s_lshl_b64 s[12:13], s[12:13], 4
	v_mov_b32_e32 v0, s13
	v_add_co_u32_e32 v10, vcc, s12, v6
	v_accvgpr_write_b32 a0, v6
	s_add_i32 s4, s5, s5
	v_accvgpr_write_b32 a1, v7
	v_addc_co_u32_e32 v11, vcc, v7, v0, vcc
	v_add_u32_e32 v6, s4, v255
	v_ashrrev_i32_e32 v7, 31, v6
	global_load_dwordx4 v[18:21], v[10:11], off
	v_lshlrev_b64 v[8:9], 4, v[6:7]
	v_mov_b32_e32 v0, s7
	v_add_co_u32_e32 v8, vcc, s6, v8
	v_addc_co_u32_e32 v9, vcc, v0, v9, vcc
	global_load_dwordx4 v[22:25], v[8:9], off
	v_add_u32_e32 v6, s5, v6
	v_accvgpr_write_b32 a4, v8
	v_ashrrev_i32_e32 v7, 31, v6
	v_accvgpr_write_b32 a5, v9
	v_lshlrev_b64 v[8:9], 4, v[6:7]
	v_add_co_u32_e32 v8, vcc, s6, v8
	v_addc_co_u32_e32 v9, vcc, v0, v9, vcc
	global_load_dwordx4 v[26:29], v[8:9], off
	v_accvgpr_write_b32 a2, v10
	v_accvgpr_write_b32 a3, v11
	v_add_u32_e32 v10, s5, v6
	v_ashrrev_i32_e32 v11, 31, v10
	v_lshlrev_b64 v[6:7], 4, v[10:11]
	v_add_u32_e32 v10, s5, v10
	v_add_co_u32_e32 v6, vcc, s6, v6
	v_ashrrev_i32_e32 v11, 31, v10
	v_addc_co_u32_e32 v7, vcc, v0, v7, vcc
	v_add_u32_e32 v12, s5, v10
	v_lshlrev_b64 v[10:11], 4, v[10:11]
	v_ashrrev_i32_e32 v13, 31, v12
	v_add_co_u32_e32 v36, vcc, s6, v10
	v_addc_co_u32_e32 v37, vcc, v0, v11, vcc
	v_lshlrev_b64 v[10:11], 4, v[12:13]
	v_mov_b32_e32 v16, s7
	v_add_co_u32_e32 v10, vcc, s6, v10
	v_addc_co_u32_e32 v11, vcc, v16, v11, vcc
	v_accvgpr_write_b32 a6, v8
	v_accvgpr_write_b32 a15, v7
	;; [unrolled: 1-line block ×5, first 2 shown]
	v_add_u32_e32 v14, s5, v12
	v_accvgpr_write_b32 a12, v10
	global_load_dwordx4 v[10:13], v[10:11], off
	v_ashrrev_i32_e32 v15, 31, v14
	global_load_dwordx4 v[6:9], v[6:7], off
	v_add_u32_e32 v30, s5, v14
	v_lshlrev_b64 v[32:33], 4, v[14:15]
	global_load_dwordx4 v[14:17], v[36:37], off
	v_accvgpr_write_b32 a16, v36
	v_mov_b32_e32 v34, s7
	v_ashrrev_i32_e32 v31, 31, v30
	v_accvgpr_write_b32 a17, v37
	v_add_co_u32_e32 v36, vcc, s6, v32
	v_addc_co_u32_e32 v37, vcc, v34, v33, vcc
	v_lshlrev_b64 v[32:33], 4, v[30:31]
	s_waitcnt vmcnt(6)
	buffer_store_dword v5, off, s[0:3], 0 offset:28
	buffer_store_dword v4, off, s[0:3], 0 offset:24
	buffer_store_dword v3, off, s[0:3], 0 offset:20
	buffer_store_dword v2, off, s[0:3], 0 offset:16
	s_waitcnt vmcnt(9)
	buffer_store_dword v21, off, s[0:3], 0 offset:44
	buffer_store_dword v20, off, s[0:3], 0 offset:40
	buffer_store_dword v19, off, s[0:3], 0 offset:36
	buffer_store_dword v18, off, s[0:3], 0 offset:32
	;; [unrolled: 5-line block ×4, first 2 shown]
	v_add_co_u32_e32 v2, vcc, s6, v32
	global_load_dwordx4 v[18:21], v[36:37], off
	v_addc_co_u32_e32 v3, vcc, v0, v33, vcc
	global_load_dwordx4 v[22:25], v[2:3], off
	v_accvgpr_write_b32 a11, v3
	v_accvgpr_write_b32 a10, v2
	v_add_u32_e32 v2, s5, v30
	v_ashrrev_i32_e32 v3, 31, v2
	v_lshlrev_b64 v[4:5], 4, v[2:3]
	v_add_co_u32_e32 v26, vcc, s6, v4
	v_addc_co_u32_e32 v27, vcc, v0, v5, vcc
	v_add_u32_e32 v2, s5, v2
	v_accvgpr_write_b32 a18, v26
	v_ashrrev_i32_e32 v3, 31, v2
	v_accvgpr_write_b32 a19, v27
	global_load_dwordx4 v[26:29], v[26:27], off
	v_lshlrev_b64 v[4:5], 4, v[2:3]
	v_add_co_u32_e32 v4, vcc, s6, v4
	v_addc_co_u32_e32 v5, vcc, v0, v5, vcc
	v_add_u32_e32 v2, s5, v2
	v_accvgpr_write_b32 a21, v5
	global_load_dwordx4 v[30:33], v[4:5], off
	v_ashrrev_i32_e32 v3, 31, v2
	v_accvgpr_write_b32 a20, v4
	v_lshlrev_b64 v[4:5], 4, v[2:3]
	v_add_co_u32_e32 v34, vcc, s6, v4
	v_accvgpr_write_b32 a8, v36
	v_addc_co_u32_e32 v35, vcc, v0, v5, vcc
	v_add_u32_e32 v2, s5, v2
	v_accvgpr_write_b32 a22, v34
	v_accvgpr_write_b32 a9, v37
	v_ashrrev_i32_e32 v3, 31, v2
	v_accvgpr_write_b32 a23, v35
	global_load_dwordx4 v[34:37], v[34:35], off
	v_lshlrev_b64 v[4:5], 4, v[2:3]
	v_add_co_u32_e32 v4, vcc, s6, v4
	v_addc_co_u32_e32 v5, vcc, v0, v5, vcc
	global_load_dwordx4 v[38:41], v[4:5], off
	v_add_u32_e32 v2, s5, v2
	v_accvgpr_write_b32 a25, v5
	v_ashrrev_i32_e32 v3, 31, v2
	v_accvgpr_write_b32 a24, v4
	v_lshlrev_b64 v[4:5], 4, v[2:3]
	v_add_co_u32_e32 v42, vcc, s6, v4
	v_addc_co_u32_e32 v43, vcc, v0, v5, vcc
	v_add_u32_e32 v2, s5, v2
	v_accvgpr_write_b32 a26, v42
	v_ashrrev_i32_e32 v3, 31, v2
	v_accvgpr_write_b32 a27, v43
	global_load_dwordx4 v[42:45], v[42:43], off
	v_lshlrev_b64 v[4:5], 4, v[2:3]
	v_add_co_u32_e32 v4, vcc, s6, v4
	v_addc_co_u32_e32 v5, vcc, v0, v5, vcc
	global_load_dwordx4 v[46:49], v[4:5], off
	v_add_u32_e32 v2, s5, v2
	v_accvgpr_write_b32 a29, v5
	v_ashrrev_i32_e32 v3, 31, v2
	v_accvgpr_write_b32 a28, v4
	v_lshlrev_b64 v[4:5], 4, v[2:3]
	v_add_co_u32_e32 v50, vcc, s6, v4
	v_addc_co_u32_e32 v51, vcc, v0, v5, vcc
	v_add_u32_e32 v2, s5, v2
	v_accvgpr_write_b32 a30, v50
	v_ashrrev_i32_e32 v3, 31, v2
	v_accvgpr_write_b32 a31, v51
	global_load_dwordx4 v[50:53], v[50:51], off
	v_lshlrev_b64 v[4:5], 4, v[2:3]
	v_add_co_u32_e32 v4, vcc, s6, v4
	v_addc_co_u32_e32 v5, vcc, v0, v5, vcc
	global_load_dwordx4 v[54:57], v[4:5], off
	v_add_u32_e32 v2, s5, v2
	v_accvgpr_write_b32 a33, v5
	v_ashrrev_i32_e32 v3, 31, v2
	v_accvgpr_write_b32 a32, v4
	v_lshlrev_b64 v[4:5], 4, v[2:3]
	v_add_co_u32_e32 v58, vcc, s6, v4
	v_addc_co_u32_e32 v59, vcc, v0, v5, vcc
	v_add_u32_e32 v2, s5, v2
	v_accvgpr_write_b32 a34, v58
	v_ashrrev_i32_e32 v3, 31, v2
	v_accvgpr_write_b32 a35, v59
	global_load_dwordx4 v[58:61], v[58:59], off
	v_lshlrev_b64 v[4:5], 4, v[2:3]
	v_add_co_u32_e32 v4, vcc, s6, v4
	v_addc_co_u32_e32 v5, vcc, v0, v5, vcc
	global_load_dwordx4 v[62:65], v[4:5], off
	v_add_u32_e32 v2, s5, v2
	v_accvgpr_write_b32 a37, v5
	v_ashrrev_i32_e32 v3, 31, v2
	v_accvgpr_write_b32 a36, v4
	v_lshlrev_b64 v[4:5], 4, v[2:3]
	v_add_co_u32_e32 v66, vcc, s6, v4
	v_addc_co_u32_e32 v67, vcc, v0, v5, vcc
	v_add_u32_e32 v2, s5, v2
	v_accvgpr_write_b32 a38, v66
	v_ashrrev_i32_e32 v3, 31, v2
	v_accvgpr_write_b32 a39, v67
	global_load_dwordx4 v[66:69], v[66:67], off
	v_lshlrev_b64 v[4:5], 4, v[2:3]
	v_add_co_u32_e32 v4, vcc, s6, v4
	v_addc_co_u32_e32 v5, vcc, v0, v5, vcc
	global_load_dwordx4 v[70:73], v[4:5], off
	v_add_u32_e32 v2, s5, v2
	v_accvgpr_write_b32 a41, v5
	v_ashrrev_i32_e32 v3, 31, v2
	v_accvgpr_write_b32 a40, v4
	v_lshlrev_b64 v[4:5], 4, v[2:3]
	v_add_co_u32_e32 v74, vcc, s6, v4
	v_addc_co_u32_e32 v75, vcc, v0, v5, vcc
	v_add_u32_e32 v2, s5, v2
	v_accvgpr_write_b32 a42, v74
	v_ashrrev_i32_e32 v3, 31, v2
	v_accvgpr_write_b32 a43, v75
	global_load_dwordx4 v[74:77], v[74:75], off
	v_lshlrev_b64 v[4:5], 4, v[2:3]
	v_add_co_u32_e32 v4, vcc, s6, v4
	v_addc_co_u32_e32 v5, vcc, v0, v5, vcc
	global_load_dwordx4 v[78:81], v[4:5], off
	v_add_u32_e32 v2, s5, v2
	v_accvgpr_write_b32 a45, v5
	v_ashrrev_i32_e32 v3, 31, v2
	v_accvgpr_write_b32 a44, v4
	v_lshlrev_b64 v[4:5], 4, v[2:3]
	v_add_co_u32_e32 v4, vcc, s6, v4
	v_add_u32_e32 v86, s5, v2
	v_addc_co_u32_e32 v5, vcc, v0, v5, vcc
	v_ashrrev_i32_e32 v87, 31, v86
	v_lshlrev_b64 v[2:3], 4, v[86:87]
	global_load_dwordx4 v[82:85], v[4:5], off
	v_add_co_u32_e32 v2, vcc, s6, v2
	v_addc_co_u32_e32 v3, vcc, v0, v3, vcc
	v_accvgpr_write_b32 a47, v5
	v_accvgpr_write_b32 a49, v3
	;; [unrolled: 1-line block ×4, first 2 shown]
	global_load_dwordx4 v[2:5], v[2:3], off
	s_bitcmp0_b32 s18, 0
	s_waitcnt vmcnt(35)
	buffer_store_dword v9, off, s[0:3], 0 offset:92
	buffer_store_dword v8, off, s[0:3], 0 offset:88
	;; [unrolled: 1-line block ×4, first 2 shown]
	s_waitcnt vmcnt(38)
	buffer_store_dword v17, off, s[0:3], 0 offset:108
	buffer_store_dword v16, off, s[0:3], 0 offset:104
	;; [unrolled: 1-line block ×8, first 2 shown]
	s_waitcnt vmcnt(29)
	buffer_store_dword v21, off, s[0:3], 0 offset:140
	buffer_store_dword v20, off, s[0:3], 0 offset:136
	buffer_store_dword v19, off, s[0:3], 0 offset:132
	buffer_store_dword v18, off, s[0:3], 0 offset:128
	s_waitcnt vmcnt(32)
	buffer_store_dword v25, off, s[0:3], 0 offset:156
	buffer_store_dword v24, off, s[0:3], 0 offset:152
	buffer_store_dword v23, off, s[0:3], 0 offset:148
	buffer_store_dword v22, off, s[0:3], 0 offset:144
	;; [unrolled: 5-line block ×13, first 2 shown]
	buffer_store_dword v73, off, s[0:3], 0 offset:348
	buffer_store_dword v72, off, s[0:3], 0 offset:344
	buffer_store_dword v71, off, s[0:3], 0 offset:340
	buffer_store_dword v70, off, s[0:3], 0 offset:336
	buffer_store_dword v77, off, s[0:3], 0 offset:364
	buffer_store_dword v76, off, s[0:3], 0 offset:360
	buffer_store_dword v75, off, s[0:3], 0 offset:356
	buffer_store_dword v74, off, s[0:3], 0 offset:352
	buffer_store_dword v81, off, s[0:3], 0 offset:380
	buffer_store_dword v80, off, s[0:3], 0 offset:376
	buffer_store_dword v79, off, s[0:3], 0 offset:372
	buffer_store_dword v78, off, s[0:3], 0 offset:368
	s_waitcnt vmcnt(62)
	buffer_store_dword v85, off, s[0:3], 0 offset:396
	buffer_store_dword v84, off, s[0:3], 0 offset:392
	;; [unrolled: 1-line block ×5, first 2 shown]
	v_add_u32_e32 v6, s5, v86
	v_ashrrev_i32_e32 v7, 31, v6
	v_lshlrev_b64 v[8:9], 4, v[6:7]
	v_add_u32_e32 v14, s5, v6
	v_add_co_u32_e32 v8, vcc, s6, v8
	v_ashrrev_i32_e32 v15, 31, v14
	v_addc_co_u32_e32 v9, vcc, v0, v9, vcc
	v_lshlrev_b64 v[6:7], 4, v[14:15]
	v_add_co_u32_e32 v10, vcc, s6, v6
	v_accvgpr_write_b32 a53, v9
	v_addc_co_u32_e32 v11, vcc, v0, v7, vcc
	v_accvgpr_write_b32 a52, v8
	global_load_dwordx4 v[6:9], v[8:9], off
	v_add_u32_e32 v14, s5, v14
	v_accvgpr_write_b32 a55, v11
	v_ashrrev_i32_e32 v15, 31, v14
	v_accvgpr_write_b32 a54, v10
	global_load_dwordx4 v[10:13], v[10:11], off
	v_lshlrev_b64 v[16:17], 4, v[14:15]
	v_add_u32_e32 v22, s5, v14
	v_add_co_u32_e32 v16, vcc, s6, v16
	v_ashrrev_i32_e32 v23, 31, v22
	v_addc_co_u32_e32 v17, vcc, v0, v17, vcc
	v_lshlrev_b64 v[14:15], 4, v[22:23]
	v_add_co_u32_e32 v18, vcc, s6, v14
	v_accvgpr_write_b32 a57, v17
	v_addc_co_u32_e32 v19, vcc, v0, v15, vcc
	v_accvgpr_write_b32 a56, v16
	global_load_dwordx4 v[14:17], v[16:17], off
	v_add_u32_e32 v22, s5, v22
	v_accvgpr_write_b32 a59, v19
	v_ashrrev_i32_e32 v23, 31, v22
	v_accvgpr_write_b32 a58, v18
	global_load_dwordx4 v[18:21], v[18:19], off
	v_lshlrev_b64 v[24:25], 4, v[22:23]
	v_add_u32_e32 v30, s5, v22
	v_add_co_u32_e32 v24, vcc, s6, v24
	v_ashrrev_i32_e32 v31, 31, v30
	v_addc_co_u32_e32 v25, vcc, v0, v25, vcc
	v_lshlrev_b64 v[22:23], 4, v[30:31]
	v_add_co_u32_e32 v26, vcc, s6, v22
	v_accvgpr_write_b32 a61, v25
	v_addc_co_u32_e32 v27, vcc, v0, v23, vcc
	v_accvgpr_write_b32 a60, v24
	global_load_dwordx4 v[22:25], v[24:25], off
	v_add_u32_e32 v30, s5, v30
	v_accvgpr_write_b32 a63, v27
	v_ashrrev_i32_e32 v31, 31, v30
	v_accvgpr_write_b32 a62, v26
	global_load_dwordx4 v[26:29], v[26:27], off
	v_lshlrev_b64 v[32:33], 4, v[30:31]
	v_add_u32_e32 v38, s5, v30
	v_add_co_u32_e32 v32, vcc, s6, v32
	v_ashrrev_i32_e32 v39, 31, v38
	v_addc_co_u32_e32 v33, vcc, v0, v33, vcc
	v_lshlrev_b64 v[30:31], 4, v[38:39]
	v_add_co_u32_e32 v34, vcc, s6, v30
	v_accvgpr_write_b32 a65, v33
	v_addc_co_u32_e32 v35, vcc, v0, v31, vcc
	v_accvgpr_write_b32 a64, v32
	global_load_dwordx4 v[30:33], v[32:33], off
	v_add_u32_e32 v38, s5, v38
	v_accvgpr_write_b32 a67, v35
	v_ashrrev_i32_e32 v39, 31, v38
	v_accvgpr_write_b32 a66, v34
	global_load_dwordx4 v[34:37], v[34:35], off
	v_lshlrev_b64 v[40:41], 4, v[38:39]
	v_add_u32_e32 v46, s5, v38
	v_add_co_u32_e32 v40, vcc, s6, v40
	v_ashrrev_i32_e32 v47, 31, v46
	v_addc_co_u32_e32 v41, vcc, v0, v41, vcc
	v_lshlrev_b64 v[38:39], 4, v[46:47]
	v_add_co_u32_e32 v42, vcc, s6, v38
	v_accvgpr_write_b32 a69, v41
	v_addc_co_u32_e32 v43, vcc, v0, v39, vcc
	v_accvgpr_write_b32 a68, v40
	global_load_dwordx4 v[38:41], v[40:41], off
	v_add_u32_e32 v46, s5, v46
	v_accvgpr_write_b32 a71, v43
	v_ashrrev_i32_e32 v47, 31, v46
	v_accvgpr_write_b32 a70, v42
	global_load_dwordx4 v[42:45], v[42:43], off
	v_lshlrev_b64 v[48:49], 4, v[46:47]
	v_add_u32_e32 v54, s5, v46
	v_add_co_u32_e32 v48, vcc, s6, v48
	v_ashrrev_i32_e32 v55, 31, v54
	v_addc_co_u32_e32 v49, vcc, v0, v49, vcc
	v_lshlrev_b64 v[46:47], 4, v[54:55]
	v_add_co_u32_e32 v50, vcc, s6, v46
	v_accvgpr_write_b32 a73, v49
	v_addc_co_u32_e32 v51, vcc, v0, v47, vcc
	v_accvgpr_write_b32 a72, v48
	global_load_dwordx4 v[46:49], v[48:49], off
	v_add_u32_e32 v54, s5, v54
	v_accvgpr_write_b32 a75, v51
	v_ashrrev_i32_e32 v55, 31, v54
	v_accvgpr_write_b32 a74, v50
	global_load_dwordx4 v[50:53], v[50:51], off
	v_lshlrev_b64 v[56:57], 4, v[54:55]
	v_add_u32_e32 v62, s5, v54
	v_add_co_u32_e32 v56, vcc, s6, v56
	v_ashrrev_i32_e32 v63, 31, v62
	v_addc_co_u32_e32 v57, vcc, v0, v57, vcc
	v_lshlrev_b64 v[54:55], 4, v[62:63]
	v_add_co_u32_e32 v58, vcc, s6, v54
	v_accvgpr_write_b32 a77, v57
	v_addc_co_u32_e32 v59, vcc, v0, v55, vcc
	v_accvgpr_write_b32 a76, v56
	global_load_dwordx4 v[54:57], v[56:57], off
	v_add_u32_e32 v62, s5, v62
	v_accvgpr_write_b32 a79, v59
	v_ashrrev_i32_e32 v63, 31, v62
	v_accvgpr_write_b32 a78, v58
	global_load_dwordx4 v[58:61], v[58:59], off
	v_lshlrev_b64 v[64:65], 4, v[62:63]
	v_add_u32_e32 v70, s5, v62
	v_add_co_u32_e32 v64, vcc, s6, v64
	v_ashrrev_i32_e32 v71, 31, v70
	v_addc_co_u32_e32 v65, vcc, v0, v65, vcc
	v_lshlrev_b64 v[62:63], 4, v[70:71]
	v_add_co_u32_e32 v66, vcc, s6, v62
	v_accvgpr_write_b32 a81, v65
	v_addc_co_u32_e32 v67, vcc, v0, v63, vcc
	v_accvgpr_write_b32 a80, v64
	global_load_dwordx4 v[62:65], v[64:65], off
	v_add_u32_e32 v70, s5, v70
	v_accvgpr_write_b32 a83, v67
	v_ashrrev_i32_e32 v71, 31, v70
	v_accvgpr_write_b32 a82, v66
	global_load_dwordx4 v[66:69], v[66:67], off
	v_lshlrev_b64 v[72:73], 4, v[70:71]
	v_add_u32_e32 v78, s5, v70
	v_add_co_u32_e32 v72, vcc, s6, v72
	v_ashrrev_i32_e32 v79, 31, v78
	v_addc_co_u32_e32 v73, vcc, v0, v73, vcc
	v_lshlrev_b64 v[70:71], 4, v[78:79]
	v_add_co_u32_e32 v74, vcc, s6, v70
	v_accvgpr_write_b32 a85, v73
	v_addc_co_u32_e32 v75, vcc, v0, v71, vcc
	v_accvgpr_write_b32 a84, v72
	global_load_dwordx4 v[70:73], v[72:73], off
	v_add_u32_e32 v78, s5, v78
	v_accvgpr_write_b32 a87, v75
	v_ashrrev_i32_e32 v79, 31, v78
	v_accvgpr_write_b32 a86, v74
	global_load_dwordx4 v[74:77], v[74:75], off
	v_lshlrev_b64 v[80:81], 4, v[78:79]
	v_add_co_u32_e32 v80, vcc, s6, v80
	v_addc_co_u32_e32 v81, vcc, v0, v81, vcc
	v_add_u32_e32 v78, s5, v78
	v_ashrrev_i32_e32 v79, 31, v78
	v_accvgpr_write_b32 a89, v81
	v_lshlrev_b64 v[82:83], 4, v[78:79]
	v_accvgpr_write_b32 a88, v80
	global_load_dwordx4 v[78:81], v[80:81], off
	v_add_co_u32_e32 v82, vcc, s6, v82
	v_addc_co_u32_e32 v83, vcc, v0, v83, vcc
	v_accvgpr_write_b32 a50, v82
	v_accvgpr_write_b32 a51, v83
	global_load_dwordx4 v[82:85], v[82:83], off
	v_mov_b32_e32 v0, 16
	buffer_store_dword v4, off, s[0:3], 0 offset:408
	buffer_store_dword v3, off, s[0:3], 0 offset:404
	buffer_store_dword v2, off, s[0:3], 0 offset:400
	s_waitcnt vmcnt(22)
	buffer_store_dword v9, off, s[0:3], 0 offset:428
	buffer_store_dword v8, off, s[0:3], 0 offset:424
	buffer_store_dword v7, off, s[0:3], 0 offset:420
	buffer_store_dword v6, off, s[0:3], 0 offset:416
	s_waitcnt vmcnt(25)
	buffer_store_dword v13, off, s[0:3], 0 offset:444
	;; [unrolled: 5-line block ×15, first 2 shown]
	buffer_store_dword v64, off, s[0:3], 0 offset:648
	buffer_store_dword v63, off, s[0:3], 0 offset:644
	;; [unrolled: 1-line block ×11, first 2 shown]
	s_waitcnt vmcnt(62)
	buffer_store_dword v77, off, s[0:3], 0 offset:700
	buffer_store_dword v76, off, s[0:3], 0 offset:696
	;; [unrolled: 1-line block ×12, first 2 shown]
	v_add_u32_e32 v2, 16, v0
	v_accvgpr_write_b32 a133, v2
	v_add_u32_e32 v2, 32, v0
	v_accvgpr_write_b32 a132, v2
	;; [unrolled: 2-line block ×42, first 2 shown]
	v_add_u32_e32 v2, 0x2b0, v0
	v_add_u32_e32 v0, 0x2c0, v0
	v_accvgpr_write_b32 a91, v2
	v_accvgpr_write_b32 a90, v0
	s_mov_b64 s[6:7], -1
	s_cbranch_scc1 .LBB108_192
; %bb.4:
	v_cmp_eq_u32_e64 s[4:5], 0, v255
	s_and_saveexec_b64 s[6:7], s[4:5]
	s_cbranch_execz .LBB108_6
; %bb.5:
	v_mov_b32_e32 v0, 0
	ds_write_b32 v0, v0 offset:1440
.LBB108_6:
	s_or_b64 exec, exec, s[6:7]
	v_mov_b32_e32 v0, 16
	v_lshl_add_u32 v12, v255, 4, v0
	s_waitcnt lgkmcnt(0)
	; wave barrier
	s_waitcnt lgkmcnt(0)
	buffer_load_dword v2, v12, s[0:3], 0 offen
	buffer_load_dword v3, v12, s[0:3], 0 offen offset:4
	buffer_load_dword v4, v12, s[0:3], 0 offen offset:8
	;; [unrolled: 1-line block ×3, first 2 shown]
	s_waitcnt vmcnt(2)
	v_cmp_eq_f64_e32 vcc, 0, v[2:3]
	s_waitcnt vmcnt(0)
	v_cmp_eq_f64_e64 s[6:7], 0, v[4:5]
	s_and_b64 s[6:7], vcc, s[6:7]
	s_and_saveexec_b64 s[12:13], s[6:7]
	s_cbranch_execz .LBB108_10
; %bb.7:
	v_mov_b32_e32 v2, 0
	ds_read_b32 v0, v2 offset:1440
	v_add_u32_e32 v3, 1, v255
	s_waitcnt lgkmcnt(0)
	v_readfirstlane_b32 s6, v0
	s_cmp_eq_u32 s6, 0
	s_cselect_b64 s[18:19], -1, 0
	v_cmp_gt_i32_e32 vcc, s6, v3
	s_or_b64 s[18:19], s[18:19], vcc
	s_and_b64 exec, exec, s[18:19]
	s_cbranch_execz .LBB108_10
; %bb.8:
	s_mov_b64 s[18:19], 0
	v_mov_b32_e32 v4, s6
.LBB108_9:                              ; =>This Inner Loop Header: Depth=1
	ds_cmpst_rtn_b32 v4, v2, v4, v3 offset:1440
	s_waitcnt lgkmcnt(0)
	v_cmp_ne_u32_e32 vcc, 0, v4
	v_cmp_le_i32_e64 s[6:7], v4, v3
	s_and_b64 s[6:7], vcc, s[6:7]
	s_and_b64 s[6:7], exec, s[6:7]
	s_or_b64 s[18:19], s[6:7], s[18:19]
	s_andn2_b64 exec, exec, s[18:19]
	s_cbranch_execnz .LBB108_9
.LBB108_10:
	s_or_b64 exec, exec, s[12:13]
	v_mov_b32_e32 v3, 0
	s_waitcnt lgkmcnt(0)
	; wave barrier
	ds_read_b32 v2, v3 offset:1440
	s_and_saveexec_b64 s[6:7], s[4:5]
	s_cbranch_execz .LBB108_12
; %bb.11:
	s_lshl_b64 s[12:13], s[8:9], 2
	s_add_u32 s12, s14, s12
	s_addc_u32 s13, s15, s13
	s_waitcnt lgkmcnt(0)
	global_store_dword v3, v2, s[12:13]
.LBB108_12:
	s_or_b64 exec, exec, s[6:7]
	s_waitcnt lgkmcnt(0)
	v_cmp_ne_u32_e32 vcc, 0, v2
	s_mov_b64 s[6:7], 0
	s_cbranch_vccnz .LBB108_192
; %bb.13:
	buffer_load_dword v7, v12, s[0:3], 0 offen offset:4
	buffer_load_dword v6, v12, s[0:3], 0 offen
	buffer_load_dword v9, v12, s[0:3], 0 offen offset:12
	buffer_load_dword v8, v12, s[0:3], 0 offen offset:8
                                        ; implicit-def: $vgpr10_vgpr11
	s_waitcnt vmcnt(3)
	v_xor_b32_e32 v0, 0x80000000, v7
	s_waitcnt vmcnt(2)
	v_cmp_gt_f64_e32 vcc, 0, v[6:7]
	s_waitcnt vmcnt(1)
	v_xor_b32_e32 v4, 0x80000000, v9
	v_cndmask_b32_e32 v3, v7, v0, vcc
	s_waitcnt vmcnt(0)
	v_cmp_gt_f64_e32 vcc, 0, v[8:9]
	v_mov_b32_e32 v2, v6
	v_cndmask_b32_e32 v5, v9, v4, vcc
	v_mov_b32_e32 v4, v8
	v_cmp_ngt_f64_e32 vcc, v[2:3], v[4:5]
                                        ; implicit-def: $vgpr4_vgpr5
	s_and_saveexec_b64 s[6:7], vcc
	s_xor_b64 s[6:7], exec, s[6:7]
	s_cbranch_execz .LBB108_15
; %bb.14:
	v_div_scale_f64 v[2:3], s[12:13], v[8:9], v[8:9], v[6:7]
	v_rcp_f64_e32 v[4:5], v[2:3]
	v_div_scale_f64 v[10:11], vcc, v[6:7], v[8:9], v[6:7]
	v_fma_f64 v[14:15], -v[2:3], v[4:5], 1.0
	v_fmac_f64_e32 v[4:5], v[4:5], v[14:15]
	v_fma_f64 v[14:15], -v[2:3], v[4:5], 1.0
	v_fmac_f64_e32 v[4:5], v[4:5], v[14:15]
	v_mul_f64 v[14:15], v[10:11], v[4:5]
	v_fma_f64 v[2:3], -v[2:3], v[14:15], v[10:11]
	v_div_fmas_f64 v[2:3], v[2:3], v[4:5], v[14:15]
	v_div_fixup_f64 v[2:3], v[2:3], v[8:9], v[6:7]
	v_fmac_f64_e32 v[8:9], v[6:7], v[2:3]
	v_div_scale_f64 v[4:5], s[12:13], v[8:9], v[8:9], 1.0
	v_rcp_f64_e32 v[6:7], v[4:5]
	v_fma_f64 v[10:11], -v[4:5], v[6:7], 1.0
	v_fmac_f64_e32 v[6:7], v[6:7], v[10:11]
	v_fma_f64 v[10:11], -v[4:5], v[6:7], 1.0
	v_fmac_f64_e32 v[6:7], v[6:7], v[10:11]
	v_div_scale_f64 v[10:11], vcc, 1.0, v[8:9], 1.0
	v_mul_f64 v[14:15], v[10:11], v[6:7]
	v_fma_f64 v[4:5], -v[4:5], v[14:15], v[10:11]
	s_nop 1
	v_div_fmas_f64 v[4:5], v[4:5], v[6:7], v[14:15]
	v_div_fixup_f64 v[4:5], v[4:5], v[8:9], 1.0
	v_mul_f64 v[10:11], v[2:3], v[4:5]
	v_xor_b32_e32 v5, 0x80000000, v5
	v_xor_b32_e32 v3, 0x80000000, v11
	v_mov_b32_e32 v2, v10
                                        ; implicit-def: $vgpr6_vgpr7
                                        ; implicit-def: $vgpr8_vgpr9
.LBB108_15:
	s_andn2_saveexec_b64 s[6:7], s[6:7]
	s_cbranch_execz .LBB108_17
; %bb.16:
	v_div_scale_f64 v[2:3], s[12:13], v[6:7], v[6:7], v[8:9]
	v_rcp_f64_e32 v[4:5], v[2:3]
	v_div_scale_f64 v[10:11], vcc, v[8:9], v[6:7], v[8:9]
	v_fma_f64 v[14:15], -v[2:3], v[4:5], 1.0
	v_fmac_f64_e32 v[4:5], v[4:5], v[14:15]
	v_fma_f64 v[14:15], -v[2:3], v[4:5], 1.0
	v_fmac_f64_e32 v[4:5], v[4:5], v[14:15]
	v_mul_f64 v[14:15], v[10:11], v[4:5]
	v_fma_f64 v[2:3], -v[2:3], v[14:15], v[10:11]
	v_div_fmas_f64 v[2:3], v[2:3], v[4:5], v[14:15]
	v_div_fixup_f64 v[4:5], v[2:3], v[6:7], v[8:9]
	v_fmac_f64_e32 v[6:7], v[8:9], v[4:5]
	v_div_scale_f64 v[2:3], s[12:13], v[6:7], v[6:7], 1.0
	v_rcp_f64_e32 v[8:9], v[2:3]
	v_fma_f64 v[10:11], -v[2:3], v[8:9], 1.0
	v_fmac_f64_e32 v[8:9], v[8:9], v[10:11]
	v_fma_f64 v[10:11], -v[2:3], v[8:9], 1.0
	v_fmac_f64_e32 v[8:9], v[8:9], v[10:11]
	v_div_scale_f64 v[10:11], vcc, 1.0, v[6:7], 1.0
	v_mul_f64 v[14:15], v[10:11], v[8:9]
	v_fma_f64 v[2:3], -v[2:3], v[14:15], v[10:11]
	s_nop 1
	v_div_fmas_f64 v[2:3], v[2:3], v[8:9], v[14:15]
	v_div_fixup_f64 v[10:11], v[2:3], v[6:7], 1.0
	v_xor_b32_e32 v3, 0x80000000, v11
	v_mov_b32_e32 v2, v10
	v_mul_f64 v[4:5], v[4:5], -v[10:11]
.LBB108_17:
	s_or_b64 exec, exec, s[6:7]
	buffer_store_dword v11, v12, s[0:3], 0 offen offset:4
	buffer_store_dword v10, v12, s[0:3], 0 offen
	buffer_store_dword v5, v12, s[0:3], 0 offen offset:12
	buffer_store_dword v4, v12, s[0:3], 0 offen offset:8
	v_accvgpr_read_b32 v0, a133
	buffer_load_dword v11, v0, s[0:3], 0 offen offset:12
	buffer_load_dword v10, v0, s[0:3], 0 offen offset:8
	;; [unrolled: 1-line block ×3, first 2 shown]
	buffer_load_dword v8, v0, s[0:3], 0 offen
	v_xor_b32_e32 v5, 0x80000000, v5
	v_add_u32_e32 v6, 0x2d0, v1
	ds_write_b128 v1, v[2:5]
	s_waitcnt vmcnt(0)
	ds_write_b128 v1, v[8:11] offset:720
	s_waitcnt lgkmcnt(0)
	; wave barrier
	s_waitcnt lgkmcnt(0)
	s_and_saveexec_b64 s[6:7], s[4:5]
	s_cbranch_execz .LBB108_19
; %bb.18:
	buffer_load_dword v14, v12, s[0:3], 0 offen offset:8
	buffer_load_dword v15, v12, s[0:3], 0 offen offset:12
	buffer_load_dword v16, v12, s[0:3], 0 offen
	buffer_load_dword v17, v12, s[0:3], 0 offen offset:4
	ds_read_b128 v[2:5], v6
	v_mov_b32_e32 v0, 0
	ds_read_b128 v[8:11], v0 offset:16
	s_waitcnt vmcnt(2) lgkmcnt(1)
	v_mul_f64 v[18:19], v[4:5], v[14:15]
	v_mul_f64 v[14:15], v[2:3], v[14:15]
	s_waitcnt vmcnt(0)
	v_fmac_f64_e32 v[14:15], v[4:5], v[16:17]
	v_fma_f64 v[2:3], v[2:3], v[16:17], -v[18:19]
	v_add_f64 v[4:5], v[14:15], 0
	v_add_f64 v[2:3], v[2:3], 0
	s_waitcnt lgkmcnt(0)
	v_mul_f64 v[14:15], v[4:5], v[10:11]
	v_mul_f64 v[10:11], v[2:3], v[10:11]
	v_fma_f64 v[2:3], v[2:3], v[8:9], -v[14:15]
	v_fmac_f64_e32 v[10:11], v[4:5], v[8:9]
	buffer_store_dword v2, off, s[0:3], 0 offset:32
	buffer_store_dword v3, off, s[0:3], 0 offset:36
	;; [unrolled: 1-line block ×4, first 2 shown]
.LBB108_19:
	s_or_b64 exec, exec, s[6:7]
	v_accvgpr_read_b32 v0, a132
	s_waitcnt lgkmcnt(0)
	; wave barrier
	buffer_load_dword v2, v0, s[0:3], 0 offen
	buffer_load_dword v3, v0, s[0:3], 0 offen offset:4
	buffer_load_dword v4, v0, s[0:3], 0 offen offset:8
	;; [unrolled: 1-line block ×3, first 2 shown]
	v_cmp_gt_u32_e32 vcc, 2, v255
	s_waitcnt vmcnt(0)
	ds_write_b128 v6, v[2:5]
	s_waitcnt lgkmcnt(0)
	; wave barrier
	s_waitcnt lgkmcnt(0)
	s_and_saveexec_b64 s[6:7], vcc
	s_cbranch_execz .LBB108_23
; %bb.20:
	buffer_load_dword v8, v12, s[0:3], 0 offen offset:8
	buffer_load_dword v9, v12, s[0:3], 0 offen offset:12
	buffer_load_dword v10, v12, s[0:3], 0 offen
	buffer_load_dword v11, v12, s[0:3], 0 offen offset:4
	ds_read_b128 v[2:5], v6
	s_waitcnt vmcnt(2) lgkmcnt(0)
	v_mul_f64 v[12:13], v[4:5], v[8:9]
	v_mul_f64 v[8:9], v[2:3], v[8:9]
	s_waitcnt vmcnt(0)
	v_fma_f64 v[2:3], v[2:3], v[10:11], -v[12:13]
	v_fmac_f64_e32 v[8:9], v[4:5], v[10:11]
	v_add_f64 v[4:5], v[2:3], 0
	v_add_f64 v[2:3], v[8:9], 0
	s_and_saveexec_b64 s[12:13], s[4:5]
	s_cbranch_execz .LBB108_22
; %bb.21:
	buffer_load_dword v12, off, s[0:3], 0 offset:40
	buffer_load_dword v13, off, s[0:3], 0 offset:44
	;; [unrolled: 1-line block ×4, first 2 shown]
	v_mov_b32_e32 v0, 0
	ds_read_b128 v[8:11], v0 offset:736
	s_waitcnt vmcnt(2) lgkmcnt(0)
	v_mul_f64 v[16:17], v[8:9], v[12:13]
	v_mul_f64 v[12:13], v[10:11], v[12:13]
	s_waitcnt vmcnt(0)
	v_fmac_f64_e32 v[16:17], v[10:11], v[14:15]
	v_fma_f64 v[8:9], v[8:9], v[14:15], -v[12:13]
	v_add_f64 v[2:3], v[2:3], v[16:17]
	v_add_f64 v[4:5], v[4:5], v[8:9]
.LBB108_22:
	s_or_b64 exec, exec, s[12:13]
	v_mov_b32_e32 v0, 0
	ds_read_b128 v[8:11], v0 offset:32
	s_waitcnt lgkmcnt(0)
	v_mul_f64 v[12:13], v[2:3], v[10:11]
	v_mul_f64 v[10:11], v[4:5], v[10:11]
	v_fma_f64 v[4:5], v[4:5], v[8:9], -v[12:13]
	v_fmac_f64_e32 v[10:11], v[2:3], v[8:9]
	buffer_store_dword v5, off, s[0:3], 0 offset:52
	buffer_store_dword v4, off, s[0:3], 0 offset:48
	;; [unrolled: 1-line block ×4, first 2 shown]
.LBB108_23:
	s_or_b64 exec, exec, s[6:7]
	v_accvgpr_read_b32 v0, a131
	s_waitcnt lgkmcnt(0)
	; wave barrier
	buffer_load_dword v2, v0, s[0:3], 0 offen
	buffer_load_dword v3, v0, s[0:3], 0 offen offset:4
	buffer_load_dword v4, v0, s[0:3], 0 offen offset:8
	;; [unrolled: 1-line block ×3, first 2 shown]
	v_cmp_gt_u32_e32 vcc, 3, v255
	v_add_u32_e32 v7, -1, v255
	s_waitcnt vmcnt(0)
	ds_write_b128 v6, v[2:5]
	s_waitcnt lgkmcnt(0)
	; wave barrier
	s_waitcnt lgkmcnt(0)
	s_and_saveexec_b64 s[4:5], vcc
	s_cbranch_execz .LBB108_27
; %bb.24:
	v_pk_mov_b32 v[2:3], 0, 0
	v_add_u32_e32 v8, -1, v255
	v_add_u32_e32 v9, 0x2d0, v1
	v_add_u32_e32 v10, 16, v1
	s_mov_b64 s[6:7], 0
	v_pk_mov_b32 v[4:5], v[2:3], v[2:3] op_sel:[0,1]
.LBB108_25:                             ; =>This Inner Loop Header: Depth=1
	buffer_load_dword v16, v10, s[0:3], 0 offen offset:8
	buffer_load_dword v17, v10, s[0:3], 0 offen offset:12
	buffer_load_dword v18, v10, s[0:3], 0 offen
	buffer_load_dword v19, v10, s[0:3], 0 offen offset:4
	ds_read_b128 v[12:15], v9
	v_add_u32_e32 v8, 1, v8
	v_cmp_lt_u32_e32 vcc, 1, v8
	v_add_u32_e32 v9, 16, v9
	v_add_u32_e32 v10, 16, v10
	s_or_b64 s[6:7], vcc, s[6:7]
	s_waitcnt vmcnt(2) lgkmcnt(0)
	v_mul_f64 v[20:21], v[14:15], v[16:17]
	v_mul_f64 v[16:17], v[12:13], v[16:17]
	s_waitcnt vmcnt(0)
	v_fma_f64 v[12:13], v[12:13], v[18:19], -v[20:21]
	v_fmac_f64_e32 v[16:17], v[14:15], v[18:19]
	v_add_f64 v[4:5], v[4:5], v[12:13]
	v_add_f64 v[2:3], v[2:3], v[16:17]
	s_andn2_b64 exec, exec, s[6:7]
	s_cbranch_execnz .LBB108_25
; %bb.26:
	s_or_b64 exec, exec, s[6:7]
	v_mov_b32_e32 v0, 0
	ds_read_b128 v[8:11], v0 offset:48
	s_waitcnt lgkmcnt(0)
	v_mul_f64 v[12:13], v[2:3], v[10:11]
	v_mul_f64 v[10:11], v[4:5], v[10:11]
	v_fma_f64 v[4:5], v[4:5], v[8:9], -v[12:13]
	v_fmac_f64_e32 v[10:11], v[2:3], v[8:9]
	buffer_store_dword v5, off, s[0:3], 0 offset:68
	buffer_store_dword v4, off, s[0:3], 0 offset:64
	buffer_store_dword v11, off, s[0:3], 0 offset:76
	buffer_store_dword v10, off, s[0:3], 0 offset:72
.LBB108_27:
	s_or_b64 exec, exec, s[4:5]
	v_accvgpr_read_b32 v0, a130
	s_waitcnt lgkmcnt(0)
	; wave barrier
	buffer_load_dword v2, v0, s[0:3], 0 offen
	buffer_load_dword v3, v0, s[0:3], 0 offen offset:4
	buffer_load_dword v4, v0, s[0:3], 0 offen offset:8
	buffer_load_dword v5, v0, s[0:3], 0 offen offset:12
	v_cmp_gt_u32_e32 vcc, 4, v255
	s_waitcnt vmcnt(0)
	ds_write_b128 v6, v[2:5]
	s_waitcnt lgkmcnt(0)
	; wave barrier
	s_waitcnt lgkmcnt(0)
	s_and_saveexec_b64 s[4:5], vcc
	s_cbranch_execz .LBB108_31
; %bb.28:
	v_pk_mov_b32 v[2:3], 0, 0
	v_add_u32_e32 v8, -1, v255
	v_add_u32_e32 v9, 0x2d0, v1
	v_add_u32_e32 v10, 16, v1
	s_mov_b64 s[6:7], 0
	v_pk_mov_b32 v[4:5], v[2:3], v[2:3] op_sel:[0,1]
.LBB108_29:                             ; =>This Inner Loop Header: Depth=1
	buffer_load_dword v16, v10, s[0:3], 0 offen offset:8
	buffer_load_dword v17, v10, s[0:3], 0 offen offset:12
	buffer_load_dword v18, v10, s[0:3], 0 offen
	buffer_load_dword v19, v10, s[0:3], 0 offen offset:4
	ds_read_b128 v[12:15], v9
	v_add_u32_e32 v8, 1, v8
	v_cmp_lt_u32_e32 vcc, 2, v8
	v_add_u32_e32 v9, 16, v9
	v_add_u32_e32 v10, 16, v10
	s_or_b64 s[6:7], vcc, s[6:7]
	s_waitcnt vmcnt(2) lgkmcnt(0)
	v_mul_f64 v[20:21], v[14:15], v[16:17]
	v_mul_f64 v[16:17], v[12:13], v[16:17]
	s_waitcnt vmcnt(0)
	v_fma_f64 v[12:13], v[12:13], v[18:19], -v[20:21]
	v_fmac_f64_e32 v[16:17], v[14:15], v[18:19]
	v_add_f64 v[4:5], v[4:5], v[12:13]
	v_add_f64 v[2:3], v[2:3], v[16:17]
	s_andn2_b64 exec, exec, s[6:7]
	s_cbranch_execnz .LBB108_29
; %bb.30:
	s_or_b64 exec, exec, s[6:7]
	v_mov_b32_e32 v0, 0
	ds_read_b128 v[8:11], v0 offset:64
	s_waitcnt lgkmcnt(0)
	v_mul_f64 v[12:13], v[2:3], v[10:11]
	v_mul_f64 v[10:11], v[4:5], v[10:11]
	v_fma_f64 v[4:5], v[4:5], v[8:9], -v[12:13]
	v_fmac_f64_e32 v[10:11], v[2:3], v[8:9]
	buffer_store_dword v5, off, s[0:3], 0 offset:84
	buffer_store_dword v4, off, s[0:3], 0 offset:80
	buffer_store_dword v11, off, s[0:3], 0 offset:92
	buffer_store_dword v10, off, s[0:3], 0 offset:88
.LBB108_31:
	s_or_b64 exec, exec, s[4:5]
	v_accvgpr_read_b32 v0, a129
	s_waitcnt lgkmcnt(0)
	; wave barrier
	buffer_load_dword v2, v0, s[0:3], 0 offen
	buffer_load_dword v3, v0, s[0:3], 0 offen offset:4
	buffer_load_dword v4, v0, s[0:3], 0 offen offset:8
	buffer_load_dword v5, v0, s[0:3], 0 offen offset:12
	v_cmp_gt_u32_e32 vcc, 5, v255
	;; [unrolled: 58-line block ×19, first 2 shown]
	s_waitcnt vmcnt(0)
	ds_write_b128 v6, v[2:5]
	s_waitcnt lgkmcnt(0)
	; wave barrier
	s_waitcnt lgkmcnt(0)
	s_and_saveexec_b64 s[4:5], vcc
	s_cbranch_execz .LBB108_103
; %bb.100:
	v_pk_mov_b32 v[2:3], 0, 0
	v_add_u32_e32 v8, -1, v255
	v_add_u32_e32 v9, 0x2d0, v1
	v_add_u32_e32 v10, 16, v1
	s_mov_b64 s[6:7], 0
	v_pk_mov_b32 v[4:5], v[2:3], v[2:3] op_sel:[0,1]
.LBB108_101:                            ; =>This Inner Loop Header: Depth=1
	buffer_load_dword v16, v10, s[0:3], 0 offen offset:8
	buffer_load_dword v17, v10, s[0:3], 0 offen offset:12
	buffer_load_dword v18, v10, s[0:3], 0 offen
	buffer_load_dword v19, v10, s[0:3], 0 offen offset:4
	ds_read_b128 v[12:15], v9
	v_add_u32_e32 v8, 1, v8
	v_cmp_lt_u32_e32 vcc, 20, v8
	v_add_u32_e32 v9, 16, v9
	v_add_u32_e32 v10, 16, v10
	s_or_b64 s[6:7], vcc, s[6:7]
	s_waitcnt vmcnt(2) lgkmcnt(0)
	v_mul_f64 v[20:21], v[14:15], v[16:17]
	v_mul_f64 v[16:17], v[12:13], v[16:17]
	s_waitcnt vmcnt(0)
	v_fma_f64 v[12:13], v[12:13], v[18:19], -v[20:21]
	v_fmac_f64_e32 v[16:17], v[14:15], v[18:19]
	v_add_f64 v[4:5], v[4:5], v[12:13]
	v_add_f64 v[2:3], v[2:3], v[16:17]
	s_andn2_b64 exec, exec, s[6:7]
	s_cbranch_execnz .LBB108_101
; %bb.102:
	s_or_b64 exec, exec, s[6:7]
	v_mov_b32_e32 v0, 0
	ds_read_b128 v[8:11], v0 offset:352
	s_waitcnt lgkmcnt(0)
	v_mul_f64 v[12:13], v[2:3], v[10:11]
	v_mul_f64 v[10:11], v[4:5], v[10:11]
	v_fma_f64 v[4:5], v[4:5], v[8:9], -v[12:13]
	v_fmac_f64_e32 v[10:11], v[2:3], v[8:9]
	buffer_store_dword v5, off, s[0:3], 0 offset:372
	buffer_store_dword v4, off, s[0:3], 0 offset:368
	buffer_store_dword v11, off, s[0:3], 0 offset:380
	buffer_store_dword v10, off, s[0:3], 0 offset:376
.LBB108_103:
	s_or_b64 exec, exec, s[4:5]
	v_accvgpr_read_b32 v0, a111
	s_waitcnt lgkmcnt(0)
	; wave barrier
	buffer_load_dword v2, v0, s[0:3], 0 offen
	buffer_load_dword v3, v0, s[0:3], 0 offen offset:4
	buffer_load_dword v4, v0, s[0:3], 0 offen offset:8
	buffer_load_dword v5, v0, s[0:3], 0 offen offset:12
	v_cmp_gt_u32_e32 vcc, 23, v255
	s_waitcnt vmcnt(0)
	ds_write_b128 v6, v[2:5]
	s_waitcnt lgkmcnt(0)
	; wave barrier
	s_waitcnt lgkmcnt(0)
	s_and_saveexec_b64 s[4:5], vcc
	s_cbranch_execz .LBB108_107
; %bb.104:
	v_pk_mov_b32 v[2:3], 0, 0
	v_add_u32_e32 v8, -1, v255
	v_add_u32_e32 v9, 0x2d0, v1
	v_add_u32_e32 v10, 16, v1
	s_mov_b64 s[6:7], 0
	v_pk_mov_b32 v[4:5], v[2:3], v[2:3] op_sel:[0,1]
.LBB108_105:                            ; =>This Inner Loop Header: Depth=1
	buffer_load_dword v16, v10, s[0:3], 0 offen offset:8
	buffer_load_dword v17, v10, s[0:3], 0 offen offset:12
	buffer_load_dword v18, v10, s[0:3], 0 offen
	buffer_load_dword v19, v10, s[0:3], 0 offen offset:4
	ds_read_b128 v[12:15], v9
	v_add_u32_e32 v8, 1, v8
	v_cmp_lt_u32_e32 vcc, 21, v8
	v_add_u32_e32 v9, 16, v9
	v_add_u32_e32 v10, 16, v10
	s_or_b64 s[6:7], vcc, s[6:7]
	s_waitcnt vmcnt(2) lgkmcnt(0)
	v_mul_f64 v[20:21], v[14:15], v[16:17]
	v_mul_f64 v[16:17], v[12:13], v[16:17]
	s_waitcnt vmcnt(0)
	v_fma_f64 v[12:13], v[12:13], v[18:19], -v[20:21]
	v_fmac_f64_e32 v[16:17], v[14:15], v[18:19]
	v_add_f64 v[4:5], v[4:5], v[12:13]
	v_add_f64 v[2:3], v[2:3], v[16:17]
	s_andn2_b64 exec, exec, s[6:7]
	s_cbranch_execnz .LBB108_105
; %bb.106:
	s_or_b64 exec, exec, s[6:7]
	v_mov_b32_e32 v0, 0
	ds_read_b128 v[8:11], v0 offset:368
	s_waitcnt lgkmcnt(0)
	v_mul_f64 v[12:13], v[2:3], v[10:11]
	v_mul_f64 v[10:11], v[4:5], v[10:11]
	v_fma_f64 v[4:5], v[4:5], v[8:9], -v[12:13]
	v_fmac_f64_e32 v[10:11], v[2:3], v[8:9]
	buffer_store_dword v5, off, s[0:3], 0 offset:388
	buffer_store_dword v4, off, s[0:3], 0 offset:384
	buffer_store_dword v11, off, s[0:3], 0 offset:396
	buffer_store_dword v10, off, s[0:3], 0 offset:392
.LBB108_107:
	s_or_b64 exec, exec, s[4:5]
	v_accvgpr_read_b32 v0, a110
	s_waitcnt lgkmcnt(0)
	; wave barrier
	buffer_load_dword v2, v0, s[0:3], 0 offen
	buffer_load_dword v3, v0, s[0:3], 0 offen offset:4
	buffer_load_dword v4, v0, s[0:3], 0 offen offset:8
	buffer_load_dword v5, v0, s[0:3], 0 offen offset:12
	v_cmp_gt_u32_e32 vcc, 24, v255
	;; [unrolled: 58-line block ×21, first 2 shown]
	s_waitcnt vmcnt(0)
	ds_write_b128 v6, v[2:5]
	s_waitcnt lgkmcnt(0)
	; wave barrier
	s_waitcnt lgkmcnt(0)
	s_and_saveexec_b64 s[4:5], vcc
	s_cbranch_execz .LBB108_187
; %bb.184:
	v_pk_mov_b32 v[2:3], 0, 0
	v_add_u32_e32 v8, -1, v255
	v_add_u32_e32 v9, 0x2d0, v1
	v_add_u32_e32 v10, 16, v1
	s_mov_b64 s[6:7], 0
	v_pk_mov_b32 v[4:5], v[2:3], v[2:3] op_sel:[0,1]
.LBB108_185:                            ; =>This Inner Loop Header: Depth=1
	buffer_load_dword v16, v10, s[0:3], 0 offen offset:8
	buffer_load_dword v17, v10, s[0:3], 0 offen offset:12
	buffer_load_dword v18, v10, s[0:3], 0 offen
	buffer_load_dword v19, v10, s[0:3], 0 offen offset:4
	ds_read_b128 v[12:15], v9
	v_add_u32_e32 v8, 1, v8
	v_cmp_lt_u32_e32 vcc, 41, v8
	v_add_u32_e32 v9, 16, v9
	v_add_u32_e32 v10, 16, v10
	s_or_b64 s[6:7], vcc, s[6:7]
	s_waitcnt vmcnt(2) lgkmcnt(0)
	v_mul_f64 v[20:21], v[14:15], v[16:17]
	v_mul_f64 v[16:17], v[12:13], v[16:17]
	s_waitcnt vmcnt(0)
	v_fma_f64 v[12:13], v[12:13], v[18:19], -v[20:21]
	v_fmac_f64_e32 v[16:17], v[14:15], v[18:19]
	v_add_f64 v[4:5], v[4:5], v[12:13]
	v_add_f64 v[2:3], v[2:3], v[16:17]
	s_andn2_b64 exec, exec, s[6:7]
	s_cbranch_execnz .LBB108_185
; %bb.186:
	s_or_b64 exec, exec, s[6:7]
	v_mov_b32_e32 v0, 0
	ds_read_b128 v[8:11], v0 offset:688
	s_waitcnt lgkmcnt(0)
	v_mul_f64 v[12:13], v[2:3], v[10:11]
	v_mul_f64 v[10:11], v[4:5], v[10:11]
	v_fma_f64 v[4:5], v[4:5], v[8:9], -v[12:13]
	v_fmac_f64_e32 v[10:11], v[2:3], v[8:9]
	buffer_store_dword v5, off, s[0:3], 0 offset:708
	buffer_store_dword v4, off, s[0:3], 0 offset:704
	;; [unrolled: 1-line block ×4, first 2 shown]
.LBB108_187:
	s_or_b64 exec, exec, s[4:5]
	v_accvgpr_read_b32 v0, a90
	s_waitcnt lgkmcnt(0)
	; wave barrier
	buffer_load_dword v2, v0, s[0:3], 0 offen
	buffer_load_dword v3, v0, s[0:3], 0 offen offset:4
	buffer_load_dword v4, v0, s[0:3], 0 offen offset:8
	;; [unrolled: 1-line block ×3, first 2 shown]
	v_cmp_ne_u32_e32 vcc, 44, v255
	s_waitcnt vmcnt(0)
	ds_write_b128 v6, v[2:5]
	s_waitcnt lgkmcnt(0)
	; wave barrier
	s_waitcnt lgkmcnt(0)
	s_and_saveexec_b64 s[4:5], vcc
	s_cbranch_execz .LBB108_191
; %bb.188:
	v_pk_mov_b32 v[2:3], 0, 0
	v_add_u32_e32 v6, 0x2d0, v1
	v_add_u32_e32 v1, 16, v1
	s_mov_b64 s[6:7], 0
	v_pk_mov_b32 v[4:5], v[2:3], v[2:3] op_sel:[0,1]
.LBB108_189:                            ; =>This Inner Loop Header: Depth=1
	buffer_load_dword v12, v1, s[0:3], 0 offen offset:8
	buffer_load_dword v13, v1, s[0:3], 0 offen offset:12
	buffer_load_dword v14, v1, s[0:3], 0 offen
	buffer_load_dword v15, v1, s[0:3], 0 offen offset:4
	ds_read_b128 v[8:11], v6
	v_add_u32_e32 v7, 1, v7
	v_cmp_lt_u32_e32 vcc, 42, v7
	v_add_u32_e32 v6, 16, v6
	v_add_u32_e32 v1, 16, v1
	s_or_b64 s[6:7], vcc, s[6:7]
	s_waitcnt vmcnt(2) lgkmcnt(0)
	v_mul_f64 v[16:17], v[10:11], v[12:13]
	v_mul_f64 v[12:13], v[8:9], v[12:13]
	s_waitcnt vmcnt(0)
	v_fma_f64 v[8:9], v[8:9], v[14:15], -v[16:17]
	v_fmac_f64_e32 v[12:13], v[10:11], v[14:15]
	v_add_f64 v[4:5], v[4:5], v[8:9]
	v_add_f64 v[2:3], v[2:3], v[12:13]
	s_andn2_b64 exec, exec, s[6:7]
	s_cbranch_execnz .LBB108_189
; %bb.190:
	s_or_b64 exec, exec, s[6:7]
	v_mov_b32_e32 v0, 0
	ds_read_b128 v[6:9], v0 offset:704
	s_waitcnt lgkmcnt(0)
	v_mul_f64 v[10:11], v[2:3], v[8:9]
	v_mul_f64 v[8:9], v[4:5], v[8:9]
	v_fma_f64 v[4:5], v[4:5], v[6:7], -v[10:11]
	v_fmac_f64_e32 v[8:9], v[2:3], v[6:7]
	buffer_store_dword v5, off, s[0:3], 0 offset:724
	buffer_store_dword v4, off, s[0:3], 0 offset:720
	;; [unrolled: 1-line block ×4, first 2 shown]
.LBB108_191:
	s_or_b64 exec, exec, s[4:5]
	s_mov_b64 s[6:7], -1
	s_waitcnt lgkmcnt(0)
	; wave barrier
.LBB108_192:
	s_and_b64 vcc, exec, s[6:7]
	s_cbranch_vccz .LBB108_194
; %bb.193:
	s_lshl_b64 s[4:5], s[8:9], 2
	s_add_u32 s4, s14, s4
	s_addc_u32 s5, s15, s5
	v_mov_b32_e32 v0, 0
	global_load_dword v0, v0, s[4:5]
	s_waitcnt vmcnt(0)
	v_cmp_ne_u32_e32 vcc, 0, v0
	s_cbranch_vccz .LBB108_195
.LBB108_194:
	s_endpgm
.LBB108_195:
	v_mov_b32_e32 v0, 0x2d0
	v_lshl_add_u32 v0, v255, 4, v0
	v_accvgpr_write_b32 a135, v0
	v_cmp_eq_u32_e32 vcc, 44, v255
	s_and_saveexec_b64 s[4:5], vcc
	s_cbranch_execz .LBB108_197
; %bb.196:
	v_accvgpr_read_b32 v0, a91
	buffer_load_dword v2, v0, s[0:3], 0 offen
	buffer_load_dword v3, v0, s[0:3], 0 offen offset:4
	buffer_load_dword v4, v0, s[0:3], 0 offen offset:8
	;; [unrolled: 1-line block ×3, first 2 shown]
	v_mov_b32_e32 v0, 0
	v_accvgpr_read_b32 v1, a135
	buffer_store_dword v0, off, s[0:3], 0 offset:704
	buffer_store_dword v0, off, s[0:3], 0 offset:708
	;; [unrolled: 1-line block ×4, first 2 shown]
	s_waitcnt vmcnt(4)
	ds_write_b128 v1, v[2:5]
.LBB108_197:
	s_or_b64 exec, exec, s[4:5]
	s_waitcnt lgkmcnt(0)
	; wave barrier
	s_waitcnt lgkmcnt(0)
	buffer_load_dword v8, off, s[0:3], 0 offset:728
	buffer_load_dword v9, off, s[0:3], 0 offset:732
	;; [unrolled: 1-line block ×8, first 2 shown]
	v_mov_b32_e32 v2, 0
	ds_read_b128 v[4:7], v2 offset:1424
	v_cmp_lt_u32_e32 vcc, 42, v255
	s_waitcnt vmcnt(6) lgkmcnt(0)
	v_mul_f64 v[16:17], v[4:5], v[8:9]
	v_mul_f64 v[8:9], v[6:7], v[8:9]
	s_waitcnt vmcnt(4)
	v_fma_f64 v[4:5], v[4:5], v[10:11], -v[8:9]
	v_fmac_f64_e32 v[16:17], v[6:7], v[10:11]
	v_add_f64 v[4:5], v[4:5], 0
	v_add_f64 v[6:7], v[16:17], 0
	s_waitcnt vmcnt(2)
	v_add_f64 v[4:5], v[12:13], -v[4:5]
	s_waitcnt vmcnt(0)
	v_add_f64 v[6:7], v[14:15], -v[6:7]
	buffer_store_dword v4, off, s[0:3], 0 offset:704
	buffer_store_dword v5, off, s[0:3], 0 offset:708
	;; [unrolled: 1-line block ×4, first 2 shown]
	s_and_saveexec_b64 s[4:5], vcc
	s_cbranch_execz .LBB108_199
; %bb.198:
	v_accvgpr_read_b32 v0, a92
	buffer_load_dword v4, v0, s[0:3], 0 offen
	buffer_load_dword v5, v0, s[0:3], 0 offen offset:4
	buffer_load_dword v6, v0, s[0:3], 0 offen offset:8
	;; [unrolled: 1-line block ×3, first 2 shown]
	v_accvgpr_read_b32 v0, a135
	buffer_store_dword v2, off, s[0:3], 0 offset:688
	buffer_store_dword v2, off, s[0:3], 0 offset:692
	;; [unrolled: 1-line block ×4, first 2 shown]
	s_waitcnt vmcnt(4)
	ds_write_b128 v0, v[4:7]
.LBB108_199:
	s_or_b64 exec, exec, s[4:5]
	s_waitcnt lgkmcnt(0)
	; wave barrier
	s_waitcnt lgkmcnt(0)
	buffer_load_dword v12, off, s[0:3], 0 offset:712
	buffer_load_dword v13, off, s[0:3], 0 offset:716
	;; [unrolled: 1-line block ×12, first 2 shown]
	ds_read_b128 v[4:7], v2 offset:1408
	ds_read_b128 v[8:11], v2 offset:1424
	v_cmp_lt_u32_e32 vcc, 41, v255
	s_waitcnt vmcnt(10) lgkmcnt(1)
	v_mul_f64 v[2:3], v[4:5], v[12:13]
	v_mul_f64 v[12:13], v[6:7], v[12:13]
	s_waitcnt vmcnt(8) lgkmcnt(0)
	v_mul_f64 v[24:25], v[8:9], v[14:15]
	v_mul_f64 v[14:15], v[10:11], v[14:15]
	s_waitcnt vmcnt(6)
	v_fma_f64 v[4:5], v[4:5], v[16:17], -v[12:13]
	v_fmac_f64_e32 v[2:3], v[6:7], v[16:17]
	s_waitcnt vmcnt(4)
	v_fma_f64 v[6:7], v[8:9], v[18:19], -v[14:15]
	v_add_f64 v[4:5], v[4:5], 0
	v_fmac_f64_e32 v[24:25], v[10:11], v[18:19]
	v_add_f64 v[2:3], v[2:3], 0
	v_add_f64 v[4:5], v[4:5], v[6:7]
	;; [unrolled: 1-line block ×3, first 2 shown]
	s_waitcnt vmcnt(2)
	v_add_f64 v[4:5], v[20:21], -v[4:5]
	s_waitcnt vmcnt(0)
	v_add_f64 v[2:3], v[22:23], -v[2:3]
	buffer_store_dword v4, off, s[0:3], 0 offset:688
	buffer_store_dword v5, off, s[0:3], 0 offset:692
	;; [unrolled: 1-line block ×4, first 2 shown]
	s_and_saveexec_b64 s[4:5], vcc
	s_cbranch_execz .LBB108_201
; %bb.200:
	v_accvgpr_read_b32 v0, a93
	buffer_load_dword v2, v0, s[0:3], 0 offen
	buffer_load_dword v3, v0, s[0:3], 0 offen offset:4
	buffer_load_dword v4, v0, s[0:3], 0 offen offset:8
	;; [unrolled: 1-line block ×3, first 2 shown]
	v_mov_b32_e32 v0, 0
	v_accvgpr_read_b32 v1, a135
	buffer_store_dword v0, off, s[0:3], 0 offset:672
	buffer_store_dword v0, off, s[0:3], 0 offset:676
	;; [unrolled: 1-line block ×4, first 2 shown]
	s_waitcnt vmcnt(4)
	ds_write_b128 v1, v[2:5]
.LBB108_201:
	s_or_b64 exec, exec, s[4:5]
	s_waitcnt lgkmcnt(0)
	; wave barrier
	s_waitcnt lgkmcnt(0)
	buffer_load_dword v16, off, s[0:3], 0 offset:696
	buffer_load_dword v17, off, s[0:3], 0 offset:700
	;; [unrolled: 1-line block ×16, first 2 shown]
	v_mov_b32_e32 v2, 0
	ds_read_b128 v[4:7], v2 offset:1392
	ds_read_b128 v[8:11], v2 offset:1408
	;; [unrolled: 1-line block ×3, first 2 shown]
	v_cmp_lt_u32_e32 vcc, 40, v255
	s_waitcnt vmcnt(14) lgkmcnt(2)
	v_mul_f64 v[32:33], v[4:5], v[16:17]
	v_mul_f64 v[16:17], v[6:7], v[16:17]
	s_waitcnt vmcnt(12) lgkmcnt(1)
	v_mul_f64 v[34:35], v[8:9], v[18:19]
	v_mul_f64 v[18:19], v[10:11], v[18:19]
	;; [unrolled: 3-line block ×3, first 2 shown]
	s_waitcnt vmcnt(8)
	v_fma_f64 v[4:5], v[4:5], v[22:23], -v[16:17]
	v_fmac_f64_e32 v[32:33], v[6:7], v[22:23]
	s_waitcnt vmcnt(6)
	v_fma_f64 v[6:7], v[8:9], v[24:25], -v[18:19]
	v_add_f64 v[4:5], v[4:5], 0
	v_fmac_f64_e32 v[34:35], v[10:11], v[24:25]
	s_waitcnt vmcnt(4)
	v_fma_f64 v[8:9], v[12:13], v[26:27], -v[20:21]
	v_add_f64 v[10:11], v[32:33], 0
	v_add_f64 v[4:5], v[4:5], v[6:7]
	v_fmac_f64_e32 v[36:37], v[14:15], v[26:27]
	v_add_f64 v[10:11], v[10:11], v[34:35]
	v_add_f64 v[4:5], v[4:5], v[8:9]
	;; [unrolled: 1-line block ×3, first 2 shown]
	s_waitcnt vmcnt(2)
	v_add_f64 v[4:5], v[28:29], -v[4:5]
	s_waitcnt vmcnt(0)
	v_add_f64 v[6:7], v[30:31], -v[6:7]
	buffer_store_dword v4, off, s[0:3], 0 offset:672
	buffer_store_dword v5, off, s[0:3], 0 offset:676
	buffer_store_dword v6, off, s[0:3], 0 offset:680
	buffer_store_dword v7, off, s[0:3], 0 offset:684
	s_and_saveexec_b64 s[4:5], vcc
	s_cbranch_execz .LBB108_203
; %bb.202:
	v_accvgpr_read_b32 v0, a94
	buffer_load_dword v4, v0, s[0:3], 0 offen
	buffer_load_dword v5, v0, s[0:3], 0 offen offset:4
	buffer_load_dword v6, v0, s[0:3], 0 offen offset:8
	;; [unrolled: 1-line block ×3, first 2 shown]
	v_accvgpr_read_b32 v0, a135
	buffer_store_dword v2, off, s[0:3], 0 offset:656
	buffer_store_dword v2, off, s[0:3], 0 offset:660
	;; [unrolled: 1-line block ×4, first 2 shown]
	s_waitcnt vmcnt(4)
	ds_write_b128 v0, v[4:7]
.LBB108_203:
	s_or_b64 exec, exec, s[4:5]
	s_waitcnt lgkmcnt(0)
	; wave barrier
	s_waitcnt lgkmcnt(0)
	buffer_load_dword v20, off, s[0:3], 0 offset:680
	buffer_load_dword v21, off, s[0:3], 0 offset:684
	;; [unrolled: 1-line block ×20, first 2 shown]
	ds_read_b128 v[4:7], v2 offset:1376
	ds_read_b128 v[8:11], v2 offset:1392
	;; [unrolled: 1-line block ×4, first 2 shown]
	v_cmp_lt_u32_e32 vcc, 39, v255
	s_waitcnt vmcnt(18) lgkmcnt(3)
	v_mul_f64 v[2:3], v[4:5], v[20:21]
	v_mul_f64 v[20:21], v[6:7], v[20:21]
	s_waitcnt vmcnt(16) lgkmcnt(2)
	v_mul_f64 v[40:41], v[8:9], v[22:23]
	v_mul_f64 v[22:23], v[10:11], v[22:23]
	;; [unrolled: 3-line block ×4, first 2 shown]
	s_waitcnt vmcnt(10)
	v_fma_f64 v[4:5], v[4:5], v[28:29], -v[20:21]
	v_fmac_f64_e32 v[2:3], v[6:7], v[28:29]
	s_waitcnt vmcnt(8)
	v_fma_f64 v[6:7], v[8:9], v[30:31], -v[22:23]
	v_add_f64 v[4:5], v[4:5], 0
	v_fmac_f64_e32 v[40:41], v[10:11], v[30:31]
	s_waitcnt vmcnt(6)
	v_fma_f64 v[8:9], v[12:13], v[32:33], -v[24:25]
	v_add_f64 v[2:3], v[2:3], 0
	v_add_f64 v[4:5], v[4:5], v[6:7]
	v_fmac_f64_e32 v[42:43], v[14:15], v[32:33]
	s_waitcnt vmcnt(4)
	v_fma_f64 v[10:11], v[16:17], v[34:35], -v[26:27]
	v_add_f64 v[2:3], v[2:3], v[40:41]
	v_add_f64 v[4:5], v[4:5], v[8:9]
	v_fmac_f64_e32 v[44:45], v[18:19], v[34:35]
	v_add_f64 v[2:3], v[2:3], v[42:43]
	v_add_f64 v[4:5], v[4:5], v[10:11]
	;; [unrolled: 1-line block ×3, first 2 shown]
	s_waitcnt vmcnt(2)
	v_add_f64 v[4:5], v[36:37], -v[4:5]
	s_waitcnt vmcnt(0)
	v_add_f64 v[2:3], v[38:39], -v[2:3]
	buffer_store_dword v4, off, s[0:3], 0 offset:656
	buffer_store_dword v5, off, s[0:3], 0 offset:660
	;; [unrolled: 1-line block ×4, first 2 shown]
	s_and_saveexec_b64 s[4:5], vcc
	s_cbranch_execz .LBB108_205
; %bb.204:
	v_accvgpr_read_b32 v0, a95
	buffer_load_dword v2, v0, s[0:3], 0 offen
	buffer_load_dword v3, v0, s[0:3], 0 offen offset:4
	buffer_load_dword v4, v0, s[0:3], 0 offen offset:8
	;; [unrolled: 1-line block ×3, first 2 shown]
	v_mov_b32_e32 v0, 0
	v_accvgpr_read_b32 v1, a135
	buffer_store_dword v0, off, s[0:3], 0 offset:640
	buffer_store_dword v0, off, s[0:3], 0 offset:644
	;; [unrolled: 1-line block ×4, first 2 shown]
	s_waitcnt vmcnt(4)
	ds_write_b128 v1, v[2:5]
.LBB108_205:
	s_or_b64 exec, exec, s[4:5]
	s_waitcnt lgkmcnt(0)
	; wave barrier
	s_waitcnt lgkmcnt(0)
	buffer_load_dword v24, off, s[0:3], 0 offset:664
	buffer_load_dword v25, off, s[0:3], 0 offset:668
	;; [unrolled: 1-line block ×24, first 2 shown]
	v_mov_b32_e32 v2, 0
	ds_read_b128 v[4:7], v2 offset:1360
	ds_read_b128 v[8:11], v2 offset:1376
	;; [unrolled: 1-line block ×5, first 2 shown]
	v_cmp_lt_u32_e32 vcc, 38, v255
	s_waitcnt vmcnt(22) lgkmcnt(4)
	v_mul_f64 v[48:49], v[4:5], v[24:25]
	v_mul_f64 v[24:25], v[6:7], v[24:25]
	s_waitcnt vmcnt(20) lgkmcnt(3)
	v_mul_f64 v[50:51], v[8:9], v[26:27]
	v_mul_f64 v[26:27], v[10:11], v[26:27]
	s_waitcnt vmcnt(18) lgkmcnt(2)
	v_mul_f64 v[52:53], v[12:13], v[28:29]
	v_mul_f64 v[28:29], v[14:15], v[28:29]
	s_waitcnt vmcnt(14) lgkmcnt(1)
	v_mul_f64 v[54:55], v[16:17], v[34:35]
	v_mul_f64 v[34:35], v[18:19], v[34:35]
	s_waitcnt vmcnt(13) lgkmcnt(0)
	v_mul_f64 v[56:57], v[20:21], v[30:31]
	s_waitcnt vmcnt(11)
	v_fma_f64 v[4:5], v[4:5], v[36:37], -v[24:25]
	v_fmac_f64_e32 v[48:49], v[6:7], v[36:37]
	s_waitcnt vmcnt(9)
	v_fma_f64 v[6:7], v[8:9], v[38:39], -v[26:27]
	v_add_f64 v[4:5], v[4:5], 0
	v_fmac_f64_e32 v[50:51], v[10:11], v[38:39]
	s_waitcnt vmcnt(7)
	v_fmac_f64_e32 v[52:53], v[14:15], v[40:41]
	v_fma_f64 v[8:9], v[12:13], v[40:41], -v[28:29]
	v_add_f64 v[14:15], v[48:49], 0
	v_add_f64 v[4:5], v[4:5], v[6:7]
	v_mul_f64 v[30:31], v[22:23], v[30:31]
	s_waitcnt vmcnt(5)
	v_fma_f64 v[10:11], v[16:17], v[42:43], -v[34:35]
	v_add_f64 v[14:15], v[14:15], v[50:51]
	v_add_f64 v[4:5], v[4:5], v[8:9]
	v_fmac_f64_e32 v[54:55], v[18:19], v[42:43]
	s_waitcnt vmcnt(4)
	v_fma_f64 v[12:13], v[20:21], v[32:33], -v[30:31]
	v_add_f64 v[6:7], v[14:15], v[52:53]
	v_add_f64 v[4:5], v[4:5], v[10:11]
	v_fmac_f64_e32 v[56:57], v[22:23], v[32:33]
	v_add_f64 v[6:7], v[6:7], v[54:55]
	v_add_f64 v[4:5], v[4:5], v[12:13]
	;; [unrolled: 1-line block ×3, first 2 shown]
	s_waitcnt vmcnt(2)
	v_add_f64 v[4:5], v[44:45], -v[4:5]
	s_waitcnt vmcnt(0)
	v_add_f64 v[6:7], v[46:47], -v[6:7]
	buffer_store_dword v5, off, s[0:3], 0 offset:644
	buffer_store_dword v4, off, s[0:3], 0 offset:640
	;; [unrolled: 1-line block ×4, first 2 shown]
	s_and_saveexec_b64 s[4:5], vcc
	s_cbranch_execz .LBB108_207
; %bb.206:
	v_accvgpr_read_b32 v0, a96
	buffer_load_dword v4, v0, s[0:3], 0 offen
	buffer_load_dword v5, v0, s[0:3], 0 offen offset:4
	buffer_load_dword v6, v0, s[0:3], 0 offen offset:8
	;; [unrolled: 1-line block ×3, first 2 shown]
	v_accvgpr_read_b32 v0, a135
	buffer_store_dword v2, off, s[0:3], 0 offset:624
	buffer_store_dword v2, off, s[0:3], 0 offset:628
	buffer_store_dword v2, off, s[0:3], 0 offset:632
	buffer_store_dword v2, off, s[0:3], 0 offset:636
	s_waitcnt vmcnt(4)
	ds_write_b128 v0, v[4:7]
.LBB108_207:
	s_or_b64 exec, exec, s[4:5]
	s_waitcnt lgkmcnt(0)
	; wave barrier
	s_waitcnt lgkmcnt(0)
	buffer_load_dword v28, off, s[0:3], 0 offset:648
	buffer_load_dword v29, off, s[0:3], 0 offset:652
	;; [unrolled: 1-line block ×28, first 2 shown]
	ds_read_b128 v[4:7], v2 offset:1344
	ds_read_b128 v[8:11], v2 offset:1360
	;; [unrolled: 1-line block ×6, first 2 shown]
	v_cmp_lt_u32_e32 vcc, 37, v255
	s_waitcnt vmcnt(26) lgkmcnt(5)
	v_mul_f64 v[2:3], v[4:5], v[28:29]
	v_mul_f64 v[28:29], v[6:7], v[28:29]
	s_waitcnt vmcnt(24) lgkmcnt(4)
	v_mul_f64 v[56:57], v[8:9], v[30:31]
	v_mul_f64 v[30:31], v[10:11], v[30:31]
	;; [unrolled: 3-line block ×4, first 2 shown]
	s_waitcnt vmcnt(17)
	v_mul_f64 v[60:61], v[16:17], v[38:39]
	v_mul_f64 v[38:39], v[18:19], v[38:39]
	s_waitcnt vmcnt(15) lgkmcnt(0)
	v_mul_f64 v[64:65], v[24:25], v[40:41]
	v_mul_f64 v[40:41], v[26:27], v[40:41]
	s_waitcnt vmcnt(14)
	v_fmac_f64_e32 v[62:63], v[22:23], v[36:37]
	s_waitcnt vmcnt(12)
	v_fma_f64 v[4:5], v[4:5], v[42:43], -v[28:29]
	v_fmac_f64_e32 v[2:3], v[6:7], v[42:43]
	s_waitcnt vmcnt(10)
	v_fma_f64 v[6:7], v[8:9], v[44:45], -v[30:31]
	v_add_f64 v[4:5], v[4:5], 0
	v_fmac_f64_e32 v[56:57], v[10:11], v[44:45]
	s_waitcnt vmcnt(8)
	v_fma_f64 v[8:9], v[12:13], v[46:47], -v[32:33]
	v_add_f64 v[2:3], v[2:3], 0
	v_add_f64 v[4:5], v[4:5], v[6:7]
	v_fmac_f64_e32 v[58:59], v[14:15], v[46:47]
	s_waitcnt vmcnt(6)
	v_fma_f64 v[10:11], v[16:17], v[48:49], -v[38:39]
	v_add_f64 v[2:3], v[2:3], v[56:57]
	v_add_f64 v[4:5], v[4:5], v[8:9]
	v_fmac_f64_e32 v[60:61], v[18:19], v[48:49]
	v_fma_f64 v[12:13], v[20:21], v[36:37], -v[34:35]
	v_add_f64 v[2:3], v[2:3], v[58:59]
	v_add_f64 v[4:5], v[4:5], v[10:11]
	s_waitcnt vmcnt(4)
	v_fma_f64 v[14:15], v[24:25], v[50:51], -v[40:41]
	v_add_f64 v[2:3], v[2:3], v[60:61]
	v_add_f64 v[4:5], v[4:5], v[12:13]
	v_fmac_f64_e32 v[64:65], v[26:27], v[50:51]
	v_add_f64 v[2:3], v[2:3], v[62:63]
	v_add_f64 v[4:5], v[4:5], v[14:15]
	;; [unrolled: 1-line block ×3, first 2 shown]
	s_waitcnt vmcnt(2)
	v_add_f64 v[4:5], v[52:53], -v[4:5]
	s_waitcnt vmcnt(0)
	v_add_f64 v[2:3], v[54:55], -v[2:3]
	buffer_store_dword v5, off, s[0:3], 0 offset:628
	buffer_store_dword v4, off, s[0:3], 0 offset:624
	;; [unrolled: 1-line block ×4, first 2 shown]
	s_and_saveexec_b64 s[4:5], vcc
	s_cbranch_execz .LBB108_209
; %bb.208:
	v_accvgpr_read_b32 v0, a97
	buffer_load_dword v2, v0, s[0:3], 0 offen
	buffer_load_dword v3, v0, s[0:3], 0 offen offset:4
	buffer_load_dword v4, v0, s[0:3], 0 offen offset:8
	buffer_load_dword v5, v0, s[0:3], 0 offen offset:12
	v_mov_b32_e32 v0, 0
	v_accvgpr_read_b32 v1, a135
	buffer_store_dword v0, off, s[0:3], 0 offset:608
	buffer_store_dword v0, off, s[0:3], 0 offset:612
	;; [unrolled: 1-line block ×4, first 2 shown]
	s_waitcnt vmcnt(4)
	ds_write_b128 v1, v[2:5]
.LBB108_209:
	s_or_b64 exec, exec, s[4:5]
	s_waitcnt lgkmcnt(0)
	; wave barrier
	s_waitcnt lgkmcnt(0)
	buffer_load_dword v32, off, s[0:3], 0 offset:632
	buffer_load_dword v33, off, s[0:3], 0 offset:636
	;; [unrolled: 1-line block ×32, first 2 shown]
	v_mov_b32_e32 v2, 0
	ds_read_b128 v[4:7], v2 offset:1328
	ds_read_b128 v[8:11], v2 offset:1344
	;; [unrolled: 1-line block ×7, first 2 shown]
	v_cmp_lt_u32_e32 vcc, 36, v255
	s_waitcnt vmcnt(30) lgkmcnt(6)
	v_mul_f64 v[64:65], v[4:5], v[32:33]
	v_mul_f64 v[32:33], v[6:7], v[32:33]
	s_waitcnt vmcnt(28) lgkmcnt(5)
	v_mul_f64 v[66:67], v[8:9], v[34:35]
	v_mul_f64 v[34:35], v[10:11], v[34:35]
	;; [unrolled: 3-line block ×4, first 2 shown]
	s_waitcnt vmcnt(21)
	v_mul_f64 v[70:71], v[16:17], v[42:43]
	v_mul_f64 v[42:43], v[18:19], v[42:43]
	s_waitcnt vmcnt(17) lgkmcnt(1)
	v_mul_f64 v[74:75], v[24:25], v[48:49]
	v_mul_f64 v[48:49], v[26:27], v[48:49]
	s_waitcnt vmcnt(16) lgkmcnt(0)
	v_mul_f64 v[76:77], v[28:29], v[44:45]
	v_mul_f64 v[44:45], v[30:31], v[44:45]
	s_waitcnt vmcnt(13)
	v_fma_f64 v[4:5], v[4:5], v[50:51], -v[32:33]
	v_fmac_f64_e32 v[64:65], v[6:7], v[50:51]
	s_waitcnt vmcnt(11)
	v_fma_f64 v[6:7], v[8:9], v[52:53], -v[34:35]
	v_add_f64 v[4:5], v[4:5], 0
	v_fmac_f64_e32 v[66:67], v[10:11], v[52:53]
	s_waitcnt vmcnt(9)
	v_fma_f64 v[8:9], v[12:13], v[54:55], -v[36:37]
	s_waitcnt vmcnt(7)
	v_fmac_f64_e32 v[70:71], v[18:19], v[56:57]
	v_add_f64 v[18:19], v[64:65], 0
	v_add_f64 v[4:5], v[4:5], v[6:7]
	v_fmac_f64_e32 v[68:69], v[14:15], v[54:55]
	v_fma_f64 v[10:11], v[16:17], v[56:57], -v[42:43]
	v_add_f64 v[18:19], v[18:19], v[66:67]
	v_add_f64 v[4:5], v[4:5], v[8:9]
	v_fma_f64 v[12:13], v[20:21], v[40:41], -v[38:39]
	v_add_f64 v[6:7], v[18:19], v[68:69]
	v_add_f64 v[4:5], v[4:5], v[10:11]
	v_fmac_f64_e32 v[72:73], v[22:23], v[40:41]
	s_waitcnt vmcnt(5)
	v_fma_f64 v[14:15], v[24:25], v[58:59], -v[48:49]
	v_add_f64 v[6:7], v[6:7], v[70:71]
	v_add_f64 v[4:5], v[4:5], v[12:13]
	v_fmac_f64_e32 v[74:75], v[26:27], v[58:59]
	s_waitcnt vmcnt(4)
	v_fma_f64 v[16:17], v[28:29], v[46:47], -v[44:45]
	v_add_f64 v[6:7], v[6:7], v[72:73]
	v_add_f64 v[4:5], v[4:5], v[14:15]
	v_fmac_f64_e32 v[76:77], v[30:31], v[46:47]
	v_add_f64 v[6:7], v[6:7], v[74:75]
	v_add_f64 v[4:5], v[4:5], v[16:17]
	;; [unrolled: 1-line block ×3, first 2 shown]
	s_waitcnt vmcnt(2)
	v_add_f64 v[4:5], v[60:61], -v[4:5]
	s_waitcnt vmcnt(0)
	v_add_f64 v[6:7], v[62:63], -v[6:7]
	buffer_store_dword v5, off, s[0:3], 0 offset:612
	buffer_store_dword v4, off, s[0:3], 0 offset:608
	;; [unrolled: 1-line block ×4, first 2 shown]
	s_and_saveexec_b64 s[4:5], vcc
	s_cbranch_execz .LBB108_211
; %bb.210:
	v_accvgpr_read_b32 v0, a98
	buffer_load_dword v4, v0, s[0:3], 0 offen
	buffer_load_dword v5, v0, s[0:3], 0 offen offset:4
	buffer_load_dword v6, v0, s[0:3], 0 offen offset:8
	;; [unrolled: 1-line block ×3, first 2 shown]
	v_accvgpr_read_b32 v0, a135
	buffer_store_dword v2, off, s[0:3], 0 offset:592
	buffer_store_dword v2, off, s[0:3], 0 offset:596
	;; [unrolled: 1-line block ×4, first 2 shown]
	s_waitcnt vmcnt(4)
	ds_write_b128 v0, v[4:7]
.LBB108_211:
	s_or_b64 exec, exec, s[4:5]
	s_waitcnt lgkmcnt(0)
	; wave barrier
	s_waitcnt lgkmcnt(0)
	buffer_load_dword v36, off, s[0:3], 0 offset:616
	buffer_load_dword v37, off, s[0:3], 0 offset:620
	;; [unrolled: 1-line block ×36, first 2 shown]
	ds_read_b128 v[4:7], v2 offset:1312
	ds_read_b128 v[8:11], v2 offset:1328
	;; [unrolled: 1-line block ×8, first 2 shown]
	v_cmp_lt_u32_e32 vcc, 35, v255
	s_waitcnt vmcnt(34) lgkmcnt(7)
	v_mul_f64 v[2:3], v[4:5], v[36:37]
	v_mul_f64 v[36:37], v[6:7], v[36:37]
	s_waitcnt vmcnt(32) lgkmcnt(6)
	v_mul_f64 v[72:73], v[8:9], v[38:39]
	v_mul_f64 v[38:39], v[10:11], v[38:39]
	;; [unrolled: 3-line block ×4, first 2 shown]
	s_waitcnt vmcnt(25)
	v_mul_f64 v[76:77], v[16:17], v[46:47]
	v_mul_f64 v[46:47], v[18:19], v[46:47]
	s_waitcnt vmcnt(23) lgkmcnt(1)
	v_mul_f64 v[82:83], v[28:29], v[48:49]
	v_mul_f64 v[48:49], v[30:31], v[48:49]
	s_waitcnt vmcnt(20)
	v_mul_f64 v[80:81], v[24:25], v[52:53]
	v_mul_f64 v[52:53], v[26:27], v[52:53]
	s_waitcnt vmcnt(18) lgkmcnt(0)
	v_mul_f64 v[84:85], v[32:33], v[54:55]
	s_waitcnt vmcnt(17)
	v_fmac_f64_e32 v[78:79], v[22:23], v[44:45]
	s_waitcnt vmcnt(16)
	v_fmac_f64_e32 v[82:83], v[30:31], v[50:51]
	s_waitcnt vmcnt(14)
	v_fma_f64 v[4:5], v[4:5], v[56:57], -v[36:37]
	v_fmac_f64_e32 v[2:3], v[6:7], v[56:57]
	s_waitcnt vmcnt(12)
	v_fma_f64 v[6:7], v[8:9], v[58:59], -v[38:39]
	v_add_f64 v[4:5], v[4:5], 0
	v_fmac_f64_e32 v[72:73], v[10:11], v[58:59]
	s_waitcnt vmcnt(10)
	v_fma_f64 v[8:9], v[12:13], v[60:61], -v[40:41]
	v_add_f64 v[2:3], v[2:3], 0
	v_add_f64 v[4:5], v[4:5], v[6:7]
	v_fmac_f64_e32 v[74:75], v[14:15], v[60:61]
	s_waitcnt vmcnt(8)
	v_fma_f64 v[10:11], v[16:17], v[62:63], -v[46:47]
	v_add_f64 v[2:3], v[2:3], v[72:73]
	v_add_f64 v[4:5], v[4:5], v[8:9]
	v_fmac_f64_e32 v[76:77], v[18:19], v[62:63]
	v_fma_f64 v[12:13], v[20:21], v[44:45], -v[42:43]
	v_add_f64 v[2:3], v[2:3], v[74:75]
	v_add_f64 v[4:5], v[4:5], v[10:11]
	s_waitcnt vmcnt(6)
	v_fma_f64 v[14:15], v[24:25], v[64:65], -v[52:53]
	v_add_f64 v[2:3], v[2:3], v[76:77]
	v_add_f64 v[4:5], v[4:5], v[12:13]
	v_fmac_f64_e32 v[80:81], v[26:27], v[64:65]
	v_fma_f64 v[16:17], v[28:29], v[50:51], -v[48:49]
	v_add_f64 v[2:3], v[2:3], v[78:79]
	v_add_f64 v[4:5], v[4:5], v[14:15]
	v_mul_f64 v[6:7], v[34:35], v[54:55]
	v_add_f64 v[2:3], v[2:3], v[80:81]
	v_add_f64 v[4:5], v[4:5], v[16:17]
	s_waitcnt vmcnt(4)
	v_fma_f64 v[6:7], v[32:33], v[66:67], -v[6:7]
	v_fmac_f64_e32 v[84:85], v[34:35], v[66:67]
	v_add_f64 v[2:3], v[2:3], v[82:83]
	v_add_f64 v[4:5], v[4:5], v[6:7]
	v_add_f64 v[2:3], v[2:3], v[84:85]
	s_waitcnt vmcnt(2)
	v_add_f64 v[4:5], v[68:69], -v[4:5]
	s_waitcnt vmcnt(0)
	v_add_f64 v[2:3], v[70:71], -v[2:3]
	buffer_store_dword v5, off, s[0:3], 0 offset:596
	buffer_store_dword v4, off, s[0:3], 0 offset:592
	;; [unrolled: 1-line block ×4, first 2 shown]
	s_and_saveexec_b64 s[4:5], vcc
	s_cbranch_execz .LBB108_213
; %bb.212:
	v_accvgpr_read_b32 v0, a99
	buffer_load_dword v2, v0, s[0:3], 0 offen
	buffer_load_dword v3, v0, s[0:3], 0 offen offset:4
	buffer_load_dword v4, v0, s[0:3], 0 offen offset:8
	;; [unrolled: 1-line block ×3, first 2 shown]
	v_mov_b32_e32 v0, 0
	v_accvgpr_read_b32 v1, a135
	buffer_store_dword v0, off, s[0:3], 0 offset:576
	buffer_store_dword v0, off, s[0:3], 0 offset:580
	;; [unrolled: 1-line block ×4, first 2 shown]
	s_waitcnt vmcnt(4)
	ds_write_b128 v1, v[2:5]
.LBB108_213:
	s_or_b64 exec, exec, s[4:5]
	s_waitcnt lgkmcnt(0)
	; wave barrier
	s_waitcnt lgkmcnt(0)
	buffer_load_dword v40, off, s[0:3], 0 offset:600
	buffer_load_dword v41, off, s[0:3], 0 offset:604
	;; [unrolled: 1-line block ×40, first 2 shown]
	v_mov_b32_e32 v6, 0
	ds_read_b128 v[2:5], v6 offset:1296
	ds_read_b128 v[8:11], v6 offset:1312
	;; [unrolled: 1-line block ×9, first 2 shown]
	v_cmp_lt_u32_e32 vcc, 34, v255
	s_waitcnt vmcnt(38) lgkmcnt(8)
	v_mul_f64 v[80:81], v[2:3], v[40:41]
	v_mul_f64 v[40:41], v[4:5], v[40:41]
	s_waitcnt vmcnt(36) lgkmcnt(7)
	v_mul_f64 v[82:83], v[8:9], v[42:43]
	v_mul_f64 v[42:43], v[10:11], v[42:43]
	;; [unrolled: 3-line block ×3, first 2 shown]
	s_waitcnt vmcnt(32) lgkmcnt(4)
	v_mul_f64 v[88:89], v[20:21], v[46:47]
	s_waitcnt vmcnt(30)
	v_fmac_f64_e32 v[88:89], v[22:23], v[48:49]
	s_waitcnt vmcnt(28)
	v_mul_f64 v[86:87], v[16:17], v[50:51]
	v_mul_f64 v[50:51], v[18:19], v[50:51]
	s_waitcnt vmcnt(26) lgkmcnt(2)
	v_mul_f64 v[92:93], v[28:29], v[52:53]
	s_waitcnt vmcnt(24)
	v_fmac_f64_e32 v[92:93], v[30:31], v[54:55]
	s_waitcnt vmcnt(22)
	v_mul_f64 v[90:91], v[24:25], v[56:57]
	s_waitcnt vmcnt(18) lgkmcnt(1)
	v_mul_f64 v[94:95], v[32:33], v[62:63]
	s_waitcnt vmcnt(17) lgkmcnt(0)
	v_mul_f64 v[96:97], v[36:37], v[58:59]
	s_waitcnt vmcnt(15)
	v_fma_f64 v[2:3], v[2:3], v[64:65], -v[40:41]
	v_fmac_f64_e32 v[80:81], v[4:5], v[64:65]
	s_waitcnt vmcnt(13)
	v_fma_f64 v[4:5], v[8:9], v[66:67], -v[42:43]
	v_add_f64 v[2:3], v[2:3], 0
	s_waitcnt vmcnt(11)
	v_fma_f64 v[8:9], v[12:13], v[68:69], -v[44:45]
	v_add_f64 v[2:3], v[2:3], v[4:5]
	v_fmac_f64_e32 v[82:83], v[10:11], v[66:67]
	s_waitcnt vmcnt(9)
	v_fma_f64 v[10:11], v[16:17], v[70:71], -v[50:51]
	v_add_f64 v[2:3], v[2:3], v[8:9]
	v_mul_f64 v[8:9], v[22:23], v[46:47]
	v_add_f64 v[2:3], v[2:3], v[10:11]
	v_fma_f64 v[8:9], v[20:21], v[48:49], -v[8:9]
	v_add_f64 v[2:3], v[2:3], v[8:9]
	v_mul_f64 v[8:9], v[26:27], v[56:57]
	v_add_f64 v[12:13], v[80:81], 0
	s_waitcnt vmcnt(7)
	v_fma_f64 v[8:9], v[24:25], v[72:73], -v[8:9]
	v_fmac_f64_e32 v[84:85], v[14:15], v[68:69]
	v_add_f64 v[12:13], v[12:13], v[82:83]
	v_add_f64 v[2:3], v[2:3], v[8:9]
	v_mul_f64 v[8:9], v[30:31], v[52:53]
	v_fmac_f64_e32 v[86:87], v[18:19], v[70:71]
	v_add_f64 v[4:5], v[12:13], v[84:85]
	v_fma_f64 v[8:9], v[28:29], v[54:55], -v[8:9]
	v_add_f64 v[4:5], v[4:5], v[86:87]
	v_add_f64 v[2:3], v[2:3], v[8:9]
	v_mul_f64 v[8:9], v[34:35], v[62:63]
	v_fmac_f64_e32 v[90:91], v[26:27], v[72:73]
	v_add_f64 v[4:5], v[4:5], v[88:89]
	s_waitcnt vmcnt(5)
	v_fma_f64 v[8:9], v[32:33], v[74:75], -v[8:9]
	v_add_f64 v[4:5], v[4:5], v[90:91]
	v_add_f64 v[2:3], v[2:3], v[8:9]
	v_mul_f64 v[8:9], v[38:39], v[58:59]
	v_fmac_f64_e32 v[94:95], v[34:35], v[74:75]
	v_add_f64 v[4:5], v[4:5], v[92:93]
	s_waitcnt vmcnt(4)
	v_fma_f64 v[8:9], v[36:37], v[60:61], -v[8:9]
	v_fmac_f64_e32 v[96:97], v[38:39], v[60:61]
	v_add_f64 v[4:5], v[4:5], v[94:95]
	v_add_f64 v[2:3], v[2:3], v[8:9]
	;; [unrolled: 1-line block ×3, first 2 shown]
	s_waitcnt vmcnt(2)
	v_add_f64 v[2:3], v[76:77], -v[2:3]
	s_waitcnt vmcnt(0)
	v_add_f64 v[4:5], v[78:79], -v[4:5]
	buffer_store_dword v3, off, s[0:3], 0 offset:580
	buffer_store_dword v2, off, s[0:3], 0 offset:576
	;; [unrolled: 1-line block ×4, first 2 shown]
	s_and_saveexec_b64 s[4:5], vcc
	s_cbranch_execz .LBB108_215
; %bb.214:
	v_accvgpr_read_b32 v0, a100
	buffer_load_dword v2, v0, s[0:3], 0 offen
	buffer_load_dword v3, v0, s[0:3], 0 offen offset:4
	buffer_load_dword v4, v0, s[0:3], 0 offen offset:8
	;; [unrolled: 1-line block ×3, first 2 shown]
	v_accvgpr_read_b32 v0, a135
	buffer_store_dword v6, off, s[0:3], 0 offset:560
	buffer_store_dword v6, off, s[0:3], 0 offset:564
	;; [unrolled: 1-line block ×4, first 2 shown]
	s_waitcnt vmcnt(4)
	ds_write_b128 v0, v[2:5]
.LBB108_215:
	s_or_b64 exec, exec, s[4:5]
	s_waitcnt lgkmcnt(0)
	; wave barrier
	s_waitcnt lgkmcnt(0)
	buffer_load_dword v4, off, s[0:3], 0 offset:576
	buffer_load_dword v5, off, s[0:3], 0 offset:580
	;; [unrolled: 1-line block ×44, first 2 shown]
	ds_read_b128 v[8:11], v6 offset:1280
	ds_read_b128 v[12:15], v6 offset:1296
	;; [unrolled: 1-line block ×10, first 2 shown]
	v_cmp_lt_u32_e32 vcc, 33, v255
	s_waitcnt vmcnt(40) lgkmcnt(9)
	v_mul_f64 v[6:7], v[8:9], v[48:49]
	v_mul_f64 v[48:49], v[10:11], v[48:49]
	s_waitcnt vmcnt(38) lgkmcnt(8)
	v_mul_f64 v[88:89], v[12:13], v[50:51]
	v_mul_f64 v[50:51], v[14:15], v[50:51]
	v_fmac_f64_e32 v[6:7], v[10:11], v[4:5]
	v_fma_f64 v[4:5], v[8:9], v[4:5], -v[48:49]
	s_waitcnt vmcnt(36) lgkmcnt(7)
	v_mul_f64 v[90:91], v[16:17], v[2:3]
	v_add_f64 v[4:5], v[4:5], 0
	v_mul_f64 v[2:3], v[18:19], v[2:3]
	v_add_f64 v[6:7], v[6:7], 0
	s_waitcnt vmcnt(30) lgkmcnt(6)
	v_mul_f64 v[92:93], v[20:21], v[56:57]
	s_waitcnt lgkmcnt(5)
	v_mul_f64 v[94:95], v[24:25], v[52:53]
	v_fmac_f64_e32 v[94:95], v[26:27], v[54:55]
	s_waitcnt vmcnt(28) lgkmcnt(3)
	v_mul_f64 v[98:99], v[32:33], v[58:59]
	s_waitcnt vmcnt(26)
	v_fmac_f64_e32 v[98:99], v[34:35], v[60:61]
	s_waitcnt vmcnt(24)
	v_mul_f64 v[96:97], v[28:29], v[62:63]
	s_waitcnt vmcnt(22) lgkmcnt(1)
	v_mul_f64 v[102:103], v[40:41], v[64:65]
	s_waitcnt vmcnt(20)
	v_fmac_f64_e32 v[102:103], v[42:43], v[66:67]
	s_waitcnt vmcnt(18)
	v_mul_f64 v[100:101], v[36:37], v[68:69]
	s_waitcnt vmcnt(16) lgkmcnt(0)
	v_mul_f64 v[104:105], v[44:45], v[70:71]
	s_waitcnt vmcnt(14)
	v_fma_f64 v[8:9], v[12:13], v[72:73], -v[50:51]
	v_add_f64 v[4:5], v[4:5], v[8:9]
	s_waitcnt vmcnt(12)
	v_fma_f64 v[2:3], v[16:17], v[74:75], -v[2:3]
	v_add_f64 v[2:3], v[4:5], v[2:3]
	v_mul_f64 v[4:5], v[22:23], v[56:57]
	s_waitcnt vmcnt(10)
	v_fma_f64 v[4:5], v[20:21], v[76:77], -v[4:5]
	v_add_f64 v[2:3], v[2:3], v[4:5]
	v_mul_f64 v[4:5], v[26:27], v[52:53]
	v_fma_f64 v[4:5], v[24:25], v[54:55], -v[4:5]
	v_add_f64 v[2:3], v[2:3], v[4:5]
	v_mul_f64 v[4:5], v[30:31], v[62:63]
	s_waitcnt vmcnt(8)
	v_fma_f64 v[4:5], v[28:29], v[78:79], -v[4:5]
	v_fmac_f64_e32 v[88:89], v[14:15], v[72:73]
	v_add_f64 v[2:3], v[2:3], v[4:5]
	v_mul_f64 v[4:5], v[34:35], v[58:59]
	v_fmac_f64_e32 v[90:91], v[18:19], v[74:75]
	v_add_f64 v[6:7], v[6:7], v[88:89]
	v_fma_f64 v[4:5], v[32:33], v[60:61], -v[4:5]
	v_fmac_f64_e32 v[92:93], v[22:23], v[76:77]
	v_add_f64 v[6:7], v[6:7], v[90:91]
	v_add_f64 v[2:3], v[2:3], v[4:5]
	v_mul_f64 v[4:5], v[38:39], v[68:69]
	v_add_f64 v[6:7], v[6:7], v[92:93]
	s_waitcnt vmcnt(6)
	v_fma_f64 v[4:5], v[36:37], v[80:81], -v[4:5]
	v_fmac_f64_e32 v[96:97], v[30:31], v[78:79]
	v_add_f64 v[6:7], v[6:7], v[94:95]
	v_add_f64 v[2:3], v[2:3], v[4:5]
	v_mul_f64 v[4:5], v[42:43], v[64:65]
	v_add_f64 v[6:7], v[6:7], v[96:97]
	v_fma_f64 v[4:5], v[40:41], v[66:67], -v[4:5]
	v_fmac_f64_e32 v[100:101], v[38:39], v[80:81]
	v_add_f64 v[6:7], v[6:7], v[98:99]
	v_add_f64 v[2:3], v[2:3], v[4:5]
	v_mul_f64 v[4:5], v[46:47], v[70:71]
	v_add_f64 v[6:7], v[6:7], v[100:101]
	s_waitcnt vmcnt(4)
	v_fma_f64 v[4:5], v[44:45], v[82:83], -v[4:5]
	v_fmac_f64_e32 v[104:105], v[46:47], v[82:83]
	v_add_f64 v[6:7], v[6:7], v[102:103]
	v_add_f64 v[2:3], v[2:3], v[4:5]
	;; [unrolled: 1-line block ×3, first 2 shown]
	s_waitcnt vmcnt(2)
	v_add_f64 v[2:3], v[84:85], -v[2:3]
	s_waitcnt vmcnt(0)
	v_add_f64 v[4:5], v[86:87], -v[6:7]
	buffer_store_dword v3, off, s[0:3], 0 offset:564
	buffer_store_dword v2, off, s[0:3], 0 offset:560
	;; [unrolled: 1-line block ×4, first 2 shown]
	s_and_saveexec_b64 s[4:5], vcc
	s_cbranch_execz .LBB108_217
; %bb.216:
	v_accvgpr_read_b32 v0, a101
	buffer_load_dword v2, v0, s[0:3], 0 offen
	buffer_load_dword v3, v0, s[0:3], 0 offen offset:4
	buffer_load_dword v4, v0, s[0:3], 0 offen offset:8
	;; [unrolled: 1-line block ×3, first 2 shown]
	v_mov_b32_e32 v0, 0
	v_accvgpr_read_b32 v1, a135
	buffer_store_dword v0, off, s[0:3], 0 offset:544
	buffer_store_dword v0, off, s[0:3], 0 offset:548
	;; [unrolled: 1-line block ×4, first 2 shown]
	s_waitcnt vmcnt(4)
	ds_write_b128 v1, v[2:5]
.LBB108_217:
	s_or_b64 exec, exec, s[4:5]
	s_waitcnt lgkmcnt(0)
	; wave barrier
	s_waitcnt lgkmcnt(0)
	buffer_load_dword v2, off, s[0:3], 0 offset:560
	buffer_load_dword v3, off, s[0:3], 0 offset:564
	;; [unrolled: 1-line block ×48, first 2 shown]
	v_mov_b32_e32 v12, 0
	ds_read_b128 v[14:17], v12 offset:1264
	ds_read_b128 v[18:21], v12 offset:1280
	;; [unrolled: 1-line block ×11, first 2 shown]
	v_cmp_lt_u32_e32 vcc, 32, v255
	s_waitcnt vmcnt(44) lgkmcnt(10)
	v_mul_f64 v[96:97], v[14:15], v[6:7]
	v_mul_f64 v[6:7], v[16:17], v[6:7]
	v_fmac_f64_e32 v[96:97], v[16:17], v[2:3]
	v_fma_f64 v[2:3], v[14:15], v[2:3], -v[6:7]
	s_waitcnt vmcnt(40) lgkmcnt(9)
	v_mul_f64 v[98:99], v[18:19], v[8:9]
	v_mul_f64 v[6:7], v[20:21], v[8:9]
	v_fmac_f64_e32 v[98:99], v[20:21], v[4:5]
	v_add_f64 v[2:3], v[2:3], 0
	v_fma_f64 v[4:5], v[18:19], v[4:5], -v[6:7]
	v_add_f64 v[2:3], v[2:3], v[4:5]
	s_waitcnt vmcnt(38) lgkmcnt(8)
	v_mul_f64 v[4:5], v[24:25], v[10:11]
	v_mul_f64 v[100:101], v[22:23], v[10:11]
	v_add_f64 v[96:97], v[96:97], 0
	s_waitcnt vmcnt(32) lgkmcnt(7)
	v_mul_f64 v[102:103], v[26:27], v[62:63]
	v_add_f64 v[96:97], v[96:97], v[98:99]
	s_waitcnt lgkmcnt(6)
	v_mul_f64 v[104:105], v[30:31], v[58:59]
	v_fmac_f64_e32 v[104:105], v[32:33], v[60:61]
	s_waitcnt vmcnt(30) lgkmcnt(4)
	v_mul_f64 v[108:109], v[38:39], v[64:65]
	s_waitcnt vmcnt(26)
	v_mul_f64 v[106:107], v[34:35], v[68:69]
	v_fmac_f64_e32 v[108:109], v[40:41], v[66:67]
	s_waitcnt vmcnt(24) lgkmcnt(2)
	v_mul_f64 v[112:113], v[46:47], v[70:71]
	s_waitcnt vmcnt(22)
	v_fmac_f64_e32 v[112:113], v[48:49], v[72:73]
	s_waitcnt vmcnt(20)
	v_mul_f64 v[110:111], v[42:43], v[74:75]
	s_waitcnt vmcnt(16) lgkmcnt(1)
	v_mul_f64 v[114:115], v[50:51], v[80:81]
	s_waitcnt vmcnt(14)
	v_fma_f64 v[4:5], v[22:23], v[82:83], -v[4:5]
	v_add_f64 v[2:3], v[2:3], v[4:5]
	v_mul_f64 v[4:5], v[28:29], v[62:63]
	s_waitcnt vmcnt(12)
	v_fma_f64 v[4:5], v[26:27], v[84:85], -v[4:5]
	v_add_f64 v[2:3], v[2:3], v[4:5]
	v_mul_f64 v[4:5], v[32:33], v[58:59]
	v_fma_f64 v[4:5], v[30:31], v[60:61], -v[4:5]
	v_add_f64 v[2:3], v[2:3], v[4:5]
	v_mul_f64 v[4:5], v[36:37], v[68:69]
	s_waitcnt vmcnt(10)
	v_fma_f64 v[4:5], v[34:35], v[86:87], -v[4:5]
	v_add_f64 v[2:3], v[2:3], v[4:5]
	v_mul_f64 v[4:5], v[40:41], v[64:65]
	v_fma_f64 v[4:5], v[38:39], v[66:67], -v[4:5]
	v_fmac_f64_e32 v[100:101], v[24:25], v[82:83]
	v_add_f64 v[2:3], v[2:3], v[4:5]
	v_mul_f64 v[4:5], v[44:45], v[74:75]
	v_fmac_f64_e32 v[102:103], v[28:29], v[84:85]
	v_add_f64 v[96:97], v[96:97], v[100:101]
	s_waitcnt vmcnt(8)
	v_fma_f64 v[4:5], v[42:43], v[88:89], -v[4:5]
	v_add_f64 v[96:97], v[96:97], v[102:103]
	v_add_f64 v[2:3], v[2:3], v[4:5]
	v_mul_f64 v[4:5], v[48:49], v[70:71]
	v_fmac_f64_e32 v[106:107], v[36:37], v[86:87]
	v_add_f64 v[96:97], v[96:97], v[104:105]
	v_fma_f64 v[4:5], v[46:47], v[72:73], -v[4:5]
	v_add_f64 v[96:97], v[96:97], v[106:107]
	v_add_f64 v[2:3], v[2:3], v[4:5]
	v_mul_f64 v[4:5], v[52:53], v[80:81]
	v_fmac_f64_e32 v[110:111], v[44:45], v[88:89]
	v_add_f64 v[96:97], v[96:97], v[108:109]
	s_waitcnt vmcnt(6)
	v_fma_f64 v[4:5], v[50:51], v[90:91], -v[4:5]
	v_add_f64 v[96:97], v[96:97], v[110:111]
	v_add_f64 v[2:3], v[2:3], v[4:5]
	s_waitcnt vmcnt(5) lgkmcnt(0)
	v_mul_f64 v[4:5], v[56:57], v[76:77]
	v_fmac_f64_e32 v[114:115], v[52:53], v[90:91]
	v_add_f64 v[96:97], v[96:97], v[112:113]
	v_mul_f64 v[98:99], v[54:55], v[76:77]
	s_waitcnt vmcnt(4)
	v_fma_f64 v[4:5], v[54:55], v[78:79], -v[4:5]
	v_add_f64 v[96:97], v[96:97], v[114:115]
	v_fmac_f64_e32 v[98:99], v[56:57], v[78:79]
	v_add_f64 v[2:3], v[2:3], v[4:5]
	v_add_f64 v[96:97], v[96:97], v[98:99]
	s_waitcnt vmcnt(2)
	v_add_f64 v[2:3], v[92:93], -v[2:3]
	s_waitcnt vmcnt(0)
	v_add_f64 v[4:5], v[94:95], -v[96:97]
	buffer_store_dword v3, off, s[0:3], 0 offset:548
	buffer_store_dword v2, off, s[0:3], 0 offset:544
	;; [unrolled: 1-line block ×4, first 2 shown]
	s_and_saveexec_b64 s[4:5], vcc
	s_cbranch_execz .LBB108_219
; %bb.218:
	v_accvgpr_read_b32 v0, a102
	buffer_load_dword v2, v0, s[0:3], 0 offen
	buffer_load_dword v3, v0, s[0:3], 0 offen offset:4
	buffer_load_dword v4, v0, s[0:3], 0 offen offset:8
	buffer_load_dword v5, v0, s[0:3], 0 offen offset:12
	v_accvgpr_read_b32 v0, a135
	buffer_store_dword v12, off, s[0:3], 0 offset:528
	buffer_store_dword v12, off, s[0:3], 0 offset:532
	;; [unrolled: 1-line block ×4, first 2 shown]
	s_waitcnt vmcnt(4)
	ds_write_b128 v0, v[2:5]
.LBB108_219:
	s_or_b64 exec, exec, s[4:5]
	s_waitcnt lgkmcnt(0)
	; wave barrier
	s_waitcnt lgkmcnt(0)
	buffer_load_dword v2, off, s[0:3], 0 offset:544
	buffer_load_dword v3, off, s[0:3], 0 offset:548
	buffer_load_dword v6, off, s[0:3], 0 offset:552
	buffer_load_dword v7, off, s[0:3], 0 offset:556
	buffer_load_dword v4, off, s[0:3], 0 offset:560
	buffer_load_dword v5, off, s[0:3], 0 offset:564
	buffer_load_dword v8, off, s[0:3], 0 offset:568
	buffer_load_dword v9, off, s[0:3], 0 offset:572
	buffer_load_dword v10, off, s[0:3], 0 offset:584
	buffer_load_dword v11, off, s[0:3], 0 offset:588
	buffer_load_dword v63, off, s[0:3], 0 offset:620
	buffer_load_dword v62, off, s[0:3], 0 offset:616
	buffer_load_dword v65, off, s[0:3], 0 offset:612
	buffer_load_dword v64, off, s[0:3], 0 offset:608
	buffer_load_dword v67, off, s[0:3], 0 offset:604
	buffer_load_dword v66, off, s[0:3], 0 offset:600
	buffer_load_dword v69, off, s[0:3], 0 offset:652
	buffer_load_dword v68, off, s[0:3], 0 offset:648
	buffer_load_dword v71, off, s[0:3], 0 offset:644
	buffer_load_dword v70, off, s[0:3], 0 offset:640
	buffer_load_dword v73, off, s[0:3], 0 offset:636
	buffer_load_dword v72, off, s[0:3], 0 offset:632
	buffer_load_dword v74, off, s[0:3], 0 offset:680
	buffer_load_dword v76, off, s[0:3], 0 offset:672
	buffer_load_dword v79, off, s[0:3], 0 offset:668
	buffer_load_dword v78, off, s[0:3], 0 offset:664
	buffer_load_dword v75, off, s[0:3], 0 offset:684
	buffer_load_dword v80, off, s[0:3], 0 offset:576
	buffer_load_dword v81, off, s[0:3], 0 offset:580
	buffer_load_dword v83, off, s[0:3], 0 offset:596
	buffer_load_dword v82, off, s[0:3], 0 offset:592
	buffer_load_dword v85, off, s[0:3], 0 offset:628
	buffer_load_dword v84, off, s[0:3], 0 offset:624
	buffer_load_dword v87, off, s[0:3], 0 offset:660
	buffer_load_dword v86, off, s[0:3], 0 offset:656
	buffer_load_dword v77, off, s[0:3], 0 offset:676
	buffer_load_dword v88, off, s[0:3], 0 offset:712
	buffer_load_dword v90, off, s[0:3], 0 offset:704
	buffer_load_dword v93, off, s[0:3], 0 offset:700
	buffer_load_dword v92, off, s[0:3], 0 offset:696
	buffer_load_dword v95, off, s[0:3], 0 offset:692
	buffer_load_dword v94, off, s[0:3], 0 offset:688
	buffer_load_dword v91, off, s[0:3], 0 offset:708
	buffer_load_dword v89, off, s[0:3], 0 offset:716
	buffer_load_dword v97, off, s[0:3], 0 offset:732
	buffer_load_dword v96, off, s[0:3], 0 offset:728
	buffer_load_dword v99, off, s[0:3], 0 offset:724
	buffer_load_dword v98, off, s[0:3], 0 offset:720
	buffer_load_dword v100, off, s[0:3], 0 offset:528
	buffer_load_dword v101, off, s[0:3], 0 offset:532
	buffer_load_dword v102, off, s[0:3], 0 offset:536
	buffer_load_dword v103, off, s[0:3], 0 offset:540
	ds_read_b128 v[14:17], v12 offset:1248
	ds_read_b128 v[18:21], v12 offset:1264
	;; [unrolled: 1-line block ×10, first 2 shown]
	v_cmp_lt_u32_e32 vcc, 31, v255
	s_waitcnt vmcnt(48) lgkmcnt(9)
	v_mul_f64 v[54:55], v[14:15], v[6:7]
	v_mul_f64 v[6:7], v[16:17], v[6:7]
	v_fmac_f64_e32 v[54:55], v[16:17], v[2:3]
	v_fma_f64 v[2:3], v[14:15], v[2:3], -v[6:7]
	s_waitcnt vmcnt(44) lgkmcnt(8)
	v_mul_f64 v[56:57], v[18:19], v[8:9]
	v_mul_f64 v[6:7], v[20:21], v[8:9]
	v_fmac_f64_e32 v[56:57], v[20:21], v[4:5]
	v_add_f64 v[2:3], v[2:3], 0
	v_fma_f64 v[4:5], v[18:19], v[4:5], -v[6:7]
	v_add_f64 v[2:3], v[2:3], v[4:5]
	s_waitcnt vmcnt(42) lgkmcnt(7)
	v_mul_f64 v[4:5], v[24:25], v[10:11]
	v_mul_f64 v[58:59], v[22:23], v[10:11]
	v_add_f64 v[54:55], v[54:55], 0
	s_waitcnt vmcnt(36) lgkmcnt(6)
	v_mul_f64 v[60:61], v[26:27], v[66:67]
	v_add_f64 v[54:55], v[54:55], v[56:57]
	s_waitcnt lgkmcnt(5)
	v_mul_f64 v[104:105], v[30:31], v[62:63]
	v_fmac_f64_e32 v[104:105], v[32:33], v[64:65]
	s_waitcnt vmcnt(34) lgkmcnt(3)
	v_mul_f64 v[108:109], v[38:39], v[68:69]
	s_waitcnt vmcnt(30)
	v_mul_f64 v[106:107], v[34:35], v[72:73]
	v_fmac_f64_e32 v[108:109], v[40:41], v[70:71]
	s_waitcnt vmcnt(26) lgkmcnt(2)
	v_mul_f64 v[110:111], v[42:43], v[78:79]
	s_waitcnt vmcnt(25) lgkmcnt(1)
	v_mul_f64 v[112:113], v[46:47], v[74:75]
	s_waitcnt vmcnt(23)
	v_fma_f64 v[4:5], v[22:23], v[80:81], -v[4:5]
	v_add_f64 v[2:3], v[2:3], v[4:5]
	v_mul_f64 v[4:5], v[28:29], v[66:67]
	s_waitcnt vmcnt(21)
	v_fma_f64 v[4:5], v[26:27], v[82:83], -v[4:5]
	v_fmac_f64_e32 v[58:59], v[24:25], v[80:81]
	v_add_f64 v[2:3], v[2:3], v[4:5]
	v_mul_f64 v[4:5], v[32:33], v[62:63]
	v_fmac_f64_e32 v[60:61], v[28:29], v[82:83]
	v_add_f64 v[54:55], v[54:55], v[58:59]
	v_fma_f64 v[4:5], v[30:31], v[64:65], -v[4:5]
	v_add_f64 v[54:55], v[54:55], v[60:61]
	v_add_f64 v[2:3], v[2:3], v[4:5]
	v_mul_f64 v[4:5], v[36:37], v[72:73]
	s_waitcnt vmcnt(19)
	v_fmac_f64_e32 v[106:107], v[36:37], v[84:85]
	v_add_f64 v[54:55], v[54:55], v[104:105]
	v_fma_f64 v[4:5], v[34:35], v[84:85], -v[4:5]
	v_add_f64 v[54:55], v[54:55], v[106:107]
	v_add_f64 v[2:3], v[2:3], v[4:5]
	v_mul_f64 v[4:5], v[40:41], v[68:69]
	s_waitcnt vmcnt(17)
	v_fmac_f64_e32 v[110:111], v[44:45], v[86:87]
	v_add_f64 v[54:55], v[54:55], v[108:109]
	v_fma_f64 v[4:5], v[38:39], v[70:71], -v[4:5]
	s_waitcnt vmcnt(16)
	v_fmac_f64_e32 v[112:113], v[48:49], v[76:77]
	v_add_f64 v[54:55], v[54:55], v[110:111]
	v_add_f64 v[2:3], v[2:3], v[4:5]
	v_mul_f64 v[4:5], v[44:45], v[78:79]
	v_add_f64 v[104:105], v[54:55], v[112:113]
	ds_read_b128 v[54:57], v12 offset:1408
	ds_read_b128 v[58:61], v12 offset:1424
	v_fma_f64 v[4:5], v[42:43], v[86:87], -v[4:5]
	v_add_f64 v[2:3], v[2:3], v[4:5]
	v_mul_f64 v[4:5], v[48:49], v[74:75]
	v_fma_f64 v[4:5], v[46:47], v[76:77], -v[4:5]
	v_add_f64 v[2:3], v[2:3], v[4:5]
	s_waitcnt vmcnt(12) lgkmcnt(2)
	v_mul_f64 v[4:5], v[52:53], v[92:93]
	v_mul_f64 v[106:107], v[50:51], v[92:93]
	s_waitcnt vmcnt(10)
	v_fma_f64 v[4:5], v[50:51], v[94:95], -v[4:5]
	v_fmac_f64_e32 v[106:107], v[52:53], v[94:95]
	v_add_f64 v[2:3], v[2:3], v[4:5]
	s_waitcnt vmcnt(8) lgkmcnt(1)
	v_mul_f64 v[4:5], v[56:57], v[88:89]
	v_add_f64 v[12:13], v[104:105], v[106:107]
	v_mul_f64 v[104:105], v[54:55], v[88:89]
	v_fma_f64 v[4:5], v[54:55], v[90:91], -v[4:5]
	v_fmac_f64_e32 v[104:105], v[56:57], v[90:91]
	v_add_f64 v[2:3], v[2:3], v[4:5]
	s_waitcnt vmcnt(6) lgkmcnt(0)
	v_mul_f64 v[4:5], v[60:61], v[96:97]
	v_add_f64 v[12:13], v[12:13], v[104:105]
	v_mul_f64 v[104:105], v[58:59], v[96:97]
	s_waitcnt vmcnt(4)
	v_fma_f64 v[4:5], v[58:59], v[98:99], -v[4:5]
	v_fmac_f64_e32 v[104:105], v[60:61], v[98:99]
	v_add_f64 v[2:3], v[2:3], v[4:5]
	v_add_f64 v[12:13], v[12:13], v[104:105]
	s_waitcnt vmcnt(2)
	v_add_f64 v[2:3], v[100:101], -v[2:3]
	s_waitcnt vmcnt(0)
	v_add_f64 v[4:5], v[102:103], -v[12:13]
	buffer_store_dword v3, off, s[0:3], 0 offset:532
	buffer_store_dword v2, off, s[0:3], 0 offset:528
	buffer_store_dword v5, off, s[0:3], 0 offset:540
	buffer_store_dword v4, off, s[0:3], 0 offset:536
	s_and_saveexec_b64 s[4:5], vcc
	s_cbranch_execz .LBB108_221
; %bb.220:
	v_accvgpr_read_b32 v0, a103
	buffer_load_dword v2, v0, s[0:3], 0 offen
	buffer_load_dword v3, v0, s[0:3], 0 offen offset:4
	buffer_load_dword v4, v0, s[0:3], 0 offen offset:8
	;; [unrolled: 1-line block ×3, first 2 shown]
	v_mov_b32_e32 v0, 0
	v_accvgpr_read_b32 v1, a135
	buffer_store_dword v0, off, s[0:3], 0 offset:512
	buffer_store_dword v0, off, s[0:3], 0 offset:516
	buffer_store_dword v0, off, s[0:3], 0 offset:520
	buffer_store_dword v0, off, s[0:3], 0 offset:524
	s_waitcnt vmcnt(4)
	ds_write_b128 v1, v[2:5]
.LBB108_221:
	s_or_b64 exec, exec, s[4:5]
	s_waitcnt lgkmcnt(0)
	; wave barrier
	s_waitcnt lgkmcnt(0)
	buffer_load_dword v2, off, s[0:3], 0 offset:528
	buffer_load_dword v3, off, s[0:3], 0 offset:532
	;; [unrolled: 1-line block ×56, first 2 shown]
	v_mov_b32_e32 v30, 0
	ds_read_b128 v[18:21], v30 offset:1232
	ds_read_b128 v[22:25], v30 offset:1248
	;; [unrolled: 1-line block ×9, first 2 shown]
	v_cmp_lt_u32_e32 vcc, 30, v255
	s_waitcnt vmcnt(52) lgkmcnt(8)
	v_mul_f64 v[52:53], v[18:19], v[6:7]
	v_fmac_f64_e32 v[52:53], v[20:21], v[2:3]
	v_mul_f64 v[6:7], v[20:21], v[6:7]
	v_add_f64 v[52:53], v[52:53], 0
	s_waitcnt vmcnt(48) lgkmcnt(7)
	v_mul_f64 v[54:55], v[22:23], v[8:9]
	v_fmac_f64_e32 v[54:55], v[24:25], v[4:5]
	s_waitcnt vmcnt(46) lgkmcnt(6)
	v_mul_f64 v[56:57], v[26:27], v[10:11]
	v_fma_f64 v[2:3], v[18:19], v[2:3], -v[6:7]
	v_mul_f64 v[6:7], v[24:25], v[8:9]
	v_add_f64 v[52:53], v[52:53], v[54:55]
	v_add_f64 v[2:3], v[2:3], 0
	v_fma_f64 v[4:5], v[22:23], v[4:5], -v[6:7]
	s_waitcnt vmcnt(40) lgkmcnt(5)
	v_mul_f64 v[58:59], v[32:33], v[16:17]
	s_waitcnt lgkmcnt(4)
	v_mul_f64 v[60:61], v[36:37], v[12:13]
	v_add_f64 v[2:3], v[2:3], v[4:5]
	v_mul_f64 v[4:5], v[28:29], v[10:11]
	s_waitcnt vmcnt(36) lgkmcnt(3)
	v_mul_f64 v[62:63], v[40:41], v[76:77]
	v_fmac_f64_e32 v[60:61], v[38:39], v[14:15]
	s_waitcnt vmcnt(35) lgkmcnt(2)
	v_mul_f64 v[64:65], v[44:45], v[72:73]
	s_waitcnt vmcnt(33)
	v_fmac_f64_e32 v[56:57], v[28:29], v[78:79]
	v_add_f64 v[52:53], v[52:53], v[56:57]
	s_waitcnt vmcnt(31)
	v_fmac_f64_e32 v[58:59], v[34:35], v[80:81]
	v_add_f64 v[52:53], v[52:53], v[58:59]
	v_fma_f64 v[4:5], v[26:27], v[78:79], -v[4:5]
	s_waitcnt vmcnt(29)
	v_fmac_f64_e32 v[62:63], v[42:43], v[82:83]
	v_add_f64 v[52:53], v[52:53], v[60:61]
	v_add_f64 v[2:3], v[2:3], v[4:5]
	v_mul_f64 v[4:5], v[34:35], v[16:17]
	s_waitcnt vmcnt(28)
	v_fmac_f64_e32 v[64:65], v[46:47], v[74:75]
	v_add_f64 v[52:53], v[52:53], v[62:63]
	v_fma_f64 v[4:5], v[32:33], v[80:81], -v[4:5]
	v_add_f64 v[56:57], v[52:53], v[64:65]
	ds_read_b128 v[52:55], v30 offset:1360
	s_waitcnt vmcnt(24) lgkmcnt(2)
	v_mul_f64 v[58:59], v[48:49], v[88:89]
	v_add_f64 v[2:3], v[2:3], v[4:5]
	v_mul_f64 v[4:5], v[38:39], v[12:13]
	s_waitcnt vmcnt(22)
	v_fmac_f64_e32 v[58:59], v[50:51], v[90:91]
	v_fma_f64 v[4:5], v[36:37], v[14:15], -v[4:5]
	v_add_f64 v[60:61], v[56:57], v[58:59]
	ds_read_b128 v[56:59], v30 offset:1376
	v_add_f64 v[2:3], v[2:3], v[4:5]
	v_mul_f64 v[4:5], v[42:43], v[76:77]
	v_fma_f64 v[4:5], v[40:41], v[82:83], -v[4:5]
	v_add_f64 v[2:3], v[2:3], v[4:5]
	v_mul_f64 v[4:5], v[46:47], v[72:73]
	s_waitcnt vmcnt(20) lgkmcnt(1)
	v_mul_f64 v[62:63], v[52:53], v[84:85]
	v_fma_f64 v[4:5], v[44:45], v[74:75], -v[4:5]
	v_fmac_f64_e32 v[62:63], v[54:55], v[86:87]
	v_add_f64 v[2:3], v[2:3], v[4:5]
	v_mul_f64 v[4:5], v[50:51], v[88:89]
	v_add_f64 v[64:65], v[60:61], v[62:63]
	ds_read_b128 v[60:63], v30 offset:1392
	s_waitcnt vmcnt(16) lgkmcnt(1)
	v_mul_f64 v[66:67], v[56:57], v[96:97]
	v_fma_f64 v[4:5], v[48:49], v[90:91], -v[4:5]
	s_waitcnt vmcnt(14)
	v_fmac_f64_e32 v[66:67], v[58:59], v[98:99]
	v_add_f64 v[2:3], v[2:3], v[4:5]
	v_mul_f64 v[4:5], v[54:55], v[84:85]
	v_add_f64 v[112:113], v[64:65], v[66:67]
	ds_read_b128 v[64:67], v30 offset:1408
	v_fma_f64 v[4:5], v[52:53], v[86:87], -v[4:5]
	v_add_f64 v[2:3], v[2:3], v[4:5]
	v_mul_f64 v[4:5], v[58:59], v[96:97]
	v_fma_f64 v[4:5], v[56:57], v[98:99], -v[4:5]
	v_add_f64 v[2:3], v[2:3], v[4:5]
	s_waitcnt vmcnt(12) lgkmcnt(1)
	v_mul_f64 v[4:5], v[62:63], v[92:93]
	v_mul_f64 v[114:115], v[60:61], v[92:93]
	v_fma_f64 v[4:5], v[60:61], v[94:95], -v[4:5]
	v_fmac_f64_e32 v[114:115], v[62:63], v[94:95]
	v_add_f64 v[2:3], v[2:3], v[4:5]
	s_waitcnt vmcnt(8) lgkmcnt(0)
	v_mul_f64 v[4:5], v[66:67], v[104:105]
	v_add_f64 v[112:113], v[112:113], v[114:115]
	v_mul_f64 v[114:115], v[64:65], v[104:105]
	s_waitcnt vmcnt(6)
	v_fma_f64 v[4:5], v[64:65], v[106:107], -v[4:5]
	v_fmac_f64_e32 v[114:115], v[66:67], v[106:107]
	v_add_f64 v[2:3], v[2:3], v[4:5]
	s_waitcnt vmcnt(5)
	v_mul_f64 v[4:5], v[70:71], v[100:101]
	v_add_f64 v[112:113], v[112:113], v[114:115]
	v_mul_f64 v[114:115], v[68:69], v[100:101]
	s_waitcnt vmcnt(4)
	v_fma_f64 v[4:5], v[68:69], v[102:103], -v[4:5]
	v_fmac_f64_e32 v[114:115], v[70:71], v[102:103]
	v_add_f64 v[2:3], v[2:3], v[4:5]
	v_add_f64 v[112:113], v[112:113], v[114:115]
	s_waitcnt vmcnt(2)
	v_add_f64 v[2:3], v[108:109], -v[2:3]
	s_waitcnt vmcnt(0)
	v_add_f64 v[4:5], v[110:111], -v[112:113]
	buffer_store_dword v3, off, s[0:3], 0 offset:516
	buffer_store_dword v2, off, s[0:3], 0 offset:512
	;; [unrolled: 1-line block ×4, first 2 shown]
	s_and_saveexec_b64 s[4:5], vcc
	s_cbranch_execz .LBB108_223
; %bb.222:
	v_accvgpr_read_b32 v0, a104
	buffer_load_dword v2, v0, s[0:3], 0 offen
	buffer_load_dword v3, v0, s[0:3], 0 offen offset:4
	buffer_load_dword v4, v0, s[0:3], 0 offen offset:8
	;; [unrolled: 1-line block ×3, first 2 shown]
	v_accvgpr_read_b32 v0, a135
	buffer_store_dword v30, off, s[0:3], 0 offset:496
	buffer_store_dword v30, off, s[0:3], 0 offset:500
	;; [unrolled: 1-line block ×4, first 2 shown]
	s_waitcnt vmcnt(4)
	ds_write_b128 v0, v[2:5]
.LBB108_223:
	s_or_b64 exec, exec, s[4:5]
	s_waitcnt lgkmcnt(0)
	; wave barrier
	s_waitcnt lgkmcnt(0)
	buffer_load_dword v2, off, s[0:3], 0 offset:512
	buffer_load_dword v3, off, s[0:3], 0 offset:516
	;; [unrolled: 1-line block ×60, first 2 shown]
	ds_read_b128 v[32:35], v30 offset:1216
	ds_read_b128 v[36:39], v30 offset:1232
	;; [unrolled: 1-line block ×8, first 2 shown]
	v_cmp_lt_u32_e32 vcc, 29, v255
	ds_read_b128 v[84:87], v30 offset:1424
	s_waitcnt vmcnt(56) lgkmcnt(8)
	v_mul_f64 v[64:65], v[32:33], v[6:7]
	v_fmac_f64_e32 v[64:65], v[34:35], v[2:3]
	v_add_f64 v[64:65], v[64:65], 0
	v_mul_f64 v[6:7], v[34:35], v[6:7]
	s_waitcnt vmcnt(52) lgkmcnt(7)
	v_mul_f64 v[66:67], v[36:37], v[8:9]
	v_fmac_f64_e32 v[66:67], v[38:39], v[4:5]
	s_waitcnt vmcnt(50) lgkmcnt(6)
	v_mul_f64 v[68:69], v[40:41], v[10:11]
	v_add_f64 v[64:65], v[64:65], v[66:67]
	s_waitcnt vmcnt(48) lgkmcnt(4)
	v_mul_f64 v[72:73], v[48:49], v[12:13]
	v_fma_f64 v[2:3], v[32:33], v[2:3], -v[6:7]
	s_waitcnt vmcnt(46)
	v_fmac_f64_e32 v[72:73], v[50:51], v[14:15]
	v_mul_f64 v[6:7], v[38:39], v[8:9]
	s_waitcnt vmcnt(44)
	v_mul_f64 v[70:71], v[44:45], v[16:17]
	v_add_f64 v[2:3], v[2:3], 0
	v_fma_f64 v[4:5], v[36:37], v[4:5], -v[6:7]
	v_add_f64 v[2:3], v[2:3], v[4:5]
	s_waitcnt vmcnt(40) lgkmcnt(3)
	v_mul_f64 v[74:75], v[52:53], v[22:23]
	v_mul_f64 v[4:5], v[42:43], v[10:11]
	s_waitcnt vmcnt(38)
	v_fmac_f64_e32 v[68:69], v[42:43], v[28:29]
	v_add_f64 v[64:65], v[64:65], v[68:69]
	s_waitcnt vmcnt(36)
	v_fmac_f64_e32 v[70:71], v[46:47], v[26:27]
	v_add_f64 v[64:65], v[64:65], v[70:71]
	;; [unrolled: 3-line block ×3, first 2 shown]
	s_waitcnt vmcnt(33) lgkmcnt(2)
	v_mul_f64 v[66:67], v[56:57], v[18:19]
	v_add_f64 v[64:65], v[64:65], v[74:75]
	s_waitcnt vmcnt(32)
	v_fmac_f64_e32 v[66:67], v[58:59], v[20:21]
	v_add_f64 v[68:69], v[64:65], v[66:67]
	ds_read_b128 v[64:67], v30 offset:1344
	v_fma_f64 v[4:5], v[40:41], v[28:29], -v[4:5]
	v_add_f64 v[2:3], v[2:3], v[4:5]
	v_mul_f64 v[4:5], v[46:47], v[16:17]
	v_fma_f64 v[4:5], v[44:45], v[26:27], -v[4:5]
	s_waitcnt vmcnt(28) lgkmcnt(2)
	v_mul_f64 v[70:71], v[60:61], v[92:93]
	v_add_f64 v[2:3], v[2:3], v[4:5]
	v_mul_f64 v[4:5], v[50:51], v[12:13]
	s_waitcnt vmcnt(26)
	v_fmac_f64_e32 v[70:71], v[62:63], v[94:95]
	v_fma_f64 v[4:5], v[48:49], v[14:15], -v[4:5]
	v_add_f64 v[72:73], v[68:69], v[70:71]
	ds_read_b128 v[68:71], v30 offset:1360
	s_waitcnt vmcnt(25) lgkmcnt(1)
	v_mul_f64 v[74:75], v[64:65], v[88:89]
	v_add_f64 v[2:3], v[2:3], v[4:5]
	v_mul_f64 v[4:5], v[54:55], v[22:23]
	s_waitcnt vmcnt(24)
	v_fmac_f64_e32 v[74:75], v[66:67], v[90:91]
	v_fma_f64 v[4:5], v[52:53], v[24:25], -v[4:5]
	v_add_f64 v[76:77], v[72:73], v[74:75]
	ds_read_b128 v[72:75], v30 offset:1376
	v_add_f64 v[2:3], v[2:3], v[4:5]
	v_mul_f64 v[4:5], v[58:59], v[18:19]
	v_fma_f64 v[4:5], v[56:57], v[20:21], -v[4:5]
	v_add_f64 v[2:3], v[2:3], v[4:5]
	v_mul_f64 v[4:5], v[62:63], v[92:93]
	s_waitcnt vmcnt(20) lgkmcnt(1)
	v_mul_f64 v[78:79], v[68:69], v[100:101]
	v_fma_f64 v[4:5], v[60:61], v[94:95], -v[4:5]
	s_waitcnt vmcnt(18)
	v_fmac_f64_e32 v[78:79], v[70:71], v[102:103]
	v_add_f64 v[2:3], v[2:3], v[4:5]
	v_mul_f64 v[4:5], v[66:67], v[88:89]
	v_add_f64 v[80:81], v[76:77], v[78:79]
	ds_read_b128 v[76:79], v30 offset:1392
	s_waitcnt vmcnt(17) lgkmcnt(1)
	v_mul_f64 v[82:83], v[72:73], v[96:97]
	v_fma_f64 v[4:5], v[64:65], v[90:91], -v[4:5]
	s_waitcnt vmcnt(16)
	v_fmac_f64_e32 v[82:83], v[74:75], v[98:99]
	v_add_f64 v[2:3], v[2:3], v[4:5]
	v_mul_f64 v[4:5], v[70:71], v[100:101]
	v_add_f64 v[120:121], v[80:81], v[82:83]
	ds_read_b128 v[80:83], v30 offset:1408
	v_fma_f64 v[4:5], v[68:69], v[102:103], -v[4:5]
	v_add_f64 v[2:3], v[2:3], v[4:5]
	v_mul_f64 v[4:5], v[74:75], v[96:97]
	v_fma_f64 v[4:5], v[72:73], v[98:99], -v[4:5]
	v_add_f64 v[2:3], v[2:3], v[4:5]
	s_waitcnt vmcnt(12) lgkmcnt(1)
	v_mul_f64 v[4:5], v[78:79], v[108:109]
	v_mul_f64 v[122:123], v[76:77], v[108:109]
	s_waitcnt vmcnt(10)
	v_fma_f64 v[4:5], v[76:77], v[110:111], -v[4:5]
	v_fmac_f64_e32 v[122:123], v[78:79], v[110:111]
	v_add_f64 v[2:3], v[2:3], v[4:5]
	s_waitcnt vmcnt(9) lgkmcnt(0)
	v_mul_f64 v[4:5], v[82:83], v[104:105]
	v_add_f64 v[30:31], v[120:121], v[122:123]
	v_mul_f64 v[120:121], v[80:81], v[104:105]
	s_waitcnt vmcnt(8)
	v_fma_f64 v[4:5], v[80:81], v[106:107], -v[4:5]
	v_fmac_f64_e32 v[120:121], v[82:83], v[106:107]
	v_add_f64 v[2:3], v[2:3], v[4:5]
	s_waitcnt vmcnt(6)
	v_mul_f64 v[4:5], v[86:87], v[112:113]
	v_add_f64 v[30:31], v[30:31], v[120:121]
	v_mul_f64 v[120:121], v[84:85], v[112:113]
	s_waitcnt vmcnt(4)
	v_fma_f64 v[4:5], v[84:85], v[114:115], -v[4:5]
	v_fmac_f64_e32 v[120:121], v[86:87], v[114:115]
	v_add_f64 v[2:3], v[2:3], v[4:5]
	v_add_f64 v[30:31], v[30:31], v[120:121]
	s_waitcnt vmcnt(2)
	v_add_f64 v[2:3], v[116:117], -v[2:3]
	s_waitcnt vmcnt(0)
	v_add_f64 v[4:5], v[118:119], -v[30:31]
	buffer_store_dword v3, off, s[0:3], 0 offset:500
	buffer_store_dword v2, off, s[0:3], 0 offset:496
	buffer_store_dword v5, off, s[0:3], 0 offset:508
	buffer_store_dword v4, off, s[0:3], 0 offset:504
	s_and_saveexec_b64 s[4:5], vcc
	s_cbranch_execz .LBB108_225
; %bb.224:
	v_accvgpr_read_b32 v0, a105
	buffer_load_dword v2, v0, s[0:3], 0 offen
	buffer_load_dword v3, v0, s[0:3], 0 offen offset:4
	buffer_load_dword v4, v0, s[0:3], 0 offen offset:8
	;; [unrolled: 1-line block ×3, first 2 shown]
	v_mov_b32_e32 v0, 0
	v_accvgpr_read_b32 v1, a135
	buffer_store_dword v0, off, s[0:3], 0 offset:480
	buffer_store_dword v0, off, s[0:3], 0 offset:484
	;; [unrolled: 1-line block ×4, first 2 shown]
	s_waitcnt vmcnt(4)
	ds_write_b128 v1, v[2:5]
.LBB108_225:
	s_or_b64 exec, exec, s[4:5]
	s_waitcnt lgkmcnt(0)
	; wave barrier
	s_waitcnt lgkmcnt(0)
	buffer_load_dword v2, off, s[0:3], 0 offset:496
	buffer_load_dword v3, off, s[0:3], 0 offset:500
	;; [unrolled: 1-line block ×64, first 2 shown]
	v_mov_b32_e32 v46, 0
	ds_read_b128 v[38:41], v46 offset:1200
	ds_read_b128 v[42:45], v46 offset:1216
	;; [unrolled: 1-line block ×7, first 2 shown]
	v_cmp_lt_u32_e32 vcc, 28, v255
	s_waitcnt vmcnt(60) lgkmcnt(6)
	v_mul_f64 v[64:65], v[38:39], v[4:5]
	v_fmac_f64_e32 v[64:65], v[40:41], v[2:3]
	s_waitcnt vmcnt(58) lgkmcnt(5)
	v_mul_f64 v[66:67], v[42:43], v[6:7]
	v_add_f64 v[64:65], v[64:65], 0
	s_waitcnt vmcnt(56) lgkmcnt(4)
	v_mul_f64 v[68:69], v[48:49], v[8:9]
	v_mul_f64 v[4:5], v[40:41], v[4:5]
	s_waitcnt vmcnt(54) lgkmcnt(2)
	v_mul_f64 v[72:73], v[56:57], v[10:11]
	v_fma_f64 v[2:3], v[38:39], v[2:3], -v[4:5]
	v_mul_f64 v[4:5], v[44:45], v[6:7]
	s_waitcnt vmcnt(51)
	v_mul_f64 v[70:71], v[52:53], v[14:15]
	v_add_f64 v[2:3], v[2:3], 0
	s_waitcnt vmcnt(49)
	v_fmac_f64_e32 v[66:67], v[44:45], v[20:21]
	v_add_f64 v[64:65], v[64:65], v[66:67]
	s_waitcnt vmcnt(47)
	v_fmac_f64_e32 v[68:69], v[50:51], v[18:19]
	;; [unrolled: 3-line block ×4, first 2 shown]
	v_add_f64 v[68:69], v[64:65], v[72:73]
	ds_read_b128 v[64:67], v46 offset:1296
	s_waitcnt vmcnt(40) lgkmcnt(2)
	v_mul_f64 v[70:71], v[60:61], v[26:27]
	v_fma_f64 v[4:5], v[42:43], v[20:21], -v[4:5]
	s_waitcnt vmcnt(38)
	v_fmac_f64_e32 v[70:71], v[62:63], v[28:29]
	v_add_f64 v[72:73], v[68:69], v[70:71]
	ds_read_b128 v[68:71], v46 offset:1312
	s_waitcnt vmcnt(37) lgkmcnt(1)
	v_mul_f64 v[74:75], v[64:65], v[22:23]
	s_waitcnt vmcnt(36)
	v_fmac_f64_e32 v[74:75], v[66:67], v[24:25]
	v_add_f64 v[2:3], v[2:3], v[4:5]
	v_mul_f64 v[4:5], v[50:51], v[8:9]
	v_add_f64 v[76:77], v[72:73], v[74:75]
	ds_read_b128 v[72:75], v46 offset:1328
	s_waitcnt vmcnt(32) lgkmcnt(1)
	v_mul_f64 v[78:79], v[68:69], v[34:35]
	v_fma_f64 v[4:5], v[48:49], v[18:19], -v[4:5]
	s_waitcnt vmcnt(30)
	v_fmac_f64_e32 v[78:79], v[70:71], v[36:37]
	v_add_f64 v[2:3], v[2:3], v[4:5]
	v_mul_f64 v[4:5], v[54:55], v[14:15]
	v_add_f64 v[80:81], v[76:77], v[78:79]
	ds_read_b128 v[76:79], v46 offset:1344
	v_fma_f64 v[4:5], v[52:53], v[16:17], -v[4:5]
	v_add_f64 v[2:3], v[2:3], v[4:5]
	v_mul_f64 v[4:5], v[58:59], v[10:11]
	v_fma_f64 v[4:5], v[56:57], v[12:13], -v[4:5]
	s_waitcnt vmcnt(29) lgkmcnt(1)
	v_mul_f64 v[82:83], v[72:73], v[30:31]
	v_add_f64 v[2:3], v[2:3], v[4:5]
	v_mul_f64 v[4:5], v[62:63], v[26:27]
	s_waitcnt vmcnt(28)
	v_fmac_f64_e32 v[82:83], v[74:75], v[32:33]
	v_fma_f64 v[4:5], v[60:61], v[28:29], -v[4:5]
	v_add_f64 v[84:85], v[80:81], v[82:83]
	ds_read_b128 v[80:83], v46 offset:1360
	s_waitcnt vmcnt(24) lgkmcnt(1)
	v_mul_f64 v[86:87], v[76:77], v[104:105]
	v_add_f64 v[2:3], v[2:3], v[4:5]
	v_mul_f64 v[4:5], v[66:67], v[22:23]
	s_waitcnt vmcnt(22)
	v_fmac_f64_e32 v[86:87], v[78:79], v[106:107]
	v_fma_f64 v[4:5], v[64:65], v[24:25], -v[4:5]
	v_add_f64 v[88:89], v[84:85], v[86:87]
	ds_read_b128 v[84:87], v46 offset:1376
	v_add_f64 v[2:3], v[2:3], v[4:5]
	v_mul_f64 v[4:5], v[70:71], v[34:35]
	v_fma_f64 v[4:5], v[68:69], v[36:37], -v[4:5]
	v_add_f64 v[2:3], v[2:3], v[4:5]
	v_mul_f64 v[4:5], v[74:75], v[30:31]
	s_waitcnt vmcnt(21) lgkmcnt(1)
	v_mul_f64 v[90:91], v[80:81], v[100:101]
	v_fma_f64 v[4:5], v[72:73], v[32:33], -v[4:5]
	s_waitcnt vmcnt(20)
	v_fmac_f64_e32 v[90:91], v[82:83], v[102:103]
	v_add_f64 v[2:3], v[2:3], v[4:5]
	v_mul_f64 v[4:5], v[78:79], v[104:105]
	v_add_f64 v[92:93], v[88:89], v[90:91]
	ds_read_b128 v[88:91], v46 offset:1392
	s_waitcnt vmcnt(16) lgkmcnt(1)
	v_mul_f64 v[94:95], v[84:85], v[112:113]
	v_fma_f64 v[4:5], v[76:77], v[106:107], -v[4:5]
	s_waitcnt vmcnt(14)
	v_fmac_f64_e32 v[94:95], v[86:87], v[114:115]
	v_add_f64 v[2:3], v[2:3], v[4:5]
	v_mul_f64 v[4:5], v[82:83], v[100:101]
	v_add_f64 v[128:129], v[92:93], v[94:95]
	ds_read_b128 v[92:95], v46 offset:1408
	v_fma_f64 v[4:5], v[80:81], v[102:103], -v[4:5]
	v_add_f64 v[2:3], v[2:3], v[4:5]
	v_mul_f64 v[4:5], v[86:87], v[112:113]
	v_fma_f64 v[4:5], v[84:85], v[114:115], -v[4:5]
	v_add_f64 v[2:3], v[2:3], v[4:5]
	s_waitcnt vmcnt(13) lgkmcnt(1)
	v_mul_f64 v[4:5], v[90:91], v[108:109]
	v_mul_f64 v[130:131], v[88:89], v[108:109]
	s_waitcnt vmcnt(12)
	v_fma_f64 v[4:5], v[88:89], v[110:111], -v[4:5]
	v_fmac_f64_e32 v[130:131], v[90:91], v[110:111]
	v_add_f64 v[2:3], v[2:3], v[4:5]
	s_waitcnt vmcnt(8) lgkmcnt(0)
	v_mul_f64 v[4:5], v[94:95], v[120:121]
	v_add_f64 v[128:129], v[128:129], v[130:131]
	v_mul_f64 v[130:131], v[92:93], v[120:121]
	s_waitcnt vmcnt(6)
	v_fma_f64 v[4:5], v[92:93], v[122:123], -v[4:5]
	v_fmac_f64_e32 v[130:131], v[94:95], v[122:123]
	v_add_f64 v[2:3], v[2:3], v[4:5]
	s_waitcnt vmcnt(5)
	v_mul_f64 v[4:5], v[98:99], v[116:117]
	v_add_f64 v[128:129], v[128:129], v[130:131]
	v_mul_f64 v[130:131], v[96:97], v[116:117]
	s_waitcnt vmcnt(4)
	v_fma_f64 v[4:5], v[96:97], v[118:119], -v[4:5]
	v_fmac_f64_e32 v[130:131], v[98:99], v[118:119]
	v_add_f64 v[2:3], v[2:3], v[4:5]
	v_add_f64 v[128:129], v[128:129], v[130:131]
	s_waitcnt vmcnt(2)
	v_add_f64 v[2:3], v[124:125], -v[2:3]
	s_waitcnt vmcnt(0)
	v_add_f64 v[4:5], v[126:127], -v[128:129]
	buffer_store_dword v3, off, s[0:3], 0 offset:484
	buffer_store_dword v2, off, s[0:3], 0 offset:480
	;; [unrolled: 1-line block ×4, first 2 shown]
	s_and_saveexec_b64 s[4:5], vcc
	s_cbranch_execz .LBB108_227
; %bb.226:
	v_accvgpr_read_b32 v0, a106
	buffer_load_dword v2, v0, s[0:3], 0 offen
	buffer_load_dword v3, v0, s[0:3], 0 offen offset:4
	buffer_load_dword v4, v0, s[0:3], 0 offen offset:8
	;; [unrolled: 1-line block ×3, first 2 shown]
	v_accvgpr_read_b32 v0, a135
	buffer_store_dword v46, off, s[0:3], 0 offset:464
	buffer_store_dword v46, off, s[0:3], 0 offset:468
	;; [unrolled: 1-line block ×4, first 2 shown]
	s_waitcnt vmcnt(4)
	ds_write_b128 v0, v[2:5]
.LBB108_227:
	s_or_b64 exec, exec, s[4:5]
	s_waitcnt lgkmcnt(0)
	; wave barrier
	s_waitcnt lgkmcnt(0)
	buffer_load_dword v2, off, s[0:3], 0 offset:480
	buffer_load_dword v3, off, s[0:3], 0 offset:484
	;; [unrolled: 1-line block ×64, first 2 shown]
	ds_read_b128 v[48:51], v46 offset:1184
	ds_read_b128 v[52:55], v46 offset:1200
	;; [unrolled: 1-line block ×4, first 2 shown]
	buffer_load_dword v132, off, s[0:3], 0 offset:464
	buffer_load_dword v133, off, s[0:3], 0 offset:468
	;; [unrolled: 1-line block ×4, first 2 shown]
	v_cmp_lt_u32_e32 vcc, 27, v255
	ds_read_b128 v[108:111], v46 offset:1424
	s_waitcnt vmcnt(62) lgkmcnt(4)
	v_mul_f64 v[64:65], v[48:49], v[4:5]
	v_fmac_f64_e32 v[64:65], v[50:51], v[2:3]
	v_add_f64 v[64:65], v[64:65], 0
	s_waitcnt lgkmcnt(2)
	v_mul_f64 v[68:69], v[56:57], v[6:7]
	v_mul_f64 v[4:5], v[50:51], v[4:5]
	v_fma_f64 v[2:3], v[48:49], v[2:3], -v[4:5]
	s_waitcnt vmcnt(58) lgkmcnt(1)
	v_mul_f64 v[70:71], v[60:61], v[12:13]
	v_add_f64 v[2:3], v[2:3], 0
	s_waitcnt vmcnt(56)
	v_mul_f64 v[66:67], v[52:53], v[18:19]
	v_mul_f64 v[4:5], v[54:55], v[18:19]
	s_waitcnt vmcnt(53)
	v_fmac_f64_e32 v[68:69], v[58:59], v[16:17]
	s_waitcnt vmcnt(52)
	v_fmac_f64_e32 v[66:67], v[54:55], v[20:21]
	v_add_f64 v[72:73], v[64:65], v[66:67]
	ds_read_b128 v[64:67], v46 offset:1248
	v_add_f64 v[68:69], v[72:73], v[68:69]
	s_waitcnt vmcnt(50)
	v_fmac_f64_e32 v[70:71], v[62:63], v[14:15]
	v_add_f64 v[72:73], v[68:69], v[70:71]
	ds_read_b128 v[68:71], v46 offset:1264
	s_waitcnt vmcnt(49) lgkmcnt(1)
	v_mul_f64 v[74:75], v[64:65], v[8:9]
	s_waitcnt vmcnt(48)
	v_fmac_f64_e32 v[74:75], v[66:67], v[10:11]
	v_add_f64 v[76:77], v[72:73], v[74:75]
	ds_read_b128 v[72:75], v46 offset:1280
	s_waitcnt vmcnt(44) lgkmcnt(1)
	v_mul_f64 v[78:79], v[68:69], v[26:27]
	;; [unrolled: 6-line block ×3, first 2 shown]
	s_waitcnt vmcnt(40)
	v_fmac_f64_e32 v[82:83], v[74:75], v[24:25]
	v_add_f64 v[84:85], v[80:81], v[82:83]
	ds_read_b128 v[80:83], v46 offset:1312
	v_fma_f64 v[4:5], v[52:53], v[20:21], -v[4:5]
	v_add_f64 v[2:3], v[2:3], v[4:5]
	v_mul_f64 v[4:5], v[58:59], v[6:7]
	s_waitcnt vmcnt(36) lgkmcnt(1)
	v_mul_f64 v[86:87], v[76:77], v[34:35]
	v_fma_f64 v[4:5], v[56:57], v[16:17], -v[4:5]
	s_waitcnt vmcnt(34)
	v_fmac_f64_e32 v[86:87], v[78:79], v[36:37]
	v_add_f64 v[2:3], v[2:3], v[4:5]
	v_mul_f64 v[4:5], v[62:63], v[12:13]
	v_add_f64 v[88:89], v[84:85], v[86:87]
	ds_read_b128 v[84:87], v46 offset:1328
	s_waitcnt vmcnt(33) lgkmcnt(1)
	v_mul_f64 v[90:91], v[80:81], v[30:31]
	v_fma_f64 v[4:5], v[60:61], v[14:15], -v[4:5]
	s_waitcnt vmcnt(32)
	v_fmac_f64_e32 v[90:91], v[82:83], v[32:33]
	v_add_f64 v[2:3], v[2:3], v[4:5]
	v_mul_f64 v[4:5], v[66:67], v[8:9]
	v_add_f64 v[92:93], v[88:89], v[90:91]
	ds_read_b128 v[88:91], v46 offset:1344
	v_fma_f64 v[4:5], v[64:65], v[10:11], -v[4:5]
	v_add_f64 v[2:3], v[2:3], v[4:5]
	v_mul_f64 v[4:5], v[70:71], v[26:27]
	v_fma_f64 v[4:5], v[68:69], v[28:29], -v[4:5]
	s_waitcnt vmcnt(28) lgkmcnt(1)
	v_mul_f64 v[94:95], v[84:85], v[42:43]
	v_add_f64 v[2:3], v[2:3], v[4:5]
	v_mul_f64 v[4:5], v[74:75], v[22:23]
	s_waitcnt vmcnt(26)
	v_fmac_f64_e32 v[94:95], v[86:87], v[44:45]
	v_fma_f64 v[4:5], v[72:73], v[24:25], -v[4:5]
	v_add_f64 v[96:97], v[92:93], v[94:95]
	ds_read_b128 v[92:95], v46 offset:1360
	s_waitcnt vmcnt(25) lgkmcnt(1)
	v_mul_f64 v[98:99], v[88:89], v[38:39]
	v_add_f64 v[2:3], v[2:3], v[4:5]
	v_mul_f64 v[4:5], v[78:79], v[34:35]
	s_waitcnt vmcnt(24)
	v_fmac_f64_e32 v[98:99], v[90:91], v[40:41]
	v_fma_f64 v[4:5], v[76:77], v[36:37], -v[4:5]
	v_add_f64 v[100:101], v[96:97], v[98:99]
	ds_read_b128 v[96:99], v46 offset:1376
	v_add_f64 v[2:3], v[2:3], v[4:5]
	v_mul_f64 v[4:5], v[82:83], v[30:31]
	v_fma_f64 v[4:5], v[80:81], v[32:33], -v[4:5]
	v_add_f64 v[2:3], v[2:3], v[4:5]
	v_mul_f64 v[4:5], v[86:87], v[42:43]
	s_waitcnt vmcnt(20) lgkmcnt(1)
	v_mul_f64 v[102:103], v[92:93], v[116:117]
	v_fma_f64 v[4:5], v[84:85], v[44:45], -v[4:5]
	s_waitcnt vmcnt(18)
	v_fmac_f64_e32 v[102:103], v[94:95], v[118:119]
	v_add_f64 v[2:3], v[2:3], v[4:5]
	v_mul_f64 v[4:5], v[90:91], v[38:39]
	v_add_f64 v[104:105], v[100:101], v[102:103]
	ds_read_b128 v[100:103], v46 offset:1392
	s_waitcnt vmcnt(17) lgkmcnt(1)
	v_mul_f64 v[106:107], v[96:97], v[112:113]
	v_fma_f64 v[4:5], v[88:89], v[40:41], -v[4:5]
	s_waitcnt vmcnt(16)
	v_fmac_f64_e32 v[106:107], v[98:99], v[114:115]
	v_add_f64 v[2:3], v[2:3], v[4:5]
	v_mul_f64 v[4:5], v[94:95], v[116:117]
	v_add_f64 v[136:137], v[104:105], v[106:107]
	ds_read_b128 v[104:107], v46 offset:1408
	v_fma_f64 v[4:5], v[92:93], v[118:119], -v[4:5]
	v_add_f64 v[2:3], v[2:3], v[4:5]
	v_mul_f64 v[4:5], v[98:99], v[112:113]
	v_fma_f64 v[4:5], v[96:97], v[114:115], -v[4:5]
	v_add_f64 v[2:3], v[2:3], v[4:5]
	s_waitcnt vmcnt(12) lgkmcnt(1)
	v_mul_f64 v[4:5], v[102:103], v[124:125]
	v_mul_f64 v[138:139], v[100:101], v[124:125]
	s_waitcnt vmcnt(10)
	v_fma_f64 v[4:5], v[100:101], v[126:127], -v[4:5]
	v_fmac_f64_e32 v[138:139], v[102:103], v[126:127]
	v_add_f64 v[2:3], v[2:3], v[4:5]
	s_waitcnt vmcnt(9) lgkmcnt(0)
	v_mul_f64 v[4:5], v[106:107], v[120:121]
	v_add_f64 v[46:47], v[136:137], v[138:139]
	v_mul_f64 v[136:137], v[104:105], v[120:121]
	s_waitcnt vmcnt(8)
	v_fma_f64 v[4:5], v[104:105], v[122:123], -v[4:5]
	v_fmac_f64_e32 v[136:137], v[106:107], v[122:123]
	v_add_f64 v[2:3], v[2:3], v[4:5]
	s_waitcnt vmcnt(6)
	v_mul_f64 v[4:5], v[110:111], v[128:129]
	v_add_f64 v[46:47], v[46:47], v[136:137]
	v_mul_f64 v[136:137], v[108:109], v[128:129]
	s_waitcnt vmcnt(4)
	v_fma_f64 v[4:5], v[108:109], v[130:131], -v[4:5]
	v_fmac_f64_e32 v[136:137], v[110:111], v[130:131]
	v_add_f64 v[2:3], v[2:3], v[4:5]
	v_add_f64 v[46:47], v[46:47], v[136:137]
	s_waitcnt vmcnt(2)
	v_add_f64 v[2:3], v[132:133], -v[2:3]
	s_waitcnt vmcnt(0)
	v_add_f64 v[4:5], v[134:135], -v[46:47]
	buffer_store_dword v3, off, s[0:3], 0 offset:468
	buffer_store_dword v2, off, s[0:3], 0 offset:464
	;; [unrolled: 1-line block ×4, first 2 shown]
	s_and_saveexec_b64 s[4:5], vcc
	s_cbranch_execz .LBB108_229
; %bb.228:
	v_accvgpr_read_b32 v0, a107
	buffer_load_dword v2, v0, s[0:3], 0 offen
	buffer_load_dword v3, v0, s[0:3], 0 offen offset:4
	buffer_load_dword v4, v0, s[0:3], 0 offen offset:8
	;; [unrolled: 1-line block ×3, first 2 shown]
	v_mov_b32_e32 v0, 0
	v_accvgpr_read_b32 v1, a135
	buffer_store_dword v0, off, s[0:3], 0 offset:448
	buffer_store_dword v0, off, s[0:3], 0 offset:452
	;; [unrolled: 1-line block ×4, first 2 shown]
	s_waitcnt vmcnt(4)
	ds_write_b128 v1, v[2:5]
.LBB108_229:
	s_or_b64 exec, exec, s[4:5]
	s_waitcnt lgkmcnt(0)
	; wave barrier
	s_waitcnt lgkmcnt(0)
	buffer_load_dword v2, off, s[0:3], 0 offset:464
	buffer_load_dword v3, off, s[0:3], 0 offset:468
	;; [unrolled: 1-line block ×68, first 2 shown]
	v_mov_b32_e32 v52, 0
	buffer_load_dword v140, off, s[0:3], 0 offset:448
	buffer_load_dword v141, off, s[0:3], 0 offset:452
	;; [unrolled: 1-line block ×3, first 2 shown]
	ds_read_b128 v[46:49], v52 offset:1168
	ds_read_b128 v[54:57], v52 offset:1184
	buffer_load_dword v143, off, s[0:3], 0 offset:460
	ds_read_b128 v[58:61], v52 offset:1200
	ds_read_b128 v[62:65], v52 offset:1216
	;; [unrolled: 1-line block ×3, first 2 shown]
	v_cmp_lt_u32_e32 vcc, 26, v255
	s_waitcnt vmcnt(62) lgkmcnt(4)
	v_mul_f64 v[66:67], v[46:47], v[6:7]
	v_fmac_f64_e32 v[66:67], v[48:49], v[2:3]
	v_add_f64 v[66:67], v[66:67], 0
	v_mul_f64 v[6:7], v[48:49], v[6:7]
	s_waitcnt lgkmcnt(3)
	v_mul_f64 v[68:69], v[54:55], v[10:11]
	v_fmac_f64_e32 v[68:69], v[56:57], v[4:5]
	v_add_f64 v[66:67], v[66:67], v[68:69]
	v_fma_f64 v[2:3], v[46:47], v[2:3], -v[6:7]
	s_waitcnt vmcnt(60) lgkmcnt(2)
	v_mul_f64 v[68:69], v[58:59], v[12:13]
	v_fmac_f64_e32 v[68:69], v[60:61], v[8:9]
	v_add_f64 v[70:71], v[66:67], v[68:69]
	ds_read_b128 v[66:69], v52 offset:1232
	s_waitcnt vmcnt(56) lgkmcnt(2)
	v_mul_f64 v[72:73], v[62:63], v[18:19]
	v_mul_f64 v[6:7], v[56:57], v[10:11]
	s_waitcnt vmcnt(54)
	v_fmac_f64_e32 v[72:73], v[64:65], v[20:21]
	v_add_f64 v[74:75], v[70:71], v[72:73]
	ds_read_b128 v[70:73], v52 offset:1248
	s_waitcnt vmcnt(53) lgkmcnt(1)
	v_mul_f64 v[76:77], v[66:67], v[14:15]
	s_waitcnt vmcnt(52)
	v_fmac_f64_e32 v[76:77], v[68:69], v[16:17]
	v_add_f64 v[78:79], v[74:75], v[76:77]
	ds_read_b128 v[74:77], v52 offset:1264
	s_waitcnt vmcnt(48) lgkmcnt(1)
	v_mul_f64 v[80:81], v[70:71], v[26:27]
	s_waitcnt vmcnt(46)
	v_fmac_f64_e32 v[80:81], v[72:73], v[28:29]
	v_add_f64 v[82:83], v[78:79], v[80:81]
	ds_read_b128 v[78:81], v52 offset:1280
	s_waitcnt vmcnt(45) lgkmcnt(1)
	v_mul_f64 v[84:85], v[74:75], v[22:23]
	s_waitcnt vmcnt(44)
	v_fmac_f64_e32 v[84:85], v[76:77], v[24:25]
	v_add_f64 v[86:87], v[82:83], v[84:85]
	ds_read_b128 v[82:85], v52 offset:1296
	s_waitcnt vmcnt(40) lgkmcnt(1)
	v_mul_f64 v[88:89], v[78:79], v[34:35]
	s_waitcnt vmcnt(38)
	v_fmac_f64_e32 v[88:89], v[80:81], v[36:37]
	v_add_f64 v[2:3], v[2:3], 0
	v_fma_f64 v[4:5], v[54:55], v[4:5], -v[6:7]
	v_add_f64 v[90:91], v[86:87], v[88:89]
	ds_read_b128 v[86:89], v52 offset:1312
	v_add_f64 v[2:3], v[2:3], v[4:5]
	v_mul_f64 v[4:5], v[60:61], v[12:13]
	v_fma_f64 v[4:5], v[58:59], v[8:9], -v[4:5]
	v_add_f64 v[2:3], v[2:3], v[4:5]
	v_mul_f64 v[4:5], v[64:65], v[18:19]
	s_waitcnt vmcnt(37) lgkmcnt(1)
	v_mul_f64 v[92:93], v[82:83], v[30:31]
	v_fma_f64 v[4:5], v[62:63], v[20:21], -v[4:5]
	s_waitcnt vmcnt(36)
	v_fmac_f64_e32 v[92:93], v[84:85], v[32:33]
	v_add_f64 v[2:3], v[2:3], v[4:5]
	v_mul_f64 v[4:5], v[68:69], v[14:15]
	v_add_f64 v[94:95], v[90:91], v[92:93]
	ds_read_b128 v[90:93], v52 offset:1328
	s_waitcnt vmcnt(32) lgkmcnt(1)
	v_mul_f64 v[96:97], v[86:87], v[42:43]
	v_fma_f64 v[4:5], v[66:67], v[16:17], -v[4:5]
	s_waitcnt vmcnt(30)
	v_fmac_f64_e32 v[96:97], v[88:89], v[44:45]
	v_add_f64 v[2:3], v[2:3], v[4:5]
	v_mul_f64 v[4:5], v[72:73], v[26:27]
	v_add_f64 v[98:99], v[94:95], v[96:97]
	ds_read_b128 v[94:97], v52 offset:1344
	v_fma_f64 v[4:5], v[70:71], v[28:29], -v[4:5]
	v_add_f64 v[2:3], v[2:3], v[4:5]
	v_mul_f64 v[4:5], v[76:77], v[22:23]
	v_fma_f64 v[4:5], v[74:75], v[24:25], -v[4:5]
	s_waitcnt vmcnt(29) lgkmcnt(1)
	v_mul_f64 v[100:101], v[90:91], v[38:39]
	v_add_f64 v[2:3], v[2:3], v[4:5]
	v_mul_f64 v[4:5], v[80:81], v[34:35]
	s_waitcnt vmcnt(28)
	v_fmac_f64_e32 v[100:101], v[92:93], v[40:41]
	v_fma_f64 v[4:5], v[78:79], v[36:37], -v[4:5]
	v_add_f64 v[102:103], v[98:99], v[100:101]
	ds_read_b128 v[98:101], v52 offset:1360
	s_waitcnt vmcnt(24) lgkmcnt(1)
	v_mul_f64 v[104:105], v[94:95], v[120:121]
	v_add_f64 v[2:3], v[2:3], v[4:5]
	v_mul_f64 v[4:5], v[84:85], v[30:31]
	s_waitcnt vmcnt(22)
	v_fmac_f64_e32 v[104:105], v[96:97], v[122:123]
	v_fma_f64 v[4:5], v[82:83], v[32:33], -v[4:5]
	v_add_f64 v[106:107], v[102:103], v[104:105]
	ds_read_b128 v[102:105], v52 offset:1376
	v_add_f64 v[2:3], v[2:3], v[4:5]
	v_mul_f64 v[4:5], v[88:89], v[42:43]
	v_fma_f64 v[4:5], v[86:87], v[44:45], -v[4:5]
	v_add_f64 v[2:3], v[2:3], v[4:5]
	v_mul_f64 v[4:5], v[92:93], v[38:39]
	s_waitcnt vmcnt(21) lgkmcnt(1)
	v_mul_f64 v[108:109], v[98:99], v[50:51]
	v_fma_f64 v[4:5], v[90:91], v[40:41], -v[4:5]
	s_waitcnt vmcnt(20)
	v_fmac_f64_e32 v[108:109], v[100:101], v[118:119]
	v_add_f64 v[2:3], v[2:3], v[4:5]
	v_mul_f64 v[4:5], v[96:97], v[120:121]
	v_add_f64 v[110:111], v[106:107], v[108:109]
	ds_read_b128 v[106:109], v52 offset:1392
	s_waitcnt vmcnt(16) lgkmcnt(1)
	v_mul_f64 v[112:113], v[102:103], v[128:129]
	v_fma_f64 v[4:5], v[94:95], v[122:123], -v[4:5]
	s_waitcnt vmcnt(14)
	v_fmac_f64_e32 v[112:113], v[104:105], v[130:131]
	v_add_f64 v[2:3], v[2:3], v[4:5]
	v_mul_f64 v[4:5], v[100:101], v[50:51]
	v_add_f64 v[144:145], v[110:111], v[112:113]
	ds_read_b128 v[110:113], v52 offset:1408
	v_fma_f64 v[4:5], v[98:99], v[118:119], -v[4:5]
	v_add_f64 v[2:3], v[2:3], v[4:5]
	v_mul_f64 v[4:5], v[104:105], v[128:129]
	v_fma_f64 v[4:5], v[102:103], v[130:131], -v[4:5]
	v_add_f64 v[2:3], v[2:3], v[4:5]
	s_waitcnt vmcnt(13) lgkmcnt(1)
	v_mul_f64 v[4:5], v[108:109], v[124:125]
	v_mul_f64 v[146:147], v[106:107], v[124:125]
	s_waitcnt vmcnt(12)
	v_fma_f64 v[4:5], v[106:107], v[126:127], -v[4:5]
	v_fmac_f64_e32 v[146:147], v[108:109], v[126:127]
	v_add_f64 v[2:3], v[2:3], v[4:5]
	s_waitcnt vmcnt(8) lgkmcnt(0)
	v_mul_f64 v[4:5], v[112:113], v[136:137]
	v_add_f64 v[144:145], v[144:145], v[146:147]
	v_mul_f64 v[146:147], v[110:111], v[136:137]
	s_waitcnt vmcnt(6)
	v_fma_f64 v[4:5], v[110:111], v[138:139], -v[4:5]
	v_fmac_f64_e32 v[146:147], v[112:113], v[138:139]
	v_add_f64 v[2:3], v[2:3], v[4:5]
	s_waitcnt vmcnt(5)
	v_mul_f64 v[4:5], v[116:117], v[132:133]
	v_add_f64 v[144:145], v[144:145], v[146:147]
	v_mul_f64 v[146:147], v[114:115], v[132:133]
	s_waitcnt vmcnt(4)
	v_fma_f64 v[4:5], v[114:115], v[134:135], -v[4:5]
	v_fmac_f64_e32 v[146:147], v[116:117], v[134:135]
	v_add_f64 v[2:3], v[2:3], v[4:5]
	v_add_f64 v[144:145], v[144:145], v[146:147]
	s_waitcnt vmcnt(2)
	v_add_f64 v[2:3], v[140:141], -v[2:3]
	s_waitcnt vmcnt(0)
	v_add_f64 v[4:5], v[142:143], -v[144:145]
	buffer_store_dword v3, off, s[0:3], 0 offset:452
	buffer_store_dword v2, off, s[0:3], 0 offset:448
	buffer_store_dword v5, off, s[0:3], 0 offset:460
	buffer_store_dword v4, off, s[0:3], 0 offset:456
	s_and_saveexec_b64 s[4:5], vcc
	s_cbranch_execz .LBB108_231
; %bb.230:
	v_accvgpr_read_b32 v0, a108
	buffer_load_dword v2, v0, s[0:3], 0 offen
	buffer_load_dword v3, v0, s[0:3], 0 offen offset:4
	buffer_load_dword v4, v0, s[0:3], 0 offen offset:8
	buffer_load_dword v5, v0, s[0:3], 0 offen offset:12
	v_accvgpr_read_b32 v0, a135
	buffer_store_dword v52, off, s[0:3], 0 offset:432
	buffer_store_dword v52, off, s[0:3], 0 offset:436
	buffer_store_dword v52, off, s[0:3], 0 offset:440
	buffer_store_dword v52, off, s[0:3], 0 offset:444
	s_waitcnt vmcnt(4)
	ds_write_b128 v0, v[2:5]
.LBB108_231:
	s_or_b64 exec, exec, s[4:5]
	s_waitcnt lgkmcnt(0)
	; wave barrier
	s_waitcnt lgkmcnt(0)
	buffer_load_dword v2, off, s[0:3], 0 offset:448
	buffer_load_dword v3, off, s[0:3], 0 offset:452
	;; [unrolled: 1-line block ×72, first 2 shown]
	ds_read_b128 v[54:57], v52 offset:1152
	buffer_load_dword v148, off, s[0:3], 0 offset:432
	buffer_load_dword v149, off, s[0:3], 0 offset:436
	;; [unrolled: 1-line block ×4, first 2 shown]
	ds_read_b128 v[58:61], v52 offset:1168
	ds_read_b128 v[62:65], v52 offset:1184
	;; [unrolled: 1-line block ×3, first 2 shown]
	v_cmp_lt_u32_e32 vcc, 25, v255
	ds_read_b128 v[124:127], v52 offset:1424
	s_waitcnt vmcnt(62) lgkmcnt(4)
	v_mul_f64 v[70:71], v[54:55], v[8:9]
	v_fmac_f64_e32 v[70:71], v[56:57], v[2:3]
	v_add_f64 v[70:71], v[70:71], 0
	v_mul_f64 v[8:9], v[56:57], v[8:9]
	s_waitcnt lgkmcnt(3)
	v_mul_f64 v[72:73], v[58:59], v[10:11]
	v_fmac_f64_e32 v[72:73], v[60:61], v[4:5]
	v_add_f64 v[70:71], v[70:71], v[72:73]
	v_fma_f64 v[2:3], v[54:55], v[2:3], -v[8:9]
	s_waitcnt lgkmcnt(2)
	v_mul_f64 v[72:73], v[62:63], v[12:13]
	v_fmac_f64_e32 v[72:73], v[64:65], v[6:7]
	v_add_f64 v[74:75], v[70:71], v[72:73]
	ds_read_b128 v[70:73], v52 offset:1216
	s_waitcnt vmcnt(60) lgkmcnt(2)
	v_mul_f64 v[76:77], v[66:67], v[18:19]
	v_mul_f64 v[8:9], v[60:61], v[10:11]
	s_waitcnt vmcnt(58)
	v_fmac_f64_e32 v[76:77], v[68:69], v[20:21]
	v_add_f64 v[78:79], v[74:75], v[76:77]
	ds_read_b128 v[74:77], v52 offset:1232
	s_waitcnt vmcnt(57) lgkmcnt(1)
	v_mul_f64 v[80:81], v[70:71], v[14:15]
	s_waitcnt vmcnt(56)
	v_fmac_f64_e32 v[80:81], v[72:73], v[16:17]
	v_add_f64 v[82:83], v[78:79], v[80:81]
	ds_read_b128 v[78:81], v52 offset:1248
	s_waitcnt vmcnt(52) lgkmcnt(1)
	;; [unrolled: 6-line block ×4, first 2 shown]
	v_mul_f64 v[92:93], v[82:83], v[34:35]
	s_waitcnt vmcnt(42)
	v_fmac_f64_e32 v[92:93], v[84:85], v[36:37]
	v_add_f64 v[2:3], v[2:3], 0
	v_fma_f64 v[4:5], v[58:59], v[4:5], -v[8:9]
	v_add_f64 v[94:95], v[90:91], v[92:93]
	ds_read_b128 v[90:93], v52 offset:1296
	s_waitcnt vmcnt(41) lgkmcnt(1)
	v_mul_f64 v[96:97], v[86:87], v[30:31]
	v_add_f64 v[2:3], v[2:3], v[4:5]
	v_mul_f64 v[4:5], v[64:65], v[12:13]
	s_waitcnt vmcnt(40)
	v_fmac_f64_e32 v[96:97], v[88:89], v[32:33]
	v_fma_f64 v[4:5], v[62:63], v[6:7], -v[4:5]
	v_add_f64 v[98:99], v[94:95], v[96:97]
	ds_read_b128 v[94:97], v52 offset:1312
	v_add_f64 v[2:3], v[2:3], v[4:5]
	v_mul_f64 v[4:5], v[68:69], v[18:19]
	v_fma_f64 v[4:5], v[66:67], v[20:21], -v[4:5]
	v_add_f64 v[2:3], v[2:3], v[4:5]
	v_mul_f64 v[4:5], v[72:73], v[14:15]
	s_waitcnt vmcnt(36) lgkmcnt(1)
	v_mul_f64 v[100:101], v[90:91], v[42:43]
	v_fma_f64 v[4:5], v[70:71], v[16:17], -v[4:5]
	s_waitcnt vmcnt(34)
	v_fmac_f64_e32 v[100:101], v[92:93], v[44:45]
	v_add_f64 v[2:3], v[2:3], v[4:5]
	v_mul_f64 v[4:5], v[76:77], v[26:27]
	v_add_f64 v[102:103], v[98:99], v[100:101]
	ds_read_b128 v[98:101], v52 offset:1328
	s_waitcnt vmcnt(33) lgkmcnt(1)
	v_mul_f64 v[104:105], v[94:95], v[38:39]
	v_fma_f64 v[4:5], v[74:75], v[28:29], -v[4:5]
	s_waitcnt vmcnt(32)
	v_fmac_f64_e32 v[104:105], v[96:97], v[40:41]
	v_add_f64 v[2:3], v[2:3], v[4:5]
	v_mul_f64 v[4:5], v[80:81], v[22:23]
	v_add_f64 v[106:107], v[102:103], v[104:105]
	ds_read_b128 v[102:105], v52 offset:1344
	v_fma_f64 v[4:5], v[78:79], v[24:25], -v[4:5]
	v_add_f64 v[2:3], v[2:3], v[4:5]
	v_mul_f64 v[4:5], v[84:85], v[34:35]
	v_fma_f64 v[4:5], v[82:83], v[36:37], -v[4:5]
	s_waitcnt vmcnt(28) lgkmcnt(1)
	v_mul_f64 v[108:109], v[98:99], v[50:51]
	v_add_f64 v[2:3], v[2:3], v[4:5]
	v_mul_f64 v[4:5], v[88:89], v[30:31]
	s_waitcnt vmcnt(26)
	v_fmac_f64_e32 v[108:109], v[100:101], v[118:119]
	v_fma_f64 v[4:5], v[86:87], v[32:33], -v[4:5]
	v_add_f64 v[110:111], v[106:107], v[108:109]
	ds_read_b128 v[106:109], v52 offset:1360
	s_waitcnt vmcnt(25) lgkmcnt(1)
	v_mul_f64 v[112:113], v[102:103], v[46:47]
	v_add_f64 v[2:3], v[2:3], v[4:5]
	v_mul_f64 v[4:5], v[92:93], v[42:43]
	s_waitcnt vmcnt(24)
	v_fmac_f64_e32 v[112:113], v[104:105], v[48:49]
	v_fma_f64 v[4:5], v[90:91], v[44:45], -v[4:5]
	v_add_f64 v[114:115], v[110:111], v[112:113]
	ds_read_b128 v[110:113], v52 offset:1376
	v_add_f64 v[2:3], v[2:3], v[4:5]
	v_mul_f64 v[4:5], v[96:97], v[38:39]
	v_fma_f64 v[4:5], v[94:95], v[40:41], -v[4:5]
	v_add_f64 v[2:3], v[2:3], v[4:5]
	v_mul_f64 v[4:5], v[100:101], v[50:51]
	s_waitcnt vmcnt(20) lgkmcnt(1)
	v_mul_f64 v[116:117], v[106:107], v[132:133]
	v_fma_f64 v[4:5], v[98:99], v[118:119], -v[4:5]
	s_waitcnt vmcnt(18)
	v_fmac_f64_e32 v[116:117], v[108:109], v[134:135]
	v_add_f64 v[2:3], v[2:3], v[4:5]
	v_mul_f64 v[4:5], v[104:105], v[46:47]
	v_add_f64 v[120:121], v[114:115], v[116:117]
	ds_read_b128 v[114:117], v52 offset:1392
	s_waitcnt vmcnt(17) lgkmcnt(1)
	v_mul_f64 v[122:123], v[110:111], v[128:129]
	v_fma_f64 v[4:5], v[102:103], v[48:49], -v[4:5]
	s_waitcnt vmcnt(16)
	v_fmac_f64_e32 v[122:123], v[112:113], v[130:131]
	v_add_f64 v[2:3], v[2:3], v[4:5]
	v_mul_f64 v[4:5], v[108:109], v[132:133]
	v_add_f64 v[152:153], v[120:121], v[122:123]
	ds_read_b128 v[120:123], v52 offset:1408
	v_fma_f64 v[4:5], v[106:107], v[134:135], -v[4:5]
	v_add_f64 v[2:3], v[2:3], v[4:5]
	v_mul_f64 v[4:5], v[112:113], v[128:129]
	v_fma_f64 v[4:5], v[110:111], v[130:131], -v[4:5]
	v_add_f64 v[2:3], v[2:3], v[4:5]
	s_waitcnt vmcnt(12) lgkmcnt(1)
	v_mul_f64 v[4:5], v[116:117], v[140:141]
	v_mul_f64 v[154:155], v[114:115], v[140:141]
	s_waitcnt vmcnt(10)
	v_fma_f64 v[4:5], v[114:115], v[142:143], -v[4:5]
	v_fmac_f64_e32 v[154:155], v[116:117], v[142:143]
	v_add_f64 v[2:3], v[2:3], v[4:5]
	s_waitcnt vmcnt(9) lgkmcnt(0)
	v_mul_f64 v[4:5], v[122:123], v[136:137]
	v_add_f64 v[52:53], v[152:153], v[154:155]
	v_mul_f64 v[152:153], v[120:121], v[136:137]
	s_waitcnt vmcnt(8)
	v_fma_f64 v[4:5], v[120:121], v[138:139], -v[4:5]
	v_fmac_f64_e32 v[152:153], v[122:123], v[138:139]
	v_add_f64 v[2:3], v[2:3], v[4:5]
	s_waitcnt vmcnt(6)
	v_mul_f64 v[4:5], v[126:127], v[144:145]
	v_add_f64 v[52:53], v[52:53], v[152:153]
	v_mul_f64 v[152:153], v[124:125], v[144:145]
	s_waitcnt vmcnt(4)
	v_fma_f64 v[4:5], v[124:125], v[146:147], -v[4:5]
	v_fmac_f64_e32 v[152:153], v[126:127], v[146:147]
	v_add_f64 v[2:3], v[2:3], v[4:5]
	v_add_f64 v[52:53], v[52:53], v[152:153]
	s_waitcnt vmcnt(2)
	v_add_f64 v[2:3], v[148:149], -v[2:3]
	s_waitcnt vmcnt(0)
	v_add_f64 v[4:5], v[150:151], -v[52:53]
	buffer_store_dword v3, off, s[0:3], 0 offset:436
	buffer_store_dword v2, off, s[0:3], 0 offset:432
	;; [unrolled: 1-line block ×4, first 2 shown]
	s_and_saveexec_b64 s[4:5], vcc
	s_cbranch_execz .LBB108_233
; %bb.232:
	v_accvgpr_read_b32 v0, a109
	buffer_load_dword v2, v0, s[0:3], 0 offen
	buffer_load_dword v3, v0, s[0:3], 0 offen offset:4
	buffer_load_dword v4, v0, s[0:3], 0 offen offset:8
	;; [unrolled: 1-line block ×3, first 2 shown]
	v_mov_b32_e32 v0, 0
	v_accvgpr_read_b32 v1, a135
	buffer_store_dword v0, off, s[0:3], 0 offset:416
	buffer_store_dword v0, off, s[0:3], 0 offset:420
	;; [unrolled: 1-line block ×4, first 2 shown]
	s_waitcnt vmcnt(4)
	ds_write_b128 v1, v[2:5]
.LBB108_233:
	s_or_b64 exec, exec, s[4:5]
	s_waitcnt lgkmcnt(0)
	; wave barrier
	s_waitcnt lgkmcnt(0)
	buffer_load_dword v2, off, s[0:3], 0 offset:432
	buffer_load_dword v3, off, s[0:3], 0 offset:436
	buffer_load_dword v8, off, s[0:3], 0 offset:440
	buffer_load_dword v9, off, s[0:3], 0 offset:444
	buffer_load_dword v4, off, s[0:3], 0 offset:448
	buffer_load_dword v5, off, s[0:3], 0 offset:452
	buffer_load_dword v10, off, s[0:3], 0 offset:456
	buffer_load_dword v11, off, s[0:3], 0 offset:460
	buffer_load_dword v6, off, s[0:3], 0 offset:464
	buffer_load_dword v7, off, s[0:3], 0 offset:468
	buffer_load_dword v12, off, s[0:3], 0 offset:472
	buffer_load_dword v13, off, s[0:3], 0 offset:476
	buffer_load_dword v15, off, s[0:3], 0 offset:508
	buffer_load_dword v17, off, s[0:3], 0 offset:500
	buffer_load_dword v19, off, s[0:3], 0 offset:492
	buffer_load_dword v18, off, s[0:3], 0 offset:488
	buffer_load_dword v21, off, s[0:3], 0 offset:484
	buffer_load_dword v20, off, s[0:3], 0 offset:480
	buffer_load_dword v14, off, s[0:3], 0 offset:504
	buffer_load_dword v16, off, s[0:3], 0 offset:496
	buffer_load_dword v23, off, s[0:3], 0 offset:540
	buffer_load_dword v25, off, s[0:3], 0 offset:532
	buffer_load_dword v27, off, s[0:3], 0 offset:524
	buffer_load_dword v26, off, s[0:3], 0 offset:520
	buffer_load_dword v29, off, s[0:3], 0 offset:516
	buffer_load_dword v28, off, s[0:3], 0 offset:512
	buffer_load_dword v22, off, s[0:3], 0 offset:536
	buffer_load_dword v24, off, s[0:3], 0 offset:528
	buffer_load_dword v31, off, s[0:3], 0 offset:572
	buffer_load_dword v33, off, s[0:3], 0 offset:564
	buffer_load_dword v35, off, s[0:3], 0 offset:556
	buffer_load_dword v34, off, s[0:3], 0 offset:552
	buffer_load_dword v37, off, s[0:3], 0 offset:548
	buffer_load_dword v36, off, s[0:3], 0 offset:544
	buffer_load_dword v30, off, s[0:3], 0 offset:568
	buffer_load_dword v32, off, s[0:3], 0 offset:560
	buffer_load_dword v39, off, s[0:3], 0 offset:604
	buffer_load_dword v41, off, s[0:3], 0 offset:596
	buffer_load_dword v43, off, s[0:3], 0 offset:588
	buffer_load_dword v42, off, s[0:3], 0 offset:584
	buffer_load_dword v45, off, s[0:3], 0 offset:580
	buffer_load_dword v44, off, s[0:3], 0 offset:576
	buffer_load_dword v38, off, s[0:3], 0 offset:600
	buffer_load_dword v40, off, s[0:3], 0 offset:592
	buffer_load_dword v47, off, s[0:3], 0 offset:636
	buffer_load_dword v49, off, s[0:3], 0 offset:628
	buffer_load_dword v51, off, s[0:3], 0 offset:620
	buffer_load_dword v50, off, s[0:3], 0 offset:616
	buffer_load_dword v53, off, s[0:3], 0 offset:612
	buffer_load_dword v52, off, s[0:3], 0 offset:608
	buffer_load_dword v46, off, s[0:3], 0 offset:632
	buffer_load_dword v48, off, s[0:3], 0 offset:624
	buffer_load_dword v117, off, s[0:3], 0 offset:668
	buffer_load_dword v119, off, s[0:3], 0 offset:660
	buffer_load_dword v137, off, s[0:3], 0 offset:652
	buffer_load_dword v136, off, s[0:3], 0 offset:648
	buffer_load_dword v139, off, s[0:3], 0 offset:644
	buffer_load_dword v138, off, s[0:3], 0 offset:640
	buffer_load_dword v116, off, s[0:3], 0 offset:664
	buffer_load_dword v118, off, s[0:3], 0 offset:656
	buffer_load_dword v141, off, s[0:3], 0 offset:700
	buffer_load_dword v143, off, s[0:3], 0 offset:692
	buffer_load_dword v145, off, s[0:3], 0 offset:684
	buffer_load_dword v144, off, s[0:3], 0 offset:680
	buffer_load_dword v147, off, s[0:3], 0 offset:676
	buffer_load_dword v146, off, s[0:3], 0 offset:672
	buffer_load_dword v140, off, s[0:3], 0 offset:696
	buffer_load_dword v142, off, s[0:3], 0 offset:688
	buffer_load_dword v149, off, s[0:3], 0 offset:732
	buffer_load_dword v151, off, s[0:3], 0 offset:724
	buffer_load_dword v153, off, s[0:3], 0 offset:716
	buffer_load_dword v152, off, s[0:3], 0 offset:712
	buffer_load_dword v155, off, s[0:3], 0 offset:708
	buffer_load_dword v154, off, s[0:3], 0 offset:704
	buffer_load_dword v148, off, s[0:3], 0 offset:728
	buffer_load_dword v150, off, s[0:3], 0 offset:720
	v_mov_b32_e32 v54, 0
	ds_read_b128 v[56:59], v54 offset:1136
	buffer_load_dword v156, off, s[0:3], 0 offset:416
	buffer_load_dword v157, off, s[0:3], 0 offset:420
	;; [unrolled: 1-line block ×4, first 2 shown]
	ds_read_b128 v[60:63], v54 offset:1152
	ds_read_b128 v[64:67], v54 offset:1168
	;; [unrolled: 1-line block ×4, first 2 shown]
	v_cmp_lt_u32_e32 vcc, 24, v255
	s_waitcnt vmcnt(62) lgkmcnt(4)
	v_mul_f64 v[72:73], v[56:57], v[8:9]
	v_fmac_f64_e32 v[72:73], v[58:59], v[2:3]
	v_add_f64 v[72:73], v[72:73], 0
	v_mul_f64 v[8:9], v[58:59], v[8:9]
	s_waitcnt lgkmcnt(3)
	v_mul_f64 v[74:75], v[60:61], v[10:11]
	v_fmac_f64_e32 v[74:75], v[62:63], v[4:5]
	v_add_f64 v[72:73], v[72:73], v[74:75]
	v_fma_f64 v[2:3], v[56:57], v[2:3], -v[8:9]
	s_waitcnt lgkmcnt(2)
	v_mul_f64 v[74:75], v[64:65], v[12:13]
	v_fmac_f64_e32 v[74:75], v[66:67], v[6:7]
	v_add_f64 v[76:77], v[72:73], v[74:75]
	ds_read_b128 v[72:75], v54 offset:1200
	s_waitcnt lgkmcnt(2)
	v_mul_f64 v[78:79], v[68:69], v[18:19]
	v_mul_f64 v[8:9], v[62:63], v[10:11]
	v_fmac_f64_e32 v[78:79], v[70:71], v[20:21]
	v_add_f64 v[80:81], v[76:77], v[78:79]
	ds_read_b128 v[76:79], v54 offset:1216
	s_waitcnt vmcnt(61) lgkmcnt(1)
	v_mul_f64 v[82:83], v[72:73], v[14:15]
	s_waitcnt vmcnt(60)
	v_fmac_f64_e32 v[82:83], v[74:75], v[16:17]
	v_add_f64 v[84:85], v[80:81], v[82:83]
	ds_read_b128 v[80:83], v54 offset:1232
	s_waitcnt vmcnt(56) lgkmcnt(1)
	v_mul_f64 v[86:87], v[76:77], v[26:27]
	s_waitcnt vmcnt(54)
	;; [unrolled: 6-line block ×4, first 2 shown]
	v_fmac_f64_e32 v[94:95], v[86:87], v[36:37]
	v_add_f64 v[96:97], v[92:93], v[94:95]
	ds_read_b128 v[92:95], v54 offset:1280
	v_add_f64 v[2:3], v[2:3], 0
	v_fma_f64 v[4:5], v[60:61], v[4:5], -v[8:9]
	s_waitcnt vmcnt(45) lgkmcnt(1)
	v_mul_f64 v[98:99], v[88:89], v[30:31]
	v_add_f64 v[2:3], v[2:3], v[4:5]
	v_mul_f64 v[4:5], v[66:67], v[12:13]
	s_waitcnt vmcnt(44)
	v_fmac_f64_e32 v[98:99], v[90:91], v[32:33]
	v_fma_f64 v[4:5], v[64:65], v[6:7], -v[4:5]
	v_add_f64 v[100:101], v[96:97], v[98:99]
	ds_read_b128 v[96:99], v54 offset:1296
	s_waitcnt vmcnt(40) lgkmcnt(1)
	v_mul_f64 v[102:103], v[92:93], v[42:43]
	v_add_f64 v[2:3], v[2:3], v[4:5]
	v_mul_f64 v[4:5], v[70:71], v[18:19]
	s_waitcnt vmcnt(38)
	v_fmac_f64_e32 v[102:103], v[94:95], v[44:45]
	v_fma_f64 v[4:5], v[68:69], v[20:21], -v[4:5]
	v_add_f64 v[104:105], v[100:101], v[102:103]
	ds_read_b128 v[100:103], v54 offset:1312
	v_add_f64 v[2:3], v[2:3], v[4:5]
	v_mul_f64 v[4:5], v[74:75], v[14:15]
	v_fma_f64 v[4:5], v[72:73], v[16:17], -v[4:5]
	v_add_f64 v[2:3], v[2:3], v[4:5]
	v_mul_f64 v[4:5], v[78:79], v[26:27]
	s_waitcnt vmcnt(37) lgkmcnt(1)
	v_mul_f64 v[106:107], v[96:97], v[38:39]
	v_fma_f64 v[4:5], v[76:77], v[28:29], -v[4:5]
	s_waitcnt vmcnt(36)
	v_fmac_f64_e32 v[106:107], v[98:99], v[40:41]
	v_add_f64 v[2:3], v[2:3], v[4:5]
	v_mul_f64 v[4:5], v[82:83], v[22:23]
	v_add_f64 v[108:109], v[104:105], v[106:107]
	ds_read_b128 v[104:107], v54 offset:1328
	s_waitcnt vmcnt(32) lgkmcnt(1)
	v_mul_f64 v[110:111], v[100:101], v[50:51]
	v_fma_f64 v[4:5], v[80:81], v[24:25], -v[4:5]
	s_waitcnt vmcnt(30)
	v_fmac_f64_e32 v[110:111], v[102:103], v[52:53]
	v_add_f64 v[2:3], v[2:3], v[4:5]
	v_mul_f64 v[4:5], v[86:87], v[34:35]
	v_add_f64 v[112:113], v[108:109], v[110:111]
	ds_read_b128 v[108:111], v54 offset:1344
	v_fma_f64 v[4:5], v[84:85], v[36:37], -v[4:5]
	v_add_f64 v[2:3], v[2:3], v[4:5]
	v_mul_f64 v[4:5], v[90:91], v[30:31]
	v_fma_f64 v[4:5], v[88:89], v[32:33], -v[4:5]
	s_waitcnt vmcnt(29) lgkmcnt(1)
	v_mul_f64 v[114:115], v[104:105], v[46:47]
	v_add_f64 v[2:3], v[2:3], v[4:5]
	v_mul_f64 v[4:5], v[94:95], v[42:43]
	s_waitcnt vmcnt(28)
	v_fmac_f64_e32 v[114:115], v[106:107], v[48:49]
	v_fma_f64 v[4:5], v[92:93], v[44:45], -v[4:5]
	v_add_f64 v[120:121], v[112:113], v[114:115]
	ds_read_b128 v[112:115], v54 offset:1360
	s_waitcnt vmcnt(24) lgkmcnt(1)
	v_mul_f64 v[122:123], v[108:109], v[136:137]
	v_add_f64 v[2:3], v[2:3], v[4:5]
	v_mul_f64 v[4:5], v[98:99], v[38:39]
	s_waitcnt vmcnt(22)
	v_fmac_f64_e32 v[122:123], v[110:111], v[138:139]
	v_fma_f64 v[4:5], v[96:97], v[40:41], -v[4:5]
	v_add_f64 v[124:125], v[120:121], v[122:123]
	ds_read_b128 v[120:123], v54 offset:1376
	v_add_f64 v[2:3], v[2:3], v[4:5]
	v_mul_f64 v[4:5], v[102:103], v[50:51]
	v_fma_f64 v[4:5], v[100:101], v[52:53], -v[4:5]
	v_add_f64 v[2:3], v[2:3], v[4:5]
	v_mul_f64 v[4:5], v[106:107], v[46:47]
	s_waitcnt vmcnt(21) lgkmcnt(1)
	v_mul_f64 v[126:127], v[112:113], v[116:117]
	v_fma_f64 v[4:5], v[104:105], v[48:49], -v[4:5]
	s_waitcnt vmcnt(20)
	v_fmac_f64_e32 v[126:127], v[114:115], v[118:119]
	v_add_f64 v[2:3], v[2:3], v[4:5]
	v_mul_f64 v[4:5], v[110:111], v[136:137]
	v_add_f64 v[128:129], v[124:125], v[126:127]
	ds_read_b128 v[124:127], v54 offset:1392
	s_waitcnt vmcnt(16) lgkmcnt(1)
	v_mul_f64 v[130:131], v[120:121], v[144:145]
	v_fma_f64 v[4:5], v[108:109], v[138:139], -v[4:5]
	s_waitcnt vmcnt(14)
	v_fmac_f64_e32 v[130:131], v[122:123], v[146:147]
	v_add_f64 v[2:3], v[2:3], v[4:5]
	v_mul_f64 v[4:5], v[114:115], v[116:117]
	v_add_f64 v[160:161], v[128:129], v[130:131]
	ds_read_b128 v[128:131], v54 offset:1408
	v_fma_f64 v[4:5], v[112:113], v[118:119], -v[4:5]
	v_add_f64 v[2:3], v[2:3], v[4:5]
	v_mul_f64 v[4:5], v[122:123], v[144:145]
	v_fma_f64 v[4:5], v[120:121], v[146:147], -v[4:5]
	v_add_f64 v[2:3], v[2:3], v[4:5]
	s_waitcnt vmcnt(13) lgkmcnt(1)
	v_mul_f64 v[4:5], v[126:127], v[140:141]
	v_mul_f64 v[162:163], v[124:125], v[140:141]
	s_waitcnt vmcnt(12)
	v_fma_f64 v[4:5], v[124:125], v[142:143], -v[4:5]
	v_fmac_f64_e32 v[162:163], v[126:127], v[142:143]
	v_add_f64 v[2:3], v[2:3], v[4:5]
	s_waitcnt vmcnt(8) lgkmcnt(0)
	v_mul_f64 v[4:5], v[130:131], v[152:153]
	v_add_f64 v[160:161], v[160:161], v[162:163]
	v_mul_f64 v[162:163], v[128:129], v[152:153]
	s_waitcnt vmcnt(6)
	v_fma_f64 v[4:5], v[128:129], v[154:155], -v[4:5]
	v_fmac_f64_e32 v[162:163], v[130:131], v[154:155]
	v_add_f64 v[2:3], v[2:3], v[4:5]
	s_waitcnt vmcnt(5)
	v_mul_f64 v[4:5], v[134:135], v[148:149]
	v_add_f64 v[160:161], v[160:161], v[162:163]
	v_mul_f64 v[162:163], v[132:133], v[148:149]
	s_waitcnt vmcnt(4)
	v_fma_f64 v[4:5], v[132:133], v[150:151], -v[4:5]
	v_fmac_f64_e32 v[162:163], v[134:135], v[150:151]
	v_add_f64 v[2:3], v[2:3], v[4:5]
	v_add_f64 v[160:161], v[160:161], v[162:163]
	s_waitcnt vmcnt(2)
	v_add_f64 v[2:3], v[156:157], -v[2:3]
	s_waitcnt vmcnt(0)
	v_add_f64 v[4:5], v[158:159], -v[160:161]
	buffer_store_dword v3, off, s[0:3], 0 offset:420
	buffer_store_dword v2, off, s[0:3], 0 offset:416
	;; [unrolled: 1-line block ×4, first 2 shown]
	s_and_saveexec_b64 s[4:5], vcc
	s_cbranch_execz .LBB108_235
; %bb.234:
	v_accvgpr_read_b32 v0, a110
	buffer_load_dword v2, v0, s[0:3], 0 offen
	buffer_load_dword v3, v0, s[0:3], 0 offen offset:4
	buffer_load_dword v4, v0, s[0:3], 0 offen offset:8
	;; [unrolled: 1-line block ×3, first 2 shown]
	v_accvgpr_read_b32 v0, a135
	buffer_store_dword v54, off, s[0:3], 0 offset:400
	buffer_store_dword v54, off, s[0:3], 0 offset:404
	;; [unrolled: 1-line block ×4, first 2 shown]
	s_waitcnt vmcnt(4)
	ds_write_b128 v0, v[2:5]
.LBB108_235:
	s_or_b64 exec, exec, s[4:5]
	s_waitcnt lgkmcnt(0)
	; wave barrier
	s_waitcnt lgkmcnt(0)
	buffer_load_dword v2, off, s[0:3], 0 offset:416
	buffer_load_dword v3, off, s[0:3], 0 offset:420
	;; [unrolled: 1-line block ×76, first 2 shown]
	ds_read_b128 v[56:59], v54 offset:1120
	buffer_load_dword v161, off, s[0:3], 0 offset:732
	buffer_load_dword v160, off, s[0:3], 0 offset:728
	;; [unrolled: 1-line block ×8, first 2 shown]
	ds_read_b128 v[60:63], v54 offset:1136
	ds_read_b128 v[64:67], v54 offset:1152
	;; [unrolled: 1-line block ×3, first 2 shown]
	v_cmp_lt_u32_e32 vcc, 23, v255
	ds_read_b128 v[136:139], v54 offset:1424
	s_waitcnt vmcnt(62) lgkmcnt(4)
	v_mul_f64 v[72:73], v[56:57], v[8:9]
	v_fmac_f64_e32 v[72:73], v[58:59], v[2:3]
	v_add_f64 v[72:73], v[72:73], 0
	v_mul_f64 v[8:9], v[58:59], v[8:9]
	s_waitcnt lgkmcnt(3)
	v_mul_f64 v[74:75], v[60:61], v[10:11]
	v_fmac_f64_e32 v[74:75], v[62:63], v[4:5]
	v_add_f64 v[72:73], v[72:73], v[74:75]
	v_fma_f64 v[2:3], v[56:57], v[2:3], -v[8:9]
	s_waitcnt lgkmcnt(2)
	v_mul_f64 v[74:75], v[64:65], v[12:13]
	v_fmac_f64_e32 v[74:75], v[66:67], v[6:7]
	v_add_f64 v[76:77], v[72:73], v[74:75]
	ds_read_b128 v[72:75], v54 offset:1184
	v_mul_f64 v[8:9], v[62:63], v[10:11]
	v_add_f64 v[2:3], v[2:3], 0
	s_waitcnt lgkmcnt(2)
	v_mul_f64 v[78:79], v[68:69], v[18:19]
	v_fma_f64 v[4:5], v[60:61], v[4:5], -v[8:9]
	v_fmac_f64_e32 v[78:79], v[70:71], v[20:21]
	v_add_f64 v[80:81], v[76:77], v[78:79]
	ds_read_b128 v[76:79], v54 offset:1200
	s_waitcnt lgkmcnt(1)
	v_mul_f64 v[82:83], v[72:73], v[14:15]
	v_fmac_f64_e32 v[82:83], v[74:75], v[16:17]
	v_add_f64 v[84:85], v[80:81], v[82:83]
	ds_read_b128 v[80:83], v54 offset:1216
	s_waitcnt vmcnt(58) lgkmcnt(1)
	v_mul_f64 v[86:87], v[76:77], v[26:27]
	s_waitcnt vmcnt(56)
	v_fmac_f64_e32 v[86:87], v[78:79], v[28:29]
	v_add_f64 v[88:89], v[84:85], v[86:87]
	ds_read_b128 v[84:87], v54 offset:1232
	s_waitcnt lgkmcnt(1)
	v_mul_f64 v[90:91], v[80:81], v[22:23]
	v_fmac_f64_e32 v[90:91], v[82:83], v[24:25]
	v_add_f64 v[92:93], v[88:89], v[90:91]
	ds_read_b128 v[88:91], v54 offset:1248
	s_waitcnt vmcnt(50) lgkmcnt(1)
	v_mul_f64 v[94:95], v[84:85], v[34:35]
	s_waitcnt vmcnt(48)
	v_fmac_f64_e32 v[94:95], v[86:87], v[36:37]
	v_add_f64 v[96:97], v[92:93], v[94:95]
	ds_read_b128 v[92:95], v54 offset:1264
	s_waitcnt lgkmcnt(1)
	v_mul_f64 v[98:99], v[88:89], v[30:31]
	v_fmac_f64_e32 v[98:99], v[90:91], v[32:33]
	v_add_f64 v[100:101], v[96:97], v[98:99]
	ds_read_b128 v[96:99], v54 offset:1280
	v_add_f64 v[2:3], v[2:3], v[4:5]
	v_mul_f64 v[4:5], v[66:67], v[12:13]
	v_fma_f64 v[4:5], v[64:65], v[6:7], -v[4:5]
	s_waitcnt vmcnt(42) lgkmcnt(1)
	v_mul_f64 v[102:103], v[92:93], v[42:43]
	v_add_f64 v[2:3], v[2:3], v[4:5]
	v_mul_f64 v[4:5], v[70:71], v[18:19]
	s_waitcnt vmcnt(40)
	v_fmac_f64_e32 v[102:103], v[94:95], v[44:45]
	v_fma_f64 v[4:5], v[68:69], v[20:21], -v[4:5]
	v_add_f64 v[104:105], v[100:101], v[102:103]
	ds_read_b128 v[100:103], v54 offset:1296
	s_waitcnt lgkmcnt(1)
	v_mul_f64 v[106:107], v[96:97], v[38:39]
	v_add_f64 v[2:3], v[2:3], v[4:5]
	v_mul_f64 v[4:5], v[74:75], v[14:15]
	v_fmac_f64_e32 v[106:107], v[98:99], v[40:41]
	v_fma_f64 v[4:5], v[72:73], v[16:17], -v[4:5]
	v_add_f64 v[108:109], v[104:105], v[106:107]
	ds_read_b128 v[104:107], v54 offset:1312
	v_add_f64 v[2:3], v[2:3], v[4:5]
	v_mul_f64 v[4:5], v[78:79], v[26:27]
	v_fma_f64 v[4:5], v[76:77], v[28:29], -v[4:5]
	v_add_f64 v[2:3], v[2:3], v[4:5]
	v_mul_f64 v[4:5], v[82:83], v[22:23]
	s_waitcnt vmcnt(34) lgkmcnt(1)
	v_mul_f64 v[110:111], v[100:101], v[50:51]
	v_fma_f64 v[4:5], v[80:81], v[24:25], -v[4:5]
	s_waitcnt vmcnt(32)
	v_fmac_f64_e32 v[110:111], v[102:103], v[52:53]
	v_add_f64 v[2:3], v[2:3], v[4:5]
	v_mul_f64 v[4:5], v[86:87], v[34:35]
	v_add_f64 v[112:113], v[108:109], v[110:111]
	ds_read_b128 v[108:111], v54 offset:1328
	s_waitcnt lgkmcnt(1)
	v_mul_f64 v[114:115], v[104:105], v[46:47]
	v_fma_f64 v[4:5], v[84:85], v[36:37], -v[4:5]
	v_fmac_f64_e32 v[114:115], v[106:107], v[48:49]
	v_add_f64 v[2:3], v[2:3], v[4:5]
	v_mul_f64 v[4:5], v[90:91], v[30:31]
	v_add_f64 v[120:121], v[112:113], v[114:115]
	ds_read_b128 v[112:115], v54 offset:1344
	v_fma_f64 v[4:5], v[88:89], v[32:33], -v[4:5]
	v_add_f64 v[2:3], v[2:3], v[4:5]
	v_mul_f64 v[4:5], v[94:95], v[42:43]
	v_fma_f64 v[4:5], v[92:93], v[44:45], -v[4:5]
	s_waitcnt vmcnt(26) lgkmcnt(1)
	v_mul_f64 v[122:123], v[108:109], v[140:141]
	v_add_f64 v[2:3], v[2:3], v[4:5]
	v_mul_f64 v[4:5], v[98:99], v[38:39]
	s_waitcnt vmcnt(24)
	v_fmac_f64_e32 v[122:123], v[110:111], v[142:143]
	v_fma_f64 v[4:5], v[96:97], v[40:41], -v[4:5]
	v_add_f64 v[124:125], v[120:121], v[122:123]
	ds_read_b128 v[120:123], v54 offset:1360
	s_waitcnt lgkmcnt(1)
	v_mul_f64 v[126:127], v[112:113], v[116:117]
	v_add_f64 v[2:3], v[2:3], v[4:5]
	v_mul_f64 v[4:5], v[102:103], v[50:51]
	v_fmac_f64_e32 v[126:127], v[114:115], v[118:119]
	v_fma_f64 v[4:5], v[100:101], v[52:53], -v[4:5]
	v_add_f64 v[128:129], v[124:125], v[126:127]
	ds_read_b128 v[124:127], v54 offset:1376
	v_add_f64 v[2:3], v[2:3], v[4:5]
	v_mul_f64 v[4:5], v[106:107], v[46:47]
	v_fma_f64 v[4:5], v[104:105], v[48:49], -v[4:5]
	v_add_f64 v[2:3], v[2:3], v[4:5]
	v_mul_f64 v[4:5], v[110:111], v[140:141]
	s_waitcnt vmcnt(18) lgkmcnt(1)
	v_mul_f64 v[130:131], v[120:121], v[148:149]
	v_fma_f64 v[4:5], v[108:109], v[142:143], -v[4:5]
	s_waitcnt vmcnt(16)
	v_fmac_f64_e32 v[130:131], v[122:123], v[150:151]
	v_add_f64 v[2:3], v[2:3], v[4:5]
	v_mul_f64 v[4:5], v[114:115], v[116:117]
	v_add_f64 v[132:133], v[128:129], v[130:131]
	ds_read_b128 v[128:131], v54 offset:1392
	s_waitcnt lgkmcnt(1)
	v_mul_f64 v[134:135], v[124:125], v[144:145]
	v_fma_f64 v[4:5], v[112:113], v[118:119], -v[4:5]
	v_fmac_f64_e32 v[134:135], v[126:127], v[146:147]
	v_add_f64 v[2:3], v[2:3], v[4:5]
	v_mul_f64 v[4:5], v[122:123], v[148:149]
	v_add_f64 v[168:169], v[132:133], v[134:135]
	ds_read_b128 v[132:135], v54 offset:1408
	v_fma_f64 v[4:5], v[120:121], v[150:151], -v[4:5]
	v_add_f64 v[2:3], v[2:3], v[4:5]
	v_mul_f64 v[4:5], v[126:127], v[144:145]
	v_fma_f64 v[4:5], v[124:125], v[146:147], -v[4:5]
	v_add_f64 v[2:3], v[2:3], v[4:5]
	s_waitcnt vmcnt(10) lgkmcnt(1)
	v_mul_f64 v[4:5], v[130:131], v[156:157]
	v_mul_f64 v[170:171], v[128:129], v[156:157]
	s_waitcnt vmcnt(8)
	v_fma_f64 v[4:5], v[128:129], v[158:159], -v[4:5]
	v_fmac_f64_e32 v[170:171], v[130:131], v[158:159]
	v_add_f64 v[2:3], v[2:3], v[4:5]
	s_waitcnt lgkmcnt(0)
	v_mul_f64 v[4:5], v[134:135], v[152:153]
	v_add_f64 v[54:55], v[168:169], v[170:171]
	v_mul_f64 v[168:169], v[132:133], v[152:153]
	v_fma_f64 v[4:5], v[132:133], v[154:155], -v[4:5]
	v_fmac_f64_e32 v[168:169], v[134:135], v[154:155]
	v_add_f64 v[2:3], v[2:3], v[4:5]
	s_waitcnt vmcnt(6)
	v_mul_f64 v[4:5], v[138:139], v[160:161]
	v_add_f64 v[54:55], v[54:55], v[168:169]
	v_mul_f64 v[168:169], v[136:137], v[160:161]
	s_waitcnt vmcnt(4)
	v_fma_f64 v[4:5], v[136:137], v[162:163], -v[4:5]
	v_fmac_f64_e32 v[168:169], v[138:139], v[162:163]
	v_add_f64 v[2:3], v[2:3], v[4:5]
	v_add_f64 v[54:55], v[54:55], v[168:169]
	s_waitcnt vmcnt(2)
	v_add_f64 v[2:3], v[164:165], -v[2:3]
	s_waitcnt vmcnt(0)
	v_add_f64 v[4:5], v[166:167], -v[54:55]
	buffer_store_dword v3, off, s[0:3], 0 offset:404
	buffer_store_dword v2, off, s[0:3], 0 offset:400
	;; [unrolled: 1-line block ×4, first 2 shown]
	s_and_saveexec_b64 s[4:5], vcc
	s_cbranch_execz .LBB108_237
; %bb.236:
	v_accvgpr_read_b32 v0, a111
	buffer_load_dword v2, v0, s[0:3], 0 offen
	buffer_load_dword v3, v0, s[0:3], 0 offen offset:4
	buffer_load_dword v4, v0, s[0:3], 0 offen offset:8
	;; [unrolled: 1-line block ×3, first 2 shown]
	v_mov_b32_e32 v0, 0
	v_accvgpr_read_b32 v1, a135
	buffer_store_dword v0, off, s[0:3], 0 offset:384
	buffer_store_dword v0, off, s[0:3], 0 offset:388
	;; [unrolled: 1-line block ×4, first 2 shown]
	s_waitcnt vmcnt(4)
	ds_write_b128 v1, v[2:5]
.LBB108_237:
	s_or_b64 exec, exec, s[4:5]
	s_waitcnt lgkmcnt(0)
	; wave barrier
	s_waitcnt lgkmcnt(0)
	buffer_load_dword v4, off, s[0:3], 0 offset:384
	buffer_load_dword v5, off, s[0:3], 0 offset:388
	;; [unrolled: 1-line block ×84, first 2 shown]
	v_mov_b32_e32 v86, 0
	ds_read_b128 v[66:69], v86 offset:1104
	buffer_load_dword v173, off, s[0:3], 0 offset:732
	buffer_load_dword v172, off, s[0:3], 0 offset:728
	buffer_load_dword v175, off, s[0:3], 0 offset:724
	buffer_load_dword v174, off, s[0:3], 0 offset:720
	ds_read_b128 v[70:73], v86 offset:1120
	ds_read_b128 v[74:77], v86 offset:1136
	;; [unrolled: 1-line block ×4, first 2 shown]
	v_cmp_lt_u32_e32 vcc, 22, v255
	s_waitcnt vmcnt(62) lgkmcnt(4)
	v_mul_f64 v[82:83], v[66:67], v[12:13]
	v_fmac_f64_e32 v[82:83], v[68:69], v[6:7]
	s_waitcnt lgkmcnt(3)
	v_mul_f64 v[84:85], v[70:71], v[14:15]
	v_add_f64 v[82:83], v[82:83], 0
	v_fmac_f64_e32 v[84:85], v[72:73], v[8:9]
	v_add_f64 v[82:83], v[82:83], v[84:85]
	s_waitcnt lgkmcnt(2)
	v_mul_f64 v[84:85], v[74:75], v[16:17]
	v_fmac_f64_e32 v[84:85], v[76:77], v[10:11]
	v_add_f64 v[88:89], v[82:83], v[84:85]
	ds_read_b128 v[82:85], v86 offset:1168
	v_mul_f64 v[12:13], v[68:69], v[12:13]
	s_waitcnt lgkmcnt(2)
	v_mul_f64 v[90:91], v[78:79], v[22:23]
	v_fma_f64 v[6:7], v[66:67], v[6:7], -v[12:13]
	v_fmac_f64_e32 v[90:91], v[80:81], v[24:25]
	v_add_f64 v[92:93], v[88:89], v[90:91]
	ds_read_b128 v[88:91], v86 offset:1184
	s_waitcnt lgkmcnt(1)
	v_mul_f64 v[94:95], v[82:83], v[18:19]
	v_fmac_f64_e32 v[94:95], v[84:85], v[20:21]
	v_add_f64 v[96:97], v[92:93], v[94:95]
	ds_read_b128 v[92:95], v86 offset:1200
	s_waitcnt vmcnt(58) lgkmcnt(1)
	v_mul_f64 v[98:99], v[88:89], v[30:31]
	s_waitcnt vmcnt(56)
	v_fmac_f64_e32 v[98:99], v[90:91], v[32:33]
	v_add_f64 v[100:101], v[96:97], v[98:99]
	ds_read_b128 v[96:99], v86 offset:1216
	s_waitcnt lgkmcnt(1)
	v_mul_f64 v[102:103], v[92:93], v[26:27]
	v_fmac_f64_e32 v[102:103], v[94:95], v[28:29]
	v_add_f64 v[104:105], v[100:101], v[102:103]
	ds_read_b128 v[100:103], v86 offset:1232
	s_waitcnt vmcnt(50) lgkmcnt(1)
	v_mul_f64 v[106:107], v[96:97], v[38:39]
	s_waitcnt vmcnt(48)
	v_fmac_f64_e32 v[106:107], v[98:99], v[40:41]
	v_add_f64 v[108:109], v[104:105], v[106:107]
	ds_read_b128 v[104:107], v86 offset:1248
	s_waitcnt lgkmcnt(1)
	v_mul_f64 v[110:111], v[100:101], v[34:35]
	v_fmac_f64_e32 v[110:111], v[102:103], v[36:37]
	v_mul_f64 v[12:13], v[72:73], v[14:15]
	v_add_f64 v[112:113], v[108:109], v[110:111]
	ds_read_b128 v[108:111], v86 offset:1264
	s_waitcnt vmcnt(42) lgkmcnt(1)
	v_mul_f64 v[114:115], v[104:105], v[46:47]
	v_add_f64 v[6:7], v[6:7], 0
	v_fma_f64 v[8:9], v[70:71], v[8:9], -v[12:13]
	s_waitcnt vmcnt(40)
	v_fmac_f64_e32 v[114:115], v[106:107], v[48:49]
	v_add_f64 v[6:7], v[6:7], v[8:9]
	v_mul_f64 v[8:9], v[76:77], v[16:17]
	v_add_f64 v[120:121], v[112:113], v[114:115]
	ds_read_b128 v[112:115], v86 offset:1280
	v_fma_f64 v[8:9], v[74:75], v[10:11], -v[8:9]
	v_add_f64 v[6:7], v[6:7], v[8:9]
	v_mul_f64 v[8:9], v[80:81], v[22:23]
	v_fma_f64 v[8:9], v[78:79], v[24:25], -v[8:9]
	s_waitcnt lgkmcnt(1)
	v_mul_f64 v[122:123], v[108:109], v[42:43]
	v_add_f64 v[6:7], v[6:7], v[8:9]
	v_mul_f64 v[8:9], v[84:85], v[18:19]
	v_fmac_f64_e32 v[122:123], v[110:111], v[44:45]
	v_fma_f64 v[8:9], v[82:83], v[20:21], -v[8:9]
	v_add_f64 v[124:125], v[120:121], v[122:123]
	ds_read_b128 v[120:123], v86 offset:1296
	s_waitcnt vmcnt(34) lgkmcnt(1)
	v_mul_f64 v[126:127], v[112:113], v[54:55]
	v_add_f64 v[6:7], v[6:7], v[8:9]
	v_mul_f64 v[8:9], v[90:91], v[30:31]
	s_waitcnt vmcnt(32)
	v_fmac_f64_e32 v[126:127], v[114:115], v[56:57]
	v_fma_f64 v[8:9], v[88:89], v[32:33], -v[8:9]
	v_add_f64 v[128:129], v[124:125], v[126:127]
	ds_read_b128 v[124:127], v86 offset:1312
	v_add_f64 v[6:7], v[6:7], v[8:9]
	v_mul_f64 v[8:9], v[94:95], v[26:27]
	v_fma_f64 v[8:9], v[92:93], v[28:29], -v[8:9]
	v_add_f64 v[6:7], v[6:7], v[8:9]
	v_mul_f64 v[8:9], v[98:99], v[38:39]
	s_waitcnt lgkmcnt(1)
	v_mul_f64 v[130:131], v[120:121], v[50:51]
	v_fma_f64 v[8:9], v[96:97], v[40:41], -v[8:9]
	v_fmac_f64_e32 v[130:131], v[122:123], v[52:53]
	v_add_f64 v[6:7], v[6:7], v[8:9]
	v_mul_f64 v[8:9], v[102:103], v[34:35]
	v_add_f64 v[132:133], v[128:129], v[130:131]
	ds_read_b128 v[128:131], v86 offset:1328
	s_waitcnt vmcnt(26) lgkmcnt(1)
	v_mul_f64 v[134:135], v[124:125], v[62:63]
	v_fma_f64 v[8:9], v[100:101], v[36:37], -v[8:9]
	s_waitcnt vmcnt(24)
	v_fmac_f64_e32 v[134:135], v[126:127], v[64:65]
	v_add_f64 v[6:7], v[6:7], v[8:9]
	v_mul_f64 v[8:9], v[106:107], v[46:47]
	v_add_f64 v[136:137], v[132:133], v[134:135]
	ds_read_b128 v[132:135], v86 offset:1344
	v_fma_f64 v[8:9], v[104:105], v[48:49], -v[8:9]
	v_add_f64 v[6:7], v[6:7], v[8:9]
	v_mul_f64 v[8:9], v[110:111], v[42:43]
	v_fma_f64 v[8:9], v[108:109], v[44:45], -v[8:9]
	s_waitcnt lgkmcnt(1)
	v_mul_f64 v[138:139], v[128:129], v[58:59]
	v_add_f64 v[6:7], v[6:7], v[8:9]
	v_mul_f64 v[8:9], v[114:115], v[54:55]
	v_fmac_f64_e32 v[138:139], v[130:131], v[60:61]
	v_fma_f64 v[8:9], v[112:113], v[56:57], -v[8:9]
	v_add_f64 v[140:141], v[136:137], v[138:139]
	ds_read_b128 v[136:139], v86 offset:1360
	s_waitcnt vmcnt(18) lgkmcnt(1)
	v_mul_f64 v[142:143], v[132:133], v[156:157]
	v_add_f64 v[6:7], v[6:7], v[8:9]
	v_mul_f64 v[8:9], v[122:123], v[50:51]
	s_waitcnt vmcnt(16)
	v_fmac_f64_e32 v[142:143], v[134:135], v[158:159]
	v_fma_f64 v[8:9], v[120:121], v[52:53], -v[8:9]
	v_add_f64 v[144:145], v[140:141], v[142:143]
	ds_read_b128 v[140:143], v86 offset:1376
	v_add_f64 v[6:7], v[6:7], v[8:9]
	v_mul_f64 v[8:9], v[126:127], v[62:63]
	v_fma_f64 v[8:9], v[124:125], v[64:65], -v[8:9]
	v_add_f64 v[6:7], v[6:7], v[8:9]
	v_mul_f64 v[8:9], v[130:131], v[58:59]
	s_waitcnt lgkmcnt(1)
	v_mul_f64 v[146:147], v[136:137], v[116:117]
	v_fma_f64 v[8:9], v[128:129], v[60:61], -v[8:9]
	v_fmac_f64_e32 v[146:147], v[138:139], v[118:119]
	v_add_f64 v[6:7], v[6:7], v[8:9]
	v_mul_f64 v[8:9], v[134:135], v[156:157]
	v_add_f64 v[148:149], v[144:145], v[146:147]
	ds_read_b128 v[144:147], v86 offset:1392
	s_waitcnt vmcnt(10) lgkmcnt(1)
	v_mul_f64 v[150:151], v[140:141], v[164:165]
	v_fma_f64 v[8:9], v[132:133], v[158:159], -v[8:9]
	s_waitcnt vmcnt(8)
	v_fmac_f64_e32 v[150:151], v[142:143], v[166:167]
	v_add_f64 v[6:7], v[6:7], v[8:9]
	v_mul_f64 v[8:9], v[138:139], v[116:117]
	v_add_f64 v[176:177], v[148:149], v[150:151]
	ds_read_b128 v[148:151], v86 offset:1408
	v_fma_f64 v[8:9], v[136:137], v[118:119], -v[8:9]
	v_add_f64 v[6:7], v[6:7], v[8:9]
	v_mul_f64 v[8:9], v[142:143], v[164:165]
	v_fma_f64 v[8:9], v[140:141], v[166:167], -v[8:9]
	v_add_f64 v[6:7], v[6:7], v[8:9]
	s_waitcnt lgkmcnt(1)
	v_mul_f64 v[8:9], v[146:147], v[160:161]
	v_mul_f64 v[178:179], v[144:145], v[160:161]
	v_fma_f64 v[8:9], v[144:145], v[162:163], -v[8:9]
	v_fmac_f64_e32 v[178:179], v[146:147], v[162:163]
	v_add_f64 v[6:7], v[6:7], v[8:9]
	s_waitcnt vmcnt(6) lgkmcnt(0)
	v_mul_f64 v[8:9], v[150:151], v[168:169]
	v_add_f64 v[176:177], v[176:177], v[178:179]
	v_mul_f64 v[178:179], v[148:149], v[168:169]
	s_waitcnt vmcnt(4)
	v_fma_f64 v[8:9], v[148:149], v[170:171], -v[8:9]
	v_fmac_f64_e32 v[178:179], v[150:151], v[170:171]
	v_add_f64 v[6:7], v[6:7], v[8:9]
	s_waitcnt vmcnt(2)
	v_mul_f64 v[8:9], v[154:155], v[172:173]
	v_add_f64 v[176:177], v[176:177], v[178:179]
	v_mul_f64 v[178:179], v[152:153], v[172:173]
	s_waitcnt vmcnt(0)
	v_fma_f64 v[8:9], v[152:153], v[174:175], -v[8:9]
	v_fmac_f64_e32 v[178:179], v[154:155], v[174:175]
	v_add_f64 v[6:7], v[6:7], v[8:9]
	v_add_f64 v[176:177], v[176:177], v[178:179]
	v_add_f64 v[4:5], v[4:5], -v[6:7]
	v_add_f64 v[2:3], v[2:3], -v[176:177]
	buffer_store_dword v5, off, s[0:3], 0 offset:388
	buffer_store_dword v4, off, s[0:3], 0 offset:384
	;; [unrolled: 1-line block ×4, first 2 shown]
	s_and_saveexec_b64 s[4:5], vcc
	s_cbranch_execz .LBB108_239
; %bb.238:
	v_accvgpr_read_b32 v0, a112
	buffer_load_dword v2, v0, s[0:3], 0 offen
	buffer_load_dword v3, v0, s[0:3], 0 offen offset:4
	buffer_load_dword v4, v0, s[0:3], 0 offen offset:8
	;; [unrolled: 1-line block ×3, first 2 shown]
	v_accvgpr_read_b32 v0, a135
	buffer_store_dword v86, off, s[0:3], 0 offset:368
	buffer_store_dword v86, off, s[0:3], 0 offset:372
	;; [unrolled: 1-line block ×4, first 2 shown]
	s_waitcnt vmcnt(4)
	ds_write_b128 v0, v[2:5]
.LBB108_239:
	s_or_b64 exec, exec, s[4:5]
	s_waitcnt lgkmcnt(0)
	; wave barrier
	s_waitcnt lgkmcnt(0)
	ds_read_b128 v[14:17], v86 offset:1088
	ds_read_b128 v[10:13], v86 offset:1104
	;; [unrolled: 1-line block ×4, first 2 shown]
	buffer_load_dword v20, off, s[0:3], 0 offset:368
	buffer_load_dword v21, off, s[0:3], 0 offset:372
	;; [unrolled: 1-line block ×92, first 2 shown]
	s_waitcnt vmcnt(62) lgkmcnt(3)
	v_mul_f64 v[88:89], v[14:15], v[28:29]
	v_fmac_f64_e32 v[88:89], v[16:17], v[22:23]
	s_waitcnt lgkmcnt(2)
	v_mul_f64 v[90:91], v[10:11], v[30:31]
	v_add_f64 v[88:89], v[88:89], 0
	v_fmac_f64_e32 v[90:91], v[12:13], v[24:25]
	v_add_f64 v[88:89], v[88:89], v[90:91]
	s_waitcnt lgkmcnt(1)
	v_mul_f64 v[90:91], v[6:7], v[32:33]
	v_fmac_f64_e32 v[90:91], v[8:9], v[26:27]
	v_add_f64 v[92:93], v[88:89], v[90:91]
	ds_read_b128 v[88:91], v86 offset:1152
	v_mul_f64 v[16:17], v[16:17], v[28:29]
	v_fma_f64 v[14:15], v[14:15], v[22:23], -v[16:17]
	s_waitcnt lgkmcnt(1)
	v_mul_f64 v[94:95], v[2:3], v[38:39]
	v_mul_f64 v[12:13], v[12:13], v[30:31]
	v_fmac_f64_e32 v[94:95], v[4:5], v[40:41]
	v_add_f64 v[96:97], v[92:93], v[94:95]
	ds_read_b128 v[92:95], v86 offset:1168
	s_waitcnt lgkmcnt(1)
	v_mul_f64 v[98:99], v[88:89], v[34:35]
	v_fmac_f64_e32 v[98:99], v[90:91], v[36:37]
	v_add_f64 v[100:101], v[96:97], v[98:99]
	ds_read_b128 v[96:99], v86 offset:1184
	s_waitcnt lgkmcnt(1)
	v_mul_f64 v[102:103], v[92:93], v[46:47]
	s_waitcnt vmcnt(60)
	v_fmac_f64_e32 v[102:103], v[94:95], v[48:49]
	v_add_f64 v[104:105], v[100:101], v[102:103]
	ds_read_b128 v[100:103], v86 offset:1200
	s_waitcnt lgkmcnt(1)
	v_mul_f64 v[106:107], v[96:97], v[42:43]
	v_fmac_f64_e32 v[106:107], v[98:99], v[44:45]
	v_add_f64 v[108:109], v[104:105], v[106:107]
	ds_read_b128 v[104:107], v86 offset:1216
	s_waitcnt vmcnt(54) lgkmcnt(1)
	v_mul_f64 v[110:111], v[100:101], v[54:55]
	s_waitcnt vmcnt(52)
	v_fmac_f64_e32 v[110:111], v[102:103], v[56:57]
	v_add_f64 v[112:113], v[108:109], v[110:111]
	ds_read_b128 v[108:111], v86 offset:1232
	s_waitcnt lgkmcnt(1)
	v_mul_f64 v[114:115], v[104:105], v[50:51]
	v_fmac_f64_e32 v[114:115], v[106:107], v[52:53]
	v_add_f64 v[120:121], v[112:113], v[114:115]
	ds_read_b128 v[112:115], v86 offset:1248
	s_waitcnt vmcnt(46) lgkmcnt(1)
	v_mul_f64 v[122:123], v[108:109], v[62:63]
	s_waitcnt vmcnt(44)
	v_fmac_f64_e32 v[122:123], v[110:111], v[64:65]
	v_add_f64 v[124:125], v[120:121], v[122:123]
	ds_read_b128 v[120:123], v86 offset:1264
	s_waitcnt lgkmcnt(1)
	v_mul_f64 v[126:127], v[112:113], v[58:59]
	v_fmac_f64_e32 v[126:127], v[114:115], v[60:61]
	v_add_f64 v[14:15], v[14:15], 0
	v_fma_f64 v[10:11], v[10:11], v[24:25], -v[12:13]
	v_mul_f64 v[8:9], v[8:9], v[32:33]
	v_add_f64 v[128:129], v[124:125], v[126:127]
	ds_read_b128 v[124:127], v86 offset:1280
	v_add_f64 v[10:11], v[14:15], v[10:11]
	v_fma_f64 v[6:7], v[6:7], v[26:27], -v[8:9]
	v_mul_f64 v[4:5], v[4:5], v[38:39]
	v_add_f64 v[6:7], v[10:11], v[6:7]
	v_fma_f64 v[2:3], v[2:3], v[40:41], -v[4:5]
	v_mul_f64 v[4:5], v[90:91], v[34:35]
	v_add_f64 v[2:3], v[6:7], v[2:3]
	v_fma_f64 v[4:5], v[88:89], v[36:37], -v[4:5]
	s_waitcnt vmcnt(38) lgkmcnt(1)
	v_mul_f64 v[130:131], v[120:121], v[70:71]
	v_add_f64 v[2:3], v[2:3], v[4:5]
	v_mul_f64 v[4:5], v[94:95], v[46:47]
	s_waitcnt vmcnt(36)
	v_fmac_f64_e32 v[130:131], v[122:123], v[72:73]
	v_fma_f64 v[4:5], v[92:93], v[48:49], -v[4:5]
	v_add_f64 v[132:133], v[128:129], v[130:131]
	ds_read_b128 v[128:131], v86 offset:1296
	s_waitcnt lgkmcnt(1)
	v_mul_f64 v[134:135], v[124:125], v[66:67]
	v_add_f64 v[2:3], v[2:3], v[4:5]
	v_mul_f64 v[4:5], v[98:99], v[42:43]
	v_fmac_f64_e32 v[134:135], v[126:127], v[68:69]
	v_fma_f64 v[4:5], v[96:97], v[44:45], -v[4:5]
	v_add_f64 v[136:137], v[132:133], v[134:135]
	ds_read_b128 v[132:135], v86 offset:1312
	v_add_f64 v[2:3], v[2:3], v[4:5]
	v_mul_f64 v[4:5], v[102:103], v[54:55]
	v_fma_f64 v[4:5], v[100:101], v[56:57], -v[4:5]
	v_add_f64 v[2:3], v[2:3], v[4:5]
	v_mul_f64 v[4:5], v[106:107], v[50:51]
	s_waitcnt vmcnt(30) lgkmcnt(1)
	v_mul_f64 v[138:139], v[128:129], v[78:79]
	v_fma_f64 v[4:5], v[104:105], v[52:53], -v[4:5]
	s_waitcnt vmcnt(28)
	v_fmac_f64_e32 v[138:139], v[130:131], v[80:81]
	v_add_f64 v[2:3], v[2:3], v[4:5]
	v_mul_f64 v[4:5], v[110:111], v[62:63]
	v_add_f64 v[140:141], v[136:137], v[138:139]
	ds_read_b128 v[136:139], v86 offset:1328
	s_waitcnt lgkmcnt(1)
	v_mul_f64 v[142:143], v[132:133], v[74:75]
	v_fma_f64 v[4:5], v[108:109], v[64:65], -v[4:5]
	v_fmac_f64_e32 v[142:143], v[134:135], v[76:77]
	v_add_f64 v[2:3], v[2:3], v[4:5]
	v_mul_f64 v[4:5], v[114:115], v[58:59]
	v_add_f64 v[144:145], v[140:141], v[142:143]
	ds_read_b128 v[140:143], v86 offset:1344
	v_fma_f64 v[4:5], v[112:113], v[60:61], -v[4:5]
	v_add_f64 v[2:3], v[2:3], v[4:5]
	v_mul_f64 v[4:5], v[122:123], v[70:71]
	v_fma_f64 v[4:5], v[120:121], v[72:73], -v[4:5]
	s_waitcnt vmcnt(22) lgkmcnt(1)
	v_mul_f64 v[146:147], v[136:137], v[116:117]
	v_add_f64 v[2:3], v[2:3], v[4:5]
	v_mul_f64 v[4:5], v[126:127], v[66:67]
	s_waitcnt vmcnt(20)
	v_fmac_f64_e32 v[146:147], v[138:139], v[118:119]
	v_fma_f64 v[4:5], v[124:125], v[68:69], -v[4:5]
	v_add_f64 v[148:149], v[144:145], v[146:147]
	ds_read_b128 v[144:147], v86 offset:1360
	s_waitcnt lgkmcnt(1)
	v_mul_f64 v[150:151], v[140:141], v[82:83]
	v_add_f64 v[2:3], v[2:3], v[4:5]
	v_mul_f64 v[4:5], v[130:131], v[78:79]
	v_fmac_f64_e32 v[150:151], v[142:143], v[84:85]
	v_fma_f64 v[4:5], v[128:129], v[80:81], -v[4:5]
	v_add_f64 v[152:153], v[148:149], v[150:151]
	ds_read_b128 v[148:151], v86 offset:1376
	v_add_f64 v[2:3], v[2:3], v[4:5]
	v_mul_f64 v[4:5], v[134:135], v[74:75]
	v_fma_f64 v[4:5], v[132:133], v[76:77], -v[4:5]
	v_add_f64 v[2:3], v[2:3], v[4:5]
	v_mul_f64 v[4:5], v[138:139], v[116:117]
	s_waitcnt vmcnt(14) lgkmcnt(1)
	v_mul_f64 v[154:155], v[144:145], v[168:169]
	v_fma_f64 v[4:5], v[136:137], v[118:119], -v[4:5]
	s_waitcnt vmcnt(12)
	v_fmac_f64_e32 v[154:155], v[146:147], v[170:171]
	v_add_f64 v[2:3], v[2:3], v[4:5]
	v_mul_f64 v[4:5], v[142:143], v[82:83]
	v_add_f64 v[156:157], v[152:153], v[154:155]
	ds_read_b128 v[152:155], v86 offset:1392
	s_waitcnt lgkmcnt(1)
	v_mul_f64 v[158:159], v[148:149], v[164:165]
	v_fma_f64 v[4:5], v[140:141], v[84:85], -v[4:5]
	v_fmac_f64_e32 v[158:159], v[150:151], v[166:167]
	v_add_f64 v[2:3], v[2:3], v[4:5]
	v_mul_f64 v[4:5], v[146:147], v[168:169]
	v_add_f64 v[184:185], v[156:157], v[158:159]
	ds_read_b128 v[156:159], v86 offset:1408
	ds_read_b128 v[160:163], v86 offset:1424
	v_fma_f64 v[4:5], v[144:145], v[170:171], -v[4:5]
	v_add_f64 v[2:3], v[2:3], v[4:5]
	v_mul_f64 v[4:5], v[150:151], v[164:165]
	v_fma_f64 v[4:5], v[148:149], v[166:167], -v[4:5]
	v_add_f64 v[2:3], v[2:3], v[4:5]
	s_waitcnt vmcnt(6) lgkmcnt(2)
	v_mul_f64 v[4:5], v[154:155], v[176:177]
	v_mul_f64 v[186:187], v[152:153], v[176:177]
	s_waitcnt vmcnt(4)
	v_fma_f64 v[4:5], v[152:153], v[178:179], -v[4:5]
	v_fmac_f64_e32 v[186:187], v[154:155], v[178:179]
	v_add_f64 v[2:3], v[2:3], v[4:5]
	s_waitcnt lgkmcnt(1)
	v_mul_f64 v[4:5], v[158:159], v[172:173]
	v_add_f64 v[86:87], v[184:185], v[186:187]
	v_mul_f64 v[184:185], v[156:157], v[172:173]
	v_fma_f64 v[4:5], v[156:157], v[174:175], -v[4:5]
	v_fmac_f64_e32 v[184:185], v[158:159], v[174:175]
	v_add_f64 v[2:3], v[2:3], v[4:5]
	s_waitcnt vmcnt(2) lgkmcnt(0)
	v_mul_f64 v[4:5], v[162:163], v[180:181]
	v_add_f64 v[86:87], v[86:87], v[184:185]
	v_mul_f64 v[184:185], v[160:161], v[180:181]
	s_waitcnt vmcnt(0)
	v_fma_f64 v[4:5], v[160:161], v[182:183], -v[4:5]
	v_fmac_f64_e32 v[184:185], v[162:163], v[182:183]
	v_add_f64 v[2:3], v[2:3], v[4:5]
	v_add_f64 v[86:87], v[86:87], v[184:185]
	v_add_f64 v[2:3], v[20:21], -v[2:3]
	v_cmp_lt_u32_e32 vcc, 21, v255
	v_add_f64 v[4:5], v[18:19], -v[86:87]
	buffer_store_dword v3, off, s[0:3], 0 offset:372
	buffer_store_dword v2, off, s[0:3], 0 offset:368
	;; [unrolled: 1-line block ×4, first 2 shown]
	s_and_saveexec_b64 s[4:5], vcc
	s_cbranch_execz .LBB108_241
; %bb.240:
	v_accvgpr_read_b32 v0, a113
	buffer_load_dword v2, v0, s[0:3], 0 offen
	buffer_load_dword v3, v0, s[0:3], 0 offen offset:4
	buffer_load_dword v4, v0, s[0:3], 0 offen offset:8
	;; [unrolled: 1-line block ×3, first 2 shown]
	v_mov_b32_e32 v0, 0
	v_accvgpr_read_b32 v1, a135
	buffer_store_dword v0, off, s[0:3], 0 offset:352
	buffer_store_dword v0, off, s[0:3], 0 offset:356
	;; [unrolled: 1-line block ×4, first 2 shown]
	s_waitcnt vmcnt(4)
	ds_write_b128 v1, v[2:5]
.LBB108_241:
	s_or_b64 exec, exec, s[4:5]
	s_waitcnt lgkmcnt(0)
	; wave barrier
	s_waitcnt lgkmcnt(0)
	buffer_load_dword v9, off, s[0:3], 0 offset:380
	buffer_load_dword v6, off, s[0:3], 0 offset:392
	;; [unrolled: 1-line block ×64, first 2 shown]
	v_mov_b32_e32 v98, 0
	ds_read_b128 v[74:77], v98 offset:1072
	ds_read_b128 v[78:81], v98 offset:1088
	buffer_load_dword v67, off, s[0:3], 0 offset:636
	buffer_load_dword v66, off, s[0:3], 0 offset:632
	;; [unrolled: 1-line block ×8, first 2 shown]
	ds_read_b128 v[82:85], v98 offset:1104
	ds_read_b128 v[86:89], v98 offset:1120
	buffer_load_dword v117, off, s[0:3], 0 offset:668
	buffer_load_dword v116, off, s[0:3], 0 offset:664
	;; [unrolled: 1-line block ×24, first 2 shown]
	ds_read_b128 v[168:171], v98 offset:1424
	v_cmp_lt_u32_e32 vcc, 20, v255
	s_waitcnt vmcnt(62) lgkmcnt(1)
	v_mul_f64 v[96:97], v[86:87], v[22:23]
	v_fmac_f64_e32 v[96:97], v[88:89], v[24:25]
	v_mul_f64 v[92:93], v[78:79], v[6:7]
	v_mul_f64 v[90:91], v[74:75], v[8:9]
	;; [unrolled: 1-line block ×3, first 2 shown]
	v_fmac_f64_e32 v[90:91], v[76:77], v[10:11]
	v_add_f64 v[90:91], v[90:91], 0
	v_fma_f64 v[8:9], v[74:75], v[10:11], -v[8:9]
	v_mul_f64 v[6:7], v[80:81], v[6:7]
	v_add_f64 v[8:9], v[8:9], 0
	v_fmac_f64_e32 v[92:93], v[80:81], v[14:15]
	v_add_f64 v[90:91], v[90:91], v[92:93]
	v_mul_f64 v[92:93], v[82:83], v[16:17]
	v_fmac_f64_e32 v[92:93], v[84:85], v[12:13]
	v_add_f64 v[94:95], v[90:91], v[92:93]
	ds_read_b128 v[90:93], v98 offset:1136
	v_add_f64 v[100:101], v[94:95], v[96:97]
	ds_read_b128 v[94:97], v98 offset:1152
	v_fma_f64 v[6:7], v[78:79], v[14:15], -v[6:7]
	v_add_f64 v[6:7], v[8:9], v[6:7]
	s_waitcnt lgkmcnt(1)
	v_mul_f64 v[102:103], v[90:91], v[18:19]
	v_fmac_f64_e32 v[102:103], v[92:93], v[20:21]
	v_add_f64 v[104:105], v[100:101], v[102:103]
	ds_read_b128 v[100:103], v98 offset:1168
	s_waitcnt lgkmcnt(1)
	v_mul_f64 v[106:107], v[94:95], v[30:31]
	v_fmac_f64_e32 v[106:107], v[96:97], v[32:33]
	v_add_f64 v[108:109], v[104:105], v[106:107]
	ds_read_b128 v[104:107], v98 offset:1184
	;; [unrolled: 5-line block ×3, first 2 shown]
	s_waitcnt vmcnt(58) lgkmcnt(1)
	v_mul_f64 v[114:115], v[104:105], v[38:39]
	s_waitcnt vmcnt(56)
	v_fmac_f64_e32 v[114:115], v[106:107], v[40:41]
	v_add_f64 v[120:121], v[112:113], v[114:115]
	ds_read_b128 v[112:115], v98 offset:1216
	s_waitcnt lgkmcnt(1)
	v_mul_f64 v[122:123], v[108:109], v[34:35]
	v_fmac_f64_e32 v[122:123], v[110:111], v[36:37]
	v_add_f64 v[124:125], v[120:121], v[122:123]
	ds_read_b128 v[120:123], v98 offset:1232
	s_waitcnt vmcnt(50) lgkmcnt(1)
	v_mul_f64 v[126:127], v[112:113], v[46:47]
	s_waitcnt vmcnt(48)
	v_fmac_f64_e32 v[126:127], v[114:115], v[48:49]
	v_add_f64 v[128:129], v[124:125], v[126:127]
	ds_read_b128 v[124:127], v98 offset:1248
	v_mul_f64 v[8:9], v[84:85], v[16:17]
	s_waitcnt lgkmcnt(1)
	v_mul_f64 v[130:131], v[120:121], v[42:43]
	v_fma_f64 v[8:9], v[82:83], v[12:13], -v[8:9]
	v_fmac_f64_e32 v[130:131], v[122:123], v[44:45]
	v_add_f64 v[6:7], v[6:7], v[8:9]
	v_mul_f64 v[8:9], v[88:89], v[22:23]
	v_add_f64 v[132:133], v[128:129], v[130:131]
	ds_read_b128 v[128:131], v98 offset:1264
	s_waitcnt vmcnt(42) lgkmcnt(1)
	v_mul_f64 v[134:135], v[124:125], v[54:55]
	v_fma_f64 v[8:9], v[86:87], v[24:25], -v[8:9]
	s_waitcnt vmcnt(40)
	v_fmac_f64_e32 v[134:135], v[126:127], v[56:57]
	v_add_f64 v[6:7], v[6:7], v[8:9]
	v_mul_f64 v[8:9], v[92:93], v[18:19]
	v_add_f64 v[136:137], v[132:133], v[134:135]
	ds_read_b128 v[132:135], v98 offset:1280
	v_fma_f64 v[8:9], v[90:91], v[20:21], -v[8:9]
	v_add_f64 v[6:7], v[6:7], v[8:9]
	v_mul_f64 v[8:9], v[96:97], v[30:31]
	v_fma_f64 v[8:9], v[94:95], v[32:33], -v[8:9]
	s_waitcnt lgkmcnt(1)
	v_mul_f64 v[138:139], v[128:129], v[50:51]
	v_add_f64 v[6:7], v[6:7], v[8:9]
	v_mul_f64 v[8:9], v[102:103], v[26:27]
	v_fmac_f64_e32 v[138:139], v[130:131], v[52:53]
	v_fma_f64 v[8:9], v[100:101], v[28:29], -v[8:9]
	v_add_f64 v[140:141], v[136:137], v[138:139]
	ds_read_b128 v[136:139], v98 offset:1296
	s_waitcnt vmcnt(34) lgkmcnt(1)
	v_mul_f64 v[142:143], v[132:133], v[62:63]
	v_add_f64 v[6:7], v[6:7], v[8:9]
	v_mul_f64 v[8:9], v[106:107], v[38:39]
	s_waitcnt vmcnt(32)
	v_fmac_f64_e32 v[142:143], v[134:135], v[64:65]
	v_fma_f64 v[8:9], v[104:105], v[40:41], -v[8:9]
	v_add_f64 v[144:145], v[140:141], v[142:143]
	ds_read_b128 v[140:143], v98 offset:1312
	v_add_f64 v[6:7], v[6:7], v[8:9]
	v_mul_f64 v[8:9], v[110:111], v[34:35]
	v_fma_f64 v[8:9], v[108:109], v[36:37], -v[8:9]
	v_add_f64 v[6:7], v[6:7], v[8:9]
	v_mul_f64 v[8:9], v[114:115], v[46:47]
	s_waitcnt lgkmcnt(1)
	v_mul_f64 v[146:147], v[136:137], v[58:59]
	v_fma_f64 v[8:9], v[112:113], v[48:49], -v[8:9]
	v_fmac_f64_e32 v[146:147], v[138:139], v[60:61]
	v_add_f64 v[6:7], v[6:7], v[8:9]
	v_mul_f64 v[8:9], v[122:123], v[42:43]
	v_add_f64 v[148:149], v[144:145], v[146:147]
	ds_read_b128 v[144:147], v98 offset:1328
	s_waitcnt vmcnt(26) lgkmcnt(1)
	v_mul_f64 v[150:151], v[140:141], v[70:71]
	v_fma_f64 v[8:9], v[120:121], v[44:45], -v[8:9]
	s_waitcnt vmcnt(24)
	v_fmac_f64_e32 v[150:151], v[142:143], v[72:73]
	v_add_f64 v[6:7], v[6:7], v[8:9]
	v_mul_f64 v[8:9], v[126:127], v[54:55]
	v_add_f64 v[152:153], v[148:149], v[150:151]
	ds_read_b128 v[148:151], v98 offset:1344
	v_fma_f64 v[8:9], v[124:125], v[56:57], -v[8:9]
	v_add_f64 v[6:7], v[6:7], v[8:9]
	v_mul_f64 v[8:9], v[130:131], v[50:51]
	v_fma_f64 v[8:9], v[128:129], v[52:53], -v[8:9]
	s_waitcnt lgkmcnt(1)
	v_mul_f64 v[154:155], v[144:145], v[66:67]
	v_add_f64 v[6:7], v[6:7], v[8:9]
	v_mul_f64 v[8:9], v[134:135], v[62:63]
	v_fmac_f64_e32 v[154:155], v[146:147], v[68:69]
	v_fma_f64 v[8:9], v[132:133], v[64:65], -v[8:9]
	v_add_f64 v[156:157], v[152:153], v[154:155]
	ds_read_b128 v[152:155], v98 offset:1360
	s_waitcnt vmcnt(18) lgkmcnt(1)
	v_mul_f64 v[158:159], v[148:149], v[172:173]
	v_add_f64 v[6:7], v[6:7], v[8:9]
	v_mul_f64 v[8:9], v[138:139], v[58:59]
	s_waitcnt vmcnt(16)
	v_fmac_f64_e32 v[158:159], v[150:151], v[174:175]
	v_fma_f64 v[8:9], v[136:137], v[60:61], -v[8:9]
	v_add_f64 v[160:161], v[156:157], v[158:159]
	ds_read_b128 v[156:159], v98 offset:1376
	v_add_f64 v[6:7], v[6:7], v[8:9]
	v_mul_f64 v[8:9], v[142:143], v[70:71]
	v_fma_f64 v[8:9], v[140:141], v[72:73], -v[8:9]
	v_add_f64 v[6:7], v[6:7], v[8:9]
	v_mul_f64 v[8:9], v[146:147], v[66:67]
	s_waitcnt lgkmcnt(1)
	v_mul_f64 v[162:163], v[152:153], v[116:117]
	v_fma_f64 v[8:9], v[144:145], v[68:69], -v[8:9]
	v_fmac_f64_e32 v[162:163], v[154:155], v[118:119]
	v_add_f64 v[6:7], v[6:7], v[8:9]
	v_mul_f64 v[8:9], v[150:151], v[172:173]
	v_add_f64 v[164:165], v[160:161], v[162:163]
	ds_read_b128 v[160:163], v98 offset:1392
	s_waitcnt vmcnt(10) lgkmcnt(1)
	v_mul_f64 v[166:167], v[156:157], v[180:181]
	v_fma_f64 v[8:9], v[148:149], v[174:175], -v[8:9]
	s_waitcnt vmcnt(8)
	v_fmac_f64_e32 v[166:167], v[158:159], v[182:183]
	v_add_f64 v[6:7], v[6:7], v[8:9]
	v_mul_f64 v[8:9], v[154:155], v[116:117]
	v_add_f64 v[192:193], v[164:165], v[166:167]
	ds_read_b128 v[164:167], v98 offset:1408
	v_fma_f64 v[8:9], v[152:153], v[118:119], -v[8:9]
	v_add_f64 v[6:7], v[6:7], v[8:9]
	v_mul_f64 v[8:9], v[158:159], v[180:181]
	v_fma_f64 v[8:9], v[156:157], v[182:183], -v[8:9]
	v_add_f64 v[6:7], v[6:7], v[8:9]
	s_waitcnt lgkmcnt(1)
	v_mul_f64 v[8:9], v[162:163], v[176:177]
	v_mul_f64 v[194:195], v[160:161], v[176:177]
	v_fma_f64 v[8:9], v[160:161], v[178:179], -v[8:9]
	v_fmac_f64_e32 v[194:195], v[162:163], v[178:179]
	v_add_f64 v[6:7], v[6:7], v[8:9]
	s_waitcnt vmcnt(2) lgkmcnt(0)
	v_mul_f64 v[8:9], v[166:167], v[188:189]
	v_add_f64 v[192:193], v[192:193], v[194:195]
	v_mul_f64 v[194:195], v[164:165], v[188:189]
	s_waitcnt vmcnt(0)
	v_fma_f64 v[8:9], v[164:165], v[190:191], -v[8:9]
	v_fmac_f64_e32 v[194:195], v[166:167], v[190:191]
	v_add_f64 v[6:7], v[6:7], v[8:9]
	v_mul_f64 v[8:9], v[170:171], v[184:185]
	v_add_f64 v[192:193], v[192:193], v[194:195]
	v_mul_f64 v[194:195], v[168:169], v[184:185]
	v_fma_f64 v[8:9], v[168:169], v[186:187], -v[8:9]
	v_fmac_f64_e32 v[194:195], v[170:171], v[186:187]
	v_add_f64 v[6:7], v[6:7], v[8:9]
	v_add_f64 v[192:193], v[192:193], v[194:195]
	v_add_f64 v[4:5], v[4:5], -v[6:7]
	v_add_f64 v[2:3], v[2:3], -v[192:193]
	buffer_store_dword v5, off, s[0:3], 0 offset:356
	buffer_store_dword v4, off, s[0:3], 0 offset:352
	;; [unrolled: 1-line block ×4, first 2 shown]
	s_and_saveexec_b64 s[4:5], vcc
	s_cbranch_execz .LBB108_243
; %bb.242:
	v_accvgpr_read_b32 v0, a114
	buffer_load_dword v2, v0, s[0:3], 0 offen
	buffer_load_dword v3, v0, s[0:3], 0 offen offset:4
	buffer_load_dword v4, v0, s[0:3], 0 offen offset:8
	;; [unrolled: 1-line block ×3, first 2 shown]
	v_accvgpr_read_b32 v0, a135
	buffer_store_dword v98, off, s[0:3], 0 offset:336
	buffer_store_dword v98, off, s[0:3], 0 offset:340
	;; [unrolled: 1-line block ×4, first 2 shown]
	s_waitcnt vmcnt(4)
	ds_write_b128 v0, v[2:5]
.LBB108_243:
	s_or_b64 exec, exec, s[4:5]
	s_waitcnt lgkmcnt(0)
	; wave barrier
	s_waitcnt lgkmcnt(0)
	buffer_load_dword v22, off, s[0:3], 0 offset:352
	buffer_load_dword v23, off, s[0:3], 0 offset:356
	;; [unrolled: 1-line block ×16, first 2 shown]
	ds_read_b128 v[2:5], v98 offset:1056
	ds_read_b128 v[6:9], v98 offset:1072
	;; [unrolled: 1-line block ×4, first 2 shown]
	buffer_load_dword v35, off, s[0:3], 0 offset:428
	buffer_load_dword v34, off, s[0:3], 0 offset:424
	;; [unrolled: 1-line block ×48, first 2 shown]
	v_cmp_lt_u32_e32 vcc, 19, v255
	s_waitcnt vmcnt(42) lgkmcnt(0)
	v_mul_f64 v[106:107], v[14:15], v[38:39]
	s_waitcnt vmcnt(40)
	v_fmac_f64_e32 v[106:107], v[16:17], v[40:41]
	v_mul_f64 v[82:83], v[2:3], v[24:25]
	v_fmac_f64_e32 v[82:83], v[4:5], v[22:23]
	v_add_f64 v[82:83], v[82:83], 0
	v_mul_f64 v[4:5], v[4:5], v[24:25]
	v_mul_f64 v[84:85], v[6:7], v[32:33]
	v_fma_f64 v[2:3], v[2:3], v[22:23], -v[4:5]
	v_mul_f64 v[100:101], v[10:11], v[26:27]
	v_fmac_f64_e32 v[100:101], v[12:13], v[30:31]
	v_fmac_f64_e32 v[84:85], v[8:9], v[28:29]
	v_add_f64 v[102:103], v[82:83], v[84:85]
	buffer_load_dword v83, off, s[0:3], 0 offset:620
	buffer_load_dword v82, off, s[0:3], 0 offset:616
	;; [unrolled: 1-line block ×32, first 2 shown]
	v_add_f64 v[104:105], v[102:103], v[100:101]
	ds_read_b128 v[100:103], v98 offset:1120
	buffer_load_dword v197, off, s[0:3], 0 offset:732
	buffer_load_dword v196, off, s[0:3], 0 offset:728
	;; [unrolled: 1-line block ×4, first 2 shown]
	v_add_f64 v[108:109], v[104:105], v[106:107]
	ds_read_b128 v[104:107], v98 offset:1136
	v_mul_f64 v[4:5], v[8:9], v[32:33]
	s_waitcnt lgkmcnt(1)
	v_mul_f64 v[110:111], v[100:101], v[34:35]
	v_fmac_f64_e32 v[110:111], v[102:103], v[36:37]
	v_add_f64 v[112:113], v[108:109], v[110:111]
	ds_read_b128 v[108:111], v98 offset:1152
	s_waitcnt vmcnt(62) lgkmcnt(1)
	v_mul_f64 v[114:115], v[104:105], v[46:47]
	v_fmac_f64_e32 v[114:115], v[106:107], v[48:49]
	v_add_f64 v[120:121], v[112:113], v[114:115]
	ds_read_b128 v[112:115], v98 offset:1168
	s_waitcnt lgkmcnt(1)
	v_mul_f64 v[122:123], v[108:109], v[42:43]
	v_fmac_f64_e32 v[122:123], v[110:111], v[44:45]
	v_add_f64 v[124:125], v[120:121], v[122:123]
	ds_read_b128 v[120:123], v98 offset:1184
	s_waitcnt lgkmcnt(1)
	v_mul_f64 v[126:127], v[112:113], v[54:55]
	s_waitcnt vmcnt(60)
	v_fmac_f64_e32 v[126:127], v[114:115], v[56:57]
	v_add_f64 v[128:129], v[124:125], v[126:127]
	ds_read_b128 v[124:127], v98 offset:1200
	s_waitcnt lgkmcnt(1)
	v_mul_f64 v[130:131], v[120:121], v[50:51]
	v_fmac_f64_e32 v[130:131], v[122:123], v[52:53]
	v_add_f64 v[132:133], v[128:129], v[130:131]
	ds_read_b128 v[128:131], v98 offset:1216
	s_waitcnt vmcnt(54) lgkmcnt(1)
	v_mul_f64 v[134:135], v[124:125], v[62:63]
	s_waitcnt vmcnt(52)
	v_fmac_f64_e32 v[134:135], v[126:127], v[64:65]
	v_add_f64 v[136:137], v[132:133], v[134:135]
	ds_read_b128 v[132:135], v98 offset:1232
	s_waitcnt lgkmcnt(1)
	v_mul_f64 v[138:139], v[128:129], v[58:59]
	v_fmac_f64_e32 v[138:139], v[130:131], v[60:61]
	v_add_f64 v[2:3], v[2:3], 0
	v_fma_f64 v[4:5], v[6:7], v[28:29], -v[4:5]
	v_add_f64 v[140:141], v[136:137], v[138:139]
	ds_read_b128 v[136:139], v98 offset:1248
	v_add_f64 v[2:3], v[2:3], v[4:5]
	v_mul_f64 v[4:5], v[12:13], v[26:27]
	v_fma_f64 v[4:5], v[10:11], v[30:31], -v[4:5]
	v_add_f64 v[2:3], v[2:3], v[4:5]
	v_mul_f64 v[4:5], v[16:17], v[38:39]
	s_waitcnt vmcnt(46) lgkmcnt(1)
	v_mul_f64 v[142:143], v[132:133], v[70:71]
	v_fma_f64 v[4:5], v[14:15], v[40:41], -v[4:5]
	s_waitcnt vmcnt(44)
	v_fmac_f64_e32 v[142:143], v[134:135], v[72:73]
	v_add_f64 v[2:3], v[2:3], v[4:5]
	v_mul_f64 v[4:5], v[102:103], v[34:35]
	v_add_f64 v[144:145], v[140:141], v[142:143]
	ds_read_b128 v[140:143], v98 offset:1264
	s_waitcnt lgkmcnt(1)
	v_mul_f64 v[146:147], v[136:137], v[66:67]
	v_fma_f64 v[4:5], v[100:101], v[36:37], -v[4:5]
	v_fmac_f64_e32 v[146:147], v[138:139], v[68:69]
	v_add_f64 v[2:3], v[2:3], v[4:5]
	v_mul_f64 v[4:5], v[106:107], v[46:47]
	v_add_f64 v[148:149], v[144:145], v[146:147]
	ds_read_b128 v[144:147], v98 offset:1280
	v_fma_f64 v[4:5], v[104:105], v[48:49], -v[4:5]
	v_add_f64 v[2:3], v[2:3], v[4:5]
	v_mul_f64 v[4:5], v[110:111], v[42:43]
	v_fma_f64 v[4:5], v[108:109], v[44:45], -v[4:5]
	s_waitcnt vmcnt(38) lgkmcnt(1)
	v_mul_f64 v[150:151], v[140:141], v[78:79]
	v_add_f64 v[2:3], v[2:3], v[4:5]
	v_mul_f64 v[4:5], v[114:115], v[54:55]
	s_waitcnt vmcnt(36)
	v_fmac_f64_e32 v[150:151], v[142:143], v[80:81]
	v_fma_f64 v[4:5], v[112:113], v[56:57], -v[4:5]
	v_add_f64 v[152:153], v[148:149], v[150:151]
	ds_read_b128 v[148:151], v98 offset:1296
	s_waitcnt lgkmcnt(1)
	v_mul_f64 v[154:155], v[144:145], v[74:75]
	v_add_f64 v[2:3], v[2:3], v[4:5]
	v_mul_f64 v[4:5], v[122:123], v[50:51]
	v_fmac_f64_e32 v[154:155], v[146:147], v[76:77]
	v_fma_f64 v[4:5], v[120:121], v[52:53], -v[4:5]
	v_add_f64 v[156:157], v[152:153], v[154:155]
	ds_read_b128 v[152:155], v98 offset:1312
	v_add_f64 v[2:3], v[2:3], v[4:5]
	v_mul_f64 v[4:5], v[126:127], v[62:63]
	v_fma_f64 v[4:5], v[124:125], v[64:65], -v[4:5]
	v_add_f64 v[2:3], v[2:3], v[4:5]
	v_mul_f64 v[4:5], v[130:131], v[58:59]
	s_waitcnt vmcnt(30) lgkmcnt(1)
	v_mul_f64 v[158:159], v[148:149], v[86:87]
	v_fma_f64 v[4:5], v[128:129], v[60:61], -v[4:5]
	s_waitcnt vmcnt(28)
	v_fmac_f64_e32 v[158:159], v[150:151], v[88:89]
	v_add_f64 v[2:3], v[2:3], v[4:5]
	v_mul_f64 v[4:5], v[134:135], v[70:71]
	v_add_f64 v[160:161], v[156:157], v[158:159]
	ds_read_b128 v[156:159], v98 offset:1328
	s_waitcnt lgkmcnt(1)
	v_mul_f64 v[162:163], v[152:153], v[82:83]
	v_fma_f64 v[4:5], v[132:133], v[72:73], -v[4:5]
	v_fmac_f64_e32 v[162:163], v[154:155], v[84:85]
	v_add_f64 v[2:3], v[2:3], v[4:5]
	v_mul_f64 v[4:5], v[138:139], v[66:67]
	v_add_f64 v[164:165], v[160:161], v[162:163]
	ds_read_b128 v[160:163], v98 offset:1344
	v_fma_f64 v[4:5], v[136:137], v[68:69], -v[4:5]
	v_add_f64 v[2:3], v[2:3], v[4:5]
	v_mul_f64 v[4:5], v[142:143], v[78:79]
	v_fma_f64 v[4:5], v[140:141], v[80:81], -v[4:5]
	s_waitcnt vmcnt(22) lgkmcnt(1)
	v_mul_f64 v[166:167], v[156:157], v[94:95]
	v_add_f64 v[2:3], v[2:3], v[4:5]
	v_mul_f64 v[4:5], v[146:147], v[74:75]
	s_waitcnt vmcnt(20)
	v_fmac_f64_e32 v[166:167], v[158:159], v[96:97]
	v_fma_f64 v[4:5], v[144:145], v[76:77], -v[4:5]
	v_add_f64 v[168:169], v[164:165], v[166:167]
	ds_read_b128 v[164:167], v98 offset:1360
	s_waitcnt lgkmcnt(1)
	v_mul_f64 v[170:171], v[160:161], v[90:91]
	v_add_f64 v[2:3], v[2:3], v[4:5]
	v_mul_f64 v[4:5], v[150:151], v[86:87]
	v_fmac_f64_e32 v[170:171], v[162:163], v[92:93]
	v_fma_f64 v[4:5], v[148:149], v[88:89], -v[4:5]
	v_add_f64 v[172:173], v[168:169], v[170:171]
	ds_read_b128 v[168:171], v98 offset:1376
	v_add_f64 v[2:3], v[2:3], v[4:5]
	v_mul_f64 v[4:5], v[154:155], v[82:83]
	v_fma_f64 v[4:5], v[152:153], v[84:85], -v[4:5]
	v_add_f64 v[2:3], v[2:3], v[4:5]
	v_mul_f64 v[4:5], v[158:159], v[94:95]
	s_waitcnt vmcnt(14) lgkmcnt(1)
	v_mul_f64 v[174:175], v[164:165], v[184:185]
	v_fma_f64 v[4:5], v[156:157], v[96:97], -v[4:5]
	s_waitcnt vmcnt(12)
	v_fmac_f64_e32 v[174:175], v[166:167], v[186:187]
	v_add_f64 v[2:3], v[2:3], v[4:5]
	v_mul_f64 v[4:5], v[162:163], v[90:91]
	v_add_f64 v[176:177], v[172:173], v[174:175]
	ds_read_b128 v[172:175], v98 offset:1392
	s_waitcnt lgkmcnt(1)
	v_mul_f64 v[178:179], v[168:169], v[116:117]
	v_fma_f64 v[4:5], v[160:161], v[92:93], -v[4:5]
	v_fmac_f64_e32 v[178:179], v[170:171], v[118:119]
	v_add_f64 v[2:3], v[2:3], v[4:5]
	v_mul_f64 v[4:5], v[166:167], v[184:185]
	v_add_f64 v[200:201], v[176:177], v[178:179]
	ds_read_b128 v[176:179], v98 offset:1408
	v_fma_f64 v[4:5], v[164:165], v[186:187], -v[4:5]
	v_add_f64 v[2:3], v[2:3], v[4:5]
	v_mul_f64 v[4:5], v[170:171], v[116:117]
	ds_read_b128 v[180:183], v98 offset:1424
	v_fma_f64 v[4:5], v[168:169], v[118:119], -v[4:5]
	v_add_f64 v[2:3], v[2:3], v[4:5]
	s_waitcnt vmcnt(6) lgkmcnt(2)
	v_mul_f64 v[4:5], v[174:175], v[192:193]
	v_mul_f64 v[202:203], v[172:173], v[192:193]
	s_waitcnt vmcnt(4)
	v_fma_f64 v[4:5], v[172:173], v[194:195], -v[4:5]
	v_fmac_f64_e32 v[202:203], v[174:175], v[194:195]
	v_add_f64 v[2:3], v[2:3], v[4:5]
	s_waitcnt lgkmcnt(1)
	v_mul_f64 v[4:5], v[178:179], v[188:189]
	v_add_f64 v[98:99], v[200:201], v[202:203]
	v_mul_f64 v[200:201], v[176:177], v[188:189]
	v_fma_f64 v[4:5], v[176:177], v[190:191], -v[4:5]
	v_fmac_f64_e32 v[200:201], v[178:179], v[190:191]
	v_add_f64 v[2:3], v[2:3], v[4:5]
	s_waitcnt vmcnt(2) lgkmcnt(0)
	v_mul_f64 v[4:5], v[182:183], v[196:197]
	v_add_f64 v[98:99], v[98:99], v[200:201]
	v_mul_f64 v[200:201], v[180:181], v[196:197]
	s_waitcnt vmcnt(0)
	v_fma_f64 v[4:5], v[180:181], v[198:199], -v[4:5]
	v_fmac_f64_e32 v[200:201], v[182:183], v[198:199]
	v_add_f64 v[2:3], v[2:3], v[4:5]
	v_add_f64 v[98:99], v[98:99], v[200:201]
	v_add_f64 v[2:3], v[20:21], -v[2:3]
	v_add_f64 v[4:5], v[18:19], -v[98:99]
	buffer_store_dword v3, off, s[0:3], 0 offset:340
	buffer_store_dword v2, off, s[0:3], 0 offset:336
	;; [unrolled: 1-line block ×4, first 2 shown]
	s_and_saveexec_b64 s[4:5], vcc
	s_cbranch_execz .LBB108_245
; %bb.244:
	v_accvgpr_read_b32 v0, a115
	buffer_load_dword v2, v0, s[0:3], 0 offen
	buffer_load_dword v3, v0, s[0:3], 0 offen offset:4
	buffer_load_dword v4, v0, s[0:3], 0 offen offset:8
	;; [unrolled: 1-line block ×3, first 2 shown]
	v_mov_b32_e32 v0, 0
	v_accvgpr_read_b32 v1, a135
	buffer_store_dword v0, off, s[0:3], 0 offset:320
	buffer_store_dword v0, off, s[0:3], 0 offset:324
	;; [unrolled: 1-line block ×4, first 2 shown]
	s_waitcnt vmcnt(4)
	ds_write_b128 v1, v[2:5]
.LBB108_245:
	s_or_b64 exec, exec, s[4:5]
	s_waitcnt lgkmcnt(0)
	; wave barrier
	s_waitcnt lgkmcnt(0)
	buffer_load_dword v22, off, s[0:3], 0 offset:336
	buffer_load_dword v23, off, s[0:3], 0 offset:340
	;; [unrolled: 1-line block ×64, first 2 shown]
	v_mov_b32_e32 v114, 0
	ds_read_b128 v[18:21], v114 offset:1040
	ds_read_b128 v[14:17], v114 offset:1056
	;; [unrolled: 1-line block ×5, first 2 shown]
	v_cmp_lt_u32_e32 vcc, 18, v255
	s_waitcnt vmcnt(60) lgkmcnt(4)
	v_mul_f64 v[86:87], v[18:19], v[26:27]
	v_fmac_f64_e32 v[86:87], v[20:21], v[22:23]
	v_add_f64 v[86:87], v[86:87], 0
	v_mul_f64 v[20:21], v[20:21], v[26:27]
	s_waitcnt vmcnt(56) lgkmcnt(3)
	v_mul_f64 v[88:89], v[14:15], v[28:29]
	v_fmac_f64_e32 v[88:89], v[16:17], v[24:25]
	s_waitcnt vmcnt(54) lgkmcnt(2)
	v_mul_f64 v[90:91], v[10:11], v[30:31]
	v_add_f64 v[86:87], v[86:87], v[88:89]
	v_fma_f64 v[18:19], v[18:19], v[22:23], -v[20:21]
	v_mul_f64 v[16:17], v[16:17], v[28:29]
	s_waitcnt vmcnt(50) lgkmcnt(1)
	v_mul_f64 v[102:103], v[6:7], v[40:41]
	v_add_f64 v[18:19], v[18:19], 0
	s_waitcnt vmcnt(48)
	v_fmac_f64_e32 v[90:91], v[12:13], v[44:45]
	v_add_f64 v[104:105], v[86:87], v[90:91]
	buffer_load_dword v87, off, s[0:3], 0 offset:604
	buffer_load_dword v86, off, s[0:3], 0 offset:600
	;; [unrolled: 1-line block ×40, first 2 shown]
	s_waitcnt vmcnt(62)
	v_fmac_f64_e32 v[102:103], v[8:9], v[42:43]
	v_add_f64 v[106:107], v[104:105], v[102:103]
	ds_read_b128 v[102:105], v114 offset:1120
	s_waitcnt lgkmcnt(1)
	v_mul_f64 v[108:109], v[2:3], v[36:37]
	v_fmac_f64_e32 v[108:109], v[4:5], v[38:39]
	v_add_f64 v[110:111], v[106:107], v[108:109]
	ds_read_b128 v[106:109], v114 offset:1136
	s_waitcnt lgkmcnt(1)
	v_mul_f64 v[112:113], v[102:103], v[50:51]
	;; [unrolled: 5-line block ×5, first 2 shown]
	v_fmac_f64_e32 v[130:131], v[122:123], v[56:57]
	v_add_f64 v[132:133], v[128:129], v[130:131]
	ds_read_b128 v[128:131], v114 offset:1200
	s_waitcnt vmcnt(58) lgkmcnt(1)
	v_mul_f64 v[134:135], v[124:125], v[66:67]
	s_waitcnt vmcnt(56)
	v_fmac_f64_e32 v[134:135], v[126:127], v[68:69]
	v_add_f64 v[136:137], v[132:133], v[134:135]
	ds_read_b128 v[132:135], v114 offset:1216
	s_waitcnt lgkmcnt(1)
	v_mul_f64 v[138:139], v[128:129], v[62:63]
	v_fmac_f64_e32 v[138:139], v[130:131], v[64:65]
	v_add_f64 v[140:141], v[136:137], v[138:139]
	ds_read_b128 v[136:139], v114 offset:1232
	s_waitcnt vmcnt(50) lgkmcnt(1)
	v_mul_f64 v[142:143], v[132:133], v[74:75]
	s_waitcnt vmcnt(48)
	v_fmac_f64_e32 v[142:143], v[134:135], v[76:77]
	v_add_f64 v[144:145], v[140:141], v[142:143]
	ds_read_b128 v[140:143], v114 offset:1248
	v_fma_f64 v[14:15], v[14:15], v[24:25], -v[16:17]
	v_mul_f64 v[12:13], v[12:13], v[30:31]
	v_add_f64 v[14:15], v[18:19], v[14:15]
	v_fma_f64 v[10:11], v[10:11], v[44:45], -v[12:13]
	v_mul_f64 v[8:9], v[8:9], v[40:41]
	s_waitcnt lgkmcnt(1)
	v_mul_f64 v[146:147], v[136:137], v[70:71]
	v_add_f64 v[10:11], v[14:15], v[10:11]
	v_fma_f64 v[6:7], v[6:7], v[42:43], -v[8:9]
	v_mul_f64 v[4:5], v[4:5], v[36:37]
	v_fmac_f64_e32 v[146:147], v[138:139], v[72:73]
	v_add_f64 v[6:7], v[10:11], v[6:7]
	v_fma_f64 v[2:3], v[2:3], v[38:39], -v[4:5]
	v_mul_f64 v[4:5], v[104:105], v[50:51]
	v_add_f64 v[148:149], v[144:145], v[146:147]
	ds_read_b128 v[144:147], v114 offset:1264
	s_waitcnt vmcnt(42) lgkmcnt(1)
	v_mul_f64 v[150:151], v[140:141], v[82:83]
	v_add_f64 v[2:3], v[6:7], v[2:3]
	v_fma_f64 v[4:5], v[102:103], v[52:53], -v[4:5]
	s_waitcnt vmcnt(40)
	v_fmac_f64_e32 v[150:151], v[142:143], v[84:85]
	v_add_f64 v[2:3], v[2:3], v[4:5]
	v_mul_f64 v[4:5], v[108:109], v[46:47]
	v_add_f64 v[152:153], v[148:149], v[150:151]
	ds_read_b128 v[148:151], v114 offset:1280
	v_fma_f64 v[4:5], v[106:107], v[48:49], -v[4:5]
	v_add_f64 v[2:3], v[2:3], v[4:5]
	v_mul_f64 v[4:5], v[112:113], v[58:59]
	v_fma_f64 v[4:5], v[110:111], v[60:61], -v[4:5]
	s_waitcnt lgkmcnt(1)
	v_mul_f64 v[154:155], v[144:145], v[78:79]
	v_add_f64 v[2:3], v[2:3], v[4:5]
	v_mul_f64 v[4:5], v[122:123], v[54:55]
	v_fmac_f64_e32 v[154:155], v[146:147], v[80:81]
	v_fma_f64 v[4:5], v[120:121], v[56:57], -v[4:5]
	v_add_f64 v[156:157], v[152:153], v[154:155]
	ds_read_b128 v[152:155], v114 offset:1296
	s_waitcnt vmcnt(34) lgkmcnt(1)
	v_mul_f64 v[158:159], v[148:149], v[90:91]
	v_add_f64 v[2:3], v[2:3], v[4:5]
	v_mul_f64 v[4:5], v[126:127], v[66:67]
	s_waitcnt vmcnt(32)
	v_fmac_f64_e32 v[158:159], v[150:151], v[92:93]
	v_fma_f64 v[4:5], v[124:125], v[68:69], -v[4:5]
	v_add_f64 v[160:161], v[156:157], v[158:159]
	ds_read_b128 v[156:159], v114 offset:1312
	v_add_f64 v[2:3], v[2:3], v[4:5]
	v_mul_f64 v[4:5], v[130:131], v[62:63]
	v_fma_f64 v[4:5], v[128:129], v[64:65], -v[4:5]
	v_add_f64 v[2:3], v[2:3], v[4:5]
	v_mul_f64 v[4:5], v[134:135], v[74:75]
	s_waitcnt lgkmcnt(1)
	v_mul_f64 v[162:163], v[152:153], v[86:87]
	v_fma_f64 v[4:5], v[132:133], v[76:77], -v[4:5]
	v_fmac_f64_e32 v[162:163], v[154:155], v[88:89]
	v_add_f64 v[2:3], v[2:3], v[4:5]
	v_mul_f64 v[4:5], v[138:139], v[70:71]
	v_add_f64 v[164:165], v[160:161], v[162:163]
	ds_read_b128 v[160:163], v114 offset:1328
	s_waitcnt vmcnt(26) lgkmcnt(1)
	v_mul_f64 v[166:167], v[156:157], v[98:99]
	v_fma_f64 v[4:5], v[136:137], v[72:73], -v[4:5]
	s_waitcnt vmcnt(24)
	v_fmac_f64_e32 v[166:167], v[158:159], v[100:101]
	v_add_f64 v[2:3], v[2:3], v[4:5]
	v_mul_f64 v[4:5], v[142:143], v[82:83]
	v_add_f64 v[168:169], v[164:165], v[166:167]
	ds_read_b128 v[164:167], v114 offset:1344
	v_fma_f64 v[4:5], v[140:141], v[84:85], -v[4:5]
	v_add_f64 v[2:3], v[2:3], v[4:5]
	v_mul_f64 v[4:5], v[146:147], v[78:79]
	v_fma_f64 v[4:5], v[144:145], v[80:81], -v[4:5]
	s_waitcnt lgkmcnt(1)
	v_mul_f64 v[170:171], v[160:161], v[94:95]
	v_add_f64 v[2:3], v[2:3], v[4:5]
	v_mul_f64 v[4:5], v[150:151], v[90:91]
	v_fmac_f64_e32 v[170:171], v[162:163], v[96:97]
	v_fma_f64 v[4:5], v[148:149], v[92:93], -v[4:5]
	v_add_f64 v[172:173], v[168:169], v[170:171]
	ds_read_b128 v[168:171], v114 offset:1360
	s_waitcnt vmcnt(18) lgkmcnt(1)
	v_mul_f64 v[174:175], v[164:165], v[188:189]
	v_add_f64 v[2:3], v[2:3], v[4:5]
	v_mul_f64 v[4:5], v[154:155], v[86:87]
	s_waitcnt vmcnt(16)
	v_fmac_f64_e32 v[174:175], v[166:167], v[190:191]
	v_fma_f64 v[4:5], v[152:153], v[88:89], -v[4:5]
	v_add_f64 v[176:177], v[172:173], v[174:175]
	ds_read_b128 v[172:175], v114 offset:1376
	v_add_f64 v[2:3], v[2:3], v[4:5]
	v_mul_f64 v[4:5], v[158:159], v[98:99]
	v_fma_f64 v[4:5], v[156:157], v[100:101], -v[4:5]
	v_add_f64 v[2:3], v[2:3], v[4:5]
	v_mul_f64 v[4:5], v[162:163], v[94:95]
	s_waitcnt lgkmcnt(1)
	v_mul_f64 v[178:179], v[168:169], v[116:117]
	v_fma_f64 v[4:5], v[160:161], v[96:97], -v[4:5]
	v_fmac_f64_e32 v[178:179], v[170:171], v[118:119]
	v_add_f64 v[2:3], v[2:3], v[4:5]
	v_mul_f64 v[4:5], v[166:167], v[188:189]
	v_add_f64 v[180:181], v[176:177], v[178:179]
	ds_read_b128 v[176:179], v114 offset:1392
	s_waitcnt vmcnt(10) lgkmcnt(1)
	v_mul_f64 v[182:183], v[172:173], v[196:197]
	v_fma_f64 v[4:5], v[164:165], v[190:191], -v[4:5]
	s_waitcnt vmcnt(8)
	v_fmac_f64_e32 v[182:183], v[174:175], v[198:199]
	v_add_f64 v[2:3], v[2:3], v[4:5]
	v_mul_f64 v[4:5], v[170:171], v[116:117]
	v_add_f64 v[208:209], v[180:181], v[182:183]
	ds_read_b128 v[180:183], v114 offset:1408
	ds_read_b128 v[184:187], v114 offset:1424
	v_fma_f64 v[4:5], v[168:169], v[118:119], -v[4:5]
	v_add_f64 v[2:3], v[2:3], v[4:5]
	v_mul_f64 v[4:5], v[174:175], v[196:197]
	v_fma_f64 v[4:5], v[172:173], v[198:199], -v[4:5]
	v_add_f64 v[2:3], v[2:3], v[4:5]
	s_waitcnt lgkmcnt(2)
	v_mul_f64 v[4:5], v[178:179], v[192:193]
	v_mul_f64 v[210:211], v[176:177], v[192:193]
	v_fma_f64 v[4:5], v[176:177], v[194:195], -v[4:5]
	v_fmac_f64_e32 v[210:211], v[178:179], v[194:195]
	v_add_f64 v[2:3], v[2:3], v[4:5]
	s_waitcnt vmcnt(2) lgkmcnt(1)
	v_mul_f64 v[4:5], v[182:183], v[204:205]
	v_add_f64 v[208:209], v[208:209], v[210:211]
	v_mul_f64 v[210:211], v[180:181], v[204:205]
	s_waitcnt vmcnt(0)
	v_fma_f64 v[4:5], v[180:181], v[206:207], -v[4:5]
	v_fmac_f64_e32 v[210:211], v[182:183], v[206:207]
	v_add_f64 v[2:3], v[2:3], v[4:5]
	s_waitcnt lgkmcnt(0)
	v_mul_f64 v[4:5], v[186:187], v[200:201]
	v_add_f64 v[208:209], v[208:209], v[210:211]
	v_mul_f64 v[210:211], v[184:185], v[200:201]
	v_fma_f64 v[4:5], v[184:185], v[202:203], -v[4:5]
	v_fmac_f64_e32 v[210:211], v[186:187], v[202:203]
	v_add_f64 v[2:3], v[2:3], v[4:5]
	v_add_f64 v[208:209], v[208:209], v[210:211]
	v_add_f64 v[2:3], v[34:35], -v[2:3]
	v_add_f64 v[4:5], v[32:33], -v[208:209]
	buffer_store_dword v3, off, s[0:3], 0 offset:324
	buffer_store_dword v2, off, s[0:3], 0 offset:320
	buffer_store_dword v5, off, s[0:3], 0 offset:332
	buffer_store_dword v4, off, s[0:3], 0 offset:328
	s_and_saveexec_b64 s[4:5], vcc
	s_cbranch_execz .LBB108_247
; %bb.246:
	v_accvgpr_read_b32 v0, a116
	buffer_load_dword v2, v0, s[0:3], 0 offen
	buffer_load_dword v3, v0, s[0:3], 0 offen offset:4
	buffer_load_dword v4, v0, s[0:3], 0 offen offset:8
	;; [unrolled: 1-line block ×3, first 2 shown]
	v_accvgpr_read_b32 v0, a135
	buffer_store_dword v114, off, s[0:3], 0 offset:304
	buffer_store_dword v114, off, s[0:3], 0 offset:308
	;; [unrolled: 1-line block ×4, first 2 shown]
	s_waitcnt vmcnt(4)
	ds_write_b128 v0, v[2:5]
.LBB108_247:
	s_or_b64 exec, exec, s[4:5]
	s_waitcnt lgkmcnt(0)
	; wave barrier
	s_waitcnt lgkmcnt(0)
	buffer_load_dword v26, off, s[0:3], 0 offset:320
	buffer_load_dword v27, off, s[0:3], 0 offset:324
	;; [unrolled: 1-line block ×24, first 2 shown]
	ds_read_b128 v[22:25], v114 offset:1024
	ds_read_b128 v[18:21], v114 offset:1040
	;; [unrolled: 1-line block ×6, first 2 shown]
	buffer_load_dword v51, off, s[0:3], 0 offset:428
	buffer_load_dword v50, off, s[0:3], 0 offset:424
	;; [unrolled: 1-line block ×40, first 2 shown]
	v_cmp_lt_u32_e32 vcc, 17, v255
	s_waitcnt vmcnt(60) lgkmcnt(5)
	v_mul_f64 v[90:91], v[22:23], v[28:29]
	v_fmac_f64_e32 v[90:91], v[24:25], v[26:27]
	s_waitcnt vmcnt(58) lgkmcnt(4)
	v_mul_f64 v[92:93], v[18:19], v[30:31]
	v_add_f64 v[90:91], v[90:91], 0
	s_waitcnt vmcnt(56) lgkmcnt(3)
	v_mul_f64 v[94:95], v[10:11], v[32:33]
	v_mul_f64 v[24:25], v[24:25], v[28:29]
	v_fma_f64 v[22:23], v[22:23], v[26:27], -v[24:25]
	s_waitcnt vmcnt(54) lgkmcnt(1)
	v_mul_f64 v[116:117], v[2:3], v[38:39]
	v_add_f64 v[22:23], v[22:23], 0
	s_waitcnt vmcnt(51)
	v_mul_f64 v[96:97], v[6:7], v[42:43]
	s_waitcnt vmcnt(49)
	v_fmac_f64_e32 v[92:93], v[20:21], v[48:49]
	v_add_f64 v[90:91], v[90:91], v[92:93]
	s_waitcnt vmcnt(47)
	v_fmac_f64_e32 v[94:95], v[12:13], v[46:47]
	v_add_f64 v[90:91], v[90:91], v[94:95]
	;; [unrolled: 3-line block ×3, first 2 shown]
	buffer_load_dword v91, off, s[0:3], 0 offset:588
	buffer_load_dword v90, off, s[0:3], 0 offset:584
	;; [unrolled: 1-line block ×40, first 2 shown]
	ds_read_b128 v[120:123], v114 offset:1120
	buffer_load_dword v213, off, s[0:3], 0 offset:732
	buffer_load_dword v212, off, s[0:3], 0 offset:728
	;; [unrolled: 1-line block ×4, first 2 shown]
	v_mul_f64 v[20:21], v[20:21], v[30:31]
	v_fma_f64 v[18:19], v[18:19], v[48:49], -v[20:21]
	v_mul_f64 v[12:13], v[12:13], v[32:33]
	s_waitcnt vmcnt(62)
	v_fmac_f64_e32 v[116:117], v[4:5], v[40:41]
	ds_read_b128 v[124:127], v114 offset:1136
	ds_read_b128 v[128:131], v114 offset:1152
	v_add_f64 v[18:19], v[22:23], v[18:19]
	v_fma_f64 v[10:11], v[10:11], v[46:47], -v[12:13]
	v_mul_f64 v[8:9], v[8:9], v[42:43]
	v_add_f64 v[116:117], v[118:119], v[116:117]
	s_waitcnt lgkmcnt(3)
	v_mul_f64 v[118:119], v[14:15], v[54:55]
	v_add_f64 v[10:11], v[18:19], v[10:11]
	v_fma_f64 v[6:7], v[6:7], v[44:45], -v[8:9]
	v_mul_f64 v[4:5], v[4:5], v[38:39]
	v_fmac_f64_e32 v[118:119], v[16:17], v[56:57]
	v_add_f64 v[6:7], v[10:11], v[6:7]
	v_fma_f64 v[2:3], v[2:3], v[40:41], -v[4:5]
	v_mul_f64 v[4:5], v[16:17], v[54:55]
	v_add_f64 v[116:117], v[116:117], v[118:119]
	s_waitcnt lgkmcnt(2)
	v_mul_f64 v[118:119], v[120:121], v[50:51]
	v_add_f64 v[2:3], v[6:7], v[2:3]
	v_fma_f64 v[4:5], v[14:15], v[56:57], -v[4:5]
	v_fmac_f64_e32 v[118:119], v[122:123], v[52:53]
	ds_read_b128 v[132:135], v114 offset:1168
	ds_read_b128 v[136:139], v114 offset:1184
	v_add_f64 v[2:3], v[2:3], v[4:5]
	v_mul_f64 v[4:5], v[122:123], v[50:51]
	v_add_f64 v[116:117], v[116:117], v[118:119]
	s_waitcnt lgkmcnt(3)
	v_mul_f64 v[118:119], v[124:125], v[62:63]
	v_fma_f64 v[4:5], v[120:121], v[52:53], -v[4:5]
	v_fmac_f64_e32 v[118:119], v[126:127], v[64:65]
	v_add_f64 v[2:3], v[2:3], v[4:5]
	v_mul_f64 v[4:5], v[126:127], v[62:63]
	v_add_f64 v[116:117], v[116:117], v[118:119]
	s_waitcnt lgkmcnt(2)
	v_mul_f64 v[118:119], v[128:129], v[58:59]
	v_fma_f64 v[4:5], v[124:125], v[64:65], -v[4:5]
	v_fmac_f64_e32 v[118:119], v[130:131], v[60:61]
	ds_read_b128 v[140:143], v114 offset:1200
	ds_read_b128 v[144:147], v114 offset:1216
	v_add_f64 v[2:3], v[2:3], v[4:5]
	v_mul_f64 v[4:5], v[130:131], v[58:59]
	v_add_f64 v[116:117], v[116:117], v[118:119]
	s_waitcnt lgkmcnt(3)
	v_mul_f64 v[118:119], v[132:133], v[70:71]
	v_fma_f64 v[4:5], v[128:129], v[60:61], -v[4:5]
	s_waitcnt vmcnt(60)
	v_fmac_f64_e32 v[118:119], v[134:135], v[72:73]
	v_add_f64 v[2:3], v[2:3], v[4:5]
	v_mul_f64 v[4:5], v[134:135], v[70:71]
	v_add_f64 v[116:117], v[116:117], v[118:119]
	s_waitcnt lgkmcnt(2)
	v_mul_f64 v[118:119], v[136:137], v[66:67]
	v_fma_f64 v[4:5], v[132:133], v[72:73], -v[4:5]
	v_fmac_f64_e32 v[118:119], v[138:139], v[68:69]
	ds_read_b128 v[148:151], v114 offset:1232
	ds_read_b128 v[152:155], v114 offset:1248
	v_add_f64 v[2:3], v[2:3], v[4:5]
	v_mul_f64 v[4:5], v[138:139], v[66:67]
	v_add_f64 v[116:117], v[116:117], v[118:119]
	s_waitcnt vmcnt(54) lgkmcnt(3)
	v_mul_f64 v[118:119], v[140:141], v[78:79]
	v_fma_f64 v[4:5], v[136:137], v[68:69], -v[4:5]
	s_waitcnt vmcnt(52)
	v_fmac_f64_e32 v[118:119], v[142:143], v[80:81]
	v_add_f64 v[2:3], v[2:3], v[4:5]
	v_mul_f64 v[4:5], v[142:143], v[78:79]
	v_add_f64 v[116:117], v[116:117], v[118:119]
	s_waitcnt lgkmcnt(2)
	v_mul_f64 v[118:119], v[144:145], v[74:75]
	v_fma_f64 v[4:5], v[140:141], v[80:81], -v[4:5]
	v_fmac_f64_e32 v[118:119], v[146:147], v[76:77]
	ds_read_b128 v[156:159], v114 offset:1264
	ds_read_b128 v[160:163], v114 offset:1280
	v_add_f64 v[2:3], v[2:3], v[4:5]
	v_mul_f64 v[4:5], v[146:147], v[74:75]
	v_add_f64 v[116:117], v[116:117], v[118:119]
	s_waitcnt vmcnt(46) lgkmcnt(3)
	;; [unrolled: 17-line block ×5, first 2 shown]
	v_mul_f64 v[118:119], v[172:173], v[110:111]
	v_fma_f64 v[4:5], v[168:169], v[100:101], -v[4:5]
	s_waitcnt vmcnt(20)
	v_fmac_f64_e32 v[118:119], v[174:175], v[112:113]
	v_add_f64 v[2:3], v[2:3], v[4:5]
	v_mul_f64 v[4:5], v[174:175], v[110:111]
	v_add_f64 v[116:117], v[116:117], v[118:119]
	s_waitcnt lgkmcnt(2)
	v_mul_f64 v[118:119], v[176:177], v[106:107]
	v_fma_f64 v[4:5], v[172:173], v[112:113], -v[4:5]
	v_fmac_f64_e32 v[118:119], v[178:179], v[108:109]
	v_add_f64 v[2:3], v[2:3], v[4:5]
	v_mul_f64 v[4:5], v[178:179], v[106:107]
	v_add_f64 v[116:117], v[116:117], v[118:119]
	s_waitcnt vmcnt(14) lgkmcnt(1)
	v_mul_f64 v[118:119], v[180:181], v[200:201]
	ds_read_b128 v[188:191], v114 offset:1392
	ds_read_b128 v[192:195], v114 offset:1408
	v_fma_f64 v[4:5], v[176:177], v[108:109], -v[4:5]
	s_waitcnt vmcnt(12)
	v_fmac_f64_e32 v[118:119], v[182:183], v[202:203]
	v_add_f64 v[2:3], v[2:3], v[4:5]
	v_mul_f64 v[4:5], v[182:183], v[200:201]
	v_add_f64 v[116:117], v[116:117], v[118:119]
	s_waitcnt lgkmcnt(2)
	v_mul_f64 v[118:119], v[184:185], v[196:197]
	v_fma_f64 v[4:5], v[180:181], v[202:203], -v[4:5]
	v_fmac_f64_e32 v[118:119], v[186:187], v[198:199]
	v_add_f64 v[2:3], v[2:3], v[4:5]
	v_mul_f64 v[4:5], v[186:187], v[196:197]
	v_add_f64 v[118:119], v[116:117], v[118:119]
	ds_read_b128 v[114:117], v114 offset:1424
	v_fma_f64 v[4:5], v[184:185], v[198:199], -v[4:5]
	v_add_f64 v[2:3], v[2:3], v[4:5]
	s_waitcnt vmcnt(6) lgkmcnt(2)
	v_mul_f64 v[4:5], v[190:191], v[208:209]
	v_mul_f64 v[216:217], v[188:189], v[208:209]
	s_waitcnt vmcnt(4)
	v_fma_f64 v[4:5], v[188:189], v[210:211], -v[4:5]
	v_fmac_f64_e32 v[216:217], v[190:191], v[210:211]
	v_add_f64 v[2:3], v[2:3], v[4:5]
	s_waitcnt lgkmcnt(1)
	v_mul_f64 v[4:5], v[194:195], v[204:205]
	v_add_f64 v[118:119], v[118:119], v[216:217]
	v_mul_f64 v[216:217], v[192:193], v[204:205]
	v_fma_f64 v[4:5], v[192:193], v[206:207], -v[4:5]
	v_fmac_f64_e32 v[216:217], v[194:195], v[206:207]
	v_add_f64 v[2:3], v[2:3], v[4:5]
	s_waitcnt vmcnt(2) lgkmcnt(0)
	v_mul_f64 v[4:5], v[116:117], v[212:213]
	v_add_f64 v[118:119], v[118:119], v[216:217]
	v_mul_f64 v[216:217], v[114:115], v[212:213]
	s_waitcnt vmcnt(0)
	v_fma_f64 v[4:5], v[114:115], v[214:215], -v[4:5]
	v_fmac_f64_e32 v[216:217], v[116:117], v[214:215]
	v_add_f64 v[2:3], v[2:3], v[4:5]
	v_add_f64 v[118:119], v[118:119], v[216:217]
	v_add_f64 v[2:3], v[36:37], -v[2:3]
	v_add_f64 v[4:5], v[34:35], -v[118:119]
	buffer_store_dword v3, off, s[0:3], 0 offset:308
	buffer_store_dword v2, off, s[0:3], 0 offset:304
	;; [unrolled: 1-line block ×4, first 2 shown]
	s_and_saveexec_b64 s[4:5], vcc
	s_cbranch_execz .LBB108_249
; %bb.248:
	v_accvgpr_read_b32 v0, a117
	buffer_load_dword v2, v0, s[0:3], 0 offen
	buffer_load_dword v3, v0, s[0:3], 0 offen offset:4
	buffer_load_dword v4, v0, s[0:3], 0 offen offset:8
	;; [unrolled: 1-line block ×3, first 2 shown]
	v_mov_b32_e32 v0, 0
	v_accvgpr_read_b32 v1, a135
	buffer_store_dword v0, off, s[0:3], 0 offset:288
	buffer_store_dword v0, off, s[0:3], 0 offset:292
	;; [unrolled: 1-line block ×4, first 2 shown]
	s_waitcnt vmcnt(4)
	ds_write_b128 v1, v[2:5]
.LBB108_249:
	s_or_b64 exec, exec, s[4:5]
	s_waitcnt lgkmcnt(0)
	; wave barrier
	s_waitcnt lgkmcnt(0)
	buffer_load_dword v30, off, s[0:3], 0 offset:304
	buffer_load_dword v31, off, s[0:3], 0 offset:308
	;; [unrolled: 1-line block ×56, first 2 shown]
	v_mov_b32_e32 v136, 0
	ds_read_b128 v[26:29], v136 offset:1008
	ds_read_b128 v[22:25], v136 offset:1024
	;; [unrolled: 1-line block ×7, first 2 shown]
	v_cmp_lt_u32_e32 vcc, 16, v255
	s_waitcnt vmcnt(52) lgkmcnt(6)
	v_mul_f64 v[86:87], v[26:27], v[34:35]
	v_fmac_f64_e32 v[86:87], v[28:29], v[30:31]
	v_add_f64 v[86:87], v[86:87], 0
	v_mul_f64 v[28:29], v[28:29], v[34:35]
	s_waitcnt vmcnt(48) lgkmcnt(5)
	v_mul_f64 v[88:89], v[22:23], v[36:37]
	v_fmac_f64_e32 v[88:89], v[24:25], v[32:33]
	s_waitcnt vmcnt(46) lgkmcnt(4)
	v_mul_f64 v[90:91], v[18:19], v[38:39]
	v_add_f64 v[86:87], v[86:87], v[88:89]
	s_waitcnt vmcnt(44) lgkmcnt(2)
	v_mul_f64 v[94:95], v[10:11], v[40:41]
	v_fma_f64 v[26:27], v[26:27], v[30:31], -v[28:29]
	s_waitcnt vmcnt(42)
	v_fmac_f64_e32 v[94:95], v[12:13], v[42:43]
	v_mul_f64 v[24:25], v[24:25], v[36:37]
	s_waitcnt vmcnt(40)
	v_mul_f64 v[92:93], v[14:15], v[48:49]
	v_add_f64 v[26:27], v[26:27], 0
	v_fma_f64 v[22:23], v[22:23], v[32:33], -v[24:25]
	v_add_f64 v[22:23], v[26:27], v[22:23]
	s_waitcnt vmcnt(36) lgkmcnt(1)
	v_mul_f64 v[110:111], v[6:7], v[54:55]
	v_mul_f64 v[12:13], v[12:13], v[40:41]
	s_waitcnt vmcnt(34)
	v_fmac_f64_e32 v[90:91], v[20:21], v[60:61]
	v_add_f64 v[86:87], v[86:87], v[90:91]
	s_waitcnt vmcnt(32)
	v_fmac_f64_e32 v[92:93], v[16:17], v[58:59]
	v_add_f64 v[86:87], v[86:87], v[92:93]
	v_add_f64 v[116:117], v[86:87], v[94:95]
	buffer_load_dword v87, off, s[0:3], 0 offset:540
	buffer_load_dword v86, off, s[0:3], 0 offset:536
	;; [unrolled: 1-line block ×56, first 2 shown]
	ds_read_b128 v[126:129], v136 offset:1120
	ds_read_b128 v[130:133], v136 offset:1136
	v_mul_f64 v[20:21], v[20:21], v[38:39]
	v_fma_f64 v[18:19], v[18:19], v[60:61], -v[20:21]
	v_mul_f64 v[16:17], v[16:17], v[48:49]
	s_waitcnt vmcnt(62)
	v_fmac_f64_e32 v[110:111], v[8:9], v[56:57]
	v_add_f64 v[18:19], v[22:23], v[18:19]
	v_fma_f64 v[14:15], v[14:15], v[58:59], -v[16:17]
	v_add_f64 v[110:111], v[116:117], v[110:111]
	s_waitcnt lgkmcnt(2)
	v_mul_f64 v[116:117], v[2:3], v[50:51]
	v_add_f64 v[14:15], v[18:19], v[14:15]
	v_fma_f64 v[10:11], v[10:11], v[42:43], -v[12:13]
	v_mul_f64 v[8:9], v[8:9], v[54:55]
	v_fmac_f64_e32 v[116:117], v[4:5], v[52:53]
	ds_read_b128 v[138:141], v136 offset:1152
	ds_read_b128 v[142:145], v136 offset:1168
	v_add_f64 v[10:11], v[14:15], v[10:11]
	v_fma_f64 v[6:7], v[6:7], v[56:57], -v[8:9]
	v_mul_f64 v[4:5], v[4:5], v[50:51]
	v_add_f64 v[6:7], v[10:11], v[6:7]
	v_fma_f64 v[2:3], v[2:3], v[52:53], -v[4:5]
	s_waitcnt lgkmcnt(3)
	v_mul_f64 v[4:5], v[128:129], v[66:67]
	v_add_f64 v[110:111], v[110:111], v[116:117]
	v_mul_f64 v[116:117], v[126:127], v[66:67]
	v_add_f64 v[2:3], v[6:7], v[2:3]
	v_fma_f64 v[4:5], v[126:127], v[68:69], -v[4:5]
	v_fmac_f64_e32 v[116:117], v[128:129], v[68:69]
	v_add_f64 v[2:3], v[2:3], v[4:5]
	s_waitcnt lgkmcnt(2)
	v_mul_f64 v[4:5], v[132:133], v[62:63]
	v_add_f64 v[110:111], v[110:111], v[116:117]
	v_mul_f64 v[116:117], v[130:131], v[62:63]
	ds_read_b128 v[146:149], v136 offset:1184
	ds_read_b128 v[150:153], v136 offset:1200
	v_fma_f64 v[4:5], v[130:131], v[64:65], -v[4:5]
	v_fmac_f64_e32 v[116:117], v[132:133], v[64:65]
	v_add_f64 v[2:3], v[2:3], v[4:5]
	s_waitcnt lgkmcnt(3)
	v_mul_f64 v[4:5], v[140:141], v[74:75]
	v_add_f64 v[110:111], v[110:111], v[116:117]
	v_mul_f64 v[116:117], v[138:139], v[74:75]
	v_fma_f64 v[4:5], v[138:139], v[76:77], -v[4:5]
	v_fmac_f64_e32 v[116:117], v[140:141], v[76:77]
	v_add_f64 v[2:3], v[2:3], v[4:5]
	s_waitcnt lgkmcnt(2)
	v_mul_f64 v[4:5], v[144:145], v[70:71]
	v_add_f64 v[110:111], v[110:111], v[116:117]
	v_mul_f64 v[116:117], v[142:143], v[70:71]
	ds_read_b128 v[154:157], v136 offset:1216
	ds_read_b128 v[158:161], v136 offset:1232
	v_fma_f64 v[4:5], v[142:143], v[72:73], -v[4:5]
	v_fmac_f64_e32 v[116:117], v[144:145], v[72:73]
	v_add_f64 v[2:3], v[2:3], v[4:5]
	s_waitcnt vmcnt(58) lgkmcnt(3)
	v_mul_f64 v[4:5], v[148:149], v[82:83]
	v_add_f64 v[110:111], v[110:111], v[116:117]
	v_mul_f64 v[116:117], v[146:147], v[82:83]
	s_waitcnt vmcnt(56)
	v_fma_f64 v[4:5], v[146:147], v[84:85], -v[4:5]
	v_fmac_f64_e32 v[116:117], v[148:149], v[84:85]
	v_add_f64 v[2:3], v[2:3], v[4:5]
	s_waitcnt lgkmcnt(2)
	v_mul_f64 v[4:5], v[152:153], v[78:79]
	v_add_f64 v[110:111], v[110:111], v[116:117]
	v_mul_f64 v[116:117], v[150:151], v[78:79]
	ds_read_b128 v[162:165], v136 offset:1248
	ds_read_b128 v[166:169], v136 offset:1264
	v_fma_f64 v[4:5], v[150:151], v[80:81], -v[4:5]
	v_fmac_f64_e32 v[116:117], v[152:153], v[80:81]
	v_add_f64 v[2:3], v[2:3], v[4:5]
	s_waitcnt vmcnt(50) lgkmcnt(3)
	v_mul_f64 v[4:5], v[156:157], v[90:91]
	v_add_f64 v[110:111], v[110:111], v[116:117]
	v_mul_f64 v[116:117], v[154:155], v[90:91]
	s_waitcnt vmcnt(48)
	;; [unrolled: 17-line block ×7, first 2 shown]
	v_fma_f64 v[4:5], v[194:195], v[206:207], -v[4:5]
	v_fmac_f64_e32 v[116:117], v[196:197], v[206:207]
	v_add_f64 v[2:3], v[2:3], v[4:5]
	s_waitcnt lgkmcnt(2)
	v_mul_f64 v[4:5], v[210:211], v[200:201]
	v_add_f64 v[110:111], v[110:111], v[116:117]
	v_mul_f64 v[116:117], v[208:209], v[200:201]
	v_fma_f64 v[4:5], v[208:209], v[202:203], -v[4:5]
	v_fmac_f64_e32 v[116:117], v[210:211], v[202:203]
	v_add_f64 v[2:3], v[2:3], v[4:5]
	s_waitcnt vmcnt(2) lgkmcnt(1)
	v_mul_f64 v[4:5], v[214:215], v[224:225]
	v_add_f64 v[110:111], v[110:111], v[116:117]
	v_mul_f64 v[116:117], v[212:213], v[224:225]
	s_waitcnt vmcnt(0)
	v_fma_f64 v[4:5], v[212:213], v[226:227], -v[4:5]
	v_fmac_f64_e32 v[116:117], v[214:215], v[226:227]
	v_add_f64 v[2:3], v[2:3], v[4:5]
	s_waitcnt lgkmcnt(0)
	v_mul_f64 v[4:5], v[218:219], v[220:221]
	v_add_f64 v[110:111], v[110:111], v[116:117]
	v_mul_f64 v[116:117], v[216:217], v[220:221]
	v_fma_f64 v[4:5], v[216:217], v[222:223], -v[4:5]
	v_fmac_f64_e32 v[116:117], v[218:219], v[222:223]
	v_add_f64 v[2:3], v[2:3], v[4:5]
	v_add_f64 v[110:111], v[110:111], v[116:117]
	v_add_f64 v[2:3], v[46:47], -v[2:3]
	v_add_f64 v[4:5], v[44:45], -v[110:111]
	buffer_store_dword v3, off, s[0:3], 0 offset:292
	buffer_store_dword v2, off, s[0:3], 0 offset:288
	buffer_store_dword v5, off, s[0:3], 0 offset:300
	buffer_store_dword v4, off, s[0:3], 0 offset:296
	s_and_saveexec_b64 s[4:5], vcc
	s_cbranch_execz .LBB108_251
; %bb.250:
	v_accvgpr_read_b32 v0, a118
	buffer_load_dword v2, v0, s[0:3], 0 offen
	buffer_load_dword v3, v0, s[0:3], 0 offen offset:4
	buffer_load_dword v4, v0, s[0:3], 0 offen offset:8
	;; [unrolled: 1-line block ×3, first 2 shown]
	v_accvgpr_read_b32 v0, a135
	buffer_store_dword v136, off, s[0:3], 0 offset:272
	buffer_store_dword v136, off, s[0:3], 0 offset:276
	;; [unrolled: 1-line block ×4, first 2 shown]
	s_waitcnt vmcnt(4)
	ds_write_b128 v0, v[2:5]
.LBB108_251:
	s_or_b64 exec, exec, s[4:5]
	s_waitcnt lgkmcnt(0)
	; wave barrier
	s_waitcnt lgkmcnt(0)
	buffer_load_dword v34, off, s[0:3], 0 offset:288
	buffer_load_dword v35, off, s[0:3], 0 offset:292
	;; [unrolled: 1-line block ×32, first 2 shown]
	ds_read_b128 v[30:33], v136 offset:992
	ds_read_b128 v[26:29], v136 offset:1008
	;; [unrolled: 1-line block ×8, first 2 shown]
	buffer_load_dword v67, off, s[0:3], 0 offset:428
	buffer_load_dword v66, off, s[0:3], 0 offset:424
	;; [unrolled: 1-line block ×24, first 2 shown]
	v_cmp_lt_u32_e32 vcc, 15, v255
	s_waitcnt vmcnt(52) lgkmcnt(7)
	v_mul_f64 v[90:91], v[30:31], v[38:39]
	v_fmac_f64_e32 v[90:91], v[32:33], v[34:35]
	v_add_f64 v[90:91], v[90:91], 0
	v_mul_f64 v[32:33], v[32:33], v[38:39]
	s_waitcnt vmcnt(48) lgkmcnt(6)
	v_mul_f64 v[92:93], v[26:27], v[40:41]
	v_fmac_f64_e32 v[92:93], v[28:29], v[36:37]
	s_waitcnt vmcnt(46) lgkmcnt(5)
	v_mul_f64 v[94:95], v[22:23], v[42:43]
	v_add_f64 v[90:91], v[90:91], v[92:93]
	s_waitcnt vmcnt(44) lgkmcnt(4)
	v_mul_f64 v[96:97], v[18:19], v[48:49]
	v_fma_f64 v[30:31], v[30:31], v[34:35], -v[32:33]
	s_waitcnt vmcnt(42) lgkmcnt(1)
	v_mul_f64 v[124:125], v[2:3], v[50:51]
	v_mul_f64 v[28:29], v[28:29], v[40:41]
	s_waitcnt vmcnt(18) lgkmcnt(0)
	v_mul_f64 v[140:141], v[14:15], v[70:71]
	v_mul_f64 v[100:101], v[6:7], v[54:55]
	s_waitcnt vmcnt(16)
	v_fmac_f64_e32 v[140:141], v[16:17], v[72:73]
	v_mul_f64 v[98:99], v[10:11], v[56:57]
	v_add_f64 v[30:31], v[30:31], 0
	v_fmac_f64_e32 v[98:99], v[12:13], v[58:59]
	v_fma_f64 v[26:27], v[26:27], v[36:37], -v[28:29]
	v_fmac_f64_e32 v[94:95], v[24:25], v[64:65]
	v_add_f64 v[90:91], v[90:91], v[94:95]
	v_fmac_f64_e32 v[96:97], v[20:21], v[62:63]
	v_add_f64 v[90:91], v[90:91], v[96:97]
	;; [unrolled: 2-line block ×3, first 2 shown]
	v_add_f64 v[126:127], v[90:91], v[100:101]
	buffer_load_dword v91, off, s[0:3], 0 offset:524
	buffer_load_dword v90, off, s[0:3], 0 offset:520
	;; [unrolled: 1-line block ×56, first 2 shown]
	v_fmac_f64_e32 v[124:125], v[4:5], v[52:53]
	v_add_f64 v[138:139], v[126:127], v[124:125]
	ds_read_b128 v[124:127], v136 offset:1120
	buffer_load_dword v229, off, s[0:3], 0 offset:732
	buffer_load_dword v228, off, s[0:3], 0 offset:728
	;; [unrolled: 1-line block ×4, first 2 shown]
	v_add_f64 v[142:143], v[138:139], v[140:141]
	ds_read_b128 v[138:141], v136 offset:1136
	v_mul_f64 v[24:25], v[24:25], v[42:43]
	s_waitcnt lgkmcnt(1)
	v_mul_f64 v[144:145], v[124:125], v[66:67]
	v_fmac_f64_e32 v[144:145], v[126:127], v[68:69]
	v_add_f64 v[146:147], v[142:143], v[144:145]
	ds_read_b128 v[142:145], v136 offset:1152
	s_waitcnt vmcnt(62) lgkmcnt(1)
	v_mul_f64 v[148:149], v[138:139], v[78:79]
	v_fmac_f64_e32 v[148:149], v[140:141], v[80:81]
	v_add_f64 v[150:151], v[146:147], v[148:149]
	ds_read_b128 v[146:149], v136 offset:1168
	s_waitcnt lgkmcnt(1)
	v_mul_f64 v[152:153], v[142:143], v[74:75]
	v_fmac_f64_e32 v[152:153], v[144:145], v[76:77]
	v_add_f64 v[154:155], v[150:151], v[152:153]
	ds_read_b128 v[150:153], v136 offset:1184
	s_waitcnt lgkmcnt(1)
	v_mul_f64 v[156:157], v[146:147], v[86:87]
	s_waitcnt vmcnt(60)
	v_fmac_f64_e32 v[156:157], v[148:149], v[88:89]
	v_add_f64 v[158:159], v[154:155], v[156:157]
	ds_read_b128 v[154:157], v136 offset:1200
	s_waitcnt lgkmcnt(1)
	v_mul_f64 v[160:161], v[150:151], v[82:83]
	v_fmac_f64_e32 v[160:161], v[152:153], v[84:85]
	v_add_f64 v[162:163], v[158:159], v[160:161]
	ds_read_b128 v[158:161], v136 offset:1216
	v_add_f64 v[26:27], v[30:31], v[26:27]
	v_fma_f64 v[22:23], v[22:23], v[64:65], -v[24:25]
	s_waitcnt vmcnt(54) lgkmcnt(1)
	v_mul_f64 v[164:165], v[154:155], v[94:95]
	v_mul_f64 v[20:21], v[20:21], v[48:49]
	s_waitcnt vmcnt(52)
	v_fmac_f64_e32 v[164:165], v[156:157], v[96:97]
	v_add_f64 v[166:167], v[162:163], v[164:165]
	ds_read_b128 v[162:165], v136 offset:1232
	s_waitcnt lgkmcnt(1)
	v_mul_f64 v[168:169], v[158:159], v[90:91]
	v_fmac_f64_e32 v[168:169], v[160:161], v[92:93]
	v_add_f64 v[22:23], v[26:27], v[22:23]
	v_fma_f64 v[18:19], v[18:19], v[62:63], -v[20:21]
	v_mul_f64 v[12:13], v[12:13], v[56:57]
	v_add_f64 v[170:171], v[166:167], v[168:169]
	ds_read_b128 v[166:169], v136 offset:1248
	v_add_f64 v[18:19], v[22:23], v[18:19]
	v_fma_f64 v[10:11], v[10:11], v[58:59], -v[12:13]
	v_mul_f64 v[8:9], v[8:9], v[54:55]
	v_add_f64 v[10:11], v[18:19], v[10:11]
	v_fma_f64 v[6:7], v[6:7], v[60:61], -v[8:9]
	v_mul_f64 v[4:5], v[4:5], v[50:51]
	;; [unrolled: 3-line block ×3, first 2 shown]
	s_waitcnt vmcnt(46) lgkmcnt(1)
	v_mul_f64 v[172:173], v[162:163], v[102:103]
	v_add_f64 v[2:3], v[6:7], v[2:3]
	v_fma_f64 v[4:5], v[14:15], v[72:73], -v[4:5]
	s_waitcnt vmcnt(44)
	v_fmac_f64_e32 v[172:173], v[164:165], v[104:105]
	v_add_f64 v[2:3], v[2:3], v[4:5]
	v_mul_f64 v[4:5], v[126:127], v[66:67]
	v_add_f64 v[174:175], v[170:171], v[172:173]
	ds_read_b128 v[170:173], v136 offset:1264
	s_waitcnt lgkmcnt(1)
	v_mul_f64 v[176:177], v[166:167], v[98:99]
	v_fma_f64 v[4:5], v[124:125], v[68:69], -v[4:5]
	v_fmac_f64_e32 v[176:177], v[168:169], v[100:101]
	v_add_f64 v[2:3], v[2:3], v[4:5]
	v_mul_f64 v[4:5], v[140:141], v[78:79]
	v_add_f64 v[178:179], v[174:175], v[176:177]
	ds_read_b128 v[174:177], v136 offset:1280
	v_fma_f64 v[4:5], v[138:139], v[80:81], -v[4:5]
	v_add_f64 v[2:3], v[2:3], v[4:5]
	v_mul_f64 v[4:5], v[144:145], v[74:75]
	v_fma_f64 v[4:5], v[142:143], v[76:77], -v[4:5]
	s_waitcnt vmcnt(38) lgkmcnt(1)
	v_mul_f64 v[180:181], v[170:171], v[110:111]
	v_add_f64 v[2:3], v[2:3], v[4:5]
	v_mul_f64 v[4:5], v[148:149], v[86:87]
	s_waitcnt vmcnt(36)
	v_fmac_f64_e32 v[180:181], v[172:173], v[112:113]
	v_fma_f64 v[4:5], v[146:147], v[88:89], -v[4:5]
	v_add_f64 v[182:183], v[178:179], v[180:181]
	ds_read_b128 v[178:181], v136 offset:1296
	s_waitcnt lgkmcnt(1)
	v_mul_f64 v[184:185], v[174:175], v[106:107]
	v_add_f64 v[2:3], v[2:3], v[4:5]
	v_mul_f64 v[4:5], v[152:153], v[82:83]
	v_fmac_f64_e32 v[184:185], v[176:177], v[108:109]
	v_fma_f64 v[4:5], v[150:151], v[84:85], -v[4:5]
	v_add_f64 v[186:187], v[182:183], v[184:185]
	ds_read_b128 v[182:185], v136 offset:1312
	v_add_f64 v[2:3], v[2:3], v[4:5]
	v_mul_f64 v[4:5], v[156:157], v[94:95]
	v_fma_f64 v[4:5], v[154:155], v[96:97], -v[4:5]
	v_add_f64 v[2:3], v[2:3], v[4:5]
	v_mul_f64 v[4:5], v[160:161], v[90:91]
	s_waitcnt vmcnt(30) lgkmcnt(1)
	v_mul_f64 v[188:189], v[178:179], v[120:121]
	v_fma_f64 v[4:5], v[158:159], v[92:93], -v[4:5]
	s_waitcnt vmcnt(28)
	v_fmac_f64_e32 v[188:189], v[180:181], v[122:123]
	v_add_f64 v[2:3], v[2:3], v[4:5]
	v_mul_f64 v[4:5], v[164:165], v[102:103]
	v_add_f64 v[190:191], v[186:187], v[188:189]
	ds_read_b128 v[186:189], v136 offset:1328
	s_waitcnt lgkmcnt(1)
	v_mul_f64 v[192:193], v[182:183], v[114:115]
	v_fma_f64 v[4:5], v[162:163], v[104:105], -v[4:5]
	v_fmac_f64_e32 v[192:193], v[184:185], v[116:117]
	v_add_f64 v[2:3], v[2:3], v[4:5]
	v_mul_f64 v[4:5], v[168:169], v[98:99]
	v_add_f64 v[194:195], v[190:191], v[192:193]
	ds_read_b128 v[190:193], v136 offset:1344
	v_fma_f64 v[4:5], v[166:167], v[100:101], -v[4:5]
	v_add_f64 v[2:3], v[2:3], v[4:5]
	v_mul_f64 v[4:5], v[172:173], v[110:111]
	v_fma_f64 v[4:5], v[170:171], v[112:113], -v[4:5]
	s_waitcnt vmcnt(22) lgkmcnt(1)
	v_mul_f64 v[196:197], v[186:187], v[132:133]
	v_add_f64 v[2:3], v[2:3], v[4:5]
	v_mul_f64 v[4:5], v[176:177], v[106:107]
	s_waitcnt vmcnt(20)
	v_fmac_f64_e32 v[196:197], v[188:189], v[134:135]
	v_fma_f64 v[4:5], v[174:175], v[108:109], -v[4:5]
	v_add_f64 v[208:209], v[194:195], v[196:197]
	ds_read_b128 v[194:197], v136 offset:1360
	s_waitcnt lgkmcnt(1)
	v_mul_f64 v[210:211], v[190:191], v[128:129]
	v_add_f64 v[2:3], v[2:3], v[4:5]
	v_mul_f64 v[4:5], v[180:181], v[120:121]
	v_fmac_f64_e32 v[210:211], v[192:193], v[130:131]
	v_fma_f64 v[4:5], v[178:179], v[122:123], -v[4:5]
	v_add_f64 v[212:213], v[208:209], v[210:211]
	ds_read_b128 v[208:211], v136 offset:1376
	v_add_f64 v[2:3], v[2:3], v[4:5]
	v_mul_f64 v[4:5], v[184:185], v[114:115]
	v_fma_f64 v[4:5], v[182:183], v[116:117], -v[4:5]
	v_add_f64 v[2:3], v[2:3], v[4:5]
	v_mul_f64 v[4:5], v[188:189], v[132:133]
	s_waitcnt vmcnt(14) lgkmcnt(1)
	v_mul_f64 v[214:215], v[194:195], v[200:201]
	v_fma_f64 v[4:5], v[186:187], v[134:135], -v[4:5]
	s_waitcnt vmcnt(12)
	v_fmac_f64_e32 v[214:215], v[196:197], v[202:203]
	v_add_f64 v[2:3], v[2:3], v[4:5]
	v_mul_f64 v[4:5], v[192:193], v[128:129]
	v_add_f64 v[216:217], v[212:213], v[214:215]
	ds_read_b128 v[212:215], v136 offset:1392
	s_waitcnt lgkmcnt(1)
	v_mul_f64 v[218:219], v[208:209], v[118:119]
	v_fma_f64 v[4:5], v[190:191], v[130:131], -v[4:5]
	v_fmac_f64_e32 v[218:219], v[210:211], v[198:199]
	v_add_f64 v[2:3], v[2:3], v[4:5]
	v_mul_f64 v[4:5], v[196:197], v[200:201]
	v_add_f64 v[232:233], v[216:217], v[218:219]
	ds_read_b128 v[216:219], v136 offset:1408
	v_fma_f64 v[4:5], v[194:195], v[202:203], -v[4:5]
	v_add_f64 v[2:3], v[2:3], v[4:5]
	v_mul_f64 v[4:5], v[210:211], v[118:119]
	ds_read_b128 v[220:223], v136 offset:1424
	v_fma_f64 v[4:5], v[208:209], v[198:199], -v[4:5]
	v_add_f64 v[2:3], v[2:3], v[4:5]
	s_waitcnt vmcnt(6) lgkmcnt(2)
	v_mul_f64 v[4:5], v[214:215], v[224:225]
	v_mul_f64 v[234:235], v[212:213], v[224:225]
	s_waitcnt vmcnt(4)
	v_fma_f64 v[4:5], v[212:213], v[226:227], -v[4:5]
	v_fmac_f64_e32 v[234:235], v[214:215], v[226:227]
	v_add_f64 v[2:3], v[2:3], v[4:5]
	s_waitcnt lgkmcnt(1)
	v_mul_f64 v[4:5], v[218:219], v[204:205]
	v_add_f64 v[136:137], v[232:233], v[234:235]
	v_mul_f64 v[232:233], v[216:217], v[204:205]
	v_fma_f64 v[4:5], v[216:217], v[206:207], -v[4:5]
	v_fmac_f64_e32 v[232:233], v[218:219], v[206:207]
	v_add_f64 v[2:3], v[2:3], v[4:5]
	s_waitcnt vmcnt(2) lgkmcnt(0)
	v_mul_f64 v[4:5], v[222:223], v[228:229]
	v_add_f64 v[136:137], v[136:137], v[232:233]
	v_mul_f64 v[232:233], v[220:221], v[228:229]
	s_waitcnt vmcnt(0)
	v_fma_f64 v[4:5], v[220:221], v[230:231], -v[4:5]
	v_fmac_f64_e32 v[232:233], v[222:223], v[230:231]
	v_add_f64 v[2:3], v[2:3], v[4:5]
	v_add_f64 v[136:137], v[136:137], v[232:233]
	v_add_f64 v[2:3], v[46:47], -v[2:3]
	v_add_f64 v[4:5], v[44:45], -v[136:137]
	buffer_store_dword v3, off, s[0:3], 0 offset:276
	buffer_store_dword v2, off, s[0:3], 0 offset:272
	;; [unrolled: 1-line block ×4, first 2 shown]
	s_and_saveexec_b64 s[4:5], vcc
	s_cbranch_execz .LBB108_253
; %bb.252:
	v_accvgpr_read_b32 v0, a119
	buffer_load_dword v2, v0, s[0:3], 0 offen
	buffer_load_dword v3, v0, s[0:3], 0 offen offset:4
	buffer_load_dword v4, v0, s[0:3], 0 offen offset:8
	;; [unrolled: 1-line block ×3, first 2 shown]
	v_mov_b32_e32 v0, 0
	v_accvgpr_read_b32 v1, a135
	buffer_store_dword v0, off, s[0:3], 0 offset:256
	buffer_store_dword v0, off, s[0:3], 0 offset:260
	;; [unrolled: 1-line block ×4, first 2 shown]
	s_waitcnt vmcnt(4)
	ds_write_b128 v1, v[2:5]
.LBB108_253:
	s_or_b64 exec, exec, s[4:5]
	s_waitcnt lgkmcnt(0)
	; wave barrier
	s_waitcnt lgkmcnt(0)
	buffer_load_dword v38, off, s[0:3], 0 offset:272
	buffer_load_dword v39, off, s[0:3], 0 offset:276
	;; [unrolled: 1-line block ×48, first 2 shown]
	v_mov_b32_e32 v152, 0
	ds_read_b128 v[34:37], v152 offset:976
	ds_read_b128 v[30:33], v152 offset:992
	;; [unrolled: 1-line block ×9, first 2 shown]
	v_cmp_lt_u32_e32 vcc, 14, v255
	s_waitcnt vmcnt(44) lgkmcnt(8)
	v_mul_f64 v[86:87], v[34:35], v[42:43]
	v_fmac_f64_e32 v[86:87], v[36:37], v[38:39]
	v_add_f64 v[86:87], v[86:87], 0
	v_mul_f64 v[36:37], v[36:37], v[42:43]
	s_waitcnt vmcnt(40) lgkmcnt(7)
	v_mul_f64 v[88:89], v[30:31], v[44:45]
	v_fmac_f64_e32 v[88:89], v[32:33], v[40:41]
	s_waitcnt vmcnt(38) lgkmcnt(6)
	v_mul_f64 v[90:91], v[26:27], v[46:47]
	v_add_f64 v[86:87], v[86:87], v[88:89]
	s_waitcnt vmcnt(36) lgkmcnt(4)
	v_mul_f64 v[94:95], v[18:19], v[48:49]
	v_fma_f64 v[34:35], v[34:35], v[38:39], -v[36:37]
	s_waitcnt vmcnt(34)
	v_fmac_f64_e32 v[94:95], v[20:21], v[50:51]
	v_mul_f64 v[32:33], v[32:33], v[44:45]
	s_waitcnt vmcnt(32)
	v_mul_f64 v[92:93], v[22:23], v[52:53]
	v_add_f64 v[34:35], v[34:35], 0
	s_waitcnt vmcnt(30) lgkmcnt(2)
	v_mul_f64 v[98:99], v[10:11], v[54:55]
	v_fma_f64 v[30:31], v[30:31], v[40:41], -v[32:33]
	s_waitcnt vmcnt(28)
	v_fmac_f64_e32 v[98:99], v[12:13], v[56:57]
	v_add_f64 v[30:31], v[34:35], v[30:31]
	s_waitcnt vmcnt(26)
	v_mul_f64 v[96:97], v[14:15], v[58:59]
	v_mul_f64 v[20:21], v[20:21], v[48:49]
	v_fma_f64 v[18:19], v[18:19], v[50:51], -v[20:21]
	v_mul_f64 v[12:13], v[12:13], v[54:55]
	s_waitcnt vmcnt(22) lgkmcnt(1)
	v_mul_f64 v[110:111], v[6:7], v[68:69]
	v_fma_f64 v[10:11], v[10:11], v[56:57], -v[12:13]
	s_waitcnt vmcnt(20)
	v_fmac_f64_e32 v[90:91], v[28:29], v[76:77]
	v_add_f64 v[86:87], v[86:87], v[90:91]
	s_waitcnt vmcnt(18)
	v_fmac_f64_e32 v[92:93], v[24:25], v[74:75]
	v_add_f64 v[86:87], v[86:87], v[92:93]
	;; [unrolled: 3-line block ×3, first 2 shown]
	v_add_f64 v[86:87], v[86:87], v[96:97]
	v_add_f64 v[112:113], v[86:87], v[98:99]
	buffer_load_dword v87, off, s[0:3], 0 offset:476
	buffer_load_dword v86, off, s[0:3], 0 offset:472
	;; [unrolled: 1-line block ×72, first 2 shown]
	s_waitcnt vmcnt(62)
	v_fmac_f64_e32 v[110:111], v[8:9], v[70:71]
	v_add_f64 v[144:145], v[112:113], v[110:111]
	ds_read_b128 v[110:113], v152 offset:1120
	s_waitcnt lgkmcnt(1)
	v_mul_f64 v[146:147], v[2:3], v[64:65]
	v_fmac_f64_e32 v[146:147], v[4:5], v[66:67]
	v_add_f64 v[148:149], v[144:145], v[146:147]
	ds_read_b128 v[144:147], v152 offset:1136
	s_waitcnt lgkmcnt(1)
	v_mul_f64 v[150:151], v[110:111], v[82:83]
	;; [unrolled: 5-line block ×5, first 2 shown]
	v_fmac_f64_e32 v[164:165], v[156:157], v[88:89]
	v_add_f64 v[166:167], v[162:163], v[164:165]
	ds_read_b128 v[162:165], v152 offset:1200
	s_waitcnt vmcnt(58) lgkmcnt(1)
	v_mul_f64 v[168:169], v[158:159], v[98:99]
	s_waitcnt vmcnt(56)
	v_fmac_f64_e32 v[168:169], v[160:161], v[100:101]
	v_add_f64 v[170:171], v[166:167], v[168:169]
	ds_read_b128 v[166:169], v152 offset:1216
	s_waitcnt lgkmcnt(1)
	v_mul_f64 v[172:173], v[162:163], v[94:95]
	v_fmac_f64_e32 v[172:173], v[164:165], v[96:97]
	v_mul_f64 v[28:29], v[28:29], v[46:47]
	v_add_f64 v[174:175], v[170:171], v[172:173]
	ds_read_b128 v[170:173], v152 offset:1232
	s_waitcnt vmcnt(50) lgkmcnt(1)
	v_mul_f64 v[176:177], v[166:167], v[106:107]
	v_fma_f64 v[26:27], v[26:27], v[76:77], -v[28:29]
	v_mul_f64 v[24:25], v[24:25], v[52:53]
	s_waitcnt vmcnt(48)
	v_fmac_f64_e32 v[176:177], v[168:169], v[108:109]
	v_add_f64 v[26:27], v[30:31], v[26:27]
	v_fma_f64 v[22:23], v[22:23], v[74:75], -v[24:25]
	v_add_f64 v[178:179], v[174:175], v[176:177]
	ds_read_b128 v[174:177], v152 offset:1248
	v_add_f64 v[22:23], v[26:27], v[22:23]
	v_mul_f64 v[16:17], v[16:17], v[58:59]
	v_add_f64 v[18:19], v[22:23], v[18:19]
	v_fma_f64 v[14:15], v[14:15], v[72:73], -v[16:17]
	v_add_f64 v[14:15], v[18:19], v[14:15]
	v_mul_f64 v[8:9], v[8:9], v[68:69]
	s_waitcnt lgkmcnt(1)
	v_mul_f64 v[180:181], v[170:171], v[102:103]
	v_add_f64 v[10:11], v[14:15], v[10:11]
	v_fma_f64 v[6:7], v[6:7], v[70:71], -v[8:9]
	v_mul_f64 v[4:5], v[4:5], v[64:65]
	v_fmac_f64_e32 v[180:181], v[172:173], v[104:105]
	v_add_f64 v[6:7], v[10:11], v[6:7]
	v_fma_f64 v[2:3], v[2:3], v[66:67], -v[4:5]
	v_mul_f64 v[4:5], v[112:113], v[82:83]
	v_add_f64 v[182:183], v[178:179], v[180:181]
	ds_read_b128 v[178:181], v152 offset:1264
	s_waitcnt vmcnt(42) lgkmcnt(1)
	v_mul_f64 v[184:185], v[174:175], v[120:121]
	v_add_f64 v[2:3], v[6:7], v[2:3]
	v_fma_f64 v[4:5], v[110:111], v[84:85], -v[4:5]
	s_waitcnt vmcnt(40)
	v_fmac_f64_e32 v[184:185], v[176:177], v[122:123]
	v_add_f64 v[2:3], v[2:3], v[4:5]
	v_mul_f64 v[4:5], v[146:147], v[78:79]
	v_add_f64 v[186:187], v[182:183], v[184:185]
	ds_read_b128 v[182:185], v152 offset:1280
	v_fma_f64 v[4:5], v[144:145], v[80:81], -v[4:5]
	v_add_f64 v[2:3], v[2:3], v[4:5]
	v_mul_f64 v[4:5], v[150:151], v[90:91]
	v_fma_f64 v[4:5], v[148:149], v[92:93], -v[4:5]
	s_waitcnt lgkmcnt(1)
	v_mul_f64 v[188:189], v[178:179], v[114:115]
	v_add_f64 v[2:3], v[2:3], v[4:5]
	v_mul_f64 v[4:5], v[156:157], v[86:87]
	v_fmac_f64_e32 v[188:189], v[180:181], v[116:117]
	v_fma_f64 v[4:5], v[154:155], v[88:89], -v[4:5]
	v_add_f64 v[190:191], v[186:187], v[188:189]
	ds_read_b128 v[186:189], v152 offset:1296
	s_waitcnt vmcnt(34) lgkmcnt(1)
	v_mul_f64 v[192:193], v[182:183], v[128:129]
	v_add_f64 v[2:3], v[2:3], v[4:5]
	v_mul_f64 v[4:5], v[160:161], v[98:99]
	s_waitcnt vmcnt(32)
	v_fmac_f64_e32 v[192:193], v[184:185], v[130:131]
	v_fma_f64 v[4:5], v[158:159], v[100:101], -v[4:5]
	v_add_f64 v[194:195], v[190:191], v[192:193]
	ds_read_b128 v[190:193], v152 offset:1312
	v_add_f64 v[2:3], v[2:3], v[4:5]
	v_mul_f64 v[4:5], v[164:165], v[94:95]
	v_fma_f64 v[4:5], v[162:163], v[96:97], -v[4:5]
	v_add_f64 v[2:3], v[2:3], v[4:5]
	v_mul_f64 v[4:5], v[168:169], v[106:107]
	s_waitcnt lgkmcnt(1)
	v_mul_f64 v[196:197], v[186:187], v[124:125]
	v_fma_f64 v[4:5], v[166:167], v[108:109], -v[4:5]
	v_fmac_f64_e32 v[196:197], v[188:189], v[126:127]
	v_add_f64 v[2:3], v[2:3], v[4:5]
	v_mul_f64 v[4:5], v[172:173], v[102:103]
	v_add_f64 v[208:209], v[194:195], v[196:197]
	ds_read_b128 v[194:197], v152 offset:1328
	s_waitcnt vmcnt(26) lgkmcnt(1)
	v_mul_f64 v[210:211], v[190:191], v[136:137]
	v_fma_f64 v[4:5], v[170:171], v[104:105], -v[4:5]
	s_waitcnt vmcnt(24)
	v_fmac_f64_e32 v[210:211], v[192:193], v[138:139]
	v_add_f64 v[2:3], v[2:3], v[4:5]
	v_mul_f64 v[4:5], v[176:177], v[120:121]
	v_add_f64 v[212:213], v[208:209], v[210:211]
	ds_read_b128 v[208:211], v152 offset:1344
	v_fma_f64 v[4:5], v[174:175], v[122:123], -v[4:5]
	v_add_f64 v[2:3], v[2:3], v[4:5]
	v_mul_f64 v[4:5], v[180:181], v[114:115]
	v_fma_f64 v[4:5], v[178:179], v[116:117], -v[4:5]
	s_waitcnt lgkmcnt(1)
	v_mul_f64 v[214:215], v[194:195], v[132:133]
	v_add_f64 v[2:3], v[2:3], v[4:5]
	v_mul_f64 v[4:5], v[184:185], v[128:129]
	v_fmac_f64_e32 v[214:215], v[196:197], v[134:135]
	v_fma_f64 v[4:5], v[182:183], v[130:131], -v[4:5]
	v_add_f64 v[216:217], v[212:213], v[214:215]
	ds_read_b128 v[212:215], v152 offset:1360
	s_waitcnt vmcnt(18) lgkmcnt(1)
	v_mul_f64 v[218:219], v[208:209], v[118:119]
	v_add_f64 v[2:3], v[2:3], v[4:5]
	v_mul_f64 v[4:5], v[188:189], v[124:125]
	s_waitcnt vmcnt(16)
	v_fmac_f64_e32 v[218:219], v[210:211], v[198:199]
	v_fma_f64 v[4:5], v[186:187], v[126:127], -v[4:5]
	v_add_f64 v[220:221], v[216:217], v[218:219]
	ds_read_b128 v[216:219], v152 offset:1376
	v_add_f64 v[2:3], v[2:3], v[4:5]
	v_mul_f64 v[4:5], v[192:193], v[136:137]
	v_fma_f64 v[4:5], v[190:191], v[138:139], -v[4:5]
	v_add_f64 v[2:3], v[2:3], v[4:5]
	v_mul_f64 v[4:5], v[196:197], v[132:133]
	s_waitcnt lgkmcnt(1)
	v_mul_f64 v[222:223], v[212:213], v[140:141]
	v_fma_f64 v[4:5], v[194:195], v[134:135], -v[4:5]
	v_fmac_f64_e32 v[222:223], v[214:215], v[142:143]
	v_add_f64 v[2:3], v[2:3], v[4:5]
	v_mul_f64 v[4:5], v[210:211], v[118:119]
	v_add_f64 v[224:225], v[220:221], v[222:223]
	ds_read_b128 v[220:223], v152 offset:1392
	s_waitcnt vmcnt(10) lgkmcnt(1)
	v_mul_f64 v[226:227], v[216:217], v[204:205]
	v_fma_f64 v[4:5], v[208:209], v[198:199], -v[4:5]
	s_waitcnt vmcnt(8)
	v_fmac_f64_e32 v[226:227], v[218:219], v[206:207]
	v_add_f64 v[2:3], v[2:3], v[4:5]
	v_mul_f64 v[4:5], v[214:215], v[140:141]
	v_add_f64 v[240:241], v[224:225], v[226:227]
	ds_read_b128 v[224:227], v152 offset:1408
	ds_read_b128 v[228:231], v152 offset:1424
	v_fma_f64 v[4:5], v[212:213], v[142:143], -v[4:5]
	v_add_f64 v[2:3], v[2:3], v[4:5]
	v_mul_f64 v[4:5], v[218:219], v[204:205]
	v_fma_f64 v[4:5], v[216:217], v[206:207], -v[4:5]
	v_add_f64 v[2:3], v[2:3], v[4:5]
	s_waitcnt lgkmcnt(2)
	v_mul_f64 v[4:5], v[222:223], v[200:201]
	v_mul_f64 v[242:243], v[220:221], v[200:201]
	v_fma_f64 v[4:5], v[220:221], v[202:203], -v[4:5]
	v_fmac_f64_e32 v[242:243], v[222:223], v[202:203]
	v_add_f64 v[2:3], v[2:3], v[4:5]
	s_waitcnt vmcnt(2) lgkmcnt(1)
	v_mul_f64 v[4:5], v[226:227], v[236:237]
	v_add_f64 v[240:241], v[240:241], v[242:243]
	v_mul_f64 v[242:243], v[224:225], v[236:237]
	s_waitcnt vmcnt(0)
	v_fma_f64 v[4:5], v[224:225], v[238:239], -v[4:5]
	v_fmac_f64_e32 v[242:243], v[226:227], v[238:239]
	v_add_f64 v[2:3], v[2:3], v[4:5]
	s_waitcnt lgkmcnt(0)
	v_mul_f64 v[4:5], v[230:231], v[232:233]
	v_add_f64 v[240:241], v[240:241], v[242:243]
	v_mul_f64 v[242:243], v[228:229], v[232:233]
	v_fma_f64 v[4:5], v[228:229], v[234:235], -v[4:5]
	v_fmac_f64_e32 v[242:243], v[230:231], v[234:235]
	v_add_f64 v[2:3], v[2:3], v[4:5]
	v_add_f64 v[240:241], v[240:241], v[242:243]
	v_add_f64 v[2:3], v[62:63], -v[2:3]
	v_add_f64 v[4:5], v[60:61], -v[240:241]
	buffer_store_dword v3, off, s[0:3], 0 offset:260
	buffer_store_dword v2, off, s[0:3], 0 offset:256
	;; [unrolled: 1-line block ×4, first 2 shown]
	s_and_saveexec_b64 s[4:5], vcc
	s_cbranch_execz .LBB108_255
; %bb.254:
	v_accvgpr_read_b32 v0, a120
	buffer_load_dword v2, v0, s[0:3], 0 offen
	buffer_load_dword v3, v0, s[0:3], 0 offen offset:4
	buffer_load_dword v4, v0, s[0:3], 0 offen offset:8
	;; [unrolled: 1-line block ×3, first 2 shown]
	v_accvgpr_read_b32 v0, a135
	buffer_store_dword v152, off, s[0:3], 0 offset:240
	buffer_store_dword v152, off, s[0:3], 0 offset:244
	;; [unrolled: 1-line block ×4, first 2 shown]
	s_waitcnt vmcnt(4)
	ds_write_b128 v0, v[2:5]
.LBB108_255:
	s_or_b64 exec, exec, s[4:5]
	s_waitcnt lgkmcnt(0)
	; wave barrier
	s_waitcnt lgkmcnt(0)
	buffer_load_dword v48, off, s[0:3], 0 offset:256
	buffer_load_dword v49, off, s[0:3], 0 offset:260
	;; [unrolled: 1-line block ×40, first 2 shown]
	ds_read_b128 v[38:41], v152 offset:960
	ds_read_b128 v[34:37], v152 offset:976
	;; [unrolled: 1-line block ×10, first 2 shown]
	buffer_load_dword v83, off, s[0:3], 0 offset:428
	buffer_load_dword v82, off, s[0:3], 0 offset:424
	buffer_load_dword v85, off, s[0:3], 0 offset:420
	buffer_load_dword v84, off, s[0:3], 0 offset:416
	buffer_load_dword v87, off, s[0:3], 0 offset:412
	buffer_load_dword v86, off, s[0:3], 0 offset:408
	buffer_load_dword v89, off, s[0:3], 0 offset:404
	buffer_load_dword v88, off, s[0:3], 0 offset:400
	v_cmp_lt_u32_e32 vcc, 13, v255
	s_waitcnt vmcnt(44) lgkmcnt(9)
	v_mul_f64 v[90:91], v[38:39], v[50:51]
	v_fmac_f64_e32 v[90:91], v[40:41], v[48:49]
	v_add_f64 v[90:91], v[90:91], 0
	v_mul_f64 v[40:41], v[40:41], v[50:51]
	s_waitcnt vmcnt(40) lgkmcnt(8)
	v_mul_f64 v[92:93], v[34:35], v[44:45]
	v_fmac_f64_e32 v[92:93], v[36:37], v[42:43]
	s_waitcnt vmcnt(38) lgkmcnt(7)
	v_mul_f64 v[94:95], v[30:31], v[46:47]
	v_add_f64 v[90:91], v[90:91], v[92:93]
	s_waitcnt vmcnt(36) lgkmcnt(5)
	v_mul_f64 v[98:99], v[22:23], v[52:53]
	v_mul_f64 v[36:37], v[36:37], v[44:45]
	s_waitcnt vmcnt(34)
	v_fmac_f64_e32 v[98:99], v[24:25], v[54:55]
	v_fma_f64 v[34:35], v[34:35], v[42:43], -v[36:37]
	s_waitcnt vmcnt(32)
	v_mul_f64 v[96:97], v[26:27], v[56:57]
	v_mul_f64 v[24:25], v[24:25], v[52:53]
	s_waitcnt vmcnt(30) lgkmcnt(4)
	v_mul_f64 v[100:101], v[18:19], v[62:63]
	v_fma_f64 v[22:23], v[22:23], v[54:55], -v[24:25]
	s_waitcnt vmcnt(28) lgkmcnt(1)
	v_mul_f64 v[124:125], v[2:3], v[64:65]
	s_waitcnt vmcnt(25)
	v_mul_f64 v[104:105], v[6:7], v[68:69]
	s_waitcnt vmcnt(23)
	;; [unrolled: 2-line block ×3, first 2 shown]
	v_fmac_f64_e32 v[102:103], v[12:13], v[72:73]
	v_mul_f64 v[12:13], v[12:13], v[70:71]
	s_waitcnt vmcnt(19)
	v_fmac_f64_e32 v[94:95], v[32:33], v[80:81]
	v_add_f64 v[90:91], v[90:91], v[94:95]
	s_waitcnt vmcnt(17)
	v_fmac_f64_e32 v[96:97], v[28:29], v[78:79]
	v_add_f64 v[90:91], v[90:91], v[96:97]
	;; [unrolled: 3-line block ×3, first 2 shown]
	v_add_f64 v[90:91], v[90:91], v[100:101]
	s_waitcnt vmcnt(13)
	v_fmac_f64_e32 v[104:105], v[8:9], v[74:75]
	v_add_f64 v[90:91], v[90:91], v[102:103]
	v_add_f64 v[126:127], v[90:91], v[104:105]
	buffer_load_dword v91, off, s[0:3], 0 offset:460
	buffer_load_dword v90, off, s[0:3], 0 offset:456
	buffer_load_dword v93, off, s[0:3], 0 offset:452
	buffer_load_dword v92, off, s[0:3], 0 offset:448
	buffer_load_dword v95, off, s[0:3], 0 offset:444
	buffer_load_dword v94, off, s[0:3], 0 offset:440
	buffer_load_dword v97, off, s[0:3], 0 offset:436
	buffer_load_dword v96, off, s[0:3], 0 offset:432
	buffer_load_dword v99, off, s[0:3], 0 offset:492
	buffer_load_dword v98, off, s[0:3], 0 offset:488
	buffer_load_dword v101, off, s[0:3], 0 offset:484
	buffer_load_dword v100, off, s[0:3], 0 offset:480
	buffer_load_dword v103, off, s[0:3], 0 offset:476
	buffer_load_dword v102, off, s[0:3], 0 offset:472
	buffer_load_dword v105, off, s[0:3], 0 offset:468
	buffer_load_dword v104, off, s[0:3], 0 offset:464
	buffer_load_dword v107, off, s[0:3], 0 offset:524
	buffer_load_dword v106, off, s[0:3], 0 offset:520
	buffer_load_dword v109, off, s[0:3], 0 offset:516
	buffer_load_dword v108, off, s[0:3], 0 offset:512
	buffer_load_dword v111, off, s[0:3], 0 offset:508
	buffer_load_dword v110, off, s[0:3], 0 offset:504
	buffer_load_dword v113, off, s[0:3], 0 offset:500
	buffer_load_dword v112, off, s[0:3], 0 offset:496
	buffer_load_dword v115, off, s[0:3], 0 offset:556
	buffer_load_dword v114, off, s[0:3], 0 offset:552
	buffer_load_dword v117, off, s[0:3], 0 offset:548
	buffer_load_dword v116, off, s[0:3], 0 offset:544
	buffer_load_dword v121, off, s[0:3], 0 offset:540
	buffer_load_dword v120, off, s[0:3], 0 offset:536
	buffer_load_dword v123, off, s[0:3], 0 offset:532
	buffer_load_dword v122, off, s[0:3], 0 offset:528
	buffer_load_dword v129, off, s[0:3], 0 offset:588
	buffer_load_dword v128, off, s[0:3], 0 offset:584
	buffer_load_dword v131, off, s[0:3], 0 offset:580
	buffer_load_dword v130, off, s[0:3], 0 offset:576
	buffer_load_dword v133, off, s[0:3], 0 offset:572
	buffer_load_dword v132, off, s[0:3], 0 offset:568
	buffer_load_dword v135, off, s[0:3], 0 offset:564
	buffer_load_dword v134, off, s[0:3], 0 offset:560
	buffer_load_dword v137, off, s[0:3], 0 offset:620
	buffer_load_dword v136, off, s[0:3], 0 offset:616
	buffer_load_dword v139, off, s[0:3], 0 offset:612
	buffer_load_dword v138, off, s[0:3], 0 offset:608
	buffer_load_dword v141, off, s[0:3], 0 offset:604
	buffer_load_dword v140, off, s[0:3], 0 offset:600
	buffer_load_dword v143, off, s[0:3], 0 offset:596
	buffer_load_dword v142, off, s[0:3], 0 offset:592
	buffer_load_dword v145, off, s[0:3], 0 offset:652
	buffer_load_dword v144, off, s[0:3], 0 offset:648
	buffer_load_dword v147, off, s[0:3], 0 offset:644
	buffer_load_dword v146, off, s[0:3], 0 offset:640
	buffer_load_dword v149, off, s[0:3], 0 offset:636
	buffer_load_dword v148, off, s[0:3], 0 offset:632
	buffer_load_dword v151, off, s[0:3], 0 offset:628
	buffer_load_dword v150, off, s[0:3], 0 offset:624
	buffer_load_dword v119, off, s[0:3], 0 offset:684
	buffer_load_dword v118, off, s[0:3], 0 offset:680
	buffer_load_dword v199, off, s[0:3], 0 offset:676
	buffer_load_dword v198, off, s[0:3], 0 offset:672
	buffer_load_dword v201, off, s[0:3], 0 offset:668
	buffer_load_dword v200, off, s[0:3], 0 offset:664
	buffer_load_dword v203, off, s[0:3], 0 offset:660
	buffer_load_dword v202, off, s[0:3], 0 offset:656
	buffer_load_dword v205, off, s[0:3], 0 offset:716
	buffer_load_dword v204, off, s[0:3], 0 offset:712
	buffer_load_dword v207, off, s[0:3], 0 offset:708
	buffer_load_dword v206, off, s[0:3], 0 offset:704
	buffer_load_dword v233, off, s[0:3], 0 offset:700
	buffer_load_dword v232, off, s[0:3], 0 offset:696
	buffer_load_dword v235, off, s[0:3], 0 offset:692
	buffer_load_dword v234, off, s[0:3], 0 offset:688
	s_waitcnt vmcnt(62)
	v_fmac_f64_e32 v[124:125], v[4:5], v[66:67]
	v_add_f64 v[154:155], v[126:127], v[124:125]
	ds_read_b128 v[124:127], v152 offset:1120
	buffer_load_dword v237, off, s[0:3], 0 offset:732
	buffer_load_dword v236, off, s[0:3], 0 offset:728
	;; [unrolled: 1-line block ×4, first 2 shown]
	s_waitcnt lgkmcnt(1)
	v_mul_f64 v[156:157], v[14:15], v[86:87]
	v_fmac_f64_e32 v[156:157], v[16:17], v[88:89]
	v_add_f64 v[158:159], v[154:155], v[156:157]
	ds_read_b128 v[154:157], v152 offset:1136
	s_waitcnt lgkmcnt(1)
	v_mul_f64 v[160:161], v[124:125], v[82:83]
	v_fmac_f64_e32 v[160:161], v[126:127], v[84:85]
	v_add_f64 v[162:163], v[158:159], v[160:161]
	ds_read_b128 v[158:161], v152 offset:1152
	v_mul_f64 v[32:33], v[32:33], v[46:47]
	s_waitcnt lgkmcnt(1)
	v_mul_f64 v[164:165], v[154:155], v[94:95]
	v_fma_f64 v[30:31], v[30:31], v[80:81], -v[32:33]
	v_fmac_f64_e32 v[164:165], v[156:157], v[96:97]
	v_add_f64 v[166:167], v[162:163], v[164:165]
	ds_read_b128 v[162:165], v152 offset:1168
	s_waitcnt lgkmcnt(1)
	v_mul_f64 v[168:169], v[158:159], v[90:91]
	v_fmac_f64_e32 v[168:169], v[160:161], v[92:93]
	v_add_f64 v[170:171], v[166:167], v[168:169]
	ds_read_b128 v[166:169], v152 offset:1184
	s_waitcnt vmcnt(62) lgkmcnt(1)
	v_mul_f64 v[172:173], v[162:163], v[102:103]
	s_waitcnt vmcnt(60)
	v_fmac_f64_e32 v[172:173], v[164:165], v[104:105]
	v_add_f64 v[174:175], v[170:171], v[172:173]
	ds_read_b128 v[170:173], v152 offset:1200
	s_waitcnt lgkmcnt(1)
	v_mul_f64 v[176:177], v[166:167], v[98:99]
	v_fmac_f64_e32 v[176:177], v[168:169], v[100:101]
	v_add_f64 v[178:179], v[174:175], v[176:177]
	ds_read_b128 v[174:177], v152 offset:1216
	s_waitcnt vmcnt(54) lgkmcnt(1)
	v_mul_f64 v[180:181], v[170:171], v[110:111]
	s_waitcnt vmcnt(52)
	;; [unrolled: 11-line block ×7, first 2 shown]
	v_fmac_f64_e32 v[230:231], v[222:223], v[202:203]
	v_add_f64 v[240:241], v[228:229], v[230:231]
	ds_read_b128 v[228:231], v152 offset:1392
	s_waitcnt lgkmcnt(1)
	v_mul_f64 v[242:243], v[224:225], v[118:119]
	v_fmac_f64_e32 v[242:243], v[226:227], v[198:199]
	v_add_f64 v[240:241], v[240:241], v[242:243]
	v_fma_f64 v[242:243], v[38:39], v[48:49], -v[40:41]
	ds_read_b128 v[38:41], v152 offset:1408
	ds_read_b128 v[48:51], v152 offset:1424
	s_waitcnt vmcnt(6) lgkmcnt(2)
	v_mul_f64 v[244:245], v[228:229], v[232:233]
	s_waitcnt vmcnt(4)
	v_fmac_f64_e32 v[244:245], v[230:231], v[234:235]
	v_add_f64 v[152:153], v[240:241], v[244:245]
	s_waitcnt lgkmcnt(1)
	v_mul_f64 v[240:241], v[38:39], v[204:205]
	v_fmac_f64_e32 v[240:241], v[40:41], v[206:207]
	v_add_f64 v[152:153], v[152:153], v[240:241]
	s_waitcnt vmcnt(2) lgkmcnt(0)
	v_mul_f64 v[240:241], v[48:49], v[236:237]
	s_waitcnt vmcnt(0)
	v_fmac_f64_e32 v[240:241], v[50:51], v[238:239]
	v_add_f64 v[152:153], v[152:153], v[240:241]
	v_add_f64 v[240:241], v[242:243], 0
	v_add_f64 v[34:35], v[240:241], v[34:35]
	v_mul_f64 v[28:29], v[28:29], v[56:57]
	v_add_f64 v[30:31], v[34:35], v[30:31]
	v_fma_f64 v[26:27], v[26:27], v[78:79], -v[28:29]
	v_add_f64 v[26:27], v[30:31], v[26:27]
	v_mul_f64 v[20:21], v[20:21], v[62:63]
	v_add_f64 v[22:23], v[26:27], v[22:23]
	v_fma_f64 v[18:19], v[18:19], v[76:77], -v[20:21]
	v_add_f64 v[18:19], v[22:23], v[18:19]
	v_fma_f64 v[10:11], v[10:11], v[72:73], -v[12:13]
	v_mul_f64 v[8:9], v[8:9], v[68:69]
	v_add_f64 v[10:11], v[18:19], v[10:11]
	v_fma_f64 v[6:7], v[6:7], v[74:75], -v[8:9]
	v_mul_f64 v[4:5], v[4:5], v[64:65]
	;; [unrolled: 3-line block ×3, first 2 shown]
	v_add_f64 v[2:3], v[6:7], v[2:3]
	v_fma_f64 v[4:5], v[14:15], v[88:89], -v[4:5]
	v_add_f64 v[2:3], v[2:3], v[4:5]
	v_mul_f64 v[4:5], v[126:127], v[82:83]
	v_fma_f64 v[4:5], v[124:125], v[84:85], -v[4:5]
	v_add_f64 v[2:3], v[2:3], v[4:5]
	v_mul_f64 v[4:5], v[156:157], v[94:95]
	;; [unrolled: 3-line block ×20, first 2 shown]
	v_fma_f64 v[4:5], v[48:49], v[238:239], -v[4:5]
	v_add_f64 v[2:3], v[2:3], v[4:5]
	v_add_f64 v[2:3], v[60:61], -v[2:3]
	v_add_f64 v[4:5], v[58:59], -v[152:153]
	buffer_store_dword v3, off, s[0:3], 0 offset:244
	buffer_store_dword v2, off, s[0:3], 0 offset:240
	;; [unrolled: 1-line block ×4, first 2 shown]
	s_and_saveexec_b64 s[4:5], vcc
	s_cbranch_execz .LBB108_257
; %bb.256:
	v_accvgpr_read_b32 v0, a121
	buffer_load_dword v2, v0, s[0:3], 0 offen
	buffer_load_dword v3, v0, s[0:3], 0 offen offset:4
	buffer_load_dword v4, v0, s[0:3], 0 offen offset:8
	;; [unrolled: 1-line block ×3, first 2 shown]
	v_mov_b32_e32 v0, 0
	v_accvgpr_read_b32 v1, a135
	buffer_store_dword v0, off, s[0:3], 0 offset:224
	buffer_store_dword v0, off, s[0:3], 0 offset:228
	;; [unrolled: 1-line block ×4, first 2 shown]
	s_waitcnt vmcnt(4)
	ds_write_b128 v1, v[2:5]
.LBB108_257:
	s_or_b64 exec, exec, s[4:5]
	s_waitcnt lgkmcnt(0)
	; wave barrier
	s_waitcnt lgkmcnt(0)
	buffer_load_dword v106, off, s[0:3], 0 offset:240
	buffer_load_dword v107, off, s[0:3], 0 offset:244
	;; [unrolled: 1-line block ×49, first 2 shown]
	v_mov_b32_e32 v254, 0
	ds_read_b128 v[110:113], v254 offset:944
	ds_read_b128 v[250:253], v254 offset:960
	;; [unrolled: 1-line block ×10, first 2 shown]
	buffer_load_dword v160, off, s[0:3], 0 offset:432
	buffer_load_dword v175, off, s[0:3], 0 offset:428
	;; [unrolled: 1-line block ×69, first 2 shown]
	v_accvgpr_write_b32 a134, v255
	v_cmp_lt_u32_e32 vcc, 12, v255
	s_waitcnt vmcnt(62) lgkmcnt(9)
	v_mul_f64 v[34:35], v[110:111], v[108:109]
	v_fmac_f64_e32 v[34:35], v[112:113], v[106:107]
	v_add_f64 v[34:35], v[34:35], 0
	v_mul_f64 v[108:109], v[112:113], v[108:109]
	s_waitcnt lgkmcnt(8)
	v_mul_f64 v[36:37], v[250:251], v[116:117]
	v_fmac_f64_e32 v[36:37], v[252:253], v[114:115]
	s_waitcnt lgkmcnt(7)
	v_mul_f64 v[38:39], v[30:31], v[120:121]
	v_add_f64 v[34:35], v[34:35], v[36:37]
	s_waitcnt lgkmcnt(5)
	v_mul_f64 v[42:43], v[22:23], v[122:123]
	v_mul_f64 v[116:117], v[252:253], v[116:117]
	v_fmac_f64_e32 v[42:43], v[24:25], v[124:125]
	v_fma_f64 v[248:249], v[110:111], v[106:107], -v[108:109]
	v_mul_f64 v[40:41], v[26:27], v[126:127]
	v_fma_f64 v[250:251], v[250:251], v[114:115], -v[116:117]
	s_waitcnt lgkmcnt(3)
	v_mul_f64 v[46:47], v[14:15], v[128:129]
	v_mul_f64 v[24:25], v[24:25], v[122:123]
	v_fmac_f64_e32 v[46:47], v[16:17], v[130:131]
	v_fma_f64 v[22:23], v[22:23], v[124:125], -v[24:25]
	v_mul_f64 v[44:45], v[18:19], v[132:133]
	v_mul_f64 v[16:17], v[16:17], v[128:129]
	s_waitcnt lgkmcnt(1)
	v_mul_f64 v[50:51], v[6:7], v[134:135]
	v_fma_f64 v[14:15], v[14:15], v[130:131], -v[16:17]
	v_fmac_f64_e32 v[50:51], v[8:9], v[136:137]
	v_mul_f64 v[8:9], v[8:9], v[134:135]
	v_mul_f64 v[48:49], v[10:11], v[142:143]
	v_fma_f64 v[6:7], v[6:7], v[136:137], -v[8:9]
	s_waitcnt lgkmcnt(0)
	v_mul_f64 v[52:53], v[2:3], v[138:139]
	v_fmac_f64_e32 v[38:39], v[32:33], v[154:155]
	v_add_f64 v[34:35], v[34:35], v[38:39]
	v_fmac_f64_e32 v[40:41], v[28:29], v[152:153]
	v_add_f64 v[34:35], v[34:35], v[40:41]
	;; [unrolled: 2-line block ×3, first 2 shown]
	v_add_f64 v[34:35], v[34:35], v[44:45]
	v_fmac_f64_e32 v[48:49], v[12:13], v[148:149]
	v_add_f64 v[34:35], v[34:35], v[46:47]
	v_add_f64 v[34:35], v[34:35], v[48:49]
	v_fmac_f64_e32 v[52:53], v[4:5], v[146:147]
	v_add_f64 v[34:35], v[34:35], v[50:51]
	v_add_f64 v[42:43], v[34:35], v[52:53]
	ds_read_b128 v[38:41], v254 offset:1104
	ds_read_b128 v[34:37], v254 offset:1120
	buffer_load_dword v231, off, s[0:3], 0 offset:732
	buffer_load_dword v230, off, s[0:3], 0 offset:728
	;; [unrolled: 1-line block ×8, first 2 shown]
	ds_read_b128 v[110:113], v254 offset:1392
	ds_read_b128 v[106:109], v254 offset:1408
	s_waitcnt lgkmcnt(3)
	v_mul_f64 v[44:45], v[38:39], v[144:145]
	v_fmac_f64_e32 v[44:45], v[40:41], v[156:157]
	v_add_f64 v[46:47], v[42:43], v[44:45]
	ds_read_b128 v[42:45], v254 offset:1136
	s_waitcnt lgkmcnt(3)
	v_mul_f64 v[48:49], v[34:35], v[174:175]
	v_fmac_f64_e32 v[48:49], v[36:37], v[178:179]
	v_add_f64 v[50:51], v[46:47], v[48:49]
	;; [unrolled: 5-line block ×3, first 2 shown]
	ds_read_b128 v[50:53], v254 offset:1168
	s_waitcnt vmcnt(62) lgkmcnt(1)
	v_mul_f64 v[56:57], v[46:47], v[182:183]
	v_fmac_f64_e32 v[56:57], v[48:49], v[186:187]
	v_add_f64 v[58:59], v[54:55], v[56:57]
	ds_read_b128 v[54:57], v254 offset:1184
	s_waitcnt lgkmcnt(1)
	v_mul_f64 v[60:61], v[50:51], v[162:163]
	v_fmac_f64_e32 v[60:61], v[52:53], v[164:165]
	v_add_f64 v[62:63], v[58:59], v[60:61]
	ds_read_b128 v[58:61], v254 offset:1200
	s_waitcnt vmcnt(58) lgkmcnt(1)
	v_mul_f64 v[64:65], v[54:55], v[190:191]
	s_waitcnt vmcnt(56)
	v_fmac_f64_e32 v[64:65], v[56:57], v[194:195]
	v_add_f64 v[66:67], v[62:63], v[64:65]
	ds_read_b128 v[62:65], v254 offset:1216
	s_waitcnt lgkmcnt(1)
	v_mul_f64 v[68:69], v[58:59], v[166:167]
	v_fmac_f64_e32 v[68:69], v[60:61], v[168:169]
	v_add_f64 v[70:71], v[66:67], v[68:69]
	ds_read_b128 v[66:69], v254 offset:1232
	s_waitcnt vmcnt(50) lgkmcnt(1)
	v_mul_f64 v[72:73], v[62:63], v[198:199]
	s_waitcnt vmcnt(48)
	;; [unrolled: 11-line block ×5, first 2 shown]
	v_fmac_f64_e32 v[96:97], v[88:89], v[228:229]
	v_add_f64 v[98:99], v[94:95], v[96:97]
	ds_read_b128 v[94:97], v254 offset:1344
	s_waitcnt lgkmcnt(1)
	v_mul_f64 v[100:101], v[90:91], v[192:193]
	v_fmac_f64_e32 v[100:101], v[92:93], v[196:197]
	v_add_f64 v[118:119], v[98:99], v[100:101]
	ds_read_b128 v[98:101], v254 offset:1360
	ds_read_b128 v[102:105], v254 offset:1376
	;; [unrolled: 1-line block ×3, first 2 shown]
	buffer_load_dword v252, off, s[0:3], 0 offset:232
	buffer_load_dword v253, off, s[0:3], 0 offset:236
	s_waitcnt vmcnt(20) lgkmcnt(3)
	v_mul_f64 v[200:201], v[94:95], v[232:233]
	s_waitcnt vmcnt(18)
	v_fmac_f64_e32 v[200:201], v[96:97], v[236:237]
	v_add_f64 v[118:119], v[118:119], v[200:201]
	s_waitcnt lgkmcnt(2)
	v_mul_f64 v[200:201], v[98:99], v[208:209]
	v_fmac_f64_e32 v[200:201], v[100:101], v[212:213]
	v_add_f64 v[118:119], v[118:119], v[200:201]
	s_waitcnt vmcnt(12) lgkmcnt(1)
	v_mul_f64 v[200:201], v[102:103], v[238:239]
	s_waitcnt vmcnt(10)
	v_fmac_f64_e32 v[200:201], v[104:105], v[240:241]
	v_add_f64 v[118:119], v[118:119], v[200:201]
	v_mul_f64 v[200:201], v[110:111], v[216:217]
	v_fmac_f64_e32 v[200:201], v[112:113], v[220:221]
	v_add_f64 v[118:119], v[118:119], v[200:201]
	s_waitcnt vmcnt(4)
	v_mul_f64 v[200:201], v[106:107], v[242:243]
	v_mul_f64 v[32:33], v[32:33], v[120:121]
	s_waitcnt vmcnt(2)
	v_fmac_f64_e32 v[200:201], v[108:109], v[244:245]
	v_add_f64 v[118:119], v[118:119], v[200:201]
	s_waitcnt lgkmcnt(0)
	v_mul_f64 v[200:201], v[114:115], v[230:231]
	v_fmac_f64_e32 v[200:201], v[116:117], v[234:235]
	v_add_f64 v[246:247], v[118:119], v[200:201]
	v_add_f64 v[118:119], v[248:249], 0
	v_add_f64 v[118:119], v[118:119], v[250:251]
	v_fma_f64 v[30:31], v[30:31], v[154:155], -v[32:33]
	v_mul_f64 v[28:29], v[28:29], v[126:127]
	v_add_f64 v[30:31], v[118:119], v[30:31]
	v_fma_f64 v[26:27], v[26:27], v[152:153], -v[28:29]
	v_add_f64 v[26:27], v[30:31], v[26:27]
	v_mul_f64 v[20:21], v[20:21], v[132:133]
	v_add_f64 v[22:23], v[26:27], v[22:23]
	v_fma_f64 v[18:19], v[18:19], v[150:151], -v[20:21]
	v_add_f64 v[18:19], v[22:23], v[18:19]
	v_mul_f64 v[12:13], v[12:13], v[142:143]
	v_add_f64 v[14:15], v[18:19], v[14:15]
	v_fma_f64 v[10:11], v[10:11], v[148:149], -v[12:13]
	v_add_f64 v[10:11], v[14:15], v[10:11]
	v_mul_f64 v[4:5], v[4:5], v[138:139]
	v_add_f64 v[6:7], v[10:11], v[6:7]
	v_fma_f64 v[2:3], v[2:3], v[146:147], -v[4:5]
	v_mul_f64 v[4:5], v[40:41], v[144:145]
	v_add_f64 v[2:3], v[6:7], v[2:3]
	v_fma_f64 v[4:5], v[38:39], v[156:157], -v[4:5]
	v_add_f64 v[2:3], v[2:3], v[4:5]
	v_mul_f64 v[4:5], v[36:37], v[174:175]
	v_fma_f64 v[4:5], v[34:35], v[178:179], -v[4:5]
	v_add_f64 v[2:3], v[2:3], v[4:5]
	v_mul_f64 v[4:5], v[44:45], v[158:159]
	;; [unrolled: 3-line block ×20, first 2 shown]
	v_fma_f64 v[4:5], v[114:115], v[234:235], -v[4:5]
	v_add_f64 v[2:3], v[2:3], v[4:5]
	v_add_f64 v[2:3], v[140:141], -v[2:3]
	s_waitcnt vmcnt(0)
	v_add_f64 v[4:5], v[252:253], -v[246:247]
	buffer_store_dword v3, off, s[0:3], 0 offset:228
	buffer_store_dword v2, off, s[0:3], 0 offset:224
	;; [unrolled: 1-line block ×4, first 2 shown]
	s_and_saveexec_b64 s[4:5], vcc
	s_cbranch_execz .LBB108_259
; %bb.258:
	v_accvgpr_read_b32 v0, a122
	buffer_load_dword v2, v0, s[0:3], 0 offen
	buffer_load_dword v3, v0, s[0:3], 0 offen offset:4
	buffer_load_dword v4, v0, s[0:3], 0 offen offset:8
	;; [unrolled: 1-line block ×3, first 2 shown]
	v_accvgpr_read_b32 v0, a135
	buffer_store_dword v254, off, s[0:3], 0 offset:208
	buffer_store_dword v254, off, s[0:3], 0 offset:212
	;; [unrolled: 1-line block ×4, first 2 shown]
	s_waitcnt vmcnt(4)
	ds_write_b128 v0, v[2:5]
.LBB108_259:
	s_or_b64 exec, exec, s[4:5]
	s_waitcnt lgkmcnt(0)
	; wave barrier
	s_waitcnt lgkmcnt(0)
	buffer_load_dword v112, off, s[0:3], 0 offset:224
	buffer_load_dword v113, off, s[0:3], 0 offset:228
	buffer_load_dword v246, off, s[0:3], 0 offset:232
	buffer_load_dword v247, off, s[0:3], 0 offset:236
	buffer_load_dword v110, off, s[0:3], 0 offset:240
	buffer_load_dword v111, off, s[0:3], 0 offset:244
	buffer_load_dword v248, off, s[0:3], 0 offset:248
	buffer_load_dword v249, off, s[0:3], 0 offset:252
	buffer_load_dword v244, off, s[0:3], 0 offset:264
	buffer_load_dword v245, off, s[0:3], 0 offset:268
	buffer_load_dword v121, off, s[0:3], 0 offset:300
	buffer_load_dword v120, off, s[0:3], 0 offset:296
	buffer_load_dword v123, off, s[0:3], 0 offset:292
	buffer_load_dword v122, off, s[0:3], 0 offset:288
	buffer_load_dword v125, off, s[0:3], 0 offset:284
	buffer_load_dword v124, off, s[0:3], 0 offset:280
	buffer_load_dword v127, off, s[0:3], 0 offset:332
	buffer_load_dword v126, off, s[0:3], 0 offset:328
	buffer_load_dword v129, off, s[0:3], 0 offset:324
	buffer_load_dword v128, off, s[0:3], 0 offset:320
	buffer_load_dword v133, off, s[0:3], 0 offset:316
	buffer_load_dword v132, off, s[0:3], 0 offset:312
	buffer_load_dword v131, off, s[0:3], 0 offset:348
	buffer_load_dword v130, off, s[0:3], 0 offset:344
	buffer_load_dword v250, off, s[0:3], 0 offset:256
	buffer_load_dword v251, off, s[0:3], 0 offset:260
	buffer_load_dword v141, off, s[0:3], 0 offset:276
	buffer_load_dword v140, off, s[0:3], 0 offset:272
	buffer_load_dword v139, off, s[0:3], 0 offset:308
	buffer_load_dword v138, off, s[0:3], 0 offset:304
	buffer_load_dword v137, off, s[0:3], 0 offset:340
	buffer_load_dword v136, off, s[0:3], 0 offset:336
	buffer_load_dword v134, off, s[0:3], 0 offset:360
	buffer_load_dword v142, off, s[0:3], 0 offset:352
	buffer_load_dword v143, off, s[0:3], 0 offset:356
	buffer_load_dword v135, off, s[0:3], 0 offset:364
	ds_read_b128 v[102:105], v254 offset:928
	ds_read_b128 v[106:109], v254 offset:944
	;; [unrolled: 1-line block ×9, first 2 shown]
	buffer_load_dword v145, off, s[0:3], 0 offset:396
	buffer_load_dword v144, off, s[0:3], 0 offset:392
	;; [unrolled: 1-line block ×78, first 2 shown]
	v_accvgpr_read_b32 v1, a134
	v_cmp_lt_u32_e32 vcc, 11, v1
	s_waitcnt vmcnt(62) lgkmcnt(8)
	v_mul_f64 v[26:27], v[102:103], v[246:247]
	v_fmac_f64_e32 v[26:27], v[104:105], v[112:113]
	v_add_f64 v[26:27], v[26:27], 0
	v_mul_f64 v[104:105], v[104:105], v[246:247]
	s_waitcnt lgkmcnt(7)
	v_mul_f64 v[28:29], v[106:107], v[248:249]
	v_fmac_f64_e32 v[28:29], v[108:109], v[110:111]
	s_waitcnt lgkmcnt(6)
	v_mul_f64 v[30:31], v[114:115], v[244:245]
	v_add_f64 v[26:27], v[26:27], v[28:29]
	s_waitcnt lgkmcnt(4)
	v_mul_f64 v[34:35], v[18:19], v[120:121]
	v_fma_f64 v[246:247], v[102:103], v[112:113], -v[104:105]
	v_fmac_f64_e32 v[34:35], v[20:21], v[122:123]
	v_mul_f64 v[108:109], v[108:109], v[248:249]
	v_mul_f64 v[32:33], v[22:23], v[124:125]
	v_fma_f64 v[248:249], v[106:107], v[110:111], -v[108:109]
	s_waitcnt lgkmcnt(2)
	v_mul_f64 v[38:39], v[10:11], v[126:127]
	v_mul_f64 v[20:21], v[20:21], v[120:121]
	v_fmac_f64_e32 v[38:39], v[12:13], v[128:129]
	v_fma_f64 v[18:19], v[18:19], v[122:123], -v[20:21]
	v_mul_f64 v[36:37], v[14:15], v[132:133]
	v_mul_f64 v[12:13], v[12:13], v[126:127]
	s_waitcnt lgkmcnt(1)
	v_mul_f64 v[40:41], v[6:7], v[130:131]
	v_fma_f64 v[10:11], v[10:11], v[128:129], -v[12:13]
	v_fmac_f64_e32 v[30:31], v[116:117], v[250:251]
	v_add_f64 v[26:27], v[26:27], v[30:31]
	v_fmac_f64_e32 v[32:33], v[24:25], v[140:141]
	v_add_f64 v[26:27], v[26:27], v[32:33]
	;; [unrolled: 2-line block ×3, first 2 shown]
	v_add_f64 v[26:27], v[26:27], v[36:37]
	v_fmac_f64_e32 v[40:41], v[8:9], v[136:137]
	v_add_f64 v[30:31], v[26:27], v[38:39]
	v_add_f64 v[30:31], v[30:31], v[40:41]
	s_waitcnt lgkmcnt(0)
	v_mul_f64 v[32:33], v[2:3], v[134:135]
	v_fmac_f64_e32 v[32:33], v[4:5], v[142:143]
	ds_read_b128 v[26:29], v254 offset:1072
	v_add_f64 v[34:35], v[30:31], v[32:33]
	ds_read_b128 v[30:33], v254 offset:1088
	buffer_load_dword v231, off, s[0:3], 0 offset:660
	buffer_load_dword v230, off, s[0:3], 0 offset:656
	v_mul_f64 v[116:117], v[116:117], v[244:245]
	s_waitcnt lgkmcnt(1)
	v_mul_f64 v[36:37], v[26:27], v[148:149]
	v_fmac_f64_e32 v[36:37], v[28:29], v[150:151]
	v_add_f64 v[38:39], v[34:35], v[36:37]
	ds_read_b128 v[34:37], v254 offset:1104
	s_waitcnt lgkmcnt(1)
	v_mul_f64 v[40:41], v[30:31], v[144:145]
	v_fmac_f64_e32 v[40:41], v[32:33], v[146:147]
	v_add_f64 v[42:43], v[38:39], v[40:41]
	ds_read_b128 v[38:41], v254 offset:1120
	;; [unrolled: 5-line block ×4, first 2 shown]
	buffer_load_dword v233, off, s[0:3], 0 offset:716
	buffer_load_dword v235, off, s[0:3], 0 offset:700
	;; [unrolled: 1-line block ×12, first 2 shown]
	s_waitcnt vmcnt(62) lgkmcnt(1)
	v_mul_f64 v[52:53], v[42:43], v[176:177]
	v_fmac_f64_e32 v[52:53], v[44:45], v[180:181]
	v_add_f64 v[54:55], v[50:51], v[52:53]
	ds_read_b128 v[50:53], v254 offset:1168
	s_waitcnt lgkmcnt(1)
	v_mul_f64 v[56:57], v[46:47], v[156:157]
	v_fmac_f64_e32 v[56:57], v[48:49], v[158:159]
	v_add_f64 v[58:59], v[54:55], v[56:57]
	ds_read_b128 v[54:57], v254 offset:1184
	s_waitcnt lgkmcnt(1)
	v_mul_f64 v[60:61], v[50:51], v[184:185]
	s_waitcnt vmcnt(60)
	v_fmac_f64_e32 v[60:61], v[52:53], v[188:189]
	v_add_f64 v[62:63], v[58:59], v[60:61]
	ds_read_b128 v[58:61], v254 offset:1200
	s_waitcnt lgkmcnt(1)
	v_mul_f64 v[64:65], v[54:55], v[164:165]
	v_fmac_f64_e32 v[64:65], v[56:57], v[166:167]
	v_add_f64 v[66:67], v[62:63], v[64:65]
	ds_read_b128 v[62:65], v254 offset:1216
	s_waitcnt vmcnt(54) lgkmcnt(1)
	v_mul_f64 v[68:69], v[58:59], v[192:193]
	s_waitcnt vmcnt(52)
	v_fmac_f64_e32 v[68:69], v[60:61], v[196:197]
	v_add_f64 v[70:71], v[66:67], v[68:69]
	ds_read_b128 v[66:69], v254 offset:1232
	s_waitcnt lgkmcnt(1)
	v_mul_f64 v[72:73], v[62:63], v[168:169]
	v_fmac_f64_e32 v[72:73], v[64:65], v[170:171]
	v_add_f64 v[74:75], v[70:71], v[72:73]
	ds_read_b128 v[70:73], v254 offset:1248
	s_waitcnt vmcnt(46) lgkmcnt(1)
	;; [unrolled: 11-line block ×4, first 2 shown]
	v_mul_f64 v[92:93], v[82:83], v[220:221]
	s_waitcnt vmcnt(28)
	v_fmac_f64_e32 v[92:93], v[84:85], v[222:223]
	v_add_f64 v[98:99], v[90:91], v[92:93]
	ds_read_b128 v[90:93], v254 offset:1328
	ds_read_b128 v[94:97], v254 offset:1344
	s_waitcnt lgkmcnt(2)
	v_mul_f64 v[100:101], v[86:87], v[186:187]
	v_fmac_f64_e32 v[100:101], v[88:89], v[190:191]
	v_add_f64 v[98:99], v[98:99], v[100:101]
	s_waitcnt vmcnt(22) lgkmcnt(1)
	v_mul_f64 v[100:101], v[90:91], v[224:225]
	s_waitcnt vmcnt(20)
	v_fmac_f64_e32 v[100:101], v[92:93], v[226:227]
	v_add_f64 v[98:99], v[98:99], v[100:101]
	s_waitcnt lgkmcnt(0)
	v_mul_f64 v[100:101], v[94:95], v[194:195]
	v_fmac_f64_e32 v[100:101], v[96:97], v[198:199]
	v_add_f64 v[118:119], v[98:99], v[100:101]
	ds_read_b128 v[98:101], v254 offset:1360
	ds_read_b128 v[102:105], v254 offset:1376
	;; [unrolled: 1-line block ×3, first 2 shown]
	v_fma_f64 v[250:251], v[114:115], v[250:251], -v[116:117]
	ds_read_b128 v[114:117], v254 offset:1424
	s_waitcnt vmcnt(14) lgkmcnt(3)
	v_mul_f64 v[112:113], v[98:99], v[228:229]
	s_waitcnt lgkmcnt(2)
	v_mul_f64 v[110:111], v[102:103], v[210:211]
	s_waitcnt vmcnt(12)
	v_fmac_f64_e32 v[112:113], v[100:101], v[230:231]
	v_add_f64 v[112:113], v[118:119], v[112:113]
	v_fmac_f64_e32 v[110:111], v[104:105], v[214:215]
	v_add_f64 v[118:119], v[112:113], v[110:111]
	ds_read_b128 v[110:113], v254 offset:1408
	buffer_load_dword v254, off, s[0:3], 0 offset:208
	buffer_load_dword v255, off, s[0:3], 0 offset:212
	;; [unrolled: 1-line block ×4, first 2 shown]
	v_mul_f64 v[24:25], v[24:25], v[124:125]
	v_fma_f64 v[22:23], v[22:23], v[140:141], -v[24:25]
	v_mul_f64 v[16:17], v[16:17], v[132:133]
	s_waitcnt vmcnt(13) lgkmcnt(2)
	v_mul_f64 v[200:201], v[106:107], v[234:235]
	v_fma_f64 v[14:15], v[14:15], v[138:139], -v[16:17]
	s_waitcnt vmcnt(11)
	v_fmac_f64_e32 v[200:201], v[108:109], v[240:241]
	v_add_f64 v[118:119], v[118:119], v[200:201]
	s_waitcnt vmcnt(10) lgkmcnt(0)
	v_mul_f64 v[200:201], v[110:111], v[232:233]
	s_waitcnt vmcnt(8)
	v_fmac_f64_e32 v[200:201], v[112:113], v[238:239]
	v_add_f64 v[118:119], v[118:119], v[200:201]
	s_waitcnt vmcnt(6)
	v_mul_f64 v[200:201], v[114:115], v[236:237]
	v_mul_f64 v[8:9], v[8:9], v[130:131]
	s_waitcnt vmcnt(4)
	v_fmac_f64_e32 v[200:201], v[116:117], v[242:243]
	v_add_f64 v[244:245], v[118:119], v[200:201]
	v_add_f64 v[118:119], v[246:247], 0
	;; [unrolled: 1-line block ×8, first 2 shown]
	v_fma_f64 v[6:7], v[6:7], v[136:137], -v[8:9]
	v_mul_f64 v[4:5], v[4:5], v[134:135]
	v_add_f64 v[6:7], v[10:11], v[6:7]
	v_fma_f64 v[2:3], v[2:3], v[142:143], -v[4:5]
	v_mul_f64 v[4:5], v[28:29], v[148:149]
	v_add_f64 v[2:3], v[6:7], v[2:3]
	v_fma_f64 v[4:5], v[26:27], v[150:151], -v[4:5]
	v_add_f64 v[2:3], v[2:3], v[4:5]
	v_mul_f64 v[4:5], v[32:33], v[144:145]
	v_fma_f64 v[4:5], v[30:31], v[146:147], -v[4:5]
	v_add_f64 v[2:3], v[2:3], v[4:5]
	v_mul_f64 v[4:5], v[36:37], v[160:161]
	;; [unrolled: 3-line block ×22, first 2 shown]
	v_fma_f64 v[4:5], v[114:115], v[242:243], -v[4:5]
	v_add_f64 v[2:3], v[2:3], v[4:5]
	s_waitcnt vmcnt(2)
	v_add_f64 v[2:3], v[254:255], -v[2:3]
	s_waitcnt vmcnt(0)
	v_add_f64 v[4:5], v[252:253], -v[244:245]
	buffer_store_dword v3, off, s[0:3], 0 offset:212
	buffer_store_dword v2, off, s[0:3], 0 offset:208
	;; [unrolled: 1-line block ×4, first 2 shown]
	s_and_saveexec_b64 s[4:5], vcc
	s_cbranch_execz .LBB108_261
; %bb.260:
	v_accvgpr_read_b32 v0, a123
	buffer_load_dword v2, v0, s[0:3], 0 offen
	buffer_load_dword v3, v0, s[0:3], 0 offen offset:4
	buffer_load_dword v4, v0, s[0:3], 0 offen offset:8
	;; [unrolled: 1-line block ×3, first 2 shown]
	v_mov_b32_e32 v0, 0
	v_accvgpr_read_b32 v6, a135
	buffer_store_dword v0, off, s[0:3], 0 offset:192
	buffer_store_dword v0, off, s[0:3], 0 offset:196
	;; [unrolled: 1-line block ×4, first 2 shown]
	s_waitcnt vmcnt(4)
	ds_write_b128 v6, v[2:5]
.LBB108_261:
	s_or_b64 exec, exec, s[4:5]
	s_waitcnt lgkmcnt(0)
	; wave barrier
	s_waitcnt lgkmcnt(0)
	buffer_load_dword v94, off, s[0:3], 0 offset:208
	buffer_load_dword v95, off, s[0:3], 0 offset:212
	;; [unrolled: 1-line block ×52, first 2 shown]
	v_mov_b32_e32 v254, 0
	ds_read_b128 v[102:105], v254 offset:912
	ds_read_b128 v[114:117], v254 offset:928
	;; [unrolled: 1-line block ×10, first 2 shown]
	v_cmp_lt_u32_e32 vcc, 10, v1
	s_waitcnt vmcnt(48) lgkmcnt(9)
	v_mul_f64 v[26:27], v[102:103], v[96:97]
	v_fmac_f64_e32 v[26:27], v[104:105], v[94:95]
	v_add_f64 v[26:27], v[26:27], 0
	v_mul_f64 v[96:97], v[104:105], v[96:97]
	s_waitcnt vmcnt(44) lgkmcnt(8)
	v_mul_f64 v[28:29], v[114:115], v[100:101]
	v_fmac_f64_e32 v[28:29], v[116:117], v[98:99]
	s_waitcnt vmcnt(42) lgkmcnt(7)
	v_mul_f64 v[30:31], v[244:245], v[106:107]
	v_add_f64 v[26:27], v[26:27], v[28:29]
	s_waitcnt vmcnt(40) lgkmcnt(5)
	v_mul_f64 v[34:35], v[22:23], v[122:123]
	v_fma_f64 v[200:201], v[102:103], v[94:95], -v[96:97]
	s_waitcnt vmcnt(38)
	v_fmac_f64_e32 v[34:35], v[24:25], v[126:127]
	v_mul_f64 v[100:101], v[116:117], v[100:101]
	s_waitcnt vmcnt(36)
	v_mul_f64 v[32:33], v[250:251], v[110:111]
	v_fma_f64 v[202:203], v[114:115], v[98:99], -v[100:101]
	s_waitcnt vmcnt(34) lgkmcnt(3)
	v_mul_f64 v[38:39], v[14:15], v[120:121]
	v_mul_f64 v[106:107], v[246:247], v[106:107]
	s_waitcnt vmcnt(32)
	v_fmac_f64_e32 v[38:39], v[16:17], v[124:125]
	v_mul_f64 v[110:111], v[252:253], v[110:111]
	s_waitcnt vmcnt(30)
	v_mul_f64 v[36:37], v[18:19], v[132:133]
	v_mul_f64 v[24:25], v[24:25], v[122:123]
	v_fma_f64 v[22:23], v[22:23], v[126:127], -v[24:25]
	s_waitcnt vmcnt(27) lgkmcnt(2)
	v_mul_f64 v[40:41], v[10:11], v[130:131]
	s_waitcnt vmcnt(26) lgkmcnt(1)
	v_mul_f64 v[42:43], v[6:7], v[128:129]
	v_mul_f64 v[16:17], v[16:17], v[120:121]
	s_waitcnt vmcnt(24)
	v_fmac_f64_e32 v[30:31], v[246:247], v[108:109]
	v_add_f64 v[26:27], v[26:27], v[30:31]
	s_waitcnt vmcnt(22)
	v_fmac_f64_e32 v[32:33], v[252:253], v[112:113]
	v_add_f64 v[26:27], v[26:27], v[32:33]
	;; [unrolled: 3-line block ×3, first 2 shown]
	v_add_f64 v[26:27], v[26:27], v[36:37]
	s_waitcnt vmcnt(18)
	v_fmac_f64_e32 v[40:41], v[12:13], v[134:135]
	v_add_f64 v[26:27], v[26:27], v[38:39]
	v_add_f64 v[26:27], v[26:27], v[40:41]
	s_waitcnt vmcnt(16)
	v_fmac_f64_e32 v[42:43], v[8:9], v[140:141]
	v_add_f64 v[34:35], v[26:27], v[42:43]
	ds_read_b128 v[26:29], v254 offset:1072
	ds_read_b128 v[30:33], v254 offset:1088
	buffer_load_dword v157, off, s[0:3], 0 offset:444
	buffer_load_dword v156, off, s[0:3], 0 offset:440
	buffer_load_dword v159, off, s[0:3], 0 offset:436
	buffer_load_dword v158, off, s[0:3], 0 offset:432
	buffer_load_dword v173, off, s[0:3], 0 offset:428
	buffer_load_dword v172, off, s[0:3], 0 offset:424
	buffer_load_dword v177, off, s[0:3], 0 offset:420
	buffer_load_dword v176, off, s[0:3], 0 offset:416
	buffer_load_dword v161, off, s[0:3], 0 offset:476
	buffer_load_dword v160, off, s[0:3], 0 offset:472
	buffer_load_dword v163, off, s[0:3], 0 offset:468
	buffer_load_dword v162, off, s[0:3], 0 offset:464
	buffer_load_dword v181, off, s[0:3], 0 offset:460
	buffer_load_dword v180, off, s[0:3], 0 offset:456
	buffer_load_dword v185, off, s[0:3], 0 offset:452
	buffer_load_dword v184, off, s[0:3], 0 offset:448
	buffer_load_dword v165, off, s[0:3], 0 offset:508
	buffer_load_dword v164, off, s[0:3], 0 offset:504
	buffer_load_dword v167, off, s[0:3], 0 offset:500
	buffer_load_dword v166, off, s[0:3], 0 offset:496
	buffer_load_dword v189, off, s[0:3], 0 offset:492
	buffer_load_dword v188, off, s[0:3], 0 offset:488
	buffer_load_dword v193, off, s[0:3], 0 offset:484
	buffer_load_dword v192, off, s[0:3], 0 offset:480
	buffer_load_dword v169, off, s[0:3], 0 offset:540
	buffer_load_dword v168, off, s[0:3], 0 offset:536
	buffer_load_dword v171, off, s[0:3], 0 offset:532
	buffer_load_dword v170, off, s[0:3], 0 offset:528
	buffer_load_dword v197, off, s[0:3], 0 offset:524
	buffer_load_dword v196, off, s[0:3], 0 offset:520
	buffer_load_dword v199, off, s[0:3], 0 offset:516
	buffer_load_dword v198, off, s[0:3], 0 offset:512
	buffer_load_dword v175, off, s[0:3], 0 offset:572
	buffer_load_dword v174, off, s[0:3], 0 offset:568
	buffer_load_dword v179, off, s[0:3], 0 offset:564
	buffer_load_dword v178, off, s[0:3], 0 offset:560
	buffer_load_dword v211, off, s[0:3], 0 offset:556
	buffer_load_dword v210, off, s[0:3], 0 offset:552
	buffer_load_dword v215, off, s[0:3], 0 offset:548
	buffer_load_dword v214, off, s[0:3], 0 offset:544
	buffer_load_dword v183, off, s[0:3], 0 offset:604
	buffer_load_dword v182, off, s[0:3], 0 offset:600
	buffer_load_dword v187, off, s[0:3], 0 offset:596
	buffer_load_dword v186, off, s[0:3], 0 offset:592
	buffer_load_dword v219, off, s[0:3], 0 offset:588
	buffer_load_dword v218, off, s[0:3], 0 offset:584
	buffer_load_dword v225, off, s[0:3], 0 offset:580
	buffer_load_dword v224, off, s[0:3], 0 offset:576
	buffer_load_dword v191, off, s[0:3], 0 offset:636
	buffer_load_dword v190, off, s[0:3], 0 offset:632
	buffer_load_dword v195, off, s[0:3], 0 offset:628
	buffer_load_dword v223, off, s[0:3], 0 offset:620
	buffer_load_dword v222, off, s[0:3], 0 offset:616
	buffer_load_dword v227, off, s[0:3], 0 offset:612
	buffer_load_dword v226, off, s[0:3], 0 offset:608
	buffer_load_dword v194, off, s[0:3], 0 offset:624
	s_waitcnt vmcnt(62) lgkmcnt(2)
	v_mul_f64 v[36:37], v[2:3], v[144:145]
	v_fmac_f64_e32 v[36:37], v[4:5], v[146:147]
	v_add_f64 v[34:35], v[34:35], v[36:37]
	s_waitcnt lgkmcnt(1)
	v_mul_f64 v[36:37], v[26:27], v[138:139]
	v_fmac_f64_e32 v[36:37], v[28:29], v[142:143]
	v_add_f64 v[34:35], v[34:35], v[36:37]
	s_waitcnt lgkmcnt(0)
	v_mul_f64 v[36:37], v[30:31], v[148:149]
	s_waitcnt vmcnt(60)
	v_fmac_f64_e32 v[36:37], v[32:33], v[152:153]
	v_add_f64 v[42:43], v[34:35], v[36:37]
	ds_read_b128 v[34:37], v254 offset:1104
	buffer_load_dword v209, off, s[0:3], 0 offset:668
	buffer_load_dword v208, off, s[0:3], 0 offset:664
	;; [unrolled: 1-line block ×16, first 2 shown]
	ds_read_b128 v[38:41], v254 offset:1120
	buffer_load_dword v231, off, s[0:3], 0 offset:732
	buffer_load_dword v230, off, s[0:3], 0 offset:728
	;; [unrolled: 1-line block ×8, first 2 shown]
	ds_read_b128 v[98:101], v254 offset:1360
	s_waitcnt vmcnt(62) lgkmcnt(2)
	v_mul_f64 v[44:45], v[34:35], v[150:151]
	v_fmac_f64_e32 v[44:45], v[36:37], v[154:155]
	v_add_f64 v[46:47], v[42:43], v[44:45]
	ds_read_b128 v[42:45], v254 offset:1136
	v_fma_f64 v[248:249], v[244:245], v[108:109], -v[106:107]
	ds_read_b128 v[106:109], v254 offset:1392
	v_fma_f64 v[246:247], v[250:251], v[112:113], -v[110:111]
	v_mul_f64 v[20:21], v[20:21], v[132:133]
	v_fma_f64 v[18:19], v[18:19], v[136:137], -v[20:21]
	v_fma_f64 v[14:15], v[14:15], v[124:125], -v[16:17]
	v_mul_f64 v[12:13], v[12:13], v[130:131]
	v_fma_f64 v[10:11], v[10:11], v[134:135], -v[12:13]
	v_mul_f64 v[8:9], v[8:9], v[128:129]
	;; [unrolled: 2-line block ×3, first 2 shown]
	s_waitcnt lgkmcnt(3)
	v_mul_f64 v[48:49], v[38:39], v[172:173]
	v_fma_f64 v[2:3], v[2:3], v[146:147], -v[4:5]
	v_fmac_f64_e32 v[48:49], v[40:41], v[176:177]
	v_add_f64 v[50:51], v[46:47], v[48:49]
	ds_read_b128 v[46:49], v254 offset:1152
	s_waitcnt lgkmcnt(2)
	v_mul_f64 v[52:53], v[42:43], v[156:157]
	v_fmac_f64_e32 v[52:53], v[44:45], v[158:159]
	v_add_f64 v[54:55], v[50:51], v[52:53]
	ds_read_b128 v[50:53], v254 offset:1168
	s_waitcnt lgkmcnt(1)
	v_mul_f64 v[56:57], v[46:47], v[180:181]
	;; [unrolled: 5-line block ×3, first 2 shown]
	v_fmac_f64_e32 v[60:61], v[52:53], v[162:163]
	v_add_f64 v[62:63], v[58:59], v[60:61]
	ds_read_b128 v[58:61], v254 offset:1200
	s_waitcnt vmcnt(58) lgkmcnt(1)
	v_mul_f64 v[64:65], v[54:55], v[188:189]
	s_waitcnt vmcnt(56)
	v_fmac_f64_e32 v[64:65], v[56:57], v[192:193]
	v_add_f64 v[66:67], v[62:63], v[64:65]
	ds_read_b128 v[62:65], v254 offset:1216
	s_waitcnt lgkmcnt(1)
	v_mul_f64 v[68:69], v[58:59], v[164:165]
	v_fmac_f64_e32 v[68:69], v[60:61], v[166:167]
	v_add_f64 v[70:71], v[66:67], v[68:69]
	ds_read_b128 v[66:69], v254 offset:1232
	s_waitcnt vmcnt(50) lgkmcnt(1)
	v_mul_f64 v[72:73], v[62:63], v[196:197]
	s_waitcnt vmcnt(48)
	v_fmac_f64_e32 v[72:73], v[64:65], v[198:199]
	v_add_f64 v[74:75], v[70:71], v[72:73]
	ds_read_b128 v[70:73], v254 offset:1248
	s_waitcnt lgkmcnt(1)
	v_mul_f64 v[76:77], v[66:67], v[168:169]
	;; [unrolled: 11-line block ×3, first 2 shown]
	v_fmac_f64_e32 v[84:85], v[76:77], v[178:179]
	v_add_f64 v[90:91], v[82:83], v[84:85]
	ds_read_b128 v[82:85], v254 offset:1296
	ds_read_b128 v[86:89], v254 offset:1312
	s_waitcnt vmcnt(34) lgkmcnt(2)
	v_mul_f64 v[92:93], v[78:79], v[218:219]
	s_waitcnt vmcnt(32)
	v_fmac_f64_e32 v[92:93], v[80:81], v[224:225]
	v_add_f64 v[90:91], v[90:91], v[92:93]
	s_waitcnt lgkmcnt(1)
	v_mul_f64 v[92:93], v[82:83], v[182:183]
	v_fmac_f64_e32 v[92:93], v[84:85], v[186:187]
	v_add_f64 v[90:91], v[90:91], v[92:93]
	s_waitcnt vmcnt(27) lgkmcnt(0)
	v_mul_f64 v[92:93], v[86:87], v[222:223]
	s_waitcnt vmcnt(25)
	v_fmac_f64_e32 v[92:93], v[88:89], v[226:227]
	v_add_f64 v[118:119], v[90:91], v[92:93]
	ds_read_b128 v[90:93], v254 offset:1328
	ds_read_b128 v[94:97], v254 offset:1344
	;; [unrolled: 1-line block ×3, first 2 shown]
	v_mul_f64 v[4:5], v[28:29], v[138:139]
	v_fma_f64 v[4:5], v[26:27], v[142:143], -v[4:5]
	s_waitcnt lgkmcnt(2)
	v_mul_f64 v[102:103], v[90:91], v[190:191]
	s_waitcnt vmcnt(24)
	v_fmac_f64_e32 v[102:103], v[92:93], v[194:195]
	s_waitcnt vmcnt(18) lgkmcnt(1)
	v_mul_f64 v[104:105], v[94:95], v[228:229]
	v_add_f64 v[102:103], v[118:119], v[102:103]
	s_waitcnt vmcnt(16)
	v_fmac_f64_e32 v[104:105], v[96:97], v[232:233]
	v_add_f64 v[102:103], v[102:103], v[104:105]
	v_mul_f64 v[104:105], v[98:99], v[208:209]
	v_fmac_f64_e32 v[104:105], v[100:101], v[212:213]
	v_add_f64 v[114:115], v[102:103], v[104:105]
	ds_read_b128 v[102:105], v254 offset:1376
	s_waitcnt vmcnt(10) lgkmcnt(0)
	v_mul_f64 v[116:117], v[102:103], v[236:237]
	s_waitcnt vmcnt(8)
	v_fmac_f64_e32 v[116:117], v[104:105], v[238:239]
	v_add_f64 v[114:115], v[114:115], v[116:117]
	v_mul_f64 v[116:117], v[106:107], v[216:217]
	v_fmac_f64_e32 v[116:117], v[108:109], v[220:221]
	v_add_f64 v[114:115], v[114:115], v[116:117]
	s_waitcnt vmcnt(2)
	v_mul_f64 v[116:117], v[110:111], v[240:241]
	s_waitcnt vmcnt(0)
	v_fmac_f64_e32 v[116:117], v[112:113], v[242:243]
	v_add_f64 v[118:119], v[114:115], v[116:117]
	ds_read_b128 v[114:117], v254 offset:1424
	buffer_load_dword v252, off, s[0:3], 0 offset:192
	buffer_load_dword v253, off, s[0:3], 0 offset:196
	s_waitcnt lgkmcnt(0)
	v_mul_f64 v[204:205], v[114:115], v[230:231]
	v_fmac_f64_e32 v[204:205], v[116:117], v[234:235]
	v_add_f64 v[244:245], v[118:119], v[204:205]
	v_add_f64 v[118:119], v[200:201], 0
	;; [unrolled: 1-line block ×4, first 2 shown]
	buffer_load_dword v248, off, s[0:3], 0 offset:200
	buffer_load_dword v249, off, s[0:3], 0 offset:204
	v_add_f64 v[118:119], v[118:119], v[246:247]
	v_add_f64 v[22:23], v[118:119], v[22:23]
	;; [unrolled: 1-line block ×8, first 2 shown]
	v_mul_f64 v[4:5], v[32:33], v[148:149]
	v_fma_f64 v[4:5], v[30:31], v[152:153], -v[4:5]
	v_add_f64 v[2:3], v[2:3], v[4:5]
	v_mul_f64 v[4:5], v[36:37], v[150:151]
	v_fma_f64 v[4:5], v[34:35], v[154:155], -v[4:5]
	v_add_f64 v[2:3], v[2:3], v[4:5]
	;; [unrolled: 3-line block ×22, first 2 shown]
	s_waitcnt vmcnt(2)
	v_add_f64 v[2:3], v[252:253], -v[2:3]
	s_waitcnt vmcnt(0)
	v_add_f64 v[4:5], v[248:249], -v[244:245]
	buffer_store_dword v3, off, s[0:3], 0 offset:196
	buffer_store_dword v2, off, s[0:3], 0 offset:192
	;; [unrolled: 1-line block ×4, first 2 shown]
	s_and_saveexec_b64 s[4:5], vcc
	s_cbranch_execz .LBB108_263
; %bb.262:
	v_accvgpr_read_b32 v0, a124
	buffer_load_dword v2, v0, s[0:3], 0 offen
	buffer_load_dword v3, v0, s[0:3], 0 offen offset:4
	buffer_load_dword v4, v0, s[0:3], 0 offen offset:8
	;; [unrolled: 1-line block ×3, first 2 shown]
	v_accvgpr_read_b32 v0, a135
	buffer_store_dword v254, off, s[0:3], 0 offset:176
	buffer_store_dword v254, off, s[0:3], 0 offset:180
	;; [unrolled: 1-line block ×4, first 2 shown]
	s_waitcnt vmcnt(4)
	ds_write_b128 v0, v[2:5]
.LBB108_263:
	s_or_b64 exec, exec, s[4:5]
	s_waitcnt lgkmcnt(0)
	; wave barrier
	s_waitcnt lgkmcnt(0)
	buffer_load_dword v86, off, s[0:3], 0 offset:192
	buffer_load_dword v87, off, s[0:3], 0 offset:196
	;; [unrolled: 1-line block ×42, first 2 shown]
	ds_read_b128 v[94:97], v254 offset:896
	ds_read_b128 v[106:109], v254 offset:912
	;; [unrolled: 1-line block ×10, first 2 shown]
	buffer_load_dword v147, off, s[0:3], 0 offset:340
	buffer_load_dword v146, off, s[0:3], 0 offset:336
	ds_read_b128 v[6:9], v254 offset:1056
	buffer_load_dword v143, off, s[0:3], 0 offset:396
	buffer_load_dword v142, off, s[0:3], 0 offset:392
	;; [unrolled: 1-line block ×80, first 2 shown]
	v_accvgpr_read_b32 v1, a134
	v_cmp_lt_u32_e32 vcc, 9, v1
	s_waitcnt vmcnt(62) lgkmcnt(10)
	v_mul_f64 v[26:27], v[94:95], v[88:89]
	v_fmac_f64_e32 v[26:27], v[96:97], v[86:87]
	v_add_f64 v[26:27], v[26:27], 0
	v_mul_f64 v[88:89], v[96:97], v[88:89]
	s_waitcnt lgkmcnt(9)
	v_mul_f64 v[28:29], v[106:107], v[92:93]
	v_fmac_f64_e32 v[28:29], v[108:109], v[90:91]
	s_waitcnt lgkmcnt(8)
	v_mul_f64 v[30:31], v[114:115], v[98:99]
	v_add_f64 v[26:27], v[26:27], v[28:29]
	s_waitcnt lgkmcnt(6)
	v_mul_f64 v[34:35], v[248:249], v[110:111]
	v_fma_f64 v[200:201], v[94:95], v[86:87], -v[88:89]
	v_fmac_f64_e32 v[34:35], v[250:251], v[112:113]
	v_mul_f64 v[92:93], v[108:109], v[92:93]
	v_mul_f64 v[32:33], v[244:245], v[102:103]
	;; [unrolled: 1-line block ×3, first 2 shown]
	s_waitcnt lgkmcnt(4)
	v_mul_f64 v[38:39], v[18:19], v[120:121]
	v_mul_f64 v[102:103], v[246:247], v[102:103]
	v_fmac_f64_e32 v[38:39], v[20:21], v[122:123]
	v_mul_f64 v[110:111], v[250:251], v[110:111]
	v_mul_f64 v[36:37], v[22:23], v[124:125]
	v_fma_f64 v[248:249], v[248:249], v[112:113], -v[110:111]
	s_waitcnt lgkmcnt(2)
	v_mul_f64 v[42:43], v[10:11], v[126:127]
	v_add_f64 v[200:201], v[200:201], 0
	v_mul_f64 v[20:21], v[20:21], v[120:121]
	v_mul_f64 v[40:41], v[14:15], v[132:133]
	v_fma_f64 v[18:19], v[18:19], v[122:123], -v[20:21]
	s_waitcnt lgkmcnt(1)
	v_mul_f64 v[44:45], v[2:3], v[130:131]
	v_fmac_f64_e32 v[30:31], v[116:117], v[100:101]
	v_add_f64 v[26:27], v[26:27], v[30:31]
	v_fmac_f64_e32 v[32:33], v[246:247], v[104:105]
	v_add_f64 v[26:27], v[26:27], v[32:33]
	;; [unrolled: 2-line block ×3, first 2 shown]
	v_add_f64 v[26:27], v[26:27], v[36:37]
	v_fmac_f64_e32 v[40:41], v[16:17], v[134:135]
	v_add_f64 v[26:27], v[26:27], v[38:39]
	v_fmac_f64_e32 v[42:43], v[12:13], v[128:129]
	v_add_f64 v[26:27], v[26:27], v[40:41]
	v_add_f64 v[26:27], v[26:27], v[42:43]
	s_waitcnt lgkmcnt(0)
	v_mul_f64 v[32:33], v[6:7], v[138:139]
	v_fmac_f64_e32 v[44:45], v[4:5], v[146:147]
	v_add_f64 v[30:31], v[26:27], v[44:45]
	ds_read_b128 v[26:29], v254 offset:1072
	v_fmac_f64_e32 v[32:33], v[8:9], v[140:141]
	v_add_f64 v[34:35], v[30:31], v[32:33]
	ds_read_b128 v[30:33], v254 offset:1088
	v_fma_f64 v[202:203], v[114:115], v[100:101], -v[98:99]
	s_waitcnt lgkmcnt(1)
	v_mul_f64 v[36:37], v[26:27], v[148:149]
	v_fmac_f64_e32 v[36:37], v[28:29], v[164:165]
	v_add_f64 v[38:39], v[34:35], v[36:37]
	ds_read_b128 v[34:37], v254 offset:1104
	s_waitcnt lgkmcnt(1)
	v_mul_f64 v[40:41], v[30:31], v[142:143]
	v_fmac_f64_e32 v[40:41], v[32:33], v[144:145]
	v_add_f64 v[42:43], v[38:39], v[40:41]
	ds_read_b128 v[38:41], v254 offset:1120
	;; [unrolled: 5-line block ×4, first 2 shown]
	s_waitcnt vmcnt(58) lgkmcnt(1)
	v_mul_f64 v[52:53], v[42:43], v[176:177]
	s_waitcnt vmcnt(56)
	v_fmac_f64_e32 v[52:53], v[44:45], v[180:181]
	v_add_f64 v[54:55], v[50:51], v[52:53]
	ds_read_b128 v[50:53], v254 offset:1168
	buffer_load_dword v232, off, s[0:3], 0 offset:712
	buffer_load_dword v237, off, s[0:3], 0 offset:700
	;; [unrolled: 1-line block ×8, first 2 shown]
	s_waitcnt lgkmcnt(1)
	v_mul_f64 v[56:57], v[46:47], v[154:155]
	v_fmac_f64_e32 v[56:57], v[48:49], v[156:157]
	v_add_f64 v[58:59], v[54:55], v[56:57]
	ds_read_b128 v[54:57], v254 offset:1184
	s_waitcnt vmcnt(58) lgkmcnt(1)
	v_mul_f64 v[60:61], v[50:51], v[184:185]
	s_waitcnt vmcnt(56)
	v_fmac_f64_e32 v[60:61], v[52:53], v[188:189]
	buffer_load_dword v241, off, s[0:3], 0 offset:732
	buffer_load_dword v240, off, s[0:3], 0 offset:728
	;; [unrolled: 1-line block ×4, first 2 shown]
	v_add_f64 v[62:63], v[58:59], v[60:61]
	ds_read_b128 v[58:61], v254 offset:1200
	s_waitcnt lgkmcnt(1)
	v_mul_f64 v[64:65], v[54:55], v[158:159]
	v_fmac_f64_e32 v[64:65], v[56:57], v[160:161]
	v_add_f64 v[66:67], v[62:63], v[64:65]
	ds_read_b128 v[62:65], v254 offset:1216
	s_waitcnt vmcnt(54) lgkmcnt(1)
	v_mul_f64 v[68:69], v[58:59], v[192:193]
	s_waitcnt vmcnt(52)
	v_fmac_f64_e32 v[68:69], v[60:61], v[196:197]
	v_add_f64 v[70:71], v[66:67], v[68:69]
	ds_read_b128 v[66:69], v254 offset:1232
	s_waitcnt lgkmcnt(1)
	v_mul_f64 v[72:73], v[62:63], v[162:163]
	v_fmac_f64_e32 v[72:73], v[64:65], v[166:167]
	v_add_f64 v[74:75], v[70:71], v[72:73]
	ds_read_b128 v[70:73], v254 offset:1248
	s_waitcnt vmcnt(46) lgkmcnt(1)
	v_mul_f64 v[76:77], v[66:67], v[208:209]
	s_waitcnt vmcnt(44)
	v_fmac_f64_e32 v[76:77], v[68:69], v[212:213]
	v_add_f64 v[82:83], v[74:75], v[76:77]
	ds_read_b128 v[74:77], v254 offset:1264
	ds_read_b128 v[78:81], v254 offset:1280
	s_waitcnt lgkmcnt(2)
	v_mul_f64 v[84:85], v[70:71], v[170:171]
	v_fmac_f64_e32 v[84:85], v[72:73], v[174:175]
	v_add_f64 v[82:83], v[82:83], v[84:85]
	s_waitcnt vmcnt(38) lgkmcnt(1)
	v_mul_f64 v[84:85], v[74:75], v[216:217]
	s_waitcnt vmcnt(36)
	v_fmac_f64_e32 v[84:85], v[76:77], v[218:219]
	v_add_f64 v[82:83], v[82:83], v[84:85]
	s_waitcnt lgkmcnt(0)
	v_mul_f64 v[84:85], v[78:79], v[178:179]
	v_fmac_f64_e32 v[84:85], v[80:81], v[182:183]
	v_add_f64 v[118:119], v[82:83], v[84:85]
	ds_read_b128 v[82:85], v254 offset:1296
	ds_read_b128 v[86:89], v254 offset:1312
	;; [unrolled: 1-line block ×3, first 2 shown]
	v_fma_f64 v[246:247], v[244:245], v[104:105], -v[102:103]
	ds_read_b128 v[102:105], v254 offset:1392
	ds_read_b128 v[110:113], v254 offset:1408
	s_waitcnt vmcnt(30) lgkmcnt(4)
	v_mul_f64 v[94:95], v[82:83], v[220:221]
	s_waitcnt vmcnt(28)
	v_fmac_f64_e32 v[94:95], v[84:85], v[222:223]
	v_add_f64 v[94:95], v[118:119], v[94:95]
	v_fma_f64 v[118:119], v[106:107], v[90:91], -v[92:93]
	ds_read_b128 v[90:93], v254 offset:1328
	s_waitcnt lgkmcnt(4)
	v_mul_f64 v[96:97], v[86:87], v[186:187]
	v_fmac_f64_e32 v[96:97], v[88:89], v[190:191]
	v_add_f64 v[106:107], v[94:95], v[96:97]
	ds_read_b128 v[94:97], v254 offset:1344
	s_waitcnt vmcnt(22) lgkmcnt(1)
	v_mul_f64 v[108:109], v[90:91], v[224:225]
	s_waitcnt vmcnt(20)
	v_fmac_f64_e32 v[108:109], v[92:93], v[226:227]
	v_add_f64 v[106:107], v[106:107], v[108:109]
	v_add_f64 v[118:119], v[200:201], v[118:119]
	s_waitcnt lgkmcnt(0)
	v_mul_f64 v[108:109], v[94:95], v[194:195]
	v_fmac_f64_e32 v[108:109], v[96:97], v[198:199]
	v_add_f64 v[114:115], v[106:107], v[108:109]
	ds_read_b128 v[106:109], v254 offset:1376
	s_waitcnt vmcnt(14)
	v_mul_f64 v[116:117], v[98:99], v[228:229]
	s_waitcnt vmcnt(12)
	v_fmac_f64_e32 v[116:117], v[100:101], v[230:231]
	v_add_f64 v[114:115], v[114:115], v[116:117]
	v_add_f64 v[250:251], v[118:119], v[202:203]
	s_waitcnt lgkmcnt(0)
	v_mul_f64 v[116:117], v[106:107], v[210:211]
	v_fmac_f64_e32 v[116:117], v[108:109], v[214:215]
	v_add_f64 v[114:115], v[114:115], v[116:117]
	v_add_f64 v[118:119], v[250:251], v[246:247]
	v_mul_f64 v[24:25], v[24:25], v[124:125]
	v_add_f64 v[118:119], v[118:119], v[248:249]
	v_fma_f64 v[22:23], v[22:23], v[136:137], -v[24:25]
	v_add_f64 v[22:23], v[118:119], v[22:23]
	v_mul_f64 v[16:17], v[16:17], v[132:133]
	v_add_f64 v[18:19], v[22:23], v[18:19]
	v_fma_f64 v[14:15], v[14:15], v[134:135], -v[16:17]
	v_mul_f64 v[12:13], v[12:13], v[126:127]
	s_waitcnt vmcnt(9)
	v_mul_f64 v[116:117], v[102:103], v[236:237]
	v_add_f64 v[14:15], v[18:19], v[14:15]
	s_waitcnt vmcnt(7)
	v_fmac_f64_e32 v[116:117], v[104:105], v[238:239]
	v_add_f64 v[114:115], v[114:115], v[116:117]
	s_waitcnt vmcnt(5)
	v_mul_f64 v[116:117], v[110:111], v[232:233]
	s_waitcnt vmcnt(4)
	v_fmac_f64_e32 v[116:117], v[112:113], v[234:235]
	v_add_f64 v[204:205], v[114:115], v[116:117]
	ds_read_b128 v[114:117], v254 offset:1424
	buffer_load_dword v254, off, s[0:3], 0 offset:176
	buffer_load_dword v255, off, s[0:3], 0 offset:180
	;; [unrolled: 1-line block ×4, first 2 shown]
	v_fma_f64 v[10:11], v[10:11], v[128:129], -v[12:13]
	v_mul_f64 v[4:5], v[4:5], v[130:131]
	v_add_f64 v[10:11], v[14:15], v[10:11]
	v_fma_f64 v[2:3], v[2:3], v[146:147], -v[4:5]
	v_mul_f64 v[4:5], v[8:9], v[138:139]
	v_add_f64 v[2:3], v[10:11], v[2:3]
	v_fma_f64 v[4:5], v[6:7], v[140:141], -v[4:5]
	v_add_f64 v[2:3], v[2:3], v[4:5]
	v_mul_f64 v[4:5], v[28:29], v[148:149]
	v_fma_f64 v[4:5], v[26:27], v[164:165], -v[4:5]
	v_add_f64 v[2:3], v[2:3], v[4:5]
	v_mul_f64 v[4:5], v[32:33], v[142:143]
	;; [unrolled: 3-line block ×22, first 2 shown]
	v_fma_f64 v[4:5], v[110:111], v[234:235], -v[4:5]
	v_add_f64 v[2:3], v[2:3], v[4:5]
	s_waitcnt vmcnt(6) lgkmcnt(0)
	v_mul_f64 v[4:5], v[116:117], v[240:241]
	v_mul_f64 v[206:207], v[114:115], v[240:241]
	s_waitcnt vmcnt(4)
	v_fma_f64 v[4:5], v[114:115], v[242:243], -v[4:5]
	v_fmac_f64_e32 v[206:207], v[116:117], v[242:243]
	v_add_f64 v[2:3], v[2:3], v[4:5]
	v_add_f64 v[244:245], v[204:205], v[206:207]
	s_waitcnt vmcnt(2)
	v_add_f64 v[2:3], v[254:255], -v[2:3]
	s_waitcnt vmcnt(0)
	v_add_f64 v[4:5], v[252:253], -v[244:245]
	buffer_store_dword v3, off, s[0:3], 0 offset:180
	buffer_store_dword v2, off, s[0:3], 0 offset:176
	;; [unrolled: 1-line block ×4, first 2 shown]
	s_and_saveexec_b64 s[4:5], vcc
	s_cbranch_execz .LBB108_265
; %bb.264:
	v_accvgpr_read_b32 v0, a125
	buffer_load_dword v2, v0, s[0:3], 0 offen
	buffer_load_dword v3, v0, s[0:3], 0 offen offset:4
	buffer_load_dword v4, v0, s[0:3], 0 offen offset:8
	;; [unrolled: 1-line block ×3, first 2 shown]
	v_mov_b32_e32 v0, 0
	v_accvgpr_read_b32 v6, a135
	buffer_store_dword v0, off, s[0:3], 0 offset:160
	buffer_store_dword v0, off, s[0:3], 0 offset:164
	;; [unrolled: 1-line block ×4, first 2 shown]
	s_waitcnt vmcnt(4)
	ds_write_b128 v6, v[2:5]
.LBB108_265:
	s_or_b64 exec, exec, s[4:5]
	s_waitcnt lgkmcnt(0)
	; wave barrier
	s_waitcnt lgkmcnt(0)
	buffer_load_dword v82, off, s[0:3], 0 offset:176
	buffer_load_dword v83, off, s[0:3], 0 offset:180
	;; [unrolled: 1-line block ×54, first 2 shown]
	v_mov_b32_e32 v254, 0
	ds_read_b128 v[90:93], v254 offset:880
	ds_read_b128 v[106:109], v254 offset:896
	;; [unrolled: 1-line block ×9, first 2 shown]
	buffer_load_dword v151, off, s[0:3], 0 offset:404
	buffer_load_dword v150, off, s[0:3], 0 offset:400
	;; [unrolled: 1-line block ×62, first 2 shown]
	v_cmp_lt_u32_e32 vcc, 8, v1
	s_waitcnt vmcnt(62) lgkmcnt(8)
	v_mul_f64 v[14:15], v[90:91], v[84:85]
	v_fmac_f64_e32 v[14:15], v[92:93], v[82:83]
	v_add_f64 v[14:15], v[14:15], 0
	v_mul_f64 v[84:85], v[92:93], v[84:85]
	s_waitcnt lgkmcnt(7)
	v_mul_f64 v[16:17], v[106:107], v[88:89]
	v_fmac_f64_e32 v[16:17], v[108:109], v[86:87]
	s_waitcnt lgkmcnt(6)
	v_mul_f64 v[18:19], v[114:115], v[94:95]
	v_add_f64 v[14:15], v[14:15], v[16:17]
	s_waitcnt lgkmcnt(4)
	v_mul_f64 v[22:23], v[246:247], v[102:103]
	v_fma_f64 v[200:201], v[90:91], v[82:83], -v[84:85]
	v_fmac_f64_e32 v[22:23], v[248:249], v[104:105]
	v_mul_f64 v[88:89], v[108:109], v[88:89]
	v_mul_f64 v[20:21], v[242:243], v[98:99]
	v_fma_f64 v[202:203], v[106:107], v[86:87], -v[88:89]
	s_waitcnt lgkmcnt(2)
	v_mul_f64 v[26:27], v[10:11], v[120:121]
	v_mul_f64 v[94:95], v[116:117], v[94:95]
	v_fmac_f64_e32 v[26:27], v[12:13], v[122:123]
	v_mul_f64 v[98:99], v[244:245], v[98:99]
	v_mul_f64 v[24:25], v[250:251], v[110:111]
	;; [unrolled: 1-line block ×3, first 2 shown]
	s_waitcnt lgkmcnt(1)
	v_mul_f64 v[28:29], v[6:7], v[124:125]
	v_mul_f64 v[110:111], v[252:253], v[110:111]
	v_fmac_f64_e32 v[18:19], v[116:117], v[96:97]
	v_add_f64 v[14:15], v[14:15], v[18:19]
	v_fmac_f64_e32 v[20:21], v[244:245], v[100:101]
	v_add_f64 v[14:15], v[14:15], v[20:21]
	;; [unrolled: 2-line block ×3, first 2 shown]
	v_add_f64 v[14:15], v[14:15], v[24:25]
	v_fmac_f64_e32 v[28:29], v[8:9], v[128:129]
	v_add_f64 v[14:15], v[14:15], v[26:27]
	v_add_f64 v[18:19], v[14:15], v[28:29]
	ds_read_b128 v[14:17], v254 offset:1024
	s_waitcnt lgkmcnt(1)
	v_mul_f64 v[20:21], v[2:3], v[126:127]
	v_fmac_f64_e32 v[20:21], v[4:5], v[130:131]
	v_add_f64 v[22:23], v[18:19], v[20:21]
	ds_read_b128 v[18:21], v254 offset:1040
	s_waitcnt lgkmcnt(1)
	v_mul_f64 v[24:25], v[14:15], v[136:137]
	v_fmac_f64_e32 v[24:25], v[16:17], v[138:139]
	;; [unrolled: 5-line block ×5, first 2 shown]
	v_add_f64 v[38:39], v[34:35], v[36:37]
	ds_read_b128 v[34:37], v254 offset:1104
	s_waitcnt vmcnt(58) lgkmcnt(1)
	v_mul_f64 v[40:41], v[30:31], v[164:165]
	s_waitcnt vmcnt(56)
	v_fmac_f64_e32 v[40:41], v[32:33], v[168:169]
	v_add_f64 v[42:43], v[38:39], v[40:41]
	ds_read_b128 v[38:41], v254 offset:1120
	s_waitcnt lgkmcnt(1)
	v_mul_f64 v[44:45], v[34:35], v[144:145]
	v_fmac_f64_e32 v[44:45], v[36:37], v[150:151]
	v_add_f64 v[46:47], v[42:43], v[44:45]
	ds_read_b128 v[42:45], v254 offset:1136
	s_waitcnt vmcnt(50) lgkmcnt(1)
	v_mul_f64 v[48:49], v[38:39], v[172:173]
	s_waitcnt vmcnt(48)
	v_fmac_f64_e32 v[48:49], v[40:41], v[176:177]
	v_add_f64 v[50:51], v[46:47], v[48:49]
	ds_read_b128 v[46:49], v254 offset:1152
	buffer_load_dword v221, off, s[0:3], 0 offset:652
	buffer_load_dword v220, off, s[0:3], 0 offset:648
	;; [unrolled: 1-line block ×8, first 2 shown]
	s_waitcnt lgkmcnt(1)
	v_mul_f64 v[52:53], v[42:43], v[152:153]
	v_fmac_f64_e32 v[52:53], v[44:45], v[154:155]
	v_add_f64 v[54:55], v[50:51], v[52:53]
	ds_read_b128 v[50:53], v254 offset:1168
	s_waitcnt vmcnt(50) lgkmcnt(1)
	v_mul_f64 v[56:57], v[46:47], v[180:181]
	s_waitcnt vmcnt(48)
	v_fmac_f64_e32 v[56:57], v[48:49], v[184:185]
	buffer_load_dword v225, off, s[0:3], 0 offset:700
	buffer_load_dword v231, off, s[0:3], 0 offset:684
	;; [unrolled: 1-line block ×12, first 2 shown]
	v_add_f64 v[58:59], v[54:55], v[56:57]
	ds_read_b128 v[54:57], v254 offset:1184
	s_waitcnt lgkmcnt(1)
	v_mul_f64 v[60:61], v[50:51], v[156:157]
	v_fmac_f64_e32 v[60:61], v[52:53], v[158:159]
	v_add_f64 v[62:63], v[58:59], v[60:61]
	ds_read_b128 v[58:61], v254 offset:1200
	s_waitcnt vmcnt(54) lgkmcnt(1)
	v_mul_f64 v[64:65], v[54:55], v[188:189]
	s_waitcnt vmcnt(52)
	v_fmac_f64_e32 v[64:65], v[56:57], v[192:193]
	v_add_f64 v[66:67], v[62:63], v[64:65]
	ds_read_b128 v[62:65], v254 offset:1216
	s_waitcnt lgkmcnt(1)
	v_mul_f64 v[68:69], v[58:59], v[160:161]
	v_fmac_f64_e32 v[68:69], v[60:61], v[162:163]
	v_add_f64 v[70:71], v[66:67], v[68:69]
	ds_read_b128 v[66:69], v254 offset:1232
	s_waitcnt vmcnt(46) lgkmcnt(1)
	v_mul_f64 v[72:73], v[62:63], v[196:197]
	s_waitcnt vmcnt(44)
	v_fmac_f64_e32 v[72:73], v[64:65], v[198:199]
	v_add_f64 v[78:79], v[70:71], v[72:73]
	ds_read_b128 v[70:73], v254 offset:1248
	ds_read_b128 v[74:77], v254 offset:1264
	s_waitcnt lgkmcnt(2)
	v_mul_f64 v[80:81], v[66:67], v[166:167]
	v_fmac_f64_e32 v[80:81], v[68:69], v[170:171]
	v_add_f64 v[78:79], v[78:79], v[80:81]
	s_waitcnt vmcnt(38) lgkmcnt(1)
	v_mul_f64 v[80:81], v[70:71], v[208:209]
	s_waitcnt vmcnt(36)
	v_fmac_f64_e32 v[80:81], v[72:73], v[210:211]
	v_add_f64 v[78:79], v[78:79], v[80:81]
	s_waitcnt lgkmcnt(0)
	v_mul_f64 v[80:81], v[74:75], v[174:175]
	v_fmac_f64_e32 v[80:81], v[76:77], v[178:179]
	v_add_f64 v[118:119], v[78:79], v[80:81]
	ds_read_b128 v[78:81], v254 offset:1280
	ds_read_b128 v[82:85], v254 offset:1296
	;; [unrolled: 1-line block ×3, first 2 shown]
	v_fma_f64 v[204:205], v[242:243], v[100:101], -v[98:99]
	ds_read_b128 v[98:101], v254 offset:1360
	s_waitcnt vmcnt(30) lgkmcnt(3)
	v_mul_f64 v[90:91], v[78:79], v[212:213]
	s_waitcnt vmcnt(28)
	v_fmac_f64_e32 v[90:91], v[80:81], v[214:215]
	s_waitcnt lgkmcnt(2)
	v_mul_f64 v[92:93], v[82:83], v[182:183]
	v_add_f64 v[90:91], v[118:119], v[90:91]
	v_fmac_f64_e32 v[92:93], v[84:85], v[186:187]
	v_add_f64 v[90:91], v[90:91], v[92:93]
	v_fma_f64 v[118:119], v[114:115], v[96:97], -v[94:95]
	ds_read_b128 v[94:97], v254 offset:1344
	s_waitcnt vmcnt(22) lgkmcnt(2)
	v_mul_f64 v[92:93], v[86:87], v[216:217]
	s_waitcnt vmcnt(20)
	v_fmac_f64_e32 v[92:93], v[88:89], v[218:219]
	v_add_f64 v[106:107], v[90:91], v[92:93]
	ds_read_b128 v[90:93], v254 offset:1328
	buffer_load_dword v240, off, s[0:3], 0 offset:728
	v_fma_f64 v[206:207], v[246:247], v[104:105], -v[102:103]
	ds_read_b128 v[102:105], v254 offset:1376
	v_fma_f64 v[250:251], v[250:251], v[112:113], -v[110:111]
	s_waitcnt lgkmcnt(1)
	v_mul_f64 v[108:109], v[90:91], v[190:191]
	v_fmac_f64_e32 v[108:109], v[92:93], v[194:195]
	v_add_f64 v[106:107], v[106:107], v[108:109]
	ds_read_b128 v[110:113], v254 offset:1408
	v_add_f64 v[200:201], v[200:201], 0
	v_add_f64 v[200:201], v[200:201], v[202:203]
	;; [unrolled: 1-line block ×5, first 2 shown]
	v_mul_f64 v[12:13], v[12:13], v[120:121]
	v_add_f64 v[118:119], v[252:253], v[250:251]
	v_fma_f64 v[10:11], v[10:11], v[122:123], -v[12:13]
	v_mul_f64 v[8:9], v[8:9], v[124:125]
	v_add_f64 v[10:11], v[118:119], v[10:11]
	v_fma_f64 v[6:7], v[6:7], v[128:129], -v[8:9]
	;; [unrolled: 3-line block ×3, first 2 shown]
	v_mul_f64 v[4:5], v[16:17], v[136:137]
	v_add_f64 v[2:3], v[6:7], v[2:3]
	s_waitcnt vmcnt(19)
	v_mul_f64 v[108:109], v[94:95], v[220:221]
	v_fma_f64 v[4:5], v[14:15], v[138:139], -v[4:5]
	s_waitcnt vmcnt(17)
	v_fmac_f64_e32 v[108:109], v[96:97], v[222:223]
	v_add_f64 v[106:107], v[106:107], v[108:109]
	s_waitcnt vmcnt(15)
	v_mul_f64 v[108:109], v[98:99], v[226:227]
	s_waitcnt vmcnt(13)
	v_fmac_f64_e32 v[108:109], v[100:101], v[228:229]
	v_add_f64 v[114:115], v[106:107], v[108:109]
	ds_read_b128 v[106:109], v254 offset:1392
	buffer_load_dword v244, off, s[0:3], 0 offset:720
	buffer_load_dword v241, off, s[0:3], 0 offset:732
	;; [unrolled: 1-line block ×3, first 2 shown]
	s_waitcnt vmcnt(13) lgkmcnt(2)
	v_mul_f64 v[116:117], v[102:103], v[230:231]
	s_waitcnt vmcnt(11)
	v_fmac_f64_e32 v[116:117], v[104:105], v[236:237]
	v_add_f64 v[114:115], v[114:115], v[116:117]
	s_waitcnt vmcnt(10) lgkmcnt(0)
	v_mul_f64 v[116:117], v[106:107], v[224:225]
	s_waitcnt vmcnt(8)
	v_fmac_f64_e32 v[116:117], v[108:109], v[234:235]
	v_add_f64 v[114:115], v[114:115], v[116:117]
	s_waitcnt vmcnt(6)
	v_mul_f64 v[116:117], v[110:111], v[232:233]
	s_waitcnt vmcnt(4)
	v_fmac_f64_e32 v[116:117], v[112:113], v[238:239]
	v_add_f64 v[242:243], v[114:115], v[116:117]
	ds_read_b128 v[114:117], v254 offset:1424
	buffer_load_dword v248, off, s[0:3], 0 offset:160
	buffer_load_dword v249, off, s[0:3], 0 offset:164
	v_add_f64 v[2:3], v[2:3], v[4:5]
	v_mul_f64 v[4:5], v[20:21], v[132:133]
	v_fma_f64 v[4:5], v[18:19], v[134:135], -v[4:5]
	v_add_f64 v[2:3], v[2:3], v[4:5]
	v_mul_f64 v[4:5], v[24:25], v[146:147]
	v_fma_f64 v[4:5], v[22:23], v[148:149], -v[4:5]
	;; [unrolled: 3-line block ×22, first 2 shown]
	v_add_f64 v[2:3], v[2:3], v[4:5]
	s_waitcnt vmcnt(3) lgkmcnt(0)
	v_mul_f64 v[246:247], v[114:115], v[240:241]
	s_waitcnt vmcnt(2)
	v_fmac_f64_e32 v[246:247], v[116:117], v[244:245]
	v_add_f64 v[242:243], v[242:243], v[246:247]
	buffer_load_dword v246, off, s[0:3], 0 offset:168
	buffer_load_dword v247, off, s[0:3], 0 offset:172
	v_mul_f64 v[4:5], v[108:109], v[224:225]
	v_fma_f64 v[4:5], v[106:107], v[234:235], -v[4:5]
	v_add_f64 v[2:3], v[2:3], v[4:5]
	v_mul_f64 v[4:5], v[112:113], v[232:233]
	v_fma_f64 v[4:5], v[110:111], v[238:239], -v[4:5]
	v_add_f64 v[2:3], v[2:3], v[4:5]
	;; [unrolled: 3-line block ×3, first 2 shown]
	s_waitcnt vmcnt(2)
	v_add_f64 v[2:3], v[248:249], -v[2:3]
	s_waitcnt vmcnt(0)
	v_add_f64 v[4:5], v[246:247], -v[242:243]
	buffer_store_dword v3, off, s[0:3], 0 offset:164
	buffer_store_dword v2, off, s[0:3], 0 offset:160
	;; [unrolled: 1-line block ×4, first 2 shown]
	s_and_saveexec_b64 s[4:5], vcc
	s_cbranch_execz .LBB108_267
; %bb.266:
	v_accvgpr_read_b32 v0, a126
	buffer_load_dword v2, v0, s[0:3], 0 offen
	buffer_load_dword v3, v0, s[0:3], 0 offen offset:4
	buffer_load_dword v4, v0, s[0:3], 0 offen offset:8
	;; [unrolled: 1-line block ×3, first 2 shown]
	v_accvgpr_read_b32 v0, a135
	buffer_store_dword v254, off, s[0:3], 0 offset:144
	buffer_store_dword v254, off, s[0:3], 0 offset:148
	;; [unrolled: 1-line block ×4, first 2 shown]
	s_waitcnt vmcnt(4)
	ds_write_b128 v0, v[2:5]
.LBB108_267:
	s_or_b64 exec, exec, s[4:5]
	s_waitcnt lgkmcnt(0)
	; wave barrier
	s_waitcnt lgkmcnt(0)
	buffer_load_dword v84, off, s[0:3], 0 offset:160
	buffer_load_dword v85, off, s[0:3], 0 offset:164
	buffer_load_dword v106, off, s[0:3], 0 offset:168
	buffer_load_dword v107, off, s[0:3], 0 offset:172
	buffer_load_dword v82, off, s[0:3], 0 offset:176
	buffer_load_dword v83, off, s[0:3], 0 offset:180
	buffer_load_dword v96, off, s[0:3], 0 offset:184
	buffer_load_dword v97, off, s[0:3], 0 offset:188
	buffer_load_dword v94, off, s[0:3], 0 offset:200
	buffer_load_dword v95, off, s[0:3], 0 offset:204
	buffer_load_dword v109, off, s[0:3], 0 offset:236
	buffer_load_dword v108, off, s[0:3], 0 offset:232
	buffer_load_dword v115, off, s[0:3], 0 offset:228
	buffer_load_dword v114, off, s[0:3], 0 offset:224
	buffer_load_dword v117, off, s[0:3], 0 offset:220
	buffer_load_dword v116, off, s[0:3], 0 offset:216
	buffer_load_dword v241, off, s[0:3], 0 offset:268
	buffer_load_dword v240, off, s[0:3], 0 offset:264
	buffer_load_dword v242, off, s[0:3], 0 offset:256
	buffer_load_dword v245, off, s[0:3], 0 offset:252
	buffer_load_dword v244, off, s[0:3], 0 offset:248
	buffer_load_dword v121, off, s[0:3], 0 offset:284
	buffer_load_dword v120, off, s[0:3], 0 offset:280
	buffer_load_dword v250, off, s[0:3], 0 offset:192
	buffer_load_dword v251, off, s[0:3], 0 offset:196
	buffer_load_dword v249, off, s[0:3], 0 offset:212
	buffer_load_dword v248, off, s[0:3], 0 offset:208
	buffer_load_dword v247, off, s[0:3], 0 offset:244
	buffer_load_dword v246, off, s[0:3], 0 offset:240
	buffer_load_dword v243, off, s[0:3], 0 offset:260
	buffer_load_dword v122, off, s[0:3], 0 offset:296
	buffer_load_dword v124, off, s[0:3], 0 offset:288
	buffer_load_dword v125, off, s[0:3], 0 offset:292
	buffer_load_dword v123, off, s[0:3], 0 offset:300
	ds_read_b128 v[74:77], v254 offset:864
	ds_read_b128 v[78:81], v254 offset:880
	;; [unrolled: 1-line block ×8, first 2 shown]
	buffer_load_dword v127, off, s[0:3], 0 offset:276
	buffer_load_dword v126, off, s[0:3], 0 offset:272
	ds_read_b128 v[6:9], v254 offset:992
	buffer_load_dword v129, off, s[0:3], 0 offset:332
	buffer_load_dword v128, off, s[0:3], 0 offset:328
	;; [unrolled: 1-line block ×80, first 2 shown]
	v_accvgpr_read_b32 v1, a134
	v_cmp_lt_u32_e32 vcc, 7, v1
	s_waitcnt vmcnt(62) lgkmcnt(8)
	v_mul_f64 v[10:11], v[74:75], v[106:107]
	v_fmac_f64_e32 v[10:11], v[76:77], v[84:85]
	v_add_f64 v[10:11], v[10:11], 0
	v_mul_f64 v[76:77], v[76:77], v[106:107]
	s_waitcnt lgkmcnt(7)
	v_mul_f64 v[12:13], v[78:79], v[96:97]
	v_fmac_f64_e32 v[12:13], v[80:81], v[82:83]
	s_waitcnt lgkmcnt(6)
	v_mul_f64 v[14:15], v[86:87], v[94:95]
	v_add_f64 v[10:11], v[10:11], v[12:13]
	s_waitcnt lgkmcnt(4)
	v_mul_f64 v[18:19], v[98:99], v[108:109]
	v_fma_f64 v[200:201], v[74:75], v[84:85], -v[76:77]
	v_fmac_f64_e32 v[18:19], v[100:101], v[114:115]
	v_mul_f64 v[80:81], v[80:81], v[96:97]
	v_mul_f64 v[16:17], v[90:91], v[116:117]
	v_fma_f64 v[202:203], v[78:79], v[82:83], -v[80:81]
	s_waitcnt lgkmcnt(2)
	v_mul_f64 v[22:23], v[110:111], v[240:241]
	v_mul_f64 v[100:101], v[100:101], v[108:109]
	v_fma_f64 v[206:207], v[98:99], v[114:115], -v[100:101]
	v_mul_f64 v[20:21], v[102:103], v[244:245]
	v_add_f64 v[200:201], v[200:201], 0
	s_waitcnt lgkmcnt(1)
	v_mul_f64 v[24:25], v[2:3], v[120:121]
	v_add_f64 v[200:201], v[200:201], v[202:203]
	v_fmac_f64_e32 v[14:15], v[88:89], v[250:251]
	v_add_f64 v[10:11], v[10:11], v[14:15]
	v_fmac_f64_e32 v[16:17], v[92:93], v[248:249]
	;; [unrolled: 2-line block ×4, first 2 shown]
	v_add_f64 v[10:11], v[10:11], v[20:21]
	v_add_f64 v[10:11], v[10:11], v[22:23]
	s_waitcnt lgkmcnt(0)
	v_mul_f64 v[16:17], v[6:7], v[122:123]
	v_fmac_f64_e32 v[16:17], v[8:9], v[124:125]
	v_fmac_f64_e32 v[24:25], v[4:5], v[126:127]
	v_add_f64 v[14:15], v[10:11], v[24:25]
	ds_read_b128 v[10:13], v254 offset:1008
	v_add_f64 v[18:19], v[14:15], v[16:17]
	ds_read_b128 v[14:17], v254 offset:1024
	v_mul_f64 v[88:89], v[88:89], v[94:95]
	v_mul_f64 v[92:93], v[92:93], v[116:117]
	s_waitcnt lgkmcnt(1)
	v_mul_f64 v[20:21], v[10:11], v[132:133]
	v_fmac_f64_e32 v[20:21], v[12:13], v[134:135]
	s_waitcnt lgkmcnt(0)
	v_mul_f64 v[24:25], v[14:15], v[128:129]
	v_add_f64 v[22:23], v[18:19], v[20:21]
	ds_read_b128 v[18:21], v254 offset:1040
	v_fmac_f64_e32 v[24:25], v[16:17], v[130:131]
	v_add_f64 v[26:27], v[22:23], v[24:25]
	ds_read_b128 v[22:25], v254 offset:1056
	v_fma_f64 v[204:205], v[90:91], v[248:249], -v[92:93]
	s_waitcnt lgkmcnt(1)
	v_mul_f64 v[28:29], v[18:19], v[144:145]
	v_fmac_f64_e32 v[28:29], v[20:21], v[146:147]
	v_add_f64 v[30:31], v[26:27], v[28:29]
	s_waitcnt lgkmcnt(0)
	v_mul_f64 v[32:33], v[22:23], v[136:137]
	ds_read_b128 v[26:29], v254 offset:1072
	v_fmac_f64_e32 v[32:33], v[24:25], v[138:139]
	v_add_f64 v[34:35], v[30:31], v[32:33]
	ds_read_b128 v[30:33], v254 offset:1088
	v_mul_f64 v[104:105], v[104:105], v[244:245]
	s_waitcnt vmcnt(58) lgkmcnt(1)
	v_mul_f64 v[36:37], v[26:27], v[160:161]
	s_waitcnt vmcnt(56)
	v_fmac_f64_e32 v[36:37], v[28:29], v[164:165]
	v_add_f64 v[38:39], v[34:35], v[36:37]
	s_waitcnt lgkmcnt(0)
	v_mul_f64 v[40:41], v[30:31], v[140:141]
	ds_read_b128 v[34:37], v254 offset:1104
	v_fmac_f64_e32 v[40:41], v[32:33], v[142:143]
	v_add_f64 v[42:43], v[38:39], v[40:41]
	ds_read_b128 v[38:41], v254 offset:1120
	v_mul_f64 v[112:113], v[112:113], v[240:241]
	s_waitcnt vmcnt(50) lgkmcnt(1)
	v_mul_f64 v[44:45], v[34:35], v[168:169]
	s_waitcnt vmcnt(48)
	v_fmac_f64_e32 v[44:45], v[36:37], v[172:173]
	v_add_f64 v[46:47], v[42:43], v[44:45]
	s_waitcnt lgkmcnt(0)
	v_mul_f64 v[48:49], v[38:39], v[148:149]
	v_fmac_f64_e32 v[48:49], v[40:41], v[150:151]
	ds_read_b128 v[42:45], v254 offset:1136
	v_add_f64 v[50:51], v[46:47], v[48:49]
	ds_read_b128 v[46:49], v254 offset:1152
	buffer_load_dword v217, off, s[0:3], 0 offset:652
	buffer_load_dword v219, off, s[0:3], 0 offset:636
	;; [unrolled: 1-line block ×12, first 2 shown]
	v_fma_f64 v[252:253], v[110:111], v[242:243], -v[112:113]
	s_waitcnt vmcnt(54) lgkmcnt(1)
	v_mul_f64 v[52:53], v[42:43], v[176:177]
	s_waitcnt vmcnt(52)
	v_fmac_f64_e32 v[52:53], v[44:45], v[180:181]
	v_add_f64 v[54:55], v[50:51], v[52:53]
	ds_read_b128 v[50:53], v254 offset:1168
	s_waitcnt lgkmcnt(1)
	v_mul_f64 v[56:57], v[46:47], v[152:153]
	v_fmac_f64_e32 v[56:57], v[48:49], v[154:155]
	buffer_load_dword v231, off, s[0:3], 0 offset:684
	buffer_load_dword v230, off, s[0:3], 0 offset:680
	;; [unrolled: 1-line block ×12, first 2 shown]
	v_add_f64 v[58:59], v[54:55], v[56:57]
	ds_read_b128 v[54:57], v254 offset:1184
	s_waitcnt vmcnt(58) lgkmcnt(1)
	v_mul_f64 v[60:61], v[50:51], v[184:185]
	s_waitcnt vmcnt(56)
	v_fmac_f64_e32 v[60:61], v[52:53], v[188:189]
	v_add_f64 v[62:63], v[58:59], v[60:61]
	ds_read_b128 v[58:61], v254 offset:1200
	s_waitcnt lgkmcnt(1)
	v_mul_f64 v[64:65], v[54:55], v[156:157]
	v_fmac_f64_e32 v[64:65], v[56:57], v[158:159]
	v_add_f64 v[70:71], v[62:63], v[64:65]
	ds_read_b128 v[62:65], v254 offset:1216
	ds_read_b128 v[66:69], v254 offset:1232
	s_waitcnt vmcnt(50) lgkmcnt(2)
	v_mul_f64 v[72:73], v[58:59], v[192:193]
	s_waitcnt vmcnt(48)
	v_fmac_f64_e32 v[72:73], v[60:61], v[194:195]
	v_add_f64 v[70:71], v[70:71], v[72:73]
	s_waitcnt lgkmcnt(1)
	v_mul_f64 v[72:73], v[62:63], v[162:163]
	v_fmac_f64_e32 v[72:73], v[64:65], v[166:167]
	v_add_f64 v[70:71], v[70:71], v[72:73]
	s_waitcnt vmcnt(42) lgkmcnt(0)
	v_mul_f64 v[72:73], v[66:67], v[196:197]
	s_waitcnt vmcnt(40)
	v_fmac_f64_e32 v[72:73], v[68:69], v[198:199]
	v_add_f64 v[118:119], v[70:71], v[72:73]
	ds_read_b128 v[70:73], v254 offset:1248
	ds_read_b128 v[74:77], v254 offset:1264
	ds_read_b128 v[78:81], v254 offset:1280
	ds_read_b128 v[90:93], v254 offset:1328
	ds_read_b128 v[98:101], v254 offset:1360
	s_waitcnt lgkmcnt(4)
	v_mul_f64 v[84:85], v[70:71], v[170:171]
	v_fmac_f64_e32 v[84:85], v[72:73], v[174:175]
	v_add_f64 v[82:83], v[118:119], v[84:85]
	s_waitcnt vmcnt(34) lgkmcnt(3)
	v_mul_f64 v[84:85], v[74:75], v[208:209]
	s_waitcnt vmcnt(32)
	v_fmac_f64_e32 v[84:85], v[76:77], v[210:211]
	v_add_f64 v[82:83], v[82:83], v[84:85]
	v_fma_f64 v[118:119], v[86:87], v[250:251], -v[88:89]
	ds_read_b128 v[86:89], v254 offset:1312
	s_waitcnt lgkmcnt(3)
	v_mul_f64 v[84:85], v[78:79], v[178:179]
	v_fmac_f64_e32 v[84:85], v[80:81], v[182:183]
	v_add_f64 v[96:97], v[82:83], v[84:85]
	ds_read_b128 v[82:85], v254 offset:1296
	v_fma_f64 v[250:251], v[102:103], v[246:247], -v[104:105]
	ds_read_b128 v[110:113], v254 offset:1408
	v_add_f64 v[118:119], v[200:201], v[118:119]
	v_add_f64 v[118:119], v[118:119], v[204:205]
	s_waitcnt vmcnt(26) lgkmcnt(1)
	v_mul_f64 v[94:95], v[82:83], v[212:213]
	s_waitcnt vmcnt(24)
	v_fmac_f64_e32 v[94:95], v[84:85], v[214:215]
	v_add_f64 v[94:95], v[96:97], v[94:95]
	v_mul_f64 v[96:97], v[86:87], v[186:187]
	v_fmac_f64_e32 v[96:97], v[88:89], v[190:191]
	v_add_f64 v[106:107], v[94:95], v[96:97]
	ds_read_b128 v[94:97], v254 offset:1344
	v_mul_f64 v[4:5], v[4:5], v[120:121]
	v_fma_f64 v[2:3], v[2:3], v[126:127], -v[4:5]
	v_mul_f64 v[4:5], v[8:9], v[122:123]
	v_fma_f64 v[4:5], v[6:7], v[124:125], -v[4:5]
	ds_read_b128 v[102:105], v254 offset:1392
	s_waitcnt vmcnt(21)
	v_mul_f64 v[108:109], v[90:91], v[218:219]
	s_waitcnt vmcnt(19)
	v_fmac_f64_e32 v[108:109], v[92:93], v[224:225]
	v_add_f64 v[106:107], v[106:107], v[108:109]
	s_waitcnt vmcnt(18) lgkmcnt(1)
	v_mul_f64 v[108:109], v[94:95], v[216:217]
	s_waitcnt vmcnt(16)
	v_fmac_f64_e32 v[108:109], v[96:97], v[222:223]
	v_add_f64 v[114:115], v[106:107], v[108:109]
	ds_read_b128 v[106:109], v254 offset:1376
	buffer_load_dword v243, off, s[0:3], 0 offset:732
	buffer_load_dword v242, off, s[0:3], 0 offset:728
	;; [unrolled: 1-line block ×4, first 2 shown]
	s_waitcnt vmcnt(18)
	v_mul_f64 v[116:117], v[98:99], v[220:221]
	s_waitcnt vmcnt(16)
	v_fmac_f64_e32 v[116:117], v[100:101], v[226:227]
	v_add_f64 v[114:115], v[114:115], v[116:117]
	s_waitcnt vmcnt(14) lgkmcnt(0)
	v_mul_f64 v[116:117], v[106:107], v[230:231]
	s_waitcnt vmcnt(12)
	v_fmac_f64_e32 v[116:117], v[108:109], v[232:233]
	v_add_f64 v[114:115], v[114:115], v[116:117]
	s_waitcnt vmcnt(9)
	v_mul_f64 v[116:117], v[102:103], v[236:237]
	s_waitcnt vmcnt(7)
	v_fmac_f64_e32 v[116:117], v[104:105], v[238:239]
	v_add_f64 v[114:115], v[114:115], v[116:117]
	s_waitcnt vmcnt(5)
	v_mul_f64 v[116:117], v[110:111], v[228:229]
	s_waitcnt vmcnt(4)
	v_fmac_f64_e32 v[116:117], v[112:113], v[234:235]
	v_add_f64 v[240:241], v[114:115], v[116:117]
	ds_read_b128 v[114:117], v254 offset:1424
	v_add_f64 v[254:255], v[118:119], v[206:207]
	v_add_f64 v[118:119], v[254:255], v[250:251]
	v_add_f64 v[118:119], v[118:119], v[252:253]
	v_add_f64 v[2:3], v[118:119], v[2:3]
	v_add_f64 v[2:3], v[2:3], v[4:5]
	v_mul_f64 v[4:5], v[12:13], v[132:133]
	v_fma_f64 v[4:5], v[10:11], v[134:135], -v[4:5]
	v_add_f64 v[2:3], v[2:3], v[4:5]
	v_mul_f64 v[4:5], v[16:17], v[128:129]
	v_fma_f64 v[4:5], v[14:15], v[130:131], -v[4:5]
	v_add_f64 v[2:3], v[2:3], v[4:5]
	;; [unrolled: 3-line block ×19, first 2 shown]
	v_mul_f64 v[4:5], v[88:89], v[186:187]
	v_fma_f64 v[4:5], v[86:87], v[190:191], -v[4:5]
	s_waitcnt vmcnt(2) lgkmcnt(0)
	v_mul_f64 v[246:247], v[114:115], v[242:243]
	v_add_f64 v[2:3], v[2:3], v[4:5]
	s_waitcnt vmcnt(0)
	v_fmac_f64_e32 v[246:247], v[116:117], v[244:245]
	v_add_f64 v[240:241], v[240:241], v[246:247]
	buffer_load_dword v248, off, s[0:3], 0 offset:144
	buffer_load_dword v249, off, s[0:3], 0 offset:148
	;; [unrolled: 1-line block ×4, first 2 shown]
	v_mul_f64 v[4:5], v[92:93], v[218:219]
	v_fma_f64 v[4:5], v[90:91], v[224:225], -v[4:5]
	v_add_f64 v[2:3], v[2:3], v[4:5]
	v_mul_f64 v[4:5], v[96:97], v[216:217]
	v_fma_f64 v[4:5], v[94:95], v[222:223], -v[4:5]
	v_add_f64 v[2:3], v[2:3], v[4:5]
	;; [unrolled: 3-line block ×7, first 2 shown]
	s_waitcnt vmcnt(2)
	v_add_f64 v[2:3], v[248:249], -v[2:3]
	s_waitcnt vmcnt(0)
	v_add_f64 v[4:5], v[246:247], -v[240:241]
	buffer_store_dword v3, off, s[0:3], 0 offset:148
	buffer_store_dword v2, off, s[0:3], 0 offset:144
	;; [unrolled: 1-line block ×4, first 2 shown]
	s_and_saveexec_b64 s[4:5], vcc
	s_cbranch_execz .LBB108_269
; %bb.268:
	v_accvgpr_read_b32 v0, a127
	buffer_load_dword v2, v0, s[0:3], 0 offen
	buffer_load_dword v3, v0, s[0:3], 0 offen offset:4
	buffer_load_dword v4, v0, s[0:3], 0 offen offset:8
	;; [unrolled: 1-line block ×3, first 2 shown]
	v_mov_b32_e32 v0, 0
	v_accvgpr_read_b32 v6, a135
	buffer_store_dword v0, off, s[0:3], 0 offset:128
	buffer_store_dword v0, off, s[0:3], 0 offset:132
	;; [unrolled: 1-line block ×4, first 2 shown]
	s_waitcnt vmcnt(4)
	ds_write_b128 v6, v[2:5]
.LBB108_269:
	s_or_b64 exec, exec, s[4:5]
	s_waitcnt lgkmcnt(0)
	; wave barrier
	s_waitcnt lgkmcnt(0)
	buffer_load_dword v66, off, s[0:3], 0 offset:144
	buffer_load_dword v67, off, s[0:3], 0 offset:148
	;; [unrolled: 1-line block ×55, first 2 shown]
	v_mov_b32_e32 v254, 0
	ds_read_b128 v[74:77], v254 offset:848
	ds_read_b128 v[86:89], v254 offset:864
	ds_read_b128 v[98:101], v254 offset:880
	ds_read_b128 v[110:113], v254 offset:896
	ds_read_b128 v[114:117], v254 offset:912
	ds_read_b128 v[240:243], v254 offset:928
	ds_read_b128 v[244:247], v254 offset:944
	ds_read_b128 v[248:251], v254 offset:960
	ds_read_b128 v[2:5], v254 offset:976
	buffer_load_dword v138, off, s[0:3], 0 offset:368
	buffer_load_dword v157, off, s[0:3], 0 offset:364
	;; [unrolled: 1-line block ×61, first 2 shown]
	v_cmp_lt_u32_e32 vcc, 6, v1
	s_waitcnt vmcnt(62) lgkmcnt(8)
	v_mul_f64 v[6:7], v[74:75], v[68:69]
	v_fmac_f64_e32 v[6:7], v[76:77], v[66:67]
	v_add_f64 v[6:7], v[6:7], 0
	v_mul_f64 v[68:69], v[76:77], v[68:69]
	s_waitcnt lgkmcnt(7)
	v_mul_f64 v[8:9], v[86:87], v[72:73]
	v_fmac_f64_e32 v[8:9], v[88:89], v[70:71]
	s_waitcnt lgkmcnt(6)
	v_mul_f64 v[10:11], v[98:99], v[78:79]
	v_add_f64 v[6:7], v[6:7], v[8:9]
	s_waitcnt lgkmcnt(4)
	v_mul_f64 v[14:15], v[114:115], v[90:91]
	v_fma_f64 v[200:201], v[74:75], v[66:67], -v[68:69]
	v_fmac_f64_e32 v[14:15], v[116:117], v[92:93]
	v_mul_f64 v[72:73], v[88:89], v[72:73]
	v_mul_f64 v[12:13], v[110:111], v[82:83]
	;; [unrolled: 1-line block ×3, first 2 shown]
	s_waitcnt lgkmcnt(2)
	v_mul_f64 v[18:19], v[244:245], v[102:103]
	v_mul_f64 v[82:83], v[112:113], v[82:83]
	;; [unrolled: 1-line block ×4, first 2 shown]
	v_fma_f64 v[206:207], v[114:115], v[92:93], -v[90:91]
	s_waitcnt lgkmcnt(1)
	v_mul_f64 v[20:21], v[248:249], v[106:107]
	v_fmac_f64_e32 v[20:21], v[250:251], v[108:109]
	v_fmac_f64_e32 v[10:11], v[100:101], v[80:81]
	v_add_f64 v[6:7], v[6:7], v[10:11]
	v_fmac_f64_e32 v[12:13], v[112:113], v[84:85]
	v_add_f64 v[6:7], v[6:7], v[12:13]
	;; [unrolled: 2-line block ×4, first 2 shown]
	v_add_f64 v[6:7], v[6:7], v[18:19]
	v_add_f64 v[10:11], v[6:7], v[20:21]
	ds_read_b128 v[6:9], v254 offset:992
	s_waitcnt lgkmcnt(1)
	v_mul_f64 v[12:13], v[2:3], v[120:121]
	v_fmac_f64_e32 v[12:13], v[4:5], v[122:123]
	v_add_f64 v[14:15], v[10:11], v[12:13]
	ds_read_b128 v[10:13], v254 offset:1008
	s_waitcnt lgkmcnt(1)
	v_mul_f64 v[16:17], v[6:7], v[128:129]
	v_fmac_f64_e32 v[16:17], v[8:9], v[130:131]
	;; [unrolled: 5-line block ×5, first 2 shown]
	v_add_f64 v[30:31], v[26:27], v[28:29]
	ds_read_b128 v[26:29], v254 offset:1072
	s_waitcnt vmcnt(58) lgkmcnt(1)
	v_mul_f64 v[32:33], v[22:23], v[156:157]
	s_waitcnt vmcnt(56)
	v_fmac_f64_e32 v[32:33], v[24:25], v[160:161]
	v_add_f64 v[34:35], v[30:31], v[32:33]
	ds_read_b128 v[30:33], v254 offset:1088
	s_waitcnt lgkmcnt(1)
	v_mul_f64 v[36:37], v[26:27], v[136:137]
	v_fmac_f64_e32 v[36:37], v[28:29], v[138:139]
	v_add_f64 v[38:39], v[34:35], v[36:37]
	ds_read_b128 v[34:37], v254 offset:1104
	s_waitcnt vmcnt(50) lgkmcnt(1)
	v_mul_f64 v[40:41], v[30:31], v[164:165]
	s_waitcnt vmcnt(48)
	v_fmac_f64_e32 v[40:41], v[32:33], v[168:169]
	v_add_f64 v[42:43], v[38:39], v[40:41]
	ds_read_b128 v[38:41], v254 offset:1120
	s_waitcnt lgkmcnt(1)
	v_mul_f64 v[44:45], v[34:35], v[144:145]
	v_fmac_f64_e32 v[44:45], v[36:37], v[146:147]
	v_add_f64 v[46:47], v[42:43], v[44:45]
	ds_read_b128 v[42:45], v254 offset:1136
	s_waitcnt vmcnt(42) lgkmcnt(1)
	v_mul_f64 v[48:49], v[38:39], v[172:173]
	s_waitcnt vmcnt(40)
	v_fmac_f64_e32 v[48:49], v[40:41], v[176:177]
	v_add_f64 v[50:51], v[46:47], v[48:49]
	ds_read_b128 v[46:49], v254 offset:1152
	buffer_load_dword v213, off, s[0:3], 0 offset:620
	buffer_load_dword v212, off, s[0:3], 0 offset:616
	;; [unrolled: 1-line block ×4, first 2 shown]
	s_waitcnt lgkmcnt(1)
	v_mul_f64 v[52:53], v[42:43], v[148:149]
	v_fmac_f64_e32 v[52:53], v[44:45], v[150:151]
	v_add_f64 v[54:55], v[50:51], v[52:53]
	ds_read_b128 v[50:53], v254 offset:1168
	buffer_load_dword v217, off, s[0:3], 0 offset:636
	buffer_load_dword v216, off, s[0:3], 0 offset:632
	;; [unrolled: 1-line block ×8, first 2 shown]
	s_waitcnt vmcnt(46) lgkmcnt(1)
	v_mul_f64 v[56:57], v[46:47], v[180:181]
	s_waitcnt vmcnt(44)
	v_fmac_f64_e32 v[56:57], v[48:49], v[184:185]
	v_add_f64 v[58:59], v[54:55], v[56:57]
	ds_read_b128 v[54:57], v254 offset:1184
	buffer_load_dword v227, off, s[0:3], 0 offset:668
	buffer_load_dword v226, off, s[0:3], 0 offset:664
	;; [unrolled: 1-line block ×12, first 2 shown]
	s_waitcnt lgkmcnt(1)
	v_mul_f64 v[60:61], v[50:51], v[152:153]
	v_fmac_f64_e32 v[60:61], v[52:53], v[154:155]
	v_add_f64 v[62:63], v[58:59], v[60:61]
	ds_read_b128 v[58:61], v254 offset:1200
	s_waitcnt vmcnt(50) lgkmcnt(1)
	v_mul_f64 v[64:65], v[54:55], v[188:189]
	s_waitcnt vmcnt(48)
	v_fmac_f64_e32 v[64:65], v[56:57], v[190:191]
	v_add_f64 v[62:63], v[62:63], v[64:65]
	buffer_load_dword v237, off, s[0:3], 0 offset:716
	buffer_load_dword v236, off, s[0:3], 0 offset:712
	;; [unrolled: 1-line block ×4, first 2 shown]
	s_waitcnt lgkmcnt(0)
	v_mul_f64 v[64:65], v[58:59], v[158:159]
	v_fmac_f64_e32 v[64:65], v[60:61], v[162:163]
	v_add_f64 v[118:119], v[62:63], v[64:65]
	ds_read_b128 v[62:65], v254 offset:1216
	ds_read_b128 v[66:69], v254 offset:1232
	v_fma_f64 v[202:203], v[98:99], v[80:81], -v[78:79]
	ds_read_b128 v[78:81], v254 offset:1280
	v_fma_f64 v[204:205], v[110:111], v[84:85], -v[82:83]
	ds_read_b128 v[82:85], v254 offset:1296
	s_waitcnt vmcnt(46) lgkmcnt(3)
	v_mul_f64 v[74:75], v[62:63], v[192:193]
	s_waitcnt vmcnt(44)
	v_fmac_f64_e32 v[74:75], v[64:65], v[194:195]
	v_add_f64 v[74:75], v[118:119], v[74:75]
	v_fma_f64 v[118:119], v[86:87], v[70:71], -v[72:73]
	ds_read_b128 v[70:73], v254 offset:1248
	s_waitcnt lgkmcnt(3)
	v_mul_f64 v[76:77], v[66:67], v[166:167]
	v_fmac_f64_e32 v[76:77], v[68:69], v[170:171]
	v_add_f64 v[86:87], v[74:75], v[76:77]
	ds_read_b128 v[74:77], v254 offset:1264
	s_waitcnt vmcnt(38) lgkmcnt(1)
	v_mul_f64 v[88:89], v[70:71], v[196:197]
	s_waitcnt vmcnt(36)
	v_fmac_f64_e32 v[88:89], v[72:73], v[198:199]
	v_add_f64 v[86:87], v[86:87], v[88:89]
	ds_read_b128 v[90:93], v254 offset:1328
	s_waitcnt lgkmcnt(1)
	v_mul_f64 v[88:89], v[74:75], v[174:175]
	v_fmac_f64_e32 v[88:89], v[76:77], v[178:179]
	v_add_f64 v[86:87], v[86:87], v[88:89]
	s_waitcnt vmcnt(30)
	v_mul_f64 v[88:89], v[78:79], v[208:209]
	s_waitcnt vmcnt(28)
	v_fmac_f64_e32 v[88:89], v[80:81], v[210:211]
	v_add_f64 v[86:87], v[86:87], v[88:89]
	v_mul_f64 v[88:89], v[82:83], v[182:183]
	v_fmac_f64_e32 v[88:89], v[84:85], v[186:187]
	v_add_f64 v[98:99], v[86:87], v[88:89]
	ds_read_b128 v[86:89], v254 offset:1312
	v_mul_f64 v[94:95], v[242:243], v[94:95]
	v_fma_f64 v[252:253], v[240:241], v[96:97], -v[94:95]
	ds_read_b128 v[94:97], v254 offset:1344
	v_mul_f64 v[102:103], v[246:247], v[102:103]
	v_fma_f64 v[246:247], v[244:245], v[104:105], -v[102:103]
	;; [unrolled: 3-line block ×3, first 2 shown]
	v_add_f64 v[200:201], v[200:201], 0
	v_add_f64 v[118:119], v[200:201], v[118:119]
	;; [unrolled: 1-line block ×7, first 2 shown]
	v_mul_f64 v[4:5], v[4:5], v[120:121]
	v_add_f64 v[118:119], v[252:253], v[250:251]
	v_fma_f64 v[2:3], v[2:3], v[122:123], -v[4:5]
	v_mul_f64 v[4:5], v[8:9], v[128:129]
	v_add_f64 v[2:3], v[118:119], v[2:3]
	v_fma_f64 v[4:5], v[6:7], v[130:131], -v[4:5]
	v_add_f64 v[2:3], v[2:3], v[4:5]
	ds_read_b128 v[106:109], v254 offset:1392
	v_mul_f64 v[4:5], v[12:13], v[124:125]
	v_fma_f64 v[4:5], v[10:11], v[126:127], -v[4:5]
	v_add_f64 v[2:3], v[2:3], v[4:5]
	s_waitcnt vmcnt(26) lgkmcnt(3)
	v_mul_f64 v[100:101], v[86:87], v[212:213]
	v_mul_f64 v[4:5], v[16:17], v[140:141]
	s_waitcnt vmcnt(24)
	v_fmac_f64_e32 v[100:101], v[88:89], v[214:215]
	v_add_f64 v[98:99], v[98:99], v[100:101]
	s_waitcnt vmcnt(22)
	v_mul_f64 v[100:101], v[90:91], v[216:217]
	s_waitcnt vmcnt(20)
	v_fmac_f64_e32 v[100:101], v[92:93], v[220:221]
	v_add_f64 v[98:99], v[98:99], v[100:101]
	s_waitcnt vmcnt(18) lgkmcnt(2)
	v_mul_f64 v[100:101], v[94:95], v[218:219]
	s_waitcnt vmcnt(16)
	v_fmac_f64_e32 v[100:101], v[96:97], v[222:223]
	v_add_f64 v[110:111], v[98:99], v[100:101]
	ds_read_b128 v[98:101], v254 offset:1360
	v_fma_f64 v[4:5], v[14:15], v[142:143], -v[4:5]
	v_add_f64 v[2:3], v[2:3], v[4:5]
	v_mul_f64 v[4:5], v[20:21], v[132:133]
	v_fma_f64 v[4:5], v[18:19], v[134:135], -v[4:5]
	s_waitcnt vmcnt(14) lgkmcnt(0)
	v_mul_f64 v[112:113], v[98:99], v[226:227]
	s_waitcnt vmcnt(12)
	v_fmac_f64_e32 v[112:113], v[100:101], v[228:229]
	v_add_f64 v[110:111], v[110:111], v[112:113]
	s_waitcnt vmcnt(9)
	v_mul_f64 v[112:113], v[102:103], v[232:233]
	s_waitcnt vmcnt(7)
	v_fmac_f64_e32 v[112:113], v[104:105], v[234:235]
	v_add_f64 v[110:111], v[110:111], v[112:113]
	s_waitcnt vmcnt(5)
	v_mul_f64 v[112:113], v[106:107], v[224:225]
	s_waitcnt vmcnt(4)
	v_fmac_f64_e32 v[112:113], v[108:109], v[230:231]
	v_add_f64 v[114:115], v[110:111], v[112:113]
	ds_read_b128 v[110:113], v254 offset:1408
	buffer_load_dword v242, off, s[0:3], 0 offset:728
	buffer_load_dword v243, off, s[0:3], 0 offset:732
	;; [unrolled: 1-line block ×4, first 2 shown]
	v_add_f64 v[2:3], v[2:3], v[4:5]
	v_mul_f64 v[4:5], v[24:25], v[156:157]
	v_fma_f64 v[4:5], v[22:23], v[160:161], -v[4:5]
	s_waitcnt vmcnt(6) lgkmcnt(0)
	v_mul_f64 v[116:117], v[110:111], v[236:237]
	s_waitcnt vmcnt(4)
	v_fmac_f64_e32 v[116:117], v[112:113], v[238:239]
	v_add_f64 v[240:241], v[114:115], v[116:117]
	ds_read_b128 v[114:117], v254 offset:1424
	v_add_f64 v[2:3], v[2:3], v[4:5]
	v_mul_f64 v[4:5], v[28:29], v[136:137]
	v_fma_f64 v[4:5], v[26:27], v[138:139], -v[4:5]
	v_add_f64 v[2:3], v[2:3], v[4:5]
	v_mul_f64 v[4:5], v[32:33], v[164:165]
	v_fma_f64 v[4:5], v[30:31], v[168:169], -v[4:5]
	;; [unrolled: 3-line block ×22, first 2 shown]
	v_add_f64 v[2:3], v[2:3], v[4:5]
	s_waitcnt vmcnt(2) lgkmcnt(0)
	v_mul_f64 v[248:249], v[114:115], v[242:243]
	v_mul_f64 v[4:5], v[116:117], v[242:243]
	s_waitcnt vmcnt(0)
	v_fmac_f64_e32 v[248:249], v[116:117], v[244:245]
	v_add_f64 v[240:241], v[240:241], v[248:249]
	buffer_load_dword v248, off, s[0:3], 0 offset:128
	buffer_load_dword v249, off, s[0:3], 0 offset:132
	;; [unrolled: 1-line block ×4, first 2 shown]
	v_fma_f64 v[4:5], v[114:115], v[244:245], -v[4:5]
	v_add_f64 v[2:3], v[2:3], v[4:5]
	s_waitcnt vmcnt(2)
	v_add_f64 v[2:3], v[248:249], -v[2:3]
	s_waitcnt vmcnt(0)
	v_add_f64 v[4:5], v[246:247], -v[240:241]
	buffer_store_dword v3, off, s[0:3], 0 offset:132
	buffer_store_dword v2, off, s[0:3], 0 offset:128
	;; [unrolled: 1-line block ×4, first 2 shown]
	s_and_saveexec_b64 s[4:5], vcc
	s_cbranch_execz .LBB108_271
; %bb.270:
	v_accvgpr_read_b32 v0, a128
	buffer_load_dword v2, v0, s[0:3], 0 offen
	buffer_load_dword v3, v0, s[0:3], 0 offen offset:4
	buffer_load_dword v4, v0, s[0:3], 0 offen offset:8
	;; [unrolled: 1-line block ×3, first 2 shown]
	v_accvgpr_read_b32 v0, a135
	buffer_store_dword v254, off, s[0:3], 0 offset:112
	buffer_store_dword v254, off, s[0:3], 0 offset:116
	;; [unrolled: 1-line block ×4, first 2 shown]
	s_waitcnt vmcnt(4)
	ds_write_b128 v0, v[2:5]
.LBB108_271:
	s_or_b64 exec, exec, s[4:5]
	s_waitcnt lgkmcnt(0)
	; wave barrier
	s_waitcnt lgkmcnt(0)
	buffer_load_dword v66, off, s[0:3], 0 offset:128
	buffer_load_dword v67, off, s[0:3], 0 offset:132
	;; [unrolled: 1-line block ×42, first 2 shown]
	ds_read_b128 v[78:81], v254 offset:832
	ds_read_b128 v[90:93], v254 offset:848
	;; [unrolled: 1-line block ×10, first 2 shown]
	buffer_load_dword v131, off, s[0:3], 0 offset:276
	buffer_load_dword v130, off, s[0:3], 0 offset:272
	ds_read_b128 v[6:9], v254 offset:992
	buffer_load_dword v127, off, s[0:3], 0 offset:332
	buffer_load_dword v126, off, s[0:3], 0 offset:328
	;; [unrolled: 1-line block ×80, first 2 shown]
	s_waitcnt vmcnt(62) lgkmcnt(10)
	v_mul_f64 v[10:11], v[78:79], v[68:69]
	v_fmac_f64_e32 v[10:11], v[80:81], v[66:67]
	v_add_f64 v[10:11], v[10:11], 0
	v_mul_f64 v[68:69], v[80:81], v[68:69]
	s_waitcnt lgkmcnt(9)
	v_mul_f64 v[12:13], v[90:91], v[64:65]
	v_fmac_f64_e32 v[12:13], v[92:93], v[62:63]
	s_waitcnt lgkmcnt(8)
	v_mul_f64 v[14:15], v[102:103], v[70:71]
	v_add_f64 v[10:11], v[10:11], v[12:13]
	s_waitcnt lgkmcnt(6)
	v_mul_f64 v[18:19], v[114:115], v[82:83]
	v_mul_f64 v[64:65], v[92:93], v[64:65]
	v_fmac_f64_e32 v[18:19], v[116:117], v[84:85]
	v_fma_f64 v[206:207], v[90:91], v[62:63], -v[64:65]
	v_mul_f64 v[16:17], v[110:111], v[74:75]
	v_fma_f64 v[204:205], v[78:79], v[66:67], -v[68:69]
	s_waitcnt lgkmcnt(4)
	v_mul_f64 v[22:23], v[244:245], v[94:95]
	v_mul_f64 v[70:71], v[104:105], v[70:71]
	v_fmac_f64_e32 v[22:23], v[246:247], v[96:97]
	v_mul_f64 v[74:75], v[112:113], v[74:75]
	v_mul_f64 v[20:21], v[240:241], v[86:87]
	;; [unrolled: 1-line block ×3, first 2 shown]
	s_waitcnt lgkmcnt(2)
	v_mul_f64 v[26:27], v[200:201], v[106:107]
	v_fma_f64 v[0:1], v[114:115], v[84:85], -v[82:83]
	v_mul_f64 v[86:87], v[242:243], v[86:87]
	v_mul_f64 v[24:25], v[248:249], v[98:99]
	;; [unrolled: 1-line block ×3, first 2 shown]
	s_waitcnt lgkmcnt(1)
	v_mul_f64 v[28:29], v[2:3], v[120:121]
	v_fma_f64 v[246:247], v[244:245], v[96:97], -v[94:95]
	v_fmac_f64_e32 v[14:15], v[104:105], v[72:73]
	v_add_f64 v[10:11], v[10:11], v[14:15]
	v_fmac_f64_e32 v[16:17], v[112:113], v[76:77]
	v_add_f64 v[10:11], v[10:11], v[16:17]
	;; [unrolled: 2-line block ×3, first 2 shown]
	v_add_f64 v[10:11], v[10:11], v[20:21]
	v_fmac_f64_e32 v[24:25], v[250:251], v[100:101]
	v_add_f64 v[10:11], v[10:11], v[22:23]
	v_fmac_f64_e32 v[26:27], v[202:203], v[108:109]
	v_add_f64 v[10:11], v[10:11], v[24:25]
	v_add_f64 v[10:11], v[10:11], v[26:27]
	s_waitcnt lgkmcnt(0)
	v_mul_f64 v[16:17], v[6:7], v[122:123]
	v_fmac_f64_e32 v[28:29], v[4:5], v[130:131]
	v_add_f64 v[14:15], v[10:11], v[28:29]
	ds_read_b128 v[10:13], v254 offset:1008
	v_fmac_f64_e32 v[16:17], v[8:9], v[124:125]
	v_add_f64 v[18:19], v[14:15], v[16:17]
	ds_read_b128 v[14:17], v254 offset:1024
	v_fma_f64 v[252:253], v[110:111], v[76:77], -v[74:75]
	s_waitcnt lgkmcnt(1)
	v_mul_f64 v[20:21], v[10:11], v[132:133]
	v_fmac_f64_e32 v[20:21], v[12:13], v[148:149]
	v_add_f64 v[22:23], v[18:19], v[20:21]
	ds_read_b128 v[18:21], v254 offset:1040
	s_waitcnt lgkmcnt(1)
	v_mul_f64 v[24:25], v[14:15], v[126:127]
	v_fmac_f64_e32 v[24:25], v[16:17], v[128:129]
	v_add_f64 v[26:27], v[22:23], v[24:25]
	ds_read_b128 v[22:25], v254 offset:1056
	;; [unrolled: 5-line block ×4, first 2 shown]
	s_waitcnt vmcnt(58) lgkmcnt(1)
	v_mul_f64 v[36:37], v[26:27], v[160:161]
	s_waitcnt vmcnt(56)
	v_fmac_f64_e32 v[36:37], v[28:29], v[164:165]
	v_add_f64 v[38:39], v[34:35], v[36:37]
	ds_read_b128 v[34:37], v254 offset:1104
	s_waitcnt lgkmcnt(1)
	v_mul_f64 v[40:41], v[30:31], v[138:139]
	v_fmac_f64_e32 v[40:41], v[32:33], v[140:141]
	v_add_f64 v[42:43], v[38:39], v[40:41]
	ds_read_b128 v[38:41], v254 offset:1120
	s_waitcnt vmcnt(50) lgkmcnt(1)
	v_mul_f64 v[44:45], v[34:35], v[168:169]
	s_waitcnt vmcnt(48)
	v_fmac_f64_e32 v[44:45], v[36:37], v[172:173]
	v_add_f64 v[46:47], v[42:43], v[44:45]
	ds_read_b128 v[42:45], v254 offset:1136
	s_waitcnt lgkmcnt(1)
	v_mul_f64 v[48:49], v[38:39], v[142:143]
	v_fmac_f64_e32 v[48:49], v[40:41], v[144:145]
	v_add_f64 v[50:51], v[46:47], v[48:49]
	ds_read_b128 v[46:49], v254 offset:1152
	s_waitcnt vmcnt(42) lgkmcnt(1)
	v_mul_f64 v[52:53], v[42:43], v[176:177]
	s_waitcnt vmcnt(40)
	v_fmac_f64_e32 v[52:53], v[44:45], v[180:181]
	v_add_f64 v[54:55], v[50:51], v[52:53]
	ds_read_b128 v[50:53], v254 offset:1168
	s_waitcnt lgkmcnt(1)
	v_mul_f64 v[56:57], v[46:47], v[146:147]
	buffer_load_dword v199, off, s[0:3], 0 offset:636
	buffer_load_dword v198, off, s[0:3], 0 offset:632
	;; [unrolled: 1-line block ×4, first 2 shown]
	v_fmac_f64_e32 v[56:57], v[48:49], v[150:151]
	v_add_f64 v[58:59], v[54:55], v[56:57]
	ds_read_b128 v[54:57], v254 offset:1184
	buffer_load_dword v222, off, s[0:3], 0 offset:648
	buffer_load_dword v224, off, s[0:3], 0 offset:640
	;; [unrolled: 1-line block ×16, first 2 shown]
	s_waitcnt vmcnt(54) lgkmcnt(1)
	v_mul_f64 v[60:61], v[50:51], v[184:185]
	s_waitcnt vmcnt(52)
	v_fmac_f64_e32 v[60:61], v[52:53], v[188:189]
	v_add_f64 v[118:119], v[58:59], v[60:61]
	ds_read_b128 v[58:61], v254 offset:1200
	buffer_load_dword v236, off, s[0:3], 0 offset:712
	buffer_load_dword v238, off, s[0:3], 0 offset:704
	;; [unrolled: 1-line block ×4, first 2 shown]
	ds_read_b128 v[62:65], v254 offset:1216
	s_waitcnt lgkmcnt(2)
	v_mul_f64 v[66:67], v[54:55], v[154:155]
	v_fmac_f64_e32 v[66:67], v[56:57], v[158:159]
	s_waitcnt vmcnt(50) lgkmcnt(1)
	v_mul_f64 v[68:69], v[58:59], v[192:193]
	v_add_f64 v[66:67], v[118:119], v[66:67]
	s_waitcnt vmcnt(48)
	v_fmac_f64_e32 v[68:69], v[60:61], v[194:195]
	v_add_f64 v[66:67], v[66:67], v[68:69]
	v_fma_f64 v[118:119], v[102:103], v[72:73], -v[70:71]
	ds_read_b128 v[70:73], v254 offset:1248
	s_waitcnt lgkmcnt(1)
	v_mul_f64 v[68:69], v[62:63], v[162:163]
	v_fmac_f64_e32 v[68:69], v[64:65], v[166:167]
	v_add_f64 v[78:79], v[66:67], v[68:69]
	ds_read_b128 v[66:69], v254 offset:1232
	ds_read_b128 v[74:77], v254 offset:1264
	;; [unrolled: 1-line block ×3, first 2 shown]
	v_fma_f64 v[240:241], v[240:241], v[88:89], -v[86:87]
	ds_read_b128 v[86:89], v254 offset:1312
	ds_read_b128 v[94:97], v254 offset:1344
	s_waitcnt vmcnt(42) lgkmcnt(4)
	v_mul_f64 v[80:81], v[66:67], v[196:197]
	s_waitcnt vmcnt(40)
	v_fmac_f64_e32 v[80:81], v[68:69], v[208:209]
	v_add_f64 v[78:79], v[78:79], v[80:81]
	v_mul_f64 v[80:81], v[70:71], v[170:171]
	v_fmac_f64_e32 v[80:81], v[72:73], v[174:175]
	v_add_f64 v[90:91], v[78:79], v[80:81]
	ds_read_b128 v[78:81], v254 offset:1280
	s_waitcnt vmcnt(34) lgkmcnt(4)
	v_mul_f64 v[92:93], v[74:75], v[210:211]
	s_waitcnt vmcnt(32)
	v_fmac_f64_e32 v[92:93], v[76:77], v[212:213]
	v_add_f64 v[90:91], v[90:91], v[92:93]
	v_mul_f64 v[98:99], v[250:251], v[98:99]
	s_waitcnt lgkmcnt(0)
	v_mul_f64 v[92:93], v[78:79], v[178:179]
	v_fmac_f64_e32 v[92:93], v[80:81], v[182:183]
	v_add_f64 v[90:91], v[90:91], v[92:93]
	s_waitcnt vmcnt(26)
	v_mul_f64 v[92:93], v[82:83], v[214:215]
	s_waitcnt vmcnt(24)
	v_fmac_f64_e32 v[92:93], v[84:85], v[216:217]
	v_add_f64 v[90:91], v[90:91], v[92:93]
	v_mul_f64 v[92:93], v[86:87], v[186:187]
	v_fmac_f64_e32 v[92:93], v[88:89], v[190:191]
	v_add_f64 v[102:103], v[90:91], v[92:93]
	ds_read_b128 v[90:93], v254 offset:1328
	v_fma_f64 v[250:251], v[248:249], v[100:101], -v[98:99]
	ds_read_b128 v[98:101], v254 offset:1360
	v_mul_f64 v[106:107], v[202:203], v[106:107]
	v_fma_f64 v[200:201], v[200:201], v[108:109], -v[106:107]
	v_add_f64 v[204:205], v[204:205], 0
	v_add_f64 v[204:205], v[204:205], v[206:207]
	;; [unrolled: 1-line block ×6, first 2 shown]
	v_mul_f64 v[4:5], v[4:5], v[120:121]
	v_fma_f64 v[2:3], v[2:3], v[130:131], -v[4:5]
	ds_read_b128 v[106:109], v254 offset:1392
	s_waitcnt vmcnt(13) lgkmcnt(1)
	v_mul_f64 v[112:113], v[98:99], v[226:227]
	v_mul_f64 v[104:105], v[90:91], v[198:199]
	s_waitcnt vmcnt(11)
	v_fmac_f64_e32 v[112:113], v[100:101], v[232:233]
	v_fmac_f64_e32 v[104:105], v[92:93], v[218:219]
	v_add_f64 v[102:103], v[102:103], v[104:105]
	v_mul_f64 v[104:105], v[94:95], v[222:223]
	v_fmac_f64_e32 v[104:105], v[96:97], v[224:225]
	v_add_f64 v[110:111], v[102:103], v[104:105]
	ds_read_b128 v[102:105], v254 offset:1376
	v_add_f64 v[110:111], v[110:111], v[112:113]
	s_waitcnt vmcnt(10) lgkmcnt(0)
	v_mul_f64 v[112:113], v[102:103], v[220:221]
	s_waitcnt vmcnt(8)
	v_fmac_f64_e32 v[112:113], v[104:105], v[230:231]
	v_add_f64 v[110:111], v[110:111], v[112:113]
	s_waitcnt vmcnt(6)
	v_mul_f64 v[112:113], v[106:107], v[228:229]
	s_waitcnt vmcnt(4)
	v_fmac_f64_e32 v[112:113], v[108:109], v[234:235]
	v_add_f64 v[114:115], v[110:111], v[112:113]
	ds_read_b128 v[110:113], v254 offset:1408
	buffer_load_dword v243, off, s[0:3], 0 offset:732
	buffer_load_dword v242, off, s[0:3], 0 offset:728
	;; [unrolled: 1-line block ×4, first 2 shown]
	s_waitcnt vmcnt(5) lgkmcnt(0)
	v_mul_f64 v[116:117], v[110:111], v[236:237]
	s_waitcnt vmcnt(4)
	v_fmac_f64_e32 v[116:117], v[112:113], v[238:239]
	v_add_f64 v[202:203], v[114:115], v[116:117]
	ds_read_b128 v[114:117], v254 offset:1424
	v_add_f64 v[254:255], v[0:1], v[246:247]
	v_add_f64 v[0:1], v[254:255], v[250:251]
	;; [unrolled: 1-line block ×4, first 2 shown]
	v_mul_f64 v[2:3], v[8:9], v[122:123]
	v_fma_f64 v[2:3], v[6:7], v[124:125], -v[2:3]
	v_add_f64 v[0:1], v[0:1], v[2:3]
	v_mul_f64 v[2:3], v[12:13], v[132:133]
	v_fma_f64 v[2:3], v[10:11], v[148:149], -v[2:3]
	v_add_f64 v[0:1], v[0:1], v[2:3]
	;; [unrolled: 3-line block ×22, first 2 shown]
	s_waitcnt vmcnt(2) lgkmcnt(0)
	v_mul_f64 v[248:249], v[114:115], v[242:243]
	v_mul_f64 v[2:3], v[96:97], v[222:223]
	s_waitcnt vmcnt(0)
	v_fmac_f64_e32 v[248:249], v[116:117], v[244:245]
	v_add_f64 v[202:203], v[202:203], v[248:249]
	buffer_load_dword v248, off, s[0:3], 0 offset:112
	buffer_load_dword v249, off, s[0:3], 0 offset:116
	;; [unrolled: 1-line block ×4, first 2 shown]
	v_fma_f64 v[2:3], v[94:95], v[224:225], -v[2:3]
	v_add_f64 v[0:1], v[0:1], v[2:3]
	v_mul_f64 v[2:3], v[100:101], v[226:227]
	v_fma_f64 v[2:3], v[98:99], v[232:233], -v[2:3]
	v_add_f64 v[0:1], v[0:1], v[2:3]
	v_mul_f64 v[2:3], v[104:105], v[220:221]
	;; [unrolled: 3-line block ×5, first 2 shown]
	v_fma_f64 v[2:3], v[114:115], v[244:245], -v[2:3]
	v_add_f64 v[0:1], v[0:1], v[2:3]
	v_accvgpr_read_b32 v255, a134
	v_cmp_lt_u32_e32 vcc, 5, v255
	s_waitcnt vmcnt(2)
	v_add_f64 v[0:1], v[248:249], -v[0:1]
	s_waitcnt vmcnt(0)
	v_add_f64 v[2:3], v[246:247], -v[202:203]
	buffer_store_dword v1, off, s[0:3], 0 offset:116
	buffer_store_dword v0, off, s[0:3], 0 offset:112
	;; [unrolled: 1-line block ×4, first 2 shown]
	s_and_saveexec_b64 s[4:5], vcc
	s_cbranch_execz .LBB108_273
; %bb.272:
	v_accvgpr_read_b32 v0, a129
	buffer_load_dword v2, v0, s[0:3], 0 offen
	buffer_load_dword v3, v0, s[0:3], 0 offen offset:4
	buffer_load_dword v4, v0, s[0:3], 0 offen offset:8
	;; [unrolled: 1-line block ×3, first 2 shown]
	v_mov_b32_e32 v0, 0
	v_accvgpr_read_b32 v1, a135
	buffer_store_dword v0, off, s[0:3], 0 offset:96
	buffer_store_dword v0, off, s[0:3], 0 offset:100
	;; [unrolled: 1-line block ×4, first 2 shown]
	s_waitcnt vmcnt(4)
	ds_write_b128 v1, v[2:5]
.LBB108_273:
	s_or_b64 exec, exec, s[4:5]
	s_waitcnt lgkmcnt(0)
	; wave barrier
	s_waitcnt lgkmcnt(0)
	buffer_load_dword v54, off, s[0:3], 0 offset:112
	buffer_load_dword v55, off, s[0:3], 0 offset:116
	;; [unrolled: 1-line block ×49, first 2 shown]
	v_mov_b32_e32 v254, 0
	ds_read_b128 v[62:65], v254 offset:816
	ds_read_b128 v[74:77], v254 offset:832
	;; [unrolled: 1-line block ×11, first 2 shown]
	buffer_load_dword v128, off, s[0:3], 0 offset:296
	buffer_load_dword v145, off, s[0:3], 0 offset:292
	;; [unrolled: 1-line block ×75, first 2 shown]
	v_cmp_lt_u32_e32 vcc, 4, v255
	s_waitcnt vmcnt(62) lgkmcnt(10)
	v_mul_f64 v[0:1], v[62:63], v[56:57]
	v_fmac_f64_e32 v[0:1], v[64:65], v[54:55]
	v_add_f64 v[0:1], v[0:1], 0
	v_mul_f64 v[56:57], v[64:65], v[56:57]
	s_waitcnt lgkmcnt(9)
	v_mul_f64 v[6:7], v[74:75], v[60:61]
	v_fmac_f64_e32 v[6:7], v[76:77], v[58:59]
	s_waitcnt lgkmcnt(8)
	v_mul_f64 v[8:9], v[86:87], v[66:67]
	v_add_f64 v[0:1], v[0:1], v[6:7]
	s_waitcnt lgkmcnt(6)
	v_mul_f64 v[12:13], v[110:111], v[78:79]
	v_mul_f64 v[60:61], v[76:77], v[60:61]
	v_fmac_f64_e32 v[12:13], v[112:113], v[80:81]
	v_fma_f64 v[204:205], v[74:75], v[58:59], -v[60:61]
	v_mul_f64 v[10:11], v[98:99], v[70:71]
	v_mul_f64 v[66:67], v[88:89], v[66:67]
	s_waitcnt lgkmcnt(4)
	v_mul_f64 v[16:17], v[196:197], v[90:91]
	v_mul_f64 v[70:71], v[100:101], v[70:71]
	v_fmac_f64_e32 v[16:17], v[198:199], v[92:93]
	v_mul_f64 v[78:79], v[112:113], v[78:79]
	v_mul_f64 v[14:15], v[114:115], v[82:83]
	v_fma_f64 v[250:251], v[110:111], v[80:81], -v[78:79]
	s_waitcnt lgkmcnt(2)
	v_mul_f64 v[20:21], v[240:241], v[102:103]
	v_mul_f64 v[82:83], v[116:117], v[82:83]
	;; [unrolled: 1-line block ×4, first 2 shown]
	v_fma_f64 v[198:199], v[196:197], v[92:93], -v[90:91]
	s_waitcnt lgkmcnt(1)
	v_mul_f64 v[22:23], v[244:245], v[106:107]
	v_mul_f64 v[94:95], v[202:203], v[94:95]
	v_fmac_f64_e32 v[8:9], v[88:89], v[68:69]
	v_add_f64 v[0:1], v[0:1], v[8:9]
	v_fmac_f64_e32 v[10:11], v[100:101], v[72:73]
	v_add_f64 v[0:1], v[0:1], v[10:11]
	;; [unrolled: 2-line block ×3, first 2 shown]
	v_add_f64 v[0:1], v[0:1], v[14:15]
	v_fmac_f64_e32 v[18:19], v[202:203], v[96:97]
	v_add_f64 v[0:1], v[0:1], v[16:17]
	v_fmac_f64_e32 v[20:21], v[242:243], v[104:105]
	v_add_f64 v[0:1], v[0:1], v[18:19]
	v_add_f64 v[0:1], v[0:1], v[20:21]
	v_fmac_f64_e32 v[22:23], v[246:247], v[108:109]
	ds_read_b128 v[6:9], v254 offset:992
	s_waitcnt lgkmcnt(1)
	v_mul_f64 v[10:11], v[2:3], v[120:121]
	v_add_f64 v[0:1], v[0:1], v[22:23]
	v_fmac_f64_e32 v[10:11], v[4:5], v[122:123]
	v_add_f64 v[0:1], v[0:1], v[10:11]
	ds_read_b128 v[10:13], v254 offset:1008
	s_waitcnt lgkmcnt(1)
	v_mul_f64 v[14:15], v[6:7], v[128:129]
	v_fmac_f64_e32 v[14:15], v[8:9], v[144:145]
	v_add_f64 v[0:1], v[0:1], v[14:15]
	ds_read_b128 v[14:17], v254 offset:1024
	s_waitcnt lgkmcnt(1)
	v_mul_f64 v[18:19], v[10:11], v[124:125]
	;; [unrolled: 5-line block ×4, first 2 shown]
	v_fmac_f64_e32 v[26:27], v[20:21], v[132:133]
	v_add_f64 v[0:1], v[0:1], v[26:27]
	ds_read_b128 v[26:29], v254 offset:1072
	s_waitcnt vmcnt(58) lgkmcnt(1)
	v_mul_f64 v[30:31], v[22:23], v[156:157]
	s_waitcnt vmcnt(56)
	v_fmac_f64_e32 v[30:31], v[24:25], v[160:161]
	v_add_f64 v[0:1], v[0:1], v[30:31]
	ds_read_b128 v[30:33], v254 offset:1088
	s_waitcnt lgkmcnt(1)
	v_mul_f64 v[34:35], v[26:27], v[134:135]
	v_fmac_f64_e32 v[34:35], v[28:29], v[136:137]
	v_add_f64 v[0:1], v[0:1], v[34:35]
	ds_read_b128 v[34:37], v254 offset:1104
	s_waitcnt vmcnt(50) lgkmcnt(1)
	v_mul_f64 v[38:39], v[30:31], v[164:165]
	s_waitcnt vmcnt(48)
	v_fmac_f64_e32 v[38:39], v[32:33], v[168:169]
	v_add_f64 v[0:1], v[0:1], v[38:39]
	ds_read_b128 v[38:41], v254 offset:1120
	s_waitcnt lgkmcnt(1)
	v_mul_f64 v[42:43], v[34:35], v[138:139]
	;; [unrolled: 11-line block ×3, first 2 shown]
	buffer_load_dword v193, off, s[0:3], 0 offset:620
	buffer_load_dword v192, off, s[0:3], 0 offset:616
	;; [unrolled: 1-line block ×4, first 2 shown]
	v_fmac_f64_e32 v[50:51], v[44:45], v[146:147]
	v_add_f64 v[0:1], v[0:1], v[50:51]
	ds_read_b128 v[50:53], v254 offset:1168
	buffer_load_dword v220, off, s[0:3], 0 offset:632
	buffer_load_dword v222, off, s[0:3], 0 offset:624
	;; [unrolled: 1-line block ×20, first 2 shown]
	s_waitcnt vmcnt(58) lgkmcnt(1)
	v_mul_f64 v[118:119], v[46:47], v[180:181]
	s_waitcnt vmcnt(56)
	v_fmac_f64_e32 v[118:119], v[48:49], v[184:185]
	v_add_f64 v[0:1], v[0:1], v[118:119]
	v_fma_f64 v[118:119], v[62:63], v[54:55], -v[56:57]
	ds_read_b128 v[54:57], v254 offset:1184
	ds_read_b128 v[58:61], v254 offset:1200
	s_waitcnt lgkmcnt(2)
	v_mul_f64 v[62:63], v[50:51], v[150:151]
	v_fmac_f64_e32 v[62:63], v[52:53], v[154:155]
	v_add_f64 v[0:1], v[0:1], v[62:63]
	s_waitcnt vmcnt(50) lgkmcnt(1)
	v_mul_f64 v[62:63], v[54:55], v[208:209]
	s_waitcnt vmcnt(48)
	v_fmac_f64_e32 v[62:63], v[56:57], v[188:189]
	v_add_f64 v[0:1], v[0:1], v[62:63]
	s_waitcnt lgkmcnt(0)
	v_mul_f64 v[62:63], v[58:59], v[158:159]
	v_fmac_f64_e32 v[62:63], v[60:61], v[162:163]
	v_add_f64 v[0:1], v[0:1], v[62:63]
	ds_read_b128 v[62:65], v254 offset:1216
	v_fma_f64 v[206:207], v[86:87], v[68:69], -v[66:67]
	ds_read_b128 v[66:69], v254 offset:1232
	v_fma_f64 v[248:249], v[98:99], v[72:73], -v[70:71]
	ds_read_b128 v[70:73], v254 offset:1248
	s_waitcnt vmcnt(42) lgkmcnt(2)
	v_mul_f64 v[74:75], v[62:63], v[190:191]
	s_waitcnt vmcnt(40)
	v_fmac_f64_e32 v[74:75], v[64:65], v[210:211]
	v_add_f64 v[0:1], v[0:1], v[74:75]
	s_waitcnt lgkmcnt(1)
	v_mul_f64 v[74:75], v[66:67], v[166:167]
	v_fmac_f64_e32 v[74:75], v[68:69], v[170:171]
	v_add_f64 v[0:1], v[0:1], v[74:75]
	ds_read_b128 v[74:77], v254 offset:1264
	ds_read_b128 v[78:81], v254 offset:1280
	s_waitcnt vmcnt(34) lgkmcnt(2)
	v_mul_f64 v[86:87], v[70:71], v[212:213]
	s_waitcnt vmcnt(32)
	v_fmac_f64_e32 v[86:87], v[72:73], v[214:215]
	v_fma_f64 v[252:253], v[114:115], v[84:85], -v[82:83]
	ds_read_b128 v[82:85], v254 offset:1296
	v_add_f64 v[0:1], v[0:1], v[86:87]
	s_waitcnt lgkmcnt(2)
	v_mul_f64 v[86:87], v[74:75], v[174:175]
	v_fmac_f64_e32 v[86:87], v[76:77], v[178:179]
	v_add_f64 v[0:1], v[0:1], v[86:87]
	s_waitcnt vmcnt(26) lgkmcnt(1)
	v_mul_f64 v[86:87], v[78:79], v[216:217]
	s_waitcnt vmcnt(24)
	v_fmac_f64_e32 v[86:87], v[80:81], v[218:219]
	v_add_f64 v[0:1], v[0:1], v[86:87]
	s_waitcnt lgkmcnt(0)
	v_mul_f64 v[86:87], v[82:83], v[182:183]
	v_fmac_f64_e32 v[86:87], v[84:85], v[186:187]
	v_add_f64 v[0:1], v[0:1], v[86:87]
	ds_read_b128 v[86:89], v254 offset:1312
	ds_read_b128 v[90:93], v254 offset:1328
	v_fma_f64 v[200:201], v[200:201], v[96:97], -v[94:95]
	ds_read_b128 v[94:97], v254 offset:1344
	v_mul_f64 v[102:103], v[242:243], v[102:103]
	v_fma_f64 v[202:203], v[240:241], v[104:105], -v[102:103]
	ds_read_b128 v[102:105], v254 offset:1376
	v_mul_f64 v[4:5], v[4:5], v[120:121]
	v_fma_f64 v[2:3], v[2:3], v[122:123], -v[4:5]
	s_waitcnt vmcnt(22) lgkmcnt(3)
	v_mul_f64 v[98:99], v[86:87], v[192:193]
	s_waitcnt vmcnt(20)
	v_fmac_f64_e32 v[98:99], v[88:89], v[194:195]
	v_add_f64 v[0:1], v[0:1], v[98:99]
	s_waitcnt vmcnt(17) lgkmcnt(2)
	v_mul_f64 v[98:99], v[90:91], v[220:221]
	s_waitcnt vmcnt(16)
	v_fmac_f64_e32 v[98:99], v[92:93], v[222:223]
	v_add_f64 v[0:1], v[0:1], v[98:99]
	ds_read_b128 v[98:101], v254 offset:1360
	s_waitcnt vmcnt(14) lgkmcnt(2)
	v_mul_f64 v[110:111], v[94:95], v[226:227]
	s_waitcnt vmcnt(12)
	v_fmac_f64_e32 v[110:111], v[96:97], v[230:231]
	v_add_f64 v[110:111], v[0:1], v[110:111]
	v_mul_f64 v[0:1], v[246:247], v[106:107]
	v_fma_f64 v[0:1], v[244:245], v[108:109], -v[0:1]
	ds_read_b128 v[106:109], v254 offset:1392
	buffer_load_dword v197, off, s[0:3], 0 offset:716
	buffer_load_dword v196, off, s[0:3], 0 offset:712
	;; [unrolled: 1-line block ×4, first 2 shown]
	s_waitcnt vmcnt(14) lgkmcnt(1)
	v_mul_f64 v[112:113], v[98:99], v[228:229]
	s_waitcnt vmcnt(12)
	v_fmac_f64_e32 v[112:113], v[100:101], v[232:233]
	v_add_f64 v[110:111], v[110:111], v[112:113]
	s_waitcnt vmcnt(9)
	v_mul_f64 v[112:113], v[102:103], v[236:237]
	s_waitcnt vmcnt(7)
	v_fmac_f64_e32 v[112:113], v[104:105], v[238:239]
	v_add_f64 v[110:111], v[110:111], v[112:113]
	s_waitcnt vmcnt(5) lgkmcnt(0)
	v_mul_f64 v[112:113], v[106:107], v[224:225]
	s_waitcnt vmcnt(4)
	v_fmac_f64_e32 v[112:113], v[108:109], v[234:235]
	v_add_f64 v[114:115], v[110:111], v[112:113]
	ds_read_b128 v[110:113], v254 offset:1408
	buffer_load_dword v244, off, s[0:3], 0 offset:728
	buffer_load_dword v245, off, s[0:3], 0 offset:732
	;; [unrolled: 1-line block ×4, first 2 shown]
	v_accvgpr_write_b32 a137, v1
	v_accvgpr_write_b32 a136, v0
	s_waitcnt vmcnt(6) lgkmcnt(0)
	v_mul_f64 v[116:117], v[110:111], v[196:197]
	s_waitcnt vmcnt(4)
	v_fmac_f64_e32 v[116:117], v[112:113], v[240:241]
	v_add_f64 v[242:243], v[114:115], v[116:117]
	ds_read_b128 v[114:117], v254 offset:1424
	s_waitcnt vmcnt(2) lgkmcnt(0)
	v_mul_f64 v[0:1], v[114:115], v[244:245]
	s_waitcnt vmcnt(0)
	v_fmac_f64_e32 v[0:1], v[116:117], v[246:247]
	v_add_f64 v[242:243], v[242:243], v[0:1]
	v_add_f64 v[0:1], v[118:119], 0
	;; [unrolled: 1-line block ×6, first 2 shown]
	buffer_load_dword v250, off, s[0:3], 0 offset:96
	buffer_load_dword v251, off, s[0:3], 0 offset:100
	;; [unrolled: 1-line block ×4, first 2 shown]
	v_add_f64 v[0:1], v[0:1], v[252:253]
	v_add_f64 v[0:1], v[0:1], v[198:199]
	;; [unrolled: 1-line block ×4, first 2 shown]
	v_accvgpr_read_b32 v0, a136
	v_accvgpr_read_b32 v1, a137
	v_add_f64 v[0:1], v[252:253], v[0:1]
	v_add_f64 v[0:1], v[0:1], v[2:3]
	v_mul_f64 v[2:3], v[8:9], v[128:129]
	v_fma_f64 v[2:3], v[6:7], v[144:145], -v[2:3]
	v_add_f64 v[0:1], v[0:1], v[2:3]
	v_mul_f64 v[2:3], v[12:13], v[124:125]
	v_fma_f64 v[2:3], v[10:11], v[126:127], -v[2:3]
	;; [unrolled: 3-line block ×28, first 2 shown]
	v_add_f64 v[0:1], v[0:1], v[2:3]
	s_waitcnt vmcnt(2)
	v_add_f64 v[0:1], v[250:251], -v[0:1]
	s_waitcnt vmcnt(0)
	v_add_f64 v[2:3], v[248:249], -v[242:243]
	buffer_store_dword v1, off, s[0:3], 0 offset:100
	buffer_store_dword v0, off, s[0:3], 0 offset:96
	;; [unrolled: 1-line block ×4, first 2 shown]
	s_and_saveexec_b64 s[4:5], vcc
	s_cbranch_execz .LBB108_275
; %bb.274:
	v_accvgpr_read_b32 v0, a130
	buffer_load_dword v2, v0, s[0:3], 0 offen
	buffer_load_dword v3, v0, s[0:3], 0 offen offset:4
	buffer_load_dword v4, v0, s[0:3], 0 offen offset:8
	;; [unrolled: 1-line block ×3, first 2 shown]
	v_accvgpr_read_b32 v0, a135
	buffer_store_dword v254, off, s[0:3], 0 offset:80
	buffer_store_dword v254, off, s[0:3], 0 offset:84
	;; [unrolled: 1-line block ×4, first 2 shown]
	s_waitcnt vmcnt(4)
	ds_write_b128 v0, v[2:5]
.LBB108_275:
	s_or_b64 exec, exec, s[4:5]
	s_waitcnt lgkmcnt(0)
	; wave barrier
	s_waitcnt lgkmcnt(0)
	buffer_load_dword v56, off, s[0:3], 0 offset:96
	buffer_load_dword v57, off, s[0:3], 0 offset:100
	;; [unrolled: 1-line block ×42, first 2 shown]
	ds_read_b128 v[78:81], v254 offset:800
	ds_read_b128 v[90:93], v254 offset:816
	;; [unrolled: 1-line block ×10, first 2 shown]
	buffer_load_dword v1, off, s[0:3], 0 offset:244
	buffer_load_dword v0, off, s[0:3], 0 offset:240
	ds_read_b128 v[106:109], v254 offset:960
	buffer_load_dword v3, off, s[0:3], 0 offset:300
	buffer_load_dword v2, off, s[0:3], 0 offset:296
	s_waitcnt vmcnt(38) lgkmcnt(9)
	v_mul_f64 v[4:5], v[90:91], v[62:63]
	v_fmac_f64_e32 v[4:5], v[92:93], v[54:55]
	s_waitcnt vmcnt(36) lgkmcnt(8)
	v_mul_f64 v[6:7], v[114:115], v[58:59]
	v_mul_f64 v[58:59], v[116:117], v[58:59]
	s_waitcnt vmcnt(34) lgkmcnt(6)
	v_mul_f64 v[10:11], v[200:201], v[70:71]
	v_mul_f64 v[70:71], v[202:203], v[70:71]
	s_waitcnt vmcnt(32)
	v_fmac_f64_e32 v[10:11], v[202:203], v[72:73]
	v_fma_f64 v[200:201], v[200:201], v[72:73], -v[70:71]
	s_waitcnt vmcnt(30)
	v_mul_f64 v[8:9], v[196:197], v[64:65]
	s_waitcnt vmcnt(28) lgkmcnt(4)
	v_mul_f64 v[14:15], v[244:245], v[82:83]
	v_mul_f64 v[82:83], v[246:247], v[82:83]
	s_waitcnt vmcnt(26)
	v_fmac_f64_e32 v[14:15], v[246:247], v[84:85]
	s_waitcnt vmcnt(24)
	v_mul_f64 v[12:13], v[240:241], v[74:75]
	v_mul_f64 v[74:75], v[242:243], v[74:75]
	s_waitcnt vmcnt(22) lgkmcnt(2)
	v_mul_f64 v[18:19], v[204:205], v[94:95]
	v_mul_f64 v[94:95], v[206:207], v[94:95]
	s_waitcnt vmcnt(19)
	v_mul_f64 v[16:17], v[248:249], v[86:87]
	v_mul_f64 v[86:87], v[250:251], v[86:87]
	s_waitcnt vmcnt(17) lgkmcnt(1)
	v_mul_f64 v[20:21], v[98:99], v[102:103]
	s_waitcnt vmcnt(15)
	v_fmac_f64_e32 v[6:7], v[116:117], v[68:69]
	s_waitcnt vmcnt(13)
	v_fmac_f64_e32 v[8:9], v[198:199], v[66:67]
	s_waitcnt vmcnt(11)
	v_fmac_f64_e32 v[12:13], v[242:243], v[76:77]
	v_fma_f64 v[202:203], v[240:241], v[76:77], -v[74:75]
	s_waitcnt vmcnt(9)
	v_fmac_f64_e32 v[16:17], v[250:251], v[88:89]
	s_waitcnt vmcnt(8)
	v_fmac_f64_e32 v[18:19], v[206:207], v[96:97]
	v_fma_f64 v[242:243], v[244:245], v[84:85], -v[82:83]
	v_fma_f64 v[248:249], v[248:249], v[88:89], -v[86:87]
	;; [unrolled: 1-line block ×3, first 2 shown]
	s_waitcnt vmcnt(2)
	v_fmac_f64_e32 v[20:21], v[100:101], v[0:1]
	v_mul_f64 v[100:101], v[100:101], v[102:103]
	s_waitcnt vmcnt(0)
	v_pk_mov_b32 v[22:23], v[2:3], v[2:3] op_sel:[0,1]
	buffer_load_dword v3, off, s[0:3], 0 offset:292
	buffer_load_dword v2, off, s[0:3], 0 offset:288
	;; [unrolled: 1-line block ×78, first 2 shown]
	ds_read_b128 v[120:123], v254 offset:976
	v_accvgpr_write_b32 a137, v23
	v_accvgpr_write_b32 a136, v22
	v_fma_f64 v[250:251], v[98:99], v[0:1], -v[100:101]
	s_waitcnt vmcnt(62)
	v_pk_mov_b32 v[24:25], v[2:3], v[2:3] op_sel:[0,1]
	v_mul_f64 v[2:3], v[78:79], v[60:61]
	v_fmac_f64_e32 v[2:3], v[80:81], v[56:57]
	v_add_f64 v[2:3], v[2:3], 0
	v_add_f64 v[2:3], v[2:3], v[4:5]
	v_add_f64 v[2:3], v[2:3], v[6:7]
	v_add_f64 v[2:3], v[2:3], v[8:9]
	v_add_f64 v[2:3], v[2:3], v[10:11]
	v_add_f64 v[2:3], v[2:3], v[12:13]
	v_add_f64 v[2:3], v[2:3], v[14:15]
	v_add_f64 v[2:3], v[2:3], v[16:17]
	v_add_f64 v[2:3], v[2:3], v[18:19]
	s_waitcnt lgkmcnt(1)
	v_mul_f64 v[8:9], v[106:107], v[110:111]
	v_add_f64 v[6:7], v[2:3], v[20:21]
	v_fmac_f64_e32 v[8:9], v[108:109], v[112:113]
	v_add_f64 v[10:11], v[6:7], v[8:9]
	ds_read_b128 v[6:9], v254 offset:992
	s_waitcnt lgkmcnt(1)
	v_mul_f64 v[12:13], v[120:121], v[124:125]
	v_fmac_f64_e32 v[12:13], v[122:123], v[140:141]
	v_add_f64 v[14:15], v[10:11], v[12:13]
	ds_read_b128 v[10:13], v254 offset:1008
	s_waitcnt lgkmcnt(1)
	v_mul_f64 v[16:17], v[6:7], v[22:23]
	;; [unrolled: 5-line block ×3, first 2 shown]
	v_fmac_f64_e32 v[20:21], v[12:13], v[148:149]
	v_add_f64 v[22:23], v[18:19], v[20:21]
	ds_read_b128 v[18:21], v254 offset:1040
	v_accvgpr_write_b32 a139, v25
	v_accvgpr_write_b32 a138, v24
	s_waitcnt lgkmcnt(1)
	v_mul_f64 v[24:25], v[14:15], v[126:127]
	v_fmac_f64_e32 v[24:25], v[16:17], v[128:129]
	v_add_f64 v[26:27], v[22:23], v[24:25]
	ds_read_b128 v[22:25], v254 offset:1056
	s_waitcnt vmcnt(58) lgkmcnt(1)
	v_mul_f64 v[28:29], v[18:19], v[152:153]
	s_waitcnt vmcnt(56)
	v_fmac_f64_e32 v[28:29], v[20:21], v[156:157]
	v_add_f64 v[30:31], v[26:27], v[28:29]
	ds_read_b128 v[26:29], v254 offset:1072
	s_waitcnt lgkmcnt(1)
	v_mul_f64 v[32:33], v[22:23], v[130:131]
	v_fmac_f64_e32 v[32:33], v[24:25], v[132:133]
	v_add_f64 v[34:35], v[30:31], v[32:33]
	ds_read_b128 v[30:33], v254 offset:1088
	s_waitcnt vmcnt(50) lgkmcnt(1)
	v_mul_f64 v[36:37], v[26:27], v[160:161]
	s_waitcnt vmcnt(48)
	v_fmac_f64_e32 v[36:37], v[28:29], v[164:165]
	v_add_f64 v[38:39], v[34:35], v[36:37]
	ds_read_b128 v[34:37], v254 offset:1104
	;; [unrolled: 11-line block ×4, first 2 shown]
	buffer_load_dword v192, off, s[0:3], 0 offset:616
	buffer_load_dword v217, off, s[0:3], 0 offset:604
	;; [unrolled: 1-line block ×28, first 2 shown]
	s_waitcnt lgkmcnt(1)
	v_mul_f64 v[118:119], v[46:47], v[146:147]
	v_fmac_f64_e32 v[118:119], v[48:49], v[150:151]
	v_mul_f64 v[60:61], v[80:81], v[60:61]
	v_add_f64 v[104:105], v[104:105], v[118:119]
	s_waitcnt vmcnt(54) lgkmcnt(0)
	v_mul_f64 v[118:119], v[50:51], v[184:185]
	v_fma_f64 v[252:253], v[78:79], v[56:57], -v[60:61]
	v_mul_f64 v[56:57], v[92:93], v[62:63]
	v_fma_f64 v[2:3], v[90:91], v[54:55], -v[56:57]
	s_waitcnt vmcnt(52)
	v_fmac_f64_e32 v[118:119], v[52:53], v[186:187]
	ds_read_b128 v[54:57], v254 offset:1184
	v_add_f64 v[4:5], v[104:105], v[118:119]
	v_fma_f64 v[118:119], v[114:115], v[68:69], -v[58:59]
	ds_read_b128 v[58:61], v254 offset:1200
	v_mul_f64 v[62:63], v[198:199], v[64:65]
	v_fma_f64 v[198:199], v[196:197], v[66:67], -v[62:63]
	ds_read_b128 v[62:65], v254 offset:1216
	ds_read_b128 v[70:73], v254 offset:1248
	s_waitcnt lgkmcnt(3)
	v_mul_f64 v[68:69], v[54:55], v[154:155]
	v_fmac_f64_e32 v[68:69], v[56:57], v[158:159]
	s_waitcnt vmcnt(46) lgkmcnt(2)
	v_mul_f64 v[66:67], v[58:59], v[188:189]
	v_add_f64 v[4:5], v[4:5], v[68:69]
	s_waitcnt vmcnt(44)
	v_fmac_f64_e32 v[66:67], v[60:61], v[190:191]
	v_add_f64 v[4:5], v[4:5], v[66:67]
	s_waitcnt lgkmcnt(1)
	v_mul_f64 v[66:67], v[62:63], v[162:163]
	v_fmac_f64_e32 v[66:67], v[64:65], v[166:167]
	v_add_f64 v[4:5], v[4:5], v[66:67]
	ds_read_b128 v[66:69], v254 offset:1232
	ds_read_b128 v[74:77], v254 offset:1264
	;; [unrolled: 1-line block ×5, first 2 shown]
	s_waitcnt vmcnt(38) lgkmcnt(4)
	v_mul_f64 v[78:79], v[66:67], v[208:209]
	s_waitcnt vmcnt(36)
	v_fmac_f64_e32 v[78:79], v[68:69], v[210:211]
	v_add_f64 v[4:5], v[4:5], v[78:79]
	v_mul_f64 v[78:79], v[70:71], v[170:171]
	v_fmac_f64_e32 v[78:79], v[72:73], v[174:175]
	v_add_f64 v[4:5], v[4:5], v[78:79]
	s_waitcnt vmcnt(30) lgkmcnt(3)
	v_mul_f64 v[78:79], v[74:75], v[212:213]
	s_waitcnt vmcnt(28)
	v_fmac_f64_e32 v[78:79], v[76:77], v[214:215]
	v_add_f64 v[4:5], v[4:5], v[78:79]
	ds_read_b128 v[78:81], v254 offset:1280
	ds_read_b128 v[98:101], v254 offset:1360
	s_waitcnt lgkmcnt(1)
	v_mul_f64 v[90:91], v[78:79], v[178:179]
	v_fmac_f64_e32 v[90:91], v[80:81], v[182:183]
	v_add_f64 v[4:5], v[4:5], v[90:91]
	s_waitcnt vmcnt(25)
	v_mul_f64 v[90:91], v[82:83], v[216:217]
	s_waitcnt vmcnt(23)
	v_fmac_f64_e32 v[90:91], v[84:85], v[218:219]
	v_add_f64 v[4:5], v[4:5], v[90:91]
	s_waitcnt vmcnt(21)
	v_mul_f64 v[90:91], v[86:87], v[192:193]
	s_waitcnt vmcnt(20)
	v_fmac_f64_e32 v[90:91], v[88:89], v[194:195]
	v_add_f64 v[4:5], v[4:5], v[90:91]
	ds_read_b128 v[90:93], v254 offset:1328
	s_waitcnt vmcnt(18) lgkmcnt(0)
	v_mul_f64 v[104:105], v[90:91], v[220:221]
	s_waitcnt vmcnt(16)
	v_fmac_f64_e32 v[104:105], v[92:93], v[222:223]
	v_add_f64 v[0:1], v[4:5], v[104:105]
	s_waitcnt vmcnt(14)
	v_mul_f64 v[4:5], v[94:95], v[226:227]
	s_waitcnt vmcnt(12)
	v_fmac_f64_e32 v[4:5], v[96:97], v[228:229]
	ds_read_b128 v[102:105], v254 offset:1376
	v_add_f64 v[4:5], v[0:1], v[4:5]
	v_mul_f64 v[0:1], v[108:109], v[110:111]
	v_fma_f64 v[0:1], v[106:107], v[112:113], -v[0:1]
	ds_read_b128 v[106:109], v254 offset:1392
	buffer_load_dword v196, off, s[0:3], 0 offset:712
	buffer_load_dword v197, off, s[0:3], 0 offset:716
	;; [unrolled: 1-line block ×4, first 2 shown]
	s_waitcnt vmcnt(13)
	v_mul_f64 v[110:111], v[98:99], v[232:233]
	s_waitcnt vmcnt(11)
	v_fmac_f64_e32 v[110:111], v[100:101], v[236:237]
	v_add_f64 v[4:5], v[4:5], v[110:111]
	s_waitcnt vmcnt(9) lgkmcnt(1)
	v_mul_f64 v[110:111], v[102:103], v[224:225]
	s_waitcnt vmcnt(8)
	v_fmac_f64_e32 v[110:111], v[104:105], v[230:231]
	v_add_f64 v[4:5], v[4:5], v[110:111]
	s_waitcnt vmcnt(6) lgkmcnt(0)
	v_mul_f64 v[110:111], v[106:107], v[234:235]
	s_waitcnt vmcnt(4)
	v_fmac_f64_e32 v[110:111], v[108:109], v[238:239]
	v_add_f64 v[4:5], v[4:5], v[110:111]
	ds_read_b128 v[110:113], v254 offset:1408
	buffer_load_dword v245, off, s[0:3], 0 offset:732
	buffer_load_dword v244, off, s[0:3], 0 offset:728
	buffer_load_dword v247, off, s[0:3], 0 offset:724
	buffer_load_dword v246, off, s[0:3], 0 offset:720
	s_waitcnt vmcnt(6) lgkmcnt(0)
	v_mul_f64 v[114:115], v[110:111], v[196:197]
	s_waitcnt vmcnt(4)
	v_fmac_f64_e32 v[114:115], v[112:113], v[240:241]
	v_add_f64 v[4:5], v[4:5], v[114:115]
	ds_read_b128 v[114:117], v254 offset:1424
	s_waitcnt vmcnt(2) lgkmcnt(0)
	v_mul_f64 v[206:207], v[114:115], v[244:245]
	s_waitcnt vmcnt(0)
	v_fmac_f64_e32 v[206:207], v[116:117], v[246:247]
	v_add_f64 v[4:5], v[4:5], v[206:207]
	v_add_f64 v[206:207], v[252:253], 0
	;; [unrolled: 1-line block ×9, first 2 shown]
	buffer_load_dword v248, off, s[0:3], 0 offset:80
	buffer_load_dword v249, off, s[0:3], 0 offset:84
	;; [unrolled: 1-line block ×4, first 2 shown]
	v_add_f64 v[254:255], v[2:3], v[204:205]
	v_add_f64 v[2:3], v[254:255], v[250:251]
	;; [unrolled: 1-line block ×3, first 2 shown]
	v_mul_f64 v[2:3], v[122:123], v[124:125]
	v_fma_f64 v[2:3], v[120:121], v[140:141], -v[2:3]
	v_add_f64 v[0:1], v[0:1], v[2:3]
	v_accvgpr_read_b32 v2, a136
	v_accvgpr_read_b32 v3, a137
	v_mul_f64 v[2:3], v[8:9], v[2:3]
	v_accvgpr_read_b32 v8, a138
	v_accvgpr_read_b32 v9, a139
	v_fma_f64 v[2:3], v[6:7], v[8:9], -v[2:3]
	v_add_f64 v[0:1], v[0:1], v[2:3]
	v_mul_f64 v[2:3], v[12:13], v[144:145]
	v_fma_f64 v[2:3], v[10:11], v[148:149], -v[2:3]
	v_add_f64 v[0:1], v[0:1], v[2:3]
	v_mul_f64 v[2:3], v[16:17], v[126:127]
	;; [unrolled: 3-line block ×27, first 2 shown]
	v_fma_f64 v[2:3], v[114:115], v[246:247], -v[2:3]
	v_add_f64 v[0:1], v[0:1], v[2:3]
	s_waitcnt vmcnt(2)
	v_add_f64 v[0:1], v[248:249], -v[0:1]
	s_waitcnt vmcnt(0)
	v_add_f64 v[2:3], v[198:199], -v[4:5]
	buffer_store_dword v1, off, s[0:3], 0 offset:84
	buffer_store_dword v0, off, s[0:3], 0 offset:80
	;; [unrolled: 1-line block ×4, first 2 shown]
	v_accvgpr_read_b32 v0, a134
	v_cmp_lt_u32_e32 vcc, 3, v0
	s_and_saveexec_b64 s[4:5], vcc
	s_cbranch_execz .LBB108_277
; %bb.276:
	v_accvgpr_read_b32 v0, a131
	buffer_load_dword v2, v0, s[0:3], 0 offen
	buffer_load_dword v3, v0, s[0:3], 0 offen offset:4
	buffer_load_dword v4, v0, s[0:3], 0 offen offset:8
	;; [unrolled: 1-line block ×3, first 2 shown]
	v_mov_b32_e32 v0, 0
	v_accvgpr_read_b32 v1, a135
	buffer_store_dword v0, off, s[0:3], 0 offset:64
	buffer_store_dword v0, off, s[0:3], 0 offset:68
	;; [unrolled: 1-line block ×4, first 2 shown]
	s_waitcnt vmcnt(4)
	ds_write_b128 v1, v[2:5]
.LBB108_277:
	s_or_b64 exec, exec, s[4:5]
	s_waitcnt lgkmcnt(0)
	; wave barrier
	s_waitcnt lgkmcnt(0)
	buffer_load_dword v54, off, s[0:3], 0 offset:80
	buffer_load_dword v55, off, s[0:3], 0 offset:84
	;; [unrolled: 1-line block ×46, first 2 shown]
	v_mov_b32_e32 v128, 0
	s_waitcnt vmcnt(0)
	v_pk_mov_b32 v[20:21], v[0:1], v[0:1] op_sel:[0,1]
	buffer_load_dword v1, off, s[0:3], 0 offset:276
	buffer_load_dword v0, off, s[0:3], 0 offset:272
	;; [unrolled: 1-line block ×3, first 2 shown]
	ds_read_b128 v[94:97], v128 offset:784
	ds_read_b128 v[108:111], v128 offset:800
	;; [unrolled: 1-line block ×11, first 2 shown]
	s_waitcnt lgkmcnt(9)
	v_mul_f64 v[2:3], v[108:109], v[62:63]
	s_waitcnt lgkmcnt(8)
	v_mul_f64 v[4:5], v[112:113], v[60:61]
	v_fmac_f64_e32 v[2:3], v[110:111], v[58:59]
	s_waitcnt lgkmcnt(7)
	v_mul_f64 v[6:7], v[176:177], v[68:69]
	v_fmac_f64_e32 v[4:5], v[114:115], v[84:85]
	s_waitcnt lgkmcnt(6)
	v_mul_f64 v[8:9], v[180:181], v[64:65]
	v_fmac_f64_e32 v[6:7], v[178:179], v[82:83]
	v_fmac_f64_e32 v[8:9], v[182:183], v[66:67]
	s_waitcnt lgkmcnt(5)
	v_mul_f64 v[10:11], v[184:185], v[70:71]
	s_waitcnt lgkmcnt(4)
	v_mul_f64 v[12:13], v[188:189], v[74:75]
	v_fmac_f64_e32 v[10:11], v[186:187], v[72:73]
	s_waitcnt lgkmcnt(3)
	v_mul_f64 v[14:15], v[192:193], v[78:79]
	v_fmac_f64_e32 v[12:13], v[190:191], v[76:77]
	;; [unrolled: 3-line block ×4, first 2 shown]
	v_fmac_f64_e32 v[18:19], v[206:207], v[92:93]
	v_accvgpr_write_b32 a137, v21
	v_accvgpr_write_b32 a136, v20
	v_mul_f64 v[62:63], v[110:111], v[62:63]
	v_mul_f64 v[74:75], v[190:191], v[74:75]
	v_fma_f64 v[190:191], v[188:189], v[76:77], -v[74:75]
	v_mul_f64 v[78:79], v[194:195], v[78:79]
	v_fma_f64 v[192:193], v[192:193], v[80:81], -v[78:79]
	v_mul_f64 v[86:87], v[202:203], v[86:87]
	v_mul_f64 v[90:91], v[206:207], v[90:91]
	v_fma_f64 v[194:195], v[200:201], v[88:89], -v[86:87]
	s_waitcnt vmcnt(1)
	v_pk_mov_b32 v[22:23], v[0:1], v[0:1] op_sel:[0,1]
	v_mul_f64 v[0:1], v[94:95], v[56:57]
	v_fmac_f64_e32 v[0:1], v[96:97], v[54:55]
	v_add_f64 v[0:1], v[0:1], 0
	v_add_f64 v[0:1], v[0:1], v[2:3]
	;; [unrolled: 1-line block ×5, first 2 shown]
	buffer_load_dword v106, off, s[0:3], 0 offset:264
	buffer_load_dword v197, off, s[0:3], 0 offset:260
	;; [unrolled: 1-line block ×75, first 2 shown]
	ds_read_b128 v[116:119], v128 offset:960
	ds_read_b128 v[120:123], v128 offset:976
	v_add_f64 v[0:1], v[0:1], v[10:11]
	v_add_f64 v[0:1], v[0:1], v[12:13]
	;; [unrolled: 1-line block ×5, first 2 shown]
	s_waitcnt lgkmcnt(0)
	v_mul_f64 v[10:11], v[120:121], v[20:21]
	ds_read_b128 v[124:127], v128 offset:992
	v_fmac_f64_e32 v[10:11], v[122:123], v[22:23]
	v_accvgpr_write_b32 a139, v23
	v_accvgpr_write_b32 a138, v22
	v_mul_f64 v[56:57], v[96:97], v[56:57]
	s_waitcnt vmcnt(62)
	v_mul_f64 v[6:7], v[116:117], v[106:107]
	v_fmac_f64_e32 v[6:7], v[118:119], v[196:197]
	v_pk_mov_b32 v[4:5], v[2:3], v[2:3] op_sel:[0,1]
	v_mul_f64 v[2:3], v[98:99], v[102:103]
	v_fmac_f64_e32 v[2:3], v[100:101], v[104:105]
	v_add_f64 v[0:1], v[0:1], v[2:3]
	v_add_f64 v[0:1], v[0:1], v[6:7]
	;; [unrolled: 1-line block ×3, first 2 shown]
	ds_read_b128 v[10:13], v128 offset:1008
	s_waitcnt lgkmcnt(1)
	v_mul_f64 v[14:15], v[124:125], v[212:213]
	v_fmac_f64_e32 v[14:15], v[126:127], v[216:217]
	v_add_f64 v[0:1], v[0:1], v[14:15]
	ds_read_b128 v[14:17], v128 offset:1024
	s_waitcnt lgkmcnt(1)
	v_mul_f64 v[18:19], v[10:11], v[8:9]
	v_fmac_f64_e32 v[18:19], v[12:13], v[4:5]
	v_add_f64 v[0:1], v[0:1], v[18:19]
	ds_read_b128 v[18:21], v128 offset:1040
	s_waitcnt vmcnt(58) lgkmcnt(1)
	v_mul_f64 v[22:23], v[14:15], v[138:139]
	s_waitcnt vmcnt(56)
	v_fmac_f64_e32 v[22:23], v[16:17], v[142:143]
	v_add_f64 v[0:1], v[0:1], v[22:23]
	ds_read_b128 v[22:25], v128 offset:1056
	s_waitcnt lgkmcnt(1)
	v_mul_f64 v[26:27], v[18:19], v[198:199]
	v_fmac_f64_e32 v[26:27], v[20:21], v[130:131]
	v_add_f64 v[0:1], v[0:1], v[26:27]
	ds_read_b128 v[26:29], v128 offset:1072
	s_waitcnt vmcnt(50) lgkmcnt(1)
	v_mul_f64 v[30:31], v[22:23], v[220:221]
	s_waitcnt vmcnt(48)
	;; [unrolled: 11-line block ×4, first 2 shown]
	v_fmac_f64_e32 v[46:47], v[40:41], v[234:235]
	v_add_f64 v[0:1], v[0:1], v[46:47]
	ds_read_b128 v[46:49], v128 offset:1152
	s_waitcnt lgkmcnt(1)
	v_mul_f64 v[50:51], v[42:43], v[214:215]
	v_fmac_f64_e32 v[50:51], v[44:45], v[136:137]
	v_add_f64 v[0:1], v[0:1], v[50:51]
	ds_read_b128 v[50:53], v128 offset:1168
	buffer_load_dword v163, off, s[0:3], 0 offset:588
	buffer_load_dword v162, off, s[0:3], 0 offset:584
	buffer_load_dword v165, off, s[0:3], 0 offset:580
	buffer_load_dword v164, off, s[0:3], 0 offset:576
	buffer_load_dword v168, off, s[0:3], 0 offset:600
	buffer_load_dword v170, off, s[0:3], 0 offset:592
	buffer_load_dword v169, off, s[0:3], 0 offset:604
	buffer_load_dword v171, off, s[0:3], 0 offset:596
	s_waitcnt vmcnt(34) lgkmcnt(1)
	v_mul_f64 v[166:167], v[46:47], v[238:239]
	s_waitcnt vmcnt(32)
	v_fmac_f64_e32 v[166:167], v[48:49], v[150:151]
	v_add_f64 v[0:1], v[0:1], v[166:167]
	buffer_load_dword v167, off, s[0:3], 0 offset:636
	buffer_load_dword v173, off, s[0:3], 0 offset:620
	;; [unrolled: 1-line block ×8, first 2 shown]
	v_fma_f64 v[6:7], v[94:95], v[54:55], -v[56:57]
	ds_read_b128 v[54:57], v128 offset:1184
	buffer_load_dword v245, off, s[0:3], 0 offset:652
	buffer_load_dword v244, off, s[0:3], 0 offset:648
	;; [unrolled: 1-line block ×4, first 2 shown]
	v_accvgpr_write_b32 a141, v5
	v_accvgpr_write_b32 a140, v4
	s_waitcnt lgkmcnt(1)
	v_mul_f64 v[4:5], v[50:51], v[140:141]
	buffer_load_dword v248, off, s[0:3], 0 offset:664
	buffer_load_dword v250, off, s[0:3], 0 offset:656
	;; [unrolled: 1-line block ×8, first 2 shown]
	v_fmac_f64_e32 v[4:5], v[52:53], v[218:219]
	v_add_f64 v[0:1], v[0:1], v[4:5]
	v_mul_f64 v[4:5], v[178:179], v[68:69]
	v_fma_f64 v[4:5], v[176:177], v[82:83], -v[4:5]
	buffer_load_dword v176, off, s[0:3], 0 offset:696
	buffer_load_dword v178, off, s[0:3], 0 offset:688
	buffer_load_dword v177, off, s[0:3], 0 offset:700
	buffer_load_dword v179, off, s[0:3], 0 offset:692
	v_fma_f64 v[94:95], v[108:109], v[58:59], -v[62:63]
	v_mul_f64 v[58:59], v[114:115], v[60:61]
	v_fma_f64 v[96:97], v[112:113], v[84:85], -v[58:59]
	s_waitcnt vmcnt(50) lgkmcnt(0)
	v_mul_f64 v[58:59], v[54:55], v[152:153]
	s_waitcnt vmcnt(48)
	v_fmac_f64_e32 v[58:59], v[56:57], v[240:241]
	v_add_f64 v[0:1], v[0:1], v[58:59]
	ds_read_b128 v[58:61], v128 offset:1200
	v_mul_f64 v[62:63], v[182:183], v[64:65]
	v_fma_f64 v[108:109], v[180:181], v[66:67], -v[62:63]
	ds_read_b128 v[62:65], v128 offset:1216
	v_mul_f64 v[66:67], v[186:187], v[70:71]
	v_fma_f64 v[184:185], v[184:185], v[72:73], -v[66:67]
	ds_read_b128 v[66:69], v128 offset:1232
	ds_read_b128 v[74:77], v128 offset:1264
	s_waitcnt lgkmcnt(3)
	v_mul_f64 v[82:83], v[58:59], v[222:223]
	v_fmac_f64_e32 v[82:83], v[60:61], v[144:145]
	s_waitcnt vmcnt(42) lgkmcnt(2)
	v_mul_f64 v[70:71], v[62:63], v[154:155]
	v_add_f64 v[0:1], v[0:1], v[82:83]
	s_waitcnt vmcnt(40)
	v_fmac_f64_e32 v[70:71], v[64:65], v[156:157]
	v_add_f64 v[0:1], v[0:1], v[70:71]
	s_waitcnt lgkmcnt(1)
	v_mul_f64 v[70:71], v[66:67], v[148:149]
	v_fmac_f64_e32 v[70:71], v[68:69], v[228:229]
	v_add_f64 v[0:1], v[0:1], v[70:71]
	ds_read_b128 v[70:73], v128 offset:1248
	ds_read_b128 v[78:81], v128 offset:1280
	v_mul_f64 v[100:101], v[100:101], v[102:103]
	v_mul_f64 v[102:103], v[118:119], v[106:107]
	v_fma_f64 v[180:181], v[204:205], v[92:93], -v[90:91]
	s_waitcnt vmcnt(34) lgkmcnt(1)
	v_mul_f64 v[82:83], v[70:71], v[158:159]
	s_waitcnt vmcnt(32)
	v_fmac_f64_e32 v[82:83], v[72:73], v[160:161]
	v_add_f64 v[0:1], v[0:1], v[82:83]
	v_mul_f64 v[82:83], v[74:75], v[232:233]
	v_fmac_f64_e32 v[82:83], v[76:77], v[236:237]
	v_add_f64 v[0:1], v[0:1], v[82:83]
	ds_read_b128 v[90:93], v128 offset:1328
	ds_read_b128 v[200:203], v128 offset:1344
	v_fma_f64 v[2:3], v[98:99], v[104:105], -v[100:101]
	ds_read_b128 v[98:101], v128 offset:1360
	v_fma_f64 v[106:107], v[116:117], v[196:197], -v[102:103]
	ds_read_b128 v[102:105], v128 offset:1376
	ds_read_b128 v[204:207], v128 offset:1392
	v_add_f64 v[6:7], v[6:7], 0
	v_add_f64 v[6:7], v[6:7], v[94:95]
	;; [unrolled: 1-line block ×8, first 2 shown]
	ds_read_b128 v[86:89], v128 offset:1312
	v_add_f64 v[4:5], v[4:5], v[194:195]
	v_add_f64 v[4:5], v[4:5], v[180:181]
	v_accvgpr_read_b32 v6, a138
	v_accvgpr_read_b32 v7, a139
	s_waitcnt vmcnt(30) lgkmcnt(6)
	v_mul_f64 v[82:83], v[78:79], v[162:163]
	s_waitcnt vmcnt(28)
	v_fmac_f64_e32 v[82:83], v[80:81], v[164:165]
	v_add_f64 v[0:1], v[0:1], v[82:83]
	ds_read_b128 v[82:85], v128 offset:1296
	buffer_load_dword v119, off, s[0:3], 0 offset:716
	buffer_load_dword v118, off, s[0:3], 0 offset:712
	;; [unrolled: 1-line block ×4, first 2 shown]
	s_waitcnt vmcnt(29) lgkmcnt(0)
	v_mul_f64 v[110:111], v[82:83], v[168:169]
	s_waitcnt vmcnt(28)
	v_fmac_f64_e32 v[110:111], v[84:85], v[170:171]
	v_add_f64 v[0:1], v[0:1], v[110:111]
	s_waitcnt vmcnt(25)
	v_mul_f64 v[110:111], v[86:87], v[172:173]
	s_waitcnt vmcnt(23)
	v_fmac_f64_e32 v[110:111], v[88:89], v[242:243]
	v_add_f64 v[0:1], v[0:1], v[110:111]
	s_waitcnt vmcnt(22)
	;; [unrolled: 5-line block ×6, first 2 shown]
	v_mul_f64 v[110:111], v[204:205], v[176:177]
	s_waitcnt vmcnt(4)
	v_fmac_f64_e32 v[110:111], v[206:207], v[178:179]
	v_add_f64 v[0:1], v[0:1], v[110:111]
	ds_read_b128 v[110:113], v128 offset:1408
	buffer_load_dword v186, off, s[0:3], 0 offset:728
	buffer_load_dword v187, off, s[0:3], 0 offset:732
	;; [unrolled: 1-line block ×4, first 2 shown]
	s_waitcnt vmcnt(6) lgkmcnt(0)
	v_mul_f64 v[114:115], v[110:111], v[118:119]
	s_waitcnt vmcnt(4)
	v_fmac_f64_e32 v[114:115], v[112:113], v[182:183]
	v_add_f64 v[0:1], v[0:1], v[114:115]
	ds_read_b128 v[114:117], v128 offset:1424
	buffer_load_dword v192, off, s[0:3], 0 offset:64
	buffer_load_dword v193, off, s[0:3], 0 offset:68
	;; [unrolled: 1-line block ×4, first 2 shown]
	s_waitcnt vmcnt(6) lgkmcnt(0)
	v_mul_f64 v[196:197], v[114:115], v[186:187]
	s_waitcnt vmcnt(4)
	v_fmac_f64_e32 v[196:197], v[116:117], v[188:189]
	v_add_f64 v[0:1], v[0:1], v[196:197]
	v_add_f64 v[196:197], v[4:5], v[2:3]
	v_accvgpr_read_b32 v4, a136
	v_accvgpr_read_b32 v5, a137
	v_mul_f64 v[4:5], v[122:123], v[4:5]
	v_add_f64 v[2:3], v[196:197], v[106:107]
	v_fma_f64 v[4:5], v[120:121], v[6:7], -v[4:5]
	v_add_f64 v[2:3], v[2:3], v[4:5]
	v_mul_f64 v[4:5], v[126:127], v[212:213]
	v_fma_f64 v[4:5], v[124:125], v[216:217], -v[4:5]
	v_accvgpr_read_b32 v6, a140
	v_add_f64 v[2:3], v[2:3], v[4:5]
	v_mul_f64 v[4:5], v[12:13], v[8:9]
	v_accvgpr_read_b32 v7, a141
	v_fma_f64 v[4:5], v[10:11], v[6:7], -v[4:5]
	v_add_f64 v[2:3], v[2:3], v[4:5]
	v_mul_f64 v[4:5], v[16:17], v[138:139]
	v_fma_f64 v[4:5], v[14:15], v[142:143], -v[4:5]
	v_add_f64 v[2:3], v[2:3], v[4:5]
	v_mul_f64 v[4:5], v[20:21], v[198:199]
	;; [unrolled: 3-line block ×26, first 2 shown]
	v_fma_f64 v[4:5], v[114:115], v[188:189], -v[4:5]
	v_add_f64 v[2:3], v[2:3], v[4:5]
	s_waitcnt vmcnt(2)
	v_add_f64 v[2:3], v[192:193], -v[2:3]
	s_waitcnt vmcnt(0)
	v_add_f64 v[0:1], v[190:191], -v[0:1]
	buffer_store_dword v3, off, s[0:3], 0 offset:68
	buffer_store_dword v2, off, s[0:3], 0 offset:64
	;; [unrolled: 1-line block ×4, first 2 shown]
	v_accvgpr_read_b32 v0, a134
	v_cmp_lt_u32_e32 vcc, 2, v0
	s_and_saveexec_b64 s[4:5], vcc
	s_cbranch_execz .LBB108_279
; %bb.278:
	v_accvgpr_read_b32 v0, a132
	buffer_load_dword v2, v0, s[0:3], 0 offen
	buffer_load_dword v3, v0, s[0:3], 0 offen offset:4
	buffer_load_dword v4, v0, s[0:3], 0 offen offset:8
	;; [unrolled: 1-line block ×3, first 2 shown]
	v_accvgpr_read_b32 v0, a135
	buffer_store_dword v128, off, s[0:3], 0 offset:48
	buffer_store_dword v128, off, s[0:3], 0 offset:52
	;; [unrolled: 1-line block ×4, first 2 shown]
	s_waitcnt vmcnt(4)
	ds_write_b128 v0, v[2:5]
.LBB108_279:
	s_or_b64 exec, exec, s[4:5]
	s_waitcnt lgkmcnt(0)
	; wave barrier
	s_waitcnt lgkmcnt(0)
	buffer_load_dword v58, off, s[0:3], 0 offset:64
	buffer_load_dword v59, off, s[0:3], 0 offset:68
	;; [unrolled: 1-line block ×42, first 2 shown]
	ds_read_b128 v[110:113], v128 offset:768
	ds_read_b128 v[114:117], v128 offset:784
	;; [unrolled: 1-line block ×10, first 2 shown]
	buffer_load_dword v1, off, s[0:3], 0 offset:212
	buffer_load_dword v0, off, s[0:3], 0 offset:208
	ds_read_b128 v[90:93], v128 offset:928
	buffer_load_dword v105, off, s[0:3], 0 offset:268
	buffer_load_dword v104, off, s[0:3], 0 offset:264
	;; [unrolled: 1-line block ×6, first 2 shown]
	s_waitcnt vmcnt(46) lgkmcnt(10)
	v_mul_f64 v[2:3], v[110:111], v[60:61]
	v_fmac_f64_e32 v[2:3], v[112:113], v[58:59]
	v_add_f64 v[2:3], v[2:3], 0
	v_mul_f64 v[60:61], v[112:113], v[60:61]
	s_waitcnt vmcnt(42) lgkmcnt(9)
	v_mul_f64 v[4:5], v[114:115], v[62:63]
	v_fmac_f64_e32 v[4:5], v[116:117], v[56:57]
	v_add_f64 v[2:3], v[2:3], v[4:5]
	buffer_load_dword v199, off, s[0:3], 0 offset:244
	buffer_load_dword v198, off, s[0:3], 0 offset:240
	buffer_load_dword v5, off, s[0:3], 0 offset:300
	buffer_load_dword v4, off, s[0:3], 0 offset:296
	s_waitcnt vmcnt(44) lgkmcnt(8)
	v_mul_f64 v[6:7], v[176:177], v[54:55]
	s_waitcnt vmcnt(42) lgkmcnt(6)
	v_mul_f64 v[10:11], v[184:185], v[64:65]
	s_waitcnt vmcnt(40)
	v_fmac_f64_e32 v[10:11], v[186:187], v[66:67]
	v_mul_f64 v[54:55], v[178:179], v[54:55]
	s_waitcnt vmcnt(38)
	v_mul_f64 v[8:9], v[180:181], v[68:69]
	s_waitcnt vmcnt(36) lgkmcnt(4)
	v_mul_f64 v[14:15], v[192:193], v[70:71]
	s_waitcnt vmcnt(34)
	v_fmac_f64_e32 v[14:15], v[194:195], v[72:73]
	s_waitcnt vmcnt(32)
	v_mul_f64 v[12:13], v[188:189], v[74:75]
	s_waitcnt vmcnt(30) lgkmcnt(2)
	v_mul_f64 v[18:19], v[204:205], v[78:79]
	v_mul_f64 v[78:79], v[206:207], v[78:79]
	s_waitcnt vmcnt(27)
	v_mul_f64 v[16:17], v[200:201], v[76:77]
	s_waitcnt vmcnt(25) lgkmcnt(1)
	v_mul_f64 v[20:21], v[82:83], v[86:87]
	s_waitcnt vmcnt(23)
	v_fmac_f64_e32 v[6:7], v[178:179], v[246:247]
	v_add_f64 v[2:3], v[2:3], v[6:7]
	s_waitcnt vmcnt(21)
	v_fmac_f64_e32 v[8:9], v[182:183], v[244:245]
	v_add_f64 v[2:3], v[2:3], v[8:9]
	;; [unrolled: 3-line block ×3, first 2 shown]
	v_add_f64 v[2:3], v[2:3], v[12:13]
	s_waitcnt vmcnt(17)
	v_fmac_f64_e32 v[16:17], v[202:203], v[88:89]
	v_add_f64 v[2:3], v[2:3], v[14:15]
	s_waitcnt vmcnt(16)
	v_fmac_f64_e32 v[18:19], v[206:207], v[80:81]
	v_add_f64 v[2:3], v[2:3], v[16:17]
	v_add_f64 v[2:3], v[2:3], v[18:19]
	v_fma_f64 v[204:205], v[204:205], v[80:81], -v[78:79]
	s_waitcnt vmcnt(10)
	v_fmac_f64_e32 v[20:21], v[84:85], v[0:1]
	v_add_f64 v[2:3], v[2:3], v[20:21]
	v_mul_f64 v[84:85], v[84:85], v[86:87]
	v_fma_f64 v[206:207], v[82:83], v[0:1], -v[84:85]
	s_waitcnt vmcnt(0)
	v_pk_mov_b32 v[18:19], v[4:5], v[4:5] op_sel:[0,1]
	buffer_load_dword v5, off, s[0:3], 0 offset:292
	buffer_load_dword v4, off, s[0:3], 0 offset:288
	v_accvgpr_write_b32 a137, v19
	v_accvgpr_write_b32 a136, v18
	s_waitcnt vmcnt(0)
	v_pk_mov_b32 v[22:23], v[4:5], v[4:5] op_sel:[0,1]
	buffer_load_dword v137, off, s[0:3], 0 offset:284
	buffer_load_dword v136, off, s[0:3], 0 offset:280
	;; [unrolled: 1-line block ×6, first 2 shown]
	v_accvgpr_write_b32 a139, v23
	v_accvgpr_write_b32 a138, v22
	s_waitcnt vmcnt(0)
	v_pk_mov_b32 v[26:27], v[4:5], v[4:5] op_sel:[0,1]
	buffer_load_dword v5, off, s[0:3], 0 offset:324
	buffer_load_dword v4, off, s[0:3], 0 offset:320
	v_accvgpr_write_b32 a141, v27
	v_accvgpr_write_b32 a140, v26
	s_waitcnt vmcnt(0)
	v_pk_mov_b32 v[28:29], v[4:5], v[4:5] op_sel:[0,1]
	buffer_load_dword v145, off, s[0:3], 0 offset:316
	buffer_load_dword v144, off, s[0:3], 0 offset:312
	;; [unrolled: 1-line block ×60, first 2 shown]
	ds_read_b128 v[118:121], v128 offset:944
	ds_read_b128 v[98:101], v128 offset:960
	;; [unrolled: 1-line block ×4, first 2 shown]
	v_accvgpr_write_b32 a143, v29
	v_accvgpr_write_b32 a142, v28
	s_waitcnt lgkmcnt(2)
	v_mul_f64 v[8:9], v[98:99], v[104:105]
	v_fmac_f64_e32 v[8:9], v[100:101], v[106:107]
	s_waitcnt lgkmcnt(1)
	v_mul_f64 v[12:13], v[130:131], v[136:137]
	v_fmac_f64_e32 v[12:13], v[132:133], v[140:141]
	;; [unrolled: 3-line block ×3, first 2 shown]
	s_waitcnt vmcnt(46)
	v_pk_mov_b32 v[42:43], v[4:5], v[4:5] op_sel:[0,1]
	v_mul_f64 v[4:5], v[90:91], v[96:97]
	v_fmac_f64_e32 v[4:5], v[92:93], v[102:103]
	v_add_f64 v[2:3], v[2:3], v[4:5]
	v_mul_f64 v[4:5], v[118:119], v[108:109]
	v_fmac_f64_e32 v[4:5], v[120:121], v[198:199]
	v_add_f64 v[6:7], v[2:3], v[4:5]
	v_add_f64 v[10:11], v[6:7], v[8:9]
	;; [unrolled: 1-line block ×3, first 2 shown]
	ds_read_b128 v[10:13], v128 offset:1008
	v_add_f64 v[18:19], v[14:15], v[16:17]
	ds_read_b128 v[14:17], v128 offset:1024
	v_accvgpr_write_b32 a145, v43
	v_accvgpr_write_b32 a144, v42
	s_waitcnt lgkmcnt(1)
	v_mul_f64 v[20:21], v[10:11], v[144:145]
	v_fmac_f64_e32 v[20:21], v[12:13], v[148:149]
	v_add_f64 v[22:23], v[18:19], v[20:21]
	ds_read_b128 v[18:21], v128 offset:1040
	s_waitcnt lgkmcnt(1)
	v_mul_f64 v[24:25], v[14:15], v[26:27]
	v_fmac_f64_e32 v[24:25], v[16:17], v[28:29]
	v_add_f64 v[26:27], v[22:23], v[24:25]
	ds_read_b128 v[22:25], v128 offset:1056
	;; [unrolled: 5-line block ×4, first 2 shown]
	s_waitcnt vmcnt(42) lgkmcnt(1)
	v_mul_f64 v[36:37], v[26:27], v[212:213]
	s_waitcnt vmcnt(40)
	v_fmac_f64_e32 v[36:37], v[28:29], v[158:159]
	v_add_f64 v[38:39], v[34:35], v[36:37]
	ds_read_b128 v[34:37], v128 offset:1104
	s_waitcnt lgkmcnt(1)
	v_mul_f64 v[40:41], v[30:31], v[42:43]
	v_fmac_f64_e32 v[40:41], v[32:33], v[134:135]
	v_add_f64 v[42:43], v[38:39], v[40:41]
	ds_read_b128 v[38:41], v128 offset:1120
	s_waitcnt vmcnt(34) lgkmcnt(1)
	v_mul_f64 v[44:45], v[34:35], v[214:215]
	s_waitcnt vmcnt(32)
	v_fmac_f64_e32 v[44:45], v[36:37], v[218:219]
	v_add_f64 v[46:47], v[42:43], v[44:45]
	ds_read_b128 v[42:45], v128 offset:1136
	s_waitcnt lgkmcnt(1)
	v_mul_f64 v[48:49], v[38:39], v[138:139]
	v_fmac_f64_e32 v[48:49], v[40:41], v[142:143]
	v_add_f64 v[50:51], v[46:47], v[48:49]
	ds_read_b128 v[46:49], v128 offset:1152
	s_waitcnt vmcnt(26) lgkmcnt(1)
	v_mul_f64 v[52:53], v[42:43], v[222:223]
	s_waitcnt vmcnt(24)
	v_fmac_f64_e32 v[52:53], v[44:45], v[162:163]
	v_add_f64 v[252:253], v[50:51], v[52:53]
	ds_read_b128 v[50:53], v128 offset:1168
	buffer_load_dword v175, off, s[0:3], 0 offset:572
	buffer_load_dword v174, off, s[0:3], 0 offset:568
	;; [unrolled: 1-line block ×20, first 2 shown]
	s_waitcnt lgkmcnt(1)
	v_mul_f64 v[254:255], v[46:47], v[146:147]
	v_fma_f64 v[6:7], v[110:111], v[58:59], -v[60:61]
	v_fma_f64 v[110:111], v[176:177], v[246:247], -v[54:55]
	v_mul_f64 v[54:55], v[182:183], v[68:69]
	v_mul_f64 v[4:5], v[116:117], v[62:63]
	v_fma_f64 v[112:113], v[180:181], v[244:245], -v[54:55]
	v_fmac_f64_e32 v[254:255], v[48:49], v[150:151]
	v_mul_f64 v[54:55], v[186:187], v[64:65]
	s_waitcnt vmcnt(38) lgkmcnt(0)
	v_mul_f64 v[60:61], v[50:51], v[164:165]
	v_fma_f64 v[4:5], v[114:115], v[56:57], -v[4:5]
	buffer_load_dword v178, off, s[0:3], 0 offset:648
	buffer_load_dword v244, off, s[0:3], 0 offset:640
	;; [unrolled: 1-line block ×12, first 2 shown]
	v_add_f64 v[58:59], v[252:253], v[254:255]
	v_fma_f64 v[184:185], v[184:185], v[66:67], -v[54:55]
	buffer_load_dword v253, off, s[0:3], 0 offset:700
	buffer_load_dword v252, off, s[0:3], 0 offset:696
	;; [unrolled: 1-line block ×4, first 2 shown]
	ds_read_b128 v[54:57], v128 offset:1184
	s_waitcnt vmcnt(52)
	v_fmac_f64_e32 v[60:61], v[52:53], v[166:167]
	v_add_f64 v[62:63], v[58:59], v[60:61]
	v_mul_f64 v[58:59], v[190:191], v[74:75]
	v_fma_f64 v[190:191], v[188:189], v[94:95], -v[58:59]
	ds_read_b128 v[58:61], v128 offset:1200
	s_waitcnt lgkmcnt(1)
	v_mul_f64 v[64:65], v[54:55], v[208:209]
	v_fmac_f64_e32 v[64:65], v[56:57], v[154:155]
	v_add_f64 v[74:75], v[62:63], v[64:65]
	ds_read_b128 v[62:65], v128 offset:1216
	v_mul_f64 v[66:67], v[194:195], v[70:71]
	s_waitcnt vmcnt(46) lgkmcnt(1)
	v_mul_f64 v[70:71], v[58:59], v[224:225]
	v_fma_f64 v[192:193], v[192:193], v[72:73], -v[66:67]
	ds_read_b128 v[66:69], v128 offset:1232
	s_waitcnt vmcnt(44)
	v_fmac_f64_e32 v[70:71], v[60:61], v[168:169]
	v_add_f64 v[74:75], v[74:75], v[70:71]
	v_mul_f64 v[70:71], v[202:203], v[76:77]
	v_fma_f64 v[194:195], v[200:201], v[88:89], -v[70:71]
	ds_read_b128 v[70:73], v128 offset:1248
	ds_read_b128 v[78:81], v128 offset:1280
	s_waitcnt lgkmcnt(3)
	v_mul_f64 v[94:95], v[62:63], v[156:157]
	v_fmac_f64_e32 v[94:95], v[64:65], v[160:161]
	s_waitcnt vmcnt(38) lgkmcnt(2)
	v_mul_f64 v[76:77], v[66:67], v[170:171]
	v_add_f64 v[74:75], v[74:75], v[94:95]
	s_waitcnt vmcnt(36)
	v_fmac_f64_e32 v[76:77], v[68:69], v[172:173]
	v_add_f64 v[74:75], v[74:75], v[76:77]
	s_waitcnt lgkmcnt(1)
	v_mul_f64 v[76:77], v[70:71], v[216:217]
	v_fmac_f64_e32 v[76:77], v[72:73], v[220:221]
	v_add_f64 v[88:89], v[74:75], v[76:77]
	ds_read_b128 v[74:77], v128 offset:1264
	ds_read_b128 v[82:85], v128 offset:1296
	v_mul_f64 v[92:93], v[92:93], v[96:97]
	v_fma_f64 v[2:3], v[90:91], v[102:103], -v[92:93]
	v_add_f64 v[6:7], v[6:7], 0
	v_add_f64 v[4:5], v[6:7], v[4:5]
	ds_read_b128 v[200:203], v128 offset:1344
	v_add_f64 v[4:5], v[4:5], v[110:111]
	v_add_f64 v[4:5], v[4:5], v[112:113]
	;; [unrolled: 1-line block ×8, first 2 shown]
	v_accvgpr_read_b32 v6, a138
	v_accvgpr_read_b32 v7, a139
	ds_read_b128 v[90:93], v128 offset:1328
	s_waitcnt vmcnt(25) lgkmcnt(2)
	v_mul_f64 v[8:9], v[82:83], v[234:235]
	s_waitcnt vmcnt(23)
	v_fmac_f64_e32 v[8:9], v[84:85], v[240:241]
	v_mul_f64 v[94:95], v[74:75], v[174:175]
	v_fmac_f64_e32 v[94:95], v[76:77], v[226:227]
	v_mul_f64 v[0:1], v[78:79], v[230:231]
	v_add_f64 v[88:89], v[88:89], v[94:95]
	v_fmac_f64_e32 v[0:1], v[80:81], v[232:233]
	v_add_f64 v[0:1], v[88:89], v[0:1]
	ds_read_b128 v[86:89], v128 offset:1312
	v_add_f64 v[0:1], v[0:1], v[8:9]
	v_mul_f64 v[94:95], v[120:121], v[108:109]
	v_fma_f64 v[120:121], v[118:119], v[198:199], -v[94:95]
	ds_read_b128 v[94:97], v128 offset:1360
	s_waitcnt vmcnt(22) lgkmcnt(1)
	v_mul_f64 v[8:9], v[86:87], v[228:229]
	s_waitcnt vmcnt(20)
	v_fmac_f64_e32 v[8:9], v[88:89], v[238:239]
	v_add_f64 v[0:1], v[0:1], v[8:9]
	s_waitcnt vmcnt(18)
	v_mul_f64 v[8:9], v[90:91], v[236:237]
	s_waitcnt vmcnt(16)
	v_fmac_f64_e32 v[8:9], v[92:93], v[242:243]
	v_add_f64 v[0:1], v[0:1], v[8:9]
	v_mul_f64 v[8:9], v[100:101], v[104:105]
	v_fma_f64 v[118:119], v[98:99], v[106:107], -v[8:9]
	ds_read_b128 v[102:105], v128 offset:1376
	ds_read_b128 v[106:109], v128 offset:1392
	buffer_load_dword v180, off, s[0:3], 0 offset:712
	buffer_load_dword v181, off, s[0:3], 0 offset:716
	buffer_load_dword v182, off, s[0:3], 0 offset:704
	buffer_load_dword v183, off, s[0:3], 0 offset:708
	ds_read_b128 v[98:101], v128 offset:1408
	buffer_load_dword v187, off, s[0:3], 0 offset:732
	buffer_load_dword v186, off, s[0:3], 0 offset:728
	buffer_load_dword v189, off, s[0:3], 0 offset:724
	buffer_load_dword v188, off, s[0:3], 0 offset:720
	;; [unrolled: 5-line block ×3, first 2 shown]
	v_add_f64 v[198:199], v[4:5], v[2:3]
	v_add_f64 v[2:3], v[198:199], v[120:121]
	v_mul_f64 v[4:5], v[132:133], v[136:137]
	v_add_f64 v[2:3], v[2:3], v[118:119]
	v_fma_f64 v[4:5], v[130:131], v[140:141], -v[4:5]
	v_add_f64 v[2:3], v[2:3], v[4:5]
	v_accvgpr_read_b32 v4, a136
	v_accvgpr_read_b32 v5, a137
	v_mul_f64 v[4:5], v[124:125], v[4:5]
	v_fma_f64 v[4:5], v[122:123], v[6:7], -v[4:5]
	v_add_f64 v[2:3], v[2:3], v[4:5]
	v_mul_f64 v[4:5], v[12:13], v[144:145]
	v_fma_f64 v[4:5], v[10:11], v[148:149], -v[4:5]
	v_add_f64 v[2:3], v[2:3], v[4:5]
	v_accvgpr_read_b32 v4, a140
	v_accvgpr_read_b32 v5, a141
	;; [unrolled: 1-line block ×3, first 2 shown]
	v_mul_f64 v[4:5], v[16:17], v[4:5]
	v_accvgpr_read_b32 v7, a143
	v_fma_f64 v[4:5], v[14:15], v[6:7], -v[4:5]
	v_add_f64 v[2:3], v[2:3], v[4:5]
	v_mul_f64 v[4:5], v[20:21], v[152:153]
	v_fma_f64 v[4:5], v[18:19], v[210:211], -v[4:5]
	v_add_f64 v[2:3], v[2:3], v[4:5]
	v_mul_f64 v[4:5], v[24:25], v[196:197]
	;; [unrolled: 3-line block ×3, first 2 shown]
	v_fma_f64 v[4:5], v[26:27], v[158:159], -v[4:5]
	v_add_f64 v[2:3], v[2:3], v[4:5]
	v_accvgpr_read_b32 v4, a144
	v_accvgpr_read_b32 v5, a145
	v_mul_f64 v[4:5], v[32:33], v[4:5]
	v_fma_f64 v[4:5], v[30:31], v[134:135], -v[4:5]
	v_add_f64 v[2:3], v[2:3], v[4:5]
	v_mul_f64 v[4:5], v[36:37], v[214:215]
	v_fma_f64 v[4:5], v[34:35], v[218:219], -v[4:5]
	v_add_f64 v[2:3], v[2:3], v[4:5]
	;; [unrolled: 3-line block ×15, first 2 shown]
	v_mul_f64 v[4:5], v[92:93], v[236:237]
	v_fma_f64 v[4:5], v[90:91], v[242:243], -v[4:5]
	s_waitcnt vmcnt(25)
	v_mul_f64 v[8:9], v[200:201], v[178:179]
	v_add_f64 v[2:3], v[2:3], v[4:5]
	v_mul_f64 v[4:5], v[202:203], v[178:179]
	s_waitcnt vmcnt(24)
	v_fmac_f64_e32 v[8:9], v[202:203], v[244:245]
	v_fma_f64 v[4:5], v[200:201], v[244:245], -v[4:5]
	v_add_f64 v[0:1], v[0:1], v[8:9]
	s_waitcnt vmcnt(21) lgkmcnt(4)
	v_mul_f64 v[8:9], v[94:95], v[248:249]
	v_add_f64 v[2:3], v[2:3], v[4:5]
	v_mul_f64 v[4:5], v[96:97], v[248:249]
	s_waitcnt vmcnt(19)
	v_fmac_f64_e32 v[8:9], v[96:97], v[250:251]
	v_fma_f64 v[4:5], v[94:95], v[250:251], -v[4:5]
	v_add_f64 v[0:1], v[0:1], v[8:9]
	s_waitcnt vmcnt(17) lgkmcnt(3)
	;; [unrolled: 8-line block ×5, first 2 shown]
	v_mul_f64 v[8:9], v[114:115], v[186:187]
	v_add_f64 v[2:3], v[2:3], v[4:5]
	v_mul_f64 v[4:5], v[116:117], v[186:187]
	s_waitcnt vmcnt(4)
	v_fmac_f64_e32 v[8:9], v[116:117], v[188:189]
	v_fma_f64 v[4:5], v[114:115], v[188:189], -v[4:5]
	v_add_f64 v[0:1], v[0:1], v[8:9]
	v_add_f64 v[2:3], v[2:3], v[4:5]
	s_waitcnt vmcnt(2)
	v_add_f64 v[2:3], v[192:193], -v[2:3]
	s_waitcnt vmcnt(0)
	v_add_f64 v[0:1], v[190:191], -v[0:1]
	buffer_store_dword v3, off, s[0:3], 0 offset:52
	buffer_store_dword v2, off, s[0:3], 0 offset:48
	;; [unrolled: 1-line block ×4, first 2 shown]
	v_accvgpr_read_b32 v0, a134
	v_cmp_lt_u32_e32 vcc, 1, v0
	s_and_saveexec_b64 s[4:5], vcc
	s_cbranch_execz .LBB108_281
; %bb.280:
	v_accvgpr_read_b32 v0, a133
	buffer_load_dword v2, v0, s[0:3], 0 offen
	buffer_load_dword v3, v0, s[0:3], 0 offen offset:4
	buffer_load_dword v4, v0, s[0:3], 0 offen offset:8
	;; [unrolled: 1-line block ×3, first 2 shown]
	v_mov_b32_e32 v0, 0
	v_accvgpr_read_b32 v1, a135
	buffer_store_dword v0, off, s[0:3], 0 offset:32
	buffer_store_dword v0, off, s[0:3], 0 offset:36
	;; [unrolled: 1-line block ×4, first 2 shown]
	s_waitcnt vmcnt(4)
	ds_write_b128 v1, v[2:5]
.LBB108_281:
	s_or_b64 exec, exec, s[4:5]
	s_waitcnt lgkmcnt(0)
	; wave barrier
	s_waitcnt lgkmcnt(0)
	buffer_load_dword v50, off, s[0:3], 0 offset:48
	buffer_load_dword v51, off, s[0:3], 0 offset:52
	;; [unrolled: 1-line block ×54, first 2 shown]
	v_mov_b32_e32 v198, 0
	ds_read_b128 v[102:105], v198 offset:752
	ds_read_b128 v[106:109], v198 offset:768
	;; [unrolled: 1-line block ×9, first 2 shown]
	s_waitcnt vmcnt(46) lgkmcnt(7)
	v_mul_f64 v[2:3], v[106:107], v[58:59]
	v_fmac_f64_e32 v[2:3], v[108:109], v[52:53]
	s_waitcnt vmcnt(44) lgkmcnt(6)
	v_mul_f64 v[4:5], v[110:111], v[54:55]
	s_waitcnt vmcnt(42) lgkmcnt(4)
	v_mul_f64 v[8:9], v[160:161], v[62:63]
	s_waitcnt vmcnt(40)
	v_fmac_f64_e32 v[8:9], v[162:163], v[60:61]
	s_waitcnt vmcnt(38)
	v_mul_f64 v[6:7], v[164:165], v[64:65]
	s_waitcnt vmcnt(36) lgkmcnt(2)
	v_mul_f64 v[12:13], v[180:181], v[66:67]
	s_waitcnt vmcnt(34)
	v_fmac_f64_e32 v[12:13], v[182:183], v[70:71]
	s_waitcnt vmcnt(32)
	;; [unrolled: 6-line block ×3, first 2 shown]
	v_fmac_f64_e32 v[6:7], v[166:167], v[80:81]
	s_waitcnt vmcnt(24)
	v_fmac_f64_e32 v[10:11], v[178:179], v[78:79]
	s_waitcnt vmcnt(22)
	v_fmac_f64_e32 v[14:15], v[186:187], v[72:73]
	s_waitcnt vmcnt(0)
	v_pk_mov_b32 v[16:17], v[0:1], v[0:1] op_sel:[0,1]
	v_mul_f64 v[0:1], v[102:103], v[56:57]
	v_fmac_f64_e32 v[0:1], v[104:105], v[50:51]
	v_add_f64 v[0:1], v[0:1], 0
	v_add_f64 v[0:1], v[0:1], v[2:3]
	;; [unrolled: 1-line block ×7, first 2 shown]
	buffer_load_dword v1, off, s[0:3], 0 offset:276
	buffer_load_dword v0, off, s[0:3], 0 offset:272
	v_add_f64 v[2:3], v[2:3], v[14:15]
	v_accvgpr_write_b32 a137, v17
	v_accvgpr_write_b32 a136, v16
	v_mul_f64 v[56:57], v[104:105], v[56:57]
	s_waitcnt vmcnt(0)
	v_pk_mov_b32 v[18:19], v[0:1], v[0:1] op_sel:[0,1]
	buffer_load_dword v133, off, s[0:3], 0 offset:268
	buffer_load_dword v132, off, s[0:3], 0 offset:264
	;; [unrolled: 1-line block ×6, first 2 shown]
	v_accvgpr_write_b32 a139, v19
	v_accvgpr_write_b32 a138, v18
	s_waitcnt vmcnt(0)
	v_pk_mov_b32 v[22:23], v[4:5], v[4:5] op_sel:[0,1]
	buffer_load_dword v5, off, s[0:3], 0 offset:308
	buffer_load_dword v4, off, s[0:3], 0 offset:304
	;; [unrolled: 1-line block ×54, first 2 shown]
	ds_read_b128 v[192:195], v198 offset:896
	ds_read_b128 v[200:203], v198 offset:912
	;; [unrolled: 1-line block ×7, first 2 shown]
	v_accvgpr_write_b32 a141, v23
	v_accvgpr_write_b32 a140, v22
	s_waitcnt lgkmcnt(2)
	v_mul_f64 v[8:9], v[114:115], v[132:133]
	v_fmac_f64_e32 v[8:9], v[116:117], v[0:1]
	s_waitcnt lgkmcnt(1)
	v_mul_f64 v[12:13], v[126:127], v[16:17]
	v_fmac_f64_e32 v[12:13], v[128:129], v[18:19]
	s_waitcnt vmcnt(52)
	v_pk_mov_b32 v[24:25], v[4:5], v[4:5] op_sel:[0,1]
	v_mul_f64 v[4:5], v[188:189], v[74:75]
	v_fmac_f64_e32 v[4:5], v[190:191], v[84:85]
	v_add_f64 v[2:3], v[2:3], v[4:5]
	v_mul_f64 v[4:5], v[192:193], v[90:91]
	v_fmac_f64_e32 v[4:5], v[194:195], v[92:93]
	v_add_f64 v[2:3], v[2:3], v[4:5]
	;; [unrolled: 3-line block ×5, first 2 shown]
	v_add_f64 v[10:11], v[6:7], v[8:9]
	v_add_f64 v[14:15], v[10:11], v[12:13]
	ds_read_b128 v[10:13], v198 offset:1008
	s_waitcnt vmcnt(50) lgkmcnt(1)
	v_mul_f64 v[16:17], v[122:123], v[222:223]
	s_waitcnt vmcnt(48)
	v_fmac_f64_e32 v[16:17], v[124:125], v[226:227]
	v_add_f64 v[18:19], v[14:15], v[16:17]
	ds_read_b128 v[14:17], v198 offset:1024
	s_waitcnt lgkmcnt(1)
	v_mul_f64 v[20:21], v[10:11], v[22:23]
	v_fmac_f64_e32 v[20:21], v[12:13], v[24:25]
	v_add_f64 v[22:23], v[18:19], v[20:21]
	ds_read_b128 v[18:21], v198 offset:1040
	v_accvgpr_write_b32 a143, v25
	v_accvgpr_write_b32 a142, v24
	s_waitcnt vmcnt(42) lgkmcnt(1)
	v_mul_f64 v[24:25], v[14:15], v[230:231]
	s_waitcnt vmcnt(40)
	v_fmac_f64_e32 v[24:25], v[16:17], v[234:235]
	s_waitcnt lgkmcnt(0)
	v_mul_f64 v[28:29], v[18:19], v[210:211]
	v_add_f64 v[26:27], v[22:23], v[24:25]
	ds_read_b128 v[22:25], v198 offset:1056
	v_fmac_f64_e32 v[28:29], v[20:21], v[212:213]
	v_add_f64 v[30:31], v[26:27], v[28:29]
	ds_read_b128 v[26:29], v198 offset:1072
	v_fma_f64 v[6:7], v[102:103], v[50:51], -v[56:57]
	s_waitcnt vmcnt(34) lgkmcnt(1)
	v_mul_f64 v[32:33], v[22:23], v[238:239]
	s_waitcnt vmcnt(32)
	v_fmac_f64_e32 v[32:33], v[24:25], v[242:243]
	v_add_f64 v[34:35], v[30:31], v[32:33]
	s_waitcnt lgkmcnt(0)
	v_mul_f64 v[36:37], v[26:27], v[214:215]
	ds_read_b128 v[30:33], v198 offset:1088
	v_fmac_f64_e32 v[36:37], v[28:29], v[216:217]
	v_add_f64 v[38:39], v[34:35], v[36:37]
	ds_read_b128 v[34:37], v198 offset:1104
	v_mul_f64 v[50:51], v[108:109], v[58:59]
	s_waitcnt vmcnt(26) lgkmcnt(1)
	v_mul_f64 v[40:41], v[30:31], v[246:247]
	s_waitcnt vmcnt(24)
	v_fmac_f64_e32 v[40:41], v[32:33], v[248:249]
	v_add_f64 v[42:43], v[38:39], v[40:41]
	s_waitcnt lgkmcnt(0)
	v_mul_f64 v[44:45], v[34:35], v[218:219]
	v_fmac_f64_e32 v[44:45], v[36:37], v[220:221]
	ds_read_b128 v[38:41], v198 offset:1120
	v_add_f64 v[46:47], v[42:43], v[44:45]
	ds_read_b128 v[42:45], v198 offset:1136
	buffer_load_dword v9, off, s[0:3], 0 offset:540
	buffer_load_dword v135, off, s[0:3], 0 offset:524
	;; [unrolled: 1-line block ×8, first 2 shown]
	v_fma_f64 v[102:103], v[106:107], v[52:53], -v[50:51]
	s_waitcnt vmcnt(26) lgkmcnt(1)
	v_mul_f64 v[48:49], v[38:39], v[250:251]
	s_waitcnt vmcnt(24)
	v_fmac_f64_e32 v[48:49], v[40:41], v[252:253]
	v_add_f64 v[144:145], v[46:47], v[48:49]
	ds_read_b128 v[46:49], v198 offset:1152
	buffer_load_dword v141, off, s[0:3], 0 offset:556
	buffer_load_dword v140, off, s[0:3], 0 offset:552
	;; [unrolled: 1-line block ×4, first 2 shown]
	s_waitcnt lgkmcnt(1)
	v_mul_f64 v[146:147], v[42:43], v[224:225]
	v_fmac_f64_e32 v[146:147], v[44:45], v[228:229]
	v_add_f64 v[2:3], v[144:145], v[146:147]
	buffer_load_dword v145, off, s[0:3], 0 offset:572
	buffer_load_dword v144, off, s[0:3], 0 offset:568
	;; [unrolled: 1-line block ×12, first 2 shown]
	v_mul_f64 v[50:51], v[112:113], v[54:55]
	buffer_load_dword v157, off, s[0:3], 0 offset:620
	buffer_load_dword v156, off, s[0:3], 0 offset:616
	;; [unrolled: 1-line block ×4, first 2 shown]
	v_fma_f64 v[104:105], v[110:111], v[82:83], -v[50:51]
	v_mul_f64 v[50:51], v[166:167], v[64:65]
	v_fma_f64 v[106:107], v[164:165], v[80:81], -v[50:51]
	v_mul_f64 v[50:51], v[162:163], v[62:63]
	buffer_load_dword v163, off, s[0:3], 0 offset:636
	buffer_load_dword v162, off, s[0:3], 0 offset:632
	;; [unrolled: 1-line block ×4, first 2 shown]
	v_fma_f64 v[108:109], v[160:161], v[60:61], -v[50:51]
	buffer_load_dword v161, off, s[0:3], 0 offset:668
	buffer_load_dword v167, off, s[0:3], 0 offset:652
	buffer_load_dword v166, off, s[0:3], 0 offset:648
	buffer_load_dword v173, off, s[0:3], 0 offset:644
	buffer_load_dword v172, off, s[0:3], 0 offset:640
	buffer_load_dword v160, off, s[0:3], 0 offset:664
	buffer_load_dword v171, off, s[0:3], 0 offset:660
	buffer_load_dword v170, off, s[0:3], 0 offset:656
	buffer_load_dword v169, off, s[0:3], 0 offset:684
	buffer_load_dword v168, off, s[0:3], 0 offset:680
	buffer_load_dword v175, off, s[0:3], 0 offset:676
	buffer_load_dword v174, off, s[0:3], 0 offset:672
	ds_read_b128 v[50:53], v198 offset:1168
	v_mul_f64 v[54:55], v[178:179], v[76:77]
	v_fma_f64 v[178:179], v[176:177], v[78:79], -v[54:55]
	ds_read_b128 v[54:57], v198 offset:1184
	s_waitcnt vmcnt(54) lgkmcnt(2)
	v_mul_f64 v[58:59], v[46:47], v[254:255]
	s_waitcnt vmcnt(52)
	v_fmac_f64_e32 v[58:59], v[48:49], v[208:209]
	v_add_f64 v[2:3], v[2:3], v[58:59]
	s_waitcnt lgkmcnt(1)
	v_mul_f64 v[58:59], v[50:51], v[232:233]
	v_fmac_f64_e32 v[58:59], v[52:53], v[236:237]
	v_add_f64 v[2:3], v[2:3], v[58:59]
	s_waitcnt vmcnt(46) lgkmcnt(0)
	v_mul_f64 v[58:59], v[54:55], v[196:197]
	s_waitcnt vmcnt(44)
	v_fmac_f64_e32 v[58:59], v[56:57], v[130:131]
	v_add_f64 v[2:3], v[2:3], v[58:59]
	ds_read_b128 v[58:61], v198 offset:1200
	v_mul_f64 v[62:63], v[182:183], v[66:67]
	v_fma_f64 v[180:181], v[180:181], v[70:71], -v[62:63]
	ds_read_b128 v[62:65], v198 offset:1216
	v_mul_f64 v[66:67], v[186:187], v[68:69]
	v_fma_f64 v[184:185], v[184:185], v[72:73], -v[66:67]
	ds_read_b128 v[66:69], v198 offset:1232
	s_waitcnt lgkmcnt(2)
	v_mul_f64 v[70:71], v[58:59], v[240:241]
	v_fmac_f64_e32 v[70:71], v[60:61], v[244:245]
	v_add_f64 v[2:3], v[2:3], v[70:71]
	v_mul_f64 v[74:75], v[190:191], v[74:75]
	v_fma_f64 v[190:191], v[188:189], v[84:85], -v[74:75]
	ds_read_b128 v[74:77], v198 offset:1264
	v_mul_f64 v[78:79], v[194:195], v[90:91]
	v_fma_f64 v[192:193], v[192:193], v[92:93], -v[78:79]
	v_mul_f64 v[86:87], v[202:203], v[86:87]
	v_fma_f64 v[194:195], v[200:201], v[88:89], -v[86:87]
	;; [unrolled: 2-line block ×3, first 2 shown]
	buffer_load_dword v176, off, s[0:3], 0 offset:696
	v_add_f64 v[6:7], v[6:7], 0
	v_add_f64 v[6:7], v[6:7], v[102:103]
	;; [unrolled: 1-line block ×4, first 2 shown]
	ds_read_b128 v[78:81], v198 offset:1280
	v_add_f64 v[6:7], v[6:7], v[108:109]
	v_add_f64 v[6:7], v[6:7], v[178:179]
	;; [unrolled: 1-line block ×7, first 2 shown]
	v_accvgpr_read_b32 v102, a138
	v_accvgpr_read_b32 v103, a139
	ds_read_b128 v[86:89], v198 offset:1312
	ds_read_b128 v[94:97], v198 offset:1344
	s_waitcnt vmcnt(42) lgkmcnt(5)
	v_mul_f64 v[70:71], v[62:63], v[134:135]
	s_waitcnt vmcnt(40)
	v_fmac_f64_e32 v[70:71], v[64:65], v[138:139]
	v_add_f64 v[2:3], v[2:3], v[70:71]
	s_waitcnt vmcnt(39) lgkmcnt(4)
	v_mul_f64 v[70:71], v[66:67], v[8:9]
	s_waitcnt vmcnt(37)
	v_fmac_f64_e32 v[70:71], v[68:69], v[136:137]
	v_add_f64 v[2:3], v[2:3], v[70:71]
	ds_read_b128 v[70:73], v198 offset:1248
	s_waitcnt vmcnt(35) lgkmcnt(0)
	v_mul_f64 v[82:83], v[70:71], v[140:141]
	s_waitcnt vmcnt(33)
	v_fmac_f64_e32 v[82:83], v[72:73], v[142:143]
	v_add_f64 v[2:3], v[2:3], v[82:83]
	s_waitcnt vmcnt(31)
	v_mul_f64 v[82:83], v[74:75], v[144:145]
	s_waitcnt vmcnt(29)
	v_fmac_f64_e32 v[82:83], v[76:77], v[148:149]
	v_add_f64 v[2:3], v[2:3], v[82:83]
	s_waitcnt vmcnt(27)
	v_mul_f64 v[82:83], v[78:79], v[146:147]
	s_waitcnt vmcnt(25)
	v_fmac_f64_e32 v[82:83], v[80:81], v[150:151]
	v_add_f64 v[2:3], v[2:3], v[82:83]
	ds_read_b128 v[82:85], v198 offset:1296
	s_waitcnt vmcnt(10)
	v_mul_f64 v[112:113], v[94:95], v[166:167]
	s_waitcnt vmcnt(8)
	v_fmac_f64_e32 v[112:113], v[96:97], v[172:173]
	s_waitcnt lgkmcnt(0)
	v_mul_f64 v[90:91], v[82:83], v[152:153]
	v_fmac_f64_e32 v[90:91], v[84:85], v[154:155]
	v_add_f64 v[2:3], v[2:3], v[90:91]
	v_mul_f64 v[90:91], v[206:207], v[98:99]
	v_fma_f64 v[4:5], v[204:205], v[100:101], -v[90:91]
	ds_read_b128 v[90:93], v198 offset:1328
	v_mul_f64 v[98:99], v[86:87], v[156:157]
	v_fmac_f64_e32 v[98:99], v[88:89], v[158:159]
	v_add_f64 v[2:3], v[2:3], v[98:99]
	v_add_f64 v[4:5], v[6:7], v[4:5]
	s_waitcnt lgkmcnt(0)
	v_mul_f64 v[98:99], v[90:91], v[162:163]
	v_fmac_f64_e32 v[98:99], v[92:93], v[164:165]
	v_add_f64 v[110:111], v[2:3], v[98:99]
	v_mul_f64 v[2:3], v[116:117], v[132:133]
	v_fma_f64 v[0:1], v[114:115], v[0:1], -v[2:3]
	v_accvgpr_write_b32 a145, v1
	ds_read_b128 v[98:101], v198 offset:1360
	v_accvgpr_write_b32 a144, v0
	ds_read_b128 v[0:3], v198 offset:1376
	buffer_load_dword v120, off, s[0:3], 0 offset:688
	buffer_load_dword v177, off, s[0:3], 0 offset:700
	;; [unrolled: 1-line block ×3, first 2 shown]
	ds_read_b128 v[200:203], v198 offset:1392
	buffer_load_dword v133, off, s[0:3], 0 offset:716
	buffer_load_dword v132, off, s[0:3], 0 offset:712
	;; [unrolled: 1-line block ×4, first 2 shown]
	v_add_f64 v[110:111], v[110:111], v[112:113]
	s_waitcnt vmcnt(14) lgkmcnt(2)
	v_mul_f64 v[112:113], v[98:99], v[160:161]
	s_waitcnt vmcnt(12)
	v_fmac_f64_e32 v[112:113], v[100:101], v[170:171]
	v_add_f64 v[110:111], v[110:111], v[112:113]
	s_waitcnt vmcnt(10) lgkmcnt(1)
	v_mul_f64 v[112:113], v[0:1], v[168:169]
	s_waitcnt vmcnt(8)
	v_fmac_f64_e32 v[112:113], v[2:3], v[174:175]
	v_add_f64 v[110:111], v[110:111], v[112:113]
	v_accvgpr_read_b32 v6, a136
	v_add_f64 v[118:119], v[4:5], v[118:119]
	v_accvgpr_read_b32 v4, a144
	v_accvgpr_read_b32 v7, a137
	;; [unrolled: 1-line block ×3, first 2 shown]
	v_mul_f64 v[6:7], v[128:129], v[6:7]
	v_add_f64 v[4:5], v[118:119], v[4:5]
	v_fma_f64 v[6:7], v[126:127], v[102:103], -v[6:7]
	v_add_f64 v[4:5], v[4:5], v[6:7]
	v_mul_f64 v[6:7], v[124:125], v[222:223]
	v_fma_f64 v[6:7], v[122:123], v[226:227], -v[6:7]
	v_add_f64 v[4:5], v[4:5], v[6:7]
	v_accvgpr_read_b32 v6, a140
	v_accvgpr_read_b32 v7, a141
	v_mul_f64 v[6:7], v[12:13], v[6:7]
	v_accvgpr_read_b32 v12, a142
	v_accvgpr_read_b32 v13, a143
	v_fma_f64 v[6:7], v[10:11], v[12:13], -v[6:7]
	v_add_f64 v[4:5], v[4:5], v[6:7]
	v_mul_f64 v[6:7], v[16:17], v[230:231]
	v_fma_f64 v[6:7], v[14:15], v[234:235], -v[6:7]
	v_add_f64 v[4:5], v[4:5], v[6:7]
	v_mul_f64 v[6:7], v[20:21], v[210:211]
	;; [unrolled: 3-line block ×17, first 2 shown]
	v_fma_f64 v[6:7], v[78:79], v[150:151], -v[6:7]
	s_waitcnt vmcnt(5) lgkmcnt(0)
	v_mul_f64 v[112:113], v[200:201], v[176:177]
	s_waitcnt vmcnt(4)
	v_fmac_f64_e32 v[112:113], v[202:203], v[120:121]
	v_add_f64 v[114:115], v[110:111], v[112:113]
	ds_read_b128 v[110:113], v198 offset:1408
	buffer_load_dword v186, off, s[0:3], 0 offset:728
	buffer_load_dword v187, off, s[0:3], 0 offset:732
	;; [unrolled: 1-line block ×4, first 2 shown]
	v_add_f64 v[4:5], v[4:5], v[6:7]
	v_mul_f64 v[6:7], v[84:85], v[152:153]
	v_fma_f64 v[6:7], v[82:83], v[154:155], -v[6:7]
	s_waitcnt vmcnt(6) lgkmcnt(0)
	v_mul_f64 v[116:117], v[110:111], v[132:133]
	s_waitcnt vmcnt(4)
	v_fmac_f64_e32 v[116:117], v[112:113], v[182:183]
	v_add_f64 v[204:205], v[114:115], v[116:117]
	ds_read_b128 v[114:117], v198 offset:1424
	buffer_load_dword v192, off, s[0:3], 0 offset:32
	buffer_load_dword v193, off, s[0:3], 0 offset:36
	;; [unrolled: 1-line block ×4, first 2 shown]
	v_add_f64 v[4:5], v[4:5], v[6:7]
	v_mul_f64 v[6:7], v[88:89], v[156:157]
	v_fma_f64 v[6:7], v[86:87], v[158:159], -v[6:7]
	v_add_f64 v[4:5], v[4:5], v[6:7]
	v_mul_f64 v[6:7], v[92:93], v[162:163]
	v_fma_f64 v[6:7], v[90:91], v[164:165], -v[6:7]
	;; [unrolled: 3-line block ×4, first 2 shown]
	v_mul_f64 v[2:3], v[2:3], v[168:169]
	v_add_f64 v[4:5], v[4:5], v[6:7]
	v_fma_f64 v[0:1], v[0:1], v[174:175], -v[2:3]
	v_mul_f64 v[2:3], v[202:203], v[176:177]
	v_add_f64 v[0:1], v[4:5], v[0:1]
	v_fma_f64 v[2:3], v[200:201], v[120:121], -v[2:3]
	v_add_f64 v[0:1], v[0:1], v[2:3]
	v_mul_f64 v[2:3], v[112:113], v[132:133]
	v_fma_f64 v[2:3], v[110:111], v[182:183], -v[2:3]
	v_add_f64 v[0:1], v[0:1], v[2:3]
	s_waitcnt vmcnt(6) lgkmcnt(0)
	v_mul_f64 v[2:3], v[116:117], v[186:187]
	v_mul_f64 v[206:207], v[114:115], v[186:187]
	s_waitcnt vmcnt(4)
	v_fma_f64 v[2:3], v[114:115], v[188:189], -v[2:3]
	v_fmac_f64_e32 v[206:207], v[116:117], v[188:189]
	v_add_f64 v[0:1], v[0:1], v[2:3]
	v_add_f64 v[204:205], v[204:205], v[206:207]
	s_waitcnt vmcnt(2)
	v_add_f64 v[0:1], v[192:193], -v[0:1]
	s_waitcnt vmcnt(0)
	v_add_f64 v[2:3], v[190:191], -v[204:205]
	buffer_store_dword v1, off, s[0:3], 0 offset:36
	buffer_store_dword v0, off, s[0:3], 0 offset:32
	;; [unrolled: 1-line block ×4, first 2 shown]
	v_accvgpr_read_b32 v0, a134
	v_cmp_ne_u32_e32 vcc, 0, v0
	s_and_saveexec_b64 s[4:5], vcc
	s_cbranch_execz .LBB108_283
; %bb.282:
	buffer_load_dword v2, off, s[0:3], 0 offset:16
	buffer_load_dword v3, off, s[0:3], 0 offset:20
	;; [unrolled: 1-line block ×4, first 2 shown]
	v_accvgpr_read_b32 v0, a135
	buffer_store_dword v198, off, s[0:3], 0 offset:16
	buffer_store_dword v198, off, s[0:3], 0 offset:20
	;; [unrolled: 1-line block ×4, first 2 shown]
	s_waitcnt vmcnt(4)
	ds_write_b128 v0, v[2:5]
.LBB108_283:
	s_or_b64 exec, exec, s[4:5]
	s_waitcnt lgkmcnt(0)
	; wave barrier
	s_waitcnt lgkmcnt(0)
	buffer_load_dword v90, off, s[0:3], 0 offset:32
	buffer_load_dword v91, off, s[0:3], 0 offset:36
	;; [unrolled: 1-line block ×36, first 2 shown]
	ds_read_b128 v[80:83], v198 offset:736
	ds_read_b128 v[76:79], v198 offset:752
	;; [unrolled: 1-line block ×9, first 2 shown]
	buffer_load_dword v177, off, s[0:3], 0 offset:204
	buffer_load_dword v176, off, s[0:3], 0 offset:200
	;; [unrolled: 1-line block ×19, first 2 shown]
	s_and_b64 vcc, exec, s[16:17]
	s_waitcnt vmcnt(51) lgkmcnt(8)
	v_mul_f64 v[0:1], v[80:81], v[92:93]
	v_fmac_f64_e32 v[0:1], v[82:83], v[90:91]
	v_add_f64 v[0:1], v[0:1], 0
	v_mul_f64 v[82:83], v[82:83], v[92:93]
	s_waitcnt vmcnt(47) lgkmcnt(7)
	v_mul_f64 v[2:3], v[76:77], v[86:87]
	v_fmac_f64_e32 v[2:3], v[78:79], v[84:85]
	s_waitcnt vmcnt(45) lgkmcnt(6)
	v_mul_f64 v[4:5], v[72:73], v[88:89]
	v_add_f64 v[0:1], v[0:1], v[2:3]
	s_waitcnt vmcnt(43) lgkmcnt(4)
	v_mul_f64 v[8:9], v[68:69], v[94:95]
	v_mul_f64 v[78:79], v[78:79], v[86:87]
	s_waitcnt vmcnt(41)
	v_fmac_f64_e32 v[8:9], v[70:71], v[96:97]
	v_fma_f64 v[76:77], v[76:77], v[84:85], -v[78:79]
	s_waitcnt vmcnt(39)
	v_mul_f64 v[6:7], v[48:49], v[98:99]
	v_mul_f64 v[70:71], v[70:71], v[94:95]
	s_waitcnt vmcnt(37) lgkmcnt(2)
	v_mul_f64 v[12:13], v[52:53], v[104:105]
	s_waitcnt vmcnt(35)
	v_fmac_f64_e32 v[12:13], v[54:55], v[106:107]
	v_mul_f64 v[54:55], v[54:55], v[104:105]
	s_waitcnt vmcnt(33)
	v_mul_f64 v[10:11], v[56:57], v[110:111]
	s_waitcnt vmcnt(31) lgkmcnt(1)
	v_mul_f64 v[14:15], v[60:61], v[100:101]
	s_waitcnt vmcnt(29)
	v_fmac_f64_e32 v[4:5], v[74:75], v[150:151]
	v_add_f64 v[0:1], v[0:1], v[4:5]
	s_waitcnt vmcnt(27)
	v_fmac_f64_e32 v[6:7], v[50:51], v[114:115]
	v_add_f64 v[0:1], v[0:1], v[6:7]
	;; [unrolled: 3-line block ×3, first 2 shown]
	v_add_f64 v[0:1], v[0:1], v[10:11]
	v_add_f64 v[0:1], v[0:1], v[12:13]
	buffer_load_dword v186, off, s[0:3], 0 offset:256
	buffer_load_dword v13, off, s[0:3], 0 offset:252
	;; [unrolled: 1-line block ×7, first 2 shown]
	s_waitcnt vmcnt(30)
	v_fmac_f64_e32 v[14:15], v[62:63], v[108:109]
	v_add_f64 v[0:1], v[0:1], v[14:15]
	v_mul_f64 v[74:75], v[74:75], v[88:89]
	v_fma_f64 v[78:79], v[72:73], v[150:151], -v[74:75]
	v_mul_f64 v[50:51], v[50:51], v[98:99]
	v_mul_f64 v[58:59], v[58:59], v[110:111]
	v_fma_f64 v[88:89], v[56:57], v[112:113], -v[58:59]
	v_mul_f64 v[62:63], v[62:63], v[100:101]
	s_waitcnt vmcnt(0)
	v_pk_mov_b32 v[20:21], v[2:3], v[2:3] op_sel:[0,1]
	buffer_load_dword v3, off, s[0:3], 0 offset:292
	buffer_load_dword v2, off, s[0:3], 0 offset:288
	v_accvgpr_write_b32 a139, v21
	v_accvgpr_write_b32 a138, v20
	s_waitcnt vmcnt(0)
	v_pk_mov_b32 v[22:23], v[2:3], v[2:3] op_sel:[0,1]
	buffer_load_dword v3, off, s[0:3], 0 offset:284
	buffer_load_dword v2, off, s[0:3], 0 offset:280
	v_accvgpr_write_b32 a141, v23
	v_accvgpr_write_b32 a140, v22
	;; [unrolled: 6-line block ×5, first 2 shown]
	s_waitcnt vmcnt(0)
	v_pk_mov_b32 v[26:27], v[2:3], v[2:3] op_sel:[0,1]
	buffer_load_dword v231, off, s[0:3], 0 offset:316
	buffer_load_dword v230, off, s[0:3], 0 offset:312
	;; [unrolled: 1-line block ×6, first 2 shown]
	v_accvgpr_write_b32 a145, v27
	v_accvgpr_write_b32 a144, v26
	s_waitcnt vmcnt(0)
	v_pk_mov_b32 v[30:31], v[2:3], v[2:3] op_sel:[0,1]
	buffer_load_dword v3, off, s[0:3], 0 offset:356
	buffer_load_dword v2, off, s[0:3], 0 offset:352
	v_accvgpr_write_b32 a147, v31
	v_accvgpr_write_b32 a146, v30
	s_waitcnt vmcnt(0)
	v_pk_mov_b32 v[32:33], v[2:3], v[2:3] op_sel:[0,1]
	buffer_load_dword v239, off, s[0:3], 0 offset:348
	buffer_load_dword v238, off, s[0:3], 0 offset:344
	;; [unrolled: 1-line block ×6, first 2 shown]
	v_accvgpr_write_b32 a149, v33
	v_accvgpr_write_b32 a148, v32
	s_waitcnt vmcnt(0)
	v_pk_mov_b32 v[38:39], v[2:3], v[2:3] op_sel:[0,1]
	buffer_load_dword v3, off, s[0:3], 0 offset:388
	buffer_load_dword v2, off, s[0:3], 0 offset:384
	buffer_load_dword v247, off, s[0:3], 0 offset:380
	buffer_load_dword v246, off, s[0:3], 0 offset:376
	buffer_load_dword v249, off, s[0:3], 0 offset:372
	buffer_load_dword v248, off, s[0:3], 0 offset:368
	buffer_load_dword v19, off, s[0:3], 0 offset:428
	buffer_load_dword v18, off, s[0:3], 0 offset:424
	buffer_load_dword v229, off, s[0:3], 0 offset:420
	buffer_load_dword v228, off, s[0:3], 0 offset:416
	buffer_load_dword v251, off, s[0:3], 0 offset:412
	buffer_load_dword v250, off, s[0:3], 0 offset:408
	buffer_load_dword v253, off, s[0:3], 0 offset:404
	buffer_load_dword v252, off, s[0:3], 0 offset:400
	buffer_load_dword v233, off, s[0:3], 0 offset:460
	buffer_load_dword v232, off, s[0:3], 0 offset:456
	buffer_load_dword v237, off, s[0:3], 0 offset:452
	buffer_load_dword v236, off, s[0:3], 0 offset:448
	buffer_load_dword v255, off, s[0:3], 0 offset:444
	buffer_load_dword v254, off, s[0:3], 0 offset:440
	buffer_load_dword v223, off, s[0:3], 0 offset:436
	buffer_load_dword v222, off, s[0:3], 0 offset:432
	buffer_load_dword v241, off, s[0:3], 0 offset:492
	buffer_load_dword v240, off, s[0:3], 0 offset:488
	buffer_load_dword v245, off, s[0:3], 0 offset:484
	buffer_load_dword v244, off, s[0:3], 0 offset:480
	buffer_load_dword v221, off, s[0:3], 0 offset:476
	buffer_load_dword v220, off, s[0:3], 0 offset:472
	buffer_load_dword v197, off, s[0:3], 0 offset:468
	buffer_load_dword v196, off, s[0:3], 0 offset:464
	ds_read_b128 v[200:203], v198 offset:880
	ds_read_b128 v[204:207], v198 offset:896
	ds_read_b128 v[116:119], v198 offset:912
	ds_read_b128 v[216:219], v198 offset:976
	ds_read_b128 v[212:215], v198 offset:992
	ds_read_b128 v[208:211], v198 offset:1008
	ds_read_b128 v[120:123], v198 offset:1024
	ds_read_b128 v[224:227], v198 offset:1040
	v_accvgpr_write_b32 a151, v39
	v_accvgpr_write_b32 a150, v38
	s_waitcnt lgkmcnt(7)
	v_mul_f64 v[72:73], v[202:203], v[180:181]
	s_waitcnt lgkmcnt(6)
	v_mul_f64 v[86:87], v[206:207], v[176:177]
	v_fma_f64 v[100:101], v[204:205], v[178:179], -v[86:87]
	s_waitcnt vmcnt(28)
	v_pk_mov_b32 v[40:41], v[2:3], v[2:3] op_sel:[0,1]
	v_mul_f64 v[2:3], v[64:65], v[102:103]
	v_fmac_f64_e32 v[2:3], v[66:67], v[174:175]
	v_add_f64 v[0:1], v[0:1], v[2:3]
	v_mul_f64 v[2:3], v[200:201], v[180:181]
	v_fmac_f64_e32 v[2:3], v[202:203], v[182:183]
	v_add_f64 v[0:1], v[0:1], v[2:3]
	;; [unrolled: 3-line block ×3, first 2 shown]
	ds_read_b128 v[0:3], v198 offset:928
	s_waitcnt lgkmcnt(6)
	v_mul_f64 v[6:7], v[116:117], v[192:193]
	v_fmac_f64_e32 v[6:7], v[118:119], v[194:195]
	v_add_f64 v[8:9], v[4:5], v[6:7]
	ds_read_b128 v[4:7], v198 offset:944
	s_waitcnt lgkmcnt(1)
	v_mul_f64 v[10:11], v[0:1], v[188:189]
	v_fmac_f64_e32 v[10:11], v[2:3], v[190:191]
	v_add_f64 v[14:15], v[8:9], v[10:11]
	;; [unrolled: 5-line block ×3, first 2 shown]
	v_accvgpr_write_b32 a153, v41
	s_waitcnt lgkmcnt(0)
	v_mul_f64 v[16:17], v[8:9], v[184:185]
	v_fmac_f64_e32 v[16:17], v[10:11], v[186:187]
	v_add_f64 v[14:15], v[14:15], v[16:17]
	v_mul_f64 v[16:17], v[216:217], v[28:29]
	v_fmac_f64_e32 v[16:17], v[218:219], v[34:35]
	v_add_f64 v[14:15], v[14:15], v[16:17]
	v_mul_f64 v[16:17], v[212:213], v[20:21]
	v_fmac_f64_e32 v[16:17], v[214:215], v[22:23]
	v_add_f64 v[14:15], v[14:15], v[16:17]
	v_mul_f64 v[16:17], v[208:209], v[230:231]
	v_fmac_f64_e32 v[16:17], v[210:211], v[234:235]
	v_mul_f64 v[20:21], v[120:121], v[24:25]
	v_add_f64 v[14:15], v[14:15], v[16:17]
	v_fmac_f64_e32 v[20:21], v[122:123], v[26:27]
	v_add_f64 v[14:15], v[14:15], v[20:21]
	ds_read_b128 v[20:23], v198 offset:1056
	v_mul_f64 v[24:25], v[224:225], v[238:239]
	v_fmac_f64_e32 v[24:25], v[226:227], v[242:243]
	v_add_f64 v[14:15], v[14:15], v[24:25]
	ds_read_b128 v[24:27], v198 offset:1072
	s_waitcnt lgkmcnt(1)
	v_mul_f64 v[28:29], v[20:21], v[30:31]
	v_fmac_f64_e32 v[28:29], v[22:23], v[32:33]
	v_add_f64 v[14:15], v[14:15], v[28:29]
	ds_read_b128 v[28:31], v198 offset:1088
	s_waitcnt vmcnt(26) lgkmcnt(1)
	v_mul_f64 v[32:33], v[24:25], v[246:247]
	s_waitcnt vmcnt(24)
	v_fmac_f64_e32 v[32:33], v[26:27], v[248:249]
	v_add_f64 v[14:15], v[14:15], v[32:33]
	ds_read_b128 v[32:35], v198 offset:1104
	s_waitcnt lgkmcnt(1)
	v_mul_f64 v[36:37], v[28:29], v[38:39]
	v_fmac_f64_e32 v[36:37], v[30:31], v[40:41]
	v_add_f64 v[14:15], v[14:15], v[36:37]
	ds_read_b128 v[36:39], v198 offset:1120
	v_accvgpr_write_b32 a152, v40
	s_waitcnt vmcnt(18) lgkmcnt(1)
	v_mul_f64 v[40:41], v[32:33], v[250:251]
	s_waitcnt vmcnt(16)
	v_fmac_f64_e32 v[40:41], v[34:35], v[252:253]
	v_add_f64 v[14:15], v[14:15], v[40:41]
	ds_read_b128 v[40:43], v198 offset:1136
	s_waitcnt lgkmcnt(1)
	v_mul_f64 v[44:45], v[36:37], v[18:19]
	buffer_load_dword v125, off, s[0:3], 0 offset:508
	buffer_load_dword v124, off, s[0:3], 0 offset:504
	;; [unrolled: 1-line block ×4, first 2 shown]
	v_fmac_f64_e32 v[44:45], v[38:39], v[228:229]
	v_add_f64 v[130:131], v[14:15], v[44:45]
	ds_read_b128 v[44:47], v198 offset:1152
	buffer_load_dword v133, off, s[0:3], 0 offset:524
	buffer_load_dword v132, off, s[0:3], 0 offset:520
	;; [unrolled: 1-line block ×4, first 2 shown]
	s_waitcnt vmcnt(18) lgkmcnt(1)
	v_mul_f64 v[136:137], v[40:41], v[254:255]
	s_waitcnt vmcnt(16)
	v_fmac_f64_e32 v[136:137], v[42:43], v[222:223]
	v_add_f64 v[14:15], v[130:131], v[136:137]
	buffer_load_dword v131, off, s[0:3], 0 offset:556
	buffer_load_dword v139, off, s[0:3], 0 offset:540
	;; [unrolled: 1-line block ×28, first 2 shown]
	v_fma_f64 v[16:17], v[80:81], v[90:91], -v[82:83]
	v_fma_f64 v[80:81], v[48:49], v[114:115], -v[50:51]
	ds_read_b128 v[48:51], v198 offset:1168
	buffer_load_dword v165, off, s[0:3], 0 offset:652
	buffer_load_dword v164, off, s[0:3], 0 offset:648
	;; [unrolled: 1-line block ×12, first 2 shown]
	v_fma_f64 v[90:91], v[52:53], v[106:107], -v[54:55]
	ds_read_b128 v[52:55], v198 offset:1184
	s_waitcnt lgkmcnt(2)
	v_mul_f64 v[56:57], v[44:45], v[232:233]
	v_fmac_f64_e32 v[56:57], v[46:47], v[236:237]
	v_add_f64 v[14:15], v[14:15], v[56:57]
	s_waitcnt vmcnt(50) lgkmcnt(1)
	v_mul_f64 v[56:57], v[48:49], v[220:221]
	s_waitcnt vmcnt(48)
	v_fmac_f64_e32 v[56:57], v[50:51], v[196:197]
	v_fma_f64 v[82:83], v[68:69], v[96:97], -v[70:71]
	v_add_f64 v[14:15], v[14:15], v[56:57]
	v_fma_f64 v[96:97], v[60:61], v[108:109], -v[62:63]
	ds_read_b128 v[60:63], v198 offset:1216
	s_waitcnt lgkmcnt(1)
	v_mul_f64 v[56:57], v[52:53], v[240:241]
	v_fmac_f64_e32 v[56:57], v[54:55], v[244:245]
	v_add_f64 v[14:15], v[14:15], v[56:57]
	ds_read_b128 v[56:59], v198 offset:1200
	v_mul_f64 v[66:67], v[66:67], v[102:103]
	v_fma_f64 v[98:99], v[64:65], v[174:175], -v[66:67]
	ds_read_b128 v[64:67], v198 offset:1232
	v_fma_f64 v[182:183], v[200:201], v[182:183], -v[72:73]
	ds_read_b128 v[200:203], v198 offset:1280
	ds_read_b128 v[204:207], v198 offset:1296
	v_mul_f64 v[2:3], v[2:3], v[188:189]
	v_mul_f64 v[6:7], v[6:7], v[12:13]
	;; [unrolled: 1-line block ×3, first 2 shown]
	ds_read_b128 v[72:75], v198 offset:1264
	s_waitcnt vmcnt(46) lgkmcnt(4)
	v_mul_f64 v[68:69], v[56:57], v[124:125]
	s_waitcnt vmcnt(44)
	v_fmac_f64_e32 v[68:69], v[58:59], v[128:129]
	v_add_f64 v[14:15], v[14:15], v[68:69]
	s_waitcnt vmcnt(42)
	v_mul_f64 v[68:69], v[60:61], v[132:133]
	s_waitcnt vmcnt(37) lgkmcnt(3)
	v_mul_f64 v[84:85], v[64:65], v[138:139]
	v_fmac_f64_e32 v[68:69], v[62:63], v[134:135]
	v_add_f64 v[14:15], v[14:15], v[68:69]
	ds_read_b128 v[68:71], v198 offset:1248
	s_waitcnt vmcnt(35)
	v_fmac_f64_e32 v[84:85], v[66:67], v[142:143]
	v_add_f64 v[14:15], v[14:15], v[84:85]
	s_waitcnt vmcnt(22) lgkmcnt(2)
	v_mul_f64 v[92:93], v[204:205], v[150:151]
	s_waitcnt vmcnt(20)
	v_fmac_f64_e32 v[92:93], v[206:207], v[152:153]
	s_waitcnt lgkmcnt(0)
	v_mul_f64 v[84:85], v[68:69], v[130:131]
	v_fmac_f64_e32 v[84:85], v[70:71], v[140:141]
	v_add_f64 v[14:15], v[14:15], v[84:85]
	v_mul_f64 v[84:85], v[72:73], v[146:147]
	v_fmac_f64_e32 v[84:85], v[74:75], v[148:149]
	v_add_f64 v[14:15], v[14:15], v[84:85]
	;; [unrolled: 3-line block ×3, first 2 shown]
	v_mul_f64 v[84:85], v[118:119], v[192:193]
	v_fma_f64 v[102:103], v[116:117], v[194:195], -v[84:85]
	ds_read_b128 v[84:87], v198 offset:1312
	v_fma_f64 v[116:117], v[0:1], v[190:191], -v[2:3]
	ds_read_b128 v[0:3], v198 offset:1328
	v_add_f64 v[14:15], v[14:15], v[92:93]
	v_fma_f64 v[192:193], v[4:5], v[126:127], -v[6:7]
	s_waitcnt vmcnt(18) lgkmcnt(1)
	v_mul_f64 v[92:93], v[84:85], v[154:155]
	s_waitcnt vmcnt(16)
	v_fmac_f64_e32 v[92:93], v[86:87], v[158:159]
	v_add_f64 v[14:15], v[14:15], v[92:93]
	s_waitcnt vmcnt(14) lgkmcnt(0)
	v_mul_f64 v[92:93], v[0:1], v[156:157]
	s_waitcnt vmcnt(12)
	v_fmac_f64_e32 v[92:93], v[2:3], v[160:161]
	v_add_f64 v[14:15], v[14:15], v[92:93]
	ds_read_b128 v[92:95], v198 offset:1344
	ds_read_b128 v[4:7], v198 offset:1360
	v_fma_f64 v[194:195], v[8:9], v[186:187], -v[10:11]
	ds_read_b128 v[10:13], v198 offset:1376
	buffer_load_dword v175, off, s[0:3], 0 offset:700
	buffer_load_dword v174, off, s[0:3], 0 offset:696
	;; [unrolled: 1-line block ×4, first 2 shown]
	s_waitcnt vmcnt(14) lgkmcnt(2)
	v_mul_f64 v[104:105], v[92:93], v[164:165]
	s_waitcnt vmcnt(12)
	v_fmac_f64_e32 v[104:105], v[94:95], v[166:167]
	v_add_f64 v[8:9], v[14:15], v[104:105]
	ds_read_b128 v[104:107], v198 offset:1392
	buffer_load_dword v178, off, s[0:3], 0 offset:712
	buffer_load_dword v179, off, s[0:3], 0 offset:716
	;; [unrolled: 1-line block ×4, first 2 shown]
	ds_read_b128 v[108:111], v198 offset:1408
	buffer_load_dword v185, off, s[0:3], 0 offset:732
	buffer_load_dword v184, off, s[0:3], 0 offset:728
	;; [unrolled: 1-line block ×4, first 2 shown]
	s_waitcnt vmcnt(17) lgkmcnt(3)
	v_mul_f64 v[14:15], v[4:5], v[170:171]
	s_waitcnt vmcnt(15)
	v_fmac_f64_e32 v[14:15], v[6:7], v[172:173]
	v_add_f64 v[8:9], v[8:9], v[14:15]
	s_waitcnt vmcnt(13) lgkmcnt(2)
	v_mul_f64 v[14:15], v[10:11], v[162:163]
	s_waitcnt vmcnt(12)
	v_fmac_f64_e32 v[14:15], v[12:13], v[168:169]
	ds_read_b128 v[112:115], v198 offset:1424
	v_add_f64 v[8:9], v[8:9], v[14:15]
	buffer_load_dword v190, off, s[0:3], 0 offset:16
	buffer_load_dword v191, off, s[0:3], 0 offset:20
	;; [unrolled: 1-line block ×4, first 2 shown]
	v_mul_f64 v[2:3], v[2:3], v[156:157]
	v_fma_f64 v[0:1], v[0:1], v[160:161], -v[2:3]
	v_mul_f64 v[2:3], v[94:95], v[164:165]
	v_fma_f64 v[2:3], v[92:93], v[166:167], -v[2:3]
	s_waitcnt vmcnt(14) lgkmcnt(2)
	v_mul_f64 v[14:15], v[104:105], v[174:175]
	s_waitcnt vmcnt(12)
	v_fmac_f64_e32 v[14:15], v[106:107], v[176:177]
	v_add_f64 v[8:9], v[8:9], v[14:15]
	s_waitcnt vmcnt(10) lgkmcnt(1)
	v_mul_f64 v[14:15], v[108:109], v[178:179]
	s_waitcnt vmcnt(8)
	v_fmac_f64_e32 v[14:15], v[110:111], v[180:181]
	v_add_f64 v[8:9], v[8:9], v[14:15]
	;; [unrolled: 5-line block ×3, first 2 shown]
	v_add_f64 v[14:15], v[16:17], 0
	v_add_f64 v[14:15], v[14:15], v[76:77]
	;; [unrolled: 1-line block ×12, first 2 shown]
	v_accvgpr_read_b32 v16, a134
	v_add_f64 v[116:117], v[14:15], v[116:117]
	v_accvgpr_read_b32 v17, a135
	v_accvgpr_read_b32 v76, a136
	v_add_f64 v[14:15], v[116:117], v[192:193]
	v_mul_f64 v[16:17], v[218:219], v[16:17]
	v_accvgpr_read_b32 v77, a137
	v_add_f64 v[14:15], v[14:15], v[194:195]
	v_fma_f64 v[16:17], v[216:217], v[76:77], -v[16:17]
	v_add_f64 v[14:15], v[14:15], v[16:17]
	v_accvgpr_read_b32 v16, a138
	v_accvgpr_read_b32 v17, a139
	;; [unrolled: 1-line block ×3, first 2 shown]
	v_mul_f64 v[16:17], v[214:215], v[16:17]
	v_accvgpr_read_b32 v77, a141
	v_fma_f64 v[16:17], v[212:213], v[76:77], -v[16:17]
	v_add_f64 v[14:15], v[14:15], v[16:17]
	v_mul_f64 v[16:17], v[210:211], v[230:231]
	v_fma_f64 v[16:17], v[208:209], v[234:235], -v[16:17]
	v_add_f64 v[14:15], v[14:15], v[16:17]
	v_accvgpr_read_b32 v16, a142
	v_accvgpr_read_b32 v17, a143
	;; [unrolled: 1-line block ×3, first 2 shown]
	v_mul_f64 v[16:17], v[122:123], v[16:17]
	v_accvgpr_read_b32 v77, a145
	v_fma_f64 v[16:17], v[120:121], v[76:77], -v[16:17]
	v_add_f64 v[14:15], v[14:15], v[16:17]
	v_mul_f64 v[16:17], v[226:227], v[238:239]
	v_fma_f64 v[16:17], v[224:225], v[242:243], -v[16:17]
	v_add_f64 v[14:15], v[14:15], v[16:17]
	v_accvgpr_read_b32 v16, a146
	v_accvgpr_read_b32 v17, a147
	v_mul_f64 v[16:17], v[22:23], v[16:17]
	v_accvgpr_read_b32 v22, a148
	v_accvgpr_read_b32 v23, a149
	v_fma_f64 v[16:17], v[20:21], v[22:23], -v[16:17]
	v_add_f64 v[14:15], v[14:15], v[16:17]
	v_mul_f64 v[16:17], v[26:27], v[246:247]
	v_fma_f64 v[16:17], v[24:25], v[248:249], -v[16:17]
	v_add_f64 v[14:15], v[14:15], v[16:17]
	v_accvgpr_read_b32 v16, a150
	v_accvgpr_read_b32 v17, a151
	;; [unrolled: 1-line block ×3, first 2 shown]
	v_mul_f64 v[16:17], v[30:31], v[16:17]
	v_accvgpr_read_b32 v21, a153
	v_fma_f64 v[16:17], v[28:29], v[20:21], -v[16:17]
	v_add_f64 v[14:15], v[14:15], v[16:17]
	v_mul_f64 v[16:17], v[34:35], v[250:251]
	v_fma_f64 v[16:17], v[32:33], v[252:253], -v[16:17]
	v_add_f64 v[14:15], v[14:15], v[16:17]
	v_mul_f64 v[16:17], v[38:39], v[18:19]
	;; [unrolled: 3-line block ×14, first 2 shown]
	v_fma_f64 v[16:17], v[84:85], v[158:159], -v[16:17]
	v_add_f64 v[14:15], v[14:15], v[16:17]
	v_add_f64 v[0:1], v[14:15], v[0:1]
	;; [unrolled: 1-line block ×3, first 2 shown]
	v_mul_f64 v[2:3], v[6:7], v[170:171]
	v_fma_f64 v[2:3], v[4:5], v[172:173], -v[2:3]
	v_add_f64 v[0:1], v[0:1], v[2:3]
	v_mul_f64 v[2:3], v[12:13], v[162:163]
	v_fma_f64 v[2:3], v[10:11], v[168:169], -v[2:3]
	v_add_f64 v[0:1], v[0:1], v[2:3]
	;; [unrolled: 3-line block ×5, first 2 shown]
	s_waitcnt vmcnt(2)
	v_add_f64 v[0:1], v[190:191], -v[0:1]
	s_waitcnt vmcnt(0)
	v_add_f64 v[2:3], v[188:189], -v[8:9]
	buffer_store_dword v1, off, s[0:3], 0 offset:20
	buffer_store_dword v0, off, s[0:3], 0 offset:16
	;; [unrolled: 1-line block ×4, first 2 shown]
	s_cbranch_vccz .LBB108_373
; %bb.284:
	v_pk_mov_b32 v[0:1], s[10:11], s[10:11] op_sel:[0,1]
	flat_load_dword v0, v[0:1] offset:172
	s_waitcnt vmcnt(0) lgkmcnt(0)
	v_add_u32_e32 v0, -1, v0
	v_cmp_ne_u32_e32 vcc, 43, v0
	s_and_saveexec_b64 s[4:5], vcc
	s_cbranch_execz .LBB108_286
; %bb.285:
	v_mov_b32_e32 v1, 16
	v_accvgpr_read_b32 v9, a91
	v_lshl_add_u32 v0, v0, 4, v1
	buffer_load_dword v1, v9, s[0:3], 0 offen offset:4
	buffer_load_dword v2, v9, s[0:3], 0 offen offset:8
	buffer_load_dword v3, v9, s[0:3], 0 offen offset:12
	buffer_load_dword v4, v0, s[0:3], 0 offen
	buffer_load_dword v5, v0, s[0:3], 0 offen offset:4
	buffer_load_dword v6, v0, s[0:3], 0 offen offset:8
	buffer_load_dword v7, v0, s[0:3], 0 offen offset:12
	buffer_load_dword v8, v9, s[0:3], 0 offen
	s_waitcnt vmcnt(4)
	buffer_store_dword v4, v9, s[0:3], 0 offen
	s_waitcnt vmcnt(4)
	buffer_store_dword v5, v9, s[0:3], 0 offen offset:4
	s_waitcnt vmcnt(4)
	buffer_store_dword v6, v9, s[0:3], 0 offen offset:8
	s_waitcnt vmcnt(4)
	buffer_store_dword v7, v9, s[0:3], 0 offen offset:12
	buffer_store_dword v3, v0, s[0:3], 0 offen offset:12
	buffer_store_dword v2, v0, s[0:3], 0 offen offset:8
	buffer_store_dword v1, v0, s[0:3], 0 offen offset:4
	s_waitcnt vmcnt(7)
	buffer_store_dword v8, v0, s[0:3], 0 offen
.LBB108_286:
	s_or_b64 exec, exec, s[4:5]
	v_pk_mov_b32 v[0:1], s[10:11], s[10:11] op_sel:[0,1]
	flat_load_dword v0, v[0:1] offset:168
	s_waitcnt vmcnt(0) lgkmcnt(0)
	v_add_u32_e32 v0, -1, v0
	v_cmp_ne_u32_e32 vcc, 42, v0
	s_and_saveexec_b64 s[4:5], vcc
	s_cbranch_execz .LBB108_288
; %bb.287:
	v_mov_b32_e32 v1, 16
	v_accvgpr_read_b32 v9, a92
	v_lshl_add_u32 v0, v0, 4, v1
	buffer_load_dword v1, v9, s[0:3], 0 offen offset:4
	buffer_load_dword v2, v9, s[0:3], 0 offen offset:8
	buffer_load_dword v3, v9, s[0:3], 0 offen offset:12
	buffer_load_dword v4, v0, s[0:3], 0 offen
	buffer_load_dword v5, v0, s[0:3], 0 offen offset:4
	buffer_load_dword v6, v0, s[0:3], 0 offen offset:8
	buffer_load_dword v7, v0, s[0:3], 0 offen offset:12
	buffer_load_dword v8, v9, s[0:3], 0 offen
	s_waitcnt vmcnt(4)
	buffer_store_dword v4, v9, s[0:3], 0 offen
	s_waitcnt vmcnt(4)
	buffer_store_dword v5, v9, s[0:3], 0 offen offset:4
	s_waitcnt vmcnt(4)
	buffer_store_dword v6, v9, s[0:3], 0 offen offset:8
	s_waitcnt vmcnt(4)
	buffer_store_dword v7, v9, s[0:3], 0 offen offset:12
	buffer_store_dword v3, v0, s[0:3], 0 offen offset:12
	buffer_store_dword v2, v0, s[0:3], 0 offen offset:8
	buffer_store_dword v1, v0, s[0:3], 0 offen offset:4
	s_waitcnt vmcnt(7)
	buffer_store_dword v8, v0, s[0:3], 0 offen
.LBB108_288:
	s_or_b64 exec, exec, s[4:5]
	;; [unrolled: 34-line block ×43, first 2 shown]
	v_pk_mov_b32 v[0:1], s[10:11], s[10:11] op_sel:[0,1]
	flat_load_dword v0, v[0:1]
	s_waitcnt vmcnt(0) lgkmcnt(0)
	v_add_u32_e32 v0, -1, v0
	v_cmp_ne_u32_e32 vcc, 0, v0
	s_and_saveexec_b64 s[4:5], vcc
	s_cbranch_execz .LBB108_372
; %bb.371:
	v_mov_b32_e32 v1, 16
	v_lshl_add_u32 v0, v0, 4, v1
	buffer_load_dword v1, v0, s[0:3], 0 offen
	buffer_load_dword v2, v0, s[0:3], 0 offen offset:4
	buffer_load_dword v3, v0, s[0:3], 0 offen offset:8
	;; [unrolled: 1-line block ×3, first 2 shown]
	buffer_load_dword v5, off, s[0:3], 0 offset:28
	buffer_load_dword v6, off, s[0:3], 0 offset:24
	;; [unrolled: 1-line block ×4, first 2 shown]
	s_waitcnt vmcnt(7)
	buffer_store_dword v1, off, s[0:3], 0 offset:16
	s_waitcnt vmcnt(7)
	buffer_store_dword v2, off, s[0:3], 0 offset:20
	;; [unrolled: 2-line block ×4, first 2 shown]
	s_waitcnt vmcnt(7)
	buffer_store_dword v5, v0, s[0:3], 0 offen offset:12
	s_waitcnt vmcnt(7)
	buffer_store_dword v6, v0, s[0:3], 0 offen offset:8
	;; [unrolled: 2-line block ×3, first 2 shown]
	s_waitcnt vmcnt(7)
	buffer_store_dword v8, v0, s[0:3], 0 offen
.LBB108_372:
	s_or_b64 exec, exec, s[4:5]
.LBB108_373:
	buffer_load_dword v0, off, s[0:3], 0 offset:16
	buffer_load_dword v1, off, s[0:3], 0 offset:20
	;; [unrolled: 1-line block ×4, first 2 shown]
	v_accvgpr_read_b32 v5, a1
	v_accvgpr_read_b32 v4, a0
	s_waitcnt vmcnt(0)
	global_store_dwordx4 v[4:5], v[0:3], off
	s_nop 0
	v_accvgpr_read_b32 v3, a133
	buffer_load_dword v0, v3, s[0:3], 0 offen
	buffer_load_dword v1, v3, s[0:3], 0 offen offset:4
	buffer_load_dword v2, v3, s[0:3], 0 offen offset:8
	s_nop 0
	buffer_load_dword v3, v3, s[0:3], 0 offen offset:12
	v_accvgpr_read_b32 v5, a3
	v_accvgpr_read_b32 v4, a2
	s_waitcnt vmcnt(0)
	global_store_dwordx4 v[4:5], v[0:3], off
	s_nop 0
	v_accvgpr_read_b32 v3, a132
	buffer_load_dword v0, v3, s[0:3], 0 offen
	buffer_load_dword v1, v3, s[0:3], 0 offen offset:4
	buffer_load_dword v2, v3, s[0:3], 0 offen offset:8
	s_nop 0
	buffer_load_dword v3, v3, s[0:3], 0 offen offset:12
	;; [unrolled: 11-line block ×3, first 2 shown]
	v_accvgpr_read_b32 v4, a6
	v_accvgpr_read_b32 v5, a7
	s_waitcnt vmcnt(0)
	global_store_dwordx4 v[4:5], v[0:3], off
	v_accvgpr_read_b32 v4, a130
	buffer_load_dword v0, v4, s[0:3], 0 offen
	buffer_load_dword v1, v4, s[0:3], 0 offen offset:4
	buffer_load_dword v2, v4, s[0:3], 0 offen offset:8
	buffer_load_dword v3, v4, s[0:3], 0 offen offset:12
	v_accvgpr_read_b32 v4, a14
	v_accvgpr_read_b32 v5, a15
	s_waitcnt vmcnt(0)
	global_store_dwordx4 v[4:5], v[0:3], off
	v_accvgpr_read_b32 v4, a129
	buffer_load_dword v0, v4, s[0:3], 0 offen
	buffer_load_dword v1, v4, s[0:3], 0 offen offset:4
	buffer_load_dword v2, v4, s[0:3], 0 offen offset:8
	buffer_load_dword v3, v4, s[0:3], 0 offen offset:12
	;; [unrolled: 9-line block ×41, first 2 shown]
	v_accvgpr_read_b32 v4, a50
	v_accvgpr_read_b32 v5, a51
	s_waitcnt vmcnt(0)
	global_store_dwordx4 v[4:5], v[0:3], off
	s_endpgm
	.section	.rodata,"a",@progbits
	.p2align	6, 0x0
	.amdhsa_kernel _ZN9rocsolver6v33100L18getri_kernel_smallILi45E19rocblas_complex_numIdEPKPS3_EEvT1_iilPiilS8_bb
		.amdhsa_group_segment_fixed_size 1448
		.amdhsa_private_segment_fixed_size 752
		.amdhsa_kernarg_size 60
		.amdhsa_user_sgpr_count 8
		.amdhsa_user_sgpr_private_segment_buffer 1
		.amdhsa_user_sgpr_dispatch_ptr 0
		.amdhsa_user_sgpr_queue_ptr 0
		.amdhsa_user_sgpr_kernarg_segment_ptr 1
		.amdhsa_user_sgpr_dispatch_id 0
		.amdhsa_user_sgpr_flat_scratch_init 1
		.amdhsa_user_sgpr_kernarg_preload_length 0
		.amdhsa_user_sgpr_kernarg_preload_offset 0
		.amdhsa_user_sgpr_private_segment_size 0
		.amdhsa_uses_dynamic_stack 0
		.amdhsa_system_sgpr_private_segment_wavefront_offset 1
		.amdhsa_system_sgpr_workgroup_id_x 1
		.amdhsa_system_sgpr_workgroup_id_y 0
		.amdhsa_system_sgpr_workgroup_id_z 0
		.amdhsa_system_sgpr_workgroup_info 0
		.amdhsa_system_vgpr_workitem_id 0
		.amdhsa_next_free_vgpr 410
		.amdhsa_next_free_sgpr 22
		.amdhsa_accum_offset 256
		.amdhsa_reserve_vcc 1
		.amdhsa_reserve_flat_scratch 1
		.amdhsa_float_round_mode_32 0
		.amdhsa_float_round_mode_16_64 0
		.amdhsa_float_denorm_mode_32 3
		.amdhsa_float_denorm_mode_16_64 3
		.amdhsa_dx10_clamp 1
		.amdhsa_ieee_mode 1
		.amdhsa_fp16_overflow 0
		.amdhsa_tg_split 0
		.amdhsa_exception_fp_ieee_invalid_op 0
		.amdhsa_exception_fp_denorm_src 0
		.amdhsa_exception_fp_ieee_div_zero 0
		.amdhsa_exception_fp_ieee_overflow 0
		.amdhsa_exception_fp_ieee_underflow 0
		.amdhsa_exception_fp_ieee_inexact 0
		.amdhsa_exception_int_div_zero 0
	.end_amdhsa_kernel
	.section	.text._ZN9rocsolver6v33100L18getri_kernel_smallILi45E19rocblas_complex_numIdEPKPS3_EEvT1_iilPiilS8_bb,"axG",@progbits,_ZN9rocsolver6v33100L18getri_kernel_smallILi45E19rocblas_complex_numIdEPKPS3_EEvT1_iilPiilS8_bb,comdat
.Lfunc_end108:
	.size	_ZN9rocsolver6v33100L18getri_kernel_smallILi45E19rocblas_complex_numIdEPKPS3_EEvT1_iilPiilS8_bb, .Lfunc_end108-_ZN9rocsolver6v33100L18getri_kernel_smallILi45E19rocblas_complex_numIdEPKPS3_EEvT1_iilPiilS8_bb
                                        ; -- End function
	.section	.AMDGPU.csdata,"",@progbits
; Kernel info:
; codeLenInByte = 130844
; NumSgprs: 28
; NumVgprs: 256
; NumAgprs: 154
; TotalNumVgprs: 410
; ScratchSize: 752
; MemoryBound: 0
; FloatMode: 240
; IeeeMode: 1
; LDSByteSize: 1448 bytes/workgroup (compile time only)
; SGPRBlocks: 3
; VGPRBlocks: 51
; NumSGPRsForWavesPerEU: 28
; NumVGPRsForWavesPerEU: 410
; AccumOffset: 256
; Occupancy: 1
; WaveLimiterHint : 1
; COMPUTE_PGM_RSRC2:SCRATCH_EN: 1
; COMPUTE_PGM_RSRC2:USER_SGPR: 8
; COMPUTE_PGM_RSRC2:TRAP_HANDLER: 0
; COMPUTE_PGM_RSRC2:TGID_X_EN: 1
; COMPUTE_PGM_RSRC2:TGID_Y_EN: 0
; COMPUTE_PGM_RSRC2:TGID_Z_EN: 0
; COMPUTE_PGM_RSRC2:TIDIG_COMP_CNT: 0
; COMPUTE_PGM_RSRC3_GFX90A:ACCUM_OFFSET: 63
; COMPUTE_PGM_RSRC3_GFX90A:TG_SPLIT: 0
	.section	.text._ZN9rocsolver6v33100L18getri_kernel_smallILi46E19rocblas_complex_numIdEPKPS3_EEvT1_iilPiilS8_bb,"axG",@progbits,_ZN9rocsolver6v33100L18getri_kernel_smallILi46E19rocblas_complex_numIdEPKPS3_EEvT1_iilPiilS8_bb,comdat
	.globl	_ZN9rocsolver6v33100L18getri_kernel_smallILi46E19rocblas_complex_numIdEPKPS3_EEvT1_iilPiilS8_bb ; -- Begin function _ZN9rocsolver6v33100L18getri_kernel_smallILi46E19rocblas_complex_numIdEPKPS3_EEvT1_iilPiilS8_bb
	.p2align	8
	.type	_ZN9rocsolver6v33100L18getri_kernel_smallILi46E19rocblas_complex_numIdEPKPS3_EEvT1_iilPiilS8_bb,@function
_ZN9rocsolver6v33100L18getri_kernel_smallILi46E19rocblas_complex_numIdEPKPS3_EEvT1_iilPiilS8_bb: ; @_ZN9rocsolver6v33100L18getri_kernel_smallILi46E19rocblas_complex_numIdEPKPS3_EEvT1_iilPiilS8_bb
; %bb.0:
	s_add_u32 flat_scratch_lo, s6, s9
	s_addc_u32 flat_scratch_hi, s7, 0
	s_add_u32 s0, s0, s9
	v_mov_b32_e32 v254, v0
	s_addc_u32 s1, s1, 0
	v_cmp_gt_u32_e32 vcc, 46, v254
	s_and_saveexec_b64 s[6:7], vcc
	s_cbranch_execz .LBB109_198
; %bb.1:
	s_load_dword s18, s[4:5], 0x38
	s_load_dwordx2 s[6:7], s[4:5], 0x0
	s_load_dwordx4 s[12:15], s[4:5], 0x28
	s_waitcnt lgkmcnt(0)
	s_bitcmp1_b32 s18, 8
	s_cselect_b64 s[16:17], -1, 0
	s_ashr_i32 s9, s8, 31
	s_lshl_b64 s[10:11], s[8:9], 3
	s_add_u32 s6, s6, s10
	s_addc_u32 s7, s7, s11
	s_load_dwordx2 s[6:7], s[6:7], 0x0
	s_bfe_u32 s10, s18, 0x10008
	s_cmp_eq_u32 s10, 0
                                        ; implicit-def: $sgpr10_sgpr11
	s_cbranch_scc1 .LBB109_3
; %bb.2:
	s_load_dword s10, s[4:5], 0x20
	s_load_dwordx2 s[20:21], s[4:5], 0x18
	s_mul_i32 s11, s8, s13
	s_mul_hi_u32 s13, s8, s12
	s_add_i32 s13, s13, s11
	s_mul_i32 s19, s9, s12
	s_add_i32 s13, s13, s19
	s_mul_i32 s12, s8, s12
	s_waitcnt lgkmcnt(0)
	s_ashr_i32 s11, s10, 31
	s_lshl_b64 s[12:13], s[12:13], 2
	s_add_u32 s12, s20, s12
	s_addc_u32 s13, s21, s13
	s_lshl_b64 s[10:11], s[10:11], 2
	s_add_u32 s10, s12, s10
	s_addc_u32 s11, s13, s11
.LBB109_3:
	s_load_dwordx2 s[4:5], s[4:5], 0x8
	v_lshlrev_b32_e32 v1, 4, v254
	s_waitcnt lgkmcnt(0)
	s_ashr_i32 s13, s4, 31
	s_mov_b32 s12, s4
	s_lshl_b64 s[12:13], s[12:13], 4
	s_add_u32 s6, s6, s12
	s_addc_u32 s7, s7, s13
	s_add_i32 s4, s5, s5
	v_add_u32_e32 v2, s4, v254
	v_ashrrev_i32_e32 v3, 31, v2
	v_add_u32_e32 v4, s5, v2
	v_lshlrev_b64 v[2:3], 4, v[2:3]
	v_mov_b32_e32 v0, s7
	v_add_co_u32_e32 v2, vcc, s6, v2
	v_addc_co_u32_e32 v3, vcc, v0, v3, vcc
	global_load_dwordx4 v[6:9], v1, s[6:7]
	global_load_dwordx4 v[58:61], v[2:3], off
	v_add_co_u32_e32 v12, vcc, s6, v1
	s_mov_b32 s12, s5
	s_ashr_i32 s13, s5, 31
	v_addc_co_u32_e32 v13, vcc, 0, v0, vcc
	s_lshl_b64 s[12:13], s[12:13], 4
	v_mov_b32_e32 v0, s13
	v_add_co_u32_e32 v10, vcc, s12, v12
	v_addc_co_u32_e32 v11, vcc, v13, v0, vcc
	global_load_dwordx4 v[54:57], v[10:11], off
	v_accvgpr_write_b32 a43, v3
	v_ashrrev_i32_e32 v5, 31, v4
	v_accvgpr_write_b32 a42, v2
	v_lshlrev_b64 v[2:3], 4, v[4:5]
	v_add_u32_e32 v14, s5, v4
	v_mov_b32_e32 v0, s7
	v_add_co_u32_e32 v4, vcc, s6, v2
	v_addc_co_u32_e32 v5, vcc, v0, v3, vcc
	v_ashrrev_i32_e32 v15, 31, v14
	global_load_dwordx4 v[62:65], v[4:5], off
	v_lshlrev_b64 v[2:3], 4, v[14:15]
	v_add_co_u32_e32 v2, vcc, s6, v2
	v_accvgpr_write_b32 a75, v13
	v_accvgpr_write_b32 a69, v11
	v_addc_co_u32_e32 v3, vcc, v0, v3, vcc
	v_accvgpr_write_b32 a74, v12
	v_accvgpr_write_b32 a68, v10
	global_load_dwordx4 v[10:13], v[2:3], off
	v_add_u32_e32 v66, s5, v14
	v_add_u32_e32 v68, s5, v66
	;; [unrolled: 1-line block ×39, first 2 shown]
	v_accvgpr_write_b32 a49, v3
	v_add_u32_e32 v14, s5, v16
	v_accvgpr_write_b32 a48, v2
	v_add_u32_e32 v2, s5, v14
	v_ashrrev_i32_e32 v3, 31, v2
	v_lshlrev_b64 v[2:3], 4, v[2:3]
	v_add_co_u32_e32 v2, vcc, s6, v2
	v_accvgpr_write_b32 a55, v5
	v_addc_co_u32_e32 v3, vcc, v0, v3, vcc
	v_accvgpr_write_b32 a0, v2
	v_ashrrev_i32_e32 v67, 31, v66
	v_accvgpr_write_b32 a54, v4
	v_accvgpr_write_b32 a1, v3
	global_load_dwordx4 v[2:5], v[2:3], off
	s_waitcnt vmcnt(5)
	buffer_store_dword v9, off, s[0:3], 0 offset:28
	buffer_store_dword v8, off, s[0:3], 0 offset:24
	;; [unrolled: 1-line block ×4, first 2 shown]
	s_waitcnt vmcnt(7)
	buffer_store_dword v57, off, s[0:3], 0 offset:44
	buffer_store_dword v56, off, s[0:3], 0 offset:40
	;; [unrolled: 1-line block ×8, first 2 shown]
	s_waitcnt vmcnt(14)
	buffer_store_dword v65, off, s[0:3], 0 offset:76
	buffer_store_dword v64, off, s[0:3], 0 offset:72
	;; [unrolled: 1-line block ×4, first 2 shown]
	s_waitcnt vmcnt(17)
	buffer_store_dword v13, off, s[0:3], 0 offset:92
	v_lshlrev_b64 v[6:7], 4, v[66:67]
	v_add_co_u32_e32 v8, vcc, s6, v6
	v_addc_co_u32_e32 v9, vcc, v0, v7, vcc
	v_ashrrev_i32_e32 v69, 31, v68
	global_load_dwordx4 v[54:57], v[8:9], off
	v_lshlrev_b64 v[6:7], 4, v[68:69]
	v_add_co_u32_e32 v6, vcc, s6, v6
	v_addc_co_u32_e32 v7, vcc, v0, v7, vcc
	global_load_dwordx4 v[58:61], v[6:7], off
	v_accvgpr_write_b32 a87, v7
	v_ashrrev_i32_e32 v71, 31, v70
	v_accvgpr_write_b32 a91, v9
	v_accvgpr_write_b32 a86, v6
	v_lshlrev_b64 v[6:7], 4, v[70:71]
	v_accvgpr_write_b32 a90, v8
	v_add_co_u32_e32 v8, vcc, s6, v6
	v_addc_co_u32_e32 v9, vcc, v0, v7, vcc
	v_ashrrev_i32_e32 v73, 31, v72
	global_load_dwordx4 v[62:65], v[8:9], off
	v_lshlrev_b64 v[6:7], 4, v[72:73]
	v_add_co_u32_e32 v6, vcc, s6, v6
	v_addc_co_u32_e32 v7, vcc, v0, v7, vcc
	global_load_dwordx4 v[66:69], v[6:7], off
	v_accvgpr_write_b32 a83, v7
	v_ashrrev_i32_e32 v75, 31, v74
	v_accvgpr_write_b32 a89, v9
	v_accvgpr_write_b32 a82, v6
	v_lshlrev_b64 v[6:7], 4, v[74:75]
	v_accvgpr_write_b32 a88, v8
	;; [unrolled: 14-line block ×3, first 2 shown]
	v_add_co_u32_e32 v8, vcc, s6, v6
	v_addc_co_u32_e32 v9, vcc, v0, v7, vcc
	v_ashrrev_i32_e32 v81, 31, v80
	v_lshlrev_b64 v[6:7], 4, v[80:81]
	global_load_dwordx4 v[78:81], v[8:9], off
	v_add_co_u32_e32 v6, vcc, s6, v6
	v_addc_co_u32_e32 v7, vcc, v0, v7, vcc
	global_load_dwordx4 v[82:85], v[6:7], off
	v_accvgpr_write_b32 a65, v7
	v_ashrrev_i32_e32 v87, 31, v86
	v_accvgpr_write_b32 a79, v9
	v_accvgpr_write_b32 a64, v6
	v_lshlrev_b64 v[6:7], 4, v[86:87]
	v_accvgpr_write_b32 a78, v8
	v_add_co_u32_e32 v8, vcc, s6, v6
	v_addc_co_u32_e32 v9, vcc, v0, v7, vcc
	v_ashrrev_i32_e32 v89, 31, v88
	v_lshlrev_b64 v[6:7], 4, v[88:89]
	global_load_dwordx4 v[86:89], v[8:9], off
	v_add_co_u32_e32 v6, vcc, s6, v6
	v_addc_co_u32_e32 v7, vcc, v0, v7, vcc
	global_load_dwordx4 v[90:93], v[6:7], off
	v_accvgpr_write_b32 a57, v7
	v_ashrrev_i32_e32 v95, 31, v94
	v_accvgpr_write_b32 a67, v9
	v_accvgpr_write_b32 a56, v6
	v_lshlrev_b64 v[6:7], 4, v[94:95]
	v_accvgpr_write_b32 a66, v8
	;; [unrolled: 14-line block ×6, first 2 shown]
	v_add_co_u32_e32 v8, vcc, s6, v6
	v_addc_co_u32_e32 v9, vcc, v0, v7, vcc
	v_ashrrev_i32_e32 v129, 31, v128
	v_lshlrev_b64 v[6:7], 4, v[128:129]
	global_load_dwordx4 v[126:129], v[8:9], off
	v_add_co_u32_e32 v6, vcc, s6, v6
	v_addc_co_u32_e32 v7, vcc, v0, v7, vcc
	v_accvgpr_write_b32 a21, v9
	v_accvgpr_write_b32 a13, v7
	;; [unrolled: 1-line block ×4, first 2 shown]
	global_load_dwordx4 v[6:9], v[6:7], off
	v_ashrrev_i32_e32 v53, 31, v52
	buffer_store_dword v12, off, s[0:3], 0 offset:88
	buffer_store_dword v11, off, s[0:3], 0 offset:84
	buffer_store_dword v10, off, s[0:3], 0 offset:80
	s_waitcnt vmcnt(22)
	buffer_store_dword v57, off, s[0:3], 0 offset:108
	buffer_store_dword v56, off, s[0:3], 0 offset:104
	buffer_store_dword v55, off, s[0:3], 0 offset:100
	buffer_store_dword v54, off, s[0:3], 0 offset:96
	s_waitcnt vmcnt(25)
	buffer_store_dword v61, off, s[0:3], 0 offset:124
	;; [unrolled: 5-line block ×15, first 2 shown]
	buffer_store_dword v112, off, s[0:3], 0 offset:328
	buffer_store_dword v111, off, s[0:3], 0 offset:324
	;; [unrolled: 1-line block ×11, first 2 shown]
	s_waitcnt vmcnt(62)
	buffer_store_dword v125, off, s[0:3], 0 offset:380
	buffer_store_dword v124, off, s[0:3], 0 offset:376
	;; [unrolled: 1-line block ×9, first 2 shown]
	v_lshlrev_b64 v[10:11], 4, v[52:53]
	v_add_co_u32_e32 v12, vcc, s6, v10
	v_ashrrev_i32_e32 v51, 31, v50
	v_addc_co_u32_e32 v13, vcc, v0, v11, vcc
	v_lshlrev_b64 v[10:11], 4, v[50:51]
	v_add_co_u32_e32 v50, vcc, s6, v10
	v_accvgpr_write_b32 a81, v13
	v_addc_co_u32_e32 v51, vcc, v0, v11, vcc
	v_accvgpr_write_b32 a80, v12
	global_load_dwordx4 v[10:13], v[12:13], off
	v_accvgpr_write_b32 a71, v51
	v_ashrrev_i32_e32 v49, 31, v48
	v_accvgpr_write_b32 a70, v50
	global_load_dwordx4 v[50:53], v[50:51], off
	v_lshlrev_b64 v[48:49], 4, v[48:49]
	v_add_co_u32_e32 v48, vcc, s6, v48
	v_ashrrev_i32_e32 v47, 31, v46
	v_addc_co_u32_e32 v49, vcc, v0, v49, vcc
	v_lshlrev_b64 v[46:47], 4, v[46:47]
	v_add_co_u32_e32 v54, vcc, s6, v46
	v_accvgpr_write_b32 a73, v49
	v_addc_co_u32_e32 v55, vcc, v0, v47, vcc
	v_accvgpr_write_b32 a72, v48
	global_load_dwordx4 v[46:49], v[48:49], off
	v_accvgpr_write_b32 a61, v55
	v_ashrrev_i32_e32 v45, 31, v44
	v_accvgpr_write_b32 a60, v54
	global_load_dwordx4 v[54:57], v[54:55], off
	v_lshlrev_b64 v[44:45], 4, v[44:45]
	v_add_co_u32_e32 v44, vcc, s6, v44
	v_ashrrev_i32_e32 v43, 31, v42
	v_addc_co_u32_e32 v45, vcc, v0, v45, vcc
	v_lshlrev_b64 v[42:43], 4, v[42:43]
	v_add_co_u32_e32 v58, vcc, s6, v42
	v_accvgpr_write_b32 a63, v45
	v_addc_co_u32_e32 v59, vcc, v0, v43, vcc
	v_accvgpr_write_b32 a62, v44
	global_load_dwordx4 v[42:45], v[44:45], off
	v_accvgpr_write_b32 a50, v58
	v_ashrrev_i32_e32 v41, 31, v40
	v_accvgpr_write_b32 a51, v59
	global_load_dwordx4 v[58:61], v[58:59], off
	v_lshlrev_b64 v[40:41], 4, v[40:41]
	v_add_co_u32_e32 v40, vcc, s6, v40
	v_ashrrev_i32_e32 v39, 31, v38
	v_addc_co_u32_e32 v41, vcc, v0, v41, vcc
	v_lshlrev_b64 v[38:39], 4, v[38:39]
	v_add_co_u32_e32 v62, vcc, s6, v38
	v_accvgpr_write_b32 a53, v41
	v_addc_co_u32_e32 v63, vcc, v0, v39, vcc
	v_accvgpr_write_b32 a52, v40
	global_load_dwordx4 v[38:41], v[40:41], off
	v_accvgpr_write_b32 a38, v62
	v_ashrrev_i32_e32 v37, 31, v36
	v_accvgpr_write_b32 a39, v63
	global_load_dwordx4 v[62:65], v[62:63], off
	v_lshlrev_b64 v[36:37], 4, v[36:37]
	v_add_co_u32_e32 v36, vcc, s6, v36
	v_ashrrev_i32_e32 v35, 31, v34
	v_addc_co_u32_e32 v37, vcc, v0, v37, vcc
	v_lshlrev_b64 v[34:35], 4, v[34:35]
	v_add_co_u32_e32 v66, vcc, s6, v34
	v_accvgpr_write_b32 a41, v37
	v_addc_co_u32_e32 v67, vcc, v0, v35, vcc
	v_accvgpr_write_b32 a40, v36
	global_load_dwordx4 v[34:37], v[36:37], off
	v_accvgpr_write_b32 a30, v66
	v_ashrrev_i32_e32 v33, 31, v32
	v_accvgpr_write_b32 a31, v67
	global_load_dwordx4 v[66:69], v[66:67], off
	v_lshlrev_b64 v[32:33], 4, v[32:33]
	v_add_co_u32_e32 v32, vcc, s6, v32
	v_ashrrev_i32_e32 v31, 31, v30
	v_addc_co_u32_e32 v33, vcc, v0, v33, vcc
	v_lshlrev_b64 v[30:31], 4, v[30:31]
	v_add_co_u32_e32 v70, vcc, s6, v30
	v_accvgpr_write_b32 a32, v32
	v_addc_co_u32_e32 v71, vcc, v0, v31, vcc
	v_accvgpr_write_b32 a33, v33
	global_load_dwordx4 v[30:33], v[32:33], off
	v_accvgpr_write_b32 a22, v70
	v_ashrrev_i32_e32 v29, 31, v28
	v_accvgpr_write_b32 a23, v71
	global_load_dwordx4 v[70:73], v[70:71], off
	v_lshlrev_b64 v[28:29], 4, v[28:29]
	v_add_co_u32_e32 v28, vcc, s6, v28
	v_ashrrev_i32_e32 v27, 31, v26
	v_addc_co_u32_e32 v29, vcc, v0, v29, vcc
	v_lshlrev_b64 v[26:27], 4, v[26:27]
	v_add_co_u32_e32 v74, vcc, s6, v26
	v_accvgpr_write_b32 a24, v28
	v_addc_co_u32_e32 v75, vcc, v0, v27, vcc
	v_accvgpr_write_b32 a25, v29
	global_load_dwordx4 v[26:29], v[28:29], off
	v_accvgpr_write_b32 a14, v74
	v_ashrrev_i32_e32 v25, 31, v24
	v_accvgpr_write_b32 a15, v75
	global_load_dwordx4 v[74:77], v[74:75], off
	v_lshlrev_b64 v[24:25], 4, v[24:25]
	v_add_co_u32_e32 v24, vcc, s6, v24
	v_ashrrev_i32_e32 v23, 31, v22
	v_addc_co_u32_e32 v25, vcc, v0, v25, vcc
	v_lshlrev_b64 v[22:23], 4, v[22:23]
	v_add_co_u32_e32 v78, vcc, s6, v22
	v_accvgpr_write_b32 a16, v24
	v_addc_co_u32_e32 v79, vcc, v0, v23, vcc
	v_accvgpr_write_b32 a17, v25
	global_load_dwordx4 v[22:25], v[24:25], off
	v_accvgpr_write_b32 a8, v78
	v_ashrrev_i32_e32 v21, 31, v20
	v_accvgpr_write_b32 a9, v79
	global_load_dwordx4 v[78:81], v[78:79], off
	v_lshlrev_b64 v[20:21], 4, v[20:21]
	v_add_co_u32_e32 v20, vcc, s6, v20
	v_ashrrev_i32_e32 v19, 31, v18
	v_addc_co_u32_e32 v21, vcc, v0, v21, vcc
	v_lshlrev_b64 v[18:19], 4, v[18:19]
	v_add_co_u32_e32 v82, vcc, s6, v18
	v_accvgpr_write_b32 a10, v20
	v_addc_co_u32_e32 v83, vcc, v0, v19, vcc
	v_accvgpr_write_b32 a11, v21
	global_load_dwordx4 v[18:21], v[20:21], off
	v_accvgpr_write_b32 a4, v82
	v_accvgpr_write_b32 a5, v83
	global_load_dwordx4 v[82:85], v[82:83], off
	v_ashrrev_i32_e32 v17, 31, v16
	v_lshlrev_b64 v[16:17], 4, v[16:17]
	v_add_co_u32_e32 v16, vcc, s6, v16
	v_addc_co_u32_e32 v17, vcc, v0, v17, vcc
	v_ashrrev_i32_e32 v15, 31, v14
	v_accvgpr_write_b32 a6, v16
	v_lshlrev_b64 v[86:87], 4, v[14:15]
	v_accvgpr_write_b32 a7, v17
	global_load_dwordx4 v[14:17], v[16:17], off
	v_add_co_u32_e32 v86, vcc, s6, v86
	v_addc_co_u32_e32 v87, vcc, v0, v87, vcc
	v_accvgpr_write_b32 a2, v86
	v_accvgpr_write_b32 a3, v87
	global_load_dwordx4 v[86:89], v[86:87], off
	v_mov_b32_e32 v0, 16
	buffer_store_dword v8, off, s[0:3], 0 offset:408
	buffer_store_dword v7, off, s[0:3], 0 offset:404
	buffer_store_dword v6, off, s[0:3], 0 offset:400
	s_waitcnt vmcnt(22)
	buffer_store_dword v13, off, s[0:3], 0 offset:428
	buffer_store_dword v12, off, s[0:3], 0 offset:424
	buffer_store_dword v11, off, s[0:3], 0 offset:420
	buffer_store_dword v10, off, s[0:3], 0 offset:416
	s_waitcnt vmcnt(25)
	buffer_store_dword v53, off, s[0:3], 0 offset:444
	;; [unrolled: 5-line block ×15, first 2 shown]
	buffer_store_dword v24, off, s[0:3], 0 offset:648
	buffer_store_dword v23, off, s[0:3], 0 offset:644
	;; [unrolled: 1-line block ×11, first 2 shown]
	s_waitcnt vmcnt(62)
	buffer_store_dword v85, off, s[0:3], 0 offset:700
	buffer_store_dword v84, off, s[0:3], 0 offset:696
	;; [unrolled: 1-line block ×16, first 2 shown]
	v_add_u32_e32 v2, 16, v0
	v_accvgpr_write_b32 a136, v2
	v_add_u32_e32 v2, 32, v0
	v_accvgpr_write_b32 a135, v2
	v_add_u32_e32 v2, 48, v0
	v_accvgpr_write_b32 a134, v2
	v_add_u32_e32 v2, 64, v0
	v_accvgpr_write_b32 a133, v2
	v_add_u32_e32 v2, 0x50, v0
	v_accvgpr_write_b32 a132, v2
	v_add_u32_e32 v2, 0x60, v0
	v_accvgpr_write_b32 a131, v2
	v_add_u32_e32 v2, 0x70, v0
	v_accvgpr_write_b32 a130, v2
	v_add_u32_e32 v2, 0x80, v0
	v_accvgpr_write_b32 a129, v2
	v_add_u32_e32 v2, 0x90, v0
	v_accvgpr_write_b32 a128, v2
	v_add_u32_e32 v2, 0xa0, v0
	v_accvgpr_write_b32 a127, v2
	v_add_u32_e32 v2, 0xb0, v0
	v_accvgpr_write_b32 a126, v2
	v_add_u32_e32 v2, 0xc0, v0
	v_accvgpr_write_b32 a125, v2
	v_add_u32_e32 v2, 0xd0, v0
	v_accvgpr_write_b32 a124, v2
	v_add_u32_e32 v2, 0xe0, v0
	v_accvgpr_write_b32 a123, v2
	v_add_u32_e32 v2, 0xf0, v0
	v_accvgpr_write_b32 a122, v2
	v_add_u32_e32 v2, 0x100, v0
	v_accvgpr_write_b32 a121, v2
	v_add_u32_e32 v2, 0x110, v0
	v_accvgpr_write_b32 a120, v2
	v_add_u32_e32 v2, 0x120, v0
	v_accvgpr_write_b32 a119, v2
	v_add_u32_e32 v2, 0x130, v0
	v_accvgpr_write_b32 a118, v2
	v_add_u32_e32 v2, 0x140, v0
	v_accvgpr_write_b32 a117, v2
	v_add_u32_e32 v2, 0x150, v0
	v_accvgpr_write_b32 a116, v2
	v_add_u32_e32 v2, 0x160, v0
	v_accvgpr_write_b32 a115, v2
	v_add_u32_e32 v2, 0x170, v0
	v_accvgpr_write_b32 a114, v2
	v_add_u32_e32 v2, 0x180, v0
	v_accvgpr_write_b32 a113, v2
	v_add_u32_e32 v2, 0x190, v0
	v_accvgpr_write_b32 a112, v2
	v_add_u32_e32 v2, 0x1a0, v0
	v_accvgpr_write_b32 a111, v2
	v_add_u32_e32 v2, 0x1b0, v0
	v_accvgpr_write_b32 a110, v2
	v_add_u32_e32 v2, 0x1c0, v0
	v_accvgpr_write_b32 a109, v2
	v_add_u32_e32 v2, 0x1d0, v0
	v_accvgpr_write_b32 a108, v2
	v_add_u32_e32 v2, 0x1e0, v0
	v_accvgpr_write_b32 a107, v2
	v_add_u32_e32 v2, 0x1f0, v0
	v_accvgpr_write_b32 a106, v2
	v_add_u32_e32 v2, 0x200, v0
	v_accvgpr_write_b32 a105, v2
	v_add_u32_e32 v2, 0x210, v0
	v_accvgpr_write_b32 a104, v2
	v_add_u32_e32 v2, 0x220, v0
	v_accvgpr_write_b32 a103, v2
	v_add_u32_e32 v2, 0x230, v0
	v_accvgpr_write_b32 a102, v2
	v_add_u32_e32 v2, 0x240, v0
	v_accvgpr_write_b32 a101, v2
	v_add_u32_e32 v2, 0x250, v0
	v_accvgpr_write_b32 a100, v2
	v_add_u32_e32 v2, 0x260, v0
	v_accvgpr_write_b32 a99, v2
	v_add_u32_e32 v2, 0x270, v0
	v_accvgpr_write_b32 a98, v2
	v_add_u32_e32 v2, 0x280, v0
	v_accvgpr_write_b32 a97, v2
	v_add_u32_e32 v2, 0x290, v0
	v_accvgpr_write_b32 a96, v2
	v_add_u32_e32 v2, 0x2a0, v0
	v_accvgpr_write_b32 a95, v2
	v_add_u32_e32 v2, 0x2b0, v0
	v_accvgpr_write_b32 a94, v2
	v_add_u32_e32 v2, 0x2c0, v0
	v_add_u32_e32 v0, 0x2d0, v0
	v_accvgpr_write_b32 a93, v2
	v_accvgpr_write_b32 a92, v0
	s_bitcmp0_b32 s18, 0
	s_mov_b64 s[6:7], -1
	s_cbranch_scc1 .LBB109_196
; %bb.4:
	v_cmp_eq_u32_e64 s[4:5], 0, v254
	s_and_saveexec_b64 s[6:7], s[4:5]
	s_cbranch_execz .LBB109_6
; %bb.5:
	v_mov_b32_e32 v0, 0
	ds_write_b32 v0, v0 offset:1472
.LBB109_6:
	s_or_b64 exec, exec, s[6:7]
	v_mov_b32_e32 v0, 16
	v_lshl_add_u32 v12, v254, 4, v0
	s_waitcnt lgkmcnt(0)
	; wave barrier
	s_waitcnt lgkmcnt(0)
	buffer_load_dword v2, v12, s[0:3], 0 offen
	buffer_load_dword v3, v12, s[0:3], 0 offen offset:4
	buffer_load_dword v4, v12, s[0:3], 0 offen offset:8
	;; [unrolled: 1-line block ×3, first 2 shown]
	s_waitcnt vmcnt(2)
	v_cmp_eq_f64_e32 vcc, 0, v[2:3]
	s_waitcnt vmcnt(0)
	v_cmp_eq_f64_e64 s[6:7], 0, v[4:5]
	s_and_b64 s[6:7], vcc, s[6:7]
	s_and_saveexec_b64 s[12:13], s[6:7]
	s_cbranch_execz .LBB109_10
; %bb.7:
	v_mov_b32_e32 v2, 0
	ds_read_b32 v0, v2 offset:1472
	v_add_u32_e32 v3, 1, v254
	s_waitcnt lgkmcnt(0)
	v_readfirstlane_b32 s6, v0
	s_cmp_eq_u32 s6, 0
	s_cselect_b64 s[18:19], -1, 0
	v_cmp_gt_i32_e32 vcc, s6, v3
	s_or_b64 s[18:19], s[18:19], vcc
	s_and_b64 exec, exec, s[18:19]
	s_cbranch_execz .LBB109_10
; %bb.8:
	s_mov_b64 s[18:19], 0
	v_mov_b32_e32 v4, s6
.LBB109_9:                              ; =>This Inner Loop Header: Depth=1
	ds_cmpst_rtn_b32 v4, v2, v4, v3 offset:1472
	s_waitcnt lgkmcnt(0)
	v_cmp_ne_u32_e32 vcc, 0, v4
	v_cmp_le_i32_e64 s[6:7], v4, v3
	s_and_b64 s[6:7], vcc, s[6:7]
	s_and_b64 s[6:7], exec, s[6:7]
	s_or_b64 s[18:19], s[6:7], s[18:19]
	s_andn2_b64 exec, exec, s[18:19]
	s_cbranch_execnz .LBB109_9
.LBB109_10:
	s_or_b64 exec, exec, s[12:13]
	v_mov_b32_e32 v3, 0
	s_waitcnt lgkmcnt(0)
	; wave barrier
	ds_read_b32 v2, v3 offset:1472
	s_and_saveexec_b64 s[6:7], s[4:5]
	s_cbranch_execz .LBB109_12
; %bb.11:
	s_lshl_b64 s[12:13], s[8:9], 2
	s_add_u32 s12, s14, s12
	s_addc_u32 s13, s15, s13
	s_waitcnt lgkmcnt(0)
	global_store_dword v3, v2, s[12:13]
.LBB109_12:
	s_or_b64 exec, exec, s[6:7]
	s_waitcnt lgkmcnt(0)
	v_cmp_ne_u32_e32 vcc, 0, v2
	s_mov_b64 s[6:7], 0
	s_cbranch_vccnz .LBB109_196
; %bb.13:
	buffer_load_dword v7, v12, s[0:3], 0 offen offset:4
	buffer_load_dword v6, v12, s[0:3], 0 offen
	buffer_load_dword v9, v12, s[0:3], 0 offen offset:12
	buffer_load_dword v8, v12, s[0:3], 0 offen offset:8
                                        ; implicit-def: $vgpr10_vgpr11
	s_waitcnt vmcnt(3)
	v_xor_b32_e32 v0, 0x80000000, v7
	s_waitcnt vmcnt(2)
	v_cmp_gt_f64_e32 vcc, 0, v[6:7]
	s_waitcnt vmcnt(1)
	v_xor_b32_e32 v4, 0x80000000, v9
	v_cndmask_b32_e32 v3, v7, v0, vcc
	s_waitcnt vmcnt(0)
	v_cmp_gt_f64_e32 vcc, 0, v[8:9]
	v_mov_b32_e32 v2, v6
	v_cndmask_b32_e32 v5, v9, v4, vcc
	v_mov_b32_e32 v4, v8
	v_cmp_ngt_f64_e32 vcc, v[2:3], v[4:5]
                                        ; implicit-def: $vgpr4_vgpr5
	s_and_saveexec_b64 s[6:7], vcc
	s_xor_b64 s[6:7], exec, s[6:7]
	s_cbranch_execz .LBB109_15
; %bb.14:
	v_div_scale_f64 v[2:3], s[12:13], v[8:9], v[8:9], v[6:7]
	v_rcp_f64_e32 v[4:5], v[2:3]
	v_div_scale_f64 v[10:11], vcc, v[6:7], v[8:9], v[6:7]
	v_fma_f64 v[14:15], -v[2:3], v[4:5], 1.0
	v_fmac_f64_e32 v[4:5], v[4:5], v[14:15]
	v_fma_f64 v[14:15], -v[2:3], v[4:5], 1.0
	v_fmac_f64_e32 v[4:5], v[4:5], v[14:15]
	v_mul_f64 v[14:15], v[10:11], v[4:5]
	v_fma_f64 v[2:3], -v[2:3], v[14:15], v[10:11]
	v_div_fmas_f64 v[2:3], v[2:3], v[4:5], v[14:15]
	v_div_fixup_f64 v[2:3], v[2:3], v[8:9], v[6:7]
	v_fmac_f64_e32 v[8:9], v[6:7], v[2:3]
	v_div_scale_f64 v[4:5], s[12:13], v[8:9], v[8:9], 1.0
	v_rcp_f64_e32 v[6:7], v[4:5]
	v_fma_f64 v[10:11], -v[4:5], v[6:7], 1.0
	v_fmac_f64_e32 v[6:7], v[6:7], v[10:11]
	v_fma_f64 v[10:11], -v[4:5], v[6:7], 1.0
	v_fmac_f64_e32 v[6:7], v[6:7], v[10:11]
	v_div_scale_f64 v[10:11], vcc, 1.0, v[8:9], 1.0
	v_mul_f64 v[14:15], v[10:11], v[6:7]
	v_fma_f64 v[4:5], -v[4:5], v[14:15], v[10:11]
	s_nop 1
	v_div_fmas_f64 v[4:5], v[4:5], v[6:7], v[14:15]
	v_div_fixup_f64 v[4:5], v[4:5], v[8:9], 1.0
	v_mul_f64 v[10:11], v[2:3], v[4:5]
	v_xor_b32_e32 v5, 0x80000000, v5
	v_xor_b32_e32 v3, 0x80000000, v11
	v_mov_b32_e32 v2, v10
                                        ; implicit-def: $vgpr6_vgpr7
                                        ; implicit-def: $vgpr8_vgpr9
.LBB109_15:
	s_andn2_saveexec_b64 s[6:7], s[6:7]
	s_cbranch_execz .LBB109_17
; %bb.16:
	v_div_scale_f64 v[2:3], s[12:13], v[6:7], v[6:7], v[8:9]
	v_rcp_f64_e32 v[4:5], v[2:3]
	v_div_scale_f64 v[10:11], vcc, v[8:9], v[6:7], v[8:9]
	v_fma_f64 v[14:15], -v[2:3], v[4:5], 1.0
	v_fmac_f64_e32 v[4:5], v[4:5], v[14:15]
	v_fma_f64 v[14:15], -v[2:3], v[4:5], 1.0
	v_fmac_f64_e32 v[4:5], v[4:5], v[14:15]
	v_mul_f64 v[14:15], v[10:11], v[4:5]
	v_fma_f64 v[2:3], -v[2:3], v[14:15], v[10:11]
	v_div_fmas_f64 v[2:3], v[2:3], v[4:5], v[14:15]
	v_div_fixup_f64 v[4:5], v[2:3], v[6:7], v[8:9]
	v_fmac_f64_e32 v[6:7], v[8:9], v[4:5]
	v_div_scale_f64 v[2:3], s[12:13], v[6:7], v[6:7], 1.0
	v_rcp_f64_e32 v[8:9], v[2:3]
	v_fma_f64 v[10:11], -v[2:3], v[8:9], 1.0
	v_fmac_f64_e32 v[8:9], v[8:9], v[10:11]
	v_fma_f64 v[10:11], -v[2:3], v[8:9], 1.0
	v_fmac_f64_e32 v[8:9], v[8:9], v[10:11]
	v_div_scale_f64 v[10:11], vcc, 1.0, v[6:7], 1.0
	v_mul_f64 v[14:15], v[10:11], v[8:9]
	v_fma_f64 v[2:3], -v[2:3], v[14:15], v[10:11]
	s_nop 1
	v_div_fmas_f64 v[2:3], v[2:3], v[8:9], v[14:15]
	v_div_fixup_f64 v[10:11], v[2:3], v[6:7], 1.0
	v_xor_b32_e32 v3, 0x80000000, v11
	v_mov_b32_e32 v2, v10
	v_mul_f64 v[4:5], v[4:5], -v[10:11]
.LBB109_17:
	s_or_b64 exec, exec, s[6:7]
	buffer_store_dword v11, v12, s[0:3], 0 offen offset:4
	buffer_store_dword v10, v12, s[0:3], 0 offen
	buffer_store_dword v5, v12, s[0:3], 0 offen offset:12
	buffer_store_dword v4, v12, s[0:3], 0 offen offset:8
	v_accvgpr_read_b32 v0, a136
	buffer_load_dword v11, v0, s[0:3], 0 offen offset:12
	buffer_load_dword v10, v0, s[0:3], 0 offen offset:8
	;; [unrolled: 1-line block ×3, first 2 shown]
	buffer_load_dword v8, v0, s[0:3], 0 offen
	v_xor_b32_e32 v5, 0x80000000, v5
	v_add_u32_e32 v6, 0x2e0, v1
	ds_write_b128 v1, v[2:5]
	s_waitcnt vmcnt(0)
	ds_write_b128 v1, v[8:11] offset:736
	s_waitcnt lgkmcnt(0)
	; wave barrier
	s_waitcnt lgkmcnt(0)
	s_and_saveexec_b64 s[6:7], s[4:5]
	s_cbranch_execz .LBB109_19
; %bb.18:
	buffer_load_dword v14, v12, s[0:3], 0 offen offset:8
	buffer_load_dword v15, v12, s[0:3], 0 offen offset:12
	buffer_load_dword v16, v12, s[0:3], 0 offen
	buffer_load_dword v17, v12, s[0:3], 0 offen offset:4
	ds_read_b128 v[2:5], v6
	v_mov_b32_e32 v0, 0
	ds_read_b128 v[8:11], v0 offset:16
	s_waitcnt vmcnt(2) lgkmcnt(1)
	v_mul_f64 v[18:19], v[4:5], v[14:15]
	v_mul_f64 v[14:15], v[2:3], v[14:15]
	s_waitcnt vmcnt(0)
	v_fmac_f64_e32 v[14:15], v[4:5], v[16:17]
	v_fma_f64 v[2:3], v[2:3], v[16:17], -v[18:19]
	v_add_f64 v[4:5], v[14:15], 0
	v_add_f64 v[2:3], v[2:3], 0
	s_waitcnt lgkmcnt(0)
	v_mul_f64 v[14:15], v[4:5], v[10:11]
	v_mul_f64 v[10:11], v[2:3], v[10:11]
	v_fma_f64 v[2:3], v[2:3], v[8:9], -v[14:15]
	v_fmac_f64_e32 v[10:11], v[4:5], v[8:9]
	buffer_store_dword v2, off, s[0:3], 0 offset:32
	buffer_store_dword v3, off, s[0:3], 0 offset:36
	;; [unrolled: 1-line block ×4, first 2 shown]
.LBB109_19:
	s_or_b64 exec, exec, s[6:7]
	v_accvgpr_read_b32 v0, a135
	s_waitcnt lgkmcnt(0)
	; wave barrier
	buffer_load_dword v2, v0, s[0:3], 0 offen
	buffer_load_dword v3, v0, s[0:3], 0 offen offset:4
	buffer_load_dword v4, v0, s[0:3], 0 offen offset:8
	;; [unrolled: 1-line block ×3, first 2 shown]
	v_cmp_gt_u32_e32 vcc, 2, v254
	s_waitcnt vmcnt(0)
	ds_write_b128 v6, v[2:5]
	s_waitcnt lgkmcnt(0)
	; wave barrier
	s_waitcnt lgkmcnt(0)
	s_and_saveexec_b64 s[6:7], vcc
	s_cbranch_execz .LBB109_23
; %bb.20:
	buffer_load_dword v8, v12, s[0:3], 0 offen offset:8
	buffer_load_dword v9, v12, s[0:3], 0 offen offset:12
	buffer_load_dword v10, v12, s[0:3], 0 offen
	buffer_load_dword v11, v12, s[0:3], 0 offen offset:4
	ds_read_b128 v[2:5], v6
	s_waitcnt vmcnt(2) lgkmcnt(0)
	v_mul_f64 v[12:13], v[4:5], v[8:9]
	v_mul_f64 v[8:9], v[2:3], v[8:9]
	s_waitcnt vmcnt(0)
	v_fma_f64 v[2:3], v[2:3], v[10:11], -v[12:13]
	v_fmac_f64_e32 v[8:9], v[4:5], v[10:11]
	v_add_f64 v[4:5], v[2:3], 0
	v_add_f64 v[2:3], v[8:9], 0
	s_and_saveexec_b64 s[12:13], s[4:5]
	s_cbranch_execz .LBB109_22
; %bb.21:
	buffer_load_dword v12, off, s[0:3], 0 offset:40
	buffer_load_dword v13, off, s[0:3], 0 offset:44
	;; [unrolled: 1-line block ×4, first 2 shown]
	v_mov_b32_e32 v0, 0
	ds_read_b128 v[8:11], v0 offset:752
	s_waitcnt vmcnt(2) lgkmcnt(0)
	v_mul_f64 v[16:17], v[8:9], v[12:13]
	v_mul_f64 v[12:13], v[10:11], v[12:13]
	s_waitcnt vmcnt(0)
	v_fmac_f64_e32 v[16:17], v[10:11], v[14:15]
	v_fma_f64 v[8:9], v[8:9], v[14:15], -v[12:13]
	v_add_f64 v[2:3], v[2:3], v[16:17]
	v_add_f64 v[4:5], v[4:5], v[8:9]
.LBB109_22:
	s_or_b64 exec, exec, s[12:13]
	v_mov_b32_e32 v0, 0
	ds_read_b128 v[8:11], v0 offset:32
	s_waitcnt lgkmcnt(0)
	v_mul_f64 v[12:13], v[2:3], v[10:11]
	v_mul_f64 v[10:11], v[4:5], v[10:11]
	v_fma_f64 v[4:5], v[4:5], v[8:9], -v[12:13]
	v_fmac_f64_e32 v[10:11], v[2:3], v[8:9]
	buffer_store_dword v5, off, s[0:3], 0 offset:52
	buffer_store_dword v4, off, s[0:3], 0 offset:48
	;; [unrolled: 1-line block ×4, first 2 shown]
.LBB109_23:
	s_or_b64 exec, exec, s[6:7]
	v_accvgpr_read_b32 v0, a134
	s_waitcnt lgkmcnt(0)
	; wave barrier
	buffer_load_dword v2, v0, s[0:3], 0 offen
	buffer_load_dword v3, v0, s[0:3], 0 offen offset:4
	buffer_load_dword v4, v0, s[0:3], 0 offen offset:8
	;; [unrolled: 1-line block ×3, first 2 shown]
	v_cmp_gt_u32_e32 vcc, 3, v254
	v_add_u32_e32 v7, -1, v254
	s_waitcnt vmcnt(0)
	ds_write_b128 v6, v[2:5]
	s_waitcnt lgkmcnt(0)
	; wave barrier
	s_waitcnt lgkmcnt(0)
	s_and_saveexec_b64 s[4:5], vcc
	s_cbranch_execz .LBB109_27
; %bb.24:
	v_pk_mov_b32 v[2:3], 0, 0
	v_add_u32_e32 v8, -1, v254
	v_add_u32_e32 v9, 0x2e0, v1
	v_add_u32_e32 v10, 16, v1
	s_mov_b64 s[6:7], 0
	v_pk_mov_b32 v[4:5], v[2:3], v[2:3] op_sel:[0,1]
.LBB109_25:                             ; =>This Inner Loop Header: Depth=1
	buffer_load_dword v16, v10, s[0:3], 0 offen offset:8
	buffer_load_dword v17, v10, s[0:3], 0 offen offset:12
	buffer_load_dword v18, v10, s[0:3], 0 offen
	buffer_load_dword v19, v10, s[0:3], 0 offen offset:4
	ds_read_b128 v[12:15], v9
	v_add_u32_e32 v8, 1, v8
	v_cmp_lt_u32_e32 vcc, 1, v8
	v_add_u32_e32 v9, 16, v9
	v_add_u32_e32 v10, 16, v10
	s_or_b64 s[6:7], vcc, s[6:7]
	s_waitcnt vmcnt(2) lgkmcnt(0)
	v_mul_f64 v[20:21], v[14:15], v[16:17]
	v_mul_f64 v[16:17], v[12:13], v[16:17]
	s_waitcnt vmcnt(0)
	v_fma_f64 v[12:13], v[12:13], v[18:19], -v[20:21]
	v_fmac_f64_e32 v[16:17], v[14:15], v[18:19]
	v_add_f64 v[4:5], v[4:5], v[12:13]
	v_add_f64 v[2:3], v[2:3], v[16:17]
	s_andn2_b64 exec, exec, s[6:7]
	s_cbranch_execnz .LBB109_25
; %bb.26:
	s_or_b64 exec, exec, s[6:7]
	v_mov_b32_e32 v0, 0
	ds_read_b128 v[8:11], v0 offset:48
	s_waitcnt lgkmcnt(0)
	v_mul_f64 v[12:13], v[2:3], v[10:11]
	v_mul_f64 v[10:11], v[4:5], v[10:11]
	v_fma_f64 v[4:5], v[4:5], v[8:9], -v[12:13]
	v_fmac_f64_e32 v[10:11], v[2:3], v[8:9]
	buffer_store_dword v5, off, s[0:3], 0 offset:68
	buffer_store_dword v4, off, s[0:3], 0 offset:64
	buffer_store_dword v11, off, s[0:3], 0 offset:76
	buffer_store_dword v10, off, s[0:3], 0 offset:72
.LBB109_27:
	s_or_b64 exec, exec, s[4:5]
	v_accvgpr_read_b32 v0, a133
	s_waitcnt lgkmcnt(0)
	; wave barrier
	buffer_load_dword v2, v0, s[0:3], 0 offen
	buffer_load_dword v3, v0, s[0:3], 0 offen offset:4
	buffer_load_dword v4, v0, s[0:3], 0 offen offset:8
	buffer_load_dword v5, v0, s[0:3], 0 offen offset:12
	v_cmp_gt_u32_e32 vcc, 4, v254
	s_waitcnt vmcnt(0)
	ds_write_b128 v6, v[2:5]
	s_waitcnt lgkmcnt(0)
	; wave barrier
	s_waitcnt lgkmcnt(0)
	s_and_saveexec_b64 s[4:5], vcc
	s_cbranch_execz .LBB109_31
; %bb.28:
	v_pk_mov_b32 v[2:3], 0, 0
	v_add_u32_e32 v8, -1, v254
	v_add_u32_e32 v9, 0x2e0, v1
	v_add_u32_e32 v10, 16, v1
	s_mov_b64 s[6:7], 0
	v_pk_mov_b32 v[4:5], v[2:3], v[2:3] op_sel:[0,1]
.LBB109_29:                             ; =>This Inner Loop Header: Depth=1
	buffer_load_dword v16, v10, s[0:3], 0 offen offset:8
	buffer_load_dword v17, v10, s[0:3], 0 offen offset:12
	buffer_load_dword v18, v10, s[0:3], 0 offen
	buffer_load_dword v19, v10, s[0:3], 0 offen offset:4
	ds_read_b128 v[12:15], v9
	v_add_u32_e32 v8, 1, v8
	v_cmp_lt_u32_e32 vcc, 2, v8
	v_add_u32_e32 v9, 16, v9
	v_add_u32_e32 v10, 16, v10
	s_or_b64 s[6:7], vcc, s[6:7]
	s_waitcnt vmcnt(2) lgkmcnt(0)
	v_mul_f64 v[20:21], v[14:15], v[16:17]
	v_mul_f64 v[16:17], v[12:13], v[16:17]
	s_waitcnt vmcnt(0)
	v_fma_f64 v[12:13], v[12:13], v[18:19], -v[20:21]
	v_fmac_f64_e32 v[16:17], v[14:15], v[18:19]
	v_add_f64 v[4:5], v[4:5], v[12:13]
	v_add_f64 v[2:3], v[2:3], v[16:17]
	s_andn2_b64 exec, exec, s[6:7]
	s_cbranch_execnz .LBB109_29
; %bb.30:
	s_or_b64 exec, exec, s[6:7]
	v_mov_b32_e32 v0, 0
	ds_read_b128 v[8:11], v0 offset:64
	s_waitcnt lgkmcnt(0)
	v_mul_f64 v[12:13], v[2:3], v[10:11]
	v_mul_f64 v[10:11], v[4:5], v[10:11]
	v_fma_f64 v[4:5], v[4:5], v[8:9], -v[12:13]
	v_fmac_f64_e32 v[10:11], v[2:3], v[8:9]
	buffer_store_dword v5, off, s[0:3], 0 offset:84
	buffer_store_dword v4, off, s[0:3], 0 offset:80
	buffer_store_dword v11, off, s[0:3], 0 offset:92
	buffer_store_dword v10, off, s[0:3], 0 offset:88
.LBB109_31:
	s_or_b64 exec, exec, s[4:5]
	v_accvgpr_read_b32 v0, a132
	s_waitcnt lgkmcnt(0)
	; wave barrier
	buffer_load_dword v2, v0, s[0:3], 0 offen
	buffer_load_dword v3, v0, s[0:3], 0 offen offset:4
	buffer_load_dword v4, v0, s[0:3], 0 offen offset:8
	buffer_load_dword v5, v0, s[0:3], 0 offen offset:12
	v_cmp_gt_u32_e32 vcc, 5, v254
	;; [unrolled: 58-line block ×19, first 2 shown]
	s_waitcnt vmcnt(0)
	ds_write_b128 v6, v[2:5]
	s_waitcnt lgkmcnt(0)
	; wave barrier
	s_waitcnt lgkmcnt(0)
	s_and_saveexec_b64 s[4:5], vcc
	s_cbranch_execz .LBB109_103
; %bb.100:
	v_pk_mov_b32 v[2:3], 0, 0
	v_add_u32_e32 v8, -1, v254
	v_add_u32_e32 v9, 0x2e0, v1
	v_add_u32_e32 v10, 16, v1
	s_mov_b64 s[6:7], 0
	v_pk_mov_b32 v[4:5], v[2:3], v[2:3] op_sel:[0,1]
.LBB109_101:                            ; =>This Inner Loop Header: Depth=1
	buffer_load_dword v16, v10, s[0:3], 0 offen offset:8
	buffer_load_dword v17, v10, s[0:3], 0 offen offset:12
	buffer_load_dword v18, v10, s[0:3], 0 offen
	buffer_load_dword v19, v10, s[0:3], 0 offen offset:4
	ds_read_b128 v[12:15], v9
	v_add_u32_e32 v8, 1, v8
	v_cmp_lt_u32_e32 vcc, 20, v8
	v_add_u32_e32 v9, 16, v9
	v_add_u32_e32 v10, 16, v10
	s_or_b64 s[6:7], vcc, s[6:7]
	s_waitcnt vmcnt(2) lgkmcnt(0)
	v_mul_f64 v[20:21], v[14:15], v[16:17]
	v_mul_f64 v[16:17], v[12:13], v[16:17]
	s_waitcnt vmcnt(0)
	v_fma_f64 v[12:13], v[12:13], v[18:19], -v[20:21]
	v_fmac_f64_e32 v[16:17], v[14:15], v[18:19]
	v_add_f64 v[4:5], v[4:5], v[12:13]
	v_add_f64 v[2:3], v[2:3], v[16:17]
	s_andn2_b64 exec, exec, s[6:7]
	s_cbranch_execnz .LBB109_101
; %bb.102:
	s_or_b64 exec, exec, s[6:7]
	v_mov_b32_e32 v0, 0
	ds_read_b128 v[8:11], v0 offset:352
	s_waitcnt lgkmcnt(0)
	v_mul_f64 v[12:13], v[2:3], v[10:11]
	v_mul_f64 v[10:11], v[4:5], v[10:11]
	v_fma_f64 v[4:5], v[4:5], v[8:9], -v[12:13]
	v_fmac_f64_e32 v[10:11], v[2:3], v[8:9]
	buffer_store_dword v5, off, s[0:3], 0 offset:372
	buffer_store_dword v4, off, s[0:3], 0 offset:368
	buffer_store_dword v11, off, s[0:3], 0 offset:380
	buffer_store_dword v10, off, s[0:3], 0 offset:376
.LBB109_103:
	s_or_b64 exec, exec, s[4:5]
	v_accvgpr_read_b32 v0, a114
	s_waitcnt lgkmcnt(0)
	; wave barrier
	buffer_load_dword v2, v0, s[0:3], 0 offen
	buffer_load_dword v3, v0, s[0:3], 0 offen offset:4
	buffer_load_dword v4, v0, s[0:3], 0 offen offset:8
	buffer_load_dword v5, v0, s[0:3], 0 offen offset:12
	v_cmp_gt_u32_e32 vcc, 23, v254
	s_waitcnt vmcnt(0)
	ds_write_b128 v6, v[2:5]
	s_waitcnt lgkmcnt(0)
	; wave barrier
	s_waitcnt lgkmcnt(0)
	s_and_saveexec_b64 s[4:5], vcc
	s_cbranch_execz .LBB109_107
; %bb.104:
	v_pk_mov_b32 v[2:3], 0, 0
	v_add_u32_e32 v8, -1, v254
	v_add_u32_e32 v9, 0x2e0, v1
	v_add_u32_e32 v10, 16, v1
	s_mov_b64 s[6:7], 0
	v_pk_mov_b32 v[4:5], v[2:3], v[2:3] op_sel:[0,1]
.LBB109_105:                            ; =>This Inner Loop Header: Depth=1
	buffer_load_dword v16, v10, s[0:3], 0 offen offset:8
	buffer_load_dword v17, v10, s[0:3], 0 offen offset:12
	buffer_load_dword v18, v10, s[0:3], 0 offen
	buffer_load_dword v19, v10, s[0:3], 0 offen offset:4
	ds_read_b128 v[12:15], v9
	v_add_u32_e32 v8, 1, v8
	v_cmp_lt_u32_e32 vcc, 21, v8
	v_add_u32_e32 v9, 16, v9
	v_add_u32_e32 v10, 16, v10
	s_or_b64 s[6:7], vcc, s[6:7]
	s_waitcnt vmcnt(2) lgkmcnt(0)
	v_mul_f64 v[20:21], v[14:15], v[16:17]
	v_mul_f64 v[16:17], v[12:13], v[16:17]
	s_waitcnt vmcnt(0)
	v_fma_f64 v[12:13], v[12:13], v[18:19], -v[20:21]
	v_fmac_f64_e32 v[16:17], v[14:15], v[18:19]
	v_add_f64 v[4:5], v[4:5], v[12:13]
	v_add_f64 v[2:3], v[2:3], v[16:17]
	s_andn2_b64 exec, exec, s[6:7]
	s_cbranch_execnz .LBB109_105
; %bb.106:
	s_or_b64 exec, exec, s[6:7]
	v_mov_b32_e32 v0, 0
	ds_read_b128 v[8:11], v0 offset:368
	s_waitcnt lgkmcnt(0)
	v_mul_f64 v[12:13], v[2:3], v[10:11]
	v_mul_f64 v[10:11], v[4:5], v[10:11]
	v_fma_f64 v[4:5], v[4:5], v[8:9], -v[12:13]
	v_fmac_f64_e32 v[10:11], v[2:3], v[8:9]
	buffer_store_dword v5, off, s[0:3], 0 offset:388
	buffer_store_dword v4, off, s[0:3], 0 offset:384
	buffer_store_dword v11, off, s[0:3], 0 offset:396
	buffer_store_dword v10, off, s[0:3], 0 offset:392
.LBB109_107:
	s_or_b64 exec, exec, s[4:5]
	v_accvgpr_read_b32 v0, a113
	s_waitcnt lgkmcnt(0)
	; wave barrier
	buffer_load_dword v2, v0, s[0:3], 0 offen
	buffer_load_dword v3, v0, s[0:3], 0 offen offset:4
	buffer_load_dword v4, v0, s[0:3], 0 offen offset:8
	buffer_load_dword v5, v0, s[0:3], 0 offen offset:12
	v_cmp_gt_u32_e32 vcc, 24, v254
	;; [unrolled: 58-line block ×22, first 2 shown]
	s_waitcnt vmcnt(0)
	ds_write_b128 v6, v[2:5]
	s_waitcnt lgkmcnt(0)
	; wave barrier
	s_waitcnt lgkmcnt(0)
	s_and_saveexec_b64 s[4:5], vcc
	s_cbranch_execz .LBB109_191
; %bb.188:
	v_pk_mov_b32 v[2:3], 0, 0
	v_add_u32_e32 v8, -1, v254
	v_add_u32_e32 v9, 0x2e0, v1
	v_add_u32_e32 v10, 16, v1
	s_mov_b64 s[6:7], 0
	v_pk_mov_b32 v[4:5], v[2:3], v[2:3] op_sel:[0,1]
.LBB109_189:                            ; =>This Inner Loop Header: Depth=1
	buffer_load_dword v16, v10, s[0:3], 0 offen offset:8
	buffer_load_dword v17, v10, s[0:3], 0 offen offset:12
	buffer_load_dword v18, v10, s[0:3], 0 offen
	buffer_load_dword v19, v10, s[0:3], 0 offen offset:4
	ds_read_b128 v[12:15], v9
	v_add_u32_e32 v8, 1, v8
	v_cmp_lt_u32_e32 vcc, 42, v8
	v_add_u32_e32 v9, 16, v9
	v_add_u32_e32 v10, 16, v10
	s_or_b64 s[6:7], vcc, s[6:7]
	s_waitcnt vmcnt(2) lgkmcnt(0)
	v_mul_f64 v[20:21], v[14:15], v[16:17]
	v_mul_f64 v[16:17], v[12:13], v[16:17]
	s_waitcnt vmcnt(0)
	v_fma_f64 v[12:13], v[12:13], v[18:19], -v[20:21]
	v_fmac_f64_e32 v[16:17], v[14:15], v[18:19]
	v_add_f64 v[4:5], v[4:5], v[12:13]
	v_add_f64 v[2:3], v[2:3], v[16:17]
	s_andn2_b64 exec, exec, s[6:7]
	s_cbranch_execnz .LBB109_189
; %bb.190:
	s_or_b64 exec, exec, s[6:7]
	v_mov_b32_e32 v0, 0
	ds_read_b128 v[8:11], v0 offset:704
	s_waitcnt lgkmcnt(0)
	v_mul_f64 v[12:13], v[2:3], v[10:11]
	v_mul_f64 v[10:11], v[4:5], v[10:11]
	v_fma_f64 v[4:5], v[4:5], v[8:9], -v[12:13]
	v_fmac_f64_e32 v[10:11], v[2:3], v[8:9]
	buffer_store_dword v5, off, s[0:3], 0 offset:724
	buffer_store_dword v4, off, s[0:3], 0 offset:720
	;; [unrolled: 1-line block ×4, first 2 shown]
.LBB109_191:
	s_or_b64 exec, exec, s[4:5]
	v_accvgpr_read_b32 v0, a92
	s_waitcnt lgkmcnt(0)
	; wave barrier
	buffer_load_dword v2, v0, s[0:3], 0 offen
	buffer_load_dword v3, v0, s[0:3], 0 offen offset:4
	buffer_load_dword v4, v0, s[0:3], 0 offen offset:8
	buffer_load_dword v5, v0, s[0:3], 0 offen offset:12
	v_cmp_ne_u32_e32 vcc, 45, v254
	s_waitcnt vmcnt(0)
	ds_write_b128 v6, v[2:5]
	s_waitcnt lgkmcnt(0)
	; wave barrier
	s_waitcnt lgkmcnt(0)
	s_and_saveexec_b64 s[4:5], vcc
	s_cbranch_execz .LBB109_195
; %bb.192:
	v_pk_mov_b32 v[2:3], 0, 0
	v_add_u32_e32 v6, 0x2e0, v1
	v_add_u32_e32 v1, 16, v1
	s_mov_b64 s[6:7], 0
	v_pk_mov_b32 v[4:5], v[2:3], v[2:3] op_sel:[0,1]
.LBB109_193:                            ; =>This Inner Loop Header: Depth=1
	buffer_load_dword v12, v1, s[0:3], 0 offen offset:8
	buffer_load_dword v13, v1, s[0:3], 0 offen offset:12
	buffer_load_dword v14, v1, s[0:3], 0 offen
	buffer_load_dword v15, v1, s[0:3], 0 offen offset:4
	ds_read_b128 v[8:11], v6
	v_add_u32_e32 v7, 1, v7
	v_cmp_lt_u32_e32 vcc, 43, v7
	v_add_u32_e32 v6, 16, v6
	v_add_u32_e32 v1, 16, v1
	s_or_b64 s[6:7], vcc, s[6:7]
	s_waitcnt vmcnt(2) lgkmcnt(0)
	v_mul_f64 v[16:17], v[10:11], v[12:13]
	v_mul_f64 v[12:13], v[8:9], v[12:13]
	s_waitcnt vmcnt(0)
	v_fma_f64 v[8:9], v[8:9], v[14:15], -v[16:17]
	v_fmac_f64_e32 v[12:13], v[10:11], v[14:15]
	v_add_f64 v[4:5], v[4:5], v[8:9]
	v_add_f64 v[2:3], v[2:3], v[12:13]
	s_andn2_b64 exec, exec, s[6:7]
	s_cbranch_execnz .LBB109_193
; %bb.194:
	s_or_b64 exec, exec, s[6:7]
	v_mov_b32_e32 v0, 0
	ds_read_b128 v[6:9], v0 offset:720
	s_waitcnt lgkmcnt(0)
	v_mul_f64 v[10:11], v[2:3], v[8:9]
	v_mul_f64 v[8:9], v[4:5], v[8:9]
	v_fma_f64 v[4:5], v[4:5], v[6:7], -v[10:11]
	v_fmac_f64_e32 v[8:9], v[2:3], v[6:7]
	buffer_store_dword v5, off, s[0:3], 0 offset:740
	buffer_store_dword v4, off, s[0:3], 0 offset:736
	;; [unrolled: 1-line block ×4, first 2 shown]
.LBB109_195:
	s_or_b64 exec, exec, s[4:5]
	s_mov_b64 s[6:7], -1
	s_waitcnt lgkmcnt(0)
	; wave barrier
.LBB109_196:
	s_and_b64 vcc, exec, s[6:7]
	s_cbranch_vccz .LBB109_198
; %bb.197:
	s_lshl_b64 s[4:5], s[8:9], 2
	s_add_u32 s4, s14, s4
	s_addc_u32 s5, s15, s5
	v_mov_b32_e32 v0, 0
	global_load_dword v0, v0, s[4:5]
	s_waitcnt vmcnt(0)
	v_cmp_ne_u32_e32 vcc, 0, v0
	s_cbranch_vccz .LBB109_199
.LBB109_198:
	s_endpgm
.LBB109_199:
	v_mov_b32_e32 v0, 0x2e0
	v_lshl_add_u32 v0, v254, 4, v0
	v_accvgpr_write_b32 a138, v0
	v_cmp_eq_u32_e32 vcc, 45, v254
	s_and_saveexec_b64 s[4:5], vcc
	s_cbranch_execz .LBB109_201
; %bb.200:
	v_accvgpr_read_b32 v0, a93
	buffer_load_dword v2, v0, s[0:3], 0 offen
	buffer_load_dword v3, v0, s[0:3], 0 offen offset:4
	buffer_load_dword v4, v0, s[0:3], 0 offen offset:8
	;; [unrolled: 1-line block ×3, first 2 shown]
	v_mov_b32_e32 v0, 0
	v_accvgpr_read_b32 v1, a138
	buffer_store_dword v0, off, s[0:3], 0 offset:720
	buffer_store_dword v0, off, s[0:3], 0 offset:724
	;; [unrolled: 1-line block ×4, first 2 shown]
	s_waitcnt vmcnt(4)
	ds_write_b128 v1, v[2:5]
.LBB109_201:
	s_or_b64 exec, exec, s[4:5]
	s_waitcnt lgkmcnt(0)
	; wave barrier
	s_waitcnt lgkmcnt(0)
	buffer_load_dword v6, off, s[0:3], 0 offset:744
	buffer_load_dword v7, off, s[0:3], 0 offset:748
	;; [unrolled: 1-line block ×8, first 2 shown]
	v_mov_b32_e32 v1, 0
	ds_read_b128 v[2:5], v1 offset:1456
	v_cmp_lt_u32_e32 vcc, 43, v254
	s_waitcnt vmcnt(6) lgkmcnt(0)
	v_mul_f64 v[14:15], v[2:3], v[6:7]
	v_mul_f64 v[6:7], v[4:5], v[6:7]
	s_waitcnt vmcnt(4)
	v_fma_f64 v[2:3], v[2:3], v[8:9], -v[6:7]
	v_fmac_f64_e32 v[14:15], v[4:5], v[8:9]
	v_add_f64 v[2:3], v[2:3], 0
	v_add_f64 v[4:5], v[14:15], 0
	s_waitcnt vmcnt(2)
	v_add_f64 v[2:3], v[10:11], -v[2:3]
	s_waitcnt vmcnt(0)
	v_add_f64 v[4:5], v[12:13], -v[4:5]
	buffer_store_dword v2, off, s[0:3], 0 offset:720
	buffer_store_dword v3, off, s[0:3], 0 offset:724
	;; [unrolled: 1-line block ×4, first 2 shown]
	s_and_saveexec_b64 s[4:5], vcc
	s_cbranch_execz .LBB109_203
; %bb.202:
	v_accvgpr_read_b32 v0, a94
	buffer_load_dword v2, v0, s[0:3], 0 offen
	buffer_load_dword v3, v0, s[0:3], 0 offen offset:4
	buffer_load_dword v4, v0, s[0:3], 0 offen offset:8
	;; [unrolled: 1-line block ×3, first 2 shown]
	v_accvgpr_read_b32 v0, a138
	buffer_store_dword v1, off, s[0:3], 0 offset:704
	buffer_store_dword v1, off, s[0:3], 0 offset:708
	;; [unrolled: 1-line block ×4, first 2 shown]
	s_waitcnt vmcnt(4)
	ds_write_b128 v0, v[2:5]
.LBB109_203:
	s_or_b64 exec, exec, s[4:5]
	s_waitcnt lgkmcnt(0)
	; wave barrier
	s_waitcnt lgkmcnt(0)
	buffer_load_dword v10, off, s[0:3], 0 offset:728
	buffer_load_dword v11, off, s[0:3], 0 offset:732
	buffer_load_dword v12, off, s[0:3], 0 offset:744
	buffer_load_dword v13, off, s[0:3], 0 offset:748
	buffer_load_dword v14, off, s[0:3], 0 offset:720
	buffer_load_dword v15, off, s[0:3], 0 offset:724
	buffer_load_dword v16, off, s[0:3], 0 offset:736
	buffer_load_dword v17, off, s[0:3], 0 offset:740
	buffer_load_dword v18, off, s[0:3], 0 offset:704
	buffer_load_dword v19, off, s[0:3], 0 offset:708
	buffer_load_dword v20, off, s[0:3], 0 offset:712
	buffer_load_dword v21, off, s[0:3], 0 offset:716
	ds_read_b128 v[2:5], v1 offset:1440
	ds_read_b128 v[6:9], v1 offset:1456
	v_cmp_lt_u32_e32 vcc, 42, v254
	s_waitcnt vmcnt(10) lgkmcnt(1)
	v_mul_f64 v[22:23], v[2:3], v[10:11]
	v_mul_f64 v[10:11], v[4:5], v[10:11]
	s_waitcnt vmcnt(8) lgkmcnt(0)
	v_mul_f64 v[24:25], v[6:7], v[12:13]
	v_mul_f64 v[12:13], v[8:9], v[12:13]
	s_waitcnt vmcnt(6)
	v_fma_f64 v[2:3], v[2:3], v[14:15], -v[10:11]
	v_fmac_f64_e32 v[22:23], v[4:5], v[14:15]
	s_waitcnt vmcnt(4)
	v_fma_f64 v[4:5], v[6:7], v[16:17], -v[12:13]
	v_add_f64 v[2:3], v[2:3], 0
	v_fmac_f64_e32 v[24:25], v[8:9], v[16:17]
	v_add_f64 v[6:7], v[22:23], 0
	v_add_f64 v[2:3], v[2:3], v[4:5]
	;; [unrolled: 1-line block ×3, first 2 shown]
	s_waitcnt vmcnt(2)
	v_add_f64 v[2:3], v[18:19], -v[2:3]
	s_waitcnt vmcnt(0)
	v_add_f64 v[4:5], v[20:21], -v[6:7]
	buffer_store_dword v2, off, s[0:3], 0 offset:704
	buffer_store_dword v3, off, s[0:3], 0 offset:708
	;; [unrolled: 1-line block ×4, first 2 shown]
	s_and_saveexec_b64 s[4:5], vcc
	s_cbranch_execz .LBB109_205
; %bb.204:
	v_accvgpr_read_b32 v0, a95
	buffer_load_dword v2, v0, s[0:3], 0 offen
	buffer_load_dword v3, v0, s[0:3], 0 offen offset:4
	buffer_load_dword v4, v0, s[0:3], 0 offen offset:8
	;; [unrolled: 1-line block ×3, first 2 shown]
	v_mov_b32_e32 v0, 0
	v_accvgpr_read_b32 v1, a138
	buffer_store_dword v0, off, s[0:3], 0 offset:688
	buffer_store_dword v0, off, s[0:3], 0 offset:692
	;; [unrolled: 1-line block ×4, first 2 shown]
	s_waitcnt vmcnt(4)
	ds_write_b128 v1, v[2:5]
.LBB109_205:
	s_or_b64 exec, exec, s[4:5]
	s_waitcnt lgkmcnt(0)
	; wave barrier
	s_waitcnt lgkmcnt(0)
	buffer_load_dword v14, off, s[0:3], 0 offset:712
	buffer_load_dword v15, off, s[0:3], 0 offset:716
	;; [unrolled: 1-line block ×16, first 2 shown]
	v_mov_b32_e32 v1, 0
	ds_read_b128 v[2:5], v1 offset:1424
	ds_read_b128 v[6:9], v1 offset:1440
	;; [unrolled: 1-line block ×3, first 2 shown]
	v_cmp_lt_u32_e32 vcc, 41, v254
	s_waitcnt vmcnt(14) lgkmcnt(2)
	v_mul_f64 v[30:31], v[2:3], v[14:15]
	v_mul_f64 v[14:15], v[4:5], v[14:15]
	s_waitcnt vmcnt(12) lgkmcnt(1)
	v_mul_f64 v[32:33], v[6:7], v[16:17]
	v_mul_f64 v[16:17], v[8:9], v[16:17]
	;; [unrolled: 3-line block ×3, first 2 shown]
	s_waitcnt vmcnt(8)
	v_fma_f64 v[2:3], v[2:3], v[20:21], -v[14:15]
	v_fmac_f64_e32 v[30:31], v[4:5], v[20:21]
	s_waitcnt vmcnt(6)
	v_fma_f64 v[4:5], v[6:7], v[22:23], -v[16:17]
	v_add_f64 v[2:3], v[2:3], 0
	v_fmac_f64_e32 v[32:33], v[8:9], v[22:23]
	s_waitcnt vmcnt(4)
	v_fma_f64 v[6:7], v[10:11], v[24:25], -v[18:19]
	v_add_f64 v[8:9], v[30:31], 0
	v_add_f64 v[2:3], v[2:3], v[4:5]
	v_fmac_f64_e32 v[34:35], v[12:13], v[24:25]
	v_add_f64 v[8:9], v[8:9], v[32:33]
	v_add_f64 v[2:3], v[2:3], v[6:7]
	;; [unrolled: 1-line block ×3, first 2 shown]
	s_waitcnt vmcnt(2)
	v_add_f64 v[2:3], v[26:27], -v[2:3]
	s_waitcnt vmcnt(0)
	v_add_f64 v[4:5], v[28:29], -v[4:5]
	buffer_store_dword v2, off, s[0:3], 0 offset:688
	buffer_store_dword v3, off, s[0:3], 0 offset:692
	;; [unrolled: 1-line block ×4, first 2 shown]
	s_and_saveexec_b64 s[4:5], vcc
	s_cbranch_execz .LBB109_207
; %bb.206:
	v_accvgpr_read_b32 v0, a96
	buffer_load_dword v2, v0, s[0:3], 0 offen
	buffer_load_dword v3, v0, s[0:3], 0 offen offset:4
	buffer_load_dword v4, v0, s[0:3], 0 offen offset:8
	;; [unrolled: 1-line block ×3, first 2 shown]
	v_accvgpr_read_b32 v0, a138
	buffer_store_dword v1, off, s[0:3], 0 offset:672
	buffer_store_dword v1, off, s[0:3], 0 offset:676
	;; [unrolled: 1-line block ×4, first 2 shown]
	s_waitcnt vmcnt(4)
	ds_write_b128 v0, v[2:5]
.LBB109_207:
	s_or_b64 exec, exec, s[4:5]
	s_waitcnt lgkmcnt(0)
	; wave barrier
	s_waitcnt lgkmcnt(0)
	buffer_load_dword v18, off, s[0:3], 0 offset:696
	buffer_load_dword v19, off, s[0:3], 0 offset:700
	;; [unrolled: 1-line block ×20, first 2 shown]
	ds_read_b128 v[2:5], v1 offset:1408
	ds_read_b128 v[6:9], v1 offset:1424
	;; [unrolled: 1-line block ×4, first 2 shown]
	v_cmp_lt_u32_e32 vcc, 40, v254
	s_waitcnt vmcnt(18) lgkmcnt(3)
	v_mul_f64 v[38:39], v[2:3], v[18:19]
	v_mul_f64 v[18:19], v[4:5], v[18:19]
	s_waitcnt vmcnt(16) lgkmcnt(2)
	v_mul_f64 v[40:41], v[6:7], v[20:21]
	v_mul_f64 v[20:21], v[8:9], v[20:21]
	;; [unrolled: 3-line block ×4, first 2 shown]
	s_waitcnt vmcnt(10)
	v_fma_f64 v[2:3], v[2:3], v[26:27], -v[18:19]
	v_fmac_f64_e32 v[38:39], v[4:5], v[26:27]
	s_waitcnt vmcnt(8)
	v_fma_f64 v[4:5], v[6:7], v[28:29], -v[20:21]
	v_add_f64 v[2:3], v[2:3], 0
	v_fmac_f64_e32 v[40:41], v[8:9], v[28:29]
	s_waitcnt vmcnt(6)
	v_fma_f64 v[6:7], v[10:11], v[30:31], -v[22:23]
	v_add_f64 v[10:11], v[38:39], 0
	v_add_f64 v[2:3], v[2:3], v[4:5]
	v_fmac_f64_e32 v[42:43], v[12:13], v[30:31]
	s_waitcnt vmcnt(4)
	v_fma_f64 v[8:9], v[14:15], v[32:33], -v[24:25]
	v_add_f64 v[10:11], v[10:11], v[40:41]
	v_add_f64 v[2:3], v[2:3], v[6:7]
	v_fmac_f64_e32 v[44:45], v[16:17], v[32:33]
	v_add_f64 v[4:5], v[10:11], v[42:43]
	v_add_f64 v[2:3], v[2:3], v[8:9]
	;; [unrolled: 1-line block ×3, first 2 shown]
	s_waitcnt vmcnt(2)
	v_add_f64 v[2:3], v[34:35], -v[2:3]
	s_waitcnt vmcnt(0)
	v_add_f64 v[4:5], v[36:37], -v[4:5]
	buffer_store_dword v2, off, s[0:3], 0 offset:672
	buffer_store_dword v3, off, s[0:3], 0 offset:676
	;; [unrolled: 1-line block ×4, first 2 shown]
	s_and_saveexec_b64 s[4:5], vcc
	s_cbranch_execz .LBB109_209
; %bb.208:
	v_accvgpr_read_b32 v0, a97
	buffer_load_dword v2, v0, s[0:3], 0 offen
	buffer_load_dword v3, v0, s[0:3], 0 offen offset:4
	buffer_load_dword v4, v0, s[0:3], 0 offen offset:8
	;; [unrolled: 1-line block ×3, first 2 shown]
	v_mov_b32_e32 v0, 0
	v_accvgpr_read_b32 v1, a138
	buffer_store_dword v0, off, s[0:3], 0 offset:656
	buffer_store_dword v0, off, s[0:3], 0 offset:660
	;; [unrolled: 1-line block ×4, first 2 shown]
	s_waitcnt vmcnt(4)
	ds_write_b128 v1, v[2:5]
.LBB109_209:
	s_or_b64 exec, exec, s[4:5]
	s_waitcnt lgkmcnt(0)
	; wave barrier
	s_waitcnt lgkmcnt(0)
	buffer_load_dword v22, off, s[0:3], 0 offset:680
	buffer_load_dword v23, off, s[0:3], 0 offset:684
	;; [unrolled: 1-line block ×24, first 2 shown]
	v_mov_b32_e32 v1, 0
	ds_read_b128 v[2:5], v1 offset:1392
	ds_read_b128 v[6:9], v1 offset:1408
	ds_read_b128 v[10:13], v1 offset:1424
	ds_read_b128 v[14:17], v1 offset:1440
	ds_read_b128 v[18:21], v1 offset:1456
	v_cmp_lt_u32_e32 vcc, 39, v254
	s_waitcnt vmcnt(22) lgkmcnt(4)
	v_mul_f64 v[46:47], v[2:3], v[22:23]
	v_mul_f64 v[22:23], v[4:5], v[22:23]
	s_waitcnt vmcnt(20) lgkmcnt(3)
	v_mul_f64 v[48:49], v[6:7], v[24:25]
	v_mul_f64 v[24:25], v[8:9], v[24:25]
	;; [unrolled: 3-line block ×4, first 2 shown]
	s_waitcnt vmcnt(13) lgkmcnt(0)
	v_mul_f64 v[54:55], v[18:19], v[28:29]
	s_waitcnt vmcnt(11)
	v_fma_f64 v[2:3], v[2:3], v[34:35], -v[22:23]
	v_fmac_f64_e32 v[46:47], v[4:5], v[34:35]
	s_waitcnt vmcnt(9)
	v_fma_f64 v[4:5], v[6:7], v[36:37], -v[24:25]
	v_add_f64 v[2:3], v[2:3], 0
	v_fmac_f64_e32 v[48:49], v[8:9], v[36:37]
	s_waitcnt vmcnt(7)
	v_fmac_f64_e32 v[50:51], v[12:13], v[38:39]
	v_fma_f64 v[6:7], v[10:11], v[38:39], -v[26:27]
	v_add_f64 v[12:13], v[46:47], 0
	v_add_f64 v[2:3], v[2:3], v[4:5]
	v_mul_f64 v[28:29], v[20:21], v[28:29]
	s_waitcnt vmcnt(5)
	v_fma_f64 v[8:9], v[14:15], v[40:41], -v[32:33]
	v_add_f64 v[12:13], v[12:13], v[48:49]
	v_add_f64 v[2:3], v[2:3], v[6:7]
	v_fmac_f64_e32 v[52:53], v[16:17], v[40:41]
	s_waitcnt vmcnt(4)
	v_fma_f64 v[10:11], v[18:19], v[30:31], -v[28:29]
	v_add_f64 v[4:5], v[12:13], v[50:51]
	v_add_f64 v[2:3], v[2:3], v[8:9]
	v_fmac_f64_e32 v[54:55], v[20:21], v[30:31]
	v_add_f64 v[4:5], v[4:5], v[52:53]
	v_add_f64 v[2:3], v[2:3], v[10:11]
	;; [unrolled: 1-line block ×3, first 2 shown]
	s_waitcnt vmcnt(2)
	v_add_f64 v[2:3], v[42:43], -v[2:3]
	s_waitcnt vmcnt(0)
	v_add_f64 v[4:5], v[44:45], -v[4:5]
	buffer_store_dword v3, off, s[0:3], 0 offset:660
	buffer_store_dword v2, off, s[0:3], 0 offset:656
	;; [unrolled: 1-line block ×4, first 2 shown]
	s_and_saveexec_b64 s[4:5], vcc
	s_cbranch_execz .LBB109_211
; %bb.210:
	v_accvgpr_read_b32 v0, a98
	buffer_load_dword v2, v0, s[0:3], 0 offen
	buffer_load_dword v3, v0, s[0:3], 0 offen offset:4
	buffer_load_dword v4, v0, s[0:3], 0 offen offset:8
	;; [unrolled: 1-line block ×3, first 2 shown]
	v_accvgpr_read_b32 v0, a138
	buffer_store_dword v1, off, s[0:3], 0 offset:640
	buffer_store_dword v1, off, s[0:3], 0 offset:644
	;; [unrolled: 1-line block ×4, first 2 shown]
	s_waitcnt vmcnt(4)
	ds_write_b128 v0, v[2:5]
.LBB109_211:
	s_or_b64 exec, exec, s[4:5]
	s_waitcnt lgkmcnt(0)
	; wave barrier
	s_waitcnt lgkmcnt(0)
	buffer_load_dword v26, off, s[0:3], 0 offset:664
	buffer_load_dword v27, off, s[0:3], 0 offset:668
	;; [unrolled: 1-line block ×28, first 2 shown]
	ds_read_b128 v[2:5], v1 offset:1376
	ds_read_b128 v[6:9], v1 offset:1392
	;; [unrolled: 1-line block ×6, first 2 shown]
	v_cmp_lt_u32_e32 vcc, 38, v254
	s_waitcnt vmcnt(26) lgkmcnt(5)
	v_mul_f64 v[54:55], v[2:3], v[26:27]
	v_mul_f64 v[26:27], v[4:5], v[26:27]
	s_waitcnt vmcnt(24) lgkmcnt(4)
	v_mul_f64 v[56:57], v[6:7], v[28:29]
	v_mul_f64 v[28:29], v[8:9], v[28:29]
	;; [unrolled: 3-line block ×4, first 2 shown]
	s_waitcnt vmcnt(17)
	v_mul_f64 v[60:61], v[14:15], v[36:37]
	v_mul_f64 v[36:37], v[16:17], v[36:37]
	s_waitcnt vmcnt(15) lgkmcnt(0)
	v_mul_f64 v[64:65], v[22:23], v[38:39]
	v_mul_f64 v[38:39], v[24:25], v[38:39]
	s_waitcnt vmcnt(14)
	v_fmac_f64_e32 v[62:63], v[20:21], v[34:35]
	s_waitcnt vmcnt(12)
	v_fma_f64 v[2:3], v[2:3], v[40:41], -v[26:27]
	v_fmac_f64_e32 v[54:55], v[4:5], v[40:41]
	s_waitcnt vmcnt(10)
	v_fma_f64 v[4:5], v[6:7], v[42:43], -v[28:29]
	v_add_f64 v[2:3], v[2:3], 0
	v_fmac_f64_e32 v[56:57], v[8:9], v[42:43]
	s_waitcnt vmcnt(8)
	v_fma_f64 v[6:7], v[10:11], v[44:45], -v[30:31]
	s_waitcnt vmcnt(6)
	v_fma_f64 v[8:9], v[14:15], v[46:47], -v[36:37]
	v_add_f64 v[14:15], v[54:55], 0
	v_add_f64 v[2:3], v[2:3], v[4:5]
	v_fmac_f64_e32 v[58:59], v[12:13], v[44:45]
	v_add_f64 v[14:15], v[14:15], v[56:57]
	v_add_f64 v[2:3], v[2:3], v[6:7]
	v_fmac_f64_e32 v[60:61], v[16:17], v[46:47]
	v_fma_f64 v[10:11], v[18:19], v[34:35], -v[32:33]
	v_add_f64 v[4:5], v[14:15], v[58:59]
	v_add_f64 v[2:3], v[2:3], v[8:9]
	s_waitcnt vmcnt(4)
	v_fma_f64 v[12:13], v[22:23], v[48:49], -v[38:39]
	v_add_f64 v[4:5], v[4:5], v[60:61]
	v_add_f64 v[2:3], v[2:3], v[10:11]
	v_fmac_f64_e32 v[64:65], v[24:25], v[48:49]
	v_add_f64 v[4:5], v[4:5], v[62:63]
	v_add_f64 v[2:3], v[2:3], v[12:13]
	;; [unrolled: 1-line block ×3, first 2 shown]
	s_waitcnt vmcnt(2)
	v_add_f64 v[2:3], v[50:51], -v[2:3]
	s_waitcnt vmcnt(0)
	v_add_f64 v[4:5], v[52:53], -v[4:5]
	buffer_store_dword v3, off, s[0:3], 0 offset:644
	buffer_store_dword v2, off, s[0:3], 0 offset:640
	;; [unrolled: 1-line block ×4, first 2 shown]
	s_and_saveexec_b64 s[4:5], vcc
	s_cbranch_execz .LBB109_213
; %bb.212:
	v_accvgpr_read_b32 v0, a99
	buffer_load_dword v2, v0, s[0:3], 0 offen
	buffer_load_dword v3, v0, s[0:3], 0 offen offset:4
	buffer_load_dword v4, v0, s[0:3], 0 offen offset:8
	;; [unrolled: 1-line block ×3, first 2 shown]
	v_mov_b32_e32 v0, 0
	v_accvgpr_read_b32 v1, a138
	buffer_store_dword v0, off, s[0:3], 0 offset:624
	buffer_store_dword v0, off, s[0:3], 0 offset:628
	;; [unrolled: 1-line block ×4, first 2 shown]
	s_waitcnt vmcnt(4)
	ds_write_b128 v1, v[2:5]
.LBB109_213:
	s_or_b64 exec, exec, s[4:5]
	s_waitcnt lgkmcnt(0)
	; wave barrier
	s_waitcnt lgkmcnt(0)
	buffer_load_dword v30, off, s[0:3], 0 offset:648
	buffer_load_dword v31, off, s[0:3], 0 offset:652
	;; [unrolled: 1-line block ×32, first 2 shown]
	v_mov_b32_e32 v1, 0
	ds_read_b128 v[2:5], v1 offset:1360
	ds_read_b128 v[6:9], v1 offset:1376
	;; [unrolled: 1-line block ×7, first 2 shown]
	v_cmp_lt_u32_e32 vcc, 37, v254
	s_waitcnt vmcnt(30) lgkmcnt(6)
	v_mul_f64 v[62:63], v[2:3], v[30:31]
	v_mul_f64 v[30:31], v[4:5], v[30:31]
	s_waitcnt vmcnt(28) lgkmcnt(5)
	v_mul_f64 v[64:65], v[6:7], v[32:33]
	v_mul_f64 v[32:33], v[8:9], v[32:33]
	;; [unrolled: 3-line block ×4, first 2 shown]
	s_waitcnt vmcnt(21)
	v_mul_f64 v[68:69], v[14:15], v[40:41]
	v_mul_f64 v[40:41], v[16:17], v[40:41]
	s_waitcnt vmcnt(17) lgkmcnt(1)
	v_mul_f64 v[72:73], v[22:23], v[46:47]
	v_mul_f64 v[46:47], v[24:25], v[46:47]
	s_waitcnt vmcnt(16) lgkmcnt(0)
	v_mul_f64 v[74:75], v[26:27], v[42:43]
	v_mul_f64 v[42:43], v[28:29], v[42:43]
	s_waitcnt vmcnt(13)
	v_fma_f64 v[2:3], v[2:3], v[48:49], -v[30:31]
	v_fmac_f64_e32 v[62:63], v[4:5], v[48:49]
	s_waitcnt vmcnt(11)
	v_fma_f64 v[4:5], v[6:7], v[50:51], -v[32:33]
	v_add_f64 v[2:3], v[2:3], 0
	v_fmac_f64_e32 v[64:65], v[8:9], v[50:51]
	s_waitcnt vmcnt(9)
	v_fma_f64 v[6:7], v[10:11], v[52:53], -v[34:35]
	s_waitcnt vmcnt(7)
	v_fmac_f64_e32 v[68:69], v[16:17], v[54:55]
	v_add_f64 v[16:17], v[62:63], 0
	v_add_f64 v[2:3], v[2:3], v[4:5]
	v_fmac_f64_e32 v[66:67], v[12:13], v[52:53]
	v_fma_f64 v[8:9], v[14:15], v[54:55], -v[40:41]
	v_add_f64 v[16:17], v[16:17], v[64:65]
	v_add_f64 v[2:3], v[2:3], v[6:7]
	v_fma_f64 v[10:11], v[18:19], v[38:39], -v[36:37]
	v_add_f64 v[4:5], v[16:17], v[66:67]
	v_add_f64 v[2:3], v[2:3], v[8:9]
	v_fmac_f64_e32 v[70:71], v[20:21], v[38:39]
	s_waitcnt vmcnt(5)
	v_fma_f64 v[12:13], v[22:23], v[56:57], -v[46:47]
	v_add_f64 v[4:5], v[4:5], v[68:69]
	v_add_f64 v[2:3], v[2:3], v[10:11]
	v_fmac_f64_e32 v[72:73], v[24:25], v[56:57]
	s_waitcnt vmcnt(4)
	v_fma_f64 v[14:15], v[26:27], v[44:45], -v[42:43]
	v_add_f64 v[4:5], v[4:5], v[70:71]
	v_add_f64 v[2:3], v[2:3], v[12:13]
	v_fmac_f64_e32 v[74:75], v[28:29], v[44:45]
	v_add_f64 v[4:5], v[4:5], v[72:73]
	v_add_f64 v[2:3], v[2:3], v[14:15]
	;; [unrolled: 1-line block ×3, first 2 shown]
	s_waitcnt vmcnt(2)
	v_add_f64 v[2:3], v[58:59], -v[2:3]
	s_waitcnt vmcnt(0)
	v_add_f64 v[4:5], v[60:61], -v[4:5]
	buffer_store_dword v3, off, s[0:3], 0 offset:628
	buffer_store_dword v2, off, s[0:3], 0 offset:624
	;; [unrolled: 1-line block ×4, first 2 shown]
	s_and_saveexec_b64 s[4:5], vcc
	s_cbranch_execz .LBB109_215
; %bb.214:
	v_accvgpr_read_b32 v0, a100
	buffer_load_dword v2, v0, s[0:3], 0 offen
	buffer_load_dword v3, v0, s[0:3], 0 offen offset:4
	buffer_load_dword v4, v0, s[0:3], 0 offen offset:8
	;; [unrolled: 1-line block ×3, first 2 shown]
	v_accvgpr_read_b32 v0, a138
	buffer_store_dword v1, off, s[0:3], 0 offset:608
	buffer_store_dword v1, off, s[0:3], 0 offset:612
	;; [unrolled: 1-line block ×4, first 2 shown]
	s_waitcnt vmcnt(4)
	ds_write_b128 v0, v[2:5]
.LBB109_215:
	s_or_b64 exec, exec, s[4:5]
	s_waitcnt lgkmcnt(0)
	; wave barrier
	s_waitcnt lgkmcnt(0)
	buffer_load_dword v34, off, s[0:3], 0 offset:632
	buffer_load_dword v35, off, s[0:3], 0 offset:636
	;; [unrolled: 1-line block ×36, first 2 shown]
	ds_read_b128 v[2:5], v1 offset:1344
	ds_read_b128 v[6:9], v1 offset:1360
	;; [unrolled: 1-line block ×8, first 2 shown]
	v_cmp_lt_u32_e32 vcc, 36, v254
	s_waitcnt vmcnt(34) lgkmcnt(7)
	v_mul_f64 v[70:71], v[2:3], v[34:35]
	v_mul_f64 v[34:35], v[4:5], v[34:35]
	s_waitcnt vmcnt(32) lgkmcnt(6)
	v_mul_f64 v[72:73], v[6:7], v[36:37]
	v_mul_f64 v[36:37], v[8:9], v[36:37]
	s_waitcnt vmcnt(30) lgkmcnt(5)
	v_mul_f64 v[74:75], v[10:11], v[38:39]
	v_mul_f64 v[38:39], v[12:13], v[38:39]
	s_waitcnt vmcnt(28) lgkmcnt(3)
	v_mul_f64 v[78:79], v[18:19], v[40:41]
	v_mul_f64 v[40:41], v[20:21], v[40:41]
	s_waitcnt vmcnt(25)
	v_mul_f64 v[76:77], v[14:15], v[44:45]
	v_mul_f64 v[44:45], v[16:17], v[44:45]
	s_waitcnt vmcnt(23) lgkmcnt(1)
	v_mul_f64 v[82:83], v[26:27], v[46:47]
	v_mul_f64 v[46:47], v[28:29], v[46:47]
	s_waitcnt vmcnt(20)
	v_mul_f64 v[80:81], v[22:23], v[50:51]
	v_mul_f64 v[50:51], v[24:25], v[50:51]
	s_waitcnt vmcnt(18) lgkmcnt(0)
	v_mul_f64 v[84:85], v[30:31], v[52:53]
	s_waitcnt vmcnt(17)
	v_fmac_f64_e32 v[78:79], v[20:21], v[42:43]
	s_waitcnt vmcnt(16)
	v_fmac_f64_e32 v[82:83], v[28:29], v[48:49]
	s_waitcnt vmcnt(14)
	v_fma_f64 v[2:3], v[2:3], v[54:55], -v[34:35]
	v_fmac_f64_e32 v[70:71], v[4:5], v[54:55]
	s_waitcnt vmcnt(12)
	v_fma_f64 v[4:5], v[6:7], v[56:57], -v[36:37]
	v_add_f64 v[2:3], v[2:3], 0
	v_fmac_f64_e32 v[72:73], v[8:9], v[56:57]
	s_waitcnt vmcnt(10)
	v_fma_f64 v[6:7], v[10:11], v[58:59], -v[38:39]
	s_waitcnt vmcnt(8)
	v_fmac_f64_e32 v[76:77], v[16:17], v[60:61]
	v_add_f64 v[16:17], v[70:71], 0
	v_add_f64 v[2:3], v[2:3], v[4:5]
	v_fmac_f64_e32 v[74:75], v[12:13], v[58:59]
	v_fma_f64 v[8:9], v[14:15], v[60:61], -v[44:45]
	v_add_f64 v[16:17], v[16:17], v[72:73]
	v_add_f64 v[2:3], v[2:3], v[6:7]
	v_fma_f64 v[10:11], v[18:19], v[42:43], -v[40:41]
	v_add_f64 v[4:5], v[16:17], v[74:75]
	v_add_f64 v[2:3], v[2:3], v[8:9]
	s_waitcnt vmcnt(6)
	v_fma_f64 v[12:13], v[22:23], v[62:63], -v[50:51]
	v_add_f64 v[4:5], v[4:5], v[76:77]
	v_add_f64 v[2:3], v[2:3], v[10:11]
	v_fmac_f64_e32 v[80:81], v[24:25], v[62:63]
	v_fma_f64 v[14:15], v[26:27], v[48:49], -v[46:47]
	v_add_f64 v[4:5], v[4:5], v[78:79]
	v_add_f64 v[2:3], v[2:3], v[12:13]
	v_mul_f64 v[6:7], v[32:33], v[52:53]
	v_add_f64 v[4:5], v[4:5], v[80:81]
	v_add_f64 v[2:3], v[2:3], v[14:15]
	s_waitcnt vmcnt(4)
	v_fma_f64 v[6:7], v[30:31], v[64:65], -v[6:7]
	v_fmac_f64_e32 v[84:85], v[32:33], v[64:65]
	v_add_f64 v[4:5], v[4:5], v[82:83]
	v_add_f64 v[2:3], v[2:3], v[6:7]
	;; [unrolled: 1-line block ×3, first 2 shown]
	s_waitcnt vmcnt(2)
	v_add_f64 v[2:3], v[66:67], -v[2:3]
	s_waitcnt vmcnt(0)
	v_add_f64 v[4:5], v[68:69], -v[4:5]
	buffer_store_dword v3, off, s[0:3], 0 offset:612
	buffer_store_dword v2, off, s[0:3], 0 offset:608
	;; [unrolled: 1-line block ×4, first 2 shown]
	s_and_saveexec_b64 s[4:5], vcc
	s_cbranch_execz .LBB109_217
; %bb.216:
	v_accvgpr_read_b32 v0, a101
	buffer_load_dword v2, v0, s[0:3], 0 offen
	buffer_load_dword v3, v0, s[0:3], 0 offen offset:4
	buffer_load_dword v4, v0, s[0:3], 0 offen offset:8
	;; [unrolled: 1-line block ×3, first 2 shown]
	v_mov_b32_e32 v0, 0
	v_accvgpr_read_b32 v1, a138
	buffer_store_dword v0, off, s[0:3], 0 offset:592
	buffer_store_dword v0, off, s[0:3], 0 offset:596
	buffer_store_dword v0, off, s[0:3], 0 offset:600
	buffer_store_dword v0, off, s[0:3], 0 offset:604
	s_waitcnt vmcnt(4)
	ds_write_b128 v1, v[2:5]
.LBB109_217:
	s_or_b64 exec, exec, s[4:5]
	s_waitcnt lgkmcnt(0)
	; wave barrier
	s_waitcnt lgkmcnt(0)
	buffer_load_dword v38, off, s[0:3], 0 offset:616
	buffer_load_dword v39, off, s[0:3], 0 offset:620
	;; [unrolled: 1-line block ×40, first 2 shown]
	v_mov_b32_e32 v1, 0
	ds_read_b128 v[2:5], v1 offset:1328
	ds_read_b128 v[6:9], v1 offset:1344
	;; [unrolled: 1-line block ×9, first 2 shown]
	v_cmp_lt_u32_e32 vcc, 35, v254
	s_waitcnt vmcnt(38) lgkmcnt(8)
	v_mul_f64 v[78:79], v[2:3], v[38:39]
	v_mul_f64 v[38:39], v[4:5], v[38:39]
	s_waitcnt vmcnt(36) lgkmcnt(7)
	v_mul_f64 v[80:81], v[6:7], v[40:41]
	v_mul_f64 v[40:41], v[8:9], v[40:41]
	;; [unrolled: 3-line block ×3, first 2 shown]
	s_waitcnt vmcnt(32) lgkmcnt(4)
	v_mul_f64 v[86:87], v[18:19], v[44:45]
	s_waitcnt vmcnt(30)
	v_fmac_f64_e32 v[86:87], v[20:21], v[46:47]
	s_waitcnt vmcnt(28)
	v_mul_f64 v[84:85], v[14:15], v[48:49]
	v_mul_f64 v[48:49], v[16:17], v[48:49]
	s_waitcnt vmcnt(26) lgkmcnt(2)
	v_mul_f64 v[90:91], v[26:27], v[50:51]
	s_waitcnt vmcnt(24)
	v_fmac_f64_e32 v[90:91], v[28:29], v[52:53]
	s_waitcnt vmcnt(22)
	v_mul_f64 v[88:89], v[22:23], v[54:55]
	s_waitcnt vmcnt(18) lgkmcnt(1)
	v_mul_f64 v[92:93], v[30:31], v[60:61]
	s_waitcnt vmcnt(17) lgkmcnt(0)
	v_mul_f64 v[94:95], v[34:35], v[56:57]
	s_waitcnt vmcnt(15)
	v_fma_f64 v[2:3], v[2:3], v[62:63], -v[38:39]
	v_fmac_f64_e32 v[78:79], v[4:5], v[62:63]
	s_waitcnt vmcnt(13)
	v_fma_f64 v[4:5], v[6:7], v[64:65], -v[40:41]
	v_add_f64 v[2:3], v[2:3], 0
	s_waitcnt vmcnt(11)
	v_fma_f64 v[6:7], v[10:11], v[66:67], -v[42:43]
	v_add_f64 v[2:3], v[2:3], v[4:5]
	v_fmac_f64_e32 v[80:81], v[8:9], v[64:65]
	s_waitcnt vmcnt(9)
	v_fma_f64 v[8:9], v[14:15], v[68:69], -v[48:49]
	v_add_f64 v[2:3], v[2:3], v[6:7]
	v_mul_f64 v[6:7], v[20:21], v[44:45]
	v_add_f64 v[2:3], v[2:3], v[8:9]
	v_fma_f64 v[6:7], v[18:19], v[46:47], -v[6:7]
	v_add_f64 v[2:3], v[2:3], v[6:7]
	v_mul_f64 v[6:7], v[24:25], v[54:55]
	v_add_f64 v[10:11], v[78:79], 0
	s_waitcnt vmcnt(7)
	v_fma_f64 v[6:7], v[22:23], v[70:71], -v[6:7]
	v_fmac_f64_e32 v[82:83], v[12:13], v[66:67]
	v_add_f64 v[10:11], v[10:11], v[80:81]
	v_add_f64 v[2:3], v[2:3], v[6:7]
	v_mul_f64 v[6:7], v[28:29], v[50:51]
	v_fmac_f64_e32 v[84:85], v[16:17], v[68:69]
	v_add_f64 v[4:5], v[10:11], v[82:83]
	v_fma_f64 v[6:7], v[26:27], v[52:53], -v[6:7]
	v_add_f64 v[4:5], v[4:5], v[84:85]
	v_add_f64 v[2:3], v[2:3], v[6:7]
	v_mul_f64 v[6:7], v[32:33], v[60:61]
	v_fmac_f64_e32 v[88:89], v[24:25], v[70:71]
	v_add_f64 v[4:5], v[4:5], v[86:87]
	s_waitcnt vmcnt(5)
	v_fma_f64 v[6:7], v[30:31], v[72:73], -v[6:7]
	v_add_f64 v[4:5], v[4:5], v[88:89]
	v_add_f64 v[2:3], v[2:3], v[6:7]
	v_mul_f64 v[6:7], v[36:37], v[56:57]
	v_fmac_f64_e32 v[92:93], v[32:33], v[72:73]
	v_add_f64 v[4:5], v[4:5], v[90:91]
	s_waitcnt vmcnt(4)
	v_fma_f64 v[6:7], v[34:35], v[58:59], -v[6:7]
	v_fmac_f64_e32 v[94:95], v[36:37], v[58:59]
	v_add_f64 v[4:5], v[4:5], v[92:93]
	v_add_f64 v[2:3], v[2:3], v[6:7]
	;; [unrolled: 1-line block ×3, first 2 shown]
	s_waitcnt vmcnt(2)
	v_add_f64 v[2:3], v[74:75], -v[2:3]
	s_waitcnt vmcnt(0)
	v_add_f64 v[4:5], v[76:77], -v[4:5]
	buffer_store_dword v3, off, s[0:3], 0 offset:596
	buffer_store_dword v2, off, s[0:3], 0 offset:592
	;; [unrolled: 1-line block ×4, first 2 shown]
	s_and_saveexec_b64 s[4:5], vcc
	s_cbranch_execz .LBB109_219
; %bb.218:
	v_accvgpr_read_b32 v0, a102
	buffer_load_dword v2, v0, s[0:3], 0 offen
	buffer_load_dword v3, v0, s[0:3], 0 offen offset:4
	buffer_load_dword v4, v0, s[0:3], 0 offen offset:8
	;; [unrolled: 1-line block ×3, first 2 shown]
	v_accvgpr_read_b32 v0, a138
	buffer_store_dword v1, off, s[0:3], 0 offset:576
	buffer_store_dword v1, off, s[0:3], 0 offset:580
	buffer_store_dword v1, off, s[0:3], 0 offset:584
	buffer_store_dword v1, off, s[0:3], 0 offset:588
	s_waitcnt vmcnt(4)
	ds_write_b128 v0, v[2:5]
.LBB109_219:
	s_or_b64 exec, exec, s[4:5]
	s_waitcnt lgkmcnt(0)
	; wave barrier
	s_waitcnt lgkmcnt(0)
	buffer_load_dword v4, off, s[0:3], 0 offset:592
	buffer_load_dword v5, off, s[0:3], 0 offset:596
	;; [unrolled: 1-line block ×44, first 2 shown]
	ds_read_b128 v[6:9], v1 offset:1312
	ds_read_b128 v[10:13], v1 offset:1328
	;; [unrolled: 1-line block ×10, first 2 shown]
	v_cmp_lt_u32_e32 vcc, 34, v254
	s_waitcnt vmcnt(40) lgkmcnt(9)
	v_mul_f64 v[86:87], v[6:7], v[46:47]
	v_mul_f64 v[46:47], v[8:9], v[46:47]
	s_waitcnt vmcnt(38) lgkmcnt(8)
	v_mul_f64 v[88:89], v[10:11], v[48:49]
	v_mul_f64 v[48:49], v[12:13], v[48:49]
	v_fmac_f64_e32 v[86:87], v[8:9], v[4:5]
	v_fma_f64 v[4:5], v[6:7], v[4:5], -v[46:47]
	s_waitcnt vmcnt(36) lgkmcnt(7)
	v_mul_f64 v[90:91], v[14:15], v[2:3]
	v_add_f64 v[4:5], v[4:5], 0
	v_mul_f64 v[2:3], v[16:17], v[2:3]
	v_add_f64 v[8:9], v[86:87], 0
	s_waitcnt vmcnt(30) lgkmcnt(6)
	v_mul_f64 v[92:93], v[18:19], v[54:55]
	s_waitcnt lgkmcnt(5)
	v_mul_f64 v[94:95], v[22:23], v[50:51]
	v_fmac_f64_e32 v[94:95], v[24:25], v[52:53]
	s_waitcnt vmcnt(28) lgkmcnt(3)
	v_mul_f64 v[98:99], v[30:31], v[56:57]
	s_waitcnt vmcnt(26)
	v_fmac_f64_e32 v[98:99], v[32:33], v[58:59]
	s_waitcnt vmcnt(24)
	v_mul_f64 v[96:97], v[26:27], v[60:61]
	s_waitcnt vmcnt(22) lgkmcnt(1)
	v_mul_f64 v[102:103], v[38:39], v[62:63]
	s_waitcnt vmcnt(20)
	v_fmac_f64_e32 v[102:103], v[40:41], v[64:65]
	s_waitcnt vmcnt(18)
	v_mul_f64 v[100:101], v[34:35], v[66:67]
	s_waitcnt vmcnt(16) lgkmcnt(0)
	v_mul_f64 v[104:105], v[42:43], v[68:69]
	s_waitcnt vmcnt(14)
	v_fma_f64 v[6:7], v[10:11], v[70:71], -v[48:49]
	v_add_f64 v[4:5], v[4:5], v[6:7]
	s_waitcnt vmcnt(12)
	v_fma_f64 v[2:3], v[14:15], v[72:73], -v[2:3]
	v_add_f64 v[2:3], v[4:5], v[2:3]
	v_mul_f64 v[4:5], v[20:21], v[54:55]
	s_waitcnt vmcnt(10)
	v_fma_f64 v[4:5], v[18:19], v[74:75], -v[4:5]
	v_add_f64 v[2:3], v[2:3], v[4:5]
	v_mul_f64 v[4:5], v[24:25], v[50:51]
	v_fma_f64 v[4:5], v[22:23], v[52:53], -v[4:5]
	v_add_f64 v[2:3], v[2:3], v[4:5]
	v_mul_f64 v[4:5], v[28:29], v[60:61]
	s_waitcnt vmcnt(8)
	v_fma_f64 v[4:5], v[26:27], v[76:77], -v[4:5]
	v_fmac_f64_e32 v[88:89], v[12:13], v[70:71]
	v_add_f64 v[2:3], v[2:3], v[4:5]
	v_mul_f64 v[4:5], v[32:33], v[56:57]
	v_fmac_f64_e32 v[90:91], v[16:17], v[72:73]
	v_add_f64 v[8:9], v[8:9], v[88:89]
	v_fma_f64 v[4:5], v[30:31], v[58:59], -v[4:5]
	v_fmac_f64_e32 v[92:93], v[20:21], v[74:75]
	v_add_f64 v[6:7], v[8:9], v[90:91]
	v_add_f64 v[2:3], v[2:3], v[4:5]
	v_mul_f64 v[4:5], v[36:37], v[66:67]
	v_add_f64 v[6:7], v[6:7], v[92:93]
	s_waitcnt vmcnt(6)
	v_fma_f64 v[4:5], v[34:35], v[78:79], -v[4:5]
	v_fmac_f64_e32 v[96:97], v[28:29], v[76:77]
	v_add_f64 v[6:7], v[6:7], v[94:95]
	v_add_f64 v[2:3], v[2:3], v[4:5]
	v_mul_f64 v[4:5], v[40:41], v[62:63]
	v_add_f64 v[6:7], v[6:7], v[96:97]
	v_fma_f64 v[4:5], v[38:39], v[64:65], -v[4:5]
	v_fmac_f64_e32 v[100:101], v[36:37], v[78:79]
	v_add_f64 v[6:7], v[6:7], v[98:99]
	v_add_f64 v[2:3], v[2:3], v[4:5]
	v_mul_f64 v[4:5], v[44:45], v[68:69]
	v_add_f64 v[6:7], v[6:7], v[100:101]
	s_waitcnt vmcnt(4)
	v_fma_f64 v[4:5], v[42:43], v[80:81], -v[4:5]
	v_fmac_f64_e32 v[104:105], v[44:45], v[80:81]
	v_add_f64 v[6:7], v[6:7], v[102:103]
	v_add_f64 v[2:3], v[2:3], v[4:5]
	;; [unrolled: 1-line block ×3, first 2 shown]
	s_waitcnt vmcnt(2)
	v_add_f64 v[2:3], v[82:83], -v[2:3]
	s_waitcnt vmcnt(0)
	v_add_f64 v[4:5], v[84:85], -v[6:7]
	buffer_store_dword v3, off, s[0:3], 0 offset:580
	buffer_store_dword v2, off, s[0:3], 0 offset:576
	;; [unrolled: 1-line block ×4, first 2 shown]
	s_and_saveexec_b64 s[4:5], vcc
	s_cbranch_execz .LBB109_221
; %bb.220:
	v_accvgpr_read_b32 v0, a103
	buffer_load_dword v2, v0, s[0:3], 0 offen
	buffer_load_dword v3, v0, s[0:3], 0 offen offset:4
	buffer_load_dword v4, v0, s[0:3], 0 offen offset:8
	;; [unrolled: 1-line block ×3, first 2 shown]
	v_mov_b32_e32 v0, 0
	v_accvgpr_read_b32 v1, a138
	buffer_store_dword v0, off, s[0:3], 0 offset:560
	buffer_store_dword v0, off, s[0:3], 0 offset:564
	;; [unrolled: 1-line block ×4, first 2 shown]
	s_waitcnt vmcnt(4)
	ds_write_b128 v1, v[2:5]
.LBB109_221:
	s_or_b64 exec, exec, s[4:5]
	s_waitcnt lgkmcnt(0)
	; wave barrier
	s_waitcnt lgkmcnt(0)
	buffer_load_dword v2, off, s[0:3], 0 offset:576
	buffer_load_dword v3, off, s[0:3], 0 offset:580
	;; [unrolled: 1-line block ×48, first 2 shown]
	v_mov_b32_e32 v1, 0
	ds_read_b128 v[12:15], v1 offset:1296
	ds_read_b128 v[16:19], v1 offset:1312
	;; [unrolled: 1-line block ×11, first 2 shown]
	v_cmp_lt_u32_e32 vcc, 33, v254
	s_waitcnt vmcnt(44) lgkmcnt(10)
	v_mul_f64 v[94:95], v[12:13], v[6:7]
	v_mul_f64 v[6:7], v[14:15], v[6:7]
	v_fmac_f64_e32 v[94:95], v[14:15], v[2:3]
	v_fma_f64 v[2:3], v[12:13], v[2:3], -v[6:7]
	s_waitcnt vmcnt(40) lgkmcnt(9)
	v_mul_f64 v[96:97], v[16:17], v[8:9]
	v_mul_f64 v[6:7], v[18:19], v[8:9]
	v_fmac_f64_e32 v[96:97], v[18:19], v[4:5]
	v_add_f64 v[2:3], v[2:3], 0
	v_fma_f64 v[4:5], v[16:17], v[4:5], -v[6:7]
	v_add_f64 v[2:3], v[2:3], v[4:5]
	s_waitcnt vmcnt(38) lgkmcnt(8)
	v_mul_f64 v[4:5], v[22:23], v[10:11]
	v_mul_f64 v[98:99], v[20:21], v[10:11]
	v_add_f64 v[94:95], v[94:95], 0
	s_waitcnt vmcnt(32) lgkmcnt(7)
	v_mul_f64 v[100:101], v[24:25], v[60:61]
	v_add_f64 v[94:95], v[94:95], v[96:97]
	s_waitcnt lgkmcnt(6)
	v_mul_f64 v[102:103], v[28:29], v[56:57]
	v_fmac_f64_e32 v[102:103], v[30:31], v[58:59]
	s_waitcnt vmcnt(30) lgkmcnt(4)
	v_mul_f64 v[106:107], v[36:37], v[62:63]
	s_waitcnt vmcnt(26)
	v_mul_f64 v[104:105], v[32:33], v[66:67]
	v_fmac_f64_e32 v[106:107], v[38:39], v[64:65]
	s_waitcnt vmcnt(24) lgkmcnt(2)
	v_mul_f64 v[110:111], v[44:45], v[68:69]
	s_waitcnt vmcnt(22)
	v_fmac_f64_e32 v[110:111], v[46:47], v[70:71]
	s_waitcnt vmcnt(20)
	v_mul_f64 v[108:109], v[40:41], v[72:73]
	s_waitcnt vmcnt(16) lgkmcnt(1)
	v_mul_f64 v[112:113], v[48:49], v[78:79]
	s_waitcnt vmcnt(14)
	v_fma_f64 v[4:5], v[20:21], v[80:81], -v[4:5]
	v_add_f64 v[2:3], v[2:3], v[4:5]
	v_mul_f64 v[4:5], v[26:27], v[60:61]
	s_waitcnt vmcnt(12)
	v_fma_f64 v[4:5], v[24:25], v[82:83], -v[4:5]
	v_add_f64 v[2:3], v[2:3], v[4:5]
	v_mul_f64 v[4:5], v[30:31], v[56:57]
	v_fma_f64 v[4:5], v[28:29], v[58:59], -v[4:5]
	v_add_f64 v[2:3], v[2:3], v[4:5]
	v_mul_f64 v[4:5], v[34:35], v[66:67]
	s_waitcnt vmcnt(10)
	v_fma_f64 v[4:5], v[32:33], v[84:85], -v[4:5]
	v_add_f64 v[2:3], v[2:3], v[4:5]
	v_mul_f64 v[4:5], v[38:39], v[62:63]
	v_fma_f64 v[4:5], v[36:37], v[64:65], -v[4:5]
	v_fmac_f64_e32 v[98:99], v[22:23], v[80:81]
	v_add_f64 v[2:3], v[2:3], v[4:5]
	v_mul_f64 v[4:5], v[42:43], v[72:73]
	v_fmac_f64_e32 v[100:101], v[26:27], v[82:83]
	v_add_f64 v[94:95], v[94:95], v[98:99]
	s_waitcnt vmcnt(8)
	v_fma_f64 v[4:5], v[40:41], v[86:87], -v[4:5]
	v_add_f64 v[94:95], v[94:95], v[100:101]
	v_add_f64 v[2:3], v[2:3], v[4:5]
	v_mul_f64 v[4:5], v[46:47], v[68:69]
	v_fmac_f64_e32 v[104:105], v[34:35], v[84:85]
	v_add_f64 v[94:95], v[94:95], v[102:103]
	v_fma_f64 v[4:5], v[44:45], v[70:71], -v[4:5]
	v_add_f64 v[94:95], v[94:95], v[104:105]
	v_add_f64 v[2:3], v[2:3], v[4:5]
	v_mul_f64 v[4:5], v[50:51], v[78:79]
	v_fmac_f64_e32 v[108:109], v[42:43], v[86:87]
	v_add_f64 v[94:95], v[94:95], v[106:107]
	s_waitcnt vmcnt(6)
	v_fma_f64 v[4:5], v[48:49], v[88:89], -v[4:5]
	v_add_f64 v[94:95], v[94:95], v[108:109]
	v_add_f64 v[2:3], v[2:3], v[4:5]
	s_waitcnt vmcnt(5) lgkmcnt(0)
	v_mul_f64 v[4:5], v[54:55], v[74:75]
	v_fmac_f64_e32 v[112:113], v[50:51], v[88:89]
	v_add_f64 v[94:95], v[94:95], v[110:111]
	v_mul_f64 v[96:97], v[52:53], v[74:75]
	s_waitcnt vmcnt(4)
	v_fma_f64 v[4:5], v[52:53], v[76:77], -v[4:5]
	v_add_f64 v[94:95], v[94:95], v[112:113]
	v_fmac_f64_e32 v[96:97], v[54:55], v[76:77]
	v_add_f64 v[2:3], v[2:3], v[4:5]
	v_add_f64 v[94:95], v[94:95], v[96:97]
	s_waitcnt vmcnt(2)
	v_add_f64 v[2:3], v[90:91], -v[2:3]
	s_waitcnt vmcnt(0)
	v_add_f64 v[4:5], v[92:93], -v[94:95]
	buffer_store_dword v3, off, s[0:3], 0 offset:564
	buffer_store_dword v2, off, s[0:3], 0 offset:560
	;; [unrolled: 1-line block ×4, first 2 shown]
	s_and_saveexec_b64 s[4:5], vcc
	s_cbranch_execz .LBB109_223
; %bb.222:
	v_accvgpr_read_b32 v0, a104
	buffer_load_dword v2, v0, s[0:3], 0 offen
	buffer_load_dword v3, v0, s[0:3], 0 offen offset:4
	buffer_load_dword v4, v0, s[0:3], 0 offen offset:8
	buffer_load_dword v5, v0, s[0:3], 0 offen offset:12
	v_accvgpr_read_b32 v0, a138
	buffer_store_dword v1, off, s[0:3], 0 offset:544
	buffer_store_dword v1, off, s[0:3], 0 offset:548
	;; [unrolled: 1-line block ×4, first 2 shown]
	s_waitcnt vmcnt(4)
	ds_write_b128 v0, v[2:5]
.LBB109_223:
	s_or_b64 exec, exec, s[4:5]
	s_waitcnt lgkmcnt(0)
	; wave barrier
	s_waitcnt lgkmcnt(0)
	buffer_load_dword v2, off, s[0:3], 0 offset:560
	buffer_load_dword v3, off, s[0:3], 0 offset:564
	;; [unrolled: 1-line block ×52, first 2 shown]
	ds_read_b128 v[12:15], v1 offset:1280
	ds_read_b128 v[16:19], v1 offset:1296
	ds_read_b128 v[20:23], v1 offset:1312
	ds_read_b128 v[24:27], v1 offset:1328
	ds_read_b128 v[28:31], v1 offset:1344
	ds_read_b128 v[32:35], v1 offset:1360
	ds_read_b128 v[36:39], v1 offset:1376
	ds_read_b128 v[40:43], v1 offset:1392
	ds_read_b128 v[44:47], v1 offset:1408
	ds_read_b128 v[48:51], v1 offset:1424
	v_cmp_lt_u32_e32 vcc, 32, v254
	s_waitcnt vmcnt(48) lgkmcnt(9)
	v_mul_f64 v[52:53], v[12:13], v[6:7]
	v_mul_f64 v[6:7], v[14:15], v[6:7]
	v_fmac_f64_e32 v[52:53], v[14:15], v[2:3]
	v_fma_f64 v[2:3], v[12:13], v[2:3], -v[6:7]
	s_waitcnt vmcnt(44) lgkmcnt(8)
	v_mul_f64 v[54:55], v[16:17], v[8:9]
	v_mul_f64 v[6:7], v[18:19], v[8:9]
	v_fmac_f64_e32 v[54:55], v[18:19], v[4:5]
	v_add_f64 v[2:3], v[2:3], 0
	v_fma_f64 v[4:5], v[16:17], v[4:5], -v[6:7]
	v_add_f64 v[2:3], v[2:3], v[4:5]
	s_waitcnt vmcnt(42) lgkmcnt(7)
	v_mul_f64 v[4:5], v[22:23], v[10:11]
	v_mul_f64 v[56:57], v[20:21], v[10:11]
	v_add_f64 v[52:53], v[52:53], 0
	s_waitcnt vmcnt(36) lgkmcnt(6)
	v_mul_f64 v[58:59], v[24:25], v[64:65]
	v_add_f64 v[52:53], v[52:53], v[54:55]
	s_waitcnt lgkmcnt(5)
	v_mul_f64 v[102:103], v[28:29], v[60:61]
	v_fmac_f64_e32 v[102:103], v[30:31], v[62:63]
	s_waitcnt vmcnt(34) lgkmcnt(3)
	v_mul_f64 v[106:107], v[36:37], v[66:67]
	s_waitcnt vmcnt(30)
	v_mul_f64 v[104:105], v[32:33], v[70:71]
	v_fmac_f64_e32 v[106:107], v[38:39], v[68:69]
	s_waitcnt vmcnt(26) lgkmcnt(2)
	v_mul_f64 v[108:109], v[40:41], v[76:77]
	s_waitcnt vmcnt(25) lgkmcnt(1)
	v_mul_f64 v[110:111], v[44:45], v[72:73]
	s_waitcnt vmcnt(23)
	v_fma_f64 v[4:5], v[20:21], v[78:79], -v[4:5]
	v_add_f64 v[2:3], v[2:3], v[4:5]
	v_mul_f64 v[4:5], v[26:27], v[64:65]
	s_waitcnt vmcnt(21)
	v_fma_f64 v[4:5], v[24:25], v[80:81], -v[4:5]
	v_fmac_f64_e32 v[56:57], v[22:23], v[78:79]
	v_add_f64 v[2:3], v[2:3], v[4:5]
	v_mul_f64 v[4:5], v[30:31], v[60:61]
	v_fmac_f64_e32 v[58:59], v[26:27], v[80:81]
	v_add_f64 v[52:53], v[52:53], v[56:57]
	v_fma_f64 v[4:5], v[28:29], v[62:63], -v[4:5]
	v_add_f64 v[52:53], v[52:53], v[58:59]
	v_add_f64 v[2:3], v[2:3], v[4:5]
	v_mul_f64 v[4:5], v[34:35], v[70:71]
	s_waitcnt vmcnt(19)
	v_fmac_f64_e32 v[104:105], v[34:35], v[82:83]
	v_add_f64 v[52:53], v[52:53], v[102:103]
	v_fma_f64 v[4:5], v[32:33], v[82:83], -v[4:5]
	v_add_f64 v[52:53], v[52:53], v[104:105]
	v_add_f64 v[2:3], v[2:3], v[4:5]
	v_mul_f64 v[4:5], v[38:39], v[66:67]
	s_waitcnt vmcnt(17)
	v_fmac_f64_e32 v[108:109], v[42:43], v[84:85]
	v_add_f64 v[52:53], v[52:53], v[106:107]
	v_fma_f64 v[4:5], v[36:37], v[68:69], -v[4:5]
	s_waitcnt vmcnt(16)
	v_fmac_f64_e32 v[110:111], v[46:47], v[74:75]
	v_add_f64 v[52:53], v[52:53], v[108:109]
	v_add_f64 v[2:3], v[2:3], v[4:5]
	v_mul_f64 v[4:5], v[42:43], v[76:77]
	v_add_f64 v[102:103], v[52:53], v[110:111]
	ds_read_b128 v[52:55], v1 offset:1440
	ds_read_b128 v[56:59], v1 offset:1456
	v_fma_f64 v[4:5], v[40:41], v[84:85], -v[4:5]
	v_add_f64 v[2:3], v[2:3], v[4:5]
	v_mul_f64 v[4:5], v[46:47], v[72:73]
	v_fma_f64 v[4:5], v[44:45], v[74:75], -v[4:5]
	v_add_f64 v[2:3], v[2:3], v[4:5]
	s_waitcnt vmcnt(12) lgkmcnt(2)
	v_mul_f64 v[4:5], v[50:51], v[90:91]
	v_mul_f64 v[104:105], v[48:49], v[90:91]
	s_waitcnt vmcnt(10)
	v_fma_f64 v[4:5], v[48:49], v[92:93], -v[4:5]
	v_fmac_f64_e32 v[104:105], v[50:51], v[92:93]
	v_add_f64 v[2:3], v[2:3], v[4:5]
	s_waitcnt vmcnt(8) lgkmcnt(1)
	v_mul_f64 v[4:5], v[54:55], v[86:87]
	v_add_f64 v[102:103], v[102:103], v[104:105]
	v_mul_f64 v[104:105], v[52:53], v[86:87]
	v_fma_f64 v[4:5], v[52:53], v[88:89], -v[4:5]
	v_fmac_f64_e32 v[104:105], v[54:55], v[88:89]
	v_add_f64 v[2:3], v[2:3], v[4:5]
	s_waitcnt vmcnt(6) lgkmcnt(0)
	v_mul_f64 v[4:5], v[58:59], v[94:95]
	v_add_f64 v[102:103], v[102:103], v[104:105]
	v_mul_f64 v[104:105], v[56:57], v[94:95]
	s_waitcnt vmcnt(4)
	v_fma_f64 v[4:5], v[56:57], v[96:97], -v[4:5]
	v_fmac_f64_e32 v[104:105], v[58:59], v[96:97]
	v_add_f64 v[2:3], v[2:3], v[4:5]
	v_add_f64 v[102:103], v[102:103], v[104:105]
	s_waitcnt vmcnt(2)
	v_add_f64 v[2:3], v[98:99], -v[2:3]
	s_waitcnt vmcnt(0)
	v_add_f64 v[4:5], v[100:101], -v[102:103]
	buffer_store_dword v3, off, s[0:3], 0 offset:548
	buffer_store_dword v2, off, s[0:3], 0 offset:544
	buffer_store_dword v5, off, s[0:3], 0 offset:556
	buffer_store_dword v4, off, s[0:3], 0 offset:552
	s_and_saveexec_b64 s[4:5], vcc
	s_cbranch_execz .LBB109_225
; %bb.224:
	v_accvgpr_read_b32 v0, a105
	buffer_load_dword v2, v0, s[0:3], 0 offen
	buffer_load_dword v3, v0, s[0:3], 0 offen offset:4
	buffer_load_dword v4, v0, s[0:3], 0 offen offset:8
	;; [unrolled: 1-line block ×3, first 2 shown]
	v_mov_b32_e32 v0, 0
	v_accvgpr_read_b32 v1, a138
	buffer_store_dword v0, off, s[0:3], 0 offset:528
	buffer_store_dword v0, off, s[0:3], 0 offset:532
	;; [unrolled: 1-line block ×4, first 2 shown]
	s_waitcnt vmcnt(4)
	ds_write_b128 v1, v[2:5]
.LBB109_225:
	s_or_b64 exec, exec, s[4:5]
	s_waitcnt lgkmcnt(0)
	; wave barrier
	s_waitcnt lgkmcnt(0)
	buffer_load_dword v2, off, s[0:3], 0 offset:544
	buffer_load_dword v3, off, s[0:3], 0 offset:548
	;; [unrolled: 1-line block ×56, first 2 shown]
	v_mov_b32_e32 v1, 0
	ds_read_b128 v[18:21], v1 offset:1264
	ds_read_b128 v[22:25], v1 offset:1280
	;; [unrolled: 1-line block ×9, first 2 shown]
	v_cmp_lt_u32_e32 vcc, 31, v254
	s_waitcnt vmcnt(52) lgkmcnt(8)
	v_mul_f64 v[50:51], v[18:19], v[6:7]
	v_fmac_f64_e32 v[50:51], v[20:21], v[2:3]
	v_mul_f64 v[6:7], v[20:21], v[6:7]
	v_add_f64 v[50:51], v[50:51], 0
	s_waitcnt vmcnt(48) lgkmcnt(7)
	v_mul_f64 v[52:53], v[22:23], v[8:9]
	v_fmac_f64_e32 v[52:53], v[24:25], v[4:5]
	s_waitcnt vmcnt(46) lgkmcnt(6)
	v_mul_f64 v[54:55], v[26:27], v[10:11]
	v_fma_f64 v[2:3], v[18:19], v[2:3], -v[6:7]
	v_mul_f64 v[6:7], v[24:25], v[8:9]
	v_add_f64 v[50:51], v[50:51], v[52:53]
	v_add_f64 v[2:3], v[2:3], 0
	v_fma_f64 v[4:5], v[22:23], v[4:5], -v[6:7]
	s_waitcnt vmcnt(40) lgkmcnt(5)
	v_mul_f64 v[56:57], v[30:31], v[16:17]
	s_waitcnt lgkmcnt(4)
	v_mul_f64 v[58:59], v[34:35], v[12:13]
	v_add_f64 v[2:3], v[2:3], v[4:5]
	v_mul_f64 v[4:5], v[28:29], v[10:11]
	s_waitcnt vmcnt(36) lgkmcnt(3)
	v_mul_f64 v[60:61], v[38:39], v[74:75]
	v_fmac_f64_e32 v[58:59], v[36:37], v[14:15]
	s_waitcnt vmcnt(35) lgkmcnt(2)
	v_mul_f64 v[62:63], v[42:43], v[70:71]
	s_waitcnt vmcnt(33)
	v_fmac_f64_e32 v[54:55], v[28:29], v[76:77]
	v_add_f64 v[50:51], v[50:51], v[54:55]
	s_waitcnt vmcnt(31)
	v_fmac_f64_e32 v[56:57], v[32:33], v[78:79]
	v_add_f64 v[50:51], v[50:51], v[56:57]
	v_fma_f64 v[4:5], v[26:27], v[76:77], -v[4:5]
	s_waitcnt vmcnt(29)
	v_fmac_f64_e32 v[60:61], v[40:41], v[80:81]
	v_add_f64 v[50:51], v[50:51], v[58:59]
	v_add_f64 v[2:3], v[2:3], v[4:5]
	v_mul_f64 v[4:5], v[32:33], v[16:17]
	s_waitcnt vmcnt(28)
	v_fmac_f64_e32 v[62:63], v[44:45], v[72:73]
	v_add_f64 v[50:51], v[50:51], v[60:61]
	v_fma_f64 v[4:5], v[30:31], v[78:79], -v[4:5]
	v_add_f64 v[54:55], v[50:51], v[62:63]
	ds_read_b128 v[50:53], v1 offset:1392
	s_waitcnt vmcnt(24) lgkmcnt(2)
	v_mul_f64 v[56:57], v[46:47], v[86:87]
	v_add_f64 v[2:3], v[2:3], v[4:5]
	v_mul_f64 v[4:5], v[36:37], v[12:13]
	s_waitcnt vmcnt(22)
	v_fmac_f64_e32 v[56:57], v[48:49], v[88:89]
	v_fma_f64 v[4:5], v[34:35], v[14:15], -v[4:5]
	v_add_f64 v[58:59], v[54:55], v[56:57]
	ds_read_b128 v[54:57], v1 offset:1408
	v_add_f64 v[2:3], v[2:3], v[4:5]
	v_mul_f64 v[4:5], v[40:41], v[74:75]
	v_fma_f64 v[4:5], v[38:39], v[80:81], -v[4:5]
	v_add_f64 v[2:3], v[2:3], v[4:5]
	v_mul_f64 v[4:5], v[44:45], v[70:71]
	s_waitcnt vmcnt(20) lgkmcnt(1)
	v_mul_f64 v[60:61], v[50:51], v[82:83]
	v_fma_f64 v[4:5], v[42:43], v[72:73], -v[4:5]
	v_fmac_f64_e32 v[60:61], v[52:53], v[84:85]
	v_add_f64 v[2:3], v[2:3], v[4:5]
	v_mul_f64 v[4:5], v[48:49], v[86:87]
	v_add_f64 v[62:63], v[58:59], v[60:61]
	ds_read_b128 v[58:61], v1 offset:1424
	s_waitcnt vmcnt(16) lgkmcnt(1)
	v_mul_f64 v[64:65], v[54:55], v[94:95]
	v_fma_f64 v[4:5], v[46:47], v[88:89], -v[4:5]
	s_waitcnt vmcnt(14)
	v_fmac_f64_e32 v[64:65], v[56:57], v[96:97]
	v_add_f64 v[2:3], v[2:3], v[4:5]
	v_mul_f64 v[4:5], v[52:53], v[82:83]
	v_add_f64 v[110:111], v[62:63], v[64:65]
	ds_read_b128 v[62:65], v1 offset:1440
	v_fma_f64 v[4:5], v[50:51], v[84:85], -v[4:5]
	v_add_f64 v[2:3], v[2:3], v[4:5]
	v_mul_f64 v[4:5], v[56:57], v[94:95]
	v_fma_f64 v[4:5], v[54:55], v[96:97], -v[4:5]
	v_add_f64 v[2:3], v[2:3], v[4:5]
	s_waitcnt vmcnt(12) lgkmcnt(1)
	v_mul_f64 v[4:5], v[60:61], v[90:91]
	v_mul_f64 v[112:113], v[58:59], v[90:91]
	v_fma_f64 v[4:5], v[58:59], v[92:93], -v[4:5]
	v_fmac_f64_e32 v[112:113], v[60:61], v[92:93]
	v_add_f64 v[2:3], v[2:3], v[4:5]
	s_waitcnt vmcnt(8) lgkmcnt(0)
	v_mul_f64 v[4:5], v[64:65], v[102:103]
	v_add_f64 v[110:111], v[110:111], v[112:113]
	v_mul_f64 v[112:113], v[62:63], v[102:103]
	s_waitcnt vmcnt(6)
	v_fma_f64 v[4:5], v[62:63], v[104:105], -v[4:5]
	v_fmac_f64_e32 v[112:113], v[64:65], v[104:105]
	v_add_f64 v[2:3], v[2:3], v[4:5]
	s_waitcnt vmcnt(5)
	v_mul_f64 v[4:5], v[68:69], v[98:99]
	v_add_f64 v[110:111], v[110:111], v[112:113]
	v_mul_f64 v[112:113], v[66:67], v[98:99]
	s_waitcnt vmcnt(4)
	v_fma_f64 v[4:5], v[66:67], v[100:101], -v[4:5]
	v_fmac_f64_e32 v[112:113], v[68:69], v[100:101]
	v_add_f64 v[2:3], v[2:3], v[4:5]
	v_add_f64 v[110:111], v[110:111], v[112:113]
	s_waitcnt vmcnt(2)
	v_add_f64 v[2:3], v[106:107], -v[2:3]
	s_waitcnt vmcnt(0)
	v_add_f64 v[4:5], v[108:109], -v[110:111]
	buffer_store_dword v3, off, s[0:3], 0 offset:532
	buffer_store_dword v2, off, s[0:3], 0 offset:528
	;; [unrolled: 1-line block ×4, first 2 shown]
	s_and_saveexec_b64 s[4:5], vcc
	s_cbranch_execz .LBB109_227
; %bb.226:
	v_accvgpr_read_b32 v0, a106
	buffer_load_dword v2, v0, s[0:3], 0 offen
	buffer_load_dword v3, v0, s[0:3], 0 offen offset:4
	buffer_load_dword v4, v0, s[0:3], 0 offen offset:8
	;; [unrolled: 1-line block ×3, first 2 shown]
	v_accvgpr_read_b32 v0, a138
	buffer_store_dword v1, off, s[0:3], 0 offset:512
	buffer_store_dword v1, off, s[0:3], 0 offset:516
	;; [unrolled: 1-line block ×4, first 2 shown]
	s_waitcnt vmcnt(4)
	ds_write_b128 v0, v[2:5]
.LBB109_227:
	s_or_b64 exec, exec, s[4:5]
	s_waitcnt lgkmcnt(0)
	; wave barrier
	s_waitcnt lgkmcnt(0)
	buffer_load_dword v2, off, s[0:3], 0 offset:528
	buffer_load_dword v3, off, s[0:3], 0 offset:532
	buffer_load_dword v6, off, s[0:3], 0 offset:536
	buffer_load_dword v7, off, s[0:3], 0 offset:540
	buffer_load_dword v4, off, s[0:3], 0 offset:544
	buffer_load_dword v5, off, s[0:3], 0 offset:548
	buffer_load_dword v8, off, s[0:3], 0 offset:552
	buffer_load_dword v9, off, s[0:3], 0 offset:556
	buffer_load_dword v10, off, s[0:3], 0 offset:568
	buffer_load_dword v11, off, s[0:3], 0 offset:572
	buffer_load_dword v13, off, s[0:3], 0 offset:604
	buffer_load_dword v12, off, s[0:3], 0 offset:600
	buffer_load_dword v15, off, s[0:3], 0 offset:596
	buffer_load_dword v14, off, s[0:3], 0 offset:592
	buffer_load_dword v17, off, s[0:3], 0 offset:588
	buffer_load_dword v16, off, s[0:3], 0 offset:584
	buffer_load_dword v19, off, s[0:3], 0 offset:636
	buffer_load_dword v21, off, s[0:3], 0 offset:628
	buffer_load_dword v23, off, s[0:3], 0 offset:620
	buffer_load_dword v22, off, s[0:3], 0 offset:616
	buffer_load_dword v28, off, s[0:3], 0 offset:560
	buffer_load_dword v29, off, s[0:3], 0 offset:564
	buffer_load_dword v27, off, s[0:3], 0 offset:580
	buffer_load_dword v26, off, s[0:3], 0 offset:576
	buffer_load_dword v25, off, s[0:3], 0 offset:612
	buffer_load_dword v24, off, s[0:3], 0 offset:608
	buffer_load_dword v18, off, s[0:3], 0 offset:632
	buffer_load_dword v20, off, s[0:3], 0 offset:624
	buffer_load_dword v87, off, s[0:3], 0 offset:668
	buffer_load_dword v89, off, s[0:3], 0 offset:660
	buffer_load_dword v91, off, s[0:3], 0 offset:652
	buffer_load_dword v90, off, s[0:3], 0 offset:648
	buffer_load_dword v93, off, s[0:3], 0 offset:644
	buffer_load_dword v92, off, s[0:3], 0 offset:640
	buffer_load_dword v86, off, s[0:3], 0 offset:664
	buffer_load_dword v88, off, s[0:3], 0 offset:656
	buffer_load_dword v95, off, s[0:3], 0 offset:700
	buffer_load_dword v97, off, s[0:3], 0 offset:692
	buffer_load_dword v99, off, s[0:3], 0 offset:684
	buffer_load_dword v98, off, s[0:3], 0 offset:680
	buffer_load_dword v101, off, s[0:3], 0 offset:676
	buffer_load_dword v100, off, s[0:3], 0 offset:672
	buffer_load_dword v94, off, s[0:3], 0 offset:696
	buffer_load_dword v96, off, s[0:3], 0 offset:688
	buffer_load_dword v103, off, s[0:3], 0 offset:732
	buffer_load_dword v105, off, s[0:3], 0 offset:724
	buffer_load_dword v107, off, s[0:3], 0 offset:716
	buffer_load_dword v106, off, s[0:3], 0 offset:712
	buffer_load_dword v109, off, s[0:3], 0 offset:708
	buffer_load_dword v108, off, s[0:3], 0 offset:704
	buffer_load_dword v102, off, s[0:3], 0 offset:728
	buffer_load_dword v104, off, s[0:3], 0 offset:720
	buffer_load_dword v111, off, s[0:3], 0 offset:748
	buffer_load_dword v110, off, s[0:3], 0 offset:744
	buffer_load_dword v113, off, s[0:3], 0 offset:740
	buffer_load_dword v112, off, s[0:3], 0 offset:736
	buffer_load_dword v114, off, s[0:3], 0 offset:512
	buffer_load_dword v115, off, s[0:3], 0 offset:516
	buffer_load_dword v116, off, s[0:3], 0 offset:520
	buffer_load_dword v117, off, s[0:3], 0 offset:524
	ds_read_b128 v[30:33], v1 offset:1248
	ds_read_b128 v[34:37], v1 offset:1264
	;; [unrolled: 1-line block ×8, first 2 shown]
	v_cmp_lt_u32_e32 vcc, 30, v254
	ds_read_b128 v[82:85], v1 offset:1456
	s_waitcnt vmcnt(56) lgkmcnt(8)
	v_mul_f64 v[62:63], v[30:31], v[6:7]
	v_fmac_f64_e32 v[62:63], v[32:33], v[2:3]
	v_add_f64 v[62:63], v[62:63], 0
	v_mul_f64 v[6:7], v[32:33], v[6:7]
	s_waitcnt vmcnt(52) lgkmcnt(7)
	v_mul_f64 v[64:65], v[34:35], v[8:9]
	v_fmac_f64_e32 v[64:65], v[36:37], v[4:5]
	s_waitcnt vmcnt(50) lgkmcnt(6)
	v_mul_f64 v[66:67], v[38:39], v[10:11]
	v_add_f64 v[62:63], v[62:63], v[64:65]
	s_waitcnt vmcnt(48) lgkmcnt(4)
	v_mul_f64 v[70:71], v[46:47], v[12:13]
	v_fma_f64 v[2:3], v[30:31], v[2:3], -v[6:7]
	s_waitcnt vmcnt(46)
	v_fmac_f64_e32 v[70:71], v[48:49], v[14:15]
	v_mul_f64 v[6:7], v[36:37], v[8:9]
	s_waitcnt vmcnt(44)
	v_mul_f64 v[68:69], v[42:43], v[16:17]
	v_add_f64 v[2:3], v[2:3], 0
	v_fma_f64 v[4:5], v[34:35], v[4:5], -v[6:7]
	v_add_f64 v[2:3], v[2:3], v[4:5]
	s_waitcnt vmcnt(40) lgkmcnt(3)
	v_mul_f64 v[72:73], v[50:51], v[22:23]
	v_mul_f64 v[4:5], v[40:41], v[10:11]
	s_waitcnt vmcnt(38)
	v_fmac_f64_e32 v[66:67], v[40:41], v[28:29]
	v_add_f64 v[62:63], v[62:63], v[66:67]
	s_waitcnt vmcnt(36)
	v_fmac_f64_e32 v[68:69], v[44:45], v[26:27]
	v_add_f64 v[62:63], v[62:63], v[68:69]
	;; [unrolled: 3-line block ×3, first 2 shown]
	s_waitcnt vmcnt(33) lgkmcnt(2)
	v_mul_f64 v[64:65], v[54:55], v[18:19]
	v_add_f64 v[62:63], v[62:63], v[72:73]
	s_waitcnt vmcnt(32)
	v_fmac_f64_e32 v[64:65], v[56:57], v[20:21]
	v_add_f64 v[66:67], v[62:63], v[64:65]
	ds_read_b128 v[62:65], v1 offset:1376
	v_fma_f64 v[4:5], v[38:39], v[28:29], -v[4:5]
	v_add_f64 v[2:3], v[2:3], v[4:5]
	v_mul_f64 v[4:5], v[44:45], v[16:17]
	v_fma_f64 v[4:5], v[42:43], v[26:27], -v[4:5]
	s_waitcnt vmcnt(28) lgkmcnt(2)
	v_mul_f64 v[68:69], v[58:59], v[90:91]
	v_add_f64 v[2:3], v[2:3], v[4:5]
	v_mul_f64 v[4:5], v[48:49], v[12:13]
	s_waitcnt vmcnt(26)
	v_fmac_f64_e32 v[68:69], v[60:61], v[92:93]
	v_fma_f64 v[4:5], v[46:47], v[14:15], -v[4:5]
	v_add_f64 v[70:71], v[66:67], v[68:69]
	ds_read_b128 v[66:69], v1 offset:1392
	s_waitcnt vmcnt(25) lgkmcnt(1)
	v_mul_f64 v[72:73], v[62:63], v[86:87]
	v_add_f64 v[2:3], v[2:3], v[4:5]
	v_mul_f64 v[4:5], v[52:53], v[22:23]
	s_waitcnt vmcnt(24)
	v_fmac_f64_e32 v[72:73], v[64:65], v[88:89]
	v_fma_f64 v[4:5], v[50:51], v[24:25], -v[4:5]
	v_add_f64 v[74:75], v[70:71], v[72:73]
	ds_read_b128 v[70:73], v1 offset:1408
	v_add_f64 v[2:3], v[2:3], v[4:5]
	v_mul_f64 v[4:5], v[56:57], v[18:19]
	v_fma_f64 v[4:5], v[54:55], v[20:21], -v[4:5]
	v_add_f64 v[2:3], v[2:3], v[4:5]
	v_mul_f64 v[4:5], v[60:61], v[90:91]
	s_waitcnt vmcnt(20) lgkmcnt(1)
	v_mul_f64 v[76:77], v[66:67], v[98:99]
	v_fma_f64 v[4:5], v[58:59], v[92:93], -v[4:5]
	s_waitcnt vmcnt(18)
	v_fmac_f64_e32 v[76:77], v[68:69], v[100:101]
	v_add_f64 v[2:3], v[2:3], v[4:5]
	v_mul_f64 v[4:5], v[64:65], v[86:87]
	v_add_f64 v[78:79], v[74:75], v[76:77]
	ds_read_b128 v[74:77], v1 offset:1424
	s_waitcnt vmcnt(17) lgkmcnt(1)
	v_mul_f64 v[80:81], v[70:71], v[94:95]
	v_fma_f64 v[4:5], v[62:63], v[88:89], -v[4:5]
	s_waitcnt vmcnt(16)
	v_fmac_f64_e32 v[80:81], v[72:73], v[96:97]
	v_add_f64 v[2:3], v[2:3], v[4:5]
	v_mul_f64 v[4:5], v[68:69], v[98:99]
	v_add_f64 v[118:119], v[78:79], v[80:81]
	ds_read_b128 v[78:81], v1 offset:1440
	v_fma_f64 v[4:5], v[66:67], v[100:101], -v[4:5]
	v_add_f64 v[2:3], v[2:3], v[4:5]
	v_mul_f64 v[4:5], v[72:73], v[94:95]
	v_fma_f64 v[4:5], v[70:71], v[96:97], -v[4:5]
	v_add_f64 v[2:3], v[2:3], v[4:5]
	s_waitcnt vmcnt(12) lgkmcnt(1)
	v_mul_f64 v[4:5], v[76:77], v[106:107]
	v_mul_f64 v[120:121], v[74:75], v[106:107]
	s_waitcnt vmcnt(10)
	v_fma_f64 v[4:5], v[74:75], v[108:109], -v[4:5]
	v_fmac_f64_e32 v[120:121], v[76:77], v[108:109]
	v_add_f64 v[2:3], v[2:3], v[4:5]
	s_waitcnt vmcnt(9) lgkmcnt(0)
	v_mul_f64 v[4:5], v[80:81], v[102:103]
	v_add_f64 v[118:119], v[118:119], v[120:121]
	v_mul_f64 v[120:121], v[78:79], v[102:103]
	s_waitcnt vmcnt(8)
	v_fma_f64 v[4:5], v[78:79], v[104:105], -v[4:5]
	v_fmac_f64_e32 v[120:121], v[80:81], v[104:105]
	v_add_f64 v[2:3], v[2:3], v[4:5]
	s_waitcnt vmcnt(6)
	v_mul_f64 v[4:5], v[84:85], v[110:111]
	v_add_f64 v[118:119], v[118:119], v[120:121]
	v_mul_f64 v[120:121], v[82:83], v[110:111]
	s_waitcnt vmcnt(4)
	v_fma_f64 v[4:5], v[82:83], v[112:113], -v[4:5]
	v_fmac_f64_e32 v[120:121], v[84:85], v[112:113]
	v_add_f64 v[2:3], v[2:3], v[4:5]
	v_add_f64 v[118:119], v[118:119], v[120:121]
	s_waitcnt vmcnt(2)
	v_add_f64 v[2:3], v[114:115], -v[2:3]
	s_waitcnt vmcnt(0)
	v_add_f64 v[4:5], v[116:117], -v[118:119]
	buffer_store_dword v3, off, s[0:3], 0 offset:516
	buffer_store_dword v2, off, s[0:3], 0 offset:512
	buffer_store_dword v5, off, s[0:3], 0 offset:524
	buffer_store_dword v4, off, s[0:3], 0 offset:520
	s_and_saveexec_b64 s[4:5], vcc
	s_cbranch_execz .LBB109_229
; %bb.228:
	v_accvgpr_read_b32 v0, a107
	buffer_load_dword v2, v0, s[0:3], 0 offen
	buffer_load_dword v3, v0, s[0:3], 0 offen offset:4
	buffer_load_dword v4, v0, s[0:3], 0 offen offset:8
	;; [unrolled: 1-line block ×3, first 2 shown]
	v_mov_b32_e32 v0, 0
	v_accvgpr_read_b32 v1, a138
	buffer_store_dword v0, off, s[0:3], 0 offset:496
	buffer_store_dword v0, off, s[0:3], 0 offset:500
	;; [unrolled: 1-line block ×4, first 2 shown]
	s_waitcnt vmcnt(4)
	ds_write_b128 v1, v[2:5]
.LBB109_229:
	s_or_b64 exec, exec, s[4:5]
	s_waitcnt lgkmcnt(0)
	; wave barrier
	s_waitcnt lgkmcnt(0)
	buffer_load_dword v2, off, s[0:3], 0 offset:512
	buffer_load_dword v3, off, s[0:3], 0 offset:516
	;; [unrolled: 1-line block ×64, first 2 shown]
	v_mov_b32_e32 v1, 0
	ds_read_b128 v[38:41], v1 offset:1232
	ds_read_b128 v[42:45], v1 offset:1248
	;; [unrolled: 1-line block ×7, first 2 shown]
	v_cmp_lt_u32_e32 vcc, 29, v254
	s_waitcnt vmcnt(60) lgkmcnt(6)
	v_mul_f64 v[62:63], v[38:39], v[4:5]
	v_fmac_f64_e32 v[62:63], v[40:41], v[2:3]
	s_waitcnt vmcnt(58) lgkmcnt(5)
	v_mul_f64 v[64:65], v[42:43], v[6:7]
	v_add_f64 v[62:63], v[62:63], 0
	s_waitcnt vmcnt(56) lgkmcnt(4)
	v_mul_f64 v[66:67], v[46:47], v[8:9]
	v_mul_f64 v[4:5], v[40:41], v[4:5]
	s_waitcnt vmcnt(54) lgkmcnt(2)
	v_mul_f64 v[70:71], v[54:55], v[10:11]
	v_fma_f64 v[2:3], v[38:39], v[2:3], -v[4:5]
	v_mul_f64 v[4:5], v[44:45], v[6:7]
	s_waitcnt vmcnt(51)
	v_mul_f64 v[68:69], v[50:51], v[14:15]
	v_add_f64 v[2:3], v[2:3], 0
	s_waitcnt vmcnt(49)
	v_fmac_f64_e32 v[64:65], v[44:45], v[20:21]
	v_add_f64 v[62:63], v[62:63], v[64:65]
	s_waitcnt vmcnt(47)
	v_fmac_f64_e32 v[66:67], v[48:49], v[18:19]
	;; [unrolled: 3-line block ×4, first 2 shown]
	v_add_f64 v[66:67], v[62:63], v[70:71]
	ds_read_b128 v[62:65], v1 offset:1328
	s_waitcnt vmcnt(40) lgkmcnt(2)
	v_mul_f64 v[68:69], v[58:59], v[26:27]
	v_fma_f64 v[4:5], v[42:43], v[20:21], -v[4:5]
	s_waitcnt vmcnt(38)
	v_fmac_f64_e32 v[68:69], v[60:61], v[28:29]
	v_add_f64 v[70:71], v[66:67], v[68:69]
	ds_read_b128 v[66:69], v1 offset:1344
	s_waitcnt vmcnt(37) lgkmcnt(1)
	v_mul_f64 v[72:73], v[62:63], v[22:23]
	s_waitcnt vmcnt(36)
	v_fmac_f64_e32 v[72:73], v[64:65], v[24:25]
	v_add_f64 v[2:3], v[2:3], v[4:5]
	v_mul_f64 v[4:5], v[48:49], v[8:9]
	v_add_f64 v[74:75], v[70:71], v[72:73]
	ds_read_b128 v[70:73], v1 offset:1360
	s_waitcnt vmcnt(32) lgkmcnt(1)
	v_mul_f64 v[76:77], v[66:67], v[34:35]
	v_fma_f64 v[4:5], v[46:47], v[18:19], -v[4:5]
	s_waitcnt vmcnt(30)
	v_fmac_f64_e32 v[76:77], v[68:69], v[36:37]
	v_add_f64 v[2:3], v[2:3], v[4:5]
	v_mul_f64 v[4:5], v[52:53], v[14:15]
	v_add_f64 v[78:79], v[74:75], v[76:77]
	ds_read_b128 v[74:77], v1 offset:1376
	v_fma_f64 v[4:5], v[50:51], v[16:17], -v[4:5]
	v_add_f64 v[2:3], v[2:3], v[4:5]
	v_mul_f64 v[4:5], v[56:57], v[10:11]
	v_fma_f64 v[4:5], v[54:55], v[12:13], -v[4:5]
	s_waitcnt vmcnt(29) lgkmcnt(1)
	v_mul_f64 v[80:81], v[70:71], v[30:31]
	v_add_f64 v[2:3], v[2:3], v[4:5]
	v_mul_f64 v[4:5], v[60:61], v[26:27]
	s_waitcnt vmcnt(28)
	v_fmac_f64_e32 v[80:81], v[72:73], v[32:33]
	v_fma_f64 v[4:5], v[58:59], v[28:29], -v[4:5]
	v_add_f64 v[82:83], v[78:79], v[80:81]
	ds_read_b128 v[78:81], v1 offset:1392
	s_waitcnt vmcnt(24) lgkmcnt(1)
	v_mul_f64 v[84:85], v[74:75], v[102:103]
	v_add_f64 v[2:3], v[2:3], v[4:5]
	v_mul_f64 v[4:5], v[64:65], v[22:23]
	s_waitcnt vmcnt(22)
	v_fmac_f64_e32 v[84:85], v[76:77], v[104:105]
	v_fma_f64 v[4:5], v[62:63], v[24:25], -v[4:5]
	v_add_f64 v[86:87], v[82:83], v[84:85]
	ds_read_b128 v[82:85], v1 offset:1408
	v_add_f64 v[2:3], v[2:3], v[4:5]
	v_mul_f64 v[4:5], v[68:69], v[34:35]
	v_fma_f64 v[4:5], v[66:67], v[36:37], -v[4:5]
	v_add_f64 v[2:3], v[2:3], v[4:5]
	v_mul_f64 v[4:5], v[72:73], v[30:31]
	s_waitcnt vmcnt(21) lgkmcnt(1)
	v_mul_f64 v[88:89], v[78:79], v[98:99]
	v_fma_f64 v[4:5], v[70:71], v[32:33], -v[4:5]
	s_waitcnt vmcnt(20)
	v_fmac_f64_e32 v[88:89], v[80:81], v[100:101]
	v_add_f64 v[2:3], v[2:3], v[4:5]
	v_mul_f64 v[4:5], v[76:77], v[102:103]
	v_add_f64 v[90:91], v[86:87], v[88:89]
	ds_read_b128 v[86:89], v1 offset:1424
	s_waitcnt vmcnt(16) lgkmcnt(1)
	v_mul_f64 v[92:93], v[82:83], v[110:111]
	v_fma_f64 v[4:5], v[74:75], v[104:105], -v[4:5]
	s_waitcnt vmcnt(14)
	v_fmac_f64_e32 v[92:93], v[84:85], v[112:113]
	v_add_f64 v[2:3], v[2:3], v[4:5]
	v_mul_f64 v[4:5], v[80:81], v[98:99]
	v_add_f64 v[126:127], v[90:91], v[92:93]
	ds_read_b128 v[90:93], v1 offset:1440
	v_fma_f64 v[4:5], v[78:79], v[100:101], -v[4:5]
	v_add_f64 v[2:3], v[2:3], v[4:5]
	v_mul_f64 v[4:5], v[84:85], v[110:111]
	v_fma_f64 v[4:5], v[82:83], v[112:113], -v[4:5]
	v_add_f64 v[2:3], v[2:3], v[4:5]
	s_waitcnt vmcnt(13) lgkmcnt(1)
	v_mul_f64 v[4:5], v[88:89], v[106:107]
	v_mul_f64 v[128:129], v[86:87], v[106:107]
	s_waitcnt vmcnt(12)
	v_fma_f64 v[4:5], v[86:87], v[108:109], -v[4:5]
	v_fmac_f64_e32 v[128:129], v[88:89], v[108:109]
	v_add_f64 v[2:3], v[2:3], v[4:5]
	s_waitcnt vmcnt(8) lgkmcnt(0)
	v_mul_f64 v[4:5], v[92:93], v[118:119]
	v_add_f64 v[126:127], v[126:127], v[128:129]
	v_mul_f64 v[128:129], v[90:91], v[118:119]
	s_waitcnt vmcnt(6)
	v_fma_f64 v[4:5], v[90:91], v[120:121], -v[4:5]
	v_fmac_f64_e32 v[128:129], v[92:93], v[120:121]
	v_add_f64 v[2:3], v[2:3], v[4:5]
	s_waitcnt vmcnt(5)
	v_mul_f64 v[4:5], v[96:97], v[114:115]
	v_add_f64 v[126:127], v[126:127], v[128:129]
	v_mul_f64 v[128:129], v[94:95], v[114:115]
	s_waitcnt vmcnt(4)
	v_fma_f64 v[4:5], v[94:95], v[116:117], -v[4:5]
	v_fmac_f64_e32 v[128:129], v[96:97], v[116:117]
	v_add_f64 v[2:3], v[2:3], v[4:5]
	v_add_f64 v[126:127], v[126:127], v[128:129]
	s_waitcnt vmcnt(2)
	v_add_f64 v[2:3], v[122:123], -v[2:3]
	s_waitcnt vmcnt(0)
	v_add_f64 v[4:5], v[124:125], -v[126:127]
	buffer_store_dword v3, off, s[0:3], 0 offset:500
	buffer_store_dword v2, off, s[0:3], 0 offset:496
	;; [unrolled: 1-line block ×4, first 2 shown]
	s_and_saveexec_b64 s[4:5], vcc
	s_cbranch_execz .LBB109_231
; %bb.230:
	v_accvgpr_read_b32 v0, a108
	buffer_load_dword v2, v0, s[0:3], 0 offen
	buffer_load_dword v3, v0, s[0:3], 0 offen offset:4
	buffer_load_dword v4, v0, s[0:3], 0 offen offset:8
	;; [unrolled: 1-line block ×3, first 2 shown]
	v_accvgpr_read_b32 v0, a138
	buffer_store_dword v1, off, s[0:3], 0 offset:480
	buffer_store_dword v1, off, s[0:3], 0 offset:484
	;; [unrolled: 1-line block ×4, first 2 shown]
	s_waitcnt vmcnt(4)
	ds_write_b128 v0, v[2:5]
.LBB109_231:
	s_or_b64 exec, exec, s[4:5]
	s_waitcnt lgkmcnt(0)
	; wave barrier
	s_waitcnt lgkmcnt(0)
	buffer_load_dword v2, off, s[0:3], 0 offset:496
	buffer_load_dword v3, off, s[0:3], 0 offset:500
	;; [unrolled: 1-line block ×64, first 2 shown]
	ds_read_b128 v[46:49], v1 offset:1216
	ds_read_b128 v[50:53], v1 offset:1232
	;; [unrolled: 1-line block ×4, first 2 shown]
	buffer_load_dword v130, off, s[0:3], 0 offset:480
	buffer_load_dword v131, off, s[0:3], 0 offset:484
	;; [unrolled: 1-line block ×4, first 2 shown]
	v_cmp_lt_u32_e32 vcc, 28, v254
	ds_read_b128 v[106:109], v1 offset:1456
	s_waitcnt vmcnt(62) lgkmcnt(4)
	v_mul_f64 v[62:63], v[46:47], v[4:5]
	v_fmac_f64_e32 v[62:63], v[48:49], v[2:3]
	v_add_f64 v[62:63], v[62:63], 0
	s_waitcnt lgkmcnt(2)
	v_mul_f64 v[66:67], v[54:55], v[6:7]
	v_mul_f64 v[4:5], v[48:49], v[4:5]
	v_fma_f64 v[2:3], v[46:47], v[2:3], -v[4:5]
	s_waitcnt vmcnt(58) lgkmcnt(1)
	v_mul_f64 v[68:69], v[58:59], v[12:13]
	v_add_f64 v[2:3], v[2:3], 0
	s_waitcnt vmcnt(56)
	v_mul_f64 v[64:65], v[50:51], v[18:19]
	v_mul_f64 v[4:5], v[52:53], v[18:19]
	s_waitcnt vmcnt(53)
	v_fmac_f64_e32 v[66:67], v[56:57], v[16:17]
	s_waitcnt vmcnt(52)
	v_fmac_f64_e32 v[64:65], v[52:53], v[20:21]
	v_add_f64 v[70:71], v[62:63], v[64:65]
	ds_read_b128 v[62:65], v1 offset:1280
	v_add_f64 v[66:67], v[70:71], v[66:67]
	s_waitcnt vmcnt(50)
	v_fmac_f64_e32 v[68:69], v[60:61], v[14:15]
	v_add_f64 v[70:71], v[66:67], v[68:69]
	ds_read_b128 v[66:69], v1 offset:1296
	s_waitcnt vmcnt(49) lgkmcnt(1)
	v_mul_f64 v[72:73], v[62:63], v[8:9]
	s_waitcnt vmcnt(48)
	v_fmac_f64_e32 v[72:73], v[64:65], v[10:11]
	v_add_f64 v[74:75], v[70:71], v[72:73]
	ds_read_b128 v[70:73], v1 offset:1312
	s_waitcnt vmcnt(44) lgkmcnt(1)
	v_mul_f64 v[76:77], v[66:67], v[26:27]
	;; [unrolled: 6-line block ×3, first 2 shown]
	s_waitcnt vmcnt(40)
	v_fmac_f64_e32 v[80:81], v[72:73], v[24:25]
	v_add_f64 v[82:83], v[78:79], v[80:81]
	ds_read_b128 v[78:81], v1 offset:1344
	v_fma_f64 v[4:5], v[50:51], v[20:21], -v[4:5]
	v_add_f64 v[2:3], v[2:3], v[4:5]
	v_mul_f64 v[4:5], v[56:57], v[6:7]
	s_waitcnt vmcnt(36) lgkmcnt(1)
	v_mul_f64 v[84:85], v[74:75], v[34:35]
	v_fma_f64 v[4:5], v[54:55], v[16:17], -v[4:5]
	s_waitcnt vmcnt(34)
	v_fmac_f64_e32 v[84:85], v[76:77], v[36:37]
	v_add_f64 v[2:3], v[2:3], v[4:5]
	v_mul_f64 v[4:5], v[60:61], v[12:13]
	v_add_f64 v[86:87], v[82:83], v[84:85]
	ds_read_b128 v[82:85], v1 offset:1360
	s_waitcnt vmcnt(33) lgkmcnt(1)
	v_mul_f64 v[88:89], v[78:79], v[30:31]
	v_fma_f64 v[4:5], v[58:59], v[14:15], -v[4:5]
	s_waitcnt vmcnt(32)
	v_fmac_f64_e32 v[88:89], v[80:81], v[32:33]
	v_add_f64 v[2:3], v[2:3], v[4:5]
	v_mul_f64 v[4:5], v[64:65], v[8:9]
	v_add_f64 v[90:91], v[86:87], v[88:89]
	ds_read_b128 v[86:89], v1 offset:1376
	v_fma_f64 v[4:5], v[62:63], v[10:11], -v[4:5]
	v_add_f64 v[2:3], v[2:3], v[4:5]
	v_mul_f64 v[4:5], v[68:69], v[26:27]
	v_fma_f64 v[4:5], v[66:67], v[28:29], -v[4:5]
	s_waitcnt vmcnt(28) lgkmcnt(1)
	v_mul_f64 v[92:93], v[82:83], v[42:43]
	v_add_f64 v[2:3], v[2:3], v[4:5]
	v_mul_f64 v[4:5], v[72:73], v[22:23]
	s_waitcnt vmcnt(26)
	v_fmac_f64_e32 v[92:93], v[84:85], v[44:45]
	v_fma_f64 v[4:5], v[70:71], v[24:25], -v[4:5]
	v_add_f64 v[94:95], v[90:91], v[92:93]
	ds_read_b128 v[90:93], v1 offset:1392
	s_waitcnt vmcnt(25) lgkmcnt(1)
	v_mul_f64 v[96:97], v[86:87], v[38:39]
	v_add_f64 v[2:3], v[2:3], v[4:5]
	v_mul_f64 v[4:5], v[76:77], v[34:35]
	s_waitcnt vmcnt(24)
	v_fmac_f64_e32 v[96:97], v[88:89], v[40:41]
	v_fma_f64 v[4:5], v[74:75], v[36:37], -v[4:5]
	v_add_f64 v[98:99], v[94:95], v[96:97]
	ds_read_b128 v[94:97], v1 offset:1408
	v_add_f64 v[2:3], v[2:3], v[4:5]
	v_mul_f64 v[4:5], v[80:81], v[30:31]
	v_fma_f64 v[4:5], v[78:79], v[32:33], -v[4:5]
	v_add_f64 v[2:3], v[2:3], v[4:5]
	v_mul_f64 v[4:5], v[84:85], v[42:43]
	s_waitcnt vmcnt(20) lgkmcnt(1)
	v_mul_f64 v[100:101], v[90:91], v[114:115]
	v_fma_f64 v[4:5], v[82:83], v[44:45], -v[4:5]
	s_waitcnt vmcnt(18)
	v_fmac_f64_e32 v[100:101], v[92:93], v[116:117]
	v_add_f64 v[2:3], v[2:3], v[4:5]
	v_mul_f64 v[4:5], v[88:89], v[38:39]
	v_add_f64 v[102:103], v[98:99], v[100:101]
	ds_read_b128 v[98:101], v1 offset:1424
	s_waitcnt vmcnt(17) lgkmcnt(1)
	v_mul_f64 v[104:105], v[94:95], v[110:111]
	v_fma_f64 v[4:5], v[86:87], v[40:41], -v[4:5]
	s_waitcnt vmcnt(16)
	v_fmac_f64_e32 v[104:105], v[96:97], v[112:113]
	v_add_f64 v[2:3], v[2:3], v[4:5]
	v_mul_f64 v[4:5], v[92:93], v[114:115]
	v_add_f64 v[134:135], v[102:103], v[104:105]
	ds_read_b128 v[102:105], v1 offset:1440
	v_fma_f64 v[4:5], v[90:91], v[116:117], -v[4:5]
	v_add_f64 v[2:3], v[2:3], v[4:5]
	v_mul_f64 v[4:5], v[96:97], v[110:111]
	v_fma_f64 v[4:5], v[94:95], v[112:113], -v[4:5]
	v_add_f64 v[2:3], v[2:3], v[4:5]
	s_waitcnt vmcnt(12) lgkmcnt(1)
	v_mul_f64 v[4:5], v[100:101], v[122:123]
	v_mul_f64 v[136:137], v[98:99], v[122:123]
	s_waitcnt vmcnt(10)
	v_fma_f64 v[4:5], v[98:99], v[124:125], -v[4:5]
	v_fmac_f64_e32 v[136:137], v[100:101], v[124:125]
	v_add_f64 v[2:3], v[2:3], v[4:5]
	s_waitcnt vmcnt(9) lgkmcnt(0)
	v_mul_f64 v[4:5], v[104:105], v[118:119]
	v_add_f64 v[134:135], v[134:135], v[136:137]
	v_mul_f64 v[136:137], v[102:103], v[118:119]
	s_waitcnt vmcnt(8)
	v_fma_f64 v[4:5], v[102:103], v[120:121], -v[4:5]
	v_fmac_f64_e32 v[136:137], v[104:105], v[120:121]
	v_add_f64 v[2:3], v[2:3], v[4:5]
	s_waitcnt vmcnt(6)
	v_mul_f64 v[4:5], v[108:109], v[126:127]
	v_add_f64 v[134:135], v[134:135], v[136:137]
	v_mul_f64 v[136:137], v[106:107], v[126:127]
	s_waitcnt vmcnt(4)
	v_fma_f64 v[4:5], v[106:107], v[128:129], -v[4:5]
	v_fmac_f64_e32 v[136:137], v[108:109], v[128:129]
	v_add_f64 v[2:3], v[2:3], v[4:5]
	v_add_f64 v[134:135], v[134:135], v[136:137]
	s_waitcnt vmcnt(2)
	v_add_f64 v[2:3], v[130:131], -v[2:3]
	s_waitcnt vmcnt(0)
	v_add_f64 v[4:5], v[132:133], -v[134:135]
	buffer_store_dword v3, off, s[0:3], 0 offset:484
	buffer_store_dword v2, off, s[0:3], 0 offset:480
	;; [unrolled: 1-line block ×4, first 2 shown]
	s_and_saveexec_b64 s[4:5], vcc
	s_cbranch_execz .LBB109_233
; %bb.232:
	v_accvgpr_read_b32 v0, a109
	buffer_load_dword v2, v0, s[0:3], 0 offen
	buffer_load_dword v3, v0, s[0:3], 0 offen offset:4
	buffer_load_dword v4, v0, s[0:3], 0 offen offset:8
	buffer_load_dword v5, v0, s[0:3], 0 offen offset:12
	v_mov_b32_e32 v0, 0
	v_accvgpr_read_b32 v1, a138
	buffer_store_dword v0, off, s[0:3], 0 offset:464
	buffer_store_dword v0, off, s[0:3], 0 offset:468
	;; [unrolled: 1-line block ×4, first 2 shown]
	s_waitcnt vmcnt(4)
	ds_write_b128 v1, v[2:5]
.LBB109_233:
	s_or_b64 exec, exec, s[4:5]
	s_waitcnt lgkmcnt(0)
	; wave barrier
	s_waitcnt lgkmcnt(0)
	buffer_load_dword v2, off, s[0:3], 0 offset:480
	buffer_load_dword v3, off, s[0:3], 0 offset:484
	;; [unrolled: 1-line block ×68, first 2 shown]
	v_mov_b32_e32 v1, 0
	buffer_load_dword v138, off, s[0:3], 0 offset:464
	buffer_load_dword v139, off, s[0:3], 0 offset:468
	buffer_load_dword v140, off, s[0:3], 0 offset:472
	ds_read_b128 v[46:49], v1 offset:1200
	ds_read_b128 v[50:53], v1 offset:1216
	buffer_load_dword v141, off, s[0:3], 0 offset:476
	ds_read_b128 v[54:57], v1 offset:1232
	ds_read_b128 v[58:61], v1 offset:1248
	;; [unrolled: 1-line block ×3, first 2 shown]
	v_cmp_lt_u32_e32 vcc, 27, v254
	s_waitcnt vmcnt(62) lgkmcnt(4)
	v_mul_f64 v[62:63], v[46:47], v[6:7]
	v_fmac_f64_e32 v[62:63], v[48:49], v[2:3]
	v_add_f64 v[62:63], v[62:63], 0
	v_mul_f64 v[6:7], v[48:49], v[6:7]
	s_waitcnt lgkmcnt(3)
	v_mul_f64 v[64:65], v[50:51], v[10:11]
	v_fmac_f64_e32 v[64:65], v[52:53], v[4:5]
	v_add_f64 v[62:63], v[62:63], v[64:65]
	v_fma_f64 v[2:3], v[46:47], v[2:3], -v[6:7]
	s_waitcnt vmcnt(60) lgkmcnt(2)
	v_mul_f64 v[64:65], v[54:55], v[12:13]
	v_fmac_f64_e32 v[64:65], v[56:57], v[8:9]
	v_add_f64 v[66:67], v[62:63], v[64:65]
	ds_read_b128 v[62:65], v1 offset:1264
	s_waitcnt vmcnt(56) lgkmcnt(2)
	v_mul_f64 v[68:69], v[58:59], v[18:19]
	v_mul_f64 v[6:7], v[52:53], v[10:11]
	s_waitcnt vmcnt(54)
	v_fmac_f64_e32 v[68:69], v[60:61], v[20:21]
	v_add_f64 v[70:71], v[66:67], v[68:69]
	ds_read_b128 v[66:69], v1 offset:1280
	s_waitcnt vmcnt(53) lgkmcnt(1)
	v_mul_f64 v[72:73], v[62:63], v[14:15]
	s_waitcnt vmcnt(52)
	v_fmac_f64_e32 v[72:73], v[64:65], v[16:17]
	v_add_f64 v[74:75], v[70:71], v[72:73]
	ds_read_b128 v[70:73], v1 offset:1296
	s_waitcnt vmcnt(48) lgkmcnt(1)
	;; [unrolled: 6-line block ×4, first 2 shown]
	v_mul_f64 v[84:85], v[74:75], v[34:35]
	s_waitcnt vmcnt(38)
	v_fmac_f64_e32 v[84:85], v[76:77], v[36:37]
	v_add_f64 v[2:3], v[2:3], 0
	v_fma_f64 v[4:5], v[50:51], v[4:5], -v[6:7]
	v_add_f64 v[86:87], v[82:83], v[84:85]
	ds_read_b128 v[82:85], v1 offset:1344
	v_add_f64 v[2:3], v[2:3], v[4:5]
	v_mul_f64 v[4:5], v[56:57], v[12:13]
	v_fma_f64 v[4:5], v[54:55], v[8:9], -v[4:5]
	v_add_f64 v[2:3], v[2:3], v[4:5]
	v_mul_f64 v[4:5], v[60:61], v[18:19]
	s_waitcnt vmcnt(37) lgkmcnt(1)
	v_mul_f64 v[88:89], v[78:79], v[30:31]
	v_fma_f64 v[4:5], v[58:59], v[20:21], -v[4:5]
	s_waitcnt vmcnt(36)
	v_fmac_f64_e32 v[88:89], v[80:81], v[32:33]
	v_add_f64 v[2:3], v[2:3], v[4:5]
	v_mul_f64 v[4:5], v[64:65], v[14:15]
	v_add_f64 v[90:91], v[86:87], v[88:89]
	ds_read_b128 v[86:89], v1 offset:1360
	s_waitcnt vmcnt(32) lgkmcnt(1)
	v_mul_f64 v[92:93], v[82:83], v[42:43]
	v_fma_f64 v[4:5], v[62:63], v[16:17], -v[4:5]
	s_waitcnt vmcnt(30)
	v_fmac_f64_e32 v[92:93], v[84:85], v[44:45]
	v_add_f64 v[2:3], v[2:3], v[4:5]
	v_mul_f64 v[4:5], v[68:69], v[26:27]
	v_add_f64 v[94:95], v[90:91], v[92:93]
	ds_read_b128 v[90:93], v1 offset:1376
	v_fma_f64 v[4:5], v[66:67], v[28:29], -v[4:5]
	v_add_f64 v[2:3], v[2:3], v[4:5]
	v_mul_f64 v[4:5], v[72:73], v[22:23]
	v_fma_f64 v[4:5], v[70:71], v[24:25], -v[4:5]
	s_waitcnt vmcnt(29) lgkmcnt(1)
	v_mul_f64 v[96:97], v[86:87], v[38:39]
	v_add_f64 v[2:3], v[2:3], v[4:5]
	v_mul_f64 v[4:5], v[76:77], v[34:35]
	s_waitcnt vmcnt(28)
	v_fmac_f64_e32 v[96:97], v[88:89], v[40:41]
	v_fma_f64 v[4:5], v[74:75], v[36:37], -v[4:5]
	v_add_f64 v[98:99], v[94:95], v[96:97]
	ds_read_b128 v[94:97], v1 offset:1392
	s_waitcnt vmcnt(24) lgkmcnt(1)
	v_mul_f64 v[100:101], v[90:91], v[118:119]
	v_add_f64 v[2:3], v[2:3], v[4:5]
	v_mul_f64 v[4:5], v[80:81], v[30:31]
	s_waitcnt vmcnt(22)
	v_fmac_f64_e32 v[100:101], v[92:93], v[120:121]
	v_fma_f64 v[4:5], v[78:79], v[32:33], -v[4:5]
	v_add_f64 v[102:103], v[98:99], v[100:101]
	ds_read_b128 v[98:101], v1 offset:1408
	v_add_f64 v[2:3], v[2:3], v[4:5]
	v_mul_f64 v[4:5], v[84:85], v[42:43]
	v_fma_f64 v[4:5], v[82:83], v[44:45], -v[4:5]
	v_add_f64 v[2:3], v[2:3], v[4:5]
	v_mul_f64 v[4:5], v[88:89], v[38:39]
	s_waitcnt vmcnt(21) lgkmcnt(1)
	v_mul_f64 v[104:105], v[94:95], v[114:115]
	v_fma_f64 v[4:5], v[86:87], v[40:41], -v[4:5]
	s_waitcnt vmcnt(20)
	v_fmac_f64_e32 v[104:105], v[96:97], v[116:117]
	v_add_f64 v[2:3], v[2:3], v[4:5]
	v_mul_f64 v[4:5], v[92:93], v[118:119]
	v_add_f64 v[106:107], v[102:103], v[104:105]
	ds_read_b128 v[102:105], v1 offset:1424
	s_waitcnt vmcnt(16) lgkmcnt(1)
	v_mul_f64 v[108:109], v[98:99], v[126:127]
	v_fma_f64 v[4:5], v[90:91], v[120:121], -v[4:5]
	s_waitcnt vmcnt(14)
	v_fmac_f64_e32 v[108:109], v[100:101], v[128:129]
	v_add_f64 v[2:3], v[2:3], v[4:5]
	v_mul_f64 v[4:5], v[96:97], v[114:115]
	v_add_f64 v[142:143], v[106:107], v[108:109]
	ds_read_b128 v[106:109], v1 offset:1440
	v_fma_f64 v[4:5], v[94:95], v[116:117], -v[4:5]
	v_add_f64 v[2:3], v[2:3], v[4:5]
	v_mul_f64 v[4:5], v[100:101], v[126:127]
	v_fma_f64 v[4:5], v[98:99], v[128:129], -v[4:5]
	v_add_f64 v[2:3], v[2:3], v[4:5]
	s_waitcnt vmcnt(13) lgkmcnt(1)
	v_mul_f64 v[4:5], v[104:105], v[122:123]
	v_mul_f64 v[144:145], v[102:103], v[122:123]
	s_waitcnt vmcnt(12)
	v_fma_f64 v[4:5], v[102:103], v[124:125], -v[4:5]
	v_fmac_f64_e32 v[144:145], v[104:105], v[124:125]
	v_add_f64 v[2:3], v[2:3], v[4:5]
	s_waitcnt vmcnt(8) lgkmcnt(0)
	v_mul_f64 v[4:5], v[108:109], v[134:135]
	v_add_f64 v[142:143], v[142:143], v[144:145]
	v_mul_f64 v[144:145], v[106:107], v[134:135]
	s_waitcnt vmcnt(6)
	v_fma_f64 v[4:5], v[106:107], v[136:137], -v[4:5]
	v_fmac_f64_e32 v[144:145], v[108:109], v[136:137]
	v_add_f64 v[2:3], v[2:3], v[4:5]
	s_waitcnt vmcnt(5)
	v_mul_f64 v[4:5], v[112:113], v[130:131]
	v_add_f64 v[142:143], v[142:143], v[144:145]
	v_mul_f64 v[144:145], v[110:111], v[130:131]
	s_waitcnt vmcnt(4)
	v_fma_f64 v[4:5], v[110:111], v[132:133], -v[4:5]
	v_fmac_f64_e32 v[144:145], v[112:113], v[132:133]
	v_add_f64 v[2:3], v[2:3], v[4:5]
	v_add_f64 v[142:143], v[142:143], v[144:145]
	s_waitcnt vmcnt(2)
	v_add_f64 v[2:3], v[138:139], -v[2:3]
	s_waitcnt vmcnt(0)
	v_add_f64 v[4:5], v[140:141], -v[142:143]
	buffer_store_dword v3, off, s[0:3], 0 offset:468
	buffer_store_dword v2, off, s[0:3], 0 offset:464
	;; [unrolled: 1-line block ×4, first 2 shown]
	s_and_saveexec_b64 s[4:5], vcc
	s_cbranch_execz .LBB109_235
; %bb.234:
	v_accvgpr_read_b32 v0, a110
	buffer_load_dword v2, v0, s[0:3], 0 offen
	buffer_load_dword v3, v0, s[0:3], 0 offen offset:4
	buffer_load_dword v4, v0, s[0:3], 0 offen offset:8
	buffer_load_dword v5, v0, s[0:3], 0 offen offset:12
	v_accvgpr_read_b32 v0, a138
	buffer_store_dword v1, off, s[0:3], 0 offset:448
	buffer_store_dword v1, off, s[0:3], 0 offset:452
	;; [unrolled: 1-line block ×4, first 2 shown]
	s_waitcnt vmcnt(4)
	ds_write_b128 v0, v[2:5]
.LBB109_235:
	s_or_b64 exec, exec, s[4:5]
	s_waitcnt lgkmcnt(0)
	; wave barrier
	s_waitcnt lgkmcnt(0)
	buffer_load_dword v2, off, s[0:3], 0 offset:464
	buffer_load_dword v3, off, s[0:3], 0 offset:468
	;; [unrolled: 1-line block ×72, first 2 shown]
	ds_read_b128 v[52:55], v1 offset:1184
	buffer_load_dword v146, off, s[0:3], 0 offset:448
	buffer_load_dword v147, off, s[0:3], 0 offset:452
	;; [unrolled: 1-line block ×4, first 2 shown]
	ds_read_b128 v[56:59], v1 offset:1200
	ds_read_b128 v[60:63], v1 offset:1216
	;; [unrolled: 1-line block ×3, first 2 shown]
	v_cmp_lt_u32_e32 vcc, 26, v254
	ds_read_b128 v[120:123], v1 offset:1456
	s_waitcnt vmcnt(62) lgkmcnt(4)
	v_mul_f64 v[68:69], v[52:53], v[8:9]
	v_fmac_f64_e32 v[68:69], v[54:55], v[2:3]
	v_add_f64 v[68:69], v[68:69], 0
	v_mul_f64 v[8:9], v[54:55], v[8:9]
	s_waitcnt lgkmcnt(3)
	v_mul_f64 v[70:71], v[56:57], v[10:11]
	v_fmac_f64_e32 v[70:71], v[58:59], v[4:5]
	v_add_f64 v[68:69], v[68:69], v[70:71]
	v_fma_f64 v[2:3], v[52:53], v[2:3], -v[8:9]
	s_waitcnt lgkmcnt(2)
	v_mul_f64 v[70:71], v[60:61], v[12:13]
	v_fmac_f64_e32 v[70:71], v[62:63], v[6:7]
	v_add_f64 v[72:73], v[68:69], v[70:71]
	ds_read_b128 v[68:71], v1 offset:1248
	s_waitcnt vmcnt(60) lgkmcnt(2)
	v_mul_f64 v[74:75], v[64:65], v[18:19]
	v_mul_f64 v[8:9], v[58:59], v[10:11]
	s_waitcnt vmcnt(58)
	v_fmac_f64_e32 v[74:75], v[66:67], v[20:21]
	v_add_f64 v[76:77], v[72:73], v[74:75]
	ds_read_b128 v[72:75], v1 offset:1264
	s_waitcnt vmcnt(57) lgkmcnt(1)
	v_mul_f64 v[78:79], v[68:69], v[14:15]
	s_waitcnt vmcnt(56)
	v_fmac_f64_e32 v[78:79], v[70:71], v[16:17]
	v_add_f64 v[80:81], v[76:77], v[78:79]
	ds_read_b128 v[76:79], v1 offset:1280
	s_waitcnt vmcnt(52) lgkmcnt(1)
	;; [unrolled: 6-line block ×4, first 2 shown]
	v_mul_f64 v[90:91], v[80:81], v[34:35]
	s_waitcnt vmcnt(42)
	v_fmac_f64_e32 v[90:91], v[82:83], v[36:37]
	v_add_f64 v[2:3], v[2:3], 0
	v_fma_f64 v[4:5], v[56:57], v[4:5], -v[8:9]
	v_add_f64 v[92:93], v[88:89], v[90:91]
	ds_read_b128 v[88:91], v1 offset:1328
	s_waitcnt vmcnt(41) lgkmcnt(1)
	v_mul_f64 v[94:95], v[84:85], v[30:31]
	v_add_f64 v[2:3], v[2:3], v[4:5]
	v_mul_f64 v[4:5], v[62:63], v[12:13]
	s_waitcnt vmcnt(40)
	v_fmac_f64_e32 v[94:95], v[86:87], v[32:33]
	v_fma_f64 v[4:5], v[60:61], v[6:7], -v[4:5]
	v_add_f64 v[96:97], v[92:93], v[94:95]
	ds_read_b128 v[92:95], v1 offset:1344
	v_add_f64 v[2:3], v[2:3], v[4:5]
	v_mul_f64 v[4:5], v[66:67], v[18:19]
	v_fma_f64 v[4:5], v[64:65], v[20:21], -v[4:5]
	v_add_f64 v[2:3], v[2:3], v[4:5]
	v_mul_f64 v[4:5], v[70:71], v[14:15]
	s_waitcnt vmcnt(36) lgkmcnt(1)
	v_mul_f64 v[98:99], v[88:89], v[42:43]
	v_fma_f64 v[4:5], v[68:69], v[16:17], -v[4:5]
	s_waitcnt vmcnt(34)
	v_fmac_f64_e32 v[98:99], v[90:91], v[44:45]
	v_add_f64 v[2:3], v[2:3], v[4:5]
	v_mul_f64 v[4:5], v[74:75], v[26:27]
	v_add_f64 v[100:101], v[96:97], v[98:99]
	ds_read_b128 v[96:99], v1 offset:1360
	s_waitcnt vmcnt(33) lgkmcnt(1)
	v_mul_f64 v[102:103], v[92:93], v[38:39]
	v_fma_f64 v[4:5], v[72:73], v[28:29], -v[4:5]
	s_waitcnt vmcnt(32)
	v_fmac_f64_e32 v[102:103], v[94:95], v[40:41]
	v_add_f64 v[2:3], v[2:3], v[4:5]
	v_mul_f64 v[4:5], v[78:79], v[22:23]
	v_add_f64 v[104:105], v[100:101], v[102:103]
	ds_read_b128 v[100:103], v1 offset:1376
	v_fma_f64 v[4:5], v[76:77], v[24:25], -v[4:5]
	v_add_f64 v[2:3], v[2:3], v[4:5]
	v_mul_f64 v[4:5], v[82:83], v[34:35]
	v_fma_f64 v[4:5], v[80:81], v[36:37], -v[4:5]
	s_waitcnt vmcnt(28) lgkmcnt(1)
	v_mul_f64 v[106:107], v[96:97], v[50:51]
	v_add_f64 v[2:3], v[2:3], v[4:5]
	v_mul_f64 v[4:5], v[86:87], v[30:31]
	s_waitcnt vmcnt(26)
	v_fmac_f64_e32 v[106:107], v[98:99], v[124:125]
	v_fma_f64 v[4:5], v[84:85], v[32:33], -v[4:5]
	v_add_f64 v[108:109], v[104:105], v[106:107]
	ds_read_b128 v[104:107], v1 offset:1392
	s_waitcnt vmcnt(25) lgkmcnt(1)
	v_mul_f64 v[110:111], v[100:101], v[46:47]
	v_add_f64 v[2:3], v[2:3], v[4:5]
	v_mul_f64 v[4:5], v[90:91], v[42:43]
	s_waitcnt vmcnt(24)
	v_fmac_f64_e32 v[110:111], v[102:103], v[48:49]
	v_fma_f64 v[4:5], v[88:89], v[44:45], -v[4:5]
	v_add_f64 v[112:113], v[108:109], v[110:111]
	ds_read_b128 v[108:111], v1 offset:1408
	v_add_f64 v[2:3], v[2:3], v[4:5]
	v_mul_f64 v[4:5], v[94:95], v[38:39]
	v_fma_f64 v[4:5], v[92:93], v[40:41], -v[4:5]
	v_add_f64 v[2:3], v[2:3], v[4:5]
	v_mul_f64 v[4:5], v[98:99], v[50:51]
	s_waitcnt vmcnt(20) lgkmcnt(1)
	v_mul_f64 v[114:115], v[104:105], v[130:131]
	v_fma_f64 v[4:5], v[96:97], v[124:125], -v[4:5]
	s_waitcnt vmcnt(18)
	v_fmac_f64_e32 v[114:115], v[106:107], v[132:133]
	v_add_f64 v[2:3], v[2:3], v[4:5]
	v_mul_f64 v[4:5], v[102:103], v[46:47]
	v_add_f64 v[116:117], v[112:113], v[114:115]
	ds_read_b128 v[112:115], v1 offset:1424
	s_waitcnt vmcnt(17) lgkmcnt(1)
	v_mul_f64 v[118:119], v[108:109], v[126:127]
	v_fma_f64 v[4:5], v[100:101], v[48:49], -v[4:5]
	s_waitcnt vmcnt(16)
	v_fmac_f64_e32 v[118:119], v[110:111], v[128:129]
	v_add_f64 v[2:3], v[2:3], v[4:5]
	v_mul_f64 v[4:5], v[106:107], v[130:131]
	v_add_f64 v[150:151], v[116:117], v[118:119]
	ds_read_b128 v[116:119], v1 offset:1440
	v_fma_f64 v[4:5], v[104:105], v[132:133], -v[4:5]
	v_add_f64 v[2:3], v[2:3], v[4:5]
	v_mul_f64 v[4:5], v[110:111], v[126:127]
	v_fma_f64 v[4:5], v[108:109], v[128:129], -v[4:5]
	v_add_f64 v[2:3], v[2:3], v[4:5]
	s_waitcnt vmcnt(12) lgkmcnt(1)
	v_mul_f64 v[4:5], v[114:115], v[138:139]
	v_mul_f64 v[152:153], v[112:113], v[138:139]
	s_waitcnt vmcnt(10)
	v_fma_f64 v[4:5], v[112:113], v[140:141], -v[4:5]
	v_fmac_f64_e32 v[152:153], v[114:115], v[140:141]
	v_add_f64 v[2:3], v[2:3], v[4:5]
	s_waitcnt vmcnt(9) lgkmcnt(0)
	v_mul_f64 v[4:5], v[118:119], v[134:135]
	v_add_f64 v[150:151], v[150:151], v[152:153]
	v_mul_f64 v[152:153], v[116:117], v[134:135]
	s_waitcnt vmcnt(8)
	v_fma_f64 v[4:5], v[116:117], v[136:137], -v[4:5]
	v_fmac_f64_e32 v[152:153], v[118:119], v[136:137]
	v_add_f64 v[2:3], v[2:3], v[4:5]
	s_waitcnt vmcnt(6)
	v_mul_f64 v[4:5], v[122:123], v[142:143]
	v_add_f64 v[150:151], v[150:151], v[152:153]
	v_mul_f64 v[152:153], v[120:121], v[142:143]
	s_waitcnt vmcnt(4)
	v_fma_f64 v[4:5], v[120:121], v[144:145], -v[4:5]
	v_fmac_f64_e32 v[152:153], v[122:123], v[144:145]
	v_add_f64 v[2:3], v[2:3], v[4:5]
	v_add_f64 v[150:151], v[150:151], v[152:153]
	s_waitcnt vmcnt(2)
	v_add_f64 v[2:3], v[146:147], -v[2:3]
	s_waitcnt vmcnt(0)
	v_add_f64 v[4:5], v[148:149], -v[150:151]
	buffer_store_dword v3, off, s[0:3], 0 offset:452
	buffer_store_dword v2, off, s[0:3], 0 offset:448
	;; [unrolled: 1-line block ×4, first 2 shown]
	s_and_saveexec_b64 s[4:5], vcc
	s_cbranch_execz .LBB109_237
; %bb.236:
	v_accvgpr_read_b32 v0, a111
	buffer_load_dword v2, v0, s[0:3], 0 offen
	buffer_load_dword v3, v0, s[0:3], 0 offen offset:4
	buffer_load_dword v4, v0, s[0:3], 0 offen offset:8
	buffer_load_dword v5, v0, s[0:3], 0 offen offset:12
	v_mov_b32_e32 v0, 0
	v_accvgpr_read_b32 v1, a138
	buffer_store_dword v0, off, s[0:3], 0 offset:432
	buffer_store_dword v0, off, s[0:3], 0 offset:436
	;; [unrolled: 1-line block ×4, first 2 shown]
	s_waitcnt vmcnt(4)
	ds_write_b128 v1, v[2:5]
.LBB109_237:
	s_or_b64 exec, exec, s[4:5]
	s_waitcnt lgkmcnt(0)
	; wave barrier
	s_waitcnt lgkmcnt(0)
	buffer_load_dword v2, off, s[0:3], 0 offset:448
	buffer_load_dword v3, off, s[0:3], 0 offset:452
	;; [unrolled: 1-line block ×76, first 2 shown]
	v_mov_b32_e32 v1, 0
	ds_read_b128 v[54:57], v1 offset:1168
	buffer_load_dword v154, off, s[0:3], 0 offset:432
	buffer_load_dword v155, off, s[0:3], 0 offset:436
	;; [unrolled: 1-line block ×4, first 2 shown]
	ds_read_b128 v[58:61], v1 offset:1184
	ds_read_b128 v[62:65], v1 offset:1200
	;; [unrolled: 1-line block ×4, first 2 shown]
	v_cmp_lt_u32_e32 vcc, 25, v254
	s_waitcnt vmcnt(62) lgkmcnt(4)
	v_mul_f64 v[70:71], v[54:55], v[8:9]
	v_fmac_f64_e32 v[70:71], v[56:57], v[2:3]
	v_add_f64 v[70:71], v[70:71], 0
	v_mul_f64 v[8:9], v[56:57], v[8:9]
	s_waitcnt lgkmcnt(3)
	v_mul_f64 v[72:73], v[58:59], v[10:11]
	v_fmac_f64_e32 v[72:73], v[60:61], v[4:5]
	v_add_f64 v[70:71], v[70:71], v[72:73]
	v_fma_f64 v[2:3], v[54:55], v[2:3], -v[8:9]
	s_waitcnt lgkmcnt(2)
	v_mul_f64 v[72:73], v[62:63], v[12:13]
	v_fmac_f64_e32 v[72:73], v[64:65], v[6:7]
	v_add_f64 v[74:75], v[70:71], v[72:73]
	ds_read_b128 v[70:73], v1 offset:1232
	s_waitcnt lgkmcnt(2)
	v_mul_f64 v[76:77], v[66:67], v[18:19]
	v_mul_f64 v[8:9], v[60:61], v[10:11]
	v_fmac_f64_e32 v[76:77], v[68:69], v[20:21]
	v_add_f64 v[78:79], v[74:75], v[76:77]
	ds_read_b128 v[74:77], v1 offset:1248
	s_waitcnt vmcnt(61) lgkmcnt(1)
	v_mul_f64 v[80:81], v[70:71], v[14:15]
	s_waitcnt vmcnt(60)
	v_fmac_f64_e32 v[80:81], v[72:73], v[16:17]
	v_add_f64 v[82:83], v[78:79], v[80:81]
	ds_read_b128 v[78:81], v1 offset:1264
	s_waitcnt vmcnt(56) lgkmcnt(1)
	v_mul_f64 v[84:85], v[74:75], v[26:27]
	s_waitcnt vmcnt(54)
	;; [unrolled: 6-line block ×4, first 2 shown]
	v_fmac_f64_e32 v[92:93], v[84:85], v[36:37]
	v_add_f64 v[94:95], v[90:91], v[92:93]
	ds_read_b128 v[90:93], v1 offset:1312
	v_add_f64 v[2:3], v[2:3], 0
	v_fma_f64 v[4:5], v[58:59], v[4:5], -v[8:9]
	s_waitcnt vmcnt(45) lgkmcnt(1)
	v_mul_f64 v[96:97], v[86:87], v[30:31]
	v_add_f64 v[2:3], v[2:3], v[4:5]
	v_mul_f64 v[4:5], v[64:65], v[12:13]
	s_waitcnt vmcnt(44)
	v_fmac_f64_e32 v[96:97], v[88:89], v[32:33]
	v_fma_f64 v[4:5], v[62:63], v[6:7], -v[4:5]
	v_add_f64 v[98:99], v[94:95], v[96:97]
	ds_read_b128 v[94:97], v1 offset:1328
	s_waitcnt vmcnt(40) lgkmcnt(1)
	v_mul_f64 v[100:101], v[90:91], v[42:43]
	v_add_f64 v[2:3], v[2:3], v[4:5]
	v_mul_f64 v[4:5], v[68:69], v[18:19]
	s_waitcnt vmcnt(38)
	v_fmac_f64_e32 v[100:101], v[92:93], v[44:45]
	v_fma_f64 v[4:5], v[66:67], v[20:21], -v[4:5]
	v_add_f64 v[102:103], v[98:99], v[100:101]
	ds_read_b128 v[98:101], v1 offset:1344
	v_add_f64 v[2:3], v[2:3], v[4:5]
	v_mul_f64 v[4:5], v[72:73], v[14:15]
	v_fma_f64 v[4:5], v[70:71], v[16:17], -v[4:5]
	v_add_f64 v[2:3], v[2:3], v[4:5]
	v_mul_f64 v[4:5], v[76:77], v[26:27]
	s_waitcnt vmcnt(37) lgkmcnt(1)
	v_mul_f64 v[104:105], v[94:95], v[38:39]
	v_fma_f64 v[4:5], v[74:75], v[28:29], -v[4:5]
	s_waitcnt vmcnt(36)
	v_fmac_f64_e32 v[104:105], v[96:97], v[40:41]
	v_add_f64 v[2:3], v[2:3], v[4:5]
	v_mul_f64 v[4:5], v[80:81], v[22:23]
	v_add_f64 v[106:107], v[102:103], v[104:105]
	ds_read_b128 v[102:105], v1 offset:1360
	s_waitcnt vmcnt(32) lgkmcnt(1)
	v_mul_f64 v[108:109], v[98:99], v[50:51]
	v_fma_f64 v[4:5], v[78:79], v[24:25], -v[4:5]
	s_waitcnt vmcnt(30)
	v_fmac_f64_e32 v[108:109], v[100:101], v[52:53]
	v_add_f64 v[2:3], v[2:3], v[4:5]
	v_mul_f64 v[4:5], v[84:85], v[34:35]
	v_add_f64 v[110:111], v[106:107], v[108:109]
	ds_read_b128 v[106:109], v1 offset:1376
	v_fma_f64 v[4:5], v[82:83], v[36:37], -v[4:5]
	v_add_f64 v[2:3], v[2:3], v[4:5]
	v_mul_f64 v[4:5], v[88:89], v[30:31]
	v_fma_f64 v[4:5], v[86:87], v[32:33], -v[4:5]
	s_waitcnt vmcnt(29) lgkmcnt(1)
	v_mul_f64 v[112:113], v[102:103], v[46:47]
	v_add_f64 v[2:3], v[2:3], v[4:5]
	v_mul_f64 v[4:5], v[92:93], v[42:43]
	s_waitcnt vmcnt(28)
	v_fmac_f64_e32 v[112:113], v[104:105], v[48:49]
	v_fma_f64 v[4:5], v[90:91], v[44:45], -v[4:5]
	v_add_f64 v[114:115], v[110:111], v[112:113]
	ds_read_b128 v[110:113], v1 offset:1392
	s_waitcnt vmcnt(24) lgkmcnt(1)
	v_mul_f64 v[116:117], v[106:107], v[134:135]
	v_add_f64 v[2:3], v[2:3], v[4:5]
	v_mul_f64 v[4:5], v[96:97], v[38:39]
	s_waitcnt vmcnt(22)
	v_fmac_f64_e32 v[116:117], v[108:109], v[136:137]
	v_fma_f64 v[4:5], v[94:95], v[40:41], -v[4:5]
	v_add_f64 v[118:119], v[114:115], v[116:117]
	ds_read_b128 v[114:117], v1 offset:1408
	v_add_f64 v[2:3], v[2:3], v[4:5]
	v_mul_f64 v[4:5], v[100:101], v[50:51]
	v_fma_f64 v[4:5], v[98:99], v[52:53], -v[4:5]
	v_add_f64 v[2:3], v[2:3], v[4:5]
	v_mul_f64 v[4:5], v[104:105], v[46:47]
	s_waitcnt vmcnt(21) lgkmcnt(1)
	v_mul_f64 v[120:121], v[110:111], v[130:131]
	v_fma_f64 v[4:5], v[102:103], v[48:49], -v[4:5]
	s_waitcnt vmcnt(20)
	v_fmac_f64_e32 v[120:121], v[112:113], v[132:133]
	v_add_f64 v[2:3], v[2:3], v[4:5]
	v_mul_f64 v[4:5], v[108:109], v[134:135]
	v_add_f64 v[122:123], v[118:119], v[120:121]
	ds_read_b128 v[118:121], v1 offset:1424
	s_waitcnt vmcnt(16) lgkmcnt(1)
	v_mul_f64 v[124:125], v[114:115], v[142:143]
	v_fma_f64 v[4:5], v[106:107], v[136:137], -v[4:5]
	s_waitcnt vmcnt(14)
	v_fmac_f64_e32 v[124:125], v[116:117], v[144:145]
	v_add_f64 v[2:3], v[2:3], v[4:5]
	v_mul_f64 v[4:5], v[112:113], v[130:131]
	v_add_f64 v[158:159], v[122:123], v[124:125]
	ds_read_b128 v[122:125], v1 offset:1440
	v_fma_f64 v[4:5], v[110:111], v[132:133], -v[4:5]
	v_add_f64 v[2:3], v[2:3], v[4:5]
	v_mul_f64 v[4:5], v[116:117], v[142:143]
	v_fma_f64 v[4:5], v[114:115], v[144:145], -v[4:5]
	v_add_f64 v[2:3], v[2:3], v[4:5]
	s_waitcnt vmcnt(13) lgkmcnt(1)
	v_mul_f64 v[4:5], v[120:121], v[138:139]
	v_mul_f64 v[160:161], v[118:119], v[138:139]
	s_waitcnt vmcnt(12)
	v_fma_f64 v[4:5], v[118:119], v[140:141], -v[4:5]
	v_fmac_f64_e32 v[160:161], v[120:121], v[140:141]
	v_add_f64 v[2:3], v[2:3], v[4:5]
	s_waitcnt vmcnt(8) lgkmcnt(0)
	v_mul_f64 v[4:5], v[124:125], v[150:151]
	v_add_f64 v[158:159], v[158:159], v[160:161]
	v_mul_f64 v[160:161], v[122:123], v[150:151]
	s_waitcnt vmcnt(6)
	v_fma_f64 v[4:5], v[122:123], v[152:153], -v[4:5]
	v_fmac_f64_e32 v[160:161], v[124:125], v[152:153]
	v_add_f64 v[2:3], v[2:3], v[4:5]
	s_waitcnt vmcnt(5)
	v_mul_f64 v[4:5], v[128:129], v[146:147]
	v_add_f64 v[158:159], v[158:159], v[160:161]
	v_mul_f64 v[160:161], v[126:127], v[146:147]
	s_waitcnt vmcnt(4)
	v_fma_f64 v[4:5], v[126:127], v[148:149], -v[4:5]
	v_fmac_f64_e32 v[160:161], v[128:129], v[148:149]
	v_add_f64 v[2:3], v[2:3], v[4:5]
	v_add_f64 v[158:159], v[158:159], v[160:161]
	s_waitcnt vmcnt(2)
	v_add_f64 v[2:3], v[154:155], -v[2:3]
	s_waitcnt vmcnt(0)
	v_add_f64 v[4:5], v[156:157], -v[158:159]
	buffer_store_dword v3, off, s[0:3], 0 offset:436
	buffer_store_dword v2, off, s[0:3], 0 offset:432
	;; [unrolled: 1-line block ×4, first 2 shown]
	s_and_saveexec_b64 s[4:5], vcc
	s_cbranch_execz .LBB109_239
; %bb.238:
	v_accvgpr_read_b32 v0, a112
	buffer_load_dword v2, v0, s[0:3], 0 offen
	buffer_load_dword v3, v0, s[0:3], 0 offen offset:4
	buffer_load_dword v4, v0, s[0:3], 0 offen offset:8
	;; [unrolled: 1-line block ×3, first 2 shown]
	v_accvgpr_read_b32 v0, a138
	buffer_store_dword v1, off, s[0:3], 0 offset:416
	buffer_store_dword v1, off, s[0:3], 0 offset:420
	;; [unrolled: 1-line block ×4, first 2 shown]
	s_waitcnt vmcnt(4)
	ds_write_b128 v0, v[2:5]
.LBB109_239:
	s_or_b64 exec, exec, s[4:5]
	s_waitcnt lgkmcnt(0)
	; wave barrier
	s_waitcnt lgkmcnt(0)
	buffer_load_dword v2, off, s[0:3], 0 offset:432
	buffer_load_dword v3, off, s[0:3], 0 offset:436
	;; [unrolled: 1-line block ×76, first 2 shown]
	ds_read_b128 v[54:57], v1 offset:1152
	buffer_load_dword v159, off, s[0:3], 0 offset:748
	buffer_load_dword v158, off, s[0:3], 0 offset:744
	;; [unrolled: 1-line block ×8, first 2 shown]
	ds_read_b128 v[58:61], v1 offset:1168
	ds_read_b128 v[62:65], v1 offset:1184
	;; [unrolled: 1-line block ×3, first 2 shown]
	v_cmp_lt_u32_e32 vcc, 24, v254
	ds_read_b128 v[130:133], v1 offset:1456
	s_waitcnt vmcnt(62) lgkmcnt(4)
	v_mul_f64 v[70:71], v[54:55], v[8:9]
	v_fmac_f64_e32 v[70:71], v[56:57], v[2:3]
	v_add_f64 v[70:71], v[70:71], 0
	v_mul_f64 v[8:9], v[56:57], v[8:9]
	s_waitcnt lgkmcnt(3)
	v_mul_f64 v[72:73], v[58:59], v[10:11]
	v_fmac_f64_e32 v[72:73], v[60:61], v[4:5]
	v_add_f64 v[70:71], v[70:71], v[72:73]
	v_fma_f64 v[2:3], v[54:55], v[2:3], -v[8:9]
	s_waitcnt lgkmcnt(2)
	v_mul_f64 v[72:73], v[62:63], v[12:13]
	v_fmac_f64_e32 v[72:73], v[64:65], v[6:7]
	v_add_f64 v[74:75], v[70:71], v[72:73]
	ds_read_b128 v[70:73], v1 offset:1216
	v_mul_f64 v[8:9], v[60:61], v[10:11]
	v_add_f64 v[2:3], v[2:3], 0
	s_waitcnt lgkmcnt(2)
	v_mul_f64 v[76:77], v[66:67], v[18:19]
	v_fma_f64 v[4:5], v[58:59], v[4:5], -v[8:9]
	v_fmac_f64_e32 v[76:77], v[68:69], v[20:21]
	v_add_f64 v[78:79], v[74:75], v[76:77]
	ds_read_b128 v[74:77], v1 offset:1232
	s_waitcnt lgkmcnt(1)
	v_mul_f64 v[80:81], v[70:71], v[14:15]
	v_fmac_f64_e32 v[80:81], v[72:73], v[16:17]
	v_add_f64 v[82:83], v[78:79], v[80:81]
	ds_read_b128 v[78:81], v1 offset:1248
	s_waitcnt vmcnt(58) lgkmcnt(1)
	v_mul_f64 v[84:85], v[74:75], v[26:27]
	s_waitcnt vmcnt(56)
	v_fmac_f64_e32 v[84:85], v[76:77], v[28:29]
	v_add_f64 v[86:87], v[82:83], v[84:85]
	ds_read_b128 v[82:85], v1 offset:1264
	s_waitcnt lgkmcnt(1)
	v_mul_f64 v[88:89], v[78:79], v[22:23]
	v_fmac_f64_e32 v[88:89], v[80:81], v[24:25]
	v_add_f64 v[90:91], v[86:87], v[88:89]
	ds_read_b128 v[86:89], v1 offset:1280
	s_waitcnt vmcnt(50) lgkmcnt(1)
	v_mul_f64 v[92:93], v[82:83], v[34:35]
	s_waitcnt vmcnt(48)
	v_fmac_f64_e32 v[92:93], v[84:85], v[36:37]
	v_add_f64 v[94:95], v[90:91], v[92:93]
	ds_read_b128 v[90:93], v1 offset:1296
	s_waitcnt lgkmcnt(1)
	v_mul_f64 v[96:97], v[86:87], v[30:31]
	v_fmac_f64_e32 v[96:97], v[88:89], v[32:33]
	v_add_f64 v[98:99], v[94:95], v[96:97]
	ds_read_b128 v[94:97], v1 offset:1312
	v_add_f64 v[2:3], v[2:3], v[4:5]
	v_mul_f64 v[4:5], v[64:65], v[12:13]
	v_fma_f64 v[4:5], v[62:63], v[6:7], -v[4:5]
	s_waitcnt vmcnt(42) lgkmcnt(1)
	v_mul_f64 v[100:101], v[90:91], v[42:43]
	v_add_f64 v[2:3], v[2:3], v[4:5]
	v_mul_f64 v[4:5], v[68:69], v[18:19]
	s_waitcnt vmcnt(40)
	v_fmac_f64_e32 v[100:101], v[92:93], v[44:45]
	v_fma_f64 v[4:5], v[66:67], v[20:21], -v[4:5]
	v_add_f64 v[102:103], v[98:99], v[100:101]
	ds_read_b128 v[98:101], v1 offset:1328
	s_waitcnt lgkmcnt(1)
	v_mul_f64 v[104:105], v[94:95], v[38:39]
	v_add_f64 v[2:3], v[2:3], v[4:5]
	v_mul_f64 v[4:5], v[72:73], v[14:15]
	v_fmac_f64_e32 v[104:105], v[96:97], v[40:41]
	v_fma_f64 v[4:5], v[70:71], v[16:17], -v[4:5]
	v_add_f64 v[106:107], v[102:103], v[104:105]
	ds_read_b128 v[102:105], v1 offset:1344
	v_add_f64 v[2:3], v[2:3], v[4:5]
	v_mul_f64 v[4:5], v[76:77], v[26:27]
	v_fma_f64 v[4:5], v[74:75], v[28:29], -v[4:5]
	v_add_f64 v[2:3], v[2:3], v[4:5]
	v_mul_f64 v[4:5], v[80:81], v[22:23]
	s_waitcnt vmcnt(34) lgkmcnt(1)
	v_mul_f64 v[108:109], v[98:99], v[50:51]
	v_fma_f64 v[4:5], v[78:79], v[24:25], -v[4:5]
	s_waitcnt vmcnt(32)
	v_fmac_f64_e32 v[108:109], v[100:101], v[52:53]
	v_add_f64 v[2:3], v[2:3], v[4:5]
	v_mul_f64 v[4:5], v[84:85], v[34:35]
	v_add_f64 v[110:111], v[106:107], v[108:109]
	ds_read_b128 v[106:109], v1 offset:1360
	s_waitcnt lgkmcnt(1)
	v_mul_f64 v[112:113], v[102:103], v[46:47]
	v_fma_f64 v[4:5], v[82:83], v[36:37], -v[4:5]
	v_fmac_f64_e32 v[112:113], v[104:105], v[48:49]
	v_add_f64 v[2:3], v[2:3], v[4:5]
	v_mul_f64 v[4:5], v[88:89], v[30:31]
	v_add_f64 v[114:115], v[110:111], v[112:113]
	ds_read_b128 v[110:113], v1 offset:1376
	v_fma_f64 v[4:5], v[86:87], v[32:33], -v[4:5]
	v_add_f64 v[2:3], v[2:3], v[4:5]
	v_mul_f64 v[4:5], v[92:93], v[42:43]
	v_fma_f64 v[4:5], v[90:91], v[44:45], -v[4:5]
	s_waitcnt vmcnt(26) lgkmcnt(1)
	v_mul_f64 v[116:117], v[106:107], v[138:139]
	v_add_f64 v[2:3], v[2:3], v[4:5]
	v_mul_f64 v[4:5], v[96:97], v[38:39]
	s_waitcnt vmcnt(24)
	v_fmac_f64_e32 v[116:117], v[108:109], v[140:141]
	v_fma_f64 v[4:5], v[94:95], v[40:41], -v[4:5]
	v_add_f64 v[118:119], v[114:115], v[116:117]
	ds_read_b128 v[114:117], v1 offset:1392
	s_waitcnt lgkmcnt(1)
	v_mul_f64 v[120:121], v[110:111], v[134:135]
	v_add_f64 v[2:3], v[2:3], v[4:5]
	v_mul_f64 v[4:5], v[100:101], v[50:51]
	v_fmac_f64_e32 v[120:121], v[112:113], v[136:137]
	v_fma_f64 v[4:5], v[98:99], v[52:53], -v[4:5]
	v_add_f64 v[122:123], v[118:119], v[120:121]
	ds_read_b128 v[118:121], v1 offset:1408
	v_add_f64 v[2:3], v[2:3], v[4:5]
	v_mul_f64 v[4:5], v[104:105], v[46:47]
	v_fma_f64 v[4:5], v[102:103], v[48:49], -v[4:5]
	v_add_f64 v[2:3], v[2:3], v[4:5]
	v_mul_f64 v[4:5], v[108:109], v[138:139]
	s_waitcnt vmcnt(18) lgkmcnt(1)
	v_mul_f64 v[124:125], v[114:115], v[146:147]
	v_fma_f64 v[4:5], v[106:107], v[140:141], -v[4:5]
	s_waitcnt vmcnt(16)
	v_fmac_f64_e32 v[124:125], v[116:117], v[148:149]
	v_add_f64 v[2:3], v[2:3], v[4:5]
	v_mul_f64 v[4:5], v[112:113], v[134:135]
	v_add_f64 v[126:127], v[122:123], v[124:125]
	ds_read_b128 v[122:125], v1 offset:1424
	s_waitcnt lgkmcnt(1)
	v_mul_f64 v[128:129], v[118:119], v[142:143]
	v_fma_f64 v[4:5], v[110:111], v[136:137], -v[4:5]
	v_fmac_f64_e32 v[128:129], v[120:121], v[144:145]
	v_add_f64 v[2:3], v[2:3], v[4:5]
	v_mul_f64 v[4:5], v[116:117], v[146:147]
	v_add_f64 v[166:167], v[126:127], v[128:129]
	ds_read_b128 v[126:129], v1 offset:1440
	v_fma_f64 v[4:5], v[114:115], v[148:149], -v[4:5]
	v_add_f64 v[2:3], v[2:3], v[4:5]
	v_mul_f64 v[4:5], v[120:121], v[142:143]
	v_fma_f64 v[4:5], v[118:119], v[144:145], -v[4:5]
	v_add_f64 v[2:3], v[2:3], v[4:5]
	s_waitcnt vmcnt(10) lgkmcnt(1)
	v_mul_f64 v[4:5], v[124:125], v[154:155]
	v_mul_f64 v[168:169], v[122:123], v[154:155]
	s_waitcnt vmcnt(8)
	v_fma_f64 v[4:5], v[122:123], v[156:157], -v[4:5]
	v_fmac_f64_e32 v[168:169], v[124:125], v[156:157]
	v_add_f64 v[2:3], v[2:3], v[4:5]
	s_waitcnt lgkmcnt(0)
	v_mul_f64 v[4:5], v[128:129], v[150:151]
	v_add_f64 v[166:167], v[166:167], v[168:169]
	v_mul_f64 v[168:169], v[126:127], v[150:151]
	v_fma_f64 v[4:5], v[126:127], v[152:153], -v[4:5]
	v_fmac_f64_e32 v[168:169], v[128:129], v[152:153]
	v_add_f64 v[2:3], v[2:3], v[4:5]
	s_waitcnt vmcnt(6)
	v_mul_f64 v[4:5], v[132:133], v[158:159]
	v_add_f64 v[166:167], v[166:167], v[168:169]
	v_mul_f64 v[168:169], v[130:131], v[158:159]
	s_waitcnt vmcnt(4)
	v_fma_f64 v[4:5], v[130:131], v[160:161], -v[4:5]
	v_fmac_f64_e32 v[168:169], v[132:133], v[160:161]
	v_add_f64 v[2:3], v[2:3], v[4:5]
	v_add_f64 v[166:167], v[166:167], v[168:169]
	s_waitcnt vmcnt(2)
	v_add_f64 v[2:3], v[162:163], -v[2:3]
	s_waitcnt vmcnt(0)
	v_add_f64 v[4:5], v[164:165], -v[166:167]
	buffer_store_dword v3, off, s[0:3], 0 offset:420
	buffer_store_dword v2, off, s[0:3], 0 offset:416
	;; [unrolled: 1-line block ×4, first 2 shown]
	s_and_saveexec_b64 s[4:5], vcc
	s_cbranch_execz .LBB109_241
; %bb.240:
	v_accvgpr_read_b32 v0, a113
	buffer_load_dword v2, v0, s[0:3], 0 offen
	buffer_load_dword v3, v0, s[0:3], 0 offen offset:4
	buffer_load_dword v4, v0, s[0:3], 0 offen offset:8
	;; [unrolled: 1-line block ×3, first 2 shown]
	v_mov_b32_e32 v0, 0
	v_accvgpr_read_b32 v1, a138
	buffer_store_dword v0, off, s[0:3], 0 offset:400
	buffer_store_dword v0, off, s[0:3], 0 offset:404
	;; [unrolled: 1-line block ×4, first 2 shown]
	s_waitcnt vmcnt(4)
	ds_write_b128 v1, v[2:5]
.LBB109_241:
	s_or_b64 exec, exec, s[4:5]
	s_waitcnt lgkmcnt(0)
	; wave barrier
	s_waitcnt lgkmcnt(0)
	buffer_load_dword v4, off, s[0:3], 0 offset:400
	buffer_load_dword v5, off, s[0:3], 0 offset:404
	;; [unrolled: 1-line block ×84, first 2 shown]
	v_mov_b32_e32 v1, 0
	ds_read_b128 v[66:69], v1 offset:1136
	buffer_load_dword v171, off, s[0:3], 0 offset:748
	buffer_load_dword v170, off, s[0:3], 0 offset:744
	;; [unrolled: 1-line block ×4, first 2 shown]
	ds_read_b128 v[70:73], v1 offset:1152
	ds_read_b128 v[74:77], v1 offset:1168
	;; [unrolled: 1-line block ×4, first 2 shown]
	v_cmp_lt_u32_e32 vcc, 23, v254
	s_waitcnt vmcnt(62) lgkmcnt(4)
	v_mul_f64 v[82:83], v[66:67], v[12:13]
	v_fmac_f64_e32 v[82:83], v[68:69], v[6:7]
	s_waitcnt lgkmcnt(3)
	v_mul_f64 v[84:85], v[70:71], v[14:15]
	v_add_f64 v[82:83], v[82:83], 0
	v_fmac_f64_e32 v[84:85], v[72:73], v[8:9]
	v_add_f64 v[82:83], v[82:83], v[84:85]
	s_waitcnt lgkmcnt(2)
	v_mul_f64 v[84:85], v[74:75], v[16:17]
	v_fmac_f64_e32 v[84:85], v[76:77], v[10:11]
	v_add_f64 v[86:87], v[82:83], v[84:85]
	ds_read_b128 v[82:85], v1 offset:1200
	v_mul_f64 v[12:13], v[68:69], v[12:13]
	s_waitcnt lgkmcnt(2)
	v_mul_f64 v[88:89], v[78:79], v[22:23]
	v_fma_f64 v[6:7], v[66:67], v[6:7], -v[12:13]
	v_fmac_f64_e32 v[88:89], v[80:81], v[24:25]
	v_add_f64 v[90:91], v[86:87], v[88:89]
	ds_read_b128 v[86:89], v1 offset:1216
	s_waitcnt lgkmcnt(1)
	v_mul_f64 v[92:93], v[82:83], v[18:19]
	v_fmac_f64_e32 v[92:93], v[84:85], v[20:21]
	v_add_f64 v[94:95], v[90:91], v[92:93]
	ds_read_b128 v[90:93], v1 offset:1232
	s_waitcnt vmcnt(58) lgkmcnt(1)
	v_mul_f64 v[96:97], v[86:87], v[30:31]
	s_waitcnt vmcnt(56)
	v_fmac_f64_e32 v[96:97], v[88:89], v[32:33]
	v_add_f64 v[98:99], v[94:95], v[96:97]
	ds_read_b128 v[94:97], v1 offset:1248
	s_waitcnt lgkmcnt(1)
	v_mul_f64 v[100:101], v[90:91], v[26:27]
	v_fmac_f64_e32 v[100:101], v[92:93], v[28:29]
	v_add_f64 v[102:103], v[98:99], v[100:101]
	ds_read_b128 v[98:101], v1 offset:1264
	s_waitcnt vmcnt(50) lgkmcnt(1)
	v_mul_f64 v[104:105], v[94:95], v[38:39]
	s_waitcnt vmcnt(48)
	v_fmac_f64_e32 v[104:105], v[96:97], v[40:41]
	v_add_f64 v[106:107], v[102:103], v[104:105]
	ds_read_b128 v[102:105], v1 offset:1280
	s_waitcnt lgkmcnt(1)
	v_mul_f64 v[108:109], v[98:99], v[34:35]
	v_fmac_f64_e32 v[108:109], v[100:101], v[36:37]
	v_mul_f64 v[12:13], v[72:73], v[14:15]
	v_add_f64 v[110:111], v[106:107], v[108:109]
	ds_read_b128 v[106:109], v1 offset:1296
	s_waitcnt vmcnt(42) lgkmcnt(1)
	v_mul_f64 v[112:113], v[102:103], v[46:47]
	v_add_f64 v[6:7], v[6:7], 0
	v_fma_f64 v[8:9], v[70:71], v[8:9], -v[12:13]
	s_waitcnt vmcnt(40)
	v_fmac_f64_e32 v[112:113], v[104:105], v[48:49]
	v_add_f64 v[6:7], v[6:7], v[8:9]
	v_mul_f64 v[8:9], v[76:77], v[16:17]
	v_add_f64 v[114:115], v[110:111], v[112:113]
	ds_read_b128 v[110:113], v1 offset:1312
	v_fma_f64 v[8:9], v[74:75], v[10:11], -v[8:9]
	v_add_f64 v[6:7], v[6:7], v[8:9]
	v_mul_f64 v[8:9], v[80:81], v[22:23]
	v_fma_f64 v[8:9], v[78:79], v[24:25], -v[8:9]
	s_waitcnt lgkmcnt(1)
	v_mul_f64 v[116:117], v[106:107], v[42:43]
	v_add_f64 v[6:7], v[6:7], v[8:9]
	v_mul_f64 v[8:9], v[84:85], v[18:19]
	v_fmac_f64_e32 v[116:117], v[108:109], v[44:45]
	v_fma_f64 v[8:9], v[82:83], v[20:21], -v[8:9]
	v_add_f64 v[118:119], v[114:115], v[116:117]
	ds_read_b128 v[114:117], v1 offset:1328
	s_waitcnt vmcnt(34) lgkmcnt(1)
	v_mul_f64 v[120:121], v[110:111], v[54:55]
	v_add_f64 v[6:7], v[6:7], v[8:9]
	v_mul_f64 v[8:9], v[88:89], v[30:31]
	s_waitcnt vmcnt(32)
	v_fmac_f64_e32 v[120:121], v[112:113], v[56:57]
	v_fma_f64 v[8:9], v[86:87], v[32:33], -v[8:9]
	v_add_f64 v[122:123], v[118:119], v[120:121]
	ds_read_b128 v[118:121], v1 offset:1344
	v_add_f64 v[6:7], v[6:7], v[8:9]
	v_mul_f64 v[8:9], v[92:93], v[26:27]
	v_fma_f64 v[8:9], v[90:91], v[28:29], -v[8:9]
	v_add_f64 v[6:7], v[6:7], v[8:9]
	v_mul_f64 v[8:9], v[96:97], v[38:39]
	s_waitcnt lgkmcnt(1)
	v_mul_f64 v[124:125], v[114:115], v[50:51]
	v_fma_f64 v[8:9], v[94:95], v[40:41], -v[8:9]
	v_fmac_f64_e32 v[124:125], v[116:117], v[52:53]
	v_add_f64 v[6:7], v[6:7], v[8:9]
	v_mul_f64 v[8:9], v[100:101], v[34:35]
	v_add_f64 v[126:127], v[122:123], v[124:125]
	ds_read_b128 v[122:125], v1 offset:1360
	s_waitcnt vmcnt(26) lgkmcnt(1)
	v_mul_f64 v[128:129], v[118:119], v[62:63]
	v_fma_f64 v[8:9], v[98:99], v[36:37], -v[8:9]
	s_waitcnt vmcnt(24)
	v_fmac_f64_e32 v[128:129], v[120:121], v[64:65]
	v_add_f64 v[6:7], v[6:7], v[8:9]
	v_mul_f64 v[8:9], v[104:105], v[46:47]
	v_add_f64 v[130:131], v[126:127], v[128:129]
	ds_read_b128 v[126:129], v1 offset:1376
	v_fma_f64 v[8:9], v[102:103], v[48:49], -v[8:9]
	v_add_f64 v[6:7], v[6:7], v[8:9]
	v_mul_f64 v[8:9], v[108:109], v[42:43]
	v_fma_f64 v[8:9], v[106:107], v[44:45], -v[8:9]
	s_waitcnt lgkmcnt(1)
	v_mul_f64 v[132:133], v[122:123], v[58:59]
	v_add_f64 v[6:7], v[6:7], v[8:9]
	v_mul_f64 v[8:9], v[112:113], v[54:55]
	v_fmac_f64_e32 v[132:133], v[124:125], v[60:61]
	v_fma_f64 v[8:9], v[110:111], v[56:57], -v[8:9]
	v_add_f64 v[134:135], v[130:131], v[132:133]
	ds_read_b128 v[130:133], v1 offset:1392
	s_waitcnt vmcnt(18) lgkmcnt(1)
	v_mul_f64 v[136:137], v[126:127], v[154:155]
	v_add_f64 v[6:7], v[6:7], v[8:9]
	v_mul_f64 v[8:9], v[116:117], v[50:51]
	s_waitcnt vmcnt(16)
	v_fmac_f64_e32 v[136:137], v[128:129], v[156:157]
	v_fma_f64 v[8:9], v[114:115], v[52:53], -v[8:9]
	v_add_f64 v[138:139], v[134:135], v[136:137]
	ds_read_b128 v[134:137], v1 offset:1408
	v_add_f64 v[6:7], v[6:7], v[8:9]
	v_mul_f64 v[8:9], v[120:121], v[62:63]
	v_fma_f64 v[8:9], v[118:119], v[64:65], -v[8:9]
	v_add_f64 v[6:7], v[6:7], v[8:9]
	v_mul_f64 v[8:9], v[124:125], v[58:59]
	s_waitcnt lgkmcnt(1)
	v_mul_f64 v[140:141], v[130:131], v[150:151]
	v_fma_f64 v[8:9], v[122:123], v[60:61], -v[8:9]
	v_fmac_f64_e32 v[140:141], v[132:133], v[152:153]
	v_add_f64 v[6:7], v[6:7], v[8:9]
	v_mul_f64 v[8:9], v[128:129], v[154:155]
	v_add_f64 v[142:143], v[138:139], v[140:141]
	ds_read_b128 v[138:141], v1 offset:1424
	s_waitcnt vmcnt(10) lgkmcnt(1)
	v_mul_f64 v[144:145], v[134:135], v[162:163]
	v_fma_f64 v[8:9], v[126:127], v[156:157], -v[8:9]
	s_waitcnt vmcnt(8)
	v_fmac_f64_e32 v[144:145], v[136:137], v[164:165]
	v_add_f64 v[6:7], v[6:7], v[8:9]
	v_mul_f64 v[8:9], v[132:133], v[150:151]
	v_add_f64 v[174:175], v[142:143], v[144:145]
	ds_read_b128 v[142:145], v1 offset:1440
	v_fma_f64 v[8:9], v[130:131], v[152:153], -v[8:9]
	v_add_f64 v[6:7], v[6:7], v[8:9]
	v_mul_f64 v[8:9], v[136:137], v[162:163]
	v_fma_f64 v[8:9], v[134:135], v[164:165], -v[8:9]
	v_add_f64 v[6:7], v[6:7], v[8:9]
	s_waitcnt lgkmcnt(1)
	v_mul_f64 v[8:9], v[140:141], v[158:159]
	v_mul_f64 v[176:177], v[138:139], v[158:159]
	v_fma_f64 v[8:9], v[138:139], v[160:161], -v[8:9]
	v_fmac_f64_e32 v[176:177], v[140:141], v[160:161]
	v_add_f64 v[6:7], v[6:7], v[8:9]
	s_waitcnt vmcnt(6) lgkmcnt(0)
	v_mul_f64 v[8:9], v[144:145], v[166:167]
	v_add_f64 v[174:175], v[174:175], v[176:177]
	v_mul_f64 v[176:177], v[142:143], v[166:167]
	s_waitcnt vmcnt(4)
	v_fma_f64 v[8:9], v[142:143], v[168:169], -v[8:9]
	v_fmac_f64_e32 v[176:177], v[144:145], v[168:169]
	v_add_f64 v[6:7], v[6:7], v[8:9]
	s_waitcnt vmcnt(2)
	v_mul_f64 v[8:9], v[148:149], v[170:171]
	v_add_f64 v[174:175], v[174:175], v[176:177]
	v_mul_f64 v[176:177], v[146:147], v[170:171]
	s_waitcnt vmcnt(0)
	v_fma_f64 v[8:9], v[146:147], v[172:173], -v[8:9]
	v_fmac_f64_e32 v[176:177], v[148:149], v[172:173]
	v_add_f64 v[6:7], v[6:7], v[8:9]
	v_add_f64 v[174:175], v[174:175], v[176:177]
	v_add_f64 v[4:5], v[4:5], -v[6:7]
	v_add_f64 v[2:3], v[2:3], -v[174:175]
	buffer_store_dword v5, off, s[0:3], 0 offset:404
	buffer_store_dword v4, off, s[0:3], 0 offset:400
	;; [unrolled: 1-line block ×4, first 2 shown]
	s_and_saveexec_b64 s[4:5], vcc
	s_cbranch_execz .LBB109_243
; %bb.242:
	v_accvgpr_read_b32 v0, a114
	buffer_load_dword v2, v0, s[0:3], 0 offen
	buffer_load_dword v3, v0, s[0:3], 0 offen offset:4
	buffer_load_dword v4, v0, s[0:3], 0 offen offset:8
	;; [unrolled: 1-line block ×3, first 2 shown]
	v_accvgpr_read_b32 v0, a138
	buffer_store_dword v1, off, s[0:3], 0 offset:384
	buffer_store_dword v1, off, s[0:3], 0 offset:388
	;; [unrolled: 1-line block ×4, first 2 shown]
	s_waitcnt vmcnt(4)
	ds_write_b128 v0, v[2:5]
.LBB109_243:
	s_or_b64 exec, exec, s[4:5]
	s_waitcnt lgkmcnt(0)
	; wave barrier
	s_waitcnt lgkmcnt(0)
	ds_read_b128 v[14:17], v1 offset:1120
	ds_read_b128 v[10:13], v1 offset:1136
	;; [unrolled: 1-line block ×4, first 2 shown]
	buffer_load_dword v20, off, s[0:3], 0 offset:384
	buffer_load_dword v21, off, s[0:3], 0 offset:388
	;; [unrolled: 1-line block ×92, first 2 shown]
	s_waitcnt vmcnt(62) lgkmcnt(3)
	v_mul_f64 v[86:87], v[14:15], v[28:29]
	v_fmac_f64_e32 v[86:87], v[16:17], v[22:23]
	s_waitcnt lgkmcnt(2)
	v_mul_f64 v[88:89], v[10:11], v[30:31]
	v_add_f64 v[86:87], v[86:87], 0
	v_fmac_f64_e32 v[88:89], v[12:13], v[24:25]
	v_add_f64 v[86:87], v[86:87], v[88:89]
	s_waitcnt lgkmcnt(1)
	v_mul_f64 v[88:89], v[6:7], v[32:33]
	v_fmac_f64_e32 v[88:89], v[8:9], v[26:27]
	v_add_f64 v[90:91], v[86:87], v[88:89]
	ds_read_b128 v[86:89], v1 offset:1184
	v_mul_f64 v[16:17], v[16:17], v[28:29]
	v_fma_f64 v[14:15], v[14:15], v[22:23], -v[16:17]
	s_waitcnt lgkmcnt(1)
	v_mul_f64 v[92:93], v[2:3], v[38:39]
	v_mul_f64 v[12:13], v[12:13], v[30:31]
	v_fmac_f64_e32 v[92:93], v[4:5], v[40:41]
	v_add_f64 v[94:95], v[90:91], v[92:93]
	ds_read_b128 v[90:93], v1 offset:1200
	s_waitcnt lgkmcnt(1)
	v_mul_f64 v[96:97], v[86:87], v[34:35]
	v_fmac_f64_e32 v[96:97], v[88:89], v[36:37]
	v_add_f64 v[98:99], v[94:95], v[96:97]
	ds_read_b128 v[94:97], v1 offset:1216
	s_waitcnt lgkmcnt(1)
	v_mul_f64 v[100:101], v[90:91], v[46:47]
	s_waitcnt vmcnt(60)
	v_fmac_f64_e32 v[100:101], v[92:93], v[48:49]
	v_add_f64 v[102:103], v[98:99], v[100:101]
	ds_read_b128 v[98:101], v1 offset:1232
	s_waitcnt lgkmcnt(1)
	v_mul_f64 v[104:105], v[94:95], v[42:43]
	v_fmac_f64_e32 v[104:105], v[96:97], v[44:45]
	v_add_f64 v[106:107], v[102:103], v[104:105]
	ds_read_b128 v[102:105], v1 offset:1248
	s_waitcnt vmcnt(54) lgkmcnt(1)
	v_mul_f64 v[108:109], v[98:99], v[54:55]
	s_waitcnt vmcnt(52)
	v_fmac_f64_e32 v[108:109], v[100:101], v[56:57]
	v_add_f64 v[110:111], v[106:107], v[108:109]
	ds_read_b128 v[106:109], v1 offset:1264
	s_waitcnt lgkmcnt(1)
	v_mul_f64 v[112:113], v[102:103], v[50:51]
	v_fmac_f64_e32 v[112:113], v[104:105], v[52:53]
	v_add_f64 v[114:115], v[110:111], v[112:113]
	ds_read_b128 v[110:113], v1 offset:1280
	s_waitcnt vmcnt(46) lgkmcnt(1)
	v_mul_f64 v[116:117], v[106:107], v[62:63]
	s_waitcnt vmcnt(44)
	v_fmac_f64_e32 v[116:117], v[108:109], v[64:65]
	v_add_f64 v[118:119], v[114:115], v[116:117]
	ds_read_b128 v[114:117], v1 offset:1296
	s_waitcnt lgkmcnt(1)
	v_mul_f64 v[120:121], v[110:111], v[58:59]
	v_fmac_f64_e32 v[120:121], v[112:113], v[60:61]
	v_add_f64 v[14:15], v[14:15], 0
	v_fma_f64 v[10:11], v[10:11], v[24:25], -v[12:13]
	v_mul_f64 v[8:9], v[8:9], v[32:33]
	v_add_f64 v[122:123], v[118:119], v[120:121]
	ds_read_b128 v[118:121], v1 offset:1312
	v_add_f64 v[10:11], v[14:15], v[10:11]
	v_fma_f64 v[6:7], v[6:7], v[26:27], -v[8:9]
	v_mul_f64 v[4:5], v[4:5], v[38:39]
	v_add_f64 v[6:7], v[10:11], v[6:7]
	v_fma_f64 v[2:3], v[2:3], v[40:41], -v[4:5]
	v_mul_f64 v[4:5], v[88:89], v[34:35]
	v_add_f64 v[2:3], v[6:7], v[2:3]
	v_fma_f64 v[4:5], v[86:87], v[36:37], -v[4:5]
	s_waitcnt vmcnt(38) lgkmcnt(1)
	v_mul_f64 v[124:125], v[114:115], v[70:71]
	v_add_f64 v[2:3], v[2:3], v[4:5]
	v_mul_f64 v[4:5], v[92:93], v[46:47]
	s_waitcnt vmcnt(36)
	v_fmac_f64_e32 v[124:125], v[116:117], v[72:73]
	v_fma_f64 v[4:5], v[90:91], v[48:49], -v[4:5]
	v_add_f64 v[126:127], v[122:123], v[124:125]
	ds_read_b128 v[122:125], v1 offset:1328
	s_waitcnt lgkmcnt(1)
	v_mul_f64 v[128:129], v[118:119], v[66:67]
	v_add_f64 v[2:3], v[2:3], v[4:5]
	v_mul_f64 v[4:5], v[96:97], v[42:43]
	v_fmac_f64_e32 v[128:129], v[120:121], v[68:69]
	v_fma_f64 v[4:5], v[94:95], v[44:45], -v[4:5]
	v_add_f64 v[130:131], v[126:127], v[128:129]
	ds_read_b128 v[126:129], v1 offset:1344
	v_add_f64 v[2:3], v[2:3], v[4:5]
	v_mul_f64 v[4:5], v[100:101], v[54:55]
	v_fma_f64 v[4:5], v[98:99], v[56:57], -v[4:5]
	v_add_f64 v[2:3], v[2:3], v[4:5]
	v_mul_f64 v[4:5], v[104:105], v[50:51]
	s_waitcnt vmcnt(30) lgkmcnt(1)
	v_mul_f64 v[132:133], v[122:123], v[78:79]
	v_fma_f64 v[4:5], v[102:103], v[52:53], -v[4:5]
	s_waitcnt vmcnt(28)
	v_fmac_f64_e32 v[132:133], v[124:125], v[80:81]
	v_add_f64 v[2:3], v[2:3], v[4:5]
	v_mul_f64 v[4:5], v[108:109], v[62:63]
	v_add_f64 v[134:135], v[130:131], v[132:133]
	ds_read_b128 v[130:133], v1 offset:1360
	s_waitcnt lgkmcnt(1)
	v_mul_f64 v[136:137], v[126:127], v[74:75]
	v_fma_f64 v[4:5], v[106:107], v[64:65], -v[4:5]
	v_fmac_f64_e32 v[136:137], v[128:129], v[76:77]
	v_add_f64 v[2:3], v[2:3], v[4:5]
	v_mul_f64 v[4:5], v[112:113], v[58:59]
	v_add_f64 v[138:139], v[134:135], v[136:137]
	ds_read_b128 v[134:137], v1 offset:1376
	v_fma_f64 v[4:5], v[110:111], v[60:61], -v[4:5]
	v_add_f64 v[2:3], v[2:3], v[4:5]
	v_mul_f64 v[4:5], v[116:117], v[70:71]
	v_fma_f64 v[4:5], v[114:115], v[72:73], -v[4:5]
	s_waitcnt vmcnt(22) lgkmcnt(1)
	v_mul_f64 v[140:141], v[130:131], v[158:159]
	v_add_f64 v[2:3], v[2:3], v[4:5]
	v_mul_f64 v[4:5], v[120:121], v[66:67]
	s_waitcnt vmcnt(20)
	v_fmac_f64_e32 v[140:141], v[132:133], v[160:161]
	v_fma_f64 v[4:5], v[118:119], v[68:69], -v[4:5]
	v_add_f64 v[142:143], v[138:139], v[140:141]
	ds_read_b128 v[138:141], v1 offset:1392
	s_waitcnt lgkmcnt(1)
	v_mul_f64 v[144:145], v[134:135], v[82:83]
	v_add_f64 v[2:3], v[2:3], v[4:5]
	v_mul_f64 v[4:5], v[124:125], v[78:79]
	v_fmac_f64_e32 v[144:145], v[136:137], v[84:85]
	v_fma_f64 v[4:5], v[122:123], v[80:81], -v[4:5]
	v_add_f64 v[146:147], v[142:143], v[144:145]
	ds_read_b128 v[142:145], v1 offset:1408
	v_add_f64 v[2:3], v[2:3], v[4:5]
	v_mul_f64 v[4:5], v[128:129], v[74:75]
	v_fma_f64 v[4:5], v[126:127], v[76:77], -v[4:5]
	v_add_f64 v[2:3], v[2:3], v[4:5]
	v_mul_f64 v[4:5], v[132:133], v[158:159]
	s_waitcnt vmcnt(14) lgkmcnt(1)
	v_mul_f64 v[148:149], v[138:139], v[166:167]
	v_fma_f64 v[4:5], v[130:131], v[160:161], -v[4:5]
	s_waitcnt vmcnt(12)
	v_fmac_f64_e32 v[148:149], v[140:141], v[168:169]
	v_add_f64 v[2:3], v[2:3], v[4:5]
	v_mul_f64 v[4:5], v[136:137], v[82:83]
	v_add_f64 v[150:151], v[146:147], v[148:149]
	ds_read_b128 v[146:149], v1 offset:1424
	s_waitcnt lgkmcnt(1)
	v_mul_f64 v[152:153], v[142:143], v[162:163]
	v_fma_f64 v[4:5], v[134:135], v[84:85], -v[4:5]
	v_fmac_f64_e32 v[152:153], v[144:145], v[164:165]
	v_add_f64 v[2:3], v[2:3], v[4:5]
	v_mul_f64 v[4:5], v[140:141], v[166:167]
	v_add_f64 v[182:183], v[150:151], v[152:153]
	ds_read_b128 v[150:153], v1 offset:1440
	ds_read_b128 v[154:157], v1 offset:1456
	v_fma_f64 v[4:5], v[138:139], v[168:169], -v[4:5]
	v_add_f64 v[2:3], v[2:3], v[4:5]
	v_mul_f64 v[4:5], v[144:145], v[162:163]
	v_fma_f64 v[4:5], v[142:143], v[164:165], -v[4:5]
	v_add_f64 v[2:3], v[2:3], v[4:5]
	s_waitcnt vmcnt(6) lgkmcnt(2)
	v_mul_f64 v[4:5], v[148:149], v[174:175]
	v_mul_f64 v[184:185], v[146:147], v[174:175]
	s_waitcnt vmcnt(4)
	v_fma_f64 v[4:5], v[146:147], v[176:177], -v[4:5]
	v_fmac_f64_e32 v[184:185], v[148:149], v[176:177]
	v_add_f64 v[2:3], v[2:3], v[4:5]
	s_waitcnt lgkmcnt(1)
	v_mul_f64 v[4:5], v[152:153], v[170:171]
	v_add_f64 v[182:183], v[182:183], v[184:185]
	v_mul_f64 v[184:185], v[150:151], v[170:171]
	v_fma_f64 v[4:5], v[150:151], v[172:173], -v[4:5]
	v_fmac_f64_e32 v[184:185], v[152:153], v[172:173]
	v_add_f64 v[2:3], v[2:3], v[4:5]
	s_waitcnt vmcnt(2) lgkmcnt(0)
	v_mul_f64 v[4:5], v[156:157], v[178:179]
	v_add_f64 v[182:183], v[182:183], v[184:185]
	v_mul_f64 v[184:185], v[154:155], v[178:179]
	s_waitcnt vmcnt(0)
	v_fma_f64 v[4:5], v[154:155], v[180:181], -v[4:5]
	v_fmac_f64_e32 v[184:185], v[156:157], v[180:181]
	v_add_f64 v[2:3], v[2:3], v[4:5]
	v_add_f64 v[182:183], v[182:183], v[184:185]
	v_add_f64 v[2:3], v[20:21], -v[2:3]
	v_cmp_lt_u32_e32 vcc, 22, v254
	v_add_f64 v[4:5], v[18:19], -v[182:183]
	buffer_store_dword v3, off, s[0:3], 0 offset:388
	buffer_store_dword v2, off, s[0:3], 0 offset:384
	;; [unrolled: 1-line block ×4, first 2 shown]
	s_and_saveexec_b64 s[4:5], vcc
	s_cbranch_execz .LBB109_245
; %bb.244:
	v_accvgpr_read_b32 v0, a115
	buffer_load_dword v2, v0, s[0:3], 0 offen
	buffer_load_dword v3, v0, s[0:3], 0 offen offset:4
	buffer_load_dword v4, v0, s[0:3], 0 offen offset:8
	;; [unrolled: 1-line block ×3, first 2 shown]
	v_mov_b32_e32 v0, 0
	v_accvgpr_read_b32 v1, a138
	buffer_store_dword v0, off, s[0:3], 0 offset:368
	buffer_store_dword v0, off, s[0:3], 0 offset:372
	;; [unrolled: 1-line block ×4, first 2 shown]
	s_waitcnt vmcnt(4)
	ds_write_b128 v1, v[2:5]
.LBB109_245:
	s_or_b64 exec, exec, s[4:5]
	s_waitcnt lgkmcnt(0)
	; wave barrier
	s_waitcnt lgkmcnt(0)
	buffer_load_dword v9, off, s[0:3], 0 offset:396
	buffer_load_dword v6, off, s[0:3], 0 offset:408
	;; [unrolled: 1-line block ×64, first 2 shown]
	v_mov_b32_e32 v1, 0
	ds_read_b128 v[74:77], v1 offset:1104
	ds_read_b128 v[78:81], v1 offset:1120
	buffer_load_dword v67, off, s[0:3], 0 offset:652
	buffer_load_dword v66, off, s[0:3], 0 offset:648
	;; [unrolled: 1-line block ×8, first 2 shown]
	ds_read_b128 v[82:85], v1 offset:1136
	ds_read_b128 v[86:89], v1 offset:1152
	buffer_load_dword v167, off, s[0:3], 0 offset:684
	buffer_load_dword v166, off, s[0:3], 0 offset:680
	;; [unrolled: 1-line block ×24, first 2 shown]
	ds_read_b128 v[162:165], v1 offset:1456
	v_cmp_lt_u32_e32 vcc, 21, v254
	s_waitcnt vmcnt(62) lgkmcnt(1)
	v_mul_f64 v[96:97], v[86:87], v[22:23]
	v_fmac_f64_e32 v[96:97], v[88:89], v[24:25]
	v_mul_f64 v[92:93], v[78:79], v[6:7]
	v_mul_f64 v[90:91], v[74:75], v[8:9]
	;; [unrolled: 1-line block ×3, first 2 shown]
	v_fmac_f64_e32 v[90:91], v[76:77], v[10:11]
	v_add_f64 v[90:91], v[90:91], 0
	v_fma_f64 v[8:9], v[74:75], v[10:11], -v[8:9]
	v_mul_f64 v[6:7], v[80:81], v[6:7]
	v_add_f64 v[8:9], v[8:9], 0
	v_fmac_f64_e32 v[92:93], v[80:81], v[14:15]
	v_add_f64 v[90:91], v[90:91], v[92:93]
	v_mul_f64 v[92:93], v[82:83], v[16:17]
	v_fmac_f64_e32 v[92:93], v[84:85], v[12:13]
	v_add_f64 v[94:95], v[90:91], v[92:93]
	ds_read_b128 v[90:93], v1 offset:1168
	v_add_f64 v[98:99], v[94:95], v[96:97]
	ds_read_b128 v[94:97], v1 offset:1184
	v_fma_f64 v[6:7], v[78:79], v[14:15], -v[6:7]
	v_add_f64 v[6:7], v[8:9], v[6:7]
	s_waitcnt lgkmcnt(1)
	v_mul_f64 v[100:101], v[90:91], v[18:19]
	v_fmac_f64_e32 v[100:101], v[92:93], v[20:21]
	v_add_f64 v[102:103], v[98:99], v[100:101]
	ds_read_b128 v[98:101], v1 offset:1200
	s_waitcnt lgkmcnt(1)
	v_mul_f64 v[104:105], v[94:95], v[30:31]
	v_fmac_f64_e32 v[104:105], v[96:97], v[32:33]
	v_add_f64 v[106:107], v[102:103], v[104:105]
	ds_read_b128 v[102:105], v1 offset:1216
	;; [unrolled: 5-line block ×3, first 2 shown]
	s_waitcnt vmcnt(58) lgkmcnt(1)
	v_mul_f64 v[112:113], v[102:103], v[38:39]
	s_waitcnt vmcnt(56)
	v_fmac_f64_e32 v[112:113], v[104:105], v[40:41]
	v_add_f64 v[114:115], v[110:111], v[112:113]
	ds_read_b128 v[110:113], v1 offset:1248
	s_waitcnt lgkmcnt(1)
	v_mul_f64 v[116:117], v[106:107], v[34:35]
	v_fmac_f64_e32 v[116:117], v[108:109], v[36:37]
	v_add_f64 v[118:119], v[114:115], v[116:117]
	ds_read_b128 v[114:117], v1 offset:1264
	s_waitcnt vmcnt(50) lgkmcnt(1)
	v_mul_f64 v[120:121], v[110:111], v[46:47]
	s_waitcnt vmcnt(48)
	v_fmac_f64_e32 v[120:121], v[112:113], v[48:49]
	v_add_f64 v[122:123], v[118:119], v[120:121]
	ds_read_b128 v[118:121], v1 offset:1280
	v_mul_f64 v[8:9], v[84:85], v[16:17]
	s_waitcnt lgkmcnt(1)
	v_mul_f64 v[124:125], v[114:115], v[42:43]
	v_fma_f64 v[8:9], v[82:83], v[12:13], -v[8:9]
	v_fmac_f64_e32 v[124:125], v[116:117], v[44:45]
	v_add_f64 v[6:7], v[6:7], v[8:9]
	v_mul_f64 v[8:9], v[88:89], v[22:23]
	v_add_f64 v[126:127], v[122:123], v[124:125]
	ds_read_b128 v[122:125], v1 offset:1296
	s_waitcnt vmcnt(42) lgkmcnt(1)
	v_mul_f64 v[128:129], v[118:119], v[54:55]
	v_fma_f64 v[8:9], v[86:87], v[24:25], -v[8:9]
	s_waitcnt vmcnt(40)
	v_fmac_f64_e32 v[128:129], v[120:121], v[56:57]
	v_add_f64 v[6:7], v[6:7], v[8:9]
	v_mul_f64 v[8:9], v[92:93], v[18:19]
	v_add_f64 v[130:131], v[126:127], v[128:129]
	ds_read_b128 v[126:129], v1 offset:1312
	v_fma_f64 v[8:9], v[90:91], v[20:21], -v[8:9]
	v_add_f64 v[6:7], v[6:7], v[8:9]
	v_mul_f64 v[8:9], v[96:97], v[30:31]
	v_fma_f64 v[8:9], v[94:95], v[32:33], -v[8:9]
	s_waitcnt lgkmcnt(1)
	v_mul_f64 v[132:133], v[122:123], v[50:51]
	v_add_f64 v[6:7], v[6:7], v[8:9]
	v_mul_f64 v[8:9], v[100:101], v[26:27]
	v_fmac_f64_e32 v[132:133], v[124:125], v[52:53]
	v_fma_f64 v[8:9], v[98:99], v[28:29], -v[8:9]
	v_add_f64 v[134:135], v[130:131], v[132:133]
	ds_read_b128 v[130:133], v1 offset:1328
	s_waitcnt vmcnt(34) lgkmcnt(1)
	v_mul_f64 v[136:137], v[126:127], v[62:63]
	v_add_f64 v[6:7], v[6:7], v[8:9]
	v_mul_f64 v[8:9], v[104:105], v[38:39]
	s_waitcnt vmcnt(32)
	v_fmac_f64_e32 v[136:137], v[128:129], v[64:65]
	v_fma_f64 v[8:9], v[102:103], v[40:41], -v[8:9]
	v_add_f64 v[138:139], v[134:135], v[136:137]
	ds_read_b128 v[134:137], v1 offset:1344
	v_add_f64 v[6:7], v[6:7], v[8:9]
	v_mul_f64 v[8:9], v[108:109], v[34:35]
	v_fma_f64 v[8:9], v[106:107], v[36:37], -v[8:9]
	v_add_f64 v[6:7], v[6:7], v[8:9]
	v_mul_f64 v[8:9], v[112:113], v[46:47]
	s_waitcnt lgkmcnt(1)
	v_mul_f64 v[140:141], v[130:131], v[58:59]
	v_fma_f64 v[8:9], v[110:111], v[48:49], -v[8:9]
	v_fmac_f64_e32 v[140:141], v[132:133], v[60:61]
	v_add_f64 v[6:7], v[6:7], v[8:9]
	v_mul_f64 v[8:9], v[116:117], v[42:43]
	v_add_f64 v[142:143], v[138:139], v[140:141]
	ds_read_b128 v[138:141], v1 offset:1360
	s_waitcnt vmcnt(26) lgkmcnt(1)
	v_mul_f64 v[144:145], v[134:135], v[70:71]
	v_fma_f64 v[8:9], v[114:115], v[44:45], -v[8:9]
	s_waitcnt vmcnt(24)
	v_fmac_f64_e32 v[144:145], v[136:137], v[72:73]
	v_add_f64 v[6:7], v[6:7], v[8:9]
	v_mul_f64 v[8:9], v[120:121], v[54:55]
	v_add_f64 v[146:147], v[142:143], v[144:145]
	ds_read_b128 v[142:145], v1 offset:1376
	v_fma_f64 v[8:9], v[118:119], v[56:57], -v[8:9]
	v_add_f64 v[6:7], v[6:7], v[8:9]
	v_mul_f64 v[8:9], v[124:125], v[50:51]
	v_fma_f64 v[8:9], v[122:123], v[52:53], -v[8:9]
	s_waitcnt lgkmcnt(1)
	v_mul_f64 v[148:149], v[138:139], v[66:67]
	v_add_f64 v[6:7], v[6:7], v[8:9]
	v_mul_f64 v[8:9], v[128:129], v[62:63]
	v_fmac_f64_e32 v[148:149], v[140:141], v[68:69]
	v_fma_f64 v[8:9], v[126:127], v[64:65], -v[8:9]
	v_add_f64 v[150:151], v[146:147], v[148:149]
	ds_read_b128 v[146:149], v1 offset:1392
	s_waitcnt vmcnt(18) lgkmcnt(1)
	v_mul_f64 v[152:153], v[142:143], v[170:171]
	v_add_f64 v[6:7], v[6:7], v[8:9]
	v_mul_f64 v[8:9], v[132:133], v[58:59]
	s_waitcnt vmcnt(16)
	v_fmac_f64_e32 v[152:153], v[144:145], v[172:173]
	v_fma_f64 v[8:9], v[130:131], v[60:61], -v[8:9]
	v_add_f64 v[154:155], v[150:151], v[152:153]
	ds_read_b128 v[150:153], v1 offset:1408
	v_add_f64 v[6:7], v[6:7], v[8:9]
	v_mul_f64 v[8:9], v[136:137], v[70:71]
	v_fma_f64 v[8:9], v[134:135], v[72:73], -v[8:9]
	v_add_f64 v[6:7], v[6:7], v[8:9]
	v_mul_f64 v[8:9], v[140:141], v[66:67]
	s_waitcnt lgkmcnt(1)
	v_mul_f64 v[156:157], v[146:147], v[166:167]
	v_fma_f64 v[8:9], v[138:139], v[68:69], -v[8:9]
	v_fmac_f64_e32 v[156:157], v[148:149], v[168:169]
	v_add_f64 v[6:7], v[6:7], v[8:9]
	v_mul_f64 v[8:9], v[144:145], v[170:171]
	v_add_f64 v[158:159], v[154:155], v[156:157]
	ds_read_b128 v[154:157], v1 offset:1424
	s_waitcnt vmcnt(10) lgkmcnt(1)
	v_mul_f64 v[160:161], v[150:151], v[178:179]
	v_fma_f64 v[8:9], v[142:143], v[172:173], -v[8:9]
	s_waitcnt vmcnt(8)
	v_fmac_f64_e32 v[160:161], v[152:153], v[180:181]
	v_add_f64 v[6:7], v[6:7], v[8:9]
	v_mul_f64 v[8:9], v[148:149], v[166:167]
	v_add_f64 v[190:191], v[158:159], v[160:161]
	ds_read_b128 v[158:161], v1 offset:1440
	v_fma_f64 v[8:9], v[146:147], v[168:169], -v[8:9]
	v_add_f64 v[6:7], v[6:7], v[8:9]
	v_mul_f64 v[8:9], v[152:153], v[178:179]
	v_fma_f64 v[8:9], v[150:151], v[180:181], -v[8:9]
	v_add_f64 v[6:7], v[6:7], v[8:9]
	s_waitcnt lgkmcnt(1)
	v_mul_f64 v[8:9], v[156:157], v[174:175]
	v_mul_f64 v[192:193], v[154:155], v[174:175]
	v_fma_f64 v[8:9], v[154:155], v[176:177], -v[8:9]
	v_fmac_f64_e32 v[192:193], v[156:157], v[176:177]
	v_add_f64 v[6:7], v[6:7], v[8:9]
	s_waitcnt vmcnt(2) lgkmcnt(0)
	v_mul_f64 v[8:9], v[160:161], v[186:187]
	v_add_f64 v[190:191], v[190:191], v[192:193]
	v_mul_f64 v[192:193], v[158:159], v[186:187]
	s_waitcnt vmcnt(0)
	v_fma_f64 v[8:9], v[158:159], v[188:189], -v[8:9]
	v_fmac_f64_e32 v[192:193], v[160:161], v[188:189]
	v_add_f64 v[6:7], v[6:7], v[8:9]
	v_mul_f64 v[8:9], v[164:165], v[182:183]
	v_add_f64 v[190:191], v[190:191], v[192:193]
	v_mul_f64 v[192:193], v[162:163], v[182:183]
	v_fma_f64 v[8:9], v[162:163], v[184:185], -v[8:9]
	v_fmac_f64_e32 v[192:193], v[164:165], v[184:185]
	v_add_f64 v[6:7], v[6:7], v[8:9]
	v_add_f64 v[190:191], v[190:191], v[192:193]
	v_add_f64 v[4:5], v[4:5], -v[6:7]
	v_add_f64 v[2:3], v[2:3], -v[190:191]
	buffer_store_dword v5, off, s[0:3], 0 offset:372
	buffer_store_dword v4, off, s[0:3], 0 offset:368
	;; [unrolled: 1-line block ×4, first 2 shown]
	s_and_saveexec_b64 s[4:5], vcc
	s_cbranch_execz .LBB109_247
; %bb.246:
	v_accvgpr_read_b32 v0, a116
	buffer_load_dword v2, v0, s[0:3], 0 offen
	buffer_load_dword v3, v0, s[0:3], 0 offen offset:4
	buffer_load_dword v4, v0, s[0:3], 0 offen offset:8
	;; [unrolled: 1-line block ×3, first 2 shown]
	v_accvgpr_read_b32 v0, a138
	buffer_store_dword v1, off, s[0:3], 0 offset:352
	buffer_store_dword v1, off, s[0:3], 0 offset:356
	;; [unrolled: 1-line block ×4, first 2 shown]
	s_waitcnt vmcnt(4)
	ds_write_b128 v0, v[2:5]
.LBB109_247:
	s_or_b64 exec, exec, s[4:5]
	s_waitcnt lgkmcnt(0)
	; wave barrier
	s_waitcnt lgkmcnt(0)
	buffer_load_dword v22, off, s[0:3], 0 offset:368
	buffer_load_dword v23, off, s[0:3], 0 offset:372
	;; [unrolled: 1-line block ×16, first 2 shown]
	ds_read_b128 v[2:5], v1 offset:1088
	ds_read_b128 v[6:9], v1 offset:1104
	;; [unrolled: 1-line block ×4, first 2 shown]
	buffer_load_dword v35, off, s[0:3], 0 offset:444
	buffer_load_dword v34, off, s[0:3], 0 offset:440
	;; [unrolled: 1-line block ×48, first 2 shown]
	v_cmp_lt_u32_e32 vcc, 20, v254
	s_waitcnt vmcnt(42) lgkmcnt(0)
	v_mul_f64 v[104:105], v[14:15], v[38:39]
	s_waitcnt vmcnt(40)
	v_fmac_f64_e32 v[104:105], v[16:17], v[40:41]
	v_mul_f64 v[82:83], v[2:3], v[24:25]
	v_fmac_f64_e32 v[82:83], v[4:5], v[22:23]
	v_add_f64 v[82:83], v[82:83], 0
	v_mul_f64 v[4:5], v[4:5], v[24:25]
	v_mul_f64 v[84:85], v[6:7], v[32:33]
	v_fma_f64 v[2:3], v[2:3], v[22:23], -v[4:5]
	v_mul_f64 v[98:99], v[10:11], v[26:27]
	v_fmac_f64_e32 v[98:99], v[12:13], v[30:31]
	v_fmac_f64_e32 v[84:85], v[8:9], v[28:29]
	v_add_f64 v[100:101], v[82:83], v[84:85]
	buffer_load_dword v83, off, s[0:3], 0 offset:636
	buffer_load_dword v82, off, s[0:3], 0 offset:632
	;; [unrolled: 1-line block ×32, first 2 shown]
	v_add_f64 v[102:103], v[100:101], v[98:99]
	ds_read_b128 v[98:101], v1 offset:1152
	buffer_load_dword v195, off, s[0:3], 0 offset:748
	buffer_load_dword v194, off, s[0:3], 0 offset:744
	buffer_load_dword v197, off, s[0:3], 0 offset:740
	buffer_load_dword v196, off, s[0:3], 0 offset:736
	v_add_f64 v[106:107], v[102:103], v[104:105]
	ds_read_b128 v[102:105], v1 offset:1168
	v_mul_f64 v[4:5], v[8:9], v[32:33]
	s_waitcnt lgkmcnt(1)
	v_mul_f64 v[108:109], v[98:99], v[34:35]
	v_fmac_f64_e32 v[108:109], v[100:101], v[36:37]
	v_add_f64 v[110:111], v[106:107], v[108:109]
	ds_read_b128 v[106:109], v1 offset:1184
	s_waitcnt vmcnt(62) lgkmcnt(1)
	v_mul_f64 v[112:113], v[102:103], v[46:47]
	v_fmac_f64_e32 v[112:113], v[104:105], v[48:49]
	v_add_f64 v[114:115], v[110:111], v[112:113]
	ds_read_b128 v[110:113], v1 offset:1200
	s_waitcnt lgkmcnt(1)
	v_mul_f64 v[116:117], v[106:107], v[42:43]
	v_fmac_f64_e32 v[116:117], v[108:109], v[44:45]
	v_add_f64 v[118:119], v[114:115], v[116:117]
	ds_read_b128 v[114:117], v1 offset:1216
	s_waitcnt lgkmcnt(1)
	v_mul_f64 v[120:121], v[110:111], v[54:55]
	s_waitcnt vmcnt(60)
	v_fmac_f64_e32 v[120:121], v[112:113], v[56:57]
	v_add_f64 v[122:123], v[118:119], v[120:121]
	ds_read_b128 v[118:121], v1 offset:1232
	s_waitcnt lgkmcnt(1)
	v_mul_f64 v[124:125], v[114:115], v[50:51]
	v_fmac_f64_e32 v[124:125], v[116:117], v[52:53]
	v_add_f64 v[126:127], v[122:123], v[124:125]
	ds_read_b128 v[122:125], v1 offset:1248
	s_waitcnt vmcnt(54) lgkmcnt(1)
	v_mul_f64 v[128:129], v[118:119], v[62:63]
	s_waitcnt vmcnt(52)
	v_fmac_f64_e32 v[128:129], v[120:121], v[64:65]
	v_add_f64 v[130:131], v[126:127], v[128:129]
	ds_read_b128 v[126:129], v1 offset:1264
	s_waitcnt lgkmcnt(1)
	v_mul_f64 v[132:133], v[122:123], v[58:59]
	v_fmac_f64_e32 v[132:133], v[124:125], v[60:61]
	v_add_f64 v[2:3], v[2:3], 0
	v_fma_f64 v[4:5], v[6:7], v[28:29], -v[4:5]
	v_add_f64 v[134:135], v[130:131], v[132:133]
	ds_read_b128 v[130:133], v1 offset:1280
	v_add_f64 v[2:3], v[2:3], v[4:5]
	v_mul_f64 v[4:5], v[12:13], v[26:27]
	v_fma_f64 v[4:5], v[10:11], v[30:31], -v[4:5]
	v_add_f64 v[2:3], v[2:3], v[4:5]
	v_mul_f64 v[4:5], v[16:17], v[38:39]
	s_waitcnt vmcnt(46) lgkmcnt(1)
	v_mul_f64 v[136:137], v[126:127], v[70:71]
	v_fma_f64 v[4:5], v[14:15], v[40:41], -v[4:5]
	s_waitcnt vmcnt(44)
	v_fmac_f64_e32 v[136:137], v[128:129], v[72:73]
	v_add_f64 v[2:3], v[2:3], v[4:5]
	v_mul_f64 v[4:5], v[100:101], v[34:35]
	v_add_f64 v[138:139], v[134:135], v[136:137]
	ds_read_b128 v[134:137], v1 offset:1296
	s_waitcnt lgkmcnt(1)
	v_mul_f64 v[140:141], v[130:131], v[66:67]
	v_fma_f64 v[4:5], v[98:99], v[36:37], -v[4:5]
	v_fmac_f64_e32 v[140:141], v[132:133], v[68:69]
	v_add_f64 v[2:3], v[2:3], v[4:5]
	v_mul_f64 v[4:5], v[104:105], v[46:47]
	v_add_f64 v[142:143], v[138:139], v[140:141]
	ds_read_b128 v[138:141], v1 offset:1312
	v_fma_f64 v[4:5], v[102:103], v[48:49], -v[4:5]
	v_add_f64 v[2:3], v[2:3], v[4:5]
	v_mul_f64 v[4:5], v[108:109], v[42:43]
	v_fma_f64 v[4:5], v[106:107], v[44:45], -v[4:5]
	s_waitcnt vmcnt(38) lgkmcnt(1)
	v_mul_f64 v[144:145], v[134:135], v[78:79]
	v_add_f64 v[2:3], v[2:3], v[4:5]
	v_mul_f64 v[4:5], v[112:113], v[54:55]
	s_waitcnt vmcnt(36)
	v_fmac_f64_e32 v[144:145], v[136:137], v[80:81]
	v_fma_f64 v[4:5], v[110:111], v[56:57], -v[4:5]
	v_add_f64 v[146:147], v[142:143], v[144:145]
	ds_read_b128 v[142:145], v1 offset:1328
	s_waitcnt lgkmcnt(1)
	v_mul_f64 v[148:149], v[138:139], v[74:75]
	v_add_f64 v[2:3], v[2:3], v[4:5]
	v_mul_f64 v[4:5], v[116:117], v[50:51]
	v_fmac_f64_e32 v[148:149], v[140:141], v[76:77]
	v_fma_f64 v[4:5], v[114:115], v[52:53], -v[4:5]
	v_add_f64 v[150:151], v[146:147], v[148:149]
	ds_read_b128 v[146:149], v1 offset:1344
	v_add_f64 v[2:3], v[2:3], v[4:5]
	v_mul_f64 v[4:5], v[120:121], v[62:63]
	v_fma_f64 v[4:5], v[118:119], v[64:65], -v[4:5]
	v_add_f64 v[2:3], v[2:3], v[4:5]
	v_mul_f64 v[4:5], v[124:125], v[58:59]
	s_waitcnt vmcnt(30) lgkmcnt(1)
	v_mul_f64 v[152:153], v[142:143], v[86:87]
	v_fma_f64 v[4:5], v[122:123], v[60:61], -v[4:5]
	s_waitcnt vmcnt(28)
	v_fmac_f64_e32 v[152:153], v[144:145], v[88:89]
	v_add_f64 v[2:3], v[2:3], v[4:5]
	v_mul_f64 v[4:5], v[128:129], v[70:71]
	v_add_f64 v[154:155], v[150:151], v[152:153]
	ds_read_b128 v[150:153], v1 offset:1360
	s_waitcnt lgkmcnt(1)
	v_mul_f64 v[156:157], v[146:147], v[82:83]
	v_fma_f64 v[4:5], v[126:127], v[72:73], -v[4:5]
	v_fmac_f64_e32 v[156:157], v[148:149], v[84:85]
	v_add_f64 v[2:3], v[2:3], v[4:5]
	v_mul_f64 v[4:5], v[132:133], v[66:67]
	v_add_f64 v[158:159], v[154:155], v[156:157]
	ds_read_b128 v[154:157], v1 offset:1376
	v_fma_f64 v[4:5], v[130:131], v[68:69], -v[4:5]
	v_add_f64 v[2:3], v[2:3], v[4:5]
	v_mul_f64 v[4:5], v[136:137], v[78:79]
	v_fma_f64 v[4:5], v[134:135], v[80:81], -v[4:5]
	s_waitcnt vmcnt(22) lgkmcnt(1)
	v_mul_f64 v[160:161], v[150:151], v[94:95]
	v_add_f64 v[2:3], v[2:3], v[4:5]
	v_mul_f64 v[4:5], v[140:141], v[74:75]
	s_waitcnt vmcnt(20)
	v_fmac_f64_e32 v[160:161], v[152:153], v[96:97]
	v_fma_f64 v[4:5], v[138:139], v[76:77], -v[4:5]
	v_add_f64 v[162:163], v[158:159], v[160:161]
	ds_read_b128 v[158:161], v1 offset:1392
	s_waitcnt lgkmcnt(1)
	v_mul_f64 v[164:165], v[154:155], v[90:91]
	v_add_f64 v[2:3], v[2:3], v[4:5]
	v_mul_f64 v[4:5], v[144:145], v[86:87]
	v_fmac_f64_e32 v[164:165], v[156:157], v[92:93]
	v_fma_f64 v[4:5], v[142:143], v[88:89], -v[4:5]
	v_add_f64 v[166:167], v[162:163], v[164:165]
	ds_read_b128 v[162:165], v1 offset:1408
	v_add_f64 v[2:3], v[2:3], v[4:5]
	v_mul_f64 v[4:5], v[148:149], v[82:83]
	v_fma_f64 v[4:5], v[146:147], v[84:85], -v[4:5]
	v_add_f64 v[2:3], v[2:3], v[4:5]
	v_mul_f64 v[4:5], v[152:153], v[94:95]
	s_waitcnt vmcnt(14) lgkmcnt(1)
	v_mul_f64 v[168:169], v[158:159], v[182:183]
	v_fma_f64 v[4:5], v[150:151], v[96:97], -v[4:5]
	s_waitcnt vmcnt(12)
	v_fmac_f64_e32 v[168:169], v[160:161], v[184:185]
	v_add_f64 v[2:3], v[2:3], v[4:5]
	v_mul_f64 v[4:5], v[156:157], v[90:91]
	v_add_f64 v[170:171], v[166:167], v[168:169]
	ds_read_b128 v[166:169], v1 offset:1424
	s_waitcnt lgkmcnt(1)
	v_mul_f64 v[172:173], v[162:163], v[178:179]
	v_fma_f64 v[4:5], v[154:155], v[92:93], -v[4:5]
	v_fmac_f64_e32 v[172:173], v[164:165], v[180:181]
	v_add_f64 v[2:3], v[2:3], v[4:5]
	v_mul_f64 v[4:5], v[160:161], v[182:183]
	v_add_f64 v[198:199], v[170:171], v[172:173]
	ds_read_b128 v[170:173], v1 offset:1440
	v_fma_f64 v[4:5], v[158:159], v[184:185], -v[4:5]
	v_add_f64 v[2:3], v[2:3], v[4:5]
	v_mul_f64 v[4:5], v[164:165], v[178:179]
	ds_read_b128 v[174:177], v1 offset:1456
	v_fma_f64 v[4:5], v[162:163], v[180:181], -v[4:5]
	v_add_f64 v[2:3], v[2:3], v[4:5]
	s_waitcnt vmcnt(6) lgkmcnt(2)
	v_mul_f64 v[4:5], v[168:169], v[190:191]
	v_mul_f64 v[200:201], v[166:167], v[190:191]
	s_waitcnt vmcnt(4)
	v_fma_f64 v[4:5], v[166:167], v[192:193], -v[4:5]
	v_fmac_f64_e32 v[200:201], v[168:169], v[192:193]
	v_add_f64 v[2:3], v[2:3], v[4:5]
	s_waitcnt lgkmcnt(1)
	v_mul_f64 v[4:5], v[172:173], v[186:187]
	v_add_f64 v[198:199], v[198:199], v[200:201]
	v_mul_f64 v[200:201], v[170:171], v[186:187]
	v_fma_f64 v[4:5], v[170:171], v[188:189], -v[4:5]
	v_fmac_f64_e32 v[200:201], v[172:173], v[188:189]
	v_add_f64 v[2:3], v[2:3], v[4:5]
	s_waitcnt vmcnt(2) lgkmcnt(0)
	v_mul_f64 v[4:5], v[176:177], v[194:195]
	v_add_f64 v[198:199], v[198:199], v[200:201]
	v_mul_f64 v[200:201], v[174:175], v[194:195]
	s_waitcnt vmcnt(0)
	v_fma_f64 v[4:5], v[174:175], v[196:197], -v[4:5]
	v_fmac_f64_e32 v[200:201], v[176:177], v[196:197]
	v_add_f64 v[2:3], v[2:3], v[4:5]
	v_add_f64 v[198:199], v[198:199], v[200:201]
	v_add_f64 v[2:3], v[20:21], -v[2:3]
	v_add_f64 v[4:5], v[18:19], -v[198:199]
	buffer_store_dword v3, off, s[0:3], 0 offset:356
	buffer_store_dword v2, off, s[0:3], 0 offset:352
	;; [unrolled: 1-line block ×4, first 2 shown]
	s_and_saveexec_b64 s[4:5], vcc
	s_cbranch_execz .LBB109_249
; %bb.248:
	v_accvgpr_read_b32 v0, a117
	buffer_load_dword v2, v0, s[0:3], 0 offen
	buffer_load_dword v3, v0, s[0:3], 0 offen offset:4
	buffer_load_dword v4, v0, s[0:3], 0 offen offset:8
	;; [unrolled: 1-line block ×3, first 2 shown]
	v_mov_b32_e32 v0, 0
	v_accvgpr_read_b32 v1, a138
	buffer_store_dword v0, off, s[0:3], 0 offset:336
	buffer_store_dword v0, off, s[0:3], 0 offset:340
	;; [unrolled: 1-line block ×4, first 2 shown]
	s_waitcnt vmcnt(4)
	ds_write_b128 v1, v[2:5]
.LBB109_249:
	s_or_b64 exec, exec, s[4:5]
	s_waitcnt lgkmcnt(0)
	; wave barrier
	s_waitcnt lgkmcnt(0)
	buffer_load_dword v22, off, s[0:3], 0 offset:352
	buffer_load_dword v23, off, s[0:3], 0 offset:356
	;; [unrolled: 1-line block ×64, first 2 shown]
	v_mov_b32_e32 v1, 0
	ds_read_b128 v[18:21], v1 offset:1072
	ds_read_b128 v[14:17], v1 offset:1088
	;; [unrolled: 1-line block ×5, first 2 shown]
	v_cmp_lt_u32_e32 vcc, 19, v254
	s_waitcnt vmcnt(60) lgkmcnt(4)
	v_mul_f64 v[86:87], v[18:19], v[26:27]
	v_fmac_f64_e32 v[86:87], v[20:21], v[22:23]
	v_add_f64 v[86:87], v[86:87], 0
	v_mul_f64 v[20:21], v[20:21], v[26:27]
	s_waitcnt vmcnt(56) lgkmcnt(3)
	v_mul_f64 v[88:89], v[14:15], v[28:29]
	v_fmac_f64_e32 v[88:89], v[16:17], v[24:25]
	s_waitcnt vmcnt(54) lgkmcnt(2)
	v_mul_f64 v[90:91], v[10:11], v[30:31]
	v_add_f64 v[86:87], v[86:87], v[88:89]
	v_fma_f64 v[18:19], v[18:19], v[22:23], -v[20:21]
	v_mul_f64 v[16:17], v[16:17], v[28:29]
	s_waitcnt vmcnt(50) lgkmcnt(1)
	v_mul_f64 v[102:103], v[6:7], v[40:41]
	v_add_f64 v[18:19], v[18:19], 0
	s_waitcnt vmcnt(48)
	v_fmac_f64_e32 v[90:91], v[12:13], v[44:45]
	v_add_f64 v[104:105], v[86:87], v[90:91]
	buffer_load_dword v87, off, s[0:3], 0 offset:620
	buffer_load_dword v86, off, s[0:3], 0 offset:616
	;; [unrolled: 1-line block ×40, first 2 shown]
	s_waitcnt vmcnt(62)
	v_fmac_f64_e32 v[102:103], v[8:9], v[42:43]
	v_add_f64 v[106:107], v[104:105], v[102:103]
	ds_read_b128 v[102:105], v1 offset:1152
	s_waitcnt lgkmcnt(1)
	v_mul_f64 v[108:109], v[2:3], v[36:37]
	v_fmac_f64_e32 v[108:109], v[4:5], v[38:39]
	v_add_f64 v[110:111], v[106:107], v[108:109]
	ds_read_b128 v[106:109], v1 offset:1168
	s_waitcnt lgkmcnt(1)
	v_mul_f64 v[112:113], v[102:103], v[50:51]
	;; [unrolled: 5-line block ×5, first 2 shown]
	v_fmac_f64_e32 v[124:125], v[116:117], v[56:57]
	v_add_f64 v[126:127], v[122:123], v[124:125]
	ds_read_b128 v[122:125], v1 offset:1232
	s_waitcnt vmcnt(58) lgkmcnt(1)
	v_mul_f64 v[128:129], v[118:119], v[66:67]
	s_waitcnt vmcnt(56)
	v_fmac_f64_e32 v[128:129], v[120:121], v[68:69]
	v_add_f64 v[130:131], v[126:127], v[128:129]
	ds_read_b128 v[126:129], v1 offset:1248
	s_waitcnt lgkmcnt(1)
	v_mul_f64 v[132:133], v[122:123], v[62:63]
	v_fmac_f64_e32 v[132:133], v[124:125], v[64:65]
	v_add_f64 v[134:135], v[130:131], v[132:133]
	ds_read_b128 v[130:133], v1 offset:1264
	s_waitcnt vmcnt(50) lgkmcnt(1)
	v_mul_f64 v[136:137], v[126:127], v[74:75]
	s_waitcnt vmcnt(48)
	v_fmac_f64_e32 v[136:137], v[128:129], v[76:77]
	v_add_f64 v[138:139], v[134:135], v[136:137]
	ds_read_b128 v[134:137], v1 offset:1280
	v_fma_f64 v[14:15], v[14:15], v[24:25], -v[16:17]
	v_mul_f64 v[12:13], v[12:13], v[30:31]
	v_add_f64 v[14:15], v[18:19], v[14:15]
	v_fma_f64 v[10:11], v[10:11], v[44:45], -v[12:13]
	v_mul_f64 v[8:9], v[8:9], v[40:41]
	s_waitcnt lgkmcnt(1)
	v_mul_f64 v[140:141], v[130:131], v[70:71]
	v_add_f64 v[10:11], v[14:15], v[10:11]
	v_fma_f64 v[6:7], v[6:7], v[42:43], -v[8:9]
	v_mul_f64 v[4:5], v[4:5], v[36:37]
	v_fmac_f64_e32 v[140:141], v[132:133], v[72:73]
	v_add_f64 v[6:7], v[10:11], v[6:7]
	v_fma_f64 v[2:3], v[2:3], v[38:39], -v[4:5]
	v_mul_f64 v[4:5], v[104:105], v[50:51]
	v_add_f64 v[142:143], v[138:139], v[140:141]
	ds_read_b128 v[138:141], v1 offset:1296
	s_waitcnt vmcnt(42) lgkmcnt(1)
	v_mul_f64 v[144:145], v[134:135], v[82:83]
	v_add_f64 v[2:3], v[6:7], v[2:3]
	v_fma_f64 v[4:5], v[102:103], v[52:53], -v[4:5]
	s_waitcnt vmcnt(40)
	v_fmac_f64_e32 v[144:145], v[136:137], v[84:85]
	v_add_f64 v[2:3], v[2:3], v[4:5]
	v_mul_f64 v[4:5], v[108:109], v[46:47]
	v_add_f64 v[146:147], v[142:143], v[144:145]
	ds_read_b128 v[142:145], v1 offset:1312
	v_fma_f64 v[4:5], v[106:107], v[48:49], -v[4:5]
	v_add_f64 v[2:3], v[2:3], v[4:5]
	v_mul_f64 v[4:5], v[112:113], v[58:59]
	v_fma_f64 v[4:5], v[110:111], v[60:61], -v[4:5]
	s_waitcnt lgkmcnt(1)
	v_mul_f64 v[148:149], v[138:139], v[78:79]
	v_add_f64 v[2:3], v[2:3], v[4:5]
	v_mul_f64 v[4:5], v[116:117], v[54:55]
	v_fmac_f64_e32 v[148:149], v[140:141], v[80:81]
	v_fma_f64 v[4:5], v[114:115], v[56:57], -v[4:5]
	v_add_f64 v[150:151], v[146:147], v[148:149]
	ds_read_b128 v[146:149], v1 offset:1328
	s_waitcnt vmcnt(34) lgkmcnt(1)
	v_mul_f64 v[152:153], v[142:143], v[90:91]
	v_add_f64 v[2:3], v[2:3], v[4:5]
	v_mul_f64 v[4:5], v[120:121], v[66:67]
	s_waitcnt vmcnt(32)
	v_fmac_f64_e32 v[152:153], v[144:145], v[92:93]
	v_fma_f64 v[4:5], v[118:119], v[68:69], -v[4:5]
	v_add_f64 v[154:155], v[150:151], v[152:153]
	ds_read_b128 v[150:153], v1 offset:1344
	v_add_f64 v[2:3], v[2:3], v[4:5]
	v_mul_f64 v[4:5], v[124:125], v[62:63]
	v_fma_f64 v[4:5], v[122:123], v[64:65], -v[4:5]
	v_add_f64 v[2:3], v[2:3], v[4:5]
	v_mul_f64 v[4:5], v[128:129], v[74:75]
	s_waitcnt lgkmcnt(1)
	v_mul_f64 v[156:157], v[146:147], v[86:87]
	v_fma_f64 v[4:5], v[126:127], v[76:77], -v[4:5]
	v_fmac_f64_e32 v[156:157], v[148:149], v[88:89]
	v_add_f64 v[2:3], v[2:3], v[4:5]
	v_mul_f64 v[4:5], v[132:133], v[70:71]
	v_add_f64 v[158:159], v[154:155], v[156:157]
	ds_read_b128 v[154:157], v1 offset:1360
	s_waitcnt vmcnt(26) lgkmcnt(1)
	v_mul_f64 v[160:161], v[150:151], v[98:99]
	v_fma_f64 v[4:5], v[130:131], v[72:73], -v[4:5]
	s_waitcnt vmcnt(24)
	v_fmac_f64_e32 v[160:161], v[152:153], v[100:101]
	v_add_f64 v[2:3], v[2:3], v[4:5]
	v_mul_f64 v[4:5], v[136:137], v[82:83]
	v_add_f64 v[162:163], v[158:159], v[160:161]
	ds_read_b128 v[158:161], v1 offset:1376
	v_fma_f64 v[4:5], v[134:135], v[84:85], -v[4:5]
	v_add_f64 v[2:3], v[2:3], v[4:5]
	v_mul_f64 v[4:5], v[140:141], v[78:79]
	v_fma_f64 v[4:5], v[138:139], v[80:81], -v[4:5]
	s_waitcnt lgkmcnt(1)
	v_mul_f64 v[164:165], v[154:155], v[94:95]
	v_add_f64 v[2:3], v[2:3], v[4:5]
	v_mul_f64 v[4:5], v[144:145], v[90:91]
	v_fmac_f64_e32 v[164:165], v[156:157], v[96:97]
	v_fma_f64 v[4:5], v[142:143], v[92:93], -v[4:5]
	v_add_f64 v[166:167], v[162:163], v[164:165]
	ds_read_b128 v[162:165], v1 offset:1392
	s_waitcnt vmcnt(18) lgkmcnt(1)
	v_mul_f64 v[168:169], v[158:159], v[186:187]
	v_add_f64 v[2:3], v[2:3], v[4:5]
	v_mul_f64 v[4:5], v[148:149], v[86:87]
	s_waitcnt vmcnt(16)
	v_fmac_f64_e32 v[168:169], v[160:161], v[188:189]
	v_fma_f64 v[4:5], v[146:147], v[88:89], -v[4:5]
	v_add_f64 v[170:171], v[166:167], v[168:169]
	ds_read_b128 v[166:169], v1 offset:1408
	v_add_f64 v[2:3], v[2:3], v[4:5]
	v_mul_f64 v[4:5], v[152:153], v[98:99]
	v_fma_f64 v[4:5], v[150:151], v[100:101], -v[4:5]
	v_add_f64 v[2:3], v[2:3], v[4:5]
	v_mul_f64 v[4:5], v[156:157], v[94:95]
	s_waitcnt lgkmcnt(1)
	v_mul_f64 v[172:173], v[162:163], v[182:183]
	v_fma_f64 v[4:5], v[154:155], v[96:97], -v[4:5]
	v_fmac_f64_e32 v[172:173], v[164:165], v[184:185]
	v_add_f64 v[2:3], v[2:3], v[4:5]
	v_mul_f64 v[4:5], v[160:161], v[186:187]
	v_add_f64 v[174:175], v[170:171], v[172:173]
	ds_read_b128 v[170:173], v1 offset:1424
	s_waitcnt vmcnt(10) lgkmcnt(1)
	v_mul_f64 v[176:177], v[166:167], v[194:195]
	v_fma_f64 v[4:5], v[158:159], v[188:189], -v[4:5]
	s_waitcnt vmcnt(8)
	v_fmac_f64_e32 v[176:177], v[168:169], v[196:197]
	v_add_f64 v[2:3], v[2:3], v[4:5]
	v_mul_f64 v[4:5], v[164:165], v[182:183]
	v_add_f64 v[206:207], v[174:175], v[176:177]
	ds_read_b128 v[174:177], v1 offset:1440
	ds_read_b128 v[178:181], v1 offset:1456
	v_fma_f64 v[4:5], v[162:163], v[184:185], -v[4:5]
	v_add_f64 v[2:3], v[2:3], v[4:5]
	v_mul_f64 v[4:5], v[168:169], v[194:195]
	v_fma_f64 v[4:5], v[166:167], v[196:197], -v[4:5]
	v_add_f64 v[2:3], v[2:3], v[4:5]
	s_waitcnt lgkmcnt(2)
	v_mul_f64 v[4:5], v[172:173], v[190:191]
	v_mul_f64 v[208:209], v[170:171], v[190:191]
	v_fma_f64 v[4:5], v[170:171], v[192:193], -v[4:5]
	v_fmac_f64_e32 v[208:209], v[172:173], v[192:193]
	v_add_f64 v[2:3], v[2:3], v[4:5]
	s_waitcnt vmcnt(2) lgkmcnt(1)
	v_mul_f64 v[4:5], v[176:177], v[202:203]
	v_add_f64 v[206:207], v[206:207], v[208:209]
	v_mul_f64 v[208:209], v[174:175], v[202:203]
	s_waitcnt vmcnt(0)
	v_fma_f64 v[4:5], v[174:175], v[204:205], -v[4:5]
	v_fmac_f64_e32 v[208:209], v[176:177], v[204:205]
	v_add_f64 v[2:3], v[2:3], v[4:5]
	s_waitcnt lgkmcnt(0)
	v_mul_f64 v[4:5], v[180:181], v[198:199]
	v_add_f64 v[206:207], v[206:207], v[208:209]
	v_mul_f64 v[208:209], v[178:179], v[198:199]
	v_fma_f64 v[4:5], v[178:179], v[200:201], -v[4:5]
	v_fmac_f64_e32 v[208:209], v[180:181], v[200:201]
	v_add_f64 v[2:3], v[2:3], v[4:5]
	v_add_f64 v[206:207], v[206:207], v[208:209]
	v_add_f64 v[2:3], v[34:35], -v[2:3]
	v_add_f64 v[4:5], v[32:33], -v[206:207]
	buffer_store_dword v3, off, s[0:3], 0 offset:340
	buffer_store_dword v2, off, s[0:3], 0 offset:336
	;; [unrolled: 1-line block ×4, first 2 shown]
	s_and_saveexec_b64 s[4:5], vcc
	s_cbranch_execz .LBB109_251
; %bb.250:
	v_accvgpr_read_b32 v0, a118
	buffer_load_dword v2, v0, s[0:3], 0 offen
	buffer_load_dword v3, v0, s[0:3], 0 offen offset:4
	buffer_load_dword v4, v0, s[0:3], 0 offen offset:8
	;; [unrolled: 1-line block ×3, first 2 shown]
	v_accvgpr_read_b32 v0, a138
	buffer_store_dword v1, off, s[0:3], 0 offset:320
	buffer_store_dword v1, off, s[0:3], 0 offset:324
	;; [unrolled: 1-line block ×4, first 2 shown]
	s_waitcnt vmcnt(4)
	ds_write_b128 v0, v[2:5]
.LBB109_251:
	s_or_b64 exec, exec, s[4:5]
	s_waitcnt lgkmcnt(0)
	; wave barrier
	s_waitcnt lgkmcnt(0)
	buffer_load_dword v26, off, s[0:3], 0 offset:336
	buffer_load_dword v27, off, s[0:3], 0 offset:340
	;; [unrolled: 1-line block ×24, first 2 shown]
	ds_read_b128 v[22:25], v1 offset:1056
	ds_read_b128 v[18:21], v1 offset:1072
	ds_read_b128 v[10:13], v1 offset:1088
	ds_read_b128 v[6:9], v1 offset:1104
	ds_read_b128 v[2:5], v1 offset:1120
	ds_read_b128 v[14:17], v1 offset:1136
	buffer_load_dword v51, off, s[0:3], 0 offset:444
	buffer_load_dword v50, off, s[0:3], 0 offset:440
	;; [unrolled: 1-line block ×40, first 2 shown]
	v_cmp_lt_u32_e32 vcc, 18, v254
	s_waitcnt vmcnt(34) lgkmcnt(0)
	v_mul_f64 v[120:121], v[14:15], v[54:55]
	s_waitcnt vmcnt(32)
	v_fmac_f64_e32 v[120:121], v[16:17], v[56:57]
	v_mul_f64 v[90:91], v[22:23], v[28:29]
	v_fmac_f64_e32 v[90:91], v[24:25], v[26:27]
	v_mul_f64 v[92:93], v[18:19], v[30:31]
	v_add_f64 v[90:91], v[90:91], 0
	v_mul_f64 v[94:95], v[10:11], v[32:33]
	v_mul_f64 v[24:25], v[24:25], v[28:29]
	;; [unrolled: 1-line block ×3, first 2 shown]
	v_fma_f64 v[22:23], v[22:23], v[26:27], -v[24:25]
	v_add_f64 v[22:23], v[22:23], 0
	v_mul_f64 v[96:97], v[6:7], v[42:43]
	v_fmac_f64_e32 v[92:93], v[20:21], v[48:49]
	v_add_f64 v[90:91], v[90:91], v[92:93]
	v_fmac_f64_e32 v[94:95], v[12:13], v[46:47]
	v_add_f64 v[90:91], v[90:91], v[94:95]
	;; [unrolled: 2-line block ×3, first 2 shown]
	buffer_load_dword v91, off, s[0:3], 0 offset:604
	buffer_load_dword v90, off, s[0:3], 0 offset:600
	;; [unrolled: 1-line block ×40, first 2 shown]
	v_fmac_f64_e32 v[114:115], v[4:5], v[40:41]
	v_add_f64 v[118:119], v[116:117], v[114:115]
	ds_read_b128 v[114:117], v1 offset:1152
	buffer_load_dword v211, off, s[0:3], 0 offset:748
	buffer_load_dword v210, off, s[0:3], 0 offset:744
	buffer_load_dword v213, off, s[0:3], 0 offset:740
	buffer_load_dword v212, off, s[0:3], 0 offset:736
	v_add_f64 v[122:123], v[118:119], v[120:121]
	ds_read_b128 v[118:121], v1 offset:1168
	v_mul_f64 v[20:21], v[20:21], v[30:31]
	s_waitcnt lgkmcnt(1)
	v_mul_f64 v[124:125], v[114:115], v[50:51]
	v_fmac_f64_e32 v[124:125], v[116:117], v[52:53]
	v_add_f64 v[126:127], v[122:123], v[124:125]
	ds_read_b128 v[122:125], v1 offset:1184
	s_waitcnt vmcnt(62) lgkmcnt(1)
	v_mul_f64 v[128:129], v[118:119], v[62:63]
	v_fmac_f64_e32 v[128:129], v[120:121], v[64:65]
	v_add_f64 v[130:131], v[126:127], v[128:129]
	ds_read_b128 v[126:129], v1 offset:1200
	s_waitcnt lgkmcnt(1)
	v_mul_f64 v[132:133], v[122:123], v[58:59]
	v_fmac_f64_e32 v[132:133], v[124:125], v[60:61]
	v_add_f64 v[134:135], v[130:131], v[132:133]
	ds_read_b128 v[130:133], v1 offset:1216
	s_waitcnt lgkmcnt(1)
	v_mul_f64 v[136:137], v[126:127], v[70:71]
	s_waitcnt vmcnt(60)
	v_fmac_f64_e32 v[136:137], v[128:129], v[72:73]
	v_add_f64 v[138:139], v[134:135], v[136:137]
	ds_read_b128 v[134:137], v1 offset:1232
	s_waitcnt lgkmcnt(1)
	v_mul_f64 v[140:141], v[130:131], v[66:67]
	v_fmac_f64_e32 v[140:141], v[132:133], v[68:69]
	v_add_f64 v[142:143], v[138:139], v[140:141]
	ds_read_b128 v[138:141], v1 offset:1248
	s_waitcnt vmcnt(54) lgkmcnt(1)
	v_mul_f64 v[144:145], v[134:135], v[78:79]
	s_waitcnt vmcnt(52)
	v_fmac_f64_e32 v[144:145], v[136:137], v[80:81]
	v_add_f64 v[146:147], v[142:143], v[144:145]
	ds_read_b128 v[142:145], v1 offset:1264
	s_waitcnt lgkmcnt(1)
	v_mul_f64 v[148:149], v[138:139], v[74:75]
	v_fmac_f64_e32 v[148:149], v[140:141], v[76:77]
	v_fma_f64 v[18:19], v[18:19], v[48:49], -v[20:21]
	v_mul_f64 v[12:13], v[12:13], v[32:33]
	v_add_f64 v[150:151], v[146:147], v[148:149]
	ds_read_b128 v[146:149], v1 offset:1280
	v_add_f64 v[18:19], v[22:23], v[18:19]
	v_fma_f64 v[10:11], v[10:11], v[46:47], -v[12:13]
	v_mul_f64 v[8:9], v[8:9], v[42:43]
	v_add_f64 v[10:11], v[18:19], v[10:11]
	v_fma_f64 v[6:7], v[6:7], v[44:45], -v[8:9]
	v_mul_f64 v[4:5], v[4:5], v[38:39]
	;; [unrolled: 3-line block ×3, first 2 shown]
	s_waitcnt vmcnt(46) lgkmcnt(1)
	v_mul_f64 v[152:153], v[142:143], v[86:87]
	v_add_f64 v[2:3], v[6:7], v[2:3]
	v_fma_f64 v[4:5], v[14:15], v[56:57], -v[4:5]
	s_waitcnt vmcnt(44)
	v_fmac_f64_e32 v[152:153], v[144:145], v[88:89]
	v_add_f64 v[2:3], v[2:3], v[4:5]
	v_mul_f64 v[4:5], v[116:117], v[50:51]
	v_add_f64 v[154:155], v[150:151], v[152:153]
	ds_read_b128 v[150:153], v1 offset:1296
	s_waitcnt lgkmcnt(1)
	v_mul_f64 v[156:157], v[146:147], v[82:83]
	v_fma_f64 v[4:5], v[114:115], v[52:53], -v[4:5]
	v_fmac_f64_e32 v[156:157], v[148:149], v[84:85]
	v_add_f64 v[2:3], v[2:3], v[4:5]
	v_mul_f64 v[4:5], v[120:121], v[62:63]
	v_add_f64 v[158:159], v[154:155], v[156:157]
	ds_read_b128 v[154:157], v1 offset:1312
	v_fma_f64 v[4:5], v[118:119], v[64:65], -v[4:5]
	v_add_f64 v[2:3], v[2:3], v[4:5]
	v_mul_f64 v[4:5], v[124:125], v[58:59]
	v_fma_f64 v[4:5], v[122:123], v[60:61], -v[4:5]
	s_waitcnt vmcnt(38) lgkmcnt(1)
	v_mul_f64 v[160:161], v[150:151], v[94:95]
	v_add_f64 v[2:3], v[2:3], v[4:5]
	v_mul_f64 v[4:5], v[128:129], v[70:71]
	s_waitcnt vmcnt(36)
	v_fmac_f64_e32 v[160:161], v[152:153], v[96:97]
	v_fma_f64 v[4:5], v[126:127], v[72:73], -v[4:5]
	v_add_f64 v[162:163], v[158:159], v[160:161]
	ds_read_b128 v[158:161], v1 offset:1328
	s_waitcnt lgkmcnt(1)
	v_mul_f64 v[164:165], v[154:155], v[90:91]
	v_add_f64 v[2:3], v[2:3], v[4:5]
	v_mul_f64 v[4:5], v[132:133], v[66:67]
	v_fmac_f64_e32 v[164:165], v[156:157], v[92:93]
	v_fma_f64 v[4:5], v[130:131], v[68:69], -v[4:5]
	v_add_f64 v[166:167], v[162:163], v[164:165]
	ds_read_b128 v[162:165], v1 offset:1344
	v_add_f64 v[2:3], v[2:3], v[4:5]
	v_mul_f64 v[4:5], v[136:137], v[78:79]
	v_fma_f64 v[4:5], v[134:135], v[80:81], -v[4:5]
	v_add_f64 v[2:3], v[2:3], v[4:5]
	v_mul_f64 v[4:5], v[140:141], v[74:75]
	s_waitcnt vmcnt(30) lgkmcnt(1)
	v_mul_f64 v[168:169], v[158:159], v[102:103]
	v_fma_f64 v[4:5], v[138:139], v[76:77], -v[4:5]
	s_waitcnt vmcnt(28)
	v_fmac_f64_e32 v[168:169], v[160:161], v[104:105]
	v_add_f64 v[2:3], v[2:3], v[4:5]
	v_mul_f64 v[4:5], v[144:145], v[86:87]
	v_add_f64 v[170:171], v[166:167], v[168:169]
	ds_read_b128 v[166:169], v1 offset:1360
	s_waitcnt lgkmcnt(1)
	v_mul_f64 v[172:173], v[162:163], v[98:99]
	v_fma_f64 v[4:5], v[142:143], v[88:89], -v[4:5]
	v_fmac_f64_e32 v[172:173], v[164:165], v[100:101]
	v_add_f64 v[2:3], v[2:3], v[4:5]
	v_mul_f64 v[4:5], v[148:149], v[82:83]
	v_add_f64 v[174:175], v[170:171], v[172:173]
	ds_read_b128 v[170:173], v1 offset:1376
	v_fma_f64 v[4:5], v[146:147], v[84:85], -v[4:5]
	v_add_f64 v[2:3], v[2:3], v[4:5]
	v_mul_f64 v[4:5], v[152:153], v[94:95]
	v_fma_f64 v[4:5], v[150:151], v[96:97], -v[4:5]
	s_waitcnt vmcnt(22) lgkmcnt(1)
	v_mul_f64 v[176:177], v[166:167], v[110:111]
	v_add_f64 v[2:3], v[2:3], v[4:5]
	v_mul_f64 v[4:5], v[156:157], v[90:91]
	s_waitcnt vmcnt(20)
	v_fmac_f64_e32 v[176:177], v[168:169], v[112:113]
	v_fma_f64 v[4:5], v[154:155], v[92:93], -v[4:5]
	v_add_f64 v[178:179], v[174:175], v[176:177]
	ds_read_b128 v[174:177], v1 offset:1392
	s_waitcnt lgkmcnt(1)
	v_mul_f64 v[180:181], v[170:171], v[106:107]
	v_add_f64 v[2:3], v[2:3], v[4:5]
	v_mul_f64 v[4:5], v[160:161], v[102:103]
	v_fmac_f64_e32 v[180:181], v[172:173], v[108:109]
	v_fma_f64 v[4:5], v[158:159], v[104:105], -v[4:5]
	v_add_f64 v[182:183], v[178:179], v[180:181]
	ds_read_b128 v[178:181], v1 offset:1408
	v_add_f64 v[2:3], v[2:3], v[4:5]
	v_mul_f64 v[4:5], v[164:165], v[98:99]
	v_fma_f64 v[4:5], v[162:163], v[100:101], -v[4:5]
	v_add_f64 v[2:3], v[2:3], v[4:5]
	v_mul_f64 v[4:5], v[168:169], v[110:111]
	s_waitcnt vmcnt(14) lgkmcnt(1)
	v_mul_f64 v[184:185], v[174:175], v[198:199]
	v_fma_f64 v[4:5], v[166:167], v[112:113], -v[4:5]
	s_waitcnt vmcnt(12)
	v_fmac_f64_e32 v[184:185], v[176:177], v[200:201]
	v_add_f64 v[2:3], v[2:3], v[4:5]
	v_mul_f64 v[4:5], v[172:173], v[106:107]
	v_add_f64 v[186:187], v[182:183], v[184:185]
	ds_read_b128 v[182:185], v1 offset:1424
	s_waitcnt lgkmcnt(1)
	v_mul_f64 v[188:189], v[178:179], v[190:191]
	v_fma_f64 v[4:5], v[170:171], v[108:109], -v[4:5]
	v_fmac_f64_e32 v[188:189], v[180:181], v[192:193]
	v_add_f64 v[2:3], v[2:3], v[4:5]
	v_mul_f64 v[4:5], v[176:177], v[198:199]
	v_add_f64 v[214:215], v[186:187], v[188:189]
	ds_read_b128 v[186:189], v1 offset:1440
	v_fma_f64 v[4:5], v[174:175], v[200:201], -v[4:5]
	v_add_f64 v[2:3], v[2:3], v[4:5]
	v_mul_f64 v[4:5], v[180:181], v[190:191]
	ds_read_b128 v[194:197], v1 offset:1456
	v_fma_f64 v[4:5], v[178:179], v[192:193], -v[4:5]
	v_add_f64 v[2:3], v[2:3], v[4:5]
	s_waitcnt vmcnt(6) lgkmcnt(2)
	v_mul_f64 v[4:5], v[184:185], v[206:207]
	v_mul_f64 v[216:217], v[182:183], v[206:207]
	s_waitcnt vmcnt(4)
	v_fma_f64 v[4:5], v[182:183], v[208:209], -v[4:5]
	v_fmac_f64_e32 v[216:217], v[184:185], v[208:209]
	v_add_f64 v[2:3], v[2:3], v[4:5]
	s_waitcnt lgkmcnt(1)
	v_mul_f64 v[4:5], v[188:189], v[202:203]
	v_add_f64 v[214:215], v[214:215], v[216:217]
	v_mul_f64 v[216:217], v[186:187], v[202:203]
	v_fma_f64 v[4:5], v[186:187], v[204:205], -v[4:5]
	v_fmac_f64_e32 v[216:217], v[188:189], v[204:205]
	v_add_f64 v[2:3], v[2:3], v[4:5]
	s_waitcnt vmcnt(2) lgkmcnt(0)
	v_mul_f64 v[4:5], v[196:197], v[210:211]
	v_add_f64 v[214:215], v[214:215], v[216:217]
	v_mul_f64 v[216:217], v[194:195], v[210:211]
	s_waitcnt vmcnt(0)
	v_fma_f64 v[4:5], v[194:195], v[212:213], -v[4:5]
	v_fmac_f64_e32 v[216:217], v[196:197], v[212:213]
	v_add_f64 v[2:3], v[2:3], v[4:5]
	v_add_f64 v[214:215], v[214:215], v[216:217]
	v_add_f64 v[2:3], v[36:37], -v[2:3]
	v_add_f64 v[4:5], v[34:35], -v[214:215]
	buffer_store_dword v3, off, s[0:3], 0 offset:324
	buffer_store_dword v2, off, s[0:3], 0 offset:320
	;; [unrolled: 1-line block ×4, first 2 shown]
	s_and_saveexec_b64 s[4:5], vcc
	s_cbranch_execz .LBB109_253
; %bb.252:
	v_accvgpr_read_b32 v0, a119
	buffer_load_dword v2, v0, s[0:3], 0 offen
	buffer_load_dword v3, v0, s[0:3], 0 offen offset:4
	buffer_load_dword v4, v0, s[0:3], 0 offen offset:8
	;; [unrolled: 1-line block ×3, first 2 shown]
	v_mov_b32_e32 v0, 0
	v_accvgpr_read_b32 v1, a138
	buffer_store_dword v0, off, s[0:3], 0 offset:304
	buffer_store_dword v0, off, s[0:3], 0 offset:308
	;; [unrolled: 1-line block ×4, first 2 shown]
	s_waitcnt vmcnt(4)
	ds_write_b128 v1, v[2:5]
.LBB109_253:
	s_or_b64 exec, exec, s[4:5]
	s_waitcnt lgkmcnt(0)
	; wave barrier
	s_waitcnt lgkmcnt(0)
	buffer_load_dword v30, off, s[0:3], 0 offset:320
	buffer_load_dword v31, off, s[0:3], 0 offset:324
	;; [unrolled: 1-line block ×56, first 2 shown]
	v_mov_b32_e32 v1, 0
	ds_read_b128 v[26:29], v1 offset:1040
	ds_read_b128 v[22:25], v1 offset:1056
	;; [unrolled: 1-line block ×7, first 2 shown]
	v_cmp_lt_u32_e32 vcc, 17, v254
	s_waitcnt vmcnt(52) lgkmcnt(6)
	v_mul_f64 v[86:87], v[26:27], v[34:35]
	v_fmac_f64_e32 v[86:87], v[28:29], v[30:31]
	v_add_f64 v[86:87], v[86:87], 0
	v_mul_f64 v[28:29], v[28:29], v[34:35]
	s_waitcnt vmcnt(48) lgkmcnt(5)
	v_mul_f64 v[88:89], v[22:23], v[36:37]
	v_fmac_f64_e32 v[88:89], v[24:25], v[32:33]
	s_waitcnt vmcnt(46) lgkmcnt(4)
	v_mul_f64 v[90:91], v[18:19], v[38:39]
	v_add_f64 v[86:87], v[86:87], v[88:89]
	s_waitcnt vmcnt(44) lgkmcnt(2)
	v_mul_f64 v[94:95], v[10:11], v[40:41]
	v_fma_f64 v[26:27], v[26:27], v[30:31], -v[28:29]
	s_waitcnt vmcnt(42)
	v_fmac_f64_e32 v[94:95], v[12:13], v[42:43]
	v_mul_f64 v[24:25], v[24:25], v[36:37]
	s_waitcnt vmcnt(40)
	v_mul_f64 v[92:93], v[14:15], v[48:49]
	v_add_f64 v[26:27], v[26:27], 0
	v_fma_f64 v[22:23], v[22:23], v[32:33], -v[24:25]
	v_add_f64 v[22:23], v[26:27], v[22:23]
	s_waitcnt vmcnt(36) lgkmcnt(1)
	v_mul_f64 v[110:111], v[6:7], v[54:55]
	v_mul_f64 v[12:13], v[12:13], v[40:41]
	s_waitcnt vmcnt(34)
	v_fmac_f64_e32 v[90:91], v[20:21], v[60:61]
	v_add_f64 v[86:87], v[86:87], v[90:91]
	s_waitcnt vmcnt(32)
	v_fmac_f64_e32 v[92:93], v[16:17], v[58:59]
	v_add_f64 v[86:87], v[86:87], v[92:93]
	v_add_f64 v[116:117], v[86:87], v[94:95]
	buffer_load_dword v87, off, s[0:3], 0 offset:556
	buffer_load_dword v86, off, s[0:3], 0 offset:552
	buffer_load_dword v89, off, s[0:3], 0 offset:548
	buffer_load_dword v88, off, s[0:3], 0 offset:544
	buffer_load_dword v91, off, s[0:3], 0 offset:540
	buffer_load_dword v90, off, s[0:3], 0 offset:536
	buffer_load_dword v93, off, s[0:3], 0 offset:532
	buffer_load_dword v92, off, s[0:3], 0 offset:528
	buffer_load_dword v95, off, s[0:3], 0 offset:588
	buffer_load_dword v94, off, s[0:3], 0 offset:584
	buffer_load_dword v97, off, s[0:3], 0 offset:580
	buffer_load_dword v96, off, s[0:3], 0 offset:576
	buffer_load_dword v99, off, s[0:3], 0 offset:572
	buffer_load_dword v98, off, s[0:3], 0 offset:568
	buffer_load_dword v101, off, s[0:3], 0 offset:564
	buffer_load_dword v100, off, s[0:3], 0 offset:560
	buffer_load_dword v103, off, s[0:3], 0 offset:620
	buffer_load_dword v102, off, s[0:3], 0 offset:616
	buffer_load_dword v105, off, s[0:3], 0 offset:612
	buffer_load_dword v104, off, s[0:3], 0 offset:608
	buffer_load_dword v107, off, s[0:3], 0 offset:604
	buffer_load_dword v106, off, s[0:3], 0 offset:600
	buffer_load_dword v109, off, s[0:3], 0 offset:596
	buffer_load_dword v108, off, s[0:3], 0 offset:592
	buffer_load_dword v113, off, s[0:3], 0 offset:652
	buffer_load_dword v112, off, s[0:3], 0 offset:648
	buffer_load_dword v115, off, s[0:3], 0 offset:644
	buffer_load_dword v114, off, s[0:3], 0 offset:640
	buffer_load_dword v119, off, s[0:3], 0 offset:636
	buffer_load_dword v118, off, s[0:3], 0 offset:632
	buffer_load_dword v121, off, s[0:3], 0 offset:628
	buffer_load_dword v120, off, s[0:3], 0 offset:624
	buffer_load_dword v123, off, s[0:3], 0 offset:684
	buffer_load_dword v122, off, s[0:3], 0 offset:680
	buffer_load_dword v193, off, s[0:3], 0 offset:676
	buffer_load_dword v192, off, s[0:3], 0 offset:672
	buffer_load_dword v203, off, s[0:3], 0 offset:668
	buffer_load_dword v202, off, s[0:3], 0 offset:664
	buffer_load_dword v205, off, s[0:3], 0 offset:660
	buffer_load_dword v204, off, s[0:3], 0 offset:656
	buffer_load_dword v207, off, s[0:3], 0 offset:716
	buffer_load_dword v206, off, s[0:3], 0 offset:712
	buffer_load_dword v209, off, s[0:3], 0 offset:708
	buffer_load_dword v208, off, s[0:3], 0 offset:704
	buffer_load_dword v215, off, s[0:3], 0 offset:700
	buffer_load_dword v214, off, s[0:3], 0 offset:696
	buffer_load_dword v217, off, s[0:3], 0 offset:692
	buffer_load_dword v216, off, s[0:3], 0 offset:688
	buffer_load_dword v219, off, s[0:3], 0 offset:748
	buffer_load_dword v218, off, s[0:3], 0 offset:744
	buffer_load_dword v221, off, s[0:3], 0 offset:740
	buffer_load_dword v220, off, s[0:3], 0 offset:736
	buffer_load_dword v223, off, s[0:3], 0 offset:732
	buffer_load_dword v222, off, s[0:3], 0 offset:728
	buffer_load_dword v225, off, s[0:3], 0 offset:724
	buffer_load_dword v224, off, s[0:3], 0 offset:720
	ds_read_b128 v[124:127], v1 offset:1152
	ds_read_b128 v[128:131], v1 offset:1168
	v_mul_f64 v[20:21], v[20:21], v[38:39]
	v_fma_f64 v[18:19], v[18:19], v[60:61], -v[20:21]
	v_mul_f64 v[16:17], v[16:17], v[48:49]
	s_waitcnt vmcnt(62)
	v_fmac_f64_e32 v[110:111], v[8:9], v[56:57]
	v_add_f64 v[18:19], v[22:23], v[18:19]
	v_fma_f64 v[14:15], v[14:15], v[58:59], -v[16:17]
	v_add_f64 v[110:111], v[116:117], v[110:111]
	s_waitcnt lgkmcnt(2)
	v_mul_f64 v[116:117], v[2:3], v[50:51]
	v_add_f64 v[14:15], v[18:19], v[14:15]
	v_fma_f64 v[10:11], v[10:11], v[42:43], -v[12:13]
	v_mul_f64 v[8:9], v[8:9], v[54:55]
	v_fmac_f64_e32 v[116:117], v[4:5], v[52:53]
	ds_read_b128 v[132:135], v1 offset:1184
	ds_read_b128 v[136:139], v1 offset:1200
	v_add_f64 v[10:11], v[14:15], v[10:11]
	v_fma_f64 v[6:7], v[6:7], v[56:57], -v[8:9]
	v_mul_f64 v[4:5], v[4:5], v[50:51]
	v_add_f64 v[6:7], v[10:11], v[6:7]
	v_fma_f64 v[2:3], v[2:3], v[52:53], -v[4:5]
	s_waitcnt lgkmcnt(3)
	v_mul_f64 v[4:5], v[126:127], v[66:67]
	v_add_f64 v[110:111], v[110:111], v[116:117]
	v_mul_f64 v[116:117], v[124:125], v[66:67]
	v_add_f64 v[2:3], v[6:7], v[2:3]
	v_fma_f64 v[4:5], v[124:125], v[68:69], -v[4:5]
	v_fmac_f64_e32 v[116:117], v[126:127], v[68:69]
	v_add_f64 v[2:3], v[2:3], v[4:5]
	s_waitcnt lgkmcnt(2)
	v_mul_f64 v[4:5], v[130:131], v[62:63]
	v_add_f64 v[110:111], v[110:111], v[116:117]
	v_mul_f64 v[116:117], v[128:129], v[62:63]
	ds_read_b128 v[140:143], v1 offset:1216
	ds_read_b128 v[144:147], v1 offset:1232
	v_fma_f64 v[4:5], v[128:129], v[64:65], -v[4:5]
	v_fmac_f64_e32 v[116:117], v[130:131], v[64:65]
	v_add_f64 v[2:3], v[2:3], v[4:5]
	s_waitcnt lgkmcnt(3)
	v_mul_f64 v[4:5], v[134:135], v[74:75]
	v_add_f64 v[110:111], v[110:111], v[116:117]
	v_mul_f64 v[116:117], v[132:133], v[74:75]
	v_fma_f64 v[4:5], v[132:133], v[76:77], -v[4:5]
	v_fmac_f64_e32 v[116:117], v[134:135], v[76:77]
	v_add_f64 v[2:3], v[2:3], v[4:5]
	s_waitcnt lgkmcnt(2)
	v_mul_f64 v[4:5], v[138:139], v[70:71]
	v_add_f64 v[110:111], v[110:111], v[116:117]
	v_mul_f64 v[116:117], v[136:137], v[70:71]
	ds_read_b128 v[148:151], v1 offset:1248
	ds_read_b128 v[152:155], v1 offset:1264
	v_fma_f64 v[4:5], v[136:137], v[72:73], -v[4:5]
	v_fmac_f64_e32 v[116:117], v[138:139], v[72:73]
	v_add_f64 v[2:3], v[2:3], v[4:5]
	s_waitcnt vmcnt(58) lgkmcnt(3)
	v_mul_f64 v[4:5], v[142:143], v[82:83]
	v_add_f64 v[110:111], v[110:111], v[116:117]
	v_mul_f64 v[116:117], v[140:141], v[82:83]
	s_waitcnt vmcnt(56)
	v_fma_f64 v[4:5], v[140:141], v[84:85], -v[4:5]
	v_fmac_f64_e32 v[116:117], v[142:143], v[84:85]
	v_add_f64 v[2:3], v[2:3], v[4:5]
	s_waitcnt lgkmcnt(2)
	v_mul_f64 v[4:5], v[146:147], v[78:79]
	v_add_f64 v[110:111], v[110:111], v[116:117]
	v_mul_f64 v[116:117], v[144:145], v[78:79]
	ds_read_b128 v[156:159], v1 offset:1280
	ds_read_b128 v[160:163], v1 offset:1296
	v_fma_f64 v[4:5], v[144:145], v[80:81], -v[4:5]
	v_fmac_f64_e32 v[116:117], v[146:147], v[80:81]
	v_add_f64 v[2:3], v[2:3], v[4:5]
	s_waitcnt vmcnt(50) lgkmcnt(3)
	v_mul_f64 v[4:5], v[150:151], v[90:91]
	v_add_f64 v[110:111], v[110:111], v[116:117]
	v_mul_f64 v[116:117], v[148:149], v[90:91]
	s_waitcnt vmcnt(48)
	;; [unrolled: 17-line block ×7, first 2 shown]
	v_fma_f64 v[4:5], v[188:189], v[216:217], -v[4:5]
	v_fmac_f64_e32 v[116:117], v[190:191], v[216:217]
	v_add_f64 v[2:3], v[2:3], v[4:5]
	s_waitcnt lgkmcnt(2)
	v_mul_f64 v[4:5], v[196:197], v[206:207]
	v_add_f64 v[110:111], v[110:111], v[116:117]
	v_mul_f64 v[116:117], v[194:195], v[206:207]
	v_fma_f64 v[4:5], v[194:195], v[208:209], -v[4:5]
	v_fmac_f64_e32 v[116:117], v[196:197], v[208:209]
	v_add_f64 v[2:3], v[2:3], v[4:5]
	s_waitcnt vmcnt(2) lgkmcnt(1)
	v_mul_f64 v[4:5], v[200:201], v[222:223]
	v_add_f64 v[110:111], v[110:111], v[116:117]
	v_mul_f64 v[116:117], v[198:199], v[222:223]
	s_waitcnt vmcnt(0)
	v_fma_f64 v[4:5], v[198:199], v[224:225], -v[4:5]
	v_fmac_f64_e32 v[116:117], v[200:201], v[224:225]
	v_add_f64 v[2:3], v[2:3], v[4:5]
	s_waitcnt lgkmcnt(0)
	v_mul_f64 v[4:5], v[212:213], v[218:219]
	v_add_f64 v[110:111], v[110:111], v[116:117]
	v_mul_f64 v[116:117], v[210:211], v[218:219]
	v_fma_f64 v[4:5], v[210:211], v[220:221], -v[4:5]
	v_fmac_f64_e32 v[116:117], v[212:213], v[220:221]
	v_add_f64 v[2:3], v[2:3], v[4:5]
	v_add_f64 v[110:111], v[110:111], v[116:117]
	v_add_f64 v[2:3], v[46:47], -v[2:3]
	v_add_f64 v[4:5], v[44:45], -v[110:111]
	buffer_store_dword v3, off, s[0:3], 0 offset:308
	buffer_store_dword v2, off, s[0:3], 0 offset:304
	;; [unrolled: 1-line block ×4, first 2 shown]
	s_and_saveexec_b64 s[4:5], vcc
	s_cbranch_execz .LBB109_255
; %bb.254:
	v_accvgpr_read_b32 v0, a120
	buffer_load_dword v2, v0, s[0:3], 0 offen
	buffer_load_dword v3, v0, s[0:3], 0 offen offset:4
	buffer_load_dword v4, v0, s[0:3], 0 offen offset:8
	;; [unrolled: 1-line block ×3, first 2 shown]
	v_accvgpr_read_b32 v0, a138
	buffer_store_dword v1, off, s[0:3], 0 offset:288
	buffer_store_dword v1, off, s[0:3], 0 offset:292
	;; [unrolled: 1-line block ×4, first 2 shown]
	s_waitcnt vmcnt(4)
	ds_write_b128 v0, v[2:5]
.LBB109_255:
	s_or_b64 exec, exec, s[4:5]
	s_waitcnt lgkmcnt(0)
	; wave barrier
	s_waitcnt lgkmcnt(0)
	buffer_load_dword v34, off, s[0:3], 0 offset:304
	buffer_load_dword v35, off, s[0:3], 0 offset:308
	;; [unrolled: 1-line block ×32, first 2 shown]
	ds_read_b128 v[30:33], v1 offset:1024
	ds_read_b128 v[26:29], v1 offset:1040
	;; [unrolled: 1-line block ×8, first 2 shown]
	buffer_load_dword v67, off, s[0:3], 0 offset:444
	buffer_load_dword v66, off, s[0:3], 0 offset:440
	buffer_load_dword v69, off, s[0:3], 0 offset:436
	buffer_load_dword v68, off, s[0:3], 0 offset:432
	buffer_load_dword v71, off, s[0:3], 0 offset:428
	buffer_load_dword v70, off, s[0:3], 0 offset:424
	buffer_load_dword v73, off, s[0:3], 0 offset:420
	buffer_load_dword v72, off, s[0:3], 0 offset:416
	buffer_load_dword v75, off, s[0:3], 0 offset:476
	buffer_load_dword v74, off, s[0:3], 0 offset:472
	buffer_load_dword v77, off, s[0:3], 0 offset:468
	buffer_load_dword v76, off, s[0:3], 0 offset:464
	buffer_load_dword v79, off, s[0:3], 0 offset:460
	buffer_load_dword v78, off, s[0:3], 0 offset:456
	buffer_load_dword v81, off, s[0:3], 0 offset:452
	buffer_load_dword v80, off, s[0:3], 0 offset:448
	buffer_load_dword v83, off, s[0:3], 0 offset:508
	buffer_load_dword v82, off, s[0:3], 0 offset:504
	buffer_load_dword v85, off, s[0:3], 0 offset:500
	buffer_load_dword v84, off, s[0:3], 0 offset:496
	buffer_load_dword v87, off, s[0:3], 0 offset:492
	buffer_load_dword v86, off, s[0:3], 0 offset:488
	buffer_load_dword v89, off, s[0:3], 0 offset:484
	buffer_load_dword v88, off, s[0:3], 0 offset:480
	v_cmp_lt_u32_e32 vcc, 16, v254
	s_waitcnt vmcnt(52) lgkmcnt(7)
	v_mul_f64 v[90:91], v[30:31], v[38:39]
	v_fmac_f64_e32 v[90:91], v[32:33], v[34:35]
	v_add_f64 v[90:91], v[90:91], 0
	v_mul_f64 v[32:33], v[32:33], v[38:39]
	s_waitcnt vmcnt(48) lgkmcnt(6)
	v_mul_f64 v[92:93], v[26:27], v[40:41]
	v_fmac_f64_e32 v[92:93], v[28:29], v[36:37]
	s_waitcnt vmcnt(46) lgkmcnt(5)
	v_mul_f64 v[94:95], v[22:23], v[42:43]
	v_add_f64 v[90:91], v[90:91], v[92:93]
	s_waitcnt vmcnt(44) lgkmcnt(4)
	v_mul_f64 v[96:97], v[18:19], v[48:49]
	v_fma_f64 v[30:31], v[30:31], v[34:35], -v[32:33]
	s_waitcnt vmcnt(42) lgkmcnt(1)
	v_mul_f64 v[122:123], v[2:3], v[50:51]
	v_mul_f64 v[28:29], v[28:29], v[40:41]
	s_waitcnt vmcnt(18) lgkmcnt(0)
	v_mul_f64 v[136:137], v[14:15], v[70:71]
	v_mul_f64 v[100:101], v[6:7], v[54:55]
	s_waitcnt vmcnt(16)
	v_fmac_f64_e32 v[136:137], v[16:17], v[72:73]
	v_mul_f64 v[98:99], v[10:11], v[56:57]
	v_add_f64 v[30:31], v[30:31], 0
	v_fmac_f64_e32 v[98:99], v[12:13], v[58:59]
	v_fma_f64 v[26:27], v[26:27], v[36:37], -v[28:29]
	v_fmac_f64_e32 v[94:95], v[24:25], v[64:65]
	v_add_f64 v[90:91], v[90:91], v[94:95]
	v_fmac_f64_e32 v[96:97], v[20:21], v[62:63]
	v_add_f64 v[90:91], v[90:91], v[96:97]
	;; [unrolled: 2-line block ×3, first 2 shown]
	v_add_f64 v[124:125], v[90:91], v[100:101]
	buffer_load_dword v91, off, s[0:3], 0 offset:540
	buffer_load_dword v90, off, s[0:3], 0 offset:536
	buffer_load_dword v93, off, s[0:3], 0 offset:532
	buffer_load_dword v92, off, s[0:3], 0 offset:528
	buffer_load_dword v95, off, s[0:3], 0 offset:524
	buffer_load_dword v94, off, s[0:3], 0 offset:520
	buffer_load_dword v97, off, s[0:3], 0 offset:516
	buffer_load_dword v96, off, s[0:3], 0 offset:512
	buffer_load_dword v99, off, s[0:3], 0 offset:572
	buffer_load_dword v98, off, s[0:3], 0 offset:568
	buffer_load_dword v101, off, s[0:3], 0 offset:564
	buffer_load_dword v100, off, s[0:3], 0 offset:560
	buffer_load_dword v103, off, s[0:3], 0 offset:556
	buffer_load_dword v102, off, s[0:3], 0 offset:552
	buffer_load_dword v105, off, s[0:3], 0 offset:548
	buffer_load_dword v104, off, s[0:3], 0 offset:544
	buffer_load_dword v107, off, s[0:3], 0 offset:604
	buffer_load_dword v106, off, s[0:3], 0 offset:600
	buffer_load_dword v109, off, s[0:3], 0 offset:596
	buffer_load_dword v108, off, s[0:3], 0 offset:592
	buffer_load_dword v111, off, s[0:3], 0 offset:588
	buffer_load_dword v110, off, s[0:3], 0 offset:584
	buffer_load_dword v113, off, s[0:3], 0 offset:580
	buffer_load_dword v112, off, s[0:3], 0 offset:576
	buffer_load_dword v115, off, s[0:3], 0 offset:636
	buffer_load_dword v114, off, s[0:3], 0 offset:632
	buffer_load_dword v117, off, s[0:3], 0 offset:628
	buffer_load_dword v116, off, s[0:3], 0 offset:624
	buffer_load_dword v119, off, s[0:3], 0 offset:620
	buffer_load_dword v118, off, s[0:3], 0 offset:616
	buffer_load_dword v121, off, s[0:3], 0 offset:612
	buffer_load_dword v120, off, s[0:3], 0 offset:608
	buffer_load_dword v127, off, s[0:3], 0 offset:668
	buffer_load_dword v126, off, s[0:3], 0 offset:664
	buffer_load_dword v129, off, s[0:3], 0 offset:660
	buffer_load_dword v128, off, s[0:3], 0 offset:656
	buffer_load_dword v131, off, s[0:3], 0 offset:652
	buffer_load_dword v130, off, s[0:3], 0 offset:648
	buffer_load_dword v133, off, s[0:3], 0 offset:644
	buffer_load_dword v132, off, s[0:3], 0 offset:640
	buffer_load_dword v191, off, s[0:3], 0 offset:700
	buffer_load_dword v190, off, s[0:3], 0 offset:696
	buffer_load_dword v193, off, s[0:3], 0 offset:692
	buffer_load_dword v192, off, s[0:3], 0 offset:688
	buffer_load_dword v203, off, s[0:3], 0 offset:684
	buffer_load_dword v202, off, s[0:3], 0 offset:680
	buffer_load_dword v205, off, s[0:3], 0 offset:676
	buffer_load_dword v204, off, s[0:3], 0 offset:672
	buffer_load_dword v207, off, s[0:3], 0 offset:732
	buffer_load_dword v206, off, s[0:3], 0 offset:728
	buffer_load_dword v209, off, s[0:3], 0 offset:724
	buffer_load_dword v208, off, s[0:3], 0 offset:720
	buffer_load_dword v223, off, s[0:3], 0 offset:716
	buffer_load_dword v222, off, s[0:3], 0 offset:712
	buffer_load_dword v225, off, s[0:3], 0 offset:708
	buffer_load_dword v224, off, s[0:3], 0 offset:704
	v_fmac_f64_e32 v[122:123], v[4:5], v[52:53]
	v_add_f64 v[134:135], v[124:125], v[122:123]
	ds_read_b128 v[122:125], v1 offset:1152
	buffer_load_dword v227, off, s[0:3], 0 offset:748
	buffer_load_dword v226, off, s[0:3], 0 offset:744
	;; [unrolled: 1-line block ×4, first 2 shown]
	v_add_f64 v[138:139], v[134:135], v[136:137]
	ds_read_b128 v[134:137], v1 offset:1168
	v_mul_f64 v[24:25], v[24:25], v[42:43]
	s_waitcnt lgkmcnt(1)
	v_mul_f64 v[140:141], v[122:123], v[66:67]
	v_fmac_f64_e32 v[140:141], v[124:125], v[68:69]
	v_add_f64 v[142:143], v[138:139], v[140:141]
	ds_read_b128 v[138:141], v1 offset:1184
	s_waitcnt vmcnt(62) lgkmcnt(1)
	v_mul_f64 v[144:145], v[134:135], v[78:79]
	v_fmac_f64_e32 v[144:145], v[136:137], v[80:81]
	v_add_f64 v[146:147], v[142:143], v[144:145]
	ds_read_b128 v[142:145], v1 offset:1200
	s_waitcnt lgkmcnt(1)
	v_mul_f64 v[148:149], v[138:139], v[74:75]
	v_fmac_f64_e32 v[148:149], v[140:141], v[76:77]
	v_add_f64 v[150:151], v[146:147], v[148:149]
	ds_read_b128 v[146:149], v1 offset:1216
	s_waitcnt lgkmcnt(1)
	v_mul_f64 v[152:153], v[142:143], v[86:87]
	s_waitcnt vmcnt(60)
	v_fmac_f64_e32 v[152:153], v[144:145], v[88:89]
	v_add_f64 v[154:155], v[150:151], v[152:153]
	ds_read_b128 v[150:153], v1 offset:1232
	s_waitcnt lgkmcnt(1)
	v_mul_f64 v[156:157], v[146:147], v[82:83]
	v_fmac_f64_e32 v[156:157], v[148:149], v[84:85]
	v_add_f64 v[158:159], v[154:155], v[156:157]
	ds_read_b128 v[154:157], v1 offset:1248
	v_add_f64 v[26:27], v[30:31], v[26:27]
	v_fma_f64 v[22:23], v[22:23], v[64:65], -v[24:25]
	s_waitcnt vmcnt(54) lgkmcnt(1)
	v_mul_f64 v[160:161], v[150:151], v[94:95]
	v_mul_f64 v[20:21], v[20:21], v[48:49]
	s_waitcnt vmcnt(52)
	v_fmac_f64_e32 v[160:161], v[152:153], v[96:97]
	v_add_f64 v[162:163], v[158:159], v[160:161]
	ds_read_b128 v[158:161], v1 offset:1264
	s_waitcnt lgkmcnt(1)
	v_mul_f64 v[164:165], v[154:155], v[90:91]
	v_fmac_f64_e32 v[164:165], v[156:157], v[92:93]
	v_add_f64 v[22:23], v[26:27], v[22:23]
	v_fma_f64 v[18:19], v[18:19], v[62:63], -v[20:21]
	v_mul_f64 v[12:13], v[12:13], v[56:57]
	v_add_f64 v[166:167], v[162:163], v[164:165]
	ds_read_b128 v[162:165], v1 offset:1280
	v_add_f64 v[18:19], v[22:23], v[18:19]
	v_fma_f64 v[10:11], v[10:11], v[58:59], -v[12:13]
	v_mul_f64 v[8:9], v[8:9], v[54:55]
	v_add_f64 v[10:11], v[18:19], v[10:11]
	v_fma_f64 v[6:7], v[6:7], v[60:61], -v[8:9]
	v_mul_f64 v[4:5], v[4:5], v[50:51]
	;; [unrolled: 3-line block ×3, first 2 shown]
	s_waitcnt vmcnt(46) lgkmcnt(1)
	v_mul_f64 v[168:169], v[158:159], v[102:103]
	v_add_f64 v[2:3], v[6:7], v[2:3]
	v_fma_f64 v[4:5], v[14:15], v[72:73], -v[4:5]
	s_waitcnt vmcnt(44)
	v_fmac_f64_e32 v[168:169], v[160:161], v[104:105]
	v_add_f64 v[2:3], v[2:3], v[4:5]
	v_mul_f64 v[4:5], v[124:125], v[66:67]
	v_add_f64 v[170:171], v[166:167], v[168:169]
	ds_read_b128 v[166:169], v1 offset:1296
	s_waitcnt lgkmcnt(1)
	v_mul_f64 v[172:173], v[162:163], v[98:99]
	v_fma_f64 v[4:5], v[122:123], v[68:69], -v[4:5]
	v_fmac_f64_e32 v[172:173], v[164:165], v[100:101]
	v_add_f64 v[2:3], v[2:3], v[4:5]
	v_mul_f64 v[4:5], v[136:137], v[78:79]
	v_add_f64 v[174:175], v[170:171], v[172:173]
	ds_read_b128 v[170:173], v1 offset:1312
	v_fma_f64 v[4:5], v[134:135], v[80:81], -v[4:5]
	v_add_f64 v[2:3], v[2:3], v[4:5]
	v_mul_f64 v[4:5], v[140:141], v[74:75]
	v_fma_f64 v[4:5], v[138:139], v[76:77], -v[4:5]
	s_waitcnt vmcnt(38) lgkmcnt(1)
	v_mul_f64 v[176:177], v[166:167], v[110:111]
	v_add_f64 v[2:3], v[2:3], v[4:5]
	v_mul_f64 v[4:5], v[144:145], v[86:87]
	s_waitcnt vmcnt(36)
	v_fmac_f64_e32 v[176:177], v[168:169], v[112:113]
	v_fma_f64 v[4:5], v[142:143], v[88:89], -v[4:5]
	v_add_f64 v[178:179], v[174:175], v[176:177]
	ds_read_b128 v[174:177], v1 offset:1328
	s_waitcnt lgkmcnt(1)
	v_mul_f64 v[180:181], v[170:171], v[106:107]
	v_add_f64 v[2:3], v[2:3], v[4:5]
	v_mul_f64 v[4:5], v[148:149], v[82:83]
	v_fmac_f64_e32 v[180:181], v[172:173], v[108:109]
	v_fma_f64 v[4:5], v[146:147], v[84:85], -v[4:5]
	v_add_f64 v[182:183], v[178:179], v[180:181]
	ds_read_b128 v[178:181], v1 offset:1344
	v_add_f64 v[2:3], v[2:3], v[4:5]
	v_mul_f64 v[4:5], v[152:153], v[94:95]
	v_fma_f64 v[4:5], v[150:151], v[96:97], -v[4:5]
	v_add_f64 v[2:3], v[2:3], v[4:5]
	v_mul_f64 v[4:5], v[156:157], v[90:91]
	s_waitcnt vmcnt(30) lgkmcnt(1)
	v_mul_f64 v[184:185], v[174:175], v[118:119]
	v_fma_f64 v[4:5], v[154:155], v[92:93], -v[4:5]
	s_waitcnt vmcnt(28)
	v_fmac_f64_e32 v[184:185], v[176:177], v[120:121]
	v_add_f64 v[2:3], v[2:3], v[4:5]
	v_mul_f64 v[4:5], v[160:161], v[102:103]
	v_add_f64 v[186:187], v[182:183], v[184:185]
	ds_read_b128 v[182:185], v1 offset:1360
	s_waitcnt lgkmcnt(1)
	v_mul_f64 v[188:189], v[178:179], v[114:115]
	v_fma_f64 v[4:5], v[158:159], v[104:105], -v[4:5]
	v_fmac_f64_e32 v[188:189], v[180:181], v[116:117]
	v_add_f64 v[2:3], v[2:3], v[4:5]
	v_mul_f64 v[4:5], v[164:165], v[98:99]
	v_add_f64 v[194:195], v[186:187], v[188:189]
	ds_read_b128 v[186:189], v1 offset:1376
	v_fma_f64 v[4:5], v[162:163], v[100:101], -v[4:5]
	v_add_f64 v[2:3], v[2:3], v[4:5]
	v_mul_f64 v[4:5], v[168:169], v[110:111]
	v_fma_f64 v[4:5], v[166:167], v[112:113], -v[4:5]
	s_waitcnt vmcnt(22) lgkmcnt(1)
	v_mul_f64 v[196:197], v[182:183], v[130:131]
	v_add_f64 v[2:3], v[2:3], v[4:5]
	v_mul_f64 v[4:5], v[172:173], v[106:107]
	s_waitcnt vmcnt(20)
	v_fmac_f64_e32 v[196:197], v[184:185], v[132:133]
	v_fma_f64 v[4:5], v[170:171], v[108:109], -v[4:5]
	v_add_f64 v[198:199], v[194:195], v[196:197]
	ds_read_b128 v[194:197], v1 offset:1392
	s_waitcnt lgkmcnt(1)
	v_mul_f64 v[200:201], v[186:187], v[126:127]
	v_add_f64 v[2:3], v[2:3], v[4:5]
	v_mul_f64 v[4:5], v[176:177], v[118:119]
	v_fmac_f64_e32 v[200:201], v[188:189], v[128:129]
	v_fma_f64 v[4:5], v[174:175], v[120:121], -v[4:5]
	v_add_f64 v[210:211], v[198:199], v[200:201]
	ds_read_b128 v[198:201], v1 offset:1408
	v_add_f64 v[2:3], v[2:3], v[4:5]
	v_mul_f64 v[4:5], v[180:181], v[114:115]
	v_fma_f64 v[4:5], v[178:179], v[116:117], -v[4:5]
	v_add_f64 v[2:3], v[2:3], v[4:5]
	v_mul_f64 v[4:5], v[184:185], v[130:131]
	s_waitcnt vmcnt(14) lgkmcnt(1)
	v_mul_f64 v[212:213], v[194:195], v[202:203]
	v_fma_f64 v[4:5], v[182:183], v[132:133], -v[4:5]
	s_waitcnt vmcnt(12)
	v_fmac_f64_e32 v[212:213], v[196:197], v[204:205]
	v_add_f64 v[2:3], v[2:3], v[4:5]
	v_mul_f64 v[4:5], v[188:189], v[126:127]
	v_add_f64 v[214:215], v[210:211], v[212:213]
	ds_read_b128 v[210:213], v1 offset:1424
	s_waitcnt lgkmcnt(1)
	v_mul_f64 v[216:217], v[198:199], v[190:191]
	v_fma_f64 v[4:5], v[186:187], v[128:129], -v[4:5]
	v_fmac_f64_e32 v[216:217], v[200:201], v[192:193]
	v_add_f64 v[2:3], v[2:3], v[4:5]
	v_mul_f64 v[4:5], v[196:197], v[202:203]
	v_add_f64 v[230:231], v[214:215], v[216:217]
	ds_read_b128 v[214:217], v1 offset:1440
	v_fma_f64 v[4:5], v[194:195], v[204:205], -v[4:5]
	v_add_f64 v[2:3], v[2:3], v[4:5]
	v_mul_f64 v[4:5], v[200:201], v[190:191]
	ds_read_b128 v[218:221], v1 offset:1456
	v_fma_f64 v[4:5], v[198:199], v[192:193], -v[4:5]
	v_add_f64 v[2:3], v[2:3], v[4:5]
	s_waitcnt vmcnt(6) lgkmcnt(2)
	v_mul_f64 v[4:5], v[212:213], v[222:223]
	v_mul_f64 v[232:233], v[210:211], v[222:223]
	s_waitcnt vmcnt(4)
	v_fma_f64 v[4:5], v[210:211], v[224:225], -v[4:5]
	v_fmac_f64_e32 v[232:233], v[212:213], v[224:225]
	v_add_f64 v[2:3], v[2:3], v[4:5]
	s_waitcnt lgkmcnt(1)
	v_mul_f64 v[4:5], v[216:217], v[206:207]
	v_add_f64 v[230:231], v[230:231], v[232:233]
	v_mul_f64 v[232:233], v[214:215], v[206:207]
	v_fma_f64 v[4:5], v[214:215], v[208:209], -v[4:5]
	v_fmac_f64_e32 v[232:233], v[216:217], v[208:209]
	v_add_f64 v[2:3], v[2:3], v[4:5]
	s_waitcnt vmcnt(2) lgkmcnt(0)
	v_mul_f64 v[4:5], v[220:221], v[226:227]
	v_add_f64 v[230:231], v[230:231], v[232:233]
	v_mul_f64 v[232:233], v[218:219], v[226:227]
	s_waitcnt vmcnt(0)
	v_fma_f64 v[4:5], v[218:219], v[228:229], -v[4:5]
	v_fmac_f64_e32 v[232:233], v[220:221], v[228:229]
	v_add_f64 v[2:3], v[2:3], v[4:5]
	v_add_f64 v[230:231], v[230:231], v[232:233]
	v_add_f64 v[2:3], v[46:47], -v[2:3]
	v_add_f64 v[4:5], v[44:45], -v[230:231]
	buffer_store_dword v3, off, s[0:3], 0 offset:292
	buffer_store_dword v2, off, s[0:3], 0 offset:288
	;; [unrolled: 1-line block ×4, first 2 shown]
	s_and_saveexec_b64 s[4:5], vcc
	s_cbranch_execz .LBB109_257
; %bb.256:
	v_accvgpr_read_b32 v0, a121
	buffer_load_dword v2, v0, s[0:3], 0 offen
	buffer_load_dword v3, v0, s[0:3], 0 offen offset:4
	buffer_load_dword v4, v0, s[0:3], 0 offen offset:8
	buffer_load_dword v5, v0, s[0:3], 0 offen offset:12
	v_mov_b32_e32 v0, 0
	v_accvgpr_read_b32 v1, a138
	buffer_store_dword v0, off, s[0:3], 0 offset:272
	buffer_store_dword v0, off, s[0:3], 0 offset:276
	;; [unrolled: 1-line block ×4, first 2 shown]
	s_waitcnt vmcnt(4)
	ds_write_b128 v1, v[2:5]
.LBB109_257:
	s_or_b64 exec, exec, s[4:5]
	s_waitcnt lgkmcnt(0)
	; wave barrier
	s_waitcnt lgkmcnt(0)
	buffer_load_dword v38, off, s[0:3], 0 offset:288
	buffer_load_dword v39, off, s[0:3], 0 offset:292
	;; [unrolled: 1-line block ×48, first 2 shown]
	v_mov_b32_e32 v1, 0
	ds_read_b128 v[34:37], v1 offset:1008
	ds_read_b128 v[30:33], v1 offset:1024
	ds_read_b128 v[26:29], v1 offset:1040
	ds_read_b128 v[22:25], v1 offset:1056
	ds_read_b128 v[18:21], v1 offset:1072
	ds_read_b128 v[14:17], v1 offset:1088
	ds_read_b128 v[10:13], v1 offset:1104
	ds_read_b128 v[6:9], v1 offset:1120
	ds_read_b128 v[2:5], v1 offset:1136
	v_cmp_lt_u32_e32 vcc, 15, v254
	s_waitcnt vmcnt(44) lgkmcnt(8)
	v_mul_f64 v[86:87], v[34:35], v[42:43]
	v_fmac_f64_e32 v[86:87], v[36:37], v[38:39]
	v_add_f64 v[86:87], v[86:87], 0
	v_mul_f64 v[36:37], v[36:37], v[42:43]
	s_waitcnt vmcnt(40) lgkmcnt(7)
	v_mul_f64 v[88:89], v[30:31], v[44:45]
	v_fmac_f64_e32 v[88:89], v[32:33], v[40:41]
	s_waitcnt vmcnt(38) lgkmcnt(6)
	v_mul_f64 v[90:91], v[26:27], v[46:47]
	v_add_f64 v[86:87], v[86:87], v[88:89]
	s_waitcnt vmcnt(36) lgkmcnt(4)
	v_mul_f64 v[94:95], v[18:19], v[48:49]
	v_fma_f64 v[34:35], v[34:35], v[38:39], -v[36:37]
	s_waitcnt vmcnt(34)
	v_fmac_f64_e32 v[94:95], v[20:21], v[50:51]
	v_mul_f64 v[32:33], v[32:33], v[44:45]
	s_waitcnt vmcnt(32)
	v_mul_f64 v[92:93], v[22:23], v[52:53]
	v_add_f64 v[34:35], v[34:35], 0
	s_waitcnt vmcnt(30) lgkmcnt(2)
	v_mul_f64 v[98:99], v[10:11], v[54:55]
	v_fma_f64 v[30:31], v[30:31], v[40:41], -v[32:33]
	s_waitcnt vmcnt(28)
	v_fmac_f64_e32 v[98:99], v[12:13], v[56:57]
	v_add_f64 v[30:31], v[34:35], v[30:31]
	s_waitcnt vmcnt(26)
	v_mul_f64 v[96:97], v[14:15], v[58:59]
	v_mul_f64 v[20:21], v[20:21], v[48:49]
	v_fma_f64 v[18:19], v[18:19], v[50:51], -v[20:21]
	v_mul_f64 v[12:13], v[12:13], v[54:55]
	s_waitcnt vmcnt(22) lgkmcnt(1)
	v_mul_f64 v[110:111], v[6:7], v[68:69]
	v_fma_f64 v[10:11], v[10:11], v[56:57], -v[12:13]
	s_waitcnt vmcnt(20)
	v_fmac_f64_e32 v[90:91], v[28:29], v[76:77]
	v_add_f64 v[86:87], v[86:87], v[90:91]
	s_waitcnt vmcnt(18)
	v_fmac_f64_e32 v[92:93], v[24:25], v[74:75]
	v_add_f64 v[86:87], v[86:87], v[92:93]
	;; [unrolled: 3-line block ×3, first 2 shown]
	v_add_f64 v[86:87], v[86:87], v[96:97]
	v_add_f64 v[112:113], v[86:87], v[98:99]
	buffer_load_dword v87, off, s[0:3], 0 offset:492
	buffer_load_dword v86, off, s[0:3], 0 offset:488
	;; [unrolled: 1-line block ×72, first 2 shown]
	s_waitcnt vmcnt(62)
	v_fmac_f64_e32 v[110:111], v[8:9], v[70:71]
	v_add_f64 v[142:143], v[112:113], v[110:111]
	ds_read_b128 v[110:113], v1 offset:1152
	s_waitcnt lgkmcnt(1)
	v_mul_f64 v[144:145], v[2:3], v[64:65]
	v_fmac_f64_e32 v[144:145], v[4:5], v[66:67]
	v_add_f64 v[146:147], v[142:143], v[144:145]
	ds_read_b128 v[142:145], v1 offset:1168
	s_waitcnt lgkmcnt(1)
	v_mul_f64 v[148:149], v[110:111], v[82:83]
	;; [unrolled: 5-line block ×5, first 2 shown]
	v_fmac_f64_e32 v[160:161], v[152:153], v[88:89]
	v_add_f64 v[162:163], v[158:159], v[160:161]
	ds_read_b128 v[158:161], v1 offset:1232
	s_waitcnt vmcnt(58) lgkmcnt(1)
	v_mul_f64 v[164:165], v[154:155], v[98:99]
	s_waitcnt vmcnt(56)
	v_fmac_f64_e32 v[164:165], v[156:157], v[100:101]
	v_add_f64 v[166:167], v[162:163], v[164:165]
	ds_read_b128 v[162:165], v1 offset:1248
	s_waitcnt lgkmcnt(1)
	v_mul_f64 v[168:169], v[158:159], v[94:95]
	v_fmac_f64_e32 v[168:169], v[160:161], v[96:97]
	v_mul_f64 v[28:29], v[28:29], v[46:47]
	v_add_f64 v[170:171], v[166:167], v[168:169]
	ds_read_b128 v[166:169], v1 offset:1264
	s_waitcnt vmcnt(50) lgkmcnt(1)
	v_mul_f64 v[172:173], v[162:163], v[106:107]
	v_fma_f64 v[26:27], v[26:27], v[76:77], -v[28:29]
	v_mul_f64 v[24:25], v[24:25], v[52:53]
	s_waitcnt vmcnt(48)
	v_fmac_f64_e32 v[172:173], v[164:165], v[108:109]
	v_add_f64 v[26:27], v[30:31], v[26:27]
	v_fma_f64 v[22:23], v[22:23], v[74:75], -v[24:25]
	v_add_f64 v[174:175], v[170:171], v[172:173]
	ds_read_b128 v[170:173], v1 offset:1280
	v_add_f64 v[22:23], v[26:27], v[22:23]
	v_mul_f64 v[16:17], v[16:17], v[58:59]
	v_add_f64 v[18:19], v[22:23], v[18:19]
	v_fma_f64 v[14:15], v[14:15], v[72:73], -v[16:17]
	v_add_f64 v[14:15], v[18:19], v[14:15]
	v_mul_f64 v[8:9], v[8:9], v[68:69]
	s_waitcnt lgkmcnt(1)
	v_mul_f64 v[176:177], v[166:167], v[102:103]
	v_add_f64 v[10:11], v[14:15], v[10:11]
	v_fma_f64 v[6:7], v[6:7], v[70:71], -v[8:9]
	v_mul_f64 v[4:5], v[4:5], v[64:65]
	v_fmac_f64_e32 v[176:177], v[168:169], v[104:105]
	v_add_f64 v[6:7], v[10:11], v[6:7]
	v_fma_f64 v[2:3], v[2:3], v[66:67], -v[4:5]
	v_mul_f64 v[4:5], v[112:113], v[82:83]
	v_add_f64 v[178:179], v[174:175], v[176:177]
	ds_read_b128 v[174:177], v1 offset:1296
	s_waitcnt vmcnt(42) lgkmcnt(1)
	v_mul_f64 v[180:181], v[170:171], v[118:119]
	v_add_f64 v[2:3], v[6:7], v[2:3]
	v_fma_f64 v[4:5], v[110:111], v[84:85], -v[4:5]
	s_waitcnt vmcnt(40)
	v_fmac_f64_e32 v[180:181], v[172:173], v[120:121]
	v_add_f64 v[2:3], v[2:3], v[4:5]
	v_mul_f64 v[4:5], v[144:145], v[78:79]
	v_add_f64 v[182:183], v[178:179], v[180:181]
	ds_read_b128 v[178:181], v1 offset:1312
	v_fma_f64 v[4:5], v[142:143], v[80:81], -v[4:5]
	v_add_f64 v[2:3], v[2:3], v[4:5]
	v_mul_f64 v[4:5], v[148:149], v[90:91]
	v_fma_f64 v[4:5], v[146:147], v[92:93], -v[4:5]
	s_waitcnt lgkmcnt(1)
	v_mul_f64 v[184:185], v[174:175], v[114:115]
	v_add_f64 v[2:3], v[2:3], v[4:5]
	v_mul_f64 v[4:5], v[152:153], v[86:87]
	v_fmac_f64_e32 v[184:185], v[176:177], v[116:117]
	v_fma_f64 v[4:5], v[150:151], v[88:89], -v[4:5]
	v_add_f64 v[186:187], v[182:183], v[184:185]
	ds_read_b128 v[182:185], v1 offset:1328
	s_waitcnt vmcnt(34) lgkmcnt(1)
	v_mul_f64 v[188:189], v[178:179], v[126:127]
	v_add_f64 v[2:3], v[2:3], v[4:5]
	v_mul_f64 v[4:5], v[156:157], v[98:99]
	s_waitcnt vmcnt(32)
	v_fmac_f64_e32 v[188:189], v[180:181], v[128:129]
	v_fma_f64 v[4:5], v[154:155], v[100:101], -v[4:5]
	v_add_f64 v[194:195], v[186:187], v[188:189]
	ds_read_b128 v[186:189], v1 offset:1344
	v_add_f64 v[2:3], v[2:3], v[4:5]
	v_mul_f64 v[4:5], v[160:161], v[94:95]
	v_fma_f64 v[4:5], v[158:159], v[96:97], -v[4:5]
	v_add_f64 v[2:3], v[2:3], v[4:5]
	v_mul_f64 v[4:5], v[164:165], v[106:107]
	s_waitcnt lgkmcnt(1)
	v_mul_f64 v[196:197], v[182:183], v[122:123]
	v_fma_f64 v[4:5], v[162:163], v[108:109], -v[4:5]
	v_fmac_f64_e32 v[196:197], v[184:185], v[124:125]
	v_add_f64 v[2:3], v[2:3], v[4:5]
	v_mul_f64 v[4:5], v[168:169], v[102:103]
	v_add_f64 v[198:199], v[194:195], v[196:197]
	ds_read_b128 v[194:197], v1 offset:1360
	s_waitcnt vmcnt(26) lgkmcnt(1)
	v_mul_f64 v[200:201], v[186:187], v[134:135]
	v_fma_f64 v[4:5], v[166:167], v[104:105], -v[4:5]
	s_waitcnt vmcnt(24)
	v_fmac_f64_e32 v[200:201], v[188:189], v[136:137]
	v_add_f64 v[2:3], v[2:3], v[4:5]
	v_mul_f64 v[4:5], v[172:173], v[118:119]
	v_add_f64 v[210:211], v[198:199], v[200:201]
	ds_read_b128 v[198:201], v1 offset:1376
	v_fma_f64 v[4:5], v[170:171], v[120:121], -v[4:5]
	v_add_f64 v[2:3], v[2:3], v[4:5]
	v_mul_f64 v[4:5], v[176:177], v[114:115]
	v_fma_f64 v[4:5], v[174:175], v[116:117], -v[4:5]
	s_waitcnt lgkmcnt(1)
	v_mul_f64 v[212:213], v[194:195], v[130:131]
	v_add_f64 v[2:3], v[2:3], v[4:5]
	v_mul_f64 v[4:5], v[180:181], v[126:127]
	v_fmac_f64_e32 v[212:213], v[196:197], v[132:133]
	v_fma_f64 v[4:5], v[178:179], v[128:129], -v[4:5]
	v_add_f64 v[214:215], v[210:211], v[212:213]
	ds_read_b128 v[210:213], v1 offset:1392
	s_waitcnt vmcnt(18) lgkmcnt(1)
	v_mul_f64 v[216:217], v[198:199], v[190:191]
	v_add_f64 v[2:3], v[2:3], v[4:5]
	v_mul_f64 v[4:5], v[184:185], v[122:123]
	s_waitcnt vmcnt(16)
	v_fmac_f64_e32 v[216:217], v[200:201], v[192:193]
	v_fma_f64 v[4:5], v[182:183], v[124:125], -v[4:5]
	v_add_f64 v[218:219], v[214:215], v[216:217]
	ds_read_b128 v[214:217], v1 offset:1408
	v_add_f64 v[2:3], v[2:3], v[4:5]
	v_mul_f64 v[4:5], v[188:189], v[134:135]
	v_fma_f64 v[4:5], v[186:187], v[136:137], -v[4:5]
	v_add_f64 v[2:3], v[2:3], v[4:5]
	v_mul_f64 v[4:5], v[196:197], v[130:131]
	s_waitcnt lgkmcnt(1)
	v_mul_f64 v[220:221], v[210:211], v[138:139]
	v_fma_f64 v[4:5], v[194:195], v[132:133], -v[4:5]
	v_fmac_f64_e32 v[220:221], v[212:213], v[140:141]
	v_add_f64 v[2:3], v[2:3], v[4:5]
	v_mul_f64 v[4:5], v[200:201], v[190:191]
	v_add_f64 v[222:223], v[218:219], v[220:221]
	ds_read_b128 v[218:221], v1 offset:1424
	s_waitcnt vmcnt(10) lgkmcnt(1)
	v_mul_f64 v[224:225], v[214:215], v[206:207]
	v_fma_f64 v[4:5], v[198:199], v[192:193], -v[4:5]
	s_waitcnt vmcnt(8)
	v_fmac_f64_e32 v[224:225], v[216:217], v[208:209]
	v_add_f64 v[2:3], v[2:3], v[4:5]
	v_mul_f64 v[4:5], v[212:213], v[138:139]
	v_add_f64 v[238:239], v[222:223], v[224:225]
	ds_read_b128 v[222:225], v1 offset:1440
	ds_read_b128 v[226:229], v1 offset:1456
	v_fma_f64 v[4:5], v[210:211], v[140:141], -v[4:5]
	v_add_f64 v[2:3], v[2:3], v[4:5]
	v_mul_f64 v[4:5], v[216:217], v[206:207]
	v_fma_f64 v[4:5], v[214:215], v[208:209], -v[4:5]
	v_add_f64 v[2:3], v[2:3], v[4:5]
	s_waitcnt lgkmcnt(2)
	v_mul_f64 v[4:5], v[220:221], v[202:203]
	v_mul_f64 v[240:241], v[218:219], v[202:203]
	v_fma_f64 v[4:5], v[218:219], v[204:205], -v[4:5]
	v_fmac_f64_e32 v[240:241], v[220:221], v[204:205]
	v_add_f64 v[2:3], v[2:3], v[4:5]
	s_waitcnt vmcnt(2) lgkmcnt(1)
	v_mul_f64 v[4:5], v[224:225], v[234:235]
	v_add_f64 v[238:239], v[238:239], v[240:241]
	v_mul_f64 v[240:241], v[222:223], v[234:235]
	s_waitcnt vmcnt(0)
	v_fma_f64 v[4:5], v[222:223], v[236:237], -v[4:5]
	v_fmac_f64_e32 v[240:241], v[224:225], v[236:237]
	v_add_f64 v[2:3], v[2:3], v[4:5]
	s_waitcnt lgkmcnt(0)
	v_mul_f64 v[4:5], v[228:229], v[230:231]
	v_add_f64 v[238:239], v[238:239], v[240:241]
	v_mul_f64 v[240:241], v[226:227], v[230:231]
	v_fma_f64 v[4:5], v[226:227], v[232:233], -v[4:5]
	v_fmac_f64_e32 v[240:241], v[228:229], v[232:233]
	v_add_f64 v[2:3], v[2:3], v[4:5]
	v_add_f64 v[238:239], v[238:239], v[240:241]
	v_add_f64 v[2:3], v[62:63], -v[2:3]
	v_add_f64 v[4:5], v[60:61], -v[238:239]
	buffer_store_dword v3, off, s[0:3], 0 offset:276
	buffer_store_dword v2, off, s[0:3], 0 offset:272
	;; [unrolled: 1-line block ×4, first 2 shown]
	s_and_saveexec_b64 s[4:5], vcc
	s_cbranch_execz .LBB109_259
; %bb.258:
	v_accvgpr_read_b32 v0, a122
	buffer_load_dword v2, v0, s[0:3], 0 offen
	buffer_load_dword v3, v0, s[0:3], 0 offen offset:4
	buffer_load_dword v4, v0, s[0:3], 0 offen offset:8
	;; [unrolled: 1-line block ×3, first 2 shown]
	v_accvgpr_read_b32 v0, a138
	buffer_store_dword v1, off, s[0:3], 0 offset:256
	buffer_store_dword v1, off, s[0:3], 0 offset:260
	;; [unrolled: 1-line block ×4, first 2 shown]
	s_waitcnt vmcnt(4)
	ds_write_b128 v0, v[2:5]
.LBB109_259:
	s_or_b64 exec, exec, s[4:5]
	s_waitcnt lgkmcnt(0)
	; wave barrier
	s_waitcnt lgkmcnt(0)
	buffer_load_dword v48, off, s[0:3], 0 offset:272
	buffer_load_dword v49, off, s[0:3], 0 offset:276
	;; [unrolled: 1-line block ×40, first 2 shown]
	ds_read_b128 v[38:41], v1 offset:992
	ds_read_b128 v[34:37], v1 offset:1008
	ds_read_b128 v[30:33], v1 offset:1024
	ds_read_b128 v[26:29], v1 offset:1040
	ds_read_b128 v[22:25], v1 offset:1056
	ds_read_b128 v[18:21], v1 offset:1072
	ds_read_b128 v[10:13], v1 offset:1088
	ds_read_b128 v[6:9], v1 offset:1104
	ds_read_b128 v[2:5], v1 offset:1120
	ds_read_b128 v[14:17], v1 offset:1136
	buffer_load_dword v83, off, s[0:3], 0 offset:444
	buffer_load_dword v82, off, s[0:3], 0 offset:440
	buffer_load_dword v85, off, s[0:3], 0 offset:436
	buffer_load_dword v84, off, s[0:3], 0 offset:432
	buffer_load_dword v87, off, s[0:3], 0 offset:428
	buffer_load_dword v86, off, s[0:3], 0 offset:424
	buffer_load_dword v89, off, s[0:3], 0 offset:420
	buffer_load_dword v88, off, s[0:3], 0 offset:416
	v_cmp_lt_u32_e32 vcc, 14, v254
	s_waitcnt vmcnt(44) lgkmcnt(9)
	v_mul_f64 v[90:91], v[38:39], v[50:51]
	v_fmac_f64_e32 v[90:91], v[40:41], v[48:49]
	v_add_f64 v[90:91], v[90:91], 0
	v_mul_f64 v[40:41], v[40:41], v[50:51]
	s_waitcnt vmcnt(40) lgkmcnt(8)
	v_mul_f64 v[92:93], v[34:35], v[44:45]
	v_fmac_f64_e32 v[92:93], v[36:37], v[42:43]
	s_waitcnt vmcnt(38) lgkmcnt(7)
	v_mul_f64 v[94:95], v[30:31], v[46:47]
	v_add_f64 v[90:91], v[90:91], v[92:93]
	s_waitcnt vmcnt(36) lgkmcnt(5)
	v_mul_f64 v[98:99], v[22:23], v[52:53]
	v_mul_f64 v[36:37], v[36:37], v[44:45]
	s_waitcnt vmcnt(34)
	v_fmac_f64_e32 v[98:99], v[24:25], v[54:55]
	v_fma_f64 v[34:35], v[34:35], v[42:43], -v[36:37]
	s_waitcnt vmcnt(32)
	v_mul_f64 v[96:97], v[26:27], v[56:57]
	v_mul_f64 v[24:25], v[24:25], v[52:53]
	s_waitcnt vmcnt(30) lgkmcnt(4)
	v_mul_f64 v[100:101], v[18:19], v[62:63]
	v_fma_f64 v[22:23], v[22:23], v[54:55], -v[24:25]
	s_waitcnt vmcnt(28) lgkmcnt(1)
	v_mul_f64 v[122:123], v[2:3], v[64:65]
	s_waitcnt vmcnt(25)
	v_mul_f64 v[104:105], v[6:7], v[68:69]
	s_waitcnt vmcnt(23)
	;; [unrolled: 2-line block ×3, first 2 shown]
	v_fmac_f64_e32 v[102:103], v[12:13], v[72:73]
	v_mul_f64 v[12:13], v[12:13], v[70:71]
	s_waitcnt vmcnt(19)
	v_fmac_f64_e32 v[94:95], v[32:33], v[80:81]
	v_add_f64 v[90:91], v[90:91], v[94:95]
	s_waitcnt vmcnt(17)
	v_fmac_f64_e32 v[96:97], v[28:29], v[78:79]
	v_add_f64 v[90:91], v[90:91], v[96:97]
	s_waitcnt vmcnt(15)
	v_fmac_f64_e32 v[100:101], v[20:21], v[76:77]
	v_add_f64 v[90:91], v[90:91], v[98:99]
	v_add_f64 v[90:91], v[90:91], v[100:101]
	s_waitcnt vmcnt(13)
	v_fmac_f64_e32 v[104:105], v[8:9], v[74:75]
	v_add_f64 v[90:91], v[90:91], v[102:103]
	v_add_f64 v[124:125], v[90:91], v[104:105]
	buffer_load_dword v91, off, s[0:3], 0 offset:476
	buffer_load_dword v90, off, s[0:3], 0 offset:472
	;; [unrolled: 1-line block ×72, first 2 shown]
	s_waitcnt vmcnt(62)
	v_fmac_f64_e32 v[122:123], v[4:5], v[66:67]
	v_add_f64 v[150:151], v[124:125], v[122:123]
	ds_read_b128 v[122:125], v1 offset:1152
	s_waitcnt lgkmcnt(1)
	v_mul_f64 v[152:153], v[14:15], v[86:87]
	v_fmac_f64_e32 v[152:153], v[16:17], v[88:89]
	buffer_load_dword v235, off, s[0:3], 0 offset:748
	buffer_load_dword v234, off, s[0:3], 0 offset:744
	;; [unrolled: 1-line block ×4, first 2 shown]
	v_add_f64 v[154:155], v[150:151], v[152:153]
	s_waitcnt lgkmcnt(0)
	v_mul_f64 v[156:157], v[122:123], v[82:83]
	ds_read_b128 v[150:153], v1 offset:1168
	v_fmac_f64_e32 v[156:157], v[124:125], v[84:85]
	v_add_f64 v[158:159], v[154:155], v[156:157]
	ds_read_b128 v[154:157], v1 offset:1184
	v_mul_f64 v[32:33], v[32:33], v[46:47]
	s_waitcnt lgkmcnt(1)
	v_mul_f64 v[160:161], v[150:151], v[94:95]
	v_fma_f64 v[30:31], v[30:31], v[80:81], -v[32:33]
	v_fmac_f64_e32 v[160:161], v[152:153], v[96:97]
	s_waitcnt lgkmcnt(0)
	v_mul_f64 v[164:165], v[154:155], v[90:91]
	v_add_f64 v[162:163], v[158:159], v[160:161]
	ds_read_b128 v[158:161], v1 offset:1200
	v_fmac_f64_e32 v[164:165], v[156:157], v[92:93]
	v_add_f64 v[166:167], v[162:163], v[164:165]
	ds_read_b128 v[162:165], v1 offset:1216
	v_mul_f64 v[28:29], v[28:29], v[56:57]
	s_waitcnt vmcnt(62) lgkmcnt(1)
	v_mul_f64 v[168:169], v[158:159], v[102:103]
	s_waitcnt vmcnt(60)
	v_fmac_f64_e32 v[168:169], v[160:161], v[104:105]
	v_add_f64 v[170:171], v[166:167], v[168:169]
	s_waitcnt lgkmcnt(0)
	v_mul_f64 v[172:173], v[162:163], v[98:99]
	ds_read_b128 v[166:169], v1 offset:1232
	v_fmac_f64_e32 v[172:173], v[164:165], v[100:101]
	v_add_f64 v[174:175], v[170:171], v[172:173]
	ds_read_b128 v[170:173], v1 offset:1248
	v_fma_f64 v[26:27], v[26:27], v[78:79], -v[28:29]
	s_waitcnt vmcnt(54) lgkmcnt(1)
	v_mul_f64 v[176:177], v[166:167], v[110:111]
	s_waitcnt vmcnt(52)
	v_fmac_f64_e32 v[176:177], v[168:169], v[112:113]
	v_add_f64 v[178:179], v[174:175], v[176:177]
	s_waitcnt lgkmcnt(0)
	v_mul_f64 v[180:181], v[170:171], v[106:107]
	ds_read_b128 v[174:177], v1 offset:1264
	v_fmac_f64_e32 v[180:181], v[172:173], v[108:109]
	v_add_f64 v[182:183], v[178:179], v[180:181]
	ds_read_b128 v[178:181], v1 offset:1280
	v_mul_f64 v[20:21], v[20:21], v[62:63]
	s_waitcnt vmcnt(46) lgkmcnt(1)
	v_mul_f64 v[184:185], v[174:175], v[118:119]
	s_waitcnt vmcnt(44)
	v_fmac_f64_e32 v[184:185], v[176:177], v[120:121]
	v_add_f64 v[186:187], v[182:183], v[184:185]
	s_waitcnt lgkmcnt(0)
	v_mul_f64 v[188:189], v[178:179], v[114:115]
	ds_read_b128 v[182:185], v1 offset:1296
	v_fmac_f64_e32 v[188:189], v[180:181], v[116:117]
	v_add_f64 v[194:195], v[186:187], v[188:189]
	ds_read_b128 v[186:189], v1 offset:1312
	v_fma_f64 v[18:19], v[18:19], v[76:77], -v[20:21]
	s_waitcnt vmcnt(38) lgkmcnt(1)
	v_mul_f64 v[196:197], v[182:183], v[130:131]
	s_waitcnt vmcnt(36)
	v_fmac_f64_e32 v[196:197], v[184:185], v[132:133]
	v_add_f64 v[198:199], v[194:195], v[196:197]
	s_waitcnt lgkmcnt(0)
	v_mul_f64 v[200:201], v[186:187], v[126:127]
	ds_read_b128 v[194:197], v1 offset:1328
	v_fmac_f64_e32 v[200:201], v[188:189], v[128:129]
	v_add_f64 v[210:211], v[198:199], v[200:201]
	ds_read_b128 v[198:201], v1 offset:1344
	v_fma_f64 v[10:11], v[10:11], v[72:73], -v[12:13]
	s_waitcnt vmcnt(30) lgkmcnt(1)
	v_mul_f64 v[212:213], v[194:195], v[138:139]
	s_waitcnt vmcnt(28)
	v_fmac_f64_e32 v[212:213], v[196:197], v[140:141]
	v_add_f64 v[214:215], v[210:211], v[212:213]
	s_waitcnt lgkmcnt(0)
	v_mul_f64 v[216:217], v[198:199], v[134:135]
	ds_read_b128 v[210:213], v1 offset:1360
	v_fmac_f64_e32 v[216:217], v[200:201], v[136:137]
	v_add_f64 v[218:219], v[214:215], v[216:217]
	ds_read_b128 v[214:217], v1 offset:1376
	v_mul_f64 v[8:9], v[8:9], v[68:69]
	s_waitcnt vmcnt(22) lgkmcnt(1)
	v_mul_f64 v[220:221], v[210:211], v[146:147]
	s_waitcnt vmcnt(20)
	v_fmac_f64_e32 v[220:221], v[212:213], v[148:149]
	v_add_f64 v[222:223], v[218:219], v[220:221]
	s_waitcnt lgkmcnt(0)
	v_mul_f64 v[224:225], v[214:215], v[142:143]
	ds_read_b128 v[218:221], v1 offset:1392
	v_fmac_f64_e32 v[224:225], v[216:217], v[144:145]
	v_add_f64 v[226:227], v[222:223], v[224:225]
	ds_read_b128 v[222:225], v1 offset:1408
	v_fma_f64 v[6:7], v[6:7], v[74:75], -v[8:9]
	s_waitcnt vmcnt(14) lgkmcnt(1)
	v_mul_f64 v[228:229], v[218:219], v[202:203]
	s_waitcnt vmcnt(12)
	v_fmac_f64_e32 v[228:229], v[220:221], v[204:205]
	v_add_f64 v[238:239], v[226:227], v[228:229]
	s_waitcnt lgkmcnt(0)
	v_mul_f64 v[240:241], v[222:223], v[190:191]
	v_fmac_f64_e32 v[240:241], v[224:225], v[192:193]
	v_add_f64 v[238:239], v[238:239], v[240:241]
	v_fma_f64 v[240:241], v[38:39], v[48:49], -v[40:41]
	v_add_f64 v[240:241], v[240:241], 0
	v_add_f64 v[34:35], v[240:241], v[34:35]
	;; [unrolled: 1-line block ×7, first 2 shown]
	v_mul_f64 v[4:5], v[4:5], v[64:65]
	v_add_f64 v[6:7], v[10:11], v[6:7]
	v_fma_f64 v[2:3], v[2:3], v[66:67], -v[4:5]
	v_mul_f64 v[4:5], v[16:17], v[86:87]
	v_add_f64 v[2:3], v[6:7], v[2:3]
	v_fma_f64 v[4:5], v[14:15], v[88:89], -v[4:5]
	v_add_f64 v[2:3], v[2:3], v[4:5]
	v_mul_f64 v[4:5], v[124:125], v[82:83]
	v_fma_f64 v[4:5], v[122:123], v[84:85], -v[4:5]
	v_add_f64 v[2:3], v[2:3], v[4:5]
	v_mul_f64 v[4:5], v[152:153], v[94:95]
	;; [unrolled: 3-line block ×15, first 2 shown]
	ds_read_b128 v[226:229], v1 offset:1424
	ds_read_b128 v[38:41], v1 offset:1440
	v_fma_f64 v[4:5], v[214:215], v[144:145], -v[4:5]
	v_add_f64 v[2:3], v[2:3], v[4:5]
	v_mul_f64 v[4:5], v[220:221], v[202:203]
	v_fma_f64 v[4:5], v[218:219], v[204:205], -v[4:5]
	v_add_f64 v[2:3], v[2:3], v[4:5]
	v_mul_f64 v[4:5], v[224:225], v[190:191]
	ds_read_b128 v[48:51], v1 offset:1456
	v_fma_f64 v[4:5], v[222:223], v[192:193], -v[4:5]
	v_add_f64 v[2:3], v[2:3], v[4:5]
	s_waitcnt vmcnt(6) lgkmcnt(2)
	v_mul_f64 v[4:5], v[228:229], v[230:231]
	v_mul_f64 v[242:243], v[226:227], v[230:231]
	s_waitcnt vmcnt(4)
	v_fma_f64 v[4:5], v[226:227], v[232:233], -v[4:5]
	v_fmac_f64_e32 v[242:243], v[228:229], v[232:233]
	v_add_f64 v[2:3], v[2:3], v[4:5]
	s_waitcnt lgkmcnt(1)
	v_mul_f64 v[4:5], v[40:41], v[206:207]
	v_add_f64 v[238:239], v[238:239], v[242:243]
	v_mul_f64 v[242:243], v[38:39], v[206:207]
	v_fma_f64 v[4:5], v[38:39], v[208:209], -v[4:5]
	v_fmac_f64_e32 v[242:243], v[40:41], v[208:209]
	v_add_f64 v[2:3], v[2:3], v[4:5]
	s_waitcnt vmcnt(2) lgkmcnt(0)
	v_mul_f64 v[4:5], v[50:51], v[234:235]
	v_add_f64 v[238:239], v[238:239], v[242:243]
	v_mul_f64 v[242:243], v[48:49], v[234:235]
	s_waitcnt vmcnt(0)
	v_fma_f64 v[4:5], v[48:49], v[236:237], -v[4:5]
	v_fmac_f64_e32 v[242:243], v[50:51], v[236:237]
	v_add_f64 v[2:3], v[2:3], v[4:5]
	v_add_f64 v[238:239], v[238:239], v[242:243]
	v_add_f64 v[2:3], v[60:61], -v[2:3]
	v_add_f64 v[4:5], v[58:59], -v[238:239]
	buffer_store_dword v3, off, s[0:3], 0 offset:260
	buffer_store_dword v2, off, s[0:3], 0 offset:256
	;; [unrolled: 1-line block ×4, first 2 shown]
	s_and_saveexec_b64 s[4:5], vcc
	s_cbranch_execz .LBB109_261
; %bb.260:
	v_accvgpr_read_b32 v0, a123
	buffer_load_dword v2, v0, s[0:3], 0 offen
	buffer_load_dword v3, v0, s[0:3], 0 offen offset:4
	buffer_load_dword v4, v0, s[0:3], 0 offen offset:8
	;; [unrolled: 1-line block ×3, first 2 shown]
	v_mov_b32_e32 v0, 0
	v_accvgpr_read_b32 v1, a138
	buffer_store_dword v0, off, s[0:3], 0 offset:240
	buffer_store_dword v0, off, s[0:3], 0 offset:244
	buffer_store_dword v0, off, s[0:3], 0 offset:248
	buffer_store_dword v0, off, s[0:3], 0 offset:252
	s_waitcnt vmcnt(4)
	ds_write_b128 v1, v[2:5]
.LBB109_261:
	s_or_b64 exec, exec, s[4:5]
	s_waitcnt lgkmcnt(0)
	; wave barrier
	s_waitcnt lgkmcnt(0)
	buffer_load_dword v106, off, s[0:3], 0 offset:256
	buffer_load_dword v107, off, s[0:3], 0 offset:260
	;; [unrolled: 1-line block ×49, first 2 shown]
	v_mov_b32_e32 v1, 0
	ds_read_b128 v[110:113], v1 offset:976
	ds_read_b128 v[250:253], v1 offset:992
	;; [unrolled: 1-line block ×10, first 2 shown]
	buffer_load_dword v158, off, s[0:3], 0 offset:448
	buffer_load_dword v173, off, s[0:3], 0 offset:444
	;; [unrolled: 1-line block ×69, first 2 shown]
	v_accvgpr_write_b32 a137, v254
	v_cmp_lt_u32_e32 vcc, 13, v254
	s_waitcnt vmcnt(62) lgkmcnt(9)
	v_mul_f64 v[34:35], v[110:111], v[108:109]
	v_fmac_f64_e32 v[34:35], v[112:113], v[106:107]
	v_add_f64 v[34:35], v[34:35], 0
	v_mul_f64 v[108:109], v[112:113], v[108:109]
	s_waitcnt lgkmcnt(8)
	v_mul_f64 v[36:37], v[250:251], v[116:117]
	v_fmac_f64_e32 v[36:37], v[252:253], v[114:115]
	s_waitcnt lgkmcnt(7)
	v_mul_f64 v[38:39], v[30:31], v[118:119]
	v_add_f64 v[34:35], v[34:35], v[36:37]
	s_waitcnt lgkmcnt(5)
	v_mul_f64 v[42:43], v[22:23], v[120:121]
	v_mul_f64 v[116:117], v[252:253], v[116:117]
	v_fmac_f64_e32 v[42:43], v[24:25], v[122:123]
	v_fma_f64 v[248:249], v[110:111], v[106:107], -v[108:109]
	v_mul_f64 v[40:41], v[26:27], v[124:125]
	v_fma_f64 v[250:251], v[250:251], v[114:115], -v[116:117]
	s_waitcnt lgkmcnt(3)
	v_mul_f64 v[46:47], v[14:15], v[126:127]
	v_mul_f64 v[24:25], v[24:25], v[120:121]
	v_fmac_f64_e32 v[46:47], v[16:17], v[128:129]
	v_fma_f64 v[22:23], v[22:23], v[122:123], -v[24:25]
	v_mul_f64 v[44:45], v[18:19], v[130:131]
	v_mul_f64 v[16:17], v[16:17], v[126:127]
	s_waitcnt lgkmcnt(1)
	v_mul_f64 v[50:51], v[6:7], v[132:133]
	v_fma_f64 v[14:15], v[14:15], v[128:129], -v[16:17]
	v_fmac_f64_e32 v[50:51], v[8:9], v[134:135]
	v_mul_f64 v[8:9], v[8:9], v[132:133]
	v_mul_f64 v[48:49], v[10:11], v[140:141]
	v_fma_f64 v[6:7], v[6:7], v[134:135], -v[8:9]
	s_waitcnt lgkmcnt(0)
	v_mul_f64 v[52:53], v[2:3], v[136:137]
	v_fmac_f64_e32 v[38:39], v[32:33], v[152:153]
	v_add_f64 v[34:35], v[34:35], v[38:39]
	v_fmac_f64_e32 v[40:41], v[28:29], v[150:151]
	v_add_f64 v[34:35], v[34:35], v[40:41]
	;; [unrolled: 2-line block ×3, first 2 shown]
	v_add_f64 v[34:35], v[34:35], v[44:45]
	v_fmac_f64_e32 v[48:49], v[12:13], v[146:147]
	v_add_f64 v[34:35], v[34:35], v[46:47]
	v_add_f64 v[34:35], v[34:35], v[48:49]
	v_fmac_f64_e32 v[52:53], v[4:5], v[144:145]
	v_add_f64 v[34:35], v[34:35], v[50:51]
	v_add_f64 v[42:43], v[34:35], v[52:53]
	ds_read_b128 v[38:41], v1 offset:1136
	ds_read_b128 v[34:37], v1 offset:1152
	buffer_load_dword v231, off, s[0:3], 0 offset:748
	buffer_load_dword v230, off, s[0:3], 0 offset:744
	;; [unrolled: 1-line block ×8, first 2 shown]
	ds_read_b128 v[110:113], v1 offset:1424
	ds_read_b128 v[106:109], v1 offset:1440
	s_waitcnt lgkmcnt(3)
	v_mul_f64 v[44:45], v[38:39], v[142:143]
	v_fmac_f64_e32 v[44:45], v[40:41], v[154:155]
	v_add_f64 v[46:47], v[42:43], v[44:45]
	ds_read_b128 v[42:45], v1 offset:1168
	s_waitcnt lgkmcnt(3)
	v_mul_f64 v[48:49], v[34:35], v[172:173]
	v_fmac_f64_e32 v[48:49], v[36:37], v[176:177]
	v_add_f64 v[50:51], v[46:47], v[48:49]
	;; [unrolled: 5-line block ×3, first 2 shown]
	ds_read_b128 v[50:53], v1 offset:1200
	s_waitcnt vmcnt(62) lgkmcnt(1)
	v_mul_f64 v[56:57], v[46:47], v[180:181]
	v_fmac_f64_e32 v[56:57], v[48:49], v[184:185]
	v_add_f64 v[58:59], v[54:55], v[56:57]
	ds_read_b128 v[54:57], v1 offset:1216
	s_waitcnt lgkmcnt(1)
	v_mul_f64 v[60:61], v[50:51], v[160:161]
	v_fmac_f64_e32 v[60:61], v[52:53], v[162:163]
	v_add_f64 v[62:63], v[58:59], v[60:61]
	ds_read_b128 v[58:61], v1 offset:1232
	s_waitcnt vmcnt(58) lgkmcnt(1)
	v_mul_f64 v[64:65], v[54:55], v[188:189]
	s_waitcnt vmcnt(56)
	v_fmac_f64_e32 v[64:65], v[56:57], v[194:195]
	v_add_f64 v[66:67], v[62:63], v[64:65]
	ds_read_b128 v[62:65], v1 offset:1248
	s_waitcnt lgkmcnt(1)
	v_mul_f64 v[68:69], v[58:59], v[164:165]
	v_fmac_f64_e32 v[68:69], v[60:61], v[166:167]
	v_add_f64 v[70:71], v[66:67], v[68:69]
	ds_read_b128 v[66:69], v1 offset:1264
	s_waitcnt vmcnt(50) lgkmcnt(1)
	v_mul_f64 v[72:73], v[62:63], v[198:199]
	s_waitcnt vmcnt(48)
	;; [unrolled: 11-line block ×5, first 2 shown]
	v_fmac_f64_e32 v[96:97], v[88:89], v[228:229]
	v_add_f64 v[98:99], v[94:95], v[96:97]
	ds_read_b128 v[94:97], v1 offset:1376
	s_waitcnt lgkmcnt(1)
	v_mul_f64 v[100:101], v[90:91], v[190:191]
	v_fmac_f64_e32 v[100:101], v[92:93], v[196:197]
	v_add_f64 v[192:193], v[98:99], v[100:101]
	ds_read_b128 v[98:101], v1 offset:1392
	ds_read_b128 v[102:105], v1 offset:1408
	;; [unrolled: 1-line block ×3, first 2 shown]
	buffer_load_dword v252, off, s[0:3], 0 offset:248
	buffer_load_dword v253, off, s[0:3], 0 offset:252
	s_waitcnt vmcnt(20) lgkmcnt(3)
	v_mul_f64 v[202:203], v[94:95], v[232:233]
	s_waitcnt vmcnt(18)
	v_fmac_f64_e32 v[202:203], v[96:97], v[236:237]
	v_add_f64 v[192:193], v[192:193], v[202:203]
	s_waitcnt lgkmcnt(2)
	v_mul_f64 v[202:203], v[98:99], v[200:201]
	v_fmac_f64_e32 v[202:203], v[100:101], v[212:213]
	v_add_f64 v[192:193], v[192:193], v[202:203]
	s_waitcnt vmcnt(12) lgkmcnt(1)
	v_mul_f64 v[202:203], v[102:103], v[238:239]
	s_waitcnt vmcnt(10)
	v_fmac_f64_e32 v[202:203], v[104:105], v[240:241]
	v_add_f64 v[192:193], v[192:193], v[202:203]
	v_mul_f64 v[202:203], v[110:111], v[216:217]
	v_fmac_f64_e32 v[202:203], v[112:113], v[220:221]
	v_add_f64 v[192:193], v[192:193], v[202:203]
	s_waitcnt vmcnt(4)
	v_mul_f64 v[202:203], v[106:107], v[242:243]
	v_mul_f64 v[32:33], v[32:33], v[118:119]
	s_waitcnt vmcnt(2)
	v_fmac_f64_e32 v[202:203], v[108:109], v[244:245]
	v_add_f64 v[192:193], v[192:193], v[202:203]
	s_waitcnt lgkmcnt(0)
	v_mul_f64 v[202:203], v[114:115], v[230:231]
	v_fmac_f64_e32 v[202:203], v[116:117], v[234:235]
	v_add_f64 v[246:247], v[192:193], v[202:203]
	v_add_f64 v[192:193], v[248:249], 0
	;; [unrolled: 1-line block ×3, first 2 shown]
	v_fma_f64 v[30:31], v[30:31], v[152:153], -v[32:33]
	v_mul_f64 v[28:29], v[28:29], v[124:125]
	v_add_f64 v[30:31], v[192:193], v[30:31]
	v_fma_f64 v[26:27], v[26:27], v[150:151], -v[28:29]
	v_add_f64 v[26:27], v[30:31], v[26:27]
	v_mul_f64 v[20:21], v[20:21], v[130:131]
	v_add_f64 v[22:23], v[26:27], v[22:23]
	v_fma_f64 v[18:19], v[18:19], v[148:149], -v[20:21]
	v_add_f64 v[18:19], v[22:23], v[18:19]
	;; [unrolled: 4-line block ×3, first 2 shown]
	v_mul_f64 v[4:5], v[4:5], v[136:137]
	v_add_f64 v[6:7], v[10:11], v[6:7]
	v_fma_f64 v[2:3], v[2:3], v[144:145], -v[4:5]
	v_mul_f64 v[4:5], v[40:41], v[142:143]
	v_add_f64 v[2:3], v[6:7], v[2:3]
	v_fma_f64 v[4:5], v[38:39], v[154:155], -v[4:5]
	v_add_f64 v[2:3], v[2:3], v[4:5]
	v_mul_f64 v[4:5], v[36:37], v[172:173]
	v_fma_f64 v[4:5], v[34:35], v[176:177], -v[4:5]
	v_add_f64 v[2:3], v[2:3], v[4:5]
	v_mul_f64 v[4:5], v[44:45], v[156:157]
	v_fma_f64 v[4:5], v[42:43], v[158:159], -v[4:5]
	v_add_f64 v[2:3], v[2:3], v[4:5]
	v_mul_f64 v[4:5], v[48:49], v[180:181]
	v_fma_f64 v[4:5], v[46:47], v[184:185], -v[4:5]
	v_add_f64 v[2:3], v[2:3], v[4:5]
	v_mul_f64 v[4:5], v[52:53], v[160:161]
	v_fma_f64 v[4:5], v[50:51], v[162:163], -v[4:5]
	v_add_f64 v[2:3], v[2:3], v[4:5]
	v_mul_f64 v[4:5], v[56:57], v[188:189]
	v_fma_f64 v[4:5], v[54:55], v[194:195], -v[4:5]
	v_add_f64 v[2:3], v[2:3], v[4:5]
	v_mul_f64 v[4:5], v[60:61], v[164:165]
	v_fma_f64 v[4:5], v[58:59], v[166:167], -v[4:5]
	v_add_f64 v[2:3], v[2:3], v[4:5]
	v_mul_f64 v[4:5], v[64:65], v[198:199]
	v_fma_f64 v[4:5], v[62:63], v[210:211], -v[4:5]
	v_add_f64 v[2:3], v[2:3], v[4:5]
	v_mul_f64 v[4:5], v[68:69], v[168:169]
	v_fma_f64 v[4:5], v[66:67], v[170:171], -v[4:5]
	v_add_f64 v[2:3], v[2:3], v[4:5]
	v_mul_f64 v[4:5], v[72:73], v[214:215]
	v_fma_f64 v[4:5], v[70:71], v[218:219], -v[4:5]
	v_add_f64 v[2:3], v[2:3], v[4:5]
	v_mul_f64 v[4:5], v[76:77], v[174:175]
	v_fma_f64 v[4:5], v[74:75], v[178:179], -v[4:5]
	v_add_f64 v[2:3], v[2:3], v[4:5]
	v_mul_f64 v[4:5], v[80:81], v[222:223]
	v_fma_f64 v[4:5], v[78:79], v[224:225], -v[4:5]
	v_add_f64 v[2:3], v[2:3], v[4:5]
	v_mul_f64 v[4:5], v[84:85], v[182:183]
	v_fma_f64 v[4:5], v[82:83], v[186:187], -v[4:5]
	v_add_f64 v[2:3], v[2:3], v[4:5]
	v_mul_f64 v[4:5], v[88:89], v[226:227]
	v_fma_f64 v[4:5], v[86:87], v[228:229], -v[4:5]
	v_add_f64 v[2:3], v[2:3], v[4:5]
	v_mul_f64 v[4:5], v[92:93], v[190:191]
	v_fma_f64 v[4:5], v[90:91], v[196:197], -v[4:5]
	v_add_f64 v[2:3], v[2:3], v[4:5]
	v_mul_f64 v[4:5], v[96:97], v[232:233]
	v_fma_f64 v[4:5], v[94:95], v[236:237], -v[4:5]
	v_add_f64 v[2:3], v[2:3], v[4:5]
	v_mul_f64 v[4:5], v[100:101], v[200:201]
	v_fma_f64 v[4:5], v[98:99], v[212:213], -v[4:5]
	v_add_f64 v[2:3], v[2:3], v[4:5]
	v_mul_f64 v[4:5], v[104:105], v[238:239]
	v_fma_f64 v[4:5], v[102:103], v[240:241], -v[4:5]
	v_add_f64 v[2:3], v[2:3], v[4:5]
	v_mul_f64 v[4:5], v[112:113], v[216:217]
	v_fma_f64 v[4:5], v[110:111], v[220:221], -v[4:5]
	v_add_f64 v[2:3], v[2:3], v[4:5]
	v_mul_f64 v[4:5], v[108:109], v[242:243]
	v_fma_f64 v[4:5], v[106:107], v[244:245], -v[4:5]
	v_add_f64 v[2:3], v[2:3], v[4:5]
	v_mul_f64 v[4:5], v[116:117], v[230:231]
	v_fma_f64 v[4:5], v[114:115], v[234:235], -v[4:5]
	v_add_f64 v[2:3], v[2:3], v[4:5]
	v_add_f64 v[2:3], v[138:139], -v[2:3]
	s_waitcnt vmcnt(0)
	v_add_f64 v[4:5], v[252:253], -v[246:247]
	buffer_store_dword v3, off, s[0:3], 0 offset:244
	buffer_store_dword v2, off, s[0:3], 0 offset:240
	;; [unrolled: 1-line block ×4, first 2 shown]
	s_and_saveexec_b64 s[4:5], vcc
	s_cbranch_execz .LBB109_263
; %bb.262:
	v_accvgpr_read_b32 v0, a124
	buffer_load_dword v2, v0, s[0:3], 0 offen
	buffer_load_dword v3, v0, s[0:3], 0 offen offset:4
	buffer_load_dword v4, v0, s[0:3], 0 offen offset:8
	;; [unrolled: 1-line block ×3, first 2 shown]
	v_accvgpr_read_b32 v0, a138
	buffer_store_dword v1, off, s[0:3], 0 offset:224
	buffer_store_dword v1, off, s[0:3], 0 offset:228
	;; [unrolled: 1-line block ×4, first 2 shown]
	s_waitcnt vmcnt(4)
	ds_write_b128 v0, v[2:5]
.LBB109_263:
	s_or_b64 exec, exec, s[4:5]
	s_waitcnt lgkmcnt(0)
	; wave barrier
	s_waitcnt lgkmcnt(0)
	buffer_load_dword v112, off, s[0:3], 0 offset:240
	buffer_load_dword v113, off, s[0:3], 0 offset:244
	;; [unrolled: 1-line block ×36, first 2 shown]
	ds_read_b128 v[102:105], v1 offset:960
	ds_read_b128 v[106:109], v1 offset:976
	;; [unrolled: 1-line block ×9, first 2 shown]
	buffer_load_dword v143, off, s[0:3], 0 offset:412
	buffer_load_dword v142, off, s[0:3], 0 offset:408
	;; [unrolled: 1-line block ×78, first 2 shown]
	v_accvgpr_read_b32 v208, a137
	v_cmp_lt_u32_e32 vcc, 12, v208
	s_waitcnt vmcnt(62) lgkmcnt(8)
	v_mul_f64 v[26:27], v[102:103], v[246:247]
	v_fmac_f64_e32 v[26:27], v[104:105], v[112:113]
	v_add_f64 v[26:27], v[26:27], 0
	v_mul_f64 v[104:105], v[104:105], v[246:247]
	s_waitcnt lgkmcnt(7)
	v_mul_f64 v[28:29], v[106:107], v[248:249]
	v_fmac_f64_e32 v[28:29], v[108:109], v[110:111]
	s_waitcnt lgkmcnt(6)
	v_mul_f64 v[30:31], v[114:115], v[244:245]
	v_add_f64 v[26:27], v[26:27], v[28:29]
	s_waitcnt lgkmcnt(4)
	v_mul_f64 v[34:35], v[18:19], v[118:119]
	v_fma_f64 v[246:247], v[102:103], v[112:113], -v[104:105]
	v_fmac_f64_e32 v[34:35], v[20:21], v[120:121]
	v_mul_f64 v[108:109], v[108:109], v[248:249]
	v_mul_f64 v[32:33], v[22:23], v[122:123]
	v_fma_f64 v[248:249], v[106:107], v[110:111], -v[108:109]
	s_waitcnt lgkmcnt(2)
	v_mul_f64 v[38:39], v[10:11], v[124:125]
	v_mul_f64 v[20:21], v[20:21], v[118:119]
	v_fmac_f64_e32 v[38:39], v[12:13], v[126:127]
	v_fma_f64 v[18:19], v[18:19], v[120:121], -v[20:21]
	v_mul_f64 v[36:37], v[14:15], v[130:131]
	v_mul_f64 v[12:13], v[12:13], v[124:125]
	s_waitcnt lgkmcnt(1)
	v_mul_f64 v[40:41], v[6:7], v[128:129]
	v_fma_f64 v[10:11], v[10:11], v[126:127], -v[12:13]
	v_fmac_f64_e32 v[30:31], v[116:117], v[250:251]
	v_add_f64 v[26:27], v[26:27], v[30:31]
	v_fmac_f64_e32 v[32:33], v[24:25], v[138:139]
	v_add_f64 v[26:27], v[26:27], v[32:33]
	;; [unrolled: 2-line block ×3, first 2 shown]
	v_add_f64 v[26:27], v[26:27], v[36:37]
	v_fmac_f64_e32 v[40:41], v[8:9], v[134:135]
	v_add_f64 v[30:31], v[26:27], v[38:39]
	v_add_f64 v[30:31], v[30:31], v[40:41]
	s_waitcnt lgkmcnt(0)
	v_mul_f64 v[32:33], v[2:3], v[132:133]
	v_fmac_f64_e32 v[32:33], v[4:5], v[140:141]
	ds_read_b128 v[26:29], v1 offset:1104
	v_add_f64 v[34:35], v[30:31], v[32:33]
	ds_read_b128 v[30:33], v1 offset:1120
	buffer_load_dword v231, off, s[0:3], 0 offset:676
	buffer_load_dword v230, off, s[0:3], 0 offset:672
	v_mul_f64 v[116:117], v[116:117], v[244:245]
	s_waitcnt lgkmcnt(1)
	v_mul_f64 v[36:37], v[26:27], v[146:147]
	v_fmac_f64_e32 v[36:37], v[28:29], v[148:149]
	v_add_f64 v[38:39], v[34:35], v[36:37]
	ds_read_b128 v[34:37], v1 offset:1136
	s_waitcnt lgkmcnt(1)
	v_mul_f64 v[40:41], v[30:31], v[142:143]
	v_fmac_f64_e32 v[40:41], v[32:33], v[144:145]
	v_add_f64 v[42:43], v[38:39], v[40:41]
	ds_read_b128 v[38:41], v1 offset:1152
	;; [unrolled: 5-line block ×4, first 2 shown]
	buffer_load_dword v233, off, s[0:3], 0 offset:732
	buffer_load_dword v235, off, s[0:3], 0 offset:716
	;; [unrolled: 1-line block ×12, first 2 shown]
	s_waitcnt vmcnt(62) lgkmcnt(1)
	v_mul_f64 v[52:53], v[42:43], v[174:175]
	v_fmac_f64_e32 v[52:53], v[44:45], v[178:179]
	v_add_f64 v[54:55], v[50:51], v[52:53]
	ds_read_b128 v[50:53], v1 offset:1200
	s_waitcnt lgkmcnt(1)
	v_mul_f64 v[56:57], v[46:47], v[154:155]
	v_fmac_f64_e32 v[56:57], v[48:49], v[156:157]
	v_add_f64 v[58:59], v[54:55], v[56:57]
	ds_read_b128 v[54:57], v1 offset:1216
	s_waitcnt lgkmcnt(1)
	v_mul_f64 v[60:61], v[50:51], v[182:183]
	s_waitcnt vmcnt(60)
	v_fmac_f64_e32 v[60:61], v[52:53], v[186:187]
	v_add_f64 v[62:63], v[58:59], v[60:61]
	ds_read_b128 v[58:61], v1 offset:1232
	s_waitcnt lgkmcnt(1)
	v_mul_f64 v[64:65], v[54:55], v[162:163]
	v_fmac_f64_e32 v[64:65], v[56:57], v[164:165]
	v_add_f64 v[66:67], v[62:63], v[64:65]
	ds_read_b128 v[62:65], v1 offset:1248
	s_waitcnt vmcnt(54) lgkmcnt(1)
	v_mul_f64 v[68:69], v[58:59], v[190:191]
	s_waitcnt vmcnt(52)
	v_fmac_f64_e32 v[68:69], v[60:61], v[196:197]
	v_add_f64 v[70:71], v[66:67], v[68:69]
	ds_read_b128 v[66:69], v1 offset:1264
	s_waitcnt lgkmcnt(1)
	v_mul_f64 v[72:73], v[62:63], v[166:167]
	v_fmac_f64_e32 v[72:73], v[64:65], v[168:169]
	v_add_f64 v[74:75], v[70:71], v[72:73]
	ds_read_b128 v[70:73], v1 offset:1280
	s_waitcnt vmcnt(46) lgkmcnt(1)
	;; [unrolled: 11-line block ×4, first 2 shown]
	v_mul_f64 v[92:93], v[82:83], v[220:221]
	s_waitcnt vmcnt(28)
	v_fmac_f64_e32 v[92:93], v[84:85], v[222:223]
	v_add_f64 v[98:99], v[90:91], v[92:93]
	ds_read_b128 v[90:93], v1 offset:1360
	ds_read_b128 v[94:97], v1 offset:1376
	s_waitcnt lgkmcnt(2)
	v_mul_f64 v[100:101], v[86:87], v[184:185]
	v_fmac_f64_e32 v[100:101], v[88:89], v[188:189]
	v_add_f64 v[98:99], v[98:99], v[100:101]
	s_waitcnt vmcnt(22) lgkmcnt(1)
	v_mul_f64 v[100:101], v[90:91], v[224:225]
	s_waitcnt vmcnt(20)
	v_fmac_f64_e32 v[100:101], v[92:93], v[226:227]
	v_add_f64 v[98:99], v[98:99], v[100:101]
	s_waitcnt lgkmcnt(0)
	v_mul_f64 v[100:101], v[94:95], v[194:195]
	v_fmac_f64_e32 v[100:101], v[96:97], v[198:199]
	v_add_f64 v[192:193], v[98:99], v[100:101]
	ds_read_b128 v[98:101], v1 offset:1392
	ds_read_b128 v[102:105], v1 offset:1408
	;; [unrolled: 1-line block ×3, first 2 shown]
	v_fma_f64 v[250:251], v[114:115], v[250:251], -v[116:117]
	ds_read_b128 v[114:117], v1 offset:1456
	s_waitcnt vmcnt(14) lgkmcnt(3)
	v_mul_f64 v[112:113], v[98:99], v[228:229]
	s_waitcnt lgkmcnt(2)
	v_mul_f64 v[110:111], v[102:103], v[210:211]
	s_waitcnt vmcnt(12)
	v_fmac_f64_e32 v[112:113], v[100:101], v[230:231]
	v_add_f64 v[112:113], v[192:193], v[112:113]
	v_fmac_f64_e32 v[110:111], v[104:105], v[214:215]
	v_add_f64 v[192:193], v[112:113], v[110:111]
	ds_read_b128 v[110:113], v1 offset:1440
	buffer_load_dword v254, off, s[0:3], 0 offset:224
	buffer_load_dword v255, off, s[0:3], 0 offset:228
	;; [unrolled: 1-line block ×4, first 2 shown]
	v_mul_f64 v[24:25], v[24:25], v[122:123]
	v_fma_f64 v[22:23], v[22:23], v[138:139], -v[24:25]
	v_mul_f64 v[16:17], v[16:17], v[130:131]
	s_waitcnt vmcnt(13) lgkmcnt(2)
	v_mul_f64 v[202:203], v[106:107], v[234:235]
	v_fma_f64 v[14:15], v[14:15], v[136:137], -v[16:17]
	s_waitcnt vmcnt(11)
	v_fmac_f64_e32 v[202:203], v[108:109], v[240:241]
	v_add_f64 v[192:193], v[192:193], v[202:203]
	s_waitcnt vmcnt(10) lgkmcnt(0)
	v_mul_f64 v[202:203], v[110:111], v[232:233]
	s_waitcnt vmcnt(8)
	v_fmac_f64_e32 v[202:203], v[112:113], v[238:239]
	v_add_f64 v[192:193], v[192:193], v[202:203]
	s_waitcnt vmcnt(6)
	v_mul_f64 v[202:203], v[114:115], v[236:237]
	v_mul_f64 v[8:9], v[8:9], v[128:129]
	s_waitcnt vmcnt(4)
	v_fmac_f64_e32 v[202:203], v[116:117], v[242:243]
	v_add_f64 v[244:245], v[192:193], v[202:203]
	v_add_f64 v[192:193], v[246:247], 0
	;; [unrolled: 1-line block ×8, first 2 shown]
	v_fma_f64 v[6:7], v[6:7], v[134:135], -v[8:9]
	v_mul_f64 v[4:5], v[4:5], v[132:133]
	v_add_f64 v[6:7], v[10:11], v[6:7]
	v_fma_f64 v[2:3], v[2:3], v[140:141], -v[4:5]
	v_mul_f64 v[4:5], v[28:29], v[146:147]
	v_add_f64 v[2:3], v[6:7], v[2:3]
	v_fma_f64 v[4:5], v[26:27], v[148:149], -v[4:5]
	v_add_f64 v[2:3], v[2:3], v[4:5]
	v_mul_f64 v[4:5], v[32:33], v[142:143]
	v_fma_f64 v[4:5], v[30:31], v[144:145], -v[4:5]
	v_add_f64 v[2:3], v[2:3], v[4:5]
	v_mul_f64 v[4:5], v[36:37], v[158:159]
	;; [unrolled: 3-line block ×22, first 2 shown]
	v_fma_f64 v[4:5], v[114:115], v[242:243], -v[4:5]
	v_add_f64 v[2:3], v[2:3], v[4:5]
	s_waitcnt vmcnt(2)
	v_add_f64 v[2:3], v[254:255], -v[2:3]
	s_waitcnt vmcnt(0)
	v_add_f64 v[4:5], v[252:253], -v[244:245]
	buffer_store_dword v3, off, s[0:3], 0 offset:228
	buffer_store_dword v2, off, s[0:3], 0 offset:224
	;; [unrolled: 1-line block ×4, first 2 shown]
	s_and_saveexec_b64 s[4:5], vcc
	s_cbranch_execz .LBB109_265
; %bb.264:
	v_accvgpr_read_b32 v0, a125
	buffer_load_dword v2, v0, s[0:3], 0 offen
	buffer_load_dword v3, v0, s[0:3], 0 offen offset:4
	buffer_load_dword v4, v0, s[0:3], 0 offen offset:8
	;; [unrolled: 1-line block ×3, first 2 shown]
	v_mov_b32_e32 v0, 0
	v_accvgpr_read_b32 v1, a138
	buffer_store_dword v0, off, s[0:3], 0 offset:208
	buffer_store_dword v0, off, s[0:3], 0 offset:212
	;; [unrolled: 1-line block ×4, first 2 shown]
	s_waitcnt vmcnt(4)
	ds_write_b128 v1, v[2:5]
.LBB109_265:
	s_or_b64 exec, exec, s[4:5]
	s_waitcnt lgkmcnt(0)
	; wave barrier
	s_waitcnt lgkmcnt(0)
	buffer_load_dword v94, off, s[0:3], 0 offset:224
	buffer_load_dword v95, off, s[0:3], 0 offset:228
	;; [unrolled: 1-line block ×52, first 2 shown]
	v_mov_b32_e32 v1, 0
	ds_read_b128 v[102:105], v1 offset:944
	ds_read_b128 v[114:117], v1 offset:960
	;; [unrolled: 1-line block ×10, first 2 shown]
	v_cmp_lt_u32_e32 vcc, 11, v208
	s_waitcnt vmcnt(48) lgkmcnt(9)
	v_mul_f64 v[26:27], v[102:103], v[96:97]
	v_fmac_f64_e32 v[26:27], v[104:105], v[94:95]
	v_add_f64 v[26:27], v[26:27], 0
	v_mul_f64 v[96:97], v[104:105], v[96:97]
	s_waitcnt vmcnt(44) lgkmcnt(8)
	v_mul_f64 v[28:29], v[114:115], v[100:101]
	v_fmac_f64_e32 v[28:29], v[116:117], v[98:99]
	s_waitcnt vmcnt(42) lgkmcnt(7)
	v_mul_f64 v[30:31], v[244:245], v[106:107]
	v_add_f64 v[26:27], v[26:27], v[28:29]
	s_waitcnt vmcnt(40) lgkmcnt(5)
	v_mul_f64 v[34:35], v[22:23], v[120:121]
	v_fma_f64 v[202:203], v[102:103], v[94:95], -v[96:97]
	s_waitcnt vmcnt(38)
	v_fmac_f64_e32 v[34:35], v[24:25], v[124:125]
	v_mul_f64 v[100:101], v[116:117], v[100:101]
	s_waitcnt vmcnt(36)
	v_mul_f64 v[32:33], v[250:251], v[110:111]
	v_fma_f64 v[204:205], v[114:115], v[98:99], -v[100:101]
	s_waitcnt vmcnt(34) lgkmcnt(3)
	v_mul_f64 v[38:39], v[14:15], v[118:119]
	v_mul_f64 v[106:107], v[246:247], v[106:107]
	s_waitcnt vmcnt(32)
	v_fmac_f64_e32 v[38:39], v[16:17], v[122:123]
	v_mul_f64 v[110:111], v[252:253], v[110:111]
	s_waitcnt vmcnt(30)
	v_mul_f64 v[36:37], v[18:19], v[130:131]
	v_mul_f64 v[24:25], v[24:25], v[120:121]
	v_fma_f64 v[22:23], v[22:23], v[124:125], -v[24:25]
	s_waitcnt vmcnt(27) lgkmcnt(2)
	v_mul_f64 v[40:41], v[10:11], v[128:129]
	s_waitcnt vmcnt(26) lgkmcnt(1)
	v_mul_f64 v[42:43], v[6:7], v[126:127]
	v_mul_f64 v[16:17], v[16:17], v[118:119]
	s_waitcnt vmcnt(24)
	v_fmac_f64_e32 v[30:31], v[246:247], v[108:109]
	v_add_f64 v[26:27], v[26:27], v[30:31]
	s_waitcnt vmcnt(22)
	v_fmac_f64_e32 v[32:33], v[252:253], v[112:113]
	v_add_f64 v[26:27], v[26:27], v[32:33]
	;; [unrolled: 3-line block ×3, first 2 shown]
	v_add_f64 v[26:27], v[26:27], v[36:37]
	s_waitcnt vmcnt(18)
	v_fmac_f64_e32 v[40:41], v[12:13], v[132:133]
	v_add_f64 v[26:27], v[26:27], v[38:39]
	v_add_f64 v[26:27], v[26:27], v[40:41]
	s_waitcnt vmcnt(16)
	v_fmac_f64_e32 v[42:43], v[8:9], v[138:139]
	v_add_f64 v[34:35], v[26:27], v[42:43]
	ds_read_b128 v[26:29], v1 offset:1104
	ds_read_b128 v[30:33], v1 offset:1120
	buffer_load_dword v155, off, s[0:3], 0 offset:460
	buffer_load_dword v154, off, s[0:3], 0 offset:456
	;; [unrolled: 1-line block ×56, first 2 shown]
	s_waitcnt vmcnt(62) lgkmcnt(2)
	v_mul_f64 v[36:37], v[2:3], v[142:143]
	v_fmac_f64_e32 v[36:37], v[4:5], v[144:145]
	v_add_f64 v[34:35], v[34:35], v[36:37]
	s_waitcnt lgkmcnt(1)
	v_mul_f64 v[36:37], v[26:27], v[136:137]
	v_fmac_f64_e32 v[36:37], v[28:29], v[140:141]
	v_add_f64 v[34:35], v[34:35], v[36:37]
	s_waitcnt lgkmcnt(0)
	v_mul_f64 v[36:37], v[30:31], v[146:147]
	s_waitcnt vmcnt(60)
	v_fmac_f64_e32 v[36:37], v[32:33], v[150:151]
	v_add_f64 v[42:43], v[34:35], v[36:37]
	ds_read_b128 v[34:37], v1 offset:1136
	buffer_load_dword v201, off, s[0:3], 0 offset:684
	buffer_load_dword v200, off, s[0:3], 0 offset:680
	;; [unrolled: 1-line block ×16, first 2 shown]
	ds_read_b128 v[38:41], v1 offset:1152
	buffer_load_dword v231, off, s[0:3], 0 offset:748
	buffer_load_dword v230, off, s[0:3], 0 offset:744
	;; [unrolled: 1-line block ×8, first 2 shown]
	ds_read_b128 v[98:101], v1 offset:1392
	s_waitcnt vmcnt(62) lgkmcnt(2)
	v_mul_f64 v[44:45], v[34:35], v[148:149]
	v_fmac_f64_e32 v[44:45], v[36:37], v[152:153]
	v_add_f64 v[46:47], v[42:43], v[44:45]
	ds_read_b128 v[42:45], v1 offset:1168
	v_fma_f64 v[248:249], v[244:245], v[108:109], -v[106:107]
	ds_read_b128 v[106:109], v1 offset:1424
	v_fma_f64 v[246:247], v[250:251], v[112:113], -v[110:111]
	v_mul_f64 v[20:21], v[20:21], v[130:131]
	v_fma_f64 v[18:19], v[18:19], v[134:135], -v[20:21]
	v_fma_f64 v[14:15], v[14:15], v[122:123], -v[16:17]
	v_mul_f64 v[12:13], v[12:13], v[128:129]
	v_fma_f64 v[10:11], v[10:11], v[132:133], -v[12:13]
	v_mul_f64 v[8:9], v[8:9], v[126:127]
	;; [unrolled: 2-line block ×3, first 2 shown]
	s_waitcnt lgkmcnt(3)
	v_mul_f64 v[48:49], v[38:39], v[170:171]
	v_fma_f64 v[2:3], v[2:3], v[144:145], -v[4:5]
	v_fmac_f64_e32 v[48:49], v[40:41], v[174:175]
	v_add_f64 v[50:51], v[46:47], v[48:49]
	ds_read_b128 v[46:49], v1 offset:1184
	s_waitcnt lgkmcnt(2)
	v_mul_f64 v[52:53], v[42:43], v[154:155]
	v_fmac_f64_e32 v[52:53], v[44:45], v[156:157]
	v_add_f64 v[54:55], v[50:51], v[52:53]
	ds_read_b128 v[50:53], v1 offset:1200
	s_waitcnt lgkmcnt(1)
	v_mul_f64 v[56:57], v[46:47], v[178:179]
	;; [unrolled: 5-line block ×3, first 2 shown]
	v_fmac_f64_e32 v[60:61], v[52:53], v[160:161]
	v_add_f64 v[62:63], v[58:59], v[60:61]
	ds_read_b128 v[58:61], v1 offset:1232
	s_waitcnt vmcnt(58) lgkmcnt(1)
	v_mul_f64 v[64:65], v[54:55], v[186:187]
	s_waitcnt vmcnt(56)
	v_fmac_f64_e32 v[64:65], v[56:57], v[190:191]
	v_add_f64 v[66:67], v[62:63], v[64:65]
	ds_read_b128 v[62:65], v1 offset:1248
	s_waitcnt lgkmcnt(1)
	v_mul_f64 v[68:69], v[58:59], v[162:163]
	v_fmac_f64_e32 v[68:69], v[60:61], v[164:165]
	v_add_f64 v[70:71], v[66:67], v[68:69]
	ds_read_b128 v[66:69], v1 offset:1264
	s_waitcnt vmcnt(50) lgkmcnt(1)
	v_mul_f64 v[72:73], v[62:63], v[196:197]
	s_waitcnt vmcnt(48)
	v_fmac_f64_e32 v[72:73], v[64:65], v[198:199]
	v_add_f64 v[74:75], v[70:71], v[72:73]
	ds_read_b128 v[70:73], v1 offset:1280
	s_waitcnt lgkmcnt(1)
	v_mul_f64 v[76:77], v[66:67], v[166:167]
	;; [unrolled: 11-line block ×3, first 2 shown]
	v_fmac_f64_e32 v[84:85], v[76:77], v[176:177]
	v_add_f64 v[90:91], v[82:83], v[84:85]
	ds_read_b128 v[82:85], v1 offset:1328
	ds_read_b128 v[86:89], v1 offset:1344
	s_waitcnt vmcnt(34) lgkmcnt(2)
	v_mul_f64 v[92:93], v[78:79], v[218:219]
	s_waitcnt vmcnt(32)
	v_fmac_f64_e32 v[92:93], v[80:81], v[224:225]
	v_add_f64 v[90:91], v[90:91], v[92:93]
	s_waitcnt lgkmcnt(1)
	v_mul_f64 v[92:93], v[82:83], v[180:181]
	v_fmac_f64_e32 v[92:93], v[84:85], v[184:185]
	v_add_f64 v[90:91], v[90:91], v[92:93]
	s_waitcnt vmcnt(27) lgkmcnt(0)
	v_mul_f64 v[92:93], v[86:87], v[222:223]
	s_waitcnt vmcnt(25)
	v_fmac_f64_e32 v[92:93], v[88:89], v[226:227]
	v_add_f64 v[192:193], v[90:91], v[92:93]
	ds_read_b128 v[90:93], v1 offset:1360
	ds_read_b128 v[94:97], v1 offset:1376
	;; [unrolled: 1-line block ×3, first 2 shown]
	v_mul_f64 v[4:5], v[28:29], v[136:137]
	v_fma_f64 v[4:5], v[26:27], v[140:141], -v[4:5]
	s_waitcnt lgkmcnt(2)
	v_mul_f64 v[102:103], v[90:91], v[188:189]
	s_waitcnt vmcnt(24)
	v_fmac_f64_e32 v[102:103], v[92:93], v[194:195]
	s_waitcnt vmcnt(18) lgkmcnt(1)
	v_mul_f64 v[104:105], v[94:95], v[228:229]
	v_add_f64 v[102:103], v[192:193], v[102:103]
	s_waitcnt vmcnt(16)
	v_fmac_f64_e32 v[104:105], v[96:97], v[232:233]
	v_add_f64 v[102:103], v[102:103], v[104:105]
	v_mul_f64 v[104:105], v[98:99], v[200:201]
	v_fmac_f64_e32 v[104:105], v[100:101], v[212:213]
	v_add_f64 v[114:115], v[102:103], v[104:105]
	ds_read_b128 v[102:105], v1 offset:1408
	s_waitcnt vmcnt(10) lgkmcnt(0)
	v_mul_f64 v[116:117], v[102:103], v[236:237]
	s_waitcnt vmcnt(8)
	v_fmac_f64_e32 v[116:117], v[104:105], v[238:239]
	v_add_f64 v[114:115], v[114:115], v[116:117]
	v_mul_f64 v[116:117], v[106:107], v[216:217]
	v_fmac_f64_e32 v[116:117], v[108:109], v[220:221]
	v_add_f64 v[114:115], v[114:115], v[116:117]
	s_waitcnt vmcnt(2)
	v_mul_f64 v[116:117], v[110:111], v[240:241]
	s_waitcnt vmcnt(0)
	v_fmac_f64_e32 v[116:117], v[112:113], v[242:243]
	v_add_f64 v[192:193], v[114:115], v[116:117]
	ds_read_b128 v[114:117], v1 offset:1456
	buffer_load_dword v252, off, s[0:3], 0 offset:208
	buffer_load_dword v253, off, s[0:3], 0 offset:212
	s_waitcnt lgkmcnt(0)
	v_mul_f64 v[206:207], v[114:115], v[230:231]
	v_fmac_f64_e32 v[206:207], v[116:117], v[234:235]
	v_add_f64 v[244:245], v[192:193], v[206:207]
	v_add_f64 v[192:193], v[202:203], 0
	;; [unrolled: 1-line block ×4, first 2 shown]
	buffer_load_dword v248, off, s[0:3], 0 offset:216
	buffer_load_dword v249, off, s[0:3], 0 offset:220
	v_add_f64 v[192:193], v[192:193], v[246:247]
	v_add_f64 v[22:23], v[192:193], v[22:23]
	;; [unrolled: 1-line block ×8, first 2 shown]
	v_mul_f64 v[4:5], v[32:33], v[146:147]
	v_fma_f64 v[4:5], v[30:31], v[150:151], -v[4:5]
	v_add_f64 v[2:3], v[2:3], v[4:5]
	v_mul_f64 v[4:5], v[36:37], v[148:149]
	v_fma_f64 v[4:5], v[34:35], v[152:153], -v[4:5]
	v_add_f64 v[2:3], v[2:3], v[4:5]
	;; [unrolled: 3-line block ×22, first 2 shown]
	s_waitcnt vmcnt(2)
	v_add_f64 v[2:3], v[252:253], -v[2:3]
	s_waitcnt vmcnt(0)
	v_add_f64 v[4:5], v[248:249], -v[244:245]
	buffer_store_dword v3, off, s[0:3], 0 offset:212
	buffer_store_dword v2, off, s[0:3], 0 offset:208
	buffer_store_dword v5, off, s[0:3], 0 offset:220
	buffer_store_dword v4, off, s[0:3], 0 offset:216
	s_and_saveexec_b64 s[4:5], vcc
	s_cbranch_execz .LBB109_267
; %bb.266:
	v_accvgpr_read_b32 v0, a126
	buffer_load_dword v2, v0, s[0:3], 0 offen
	buffer_load_dword v3, v0, s[0:3], 0 offen offset:4
	buffer_load_dword v4, v0, s[0:3], 0 offen offset:8
	;; [unrolled: 1-line block ×3, first 2 shown]
	v_accvgpr_read_b32 v0, a138
	buffer_store_dword v1, off, s[0:3], 0 offset:192
	buffer_store_dword v1, off, s[0:3], 0 offset:196
	;; [unrolled: 1-line block ×4, first 2 shown]
	s_waitcnt vmcnt(4)
	ds_write_b128 v0, v[2:5]
.LBB109_267:
	s_or_b64 exec, exec, s[4:5]
	s_waitcnt lgkmcnt(0)
	; wave barrier
	s_waitcnt lgkmcnt(0)
	buffer_load_dword v86, off, s[0:3], 0 offset:208
	buffer_load_dword v87, off, s[0:3], 0 offset:212
	;; [unrolled: 1-line block ×42, first 2 shown]
	ds_read_b128 v[94:97], v1 offset:928
	ds_read_b128 v[106:109], v1 offset:944
	ds_read_b128 v[114:117], v1 offset:960
	ds_read_b128 v[244:247], v1 offset:976
	ds_read_b128 v[248:251], v1 offset:992
	ds_read_b128 v[22:25], v1 offset:1008
	ds_read_b128 v[18:21], v1 offset:1024
	ds_read_b128 v[14:17], v1 offset:1040
	ds_read_b128 v[10:13], v1 offset:1056
	ds_read_b128 v[2:5], v1 offset:1072
	buffer_load_dword v145, off, s[0:3], 0 offset:356
	buffer_load_dword v144, off, s[0:3], 0 offset:352
	ds_read_b128 v[6:9], v1 offset:1088
	buffer_load_dword v141, off, s[0:3], 0 offset:412
	buffer_load_dword v140, off, s[0:3], 0 offset:408
	;; [unrolled: 1-line block ×80, first 2 shown]
	s_waitcnt vmcnt(62) lgkmcnt(10)
	v_mul_f64 v[26:27], v[94:95], v[88:89]
	v_fmac_f64_e32 v[26:27], v[96:97], v[86:87]
	v_add_f64 v[26:27], v[26:27], 0
	v_mul_f64 v[88:89], v[96:97], v[88:89]
	s_waitcnt lgkmcnt(9)
	v_mul_f64 v[28:29], v[106:107], v[92:93]
	v_fmac_f64_e32 v[28:29], v[108:109], v[90:91]
	s_waitcnt lgkmcnt(8)
	v_mul_f64 v[30:31], v[114:115], v[98:99]
	v_add_f64 v[26:27], v[26:27], v[28:29]
	s_waitcnt lgkmcnt(6)
	v_mul_f64 v[34:35], v[248:249], v[110:111]
	v_fma_f64 v[202:203], v[94:95], v[86:87], -v[88:89]
	v_fmac_f64_e32 v[34:35], v[250:251], v[112:113]
	v_mul_f64 v[92:93], v[108:109], v[92:93]
	v_mul_f64 v[32:33], v[244:245], v[102:103]
	;; [unrolled: 1-line block ×3, first 2 shown]
	s_waitcnt lgkmcnt(4)
	v_mul_f64 v[38:39], v[18:19], v[118:119]
	v_mul_f64 v[102:103], v[246:247], v[102:103]
	v_fmac_f64_e32 v[38:39], v[20:21], v[120:121]
	v_mul_f64 v[110:111], v[250:251], v[110:111]
	v_mul_f64 v[36:37], v[22:23], v[122:123]
	v_fma_f64 v[248:249], v[248:249], v[112:113], -v[110:111]
	s_waitcnt lgkmcnt(2)
	v_mul_f64 v[42:43], v[10:11], v[124:125]
	v_add_f64 v[202:203], v[202:203], 0
	v_mul_f64 v[20:21], v[20:21], v[118:119]
	v_mul_f64 v[40:41], v[14:15], v[130:131]
	v_fma_f64 v[18:19], v[18:19], v[120:121], -v[20:21]
	s_waitcnt lgkmcnt(1)
	v_mul_f64 v[44:45], v[2:3], v[128:129]
	v_fmac_f64_e32 v[30:31], v[116:117], v[100:101]
	v_add_f64 v[26:27], v[26:27], v[30:31]
	v_fmac_f64_e32 v[32:33], v[246:247], v[104:105]
	v_add_f64 v[26:27], v[26:27], v[32:33]
	;; [unrolled: 2-line block ×3, first 2 shown]
	v_add_f64 v[26:27], v[26:27], v[36:37]
	v_fmac_f64_e32 v[40:41], v[16:17], v[132:133]
	v_add_f64 v[26:27], v[26:27], v[38:39]
	v_fmac_f64_e32 v[42:43], v[12:13], v[126:127]
	v_add_f64 v[26:27], v[26:27], v[40:41]
	v_add_f64 v[26:27], v[26:27], v[42:43]
	s_waitcnt lgkmcnt(0)
	v_mul_f64 v[32:33], v[6:7], v[136:137]
	v_fmac_f64_e32 v[44:45], v[4:5], v[144:145]
	v_add_f64 v[30:31], v[26:27], v[44:45]
	ds_read_b128 v[26:29], v1 offset:1104
	v_fmac_f64_e32 v[32:33], v[8:9], v[138:139]
	v_add_f64 v[34:35], v[30:31], v[32:33]
	ds_read_b128 v[30:33], v1 offset:1120
	v_fma_f64 v[204:205], v[114:115], v[100:101], -v[98:99]
	s_waitcnt lgkmcnt(1)
	v_mul_f64 v[36:37], v[26:27], v[146:147]
	v_fmac_f64_e32 v[36:37], v[28:29], v[162:163]
	v_add_f64 v[38:39], v[34:35], v[36:37]
	ds_read_b128 v[34:37], v1 offset:1136
	s_waitcnt lgkmcnt(1)
	v_mul_f64 v[40:41], v[30:31], v[140:141]
	v_fmac_f64_e32 v[40:41], v[32:33], v[142:143]
	v_add_f64 v[42:43], v[38:39], v[40:41]
	ds_read_b128 v[38:41], v1 offset:1152
	s_waitcnt lgkmcnt(1)
	v_mul_f64 v[44:45], v[34:35], v[166:167]
	v_fmac_f64_e32 v[44:45], v[36:37], v[170:171]
	v_add_f64 v[46:47], v[42:43], v[44:45]
	ds_read_b128 v[42:45], v1 offset:1168
	s_waitcnt lgkmcnt(1)
	v_mul_f64 v[48:49], v[38:39], v[148:149]
	v_fmac_f64_e32 v[48:49], v[40:41], v[150:151]
	v_add_f64 v[50:51], v[46:47], v[48:49]
	ds_read_b128 v[46:49], v1 offset:1184
	s_waitcnt vmcnt(58) lgkmcnt(1)
	v_mul_f64 v[52:53], v[42:43], v[174:175]
	s_waitcnt vmcnt(56)
	v_fmac_f64_e32 v[52:53], v[44:45], v[178:179]
	v_add_f64 v[54:55], v[50:51], v[52:53]
	ds_read_b128 v[50:53], v1 offset:1200
	buffer_load_dword v232, off, s[0:3], 0 offset:728
	buffer_load_dword v237, off, s[0:3], 0 offset:716
	;; [unrolled: 1-line block ×8, first 2 shown]
	s_waitcnt lgkmcnt(1)
	v_mul_f64 v[56:57], v[46:47], v[152:153]
	v_fmac_f64_e32 v[56:57], v[48:49], v[154:155]
	v_add_f64 v[58:59], v[54:55], v[56:57]
	ds_read_b128 v[54:57], v1 offset:1216
	s_waitcnt vmcnt(58) lgkmcnt(1)
	v_mul_f64 v[60:61], v[50:51], v[182:183]
	s_waitcnt vmcnt(56)
	v_fmac_f64_e32 v[60:61], v[52:53], v[186:187]
	buffer_load_dword v241, off, s[0:3], 0 offset:748
	buffer_load_dword v240, off, s[0:3], 0 offset:744
	;; [unrolled: 1-line block ×4, first 2 shown]
	v_add_f64 v[62:63], v[58:59], v[60:61]
	ds_read_b128 v[58:61], v1 offset:1232
	s_waitcnt lgkmcnt(1)
	v_mul_f64 v[64:65], v[54:55], v[156:157]
	v_fmac_f64_e32 v[64:65], v[56:57], v[158:159]
	v_add_f64 v[66:67], v[62:63], v[64:65]
	ds_read_b128 v[62:65], v1 offset:1248
	s_waitcnt vmcnt(54) lgkmcnt(1)
	v_mul_f64 v[68:69], v[58:59], v[190:191]
	s_waitcnt vmcnt(52)
	v_fmac_f64_e32 v[68:69], v[60:61], v[196:197]
	v_add_f64 v[70:71], v[66:67], v[68:69]
	ds_read_b128 v[66:69], v1 offset:1264
	s_waitcnt lgkmcnt(1)
	v_mul_f64 v[72:73], v[62:63], v[160:161]
	v_fmac_f64_e32 v[72:73], v[64:65], v[164:165]
	v_add_f64 v[74:75], v[70:71], v[72:73]
	ds_read_b128 v[70:73], v1 offset:1280
	s_waitcnt vmcnt(46) lgkmcnt(1)
	v_mul_f64 v[76:77], v[66:67], v[200:201]
	s_waitcnt vmcnt(44)
	v_fmac_f64_e32 v[76:77], v[68:69], v[212:213]
	v_add_f64 v[82:83], v[74:75], v[76:77]
	ds_read_b128 v[74:77], v1 offset:1296
	ds_read_b128 v[78:81], v1 offset:1312
	s_waitcnt lgkmcnt(2)
	v_mul_f64 v[84:85], v[70:71], v[168:169]
	v_fmac_f64_e32 v[84:85], v[72:73], v[172:173]
	v_add_f64 v[82:83], v[82:83], v[84:85]
	s_waitcnt vmcnt(38) lgkmcnt(1)
	v_mul_f64 v[84:85], v[74:75], v[216:217]
	s_waitcnt vmcnt(36)
	v_fmac_f64_e32 v[84:85], v[76:77], v[218:219]
	v_add_f64 v[82:83], v[82:83], v[84:85]
	s_waitcnt lgkmcnt(0)
	v_mul_f64 v[84:85], v[78:79], v[176:177]
	v_fmac_f64_e32 v[84:85], v[80:81], v[180:181]
	v_add_f64 v[192:193], v[82:83], v[84:85]
	ds_read_b128 v[82:85], v1 offset:1328
	ds_read_b128 v[86:89], v1 offset:1344
	;; [unrolled: 1-line block ×3, first 2 shown]
	v_fma_f64 v[246:247], v[244:245], v[104:105], -v[102:103]
	ds_read_b128 v[102:105], v1 offset:1424
	ds_read_b128 v[110:113], v1 offset:1440
	s_waitcnt vmcnt(30) lgkmcnt(4)
	v_mul_f64 v[94:95], v[82:83], v[220:221]
	s_waitcnt vmcnt(28)
	v_fmac_f64_e32 v[94:95], v[84:85], v[222:223]
	v_add_f64 v[94:95], v[192:193], v[94:95]
	v_fma_f64 v[192:193], v[106:107], v[90:91], -v[92:93]
	ds_read_b128 v[90:93], v1 offset:1360
	s_waitcnt lgkmcnt(4)
	v_mul_f64 v[96:97], v[86:87], v[184:185]
	v_fmac_f64_e32 v[96:97], v[88:89], v[188:189]
	v_add_f64 v[106:107], v[94:95], v[96:97]
	ds_read_b128 v[94:97], v1 offset:1376
	s_waitcnt vmcnt(22) lgkmcnt(1)
	v_mul_f64 v[108:109], v[90:91], v[224:225]
	s_waitcnt vmcnt(20)
	v_fmac_f64_e32 v[108:109], v[92:93], v[226:227]
	v_add_f64 v[106:107], v[106:107], v[108:109]
	v_add_f64 v[192:193], v[202:203], v[192:193]
	s_waitcnt lgkmcnt(0)
	v_mul_f64 v[108:109], v[94:95], v[194:195]
	v_fmac_f64_e32 v[108:109], v[96:97], v[198:199]
	v_add_f64 v[114:115], v[106:107], v[108:109]
	ds_read_b128 v[106:109], v1 offset:1408
	s_waitcnt vmcnt(14)
	v_mul_f64 v[116:117], v[98:99], v[228:229]
	s_waitcnt vmcnt(12)
	v_fmac_f64_e32 v[116:117], v[100:101], v[230:231]
	v_add_f64 v[114:115], v[114:115], v[116:117]
	v_add_f64 v[250:251], v[192:193], v[204:205]
	s_waitcnt lgkmcnt(0)
	v_mul_f64 v[116:117], v[106:107], v[210:211]
	v_fmac_f64_e32 v[116:117], v[108:109], v[214:215]
	v_add_f64 v[114:115], v[114:115], v[116:117]
	v_add_f64 v[192:193], v[250:251], v[246:247]
	v_mul_f64 v[24:25], v[24:25], v[122:123]
	v_add_f64 v[192:193], v[192:193], v[248:249]
	v_fma_f64 v[22:23], v[22:23], v[134:135], -v[24:25]
	v_add_f64 v[22:23], v[192:193], v[22:23]
	v_mul_f64 v[16:17], v[16:17], v[130:131]
	v_add_f64 v[18:19], v[22:23], v[18:19]
	v_fma_f64 v[14:15], v[14:15], v[132:133], -v[16:17]
	v_mul_f64 v[12:13], v[12:13], v[124:125]
	s_waitcnt vmcnt(9)
	v_mul_f64 v[116:117], v[102:103], v[236:237]
	v_add_f64 v[14:15], v[18:19], v[14:15]
	s_waitcnt vmcnt(7)
	v_fmac_f64_e32 v[116:117], v[104:105], v[238:239]
	v_add_f64 v[114:115], v[114:115], v[116:117]
	s_waitcnt vmcnt(5)
	v_mul_f64 v[116:117], v[110:111], v[232:233]
	s_waitcnt vmcnt(4)
	v_fmac_f64_e32 v[116:117], v[112:113], v[234:235]
	v_add_f64 v[206:207], v[114:115], v[116:117]
	ds_read_b128 v[114:117], v1 offset:1456
	buffer_load_dword v254, off, s[0:3], 0 offset:192
	buffer_load_dword v255, off, s[0:3], 0 offset:196
	;; [unrolled: 1-line block ×4, first 2 shown]
	v_fma_f64 v[10:11], v[10:11], v[126:127], -v[12:13]
	v_mul_f64 v[4:5], v[4:5], v[128:129]
	v_add_f64 v[10:11], v[14:15], v[10:11]
	v_fma_f64 v[2:3], v[2:3], v[144:145], -v[4:5]
	v_mul_f64 v[4:5], v[8:9], v[136:137]
	v_add_f64 v[2:3], v[10:11], v[2:3]
	v_fma_f64 v[4:5], v[6:7], v[138:139], -v[4:5]
	v_add_f64 v[2:3], v[2:3], v[4:5]
	v_mul_f64 v[4:5], v[28:29], v[146:147]
	v_fma_f64 v[4:5], v[26:27], v[162:163], -v[4:5]
	v_add_f64 v[2:3], v[2:3], v[4:5]
	v_mul_f64 v[4:5], v[32:33], v[140:141]
	;; [unrolled: 3-line block ×22, first 2 shown]
	v_fma_f64 v[4:5], v[110:111], v[234:235], -v[4:5]
	v_add_f64 v[2:3], v[2:3], v[4:5]
	s_waitcnt vmcnt(6) lgkmcnt(0)
	v_mul_f64 v[4:5], v[116:117], v[240:241]
	s_waitcnt vmcnt(4)
	v_fma_f64 v[4:5], v[114:115], v[242:243], -v[4:5]
	v_mul_f64 v[208:209], v[114:115], v[240:241]
	v_add_f64 v[2:3], v[2:3], v[4:5]
	v_fmac_f64_e32 v[208:209], v[116:117], v[242:243]
	s_waitcnt vmcnt(2)
	v_add_f64 v[2:3], v[254:255], -v[2:3]
	v_accvgpr_read_b32 v254, a137
	v_add_f64 v[244:245], v[206:207], v[208:209]
	v_cmp_lt_u32_e32 vcc, 10, v254
	s_waitcnt vmcnt(0)
	v_add_f64 v[4:5], v[252:253], -v[244:245]
	buffer_store_dword v3, off, s[0:3], 0 offset:196
	buffer_store_dword v2, off, s[0:3], 0 offset:192
	;; [unrolled: 1-line block ×4, first 2 shown]
	s_and_saveexec_b64 s[4:5], vcc
	s_cbranch_execz .LBB109_269
; %bb.268:
	v_accvgpr_read_b32 v0, a127
	buffer_load_dword v2, v0, s[0:3], 0 offen
	buffer_load_dword v3, v0, s[0:3], 0 offen offset:4
	buffer_load_dword v4, v0, s[0:3], 0 offen offset:8
	;; [unrolled: 1-line block ×3, first 2 shown]
	v_mov_b32_e32 v0, 0
	v_accvgpr_read_b32 v1, a138
	buffer_store_dword v0, off, s[0:3], 0 offset:176
	buffer_store_dword v0, off, s[0:3], 0 offset:180
	;; [unrolled: 1-line block ×4, first 2 shown]
	s_waitcnt vmcnt(4)
	ds_write_b128 v1, v[2:5]
.LBB109_269:
	s_or_b64 exec, exec, s[4:5]
	s_waitcnt lgkmcnt(0)
	; wave barrier
	s_waitcnt lgkmcnt(0)
	buffer_load_dword v82, off, s[0:3], 0 offset:192
	buffer_load_dword v83, off, s[0:3], 0 offset:196
	;; [unrolled: 1-line block ×54, first 2 shown]
	v_mov_b32_e32 v1, 0
	ds_read_b128 v[90:93], v1 offset:912
	ds_read_b128 v[106:109], v1 offset:928
	;; [unrolled: 1-line block ×9, first 2 shown]
	buffer_load_dword v149, off, s[0:3], 0 offset:420
	buffer_load_dword v148, off, s[0:3], 0 offset:416
	;; [unrolled: 1-line block ×62, first 2 shown]
	v_cmp_lt_u32_e32 vcc, 9, v254
	s_waitcnt vmcnt(62) lgkmcnt(8)
	v_mul_f64 v[14:15], v[90:91], v[84:85]
	v_fmac_f64_e32 v[14:15], v[92:93], v[82:83]
	v_add_f64 v[14:15], v[14:15], 0
	v_mul_f64 v[84:85], v[92:93], v[84:85]
	s_waitcnt lgkmcnt(7)
	v_mul_f64 v[16:17], v[106:107], v[88:89]
	v_fmac_f64_e32 v[16:17], v[108:109], v[86:87]
	s_waitcnt lgkmcnt(6)
	v_mul_f64 v[18:19], v[114:115], v[94:95]
	v_add_f64 v[14:15], v[14:15], v[16:17]
	s_waitcnt lgkmcnt(4)
	v_mul_f64 v[22:23], v[246:247], v[102:103]
	v_fma_f64 v[202:203], v[90:91], v[82:83], -v[84:85]
	v_fmac_f64_e32 v[22:23], v[248:249], v[104:105]
	v_mul_f64 v[88:89], v[108:109], v[88:89]
	v_mul_f64 v[20:21], v[242:243], v[98:99]
	v_fma_f64 v[204:205], v[106:107], v[86:87], -v[88:89]
	s_waitcnt lgkmcnt(2)
	v_mul_f64 v[26:27], v[10:11], v[118:119]
	v_mul_f64 v[94:95], v[116:117], v[94:95]
	v_fmac_f64_e32 v[26:27], v[12:13], v[120:121]
	v_mul_f64 v[98:99], v[244:245], v[98:99]
	v_mul_f64 v[24:25], v[250:251], v[110:111]
	;; [unrolled: 1-line block ×3, first 2 shown]
	s_waitcnt lgkmcnt(1)
	v_mul_f64 v[28:29], v[6:7], v[122:123]
	v_mul_f64 v[110:111], v[252:253], v[110:111]
	v_fmac_f64_e32 v[18:19], v[116:117], v[96:97]
	v_add_f64 v[14:15], v[14:15], v[18:19]
	v_fmac_f64_e32 v[20:21], v[244:245], v[100:101]
	v_add_f64 v[14:15], v[14:15], v[20:21]
	;; [unrolled: 2-line block ×3, first 2 shown]
	v_add_f64 v[14:15], v[14:15], v[24:25]
	v_fmac_f64_e32 v[28:29], v[8:9], v[126:127]
	v_add_f64 v[14:15], v[14:15], v[26:27]
	v_add_f64 v[18:19], v[14:15], v[28:29]
	ds_read_b128 v[14:17], v1 offset:1056
	s_waitcnt lgkmcnt(1)
	v_mul_f64 v[20:21], v[2:3], v[124:125]
	v_fmac_f64_e32 v[20:21], v[4:5], v[128:129]
	v_add_f64 v[22:23], v[18:19], v[20:21]
	ds_read_b128 v[18:21], v1 offset:1072
	s_waitcnt lgkmcnt(1)
	v_mul_f64 v[24:25], v[14:15], v[134:135]
	v_fmac_f64_e32 v[24:25], v[16:17], v[136:137]
	;; [unrolled: 5-line block ×5, first 2 shown]
	v_add_f64 v[38:39], v[34:35], v[36:37]
	ds_read_b128 v[34:37], v1 offset:1136
	s_waitcnt vmcnt(58) lgkmcnt(1)
	v_mul_f64 v[40:41], v[30:31], v[162:163]
	s_waitcnt vmcnt(56)
	v_fmac_f64_e32 v[40:41], v[32:33], v[166:167]
	v_add_f64 v[42:43], v[38:39], v[40:41]
	ds_read_b128 v[38:41], v1 offset:1152
	s_waitcnt lgkmcnt(1)
	v_mul_f64 v[44:45], v[34:35], v[142:143]
	v_fmac_f64_e32 v[44:45], v[36:37], v[148:149]
	v_add_f64 v[46:47], v[42:43], v[44:45]
	ds_read_b128 v[42:45], v1 offset:1168
	s_waitcnt vmcnt(50) lgkmcnt(1)
	v_mul_f64 v[48:49], v[38:39], v[170:171]
	s_waitcnt vmcnt(48)
	v_fmac_f64_e32 v[48:49], v[40:41], v[174:175]
	v_add_f64 v[50:51], v[46:47], v[48:49]
	ds_read_b128 v[46:49], v1 offset:1184
	buffer_load_dword v221, off, s[0:3], 0 offset:668
	buffer_load_dword v220, off, s[0:3], 0 offset:664
	;; [unrolled: 1-line block ×8, first 2 shown]
	s_waitcnt lgkmcnt(1)
	v_mul_f64 v[52:53], v[42:43], v[150:151]
	v_fmac_f64_e32 v[52:53], v[44:45], v[152:153]
	v_add_f64 v[54:55], v[50:51], v[52:53]
	ds_read_b128 v[50:53], v1 offset:1200
	s_waitcnt vmcnt(50) lgkmcnt(1)
	v_mul_f64 v[56:57], v[46:47], v[178:179]
	s_waitcnt vmcnt(48)
	v_fmac_f64_e32 v[56:57], v[48:49], v[182:183]
	buffer_load_dword v225, off, s[0:3], 0 offset:716
	buffer_load_dword v231, off, s[0:3], 0 offset:700
	;; [unrolled: 1-line block ×12, first 2 shown]
	v_add_f64 v[58:59], v[54:55], v[56:57]
	ds_read_b128 v[54:57], v1 offset:1216
	s_waitcnt lgkmcnt(1)
	v_mul_f64 v[60:61], v[50:51], v[154:155]
	v_fmac_f64_e32 v[60:61], v[52:53], v[156:157]
	v_add_f64 v[62:63], v[58:59], v[60:61]
	ds_read_b128 v[58:61], v1 offset:1232
	s_waitcnt vmcnt(54) lgkmcnt(1)
	v_mul_f64 v[64:65], v[54:55], v[186:187]
	s_waitcnt vmcnt(52)
	v_fmac_f64_e32 v[64:65], v[56:57], v[190:191]
	v_add_f64 v[66:67], v[62:63], v[64:65]
	ds_read_b128 v[62:65], v1 offset:1248
	s_waitcnt lgkmcnt(1)
	v_mul_f64 v[68:69], v[58:59], v[158:159]
	v_fmac_f64_e32 v[68:69], v[60:61], v[160:161]
	v_add_f64 v[70:71], v[66:67], v[68:69]
	ds_read_b128 v[66:69], v1 offset:1264
	s_waitcnt vmcnt(46) lgkmcnt(1)
	v_mul_f64 v[72:73], v[62:63], v[196:197]
	s_waitcnt vmcnt(44)
	v_fmac_f64_e32 v[72:73], v[64:65], v[198:199]
	v_add_f64 v[78:79], v[70:71], v[72:73]
	ds_read_b128 v[70:73], v1 offset:1280
	ds_read_b128 v[74:77], v1 offset:1296
	s_waitcnt lgkmcnt(2)
	v_mul_f64 v[80:81], v[66:67], v[164:165]
	v_fmac_f64_e32 v[80:81], v[68:69], v[168:169]
	v_add_f64 v[78:79], v[78:79], v[80:81]
	s_waitcnt vmcnt(38) lgkmcnt(1)
	v_mul_f64 v[80:81], v[70:71], v[200:201]
	s_waitcnt vmcnt(36)
	v_fmac_f64_e32 v[80:81], v[72:73], v[210:211]
	v_add_f64 v[78:79], v[78:79], v[80:81]
	s_waitcnt lgkmcnt(0)
	v_mul_f64 v[80:81], v[74:75], v[172:173]
	v_fmac_f64_e32 v[80:81], v[76:77], v[176:177]
	v_add_f64 v[192:193], v[78:79], v[80:81]
	ds_read_b128 v[78:81], v1 offset:1312
	ds_read_b128 v[82:85], v1 offset:1328
	;; [unrolled: 1-line block ×3, first 2 shown]
	v_fma_f64 v[206:207], v[242:243], v[100:101], -v[98:99]
	ds_read_b128 v[98:101], v1 offset:1392
	s_waitcnt vmcnt(30) lgkmcnt(3)
	v_mul_f64 v[90:91], v[78:79], v[212:213]
	s_waitcnt vmcnt(28)
	v_fmac_f64_e32 v[90:91], v[80:81], v[214:215]
	s_waitcnt lgkmcnt(2)
	v_mul_f64 v[92:93], v[82:83], v[180:181]
	v_add_f64 v[90:91], v[192:193], v[90:91]
	v_fmac_f64_e32 v[92:93], v[84:85], v[184:185]
	v_add_f64 v[90:91], v[90:91], v[92:93]
	v_fma_f64 v[192:193], v[114:115], v[96:97], -v[94:95]
	ds_read_b128 v[94:97], v1 offset:1376
	s_waitcnt vmcnt(22) lgkmcnt(2)
	v_mul_f64 v[92:93], v[86:87], v[216:217]
	s_waitcnt vmcnt(20)
	v_fmac_f64_e32 v[92:93], v[88:89], v[218:219]
	v_add_f64 v[106:107], v[90:91], v[92:93]
	ds_read_b128 v[90:93], v1 offset:1360
	buffer_load_dword v240, off, s[0:3], 0 offset:744
	v_fma_f64 v[208:209], v[246:247], v[104:105], -v[102:103]
	ds_read_b128 v[102:105], v1 offset:1408
	v_fma_f64 v[250:251], v[250:251], v[112:113], -v[110:111]
	s_waitcnt lgkmcnt(1)
	v_mul_f64 v[108:109], v[90:91], v[188:189]
	v_fmac_f64_e32 v[108:109], v[92:93], v[194:195]
	v_add_f64 v[106:107], v[106:107], v[108:109]
	ds_read_b128 v[110:113], v1 offset:1440
	v_add_f64 v[202:203], v[202:203], 0
	v_add_f64 v[202:203], v[202:203], v[204:205]
	;; [unrolled: 1-line block ×5, first 2 shown]
	v_mul_f64 v[12:13], v[12:13], v[118:119]
	v_add_f64 v[192:193], v[252:253], v[250:251]
	v_fma_f64 v[10:11], v[10:11], v[120:121], -v[12:13]
	v_mul_f64 v[8:9], v[8:9], v[122:123]
	v_add_f64 v[10:11], v[192:193], v[10:11]
	v_fma_f64 v[6:7], v[6:7], v[126:127], -v[8:9]
	;; [unrolled: 3-line block ×3, first 2 shown]
	v_mul_f64 v[4:5], v[16:17], v[134:135]
	v_add_f64 v[2:3], v[6:7], v[2:3]
	s_waitcnt vmcnt(19)
	v_mul_f64 v[108:109], v[94:95], v[220:221]
	v_fma_f64 v[4:5], v[14:15], v[136:137], -v[4:5]
	s_waitcnt vmcnt(17)
	v_fmac_f64_e32 v[108:109], v[96:97], v[222:223]
	v_add_f64 v[106:107], v[106:107], v[108:109]
	s_waitcnt vmcnt(15)
	v_mul_f64 v[108:109], v[98:99], v[226:227]
	s_waitcnt vmcnt(13)
	v_fmac_f64_e32 v[108:109], v[100:101], v[228:229]
	v_add_f64 v[114:115], v[106:107], v[108:109]
	ds_read_b128 v[106:109], v1 offset:1424
	buffer_load_dword v244, off, s[0:3], 0 offset:736
	buffer_load_dword v241, off, s[0:3], 0 offset:748
	;; [unrolled: 1-line block ×3, first 2 shown]
	s_waitcnt vmcnt(13) lgkmcnt(2)
	v_mul_f64 v[116:117], v[102:103], v[230:231]
	s_waitcnt vmcnt(11)
	v_fmac_f64_e32 v[116:117], v[104:105], v[236:237]
	v_add_f64 v[114:115], v[114:115], v[116:117]
	s_waitcnt vmcnt(10) lgkmcnt(0)
	v_mul_f64 v[116:117], v[106:107], v[224:225]
	s_waitcnt vmcnt(8)
	v_fmac_f64_e32 v[116:117], v[108:109], v[234:235]
	v_add_f64 v[114:115], v[114:115], v[116:117]
	s_waitcnt vmcnt(6)
	v_mul_f64 v[116:117], v[110:111], v[232:233]
	s_waitcnt vmcnt(4)
	v_fmac_f64_e32 v[116:117], v[112:113], v[238:239]
	v_add_f64 v[242:243], v[114:115], v[116:117]
	ds_read_b128 v[114:117], v1 offset:1456
	buffer_load_dword v248, off, s[0:3], 0 offset:176
	buffer_load_dword v249, off, s[0:3], 0 offset:180
	v_add_f64 v[2:3], v[2:3], v[4:5]
	v_mul_f64 v[4:5], v[20:21], v[130:131]
	v_fma_f64 v[4:5], v[18:19], v[132:133], -v[4:5]
	v_add_f64 v[2:3], v[2:3], v[4:5]
	v_mul_f64 v[4:5], v[24:25], v[144:145]
	v_fma_f64 v[4:5], v[22:23], v[146:147], -v[4:5]
	;; [unrolled: 3-line block ×22, first 2 shown]
	v_add_f64 v[2:3], v[2:3], v[4:5]
	s_waitcnt vmcnt(3) lgkmcnt(0)
	v_mul_f64 v[246:247], v[114:115], v[240:241]
	s_waitcnt vmcnt(2)
	v_fmac_f64_e32 v[246:247], v[116:117], v[244:245]
	v_add_f64 v[242:243], v[242:243], v[246:247]
	buffer_load_dword v246, off, s[0:3], 0 offset:184
	buffer_load_dword v247, off, s[0:3], 0 offset:188
	v_mul_f64 v[4:5], v[108:109], v[224:225]
	v_fma_f64 v[4:5], v[106:107], v[234:235], -v[4:5]
	v_add_f64 v[2:3], v[2:3], v[4:5]
	v_mul_f64 v[4:5], v[112:113], v[232:233]
	v_fma_f64 v[4:5], v[110:111], v[238:239], -v[4:5]
	v_add_f64 v[2:3], v[2:3], v[4:5]
	;; [unrolled: 3-line block ×3, first 2 shown]
	s_waitcnt vmcnt(2)
	v_add_f64 v[2:3], v[248:249], -v[2:3]
	s_waitcnt vmcnt(0)
	v_add_f64 v[4:5], v[246:247], -v[242:243]
	buffer_store_dword v3, off, s[0:3], 0 offset:180
	buffer_store_dword v2, off, s[0:3], 0 offset:176
	;; [unrolled: 1-line block ×4, first 2 shown]
	s_and_saveexec_b64 s[4:5], vcc
	s_cbranch_execz .LBB109_271
; %bb.270:
	v_accvgpr_read_b32 v0, a128
	buffer_load_dword v2, v0, s[0:3], 0 offen
	buffer_load_dword v3, v0, s[0:3], 0 offen offset:4
	buffer_load_dword v4, v0, s[0:3], 0 offen offset:8
	;; [unrolled: 1-line block ×3, first 2 shown]
	v_accvgpr_read_b32 v0, a138
	buffer_store_dword v1, off, s[0:3], 0 offset:160
	buffer_store_dword v1, off, s[0:3], 0 offset:164
	;; [unrolled: 1-line block ×4, first 2 shown]
	s_waitcnt vmcnt(4)
	ds_write_b128 v0, v[2:5]
.LBB109_271:
	s_or_b64 exec, exec, s[4:5]
	s_waitcnt lgkmcnt(0)
	; wave barrier
	s_waitcnt lgkmcnt(0)
	buffer_load_dword v84, off, s[0:3], 0 offset:176
	buffer_load_dword v85, off, s[0:3], 0 offset:180
	;; [unrolled: 1-line block ×34, first 2 shown]
	ds_read_b128 v[74:77], v1 offset:896
	ds_read_b128 v[78:81], v1 offset:912
	;; [unrolled: 1-line block ×8, first 2 shown]
	buffer_load_dword v125, off, s[0:3], 0 offset:292
	buffer_load_dword v124, off, s[0:3], 0 offset:288
	ds_read_b128 v[6:9], v1 offset:1024
	buffer_load_dword v127, off, s[0:3], 0 offset:348
	buffer_load_dword v126, off, s[0:3], 0 offset:344
	;; [unrolled: 1-line block ×80, first 2 shown]
	s_waitcnt vmcnt(62) lgkmcnt(8)
	v_mul_f64 v[10:11], v[74:75], v[106:107]
	v_fmac_f64_e32 v[10:11], v[76:77], v[84:85]
	v_add_f64 v[10:11], v[10:11], 0
	v_mul_f64 v[76:77], v[76:77], v[106:107]
	s_waitcnt lgkmcnt(7)
	v_mul_f64 v[12:13], v[78:79], v[96:97]
	v_fmac_f64_e32 v[12:13], v[80:81], v[82:83]
	s_waitcnt lgkmcnt(6)
	v_mul_f64 v[14:15], v[86:87], v[94:95]
	v_add_f64 v[10:11], v[10:11], v[12:13]
	s_waitcnt lgkmcnt(4)
	v_mul_f64 v[18:19], v[98:99], v[108:109]
	v_fma_f64 v[202:203], v[74:75], v[84:85], -v[76:77]
	v_fmac_f64_e32 v[18:19], v[100:101], v[114:115]
	v_mul_f64 v[80:81], v[80:81], v[96:97]
	v_mul_f64 v[16:17], v[90:91], v[116:117]
	v_fma_f64 v[204:205], v[78:79], v[82:83], -v[80:81]
	s_waitcnt lgkmcnt(2)
	v_mul_f64 v[22:23], v[110:111], v[240:241]
	v_mul_f64 v[100:101], v[100:101], v[108:109]
	v_fma_f64 v[208:209], v[98:99], v[114:115], -v[100:101]
	v_mul_f64 v[20:21], v[102:103], v[244:245]
	v_add_f64 v[202:203], v[202:203], 0
	s_waitcnt lgkmcnt(1)
	v_mul_f64 v[24:25], v[2:3], v[118:119]
	v_add_f64 v[202:203], v[202:203], v[204:205]
	v_fmac_f64_e32 v[14:15], v[88:89], v[250:251]
	v_add_f64 v[10:11], v[10:11], v[14:15]
	v_fmac_f64_e32 v[16:17], v[92:93], v[248:249]
	;; [unrolled: 2-line block ×4, first 2 shown]
	v_add_f64 v[10:11], v[10:11], v[20:21]
	v_add_f64 v[10:11], v[10:11], v[22:23]
	s_waitcnt lgkmcnt(0)
	v_mul_f64 v[16:17], v[6:7], v[120:121]
	v_fmac_f64_e32 v[16:17], v[8:9], v[122:123]
	v_fmac_f64_e32 v[24:25], v[4:5], v[124:125]
	v_add_f64 v[14:15], v[10:11], v[24:25]
	ds_read_b128 v[10:13], v1 offset:1040
	v_add_f64 v[18:19], v[14:15], v[16:17]
	ds_read_b128 v[14:17], v1 offset:1056
	v_mul_f64 v[88:89], v[88:89], v[94:95]
	v_mul_f64 v[92:93], v[92:93], v[116:117]
	s_waitcnt lgkmcnt(1)
	v_mul_f64 v[20:21], v[10:11], v[130:131]
	v_fmac_f64_e32 v[20:21], v[12:13], v[132:133]
	s_waitcnt lgkmcnt(0)
	v_mul_f64 v[24:25], v[14:15], v[126:127]
	v_add_f64 v[22:23], v[18:19], v[20:21]
	ds_read_b128 v[18:21], v1 offset:1072
	v_fmac_f64_e32 v[24:25], v[16:17], v[128:129]
	v_add_f64 v[26:27], v[22:23], v[24:25]
	ds_read_b128 v[22:25], v1 offset:1088
	v_fma_f64 v[206:207], v[90:91], v[248:249], -v[92:93]
	s_waitcnt lgkmcnt(1)
	v_mul_f64 v[28:29], v[18:19], v[142:143]
	v_fmac_f64_e32 v[28:29], v[20:21], v[144:145]
	v_add_f64 v[30:31], v[26:27], v[28:29]
	s_waitcnt lgkmcnt(0)
	v_mul_f64 v[32:33], v[22:23], v[134:135]
	ds_read_b128 v[26:29], v1 offset:1104
	v_fmac_f64_e32 v[32:33], v[24:25], v[136:137]
	v_add_f64 v[34:35], v[30:31], v[32:33]
	ds_read_b128 v[30:33], v1 offset:1120
	v_mul_f64 v[104:105], v[104:105], v[244:245]
	s_waitcnt vmcnt(58) lgkmcnt(1)
	v_mul_f64 v[36:37], v[26:27], v[158:159]
	s_waitcnt vmcnt(56)
	v_fmac_f64_e32 v[36:37], v[28:29], v[162:163]
	v_add_f64 v[38:39], v[34:35], v[36:37]
	s_waitcnt lgkmcnt(0)
	v_mul_f64 v[40:41], v[30:31], v[138:139]
	ds_read_b128 v[34:37], v1 offset:1136
	v_fmac_f64_e32 v[40:41], v[32:33], v[140:141]
	v_add_f64 v[42:43], v[38:39], v[40:41]
	ds_read_b128 v[38:41], v1 offset:1152
	v_mul_f64 v[112:113], v[112:113], v[240:241]
	s_waitcnt vmcnt(50) lgkmcnt(1)
	v_mul_f64 v[44:45], v[34:35], v[166:167]
	s_waitcnt vmcnt(48)
	v_fmac_f64_e32 v[44:45], v[36:37], v[170:171]
	v_add_f64 v[46:47], v[42:43], v[44:45]
	s_waitcnt lgkmcnt(0)
	v_mul_f64 v[48:49], v[38:39], v[146:147]
	v_fmac_f64_e32 v[48:49], v[40:41], v[148:149]
	ds_read_b128 v[42:45], v1 offset:1168
	v_add_f64 v[50:51], v[46:47], v[48:49]
	ds_read_b128 v[46:49], v1 offset:1184
	buffer_load_dword v217, off, s[0:3], 0 offset:668
	buffer_load_dword v219, off, s[0:3], 0 offset:652
	;; [unrolled: 1-line block ×12, first 2 shown]
	v_fma_f64 v[252:253], v[110:111], v[242:243], -v[112:113]
	s_waitcnt vmcnt(54) lgkmcnt(1)
	v_mul_f64 v[52:53], v[42:43], v[174:175]
	s_waitcnt vmcnt(52)
	v_fmac_f64_e32 v[52:53], v[44:45], v[178:179]
	v_add_f64 v[54:55], v[50:51], v[52:53]
	ds_read_b128 v[50:53], v1 offset:1200
	s_waitcnt lgkmcnt(1)
	v_mul_f64 v[56:57], v[46:47], v[150:151]
	v_fmac_f64_e32 v[56:57], v[48:49], v[152:153]
	buffer_load_dword v231, off, s[0:3], 0 offset:700
	buffer_load_dword v230, off, s[0:3], 0 offset:696
	;; [unrolled: 1-line block ×12, first 2 shown]
	v_add_f64 v[58:59], v[54:55], v[56:57]
	ds_read_b128 v[54:57], v1 offset:1216
	s_waitcnt vmcnt(58) lgkmcnt(1)
	v_mul_f64 v[60:61], v[50:51], v[182:183]
	s_waitcnt vmcnt(56)
	v_fmac_f64_e32 v[60:61], v[52:53], v[186:187]
	v_add_f64 v[62:63], v[58:59], v[60:61]
	ds_read_b128 v[58:61], v1 offset:1232
	s_waitcnt lgkmcnt(1)
	v_mul_f64 v[64:65], v[54:55], v[154:155]
	v_fmac_f64_e32 v[64:65], v[56:57], v[156:157]
	v_add_f64 v[70:71], v[62:63], v[64:65]
	ds_read_b128 v[62:65], v1 offset:1248
	ds_read_b128 v[66:69], v1 offset:1264
	s_waitcnt vmcnt(50) lgkmcnt(2)
	v_mul_f64 v[72:73], v[58:59], v[190:191]
	s_waitcnt vmcnt(48)
	v_fmac_f64_e32 v[72:73], v[60:61], v[194:195]
	v_add_f64 v[70:71], v[70:71], v[72:73]
	s_waitcnt lgkmcnt(1)
	v_mul_f64 v[72:73], v[62:63], v[160:161]
	v_fmac_f64_e32 v[72:73], v[64:65], v[164:165]
	v_add_f64 v[70:71], v[70:71], v[72:73]
	s_waitcnt vmcnt(42) lgkmcnt(0)
	v_mul_f64 v[72:73], v[66:67], v[196:197]
	s_waitcnt vmcnt(40)
	v_fmac_f64_e32 v[72:73], v[68:69], v[198:199]
	v_add_f64 v[192:193], v[70:71], v[72:73]
	ds_read_b128 v[70:73], v1 offset:1280
	ds_read_b128 v[74:77], v1 offset:1296
	ds_read_b128 v[78:81], v1 offset:1312
	ds_read_b128 v[90:93], v1 offset:1360
	ds_read_b128 v[98:101], v1 offset:1392
	s_waitcnt lgkmcnt(4)
	v_mul_f64 v[84:85], v[70:71], v[168:169]
	v_fmac_f64_e32 v[84:85], v[72:73], v[172:173]
	v_add_f64 v[82:83], v[192:193], v[84:85]
	s_waitcnt vmcnt(34) lgkmcnt(3)
	v_mul_f64 v[84:85], v[74:75], v[200:201]
	s_waitcnt vmcnt(32)
	v_fmac_f64_e32 v[84:85], v[76:77], v[210:211]
	v_add_f64 v[82:83], v[82:83], v[84:85]
	v_fma_f64 v[192:193], v[86:87], v[250:251], -v[88:89]
	ds_read_b128 v[86:89], v1 offset:1344
	s_waitcnt lgkmcnt(3)
	v_mul_f64 v[84:85], v[78:79], v[176:177]
	v_fmac_f64_e32 v[84:85], v[80:81], v[180:181]
	v_add_f64 v[96:97], v[82:83], v[84:85]
	ds_read_b128 v[82:85], v1 offset:1328
	v_fma_f64 v[250:251], v[102:103], v[246:247], -v[104:105]
	ds_read_b128 v[110:113], v1 offset:1440
	v_add_f64 v[192:193], v[202:203], v[192:193]
	v_add_f64 v[192:193], v[192:193], v[206:207]
	s_waitcnt vmcnt(26) lgkmcnt(1)
	v_mul_f64 v[94:95], v[82:83], v[212:213]
	s_waitcnt vmcnt(24)
	v_fmac_f64_e32 v[94:95], v[84:85], v[214:215]
	v_add_f64 v[94:95], v[96:97], v[94:95]
	v_mul_f64 v[96:97], v[86:87], v[184:185]
	v_fmac_f64_e32 v[96:97], v[88:89], v[188:189]
	v_add_f64 v[106:107], v[94:95], v[96:97]
	ds_read_b128 v[94:97], v1 offset:1376
	v_add_f64 v[254:255], v[192:193], v[208:209]
	v_add_f64 v[192:193], v[254:255], v[250:251]
	v_mul_f64 v[4:5], v[4:5], v[118:119]
	v_add_f64 v[192:193], v[192:193], v[252:253]
	ds_read_b128 v[102:105], v1 offset:1424
	v_fma_f64 v[2:3], v[2:3], v[124:125], -v[4:5]
	v_mul_f64 v[4:5], v[8:9], v[120:121]
	v_add_f64 v[2:3], v[192:193], v[2:3]
	v_fma_f64 v[4:5], v[6:7], v[122:123], -v[4:5]
	v_add_f64 v[2:3], v[2:3], v[4:5]
	v_mul_f64 v[4:5], v[12:13], v[130:131]
	v_fma_f64 v[4:5], v[10:11], v[132:133], -v[4:5]
	v_add_f64 v[2:3], v[2:3], v[4:5]
	v_mul_f64 v[4:5], v[16:17], v[126:127]
	s_waitcnt vmcnt(21)
	v_mul_f64 v[108:109], v[90:91], v[218:219]
	v_fma_f64 v[4:5], v[14:15], v[128:129], -v[4:5]
	s_waitcnt vmcnt(19)
	v_fmac_f64_e32 v[108:109], v[92:93], v[224:225]
	v_add_f64 v[106:107], v[106:107], v[108:109]
	s_waitcnt vmcnt(18) lgkmcnt(1)
	v_mul_f64 v[108:109], v[94:95], v[216:217]
	s_waitcnt vmcnt(16)
	v_fmac_f64_e32 v[108:109], v[96:97], v[222:223]
	v_add_f64 v[114:115], v[106:107], v[108:109]
	ds_read_b128 v[106:109], v1 offset:1408
	buffer_load_dword v243, off, s[0:3], 0 offset:748
	buffer_load_dword v242, off, s[0:3], 0 offset:744
	;; [unrolled: 1-line block ×4, first 2 shown]
	s_waitcnt vmcnt(18)
	v_mul_f64 v[116:117], v[98:99], v[220:221]
	s_waitcnt vmcnt(16)
	v_fmac_f64_e32 v[116:117], v[100:101], v[226:227]
	v_add_f64 v[114:115], v[114:115], v[116:117]
	s_waitcnt vmcnt(14) lgkmcnt(0)
	v_mul_f64 v[116:117], v[106:107], v[230:231]
	s_waitcnt vmcnt(12)
	v_fmac_f64_e32 v[116:117], v[108:109], v[232:233]
	v_add_f64 v[114:115], v[114:115], v[116:117]
	s_waitcnt vmcnt(9)
	v_mul_f64 v[116:117], v[102:103], v[236:237]
	s_waitcnt vmcnt(7)
	v_fmac_f64_e32 v[116:117], v[104:105], v[238:239]
	v_add_f64 v[114:115], v[114:115], v[116:117]
	s_waitcnt vmcnt(5)
	v_mul_f64 v[116:117], v[110:111], v[228:229]
	s_waitcnt vmcnt(4)
	v_fmac_f64_e32 v[116:117], v[112:113], v[234:235]
	v_add_f64 v[240:241], v[114:115], v[116:117]
	ds_read_b128 v[114:117], v1 offset:1456
	v_add_f64 v[2:3], v[2:3], v[4:5]
	v_mul_f64 v[4:5], v[20:21], v[142:143]
	v_fma_f64 v[4:5], v[18:19], v[144:145], -v[4:5]
	v_add_f64 v[2:3], v[2:3], v[4:5]
	v_mul_f64 v[4:5], v[24:25], v[134:135]
	v_fma_f64 v[4:5], v[22:23], v[136:137], -v[4:5]
	;; [unrolled: 3-line block ×21, first 2 shown]
	v_add_f64 v[2:3], v[2:3], v[4:5]
	s_waitcnt vmcnt(2) lgkmcnt(0)
	v_mul_f64 v[246:247], v[114:115], v[242:243]
	v_mul_f64 v[4:5], v[108:109], v[230:231]
	s_waitcnt vmcnt(0)
	v_fmac_f64_e32 v[246:247], v[116:117], v[244:245]
	v_add_f64 v[240:241], v[240:241], v[246:247]
	buffer_load_dword v248, off, s[0:3], 0 offset:160
	buffer_load_dword v249, off, s[0:3], 0 offset:164
	;; [unrolled: 1-line block ×4, first 2 shown]
	v_fma_f64 v[4:5], v[106:107], v[232:233], -v[4:5]
	v_add_f64 v[2:3], v[2:3], v[4:5]
	v_mul_f64 v[4:5], v[104:105], v[236:237]
	v_fma_f64 v[4:5], v[102:103], v[238:239], -v[4:5]
	v_add_f64 v[2:3], v[2:3], v[4:5]
	v_mul_f64 v[4:5], v[112:113], v[228:229]
	;; [unrolled: 3-line block ×3, first 2 shown]
	v_fma_f64 v[4:5], v[114:115], v[244:245], -v[4:5]
	v_add_f64 v[2:3], v[2:3], v[4:5]
	v_accvgpr_read_b32 v254, a137
	v_cmp_lt_u32_e32 vcc, 8, v254
	s_waitcnt vmcnt(2)
	v_add_f64 v[2:3], v[248:249], -v[2:3]
	s_waitcnt vmcnt(0)
	v_add_f64 v[4:5], v[246:247], -v[240:241]
	buffer_store_dword v3, off, s[0:3], 0 offset:164
	buffer_store_dword v2, off, s[0:3], 0 offset:160
	;; [unrolled: 1-line block ×4, first 2 shown]
	s_and_saveexec_b64 s[4:5], vcc
	s_cbranch_execz .LBB109_273
; %bb.272:
	v_accvgpr_read_b32 v0, a129
	buffer_load_dword v2, v0, s[0:3], 0 offen
	buffer_load_dword v3, v0, s[0:3], 0 offen offset:4
	buffer_load_dword v4, v0, s[0:3], 0 offen offset:8
	;; [unrolled: 1-line block ×3, first 2 shown]
	v_mov_b32_e32 v0, 0
	v_accvgpr_read_b32 v1, a138
	buffer_store_dword v0, off, s[0:3], 0 offset:144
	buffer_store_dword v0, off, s[0:3], 0 offset:148
	;; [unrolled: 1-line block ×4, first 2 shown]
	s_waitcnt vmcnt(4)
	ds_write_b128 v1, v[2:5]
.LBB109_273:
	s_or_b64 exec, exec, s[4:5]
	s_waitcnt lgkmcnt(0)
	; wave barrier
	s_waitcnt lgkmcnt(0)
	buffer_load_dword v66, off, s[0:3], 0 offset:160
	buffer_load_dword v67, off, s[0:3], 0 offset:164
	;; [unrolled: 1-line block ×55, first 2 shown]
	v_mov_b32_e32 v1, 0
	ds_read_b128 v[74:77], v1 offset:880
	ds_read_b128 v[86:89], v1 offset:896
	ds_read_b128 v[98:101], v1 offset:912
	ds_read_b128 v[110:113], v1 offset:928
	ds_read_b128 v[114:117], v1 offset:944
	ds_read_b128 v[240:243], v1 offset:960
	ds_read_b128 v[244:247], v1 offset:976
	ds_read_b128 v[248:251], v1 offset:992
	ds_read_b128 v[2:5], v1 offset:1008
	buffer_load_dword v136, off, s[0:3], 0 offset:384
	buffer_load_dword v155, off, s[0:3], 0 offset:380
	;; [unrolled: 1-line block ×61, first 2 shown]
	v_cmp_lt_u32_e32 vcc, 7, v254
	s_waitcnt vmcnt(62) lgkmcnt(8)
	v_mul_f64 v[6:7], v[74:75], v[68:69]
	v_fmac_f64_e32 v[6:7], v[76:77], v[66:67]
	v_add_f64 v[6:7], v[6:7], 0
	v_mul_f64 v[68:69], v[76:77], v[68:69]
	s_waitcnt lgkmcnt(7)
	v_mul_f64 v[8:9], v[86:87], v[72:73]
	v_fmac_f64_e32 v[8:9], v[88:89], v[70:71]
	s_waitcnt lgkmcnt(6)
	v_mul_f64 v[10:11], v[98:99], v[78:79]
	v_add_f64 v[6:7], v[6:7], v[8:9]
	s_waitcnt lgkmcnt(4)
	v_mul_f64 v[14:15], v[114:115], v[90:91]
	v_fma_f64 v[202:203], v[74:75], v[66:67], -v[68:69]
	v_fmac_f64_e32 v[14:15], v[116:117], v[92:93]
	v_mul_f64 v[72:73], v[88:89], v[72:73]
	v_mul_f64 v[12:13], v[110:111], v[82:83]
	;; [unrolled: 1-line block ×3, first 2 shown]
	s_waitcnt lgkmcnt(2)
	v_mul_f64 v[18:19], v[244:245], v[102:103]
	v_mul_f64 v[82:83], v[112:113], v[82:83]
	;; [unrolled: 1-line block ×4, first 2 shown]
	v_fma_f64 v[208:209], v[114:115], v[92:93], -v[90:91]
	s_waitcnt lgkmcnt(1)
	v_mul_f64 v[20:21], v[248:249], v[106:107]
	v_fmac_f64_e32 v[20:21], v[250:251], v[108:109]
	v_fmac_f64_e32 v[10:11], v[100:101], v[80:81]
	v_add_f64 v[6:7], v[6:7], v[10:11]
	v_fmac_f64_e32 v[12:13], v[112:113], v[84:85]
	v_add_f64 v[6:7], v[6:7], v[12:13]
	;; [unrolled: 2-line block ×4, first 2 shown]
	v_add_f64 v[6:7], v[6:7], v[18:19]
	v_add_f64 v[10:11], v[6:7], v[20:21]
	ds_read_b128 v[6:9], v1 offset:1024
	s_waitcnt lgkmcnt(1)
	v_mul_f64 v[12:13], v[2:3], v[118:119]
	v_fmac_f64_e32 v[12:13], v[4:5], v[120:121]
	v_add_f64 v[14:15], v[10:11], v[12:13]
	ds_read_b128 v[10:13], v1 offset:1040
	s_waitcnt lgkmcnt(1)
	v_mul_f64 v[16:17], v[6:7], v[126:127]
	v_fmac_f64_e32 v[16:17], v[8:9], v[128:129]
	;; [unrolled: 5-line block ×5, first 2 shown]
	v_add_f64 v[30:31], v[26:27], v[28:29]
	ds_read_b128 v[26:29], v1 offset:1104
	s_waitcnt vmcnt(58) lgkmcnt(1)
	v_mul_f64 v[32:33], v[22:23], v[154:155]
	s_waitcnt vmcnt(56)
	v_fmac_f64_e32 v[32:33], v[24:25], v[158:159]
	v_add_f64 v[34:35], v[30:31], v[32:33]
	ds_read_b128 v[30:33], v1 offset:1120
	s_waitcnt lgkmcnt(1)
	v_mul_f64 v[36:37], v[26:27], v[134:135]
	v_fmac_f64_e32 v[36:37], v[28:29], v[136:137]
	v_add_f64 v[38:39], v[34:35], v[36:37]
	ds_read_b128 v[34:37], v1 offset:1136
	s_waitcnt vmcnt(50) lgkmcnt(1)
	v_mul_f64 v[40:41], v[30:31], v[162:163]
	s_waitcnt vmcnt(48)
	v_fmac_f64_e32 v[40:41], v[32:33], v[166:167]
	v_add_f64 v[42:43], v[38:39], v[40:41]
	ds_read_b128 v[38:41], v1 offset:1152
	s_waitcnt lgkmcnt(1)
	v_mul_f64 v[44:45], v[34:35], v[142:143]
	v_fmac_f64_e32 v[44:45], v[36:37], v[144:145]
	v_add_f64 v[46:47], v[42:43], v[44:45]
	ds_read_b128 v[42:45], v1 offset:1168
	s_waitcnt vmcnt(42) lgkmcnt(1)
	v_mul_f64 v[48:49], v[38:39], v[170:171]
	s_waitcnt vmcnt(40)
	v_fmac_f64_e32 v[48:49], v[40:41], v[174:175]
	v_add_f64 v[50:51], v[46:47], v[48:49]
	ds_read_b128 v[46:49], v1 offset:1184
	buffer_load_dword v213, off, s[0:3], 0 offset:636
	buffer_load_dword v212, off, s[0:3], 0 offset:632
	;; [unrolled: 1-line block ×4, first 2 shown]
	s_waitcnt lgkmcnt(1)
	v_mul_f64 v[52:53], v[42:43], v[146:147]
	v_fmac_f64_e32 v[52:53], v[44:45], v[148:149]
	v_add_f64 v[54:55], v[50:51], v[52:53]
	ds_read_b128 v[50:53], v1 offset:1200
	buffer_load_dword v217, off, s[0:3], 0 offset:652
	buffer_load_dword v216, off, s[0:3], 0 offset:648
	;; [unrolled: 1-line block ×8, first 2 shown]
	s_waitcnt vmcnt(46) lgkmcnt(1)
	v_mul_f64 v[56:57], v[46:47], v[178:179]
	s_waitcnt vmcnt(44)
	v_fmac_f64_e32 v[56:57], v[48:49], v[182:183]
	v_add_f64 v[58:59], v[54:55], v[56:57]
	ds_read_b128 v[54:57], v1 offset:1216
	buffer_load_dword v227, off, s[0:3], 0 offset:684
	buffer_load_dword v226, off, s[0:3], 0 offset:680
	;; [unrolled: 1-line block ×12, first 2 shown]
	s_waitcnt lgkmcnt(1)
	v_mul_f64 v[60:61], v[50:51], v[150:151]
	v_fmac_f64_e32 v[60:61], v[52:53], v[152:153]
	v_add_f64 v[62:63], v[58:59], v[60:61]
	ds_read_b128 v[58:61], v1 offset:1232
	s_waitcnt vmcnt(50) lgkmcnt(1)
	v_mul_f64 v[64:65], v[54:55], v[186:187]
	s_waitcnt vmcnt(48)
	v_fmac_f64_e32 v[64:65], v[56:57], v[188:189]
	v_add_f64 v[62:63], v[62:63], v[64:65]
	buffer_load_dword v237, off, s[0:3], 0 offset:732
	buffer_load_dword v236, off, s[0:3], 0 offset:728
	;; [unrolled: 1-line block ×4, first 2 shown]
	s_waitcnt lgkmcnt(0)
	v_mul_f64 v[64:65], v[58:59], v[156:157]
	v_fmac_f64_e32 v[64:65], v[60:61], v[160:161]
	v_add_f64 v[192:193], v[62:63], v[64:65]
	ds_read_b128 v[62:65], v1 offset:1248
	ds_read_b128 v[66:69], v1 offset:1264
	v_fma_f64 v[204:205], v[98:99], v[80:81], -v[78:79]
	ds_read_b128 v[78:81], v1 offset:1312
	v_fma_f64 v[206:207], v[110:111], v[84:85], -v[82:83]
	ds_read_b128 v[82:85], v1 offset:1328
	s_waitcnt vmcnt(46) lgkmcnt(3)
	v_mul_f64 v[74:75], v[62:63], v[190:191]
	s_waitcnt vmcnt(44)
	v_fmac_f64_e32 v[74:75], v[64:65], v[194:195]
	v_add_f64 v[74:75], v[192:193], v[74:75]
	v_fma_f64 v[192:193], v[86:87], v[70:71], -v[72:73]
	ds_read_b128 v[70:73], v1 offset:1280
	s_waitcnt lgkmcnt(3)
	v_mul_f64 v[76:77], v[66:67], v[164:165]
	v_fmac_f64_e32 v[76:77], v[68:69], v[168:169]
	v_add_f64 v[86:87], v[74:75], v[76:77]
	ds_read_b128 v[74:77], v1 offset:1296
	s_waitcnt vmcnt(38) lgkmcnt(1)
	v_mul_f64 v[88:89], v[70:71], v[196:197]
	s_waitcnt vmcnt(36)
	v_fmac_f64_e32 v[88:89], v[72:73], v[198:199]
	v_add_f64 v[86:87], v[86:87], v[88:89]
	ds_read_b128 v[90:93], v1 offset:1360
	s_waitcnt lgkmcnt(1)
	v_mul_f64 v[88:89], v[74:75], v[172:173]
	v_fmac_f64_e32 v[88:89], v[76:77], v[176:177]
	v_add_f64 v[86:87], v[86:87], v[88:89]
	s_waitcnt vmcnt(30)
	v_mul_f64 v[88:89], v[78:79], v[200:201]
	s_waitcnt vmcnt(28)
	v_fmac_f64_e32 v[88:89], v[80:81], v[210:211]
	v_add_f64 v[86:87], v[86:87], v[88:89]
	v_mul_f64 v[88:89], v[82:83], v[180:181]
	v_fmac_f64_e32 v[88:89], v[84:85], v[184:185]
	v_add_f64 v[98:99], v[86:87], v[88:89]
	ds_read_b128 v[86:89], v1 offset:1344
	v_mul_f64 v[94:95], v[242:243], v[94:95]
	v_fma_f64 v[252:253], v[240:241], v[96:97], -v[94:95]
	ds_read_b128 v[94:97], v1 offset:1376
	v_mul_f64 v[102:103], v[246:247], v[102:103]
	v_fma_f64 v[246:247], v[244:245], v[104:105], -v[102:103]
	;; [unrolled: 3-line block ×3, first 2 shown]
	v_add_f64 v[202:203], v[202:203], 0
	v_add_f64 v[192:193], v[202:203], v[192:193]
	;; [unrolled: 1-line block ×7, first 2 shown]
	v_mul_f64 v[4:5], v[4:5], v[118:119]
	v_add_f64 v[192:193], v[252:253], v[250:251]
	v_fma_f64 v[2:3], v[2:3], v[120:121], -v[4:5]
	v_mul_f64 v[4:5], v[8:9], v[126:127]
	v_add_f64 v[2:3], v[192:193], v[2:3]
	v_fma_f64 v[4:5], v[6:7], v[128:129], -v[4:5]
	v_add_f64 v[2:3], v[2:3], v[4:5]
	ds_read_b128 v[106:109], v1 offset:1424
	v_mul_f64 v[4:5], v[12:13], v[122:123]
	v_fma_f64 v[4:5], v[10:11], v[124:125], -v[4:5]
	v_add_f64 v[2:3], v[2:3], v[4:5]
	s_waitcnt vmcnt(26) lgkmcnt(3)
	v_mul_f64 v[100:101], v[86:87], v[212:213]
	v_mul_f64 v[4:5], v[16:17], v[138:139]
	s_waitcnt vmcnt(24)
	v_fmac_f64_e32 v[100:101], v[88:89], v[214:215]
	v_add_f64 v[98:99], v[98:99], v[100:101]
	s_waitcnt vmcnt(22)
	v_mul_f64 v[100:101], v[90:91], v[216:217]
	s_waitcnt vmcnt(20)
	v_fmac_f64_e32 v[100:101], v[92:93], v[220:221]
	v_add_f64 v[98:99], v[98:99], v[100:101]
	s_waitcnt vmcnt(18) lgkmcnt(2)
	v_mul_f64 v[100:101], v[94:95], v[218:219]
	s_waitcnt vmcnt(16)
	v_fmac_f64_e32 v[100:101], v[96:97], v[222:223]
	v_add_f64 v[110:111], v[98:99], v[100:101]
	ds_read_b128 v[98:101], v1 offset:1392
	v_fma_f64 v[4:5], v[14:15], v[140:141], -v[4:5]
	v_add_f64 v[2:3], v[2:3], v[4:5]
	v_mul_f64 v[4:5], v[20:21], v[130:131]
	v_fma_f64 v[4:5], v[18:19], v[132:133], -v[4:5]
	s_waitcnt vmcnt(14) lgkmcnt(0)
	v_mul_f64 v[112:113], v[98:99], v[226:227]
	s_waitcnt vmcnt(12)
	v_fmac_f64_e32 v[112:113], v[100:101], v[228:229]
	v_add_f64 v[110:111], v[110:111], v[112:113]
	s_waitcnt vmcnt(9)
	v_mul_f64 v[112:113], v[102:103], v[232:233]
	s_waitcnt vmcnt(7)
	v_fmac_f64_e32 v[112:113], v[104:105], v[234:235]
	v_add_f64 v[110:111], v[110:111], v[112:113]
	s_waitcnt vmcnt(5)
	v_mul_f64 v[112:113], v[106:107], v[224:225]
	s_waitcnt vmcnt(4)
	v_fmac_f64_e32 v[112:113], v[108:109], v[230:231]
	v_add_f64 v[114:115], v[110:111], v[112:113]
	ds_read_b128 v[110:113], v1 offset:1440
	buffer_load_dword v242, off, s[0:3], 0 offset:744
	buffer_load_dword v243, off, s[0:3], 0 offset:748
	;; [unrolled: 1-line block ×4, first 2 shown]
	v_add_f64 v[2:3], v[2:3], v[4:5]
	v_mul_f64 v[4:5], v[24:25], v[154:155]
	v_fma_f64 v[4:5], v[22:23], v[158:159], -v[4:5]
	s_waitcnt vmcnt(6) lgkmcnt(0)
	v_mul_f64 v[116:117], v[110:111], v[236:237]
	s_waitcnt vmcnt(4)
	v_fmac_f64_e32 v[116:117], v[112:113], v[238:239]
	v_add_f64 v[240:241], v[114:115], v[116:117]
	ds_read_b128 v[114:117], v1 offset:1456
	v_add_f64 v[2:3], v[2:3], v[4:5]
	v_mul_f64 v[4:5], v[28:29], v[134:135]
	v_fma_f64 v[4:5], v[26:27], v[136:137], -v[4:5]
	v_add_f64 v[2:3], v[2:3], v[4:5]
	v_mul_f64 v[4:5], v[32:33], v[162:163]
	v_fma_f64 v[4:5], v[30:31], v[166:167], -v[4:5]
	;; [unrolled: 3-line block ×22, first 2 shown]
	v_add_f64 v[2:3], v[2:3], v[4:5]
	s_waitcnt vmcnt(2) lgkmcnt(0)
	v_mul_f64 v[248:249], v[114:115], v[242:243]
	v_mul_f64 v[4:5], v[116:117], v[242:243]
	s_waitcnt vmcnt(0)
	v_fmac_f64_e32 v[248:249], v[116:117], v[244:245]
	v_add_f64 v[240:241], v[240:241], v[248:249]
	buffer_load_dword v248, off, s[0:3], 0 offset:144
	buffer_load_dword v249, off, s[0:3], 0 offset:148
	;; [unrolled: 1-line block ×4, first 2 shown]
	v_fma_f64 v[4:5], v[114:115], v[244:245], -v[4:5]
	v_add_f64 v[2:3], v[2:3], v[4:5]
	s_waitcnt vmcnt(2)
	v_add_f64 v[2:3], v[248:249], -v[2:3]
	s_waitcnt vmcnt(0)
	v_add_f64 v[4:5], v[246:247], -v[240:241]
	buffer_store_dword v3, off, s[0:3], 0 offset:148
	buffer_store_dword v2, off, s[0:3], 0 offset:144
	;; [unrolled: 1-line block ×4, first 2 shown]
	s_and_saveexec_b64 s[4:5], vcc
	s_cbranch_execz .LBB109_275
; %bb.274:
	v_accvgpr_read_b32 v0, a130
	buffer_load_dword v2, v0, s[0:3], 0 offen
	buffer_load_dword v3, v0, s[0:3], 0 offen offset:4
	buffer_load_dword v4, v0, s[0:3], 0 offen offset:8
	buffer_load_dword v5, v0, s[0:3], 0 offen offset:12
	v_accvgpr_read_b32 v0, a138
	buffer_store_dword v1, off, s[0:3], 0 offset:128
	buffer_store_dword v1, off, s[0:3], 0 offset:132
	buffer_store_dword v1, off, s[0:3], 0 offset:136
	buffer_store_dword v1, off, s[0:3], 0 offset:140
	s_waitcnt vmcnt(4)
	ds_write_b128 v0, v[2:5]
.LBB109_275:
	s_or_b64 exec, exec, s[4:5]
	s_waitcnt lgkmcnt(0)
	; wave barrier
	s_waitcnt lgkmcnt(0)
	buffer_load_dword v66, off, s[0:3], 0 offset:144
	buffer_load_dword v67, off, s[0:3], 0 offset:148
	;; [unrolled: 1-line block ×42, first 2 shown]
	ds_read_b128 v[78:81], v1 offset:864
	ds_read_b128 v[90:93], v1 offset:880
	;; [unrolled: 1-line block ×10, first 2 shown]
	buffer_load_dword v129, off, s[0:3], 0 offset:292
	buffer_load_dword v128, off, s[0:3], 0 offset:288
	ds_read_b128 v[6:9], v1 offset:1024
	buffer_load_dword v125, off, s[0:3], 0 offset:348
	buffer_load_dword v124, off, s[0:3], 0 offset:344
	;; [unrolled: 1-line block ×80, first 2 shown]
	s_waitcnt vmcnt(62) lgkmcnt(10)
	v_mul_f64 v[10:11], v[78:79], v[68:69]
	v_fmac_f64_e32 v[10:11], v[80:81], v[66:67]
	v_add_f64 v[10:11], v[10:11], 0
	v_mul_f64 v[68:69], v[80:81], v[68:69]
	s_waitcnt lgkmcnt(9)
	v_mul_f64 v[12:13], v[90:91], v[64:65]
	v_fmac_f64_e32 v[12:13], v[92:93], v[62:63]
	s_waitcnt lgkmcnt(8)
	v_mul_f64 v[14:15], v[102:103], v[70:71]
	v_add_f64 v[10:11], v[10:11], v[12:13]
	s_waitcnt lgkmcnt(6)
	v_mul_f64 v[18:19], v[114:115], v[82:83]
	v_mul_f64 v[64:65], v[92:93], v[64:65]
	v_fmac_f64_e32 v[18:19], v[116:117], v[84:85]
	v_fma_f64 v[204:205], v[90:91], v[62:63], -v[64:65]
	v_mul_f64 v[16:17], v[110:111], v[74:75]
	v_fma_f64 v[202:203], v[78:79], v[66:67], -v[68:69]
	s_waitcnt lgkmcnt(4)
	v_mul_f64 v[22:23], v[244:245], v[94:95]
	v_mul_f64 v[70:71], v[104:105], v[70:71]
	v_fmac_f64_e32 v[22:23], v[246:247], v[96:97]
	v_mul_f64 v[74:75], v[112:113], v[74:75]
	v_mul_f64 v[20:21], v[240:241], v[86:87]
	;; [unrolled: 1-line block ×3, first 2 shown]
	s_waitcnt lgkmcnt(2)
	v_mul_f64 v[26:27], v[252:253], v[106:107]
	v_fma_f64 v[208:209], v[114:115], v[84:85], -v[82:83]
	v_mul_f64 v[86:87], v[242:243], v[86:87]
	v_mul_f64 v[24:25], v[248:249], v[98:99]
	;; [unrolled: 1-line block ×3, first 2 shown]
	s_waitcnt lgkmcnt(1)
	v_mul_f64 v[28:29], v[118:119], v[4:5]
	v_fma_f64 v[246:247], v[244:245], v[96:97], -v[94:95]
	v_fmac_f64_e32 v[14:15], v[104:105], v[72:73]
	v_add_f64 v[10:11], v[10:11], v[14:15]
	v_fmac_f64_e32 v[16:17], v[112:113], v[76:77]
	v_add_f64 v[10:11], v[10:11], v[16:17]
	;; [unrolled: 2-line block ×3, first 2 shown]
	v_add_f64 v[10:11], v[10:11], v[20:21]
	v_fmac_f64_e32 v[24:25], v[250:251], v[100:101]
	v_add_f64 v[10:11], v[10:11], v[22:23]
	v_fmac_f64_e32 v[26:27], v[254:255], v[108:109]
	v_add_f64 v[10:11], v[10:11], v[24:25]
	v_add_f64 v[10:11], v[10:11], v[26:27]
	s_waitcnt lgkmcnt(0)
	v_mul_f64 v[16:17], v[6:7], v[2:3]
	v_fmac_f64_e32 v[28:29], v[120:121], v[128:129]
	v_add_f64 v[14:15], v[10:11], v[28:29]
	ds_read_b128 v[10:13], v1 offset:1040
	v_fmac_f64_e32 v[16:17], v[8:9], v[122:123]
	v_add_f64 v[18:19], v[14:15], v[16:17]
	ds_read_b128 v[14:17], v1 offset:1056
	v_fma_f64 v[206:207], v[110:111], v[76:77], -v[74:75]
	s_waitcnt lgkmcnt(1)
	v_mul_f64 v[20:21], v[10:11], v[130:131]
	v_fmac_f64_e32 v[20:21], v[12:13], v[146:147]
	v_add_f64 v[22:23], v[18:19], v[20:21]
	ds_read_b128 v[18:21], v1 offset:1072
	s_waitcnt lgkmcnt(1)
	v_mul_f64 v[24:25], v[14:15], v[124:125]
	v_fmac_f64_e32 v[24:25], v[16:17], v[126:127]
	v_add_f64 v[26:27], v[22:23], v[24:25]
	ds_read_b128 v[22:25], v1 offset:1088
	;; [unrolled: 5-line block ×4, first 2 shown]
	s_waitcnt vmcnt(58) lgkmcnt(1)
	v_mul_f64 v[36:37], v[26:27], v[158:159]
	s_waitcnt vmcnt(56)
	v_fmac_f64_e32 v[36:37], v[28:29], v[162:163]
	v_add_f64 v[38:39], v[34:35], v[36:37]
	ds_read_b128 v[34:37], v1 offset:1136
	s_waitcnt lgkmcnt(1)
	v_mul_f64 v[40:41], v[30:31], v[136:137]
	v_fmac_f64_e32 v[40:41], v[32:33], v[138:139]
	v_add_f64 v[42:43], v[38:39], v[40:41]
	ds_read_b128 v[38:41], v1 offset:1152
	s_waitcnt vmcnt(50) lgkmcnt(1)
	v_mul_f64 v[44:45], v[34:35], v[166:167]
	s_waitcnt vmcnt(48)
	v_fmac_f64_e32 v[44:45], v[36:37], v[170:171]
	v_add_f64 v[46:47], v[42:43], v[44:45]
	ds_read_b128 v[42:45], v1 offset:1168
	s_waitcnt lgkmcnt(1)
	v_mul_f64 v[48:49], v[38:39], v[140:141]
	v_fmac_f64_e32 v[48:49], v[40:41], v[142:143]
	v_add_f64 v[50:51], v[46:47], v[48:49]
	ds_read_b128 v[46:49], v1 offset:1184
	s_waitcnt vmcnt(42) lgkmcnt(1)
	v_mul_f64 v[52:53], v[42:43], v[174:175]
	s_waitcnt vmcnt(40)
	v_fmac_f64_e32 v[52:53], v[44:45], v[178:179]
	v_add_f64 v[54:55], v[50:51], v[52:53]
	ds_read_b128 v[50:53], v1 offset:1200
	s_waitcnt lgkmcnt(1)
	v_mul_f64 v[56:57], v[46:47], v[144:145]
	buffer_load_dword v217, off, s[0:3], 0 offset:652
	buffer_load_dword v216, off, s[0:3], 0 offset:648
	;; [unrolled: 1-line block ×4, first 2 shown]
	v_fmac_f64_e32 v[56:57], v[48:49], v[148:149]
	v_add_f64 v[58:59], v[54:55], v[56:57]
	ds_read_b128 v[54:57], v1 offset:1216
	buffer_load_dword v222, off, s[0:3], 0 offset:664
	buffer_load_dword v224, off, s[0:3], 0 offset:656
	;; [unrolled: 1-line block ×16, first 2 shown]
	s_waitcnt vmcnt(54) lgkmcnt(1)
	v_mul_f64 v[60:61], v[50:51], v[182:183]
	s_waitcnt vmcnt(52)
	v_fmac_f64_e32 v[60:61], v[52:53], v[186:187]
	v_add_f64 v[192:193], v[58:59], v[60:61]
	ds_read_b128 v[58:61], v1 offset:1232
	buffer_load_dword v236, off, s[0:3], 0 offset:728
	buffer_load_dword v238, off, s[0:3], 0 offset:720
	;; [unrolled: 1-line block ×4, first 2 shown]
	ds_read_b128 v[62:65], v1 offset:1248
	s_waitcnt lgkmcnt(2)
	v_mul_f64 v[66:67], v[54:55], v[152:153]
	v_fmac_f64_e32 v[66:67], v[56:57], v[156:157]
	s_waitcnt vmcnt(50) lgkmcnt(1)
	v_mul_f64 v[68:69], v[58:59], v[190:191]
	v_add_f64 v[66:67], v[192:193], v[66:67]
	s_waitcnt vmcnt(48)
	v_fmac_f64_e32 v[68:69], v[60:61], v[194:195]
	v_add_f64 v[66:67], v[66:67], v[68:69]
	v_fma_f64 v[192:193], v[102:103], v[72:73], -v[70:71]
	ds_read_b128 v[70:73], v1 offset:1280
	s_waitcnt lgkmcnt(1)
	v_mul_f64 v[68:69], v[62:63], v[160:161]
	v_fmac_f64_e32 v[68:69], v[64:65], v[164:165]
	v_add_f64 v[78:79], v[66:67], v[68:69]
	ds_read_b128 v[66:69], v1 offset:1264
	ds_read_b128 v[74:77], v1 offset:1296
	ds_read_b128 v[82:85], v1 offset:1328
	v_accvgpr_write_b32 a141, v3
	v_accvgpr_write_b32 a140, v2
	s_waitcnt vmcnt(42) lgkmcnt(2)
	v_mul_f64 v[80:81], v[66:67], v[196:197]
	s_waitcnt vmcnt(40)
	v_fmac_f64_e32 v[80:81], v[68:69], v[198:199]
	v_add_f64 v[78:79], v[78:79], v[80:81]
	v_mul_f64 v[80:81], v[70:71], v[168:169]
	v_fmac_f64_e32 v[80:81], v[72:73], v[172:173]
	v_add_f64 v[90:91], v[78:79], v[80:81]
	ds_read_b128 v[78:81], v1 offset:1312
	s_waitcnt vmcnt(34) lgkmcnt(2)
	v_mul_f64 v[92:93], v[74:75], v[200:201]
	s_waitcnt vmcnt(32)
	v_fmac_f64_e32 v[92:93], v[76:77], v[210:211]
	v_fma_f64 v[2:3], v[240:241], v[88:89], -v[86:87]
	ds_read_b128 v[86:89], v1 offset:1344
	ds_read_b128 v[94:97], v1 offset:1376
	v_add_f64 v[90:91], v[90:91], v[92:93]
	s_waitcnt lgkmcnt(2)
	v_mul_f64 v[92:93], v[78:79], v[176:177]
	v_fmac_f64_e32 v[92:93], v[80:81], v[180:181]
	v_add_f64 v[90:91], v[90:91], v[92:93]
	s_waitcnt vmcnt(26)
	v_mul_f64 v[92:93], v[82:83], v[212:213]
	s_waitcnt vmcnt(24)
	v_fmac_f64_e32 v[92:93], v[84:85], v[214:215]
	v_add_f64 v[90:91], v[90:91], v[92:93]
	s_waitcnt lgkmcnt(1)
	v_mul_f64 v[92:93], v[86:87], v[184:185]
	v_fmac_f64_e32 v[92:93], v[88:89], v[188:189]
	v_add_f64 v[102:103], v[90:91], v[92:93]
	ds_read_b128 v[90:93], v1 offset:1360
	v_mul_f64 v[98:99], v[250:251], v[98:99]
	v_fma_f64 v[250:251], v[248:249], v[100:101], -v[98:99]
	ds_read_b128 v[98:101], v1 offset:1392
	v_mul_f64 v[106:107], v[254:255], v[106:107]
	v_fma_f64 v[252:253], v[252:253], v[108:109], -v[106:107]
	v_add_f64 v[202:203], v[202:203], 0
	v_add_f64 v[202:203], v[202:203], v[204:205]
	;; [unrolled: 1-line block ×8, first 2 shown]
	v_mul_f64 v[4:5], v[120:121], v[4:5]
	v_add_f64 v[2:3], v[2:3], v[252:253]
	v_fma_f64 v[4:5], v[118:119], v[128:129], -v[4:5]
	v_add_f64 v[2:3], v[2:3], v[4:5]
	ds_read_b128 v[106:109], v1 offset:1424
	s_waitcnt vmcnt(13) lgkmcnt(1)
	v_mul_f64 v[112:113], v[98:99], v[226:227]
	v_mul_f64 v[104:105], v[90:91], v[216:217]
	s_waitcnt vmcnt(11)
	v_fmac_f64_e32 v[112:113], v[100:101], v[232:233]
	v_fmac_f64_e32 v[104:105], v[92:93], v[218:219]
	v_add_f64 v[102:103], v[102:103], v[104:105]
	v_mul_f64 v[104:105], v[94:95], v[222:223]
	v_fmac_f64_e32 v[104:105], v[96:97], v[224:225]
	v_add_f64 v[110:111], v[102:103], v[104:105]
	ds_read_b128 v[102:105], v1 offset:1408
	v_add_f64 v[110:111], v[110:111], v[112:113]
	s_waitcnt vmcnt(10) lgkmcnt(0)
	v_mul_f64 v[112:113], v[102:103], v[220:221]
	s_waitcnt vmcnt(8)
	v_fmac_f64_e32 v[112:113], v[104:105], v[230:231]
	v_add_f64 v[110:111], v[110:111], v[112:113]
	s_waitcnt vmcnt(6)
	v_mul_f64 v[112:113], v[106:107], v[228:229]
	s_waitcnt vmcnt(4)
	v_fmac_f64_e32 v[112:113], v[108:109], v[234:235]
	v_add_f64 v[114:115], v[110:111], v[112:113]
	ds_read_b128 v[110:113], v1 offset:1440
	buffer_load_dword v243, off, s[0:3], 0 offset:748
	buffer_load_dword v242, off, s[0:3], 0 offset:744
	;; [unrolled: 1-line block ×4, first 2 shown]
	s_waitcnt vmcnt(5) lgkmcnt(0)
	v_mul_f64 v[116:117], v[110:111], v[236:237]
	s_waitcnt vmcnt(4)
	v_fmac_f64_e32 v[116:117], v[112:113], v[238:239]
	v_add_f64 v[240:241], v[114:115], v[116:117]
	ds_read_b128 v[114:117], v1 offset:1456
	v_accvgpr_read_b32 v0, a140
	v_accvgpr_read_b32 v1, a141
	v_mul_f64 v[4:5], v[8:9], v[0:1]
	v_fma_f64 v[4:5], v[6:7], v[122:123], -v[4:5]
	v_add_f64 v[2:3], v[2:3], v[4:5]
	v_mul_f64 v[4:5], v[12:13], v[130:131]
	v_fma_f64 v[4:5], v[10:11], v[146:147], -v[4:5]
	v_add_f64 v[2:3], v[2:3], v[4:5]
	;; [unrolled: 3-line block ×22, first 2 shown]
	v_mul_f64 v[4:5], v[96:97], v[222:223]
	v_fma_f64 v[4:5], v[94:95], v[224:225], -v[4:5]
	s_waitcnt vmcnt(2) lgkmcnt(0)
	v_mul_f64 v[248:249], v[114:115], v[242:243]
	v_add_f64 v[2:3], v[2:3], v[4:5]
	s_waitcnt vmcnt(0)
	v_fmac_f64_e32 v[248:249], v[116:117], v[244:245]
	v_add_f64 v[240:241], v[240:241], v[248:249]
	buffer_load_dword v248, off, s[0:3], 0 offset:128
	buffer_load_dword v249, off, s[0:3], 0 offset:132
	;; [unrolled: 1-line block ×4, first 2 shown]
	v_mul_f64 v[4:5], v[100:101], v[226:227]
	v_fma_f64 v[4:5], v[98:99], v[232:233], -v[4:5]
	v_add_f64 v[2:3], v[2:3], v[4:5]
	v_mul_f64 v[4:5], v[104:105], v[220:221]
	v_fma_f64 v[4:5], v[102:103], v[230:231], -v[4:5]
	v_add_f64 v[2:3], v[2:3], v[4:5]
	v_mul_f64 v[4:5], v[108:109], v[228:229]
	v_fma_f64 v[4:5], v[106:107], v[234:235], -v[4:5]
	v_add_f64 v[2:3], v[2:3], v[4:5]
	v_mul_f64 v[4:5], v[112:113], v[236:237]
	v_fma_f64 v[4:5], v[110:111], v[238:239], -v[4:5]
	v_add_f64 v[2:3], v[2:3], v[4:5]
	v_mul_f64 v[4:5], v[116:117], v[242:243]
	v_fma_f64 v[4:5], v[114:115], v[244:245], -v[4:5]
	v_add_f64 v[2:3], v[2:3], v[4:5]
	v_accvgpr_read_b32 v0, a137
	v_cmp_lt_u32_e32 vcc, 6, v0
	s_waitcnt vmcnt(2)
	v_add_f64 v[2:3], v[248:249], -v[2:3]
	s_waitcnt vmcnt(0)
	v_add_f64 v[4:5], v[246:247], -v[240:241]
	buffer_store_dword v3, off, s[0:3], 0 offset:132
	buffer_store_dword v2, off, s[0:3], 0 offset:128
	;; [unrolled: 1-line block ×4, first 2 shown]
	s_and_saveexec_b64 s[4:5], vcc
	s_cbranch_execz .LBB109_277
; %bb.276:
	v_accvgpr_read_b32 v0, a131
	buffer_load_dword v2, v0, s[0:3], 0 offen
	buffer_load_dword v3, v0, s[0:3], 0 offen offset:4
	buffer_load_dword v4, v0, s[0:3], 0 offen offset:8
	;; [unrolled: 1-line block ×3, first 2 shown]
	v_mov_b32_e32 v0, 0
	v_accvgpr_read_b32 v1, a138
	buffer_store_dword v0, off, s[0:3], 0 offset:112
	buffer_store_dword v0, off, s[0:3], 0 offset:116
	;; [unrolled: 1-line block ×4, first 2 shown]
	s_waitcnt vmcnt(4)
	ds_write_b128 v1, v[2:5]
.LBB109_277:
	s_or_b64 exec, exec, s[4:5]
	s_waitcnt lgkmcnt(0)
	; wave barrier
	s_waitcnt lgkmcnt(0)
	buffer_load_dword v54, off, s[0:3], 0 offset:128
	buffer_load_dword v55, off, s[0:3], 0 offset:132
	;; [unrolled: 1-line block ×49, first 2 shown]
	s_waitcnt vmcnt(8)
	v_accvgpr_write_b32 a141, v3
	s_waitcnt vmcnt(7)
	v_pk_mov_b32 v[4:5], v[0:1], v[0:1] op_sel:[0,1]
	v_mov_b32_e32 v1, 0
	ds_read_b128 v[62:65], v1 offset:848
	ds_read_b128 v[74:77], v1 offset:864
	ds_read_b128 v[86:89], v1 offset:880
	ds_read_b128 v[98:101], v1 offset:896
	ds_read_b128 v[110:113], v1 offset:912
	ds_read_b128 v[114:117], v1 offset:928
	ds_read_b128 v[238:241], v1 offset:944
	ds_read_b128 v[242:245], v1 offset:960
	ds_read_b128 v[246:249], v1 offset:976
	ds_read_b128 v[250:253], v1 offset:992
	ds_read_b128 v[118:121], v1 offset:1008
	s_waitcnt lgkmcnt(10)
	v_mul_f64 v[6:7], v[62:63], v[56:57]
	s_waitcnt lgkmcnt(9)
	v_mul_f64 v[8:9], v[74:75], v[60:61]
	v_fmac_f64_e32 v[6:7], v[64:65], v[54:55]
	s_waitcnt lgkmcnt(8)
	v_mul_f64 v[10:11], v[86:87], v[66:67]
	v_fmac_f64_e32 v[8:9], v[76:77], v[58:59]
	v_add_f64 v[6:7], v[6:7], 0
	s_waitcnt lgkmcnt(7)
	v_mul_f64 v[12:13], v[98:99], v[70:71]
	v_fmac_f64_e32 v[10:11], v[88:89], v[68:69]
	v_add_f64 v[6:7], v[6:7], v[8:9]
	;; [unrolled: 4-line block ×4, first 2 shown]
	buffer_load_dword v126, off, s[0:3], 0 offset:312
	buffer_load_dword v143, off, s[0:3], 0 offset:308
	;; [unrolled: 1-line block ×75, first 2 shown]
	s_waitcnt lgkmcnt(4)
	v_mul_f64 v[18:19], v[238:239], v[90:91]
	v_fmac_f64_e32 v[16:17], v[116:117], v[84:85]
	v_add_f64 v[6:7], v[6:7], v[14:15]
	s_waitcnt lgkmcnt(3)
	v_mul_f64 v[20:21], v[242:243], v[94:95]
	v_fmac_f64_e32 v[18:19], v[240:241], v[92:93]
	v_add_f64 v[6:7], v[6:7], v[16:17]
	;; [unrolled: 4-line block ×4, first 2 shown]
	v_add_f64 v[6:7], v[6:7], v[22:23]
	s_waitcnt vmcnt(62)
	v_fmac_f64_e32 v[24:25], v[252:253], v[108:109]
	v_add_f64 v[10:11], v[6:7], v[24:25]
	ds_read_b128 v[6:9], v1 offset:1024
	s_waitcnt lgkmcnt(1)
	v_mul_f64 v[12:13], v[118:119], v[4:5]
	v_fmac_f64_e32 v[12:13], v[120:121], v[2:3]
	v_add_f64 v[14:15], v[10:11], v[12:13]
	ds_read_b128 v[10:13], v1 offset:1040
	s_waitcnt lgkmcnt(1)
	v_mul_f64 v[16:17], v[6:7], v[126:127]
	v_fmac_f64_e32 v[16:17], v[8:9], v[142:143]
	v_add_f64 v[18:19], v[14:15], v[16:17]
	ds_read_b128 v[14:17], v1 offset:1056
	s_waitcnt lgkmcnt(1)
	v_mul_f64 v[20:21], v[10:11], v[122:123]
	v_fmac_f64_e32 v[20:21], v[12:13], v[124:125]
	v_add_f64 v[22:23], v[18:19], v[20:21]
	ds_read_b128 v[18:21], v1 offset:1072
	s_waitcnt lgkmcnt(1)
	v_mul_f64 v[24:25], v[14:15], v[146:147]
	v_fmac_f64_e32 v[24:25], v[16:17], v[150:151]
	v_add_f64 v[26:27], v[22:23], v[24:25]
	ds_read_b128 v[22:25], v1 offset:1088
	s_waitcnt lgkmcnt(1)
	v_mul_f64 v[28:29], v[18:19], v[128:129]
	v_fmac_f64_e32 v[28:29], v[20:21], v[130:131]
	v_add_f64 v[30:31], v[26:27], v[28:29]
	ds_read_b128 v[26:29], v1 offset:1104
	s_waitcnt vmcnt(58) lgkmcnt(1)
	v_mul_f64 v[32:33], v[22:23], v[154:155]
	s_waitcnt vmcnt(56)
	v_fmac_f64_e32 v[32:33], v[24:25], v[158:159]
	v_add_f64 v[34:35], v[30:31], v[32:33]
	ds_read_b128 v[30:33], v1 offset:1120
	s_waitcnt lgkmcnt(1)
	v_mul_f64 v[36:37], v[26:27], v[132:133]
	v_fmac_f64_e32 v[36:37], v[28:29], v[134:135]
	v_add_f64 v[38:39], v[34:35], v[36:37]
	ds_read_b128 v[34:37], v1 offset:1136
	s_waitcnt vmcnt(50) lgkmcnt(1)
	v_mul_f64 v[40:41], v[30:31], v[162:163]
	s_waitcnt vmcnt(48)
	v_fmac_f64_e32 v[40:41], v[32:33], v[166:167]
	v_add_f64 v[42:43], v[38:39], v[40:41]
	ds_read_b128 v[38:41], v1 offset:1152
	s_waitcnt lgkmcnt(1)
	v_mul_f64 v[44:45], v[34:35], v[136:137]
	;; [unrolled: 11-line block ×3, first 2 shown]
	buffer_load_dword v199, off, s[0:3], 0 offset:636
	buffer_load_dword v198, off, s[0:3], 0 offset:632
	;; [unrolled: 1-line block ×4, first 2 shown]
	v_fmac_f64_e32 v[52:53], v[44:45], v[144:145]
	v_add_f64 v[192:193], v[50:51], v[52:53]
	ds_read_b128 v[50:53], v1 offset:1200
	buffer_load_dword v218, off, s[0:3], 0 offset:648
	buffer_load_dword v220, off, s[0:3], 0 offset:640
	;; [unrolled: 1-line block ×20, first 2 shown]
	v_mul_f64 v[56:57], v[64:65], v[56:57]
	v_fma_f64 v[202:203], v[62:63], v[54:55], -v[56:57]
	ds_read_b128 v[54:57], v1 offset:1216
	v_mul_f64 v[60:61], v[76:77], v[60:61]
	v_fma_f64 v[204:205], v[74:75], v[58:59], -v[60:61]
	ds_read_b128 v[58:61], v1 offset:1232
	s_waitcnt vmcnt(58) lgkmcnt(3)
	v_mul_f64 v[200:201], v[46:47], v[178:179]
	s_waitcnt vmcnt(56)
	v_fmac_f64_e32 v[200:201], v[48:49], v[182:183]
	s_waitcnt lgkmcnt(2)
	v_mul_f64 v[62:63], v[50:51], v[148:149]
	v_add_f64 v[192:193], v[192:193], v[200:201]
	v_fmac_f64_e32 v[62:63], v[52:53], v[152:153]
	s_waitcnt vmcnt(50) lgkmcnt(1)
	v_mul_f64 v[64:65], v[54:55], v[186:187]
	v_add_f64 v[62:63], v[192:193], v[62:63]
	s_waitcnt vmcnt(48)
	v_fmac_f64_e32 v[64:65], v[56:57], v[188:189]
	v_add_f64 v[62:63], v[62:63], v[64:65]
	s_waitcnt lgkmcnt(0)
	v_mul_f64 v[64:65], v[58:59], v[156:157]
	v_fmac_f64_e32 v[64:65], v[60:61], v[160:161]
	v_add_f64 v[74:75], v[62:63], v[64:65]
	ds_read_b128 v[62:65], v1 offset:1248
	v_mul_f64 v[66:67], v[88:89], v[66:67]
	v_fma_f64 v[192:193], v[86:87], v[68:69], -v[66:67]
	ds_read_b128 v[66:69], v1 offset:1264
	v_mul_f64 v[70:71], v[100:101], v[70:71]
	s_waitcnt vmcnt(42) lgkmcnt(1)
	v_mul_f64 v[76:77], v[62:63], v[190:191]
	s_waitcnt vmcnt(40)
	v_fmac_f64_e32 v[76:77], v[64:65], v[194:195]
	v_add_f64 v[74:75], v[74:75], v[76:77]
	v_fma_f64 v[206:207], v[98:99], v[72:73], -v[70:71]
	ds_read_b128 v[70:73], v1 offset:1280
	s_waitcnt lgkmcnt(1)
	v_mul_f64 v[76:77], v[66:67], v[164:165]
	v_fmac_f64_e32 v[76:77], v[68:69], v[168:169]
	v_add_f64 v[86:87], v[74:75], v[76:77]
	ds_read_b128 v[74:77], v1 offset:1296
	v_mul_f64 v[78:79], v[112:113], v[78:79]
	v_fma_f64 v[208:209], v[110:111], v[80:81], -v[78:79]
	ds_read_b128 v[78:81], v1 offset:1312
	s_waitcnt vmcnt(34) lgkmcnt(2)
	v_mul_f64 v[88:89], v[70:71], v[196:197]
	v_mul_f64 v[82:83], v[116:117], v[82:83]
	s_waitcnt vmcnt(32)
	v_fmac_f64_e32 v[88:89], v[72:73], v[210:211]
	v_fma_f64 v[254:255], v[114:115], v[84:85], -v[82:83]
	ds_read_b128 v[82:85], v1 offset:1328
	v_add_f64 v[86:87], v[86:87], v[88:89]
	s_waitcnt lgkmcnt(2)
	v_mul_f64 v[88:89], v[74:75], v[172:173]
	v_fmac_f64_e32 v[88:89], v[76:77], v[176:177]
	v_add_f64 v[86:87], v[86:87], v[88:89]
	s_waitcnt vmcnt(26) lgkmcnt(1)
	v_mul_f64 v[88:89], v[78:79], v[212:213]
	s_waitcnt vmcnt(24)
	v_fmac_f64_e32 v[88:89], v[80:81], v[214:215]
	v_add_f64 v[86:87], v[86:87], v[88:89]
	s_waitcnt lgkmcnt(0)
	v_mul_f64 v[88:89], v[82:83], v[180:181]
	v_fmac_f64_e32 v[88:89], v[84:85], v[184:185]
	v_add_f64 v[98:99], v[86:87], v[88:89]
	ds_read_b128 v[86:89], v1 offset:1344
	v_accvgpr_write_b32 a143, v5
	v_mul_f64 v[90:91], v[240:241], v[90:91]
	v_accvgpr_write_b32 a142, v4
	v_fma_f64 v[4:5], v[238:239], v[92:93], -v[90:91]
	ds_read_b128 v[90:93], v1 offset:1360
	v_mul_f64 v[94:95], v[244:245], v[94:95]
	v_accvgpr_write_b32 a140, v2
	v_fma_f64 v[2:3], v[242:243], v[96:97], -v[94:95]
	ds_read_b128 v[94:97], v1 offset:1376
	v_mul_f64 v[102:103], v[248:249], v[102:103]
	v_fma_f64 v[246:247], v[246:247], v[104:105], -v[102:103]
	ds_read_b128 v[102:105], v1 offset:1408
	v_mul_f64 v[106:107], v[252:253], v[106:107]
	v_fma_f64 v[250:251], v[250:251], v[108:109], -v[106:107]
	ds_read_b128 v[106:109], v1 offset:1424
	v_add_f64 v[202:203], v[202:203], 0
	v_add_f64 v[202:203], v[202:203], v[204:205]
	;; [unrolled: 1-line block ×5, first 2 shown]
	s_waitcnt vmcnt(22) lgkmcnt(4)
	v_mul_f64 v[100:101], v[86:87], v[198:199]
	v_add_f64 v[192:193], v[192:193], v[254:255]
	s_waitcnt vmcnt(20)
	v_fmac_f64_e32 v[100:101], v[88:89], v[216:217]
	v_add_f64 v[98:99], v[98:99], v[100:101]
	v_add_f64 v[4:5], v[192:193], v[4:5]
	s_waitcnt vmcnt(17) lgkmcnt(3)
	v_mul_f64 v[100:101], v[90:91], v[218:219]
	s_waitcnt vmcnt(16)
	v_fmac_f64_e32 v[100:101], v[92:93], v[220:221]
	v_add_f64 v[110:111], v[98:99], v[100:101]
	ds_read_b128 v[98:101], v1 offset:1392
	s_waitcnt vmcnt(14) lgkmcnt(3)
	v_mul_f64 v[112:113], v[94:95], v[224:225]
	s_waitcnt vmcnt(12)
	v_fmac_f64_e32 v[112:113], v[96:97], v[228:229]
	buffer_load_dword v201, off, s[0:3], 0 offset:732
	buffer_load_dword v200, off, s[0:3], 0 offset:728
	;; [unrolled: 1-line block ×4, first 2 shown]
	v_add_f64 v[110:111], v[110:111], v[112:113]
	s_waitcnt vmcnt(14) lgkmcnt(0)
	v_mul_f64 v[112:113], v[98:99], v[226:227]
	s_waitcnt vmcnt(12)
	v_fmac_f64_e32 v[112:113], v[100:101], v[230:231]
	v_add_f64 v[110:111], v[110:111], v[112:113]
	s_waitcnt vmcnt(9)
	v_mul_f64 v[112:113], v[102:103], v[234:235]
	s_waitcnt vmcnt(7)
	v_fmac_f64_e32 v[112:113], v[104:105], v[236:237]
	v_add_f64 v[110:111], v[110:111], v[112:113]
	s_waitcnt vmcnt(5)
	v_mul_f64 v[112:113], v[106:107], v[222:223]
	s_waitcnt vmcnt(4)
	v_fmac_f64_e32 v[112:113], v[108:109], v[232:233]
	v_add_f64 v[114:115], v[110:111], v[112:113]
	ds_read_b128 v[110:113], v1 offset:1440
	buffer_load_dword v242, off, s[0:3], 0 offset:744
	buffer_load_dword v243, off, s[0:3], 0 offset:748
	;; [unrolled: 1-line block ×4, first 2 shown]
	v_add_f64 v[2:3], v[4:5], v[2:3]
	v_add_f64 v[252:253], v[2:3], v[246:247]
	v_accvgpr_read_b32 v4, a142
	v_accvgpr_read_b32 v5, a143
	v_mul_f64 v[4:5], v[120:121], v[4:5]
	v_accvgpr_read_b32 v120, a140
	v_accvgpr_read_b32 v121, a141
	v_add_f64 v[2:3], v[252:253], v[250:251]
	v_fma_f64 v[4:5], v[118:119], v[120:121], -v[4:5]
	v_add_f64 v[2:3], v[2:3], v[4:5]
	v_mul_f64 v[4:5], v[8:9], v[126:127]
	v_fma_f64 v[4:5], v[6:7], v[142:143], -v[4:5]
	v_add_f64 v[2:3], v[2:3], v[4:5]
	v_mul_f64 v[4:5], v[12:13], v[122:123]
	;; [unrolled: 3-line block ×19, first 2 shown]
	s_waitcnt vmcnt(6) lgkmcnt(0)
	v_mul_f64 v[116:117], v[110:111], v[200:201]
	v_fma_f64 v[4:5], v[78:79], v[214:215], -v[4:5]
	s_waitcnt vmcnt(4)
	v_fmac_f64_e32 v[116:117], v[112:113], v[238:239]
	v_add_f64 v[240:241], v[114:115], v[116:117]
	ds_read_b128 v[114:117], v1 offset:1456
	v_add_f64 v[2:3], v[2:3], v[4:5]
	v_mul_f64 v[4:5], v[84:85], v[180:181]
	v_fma_f64 v[4:5], v[82:83], v[184:185], -v[4:5]
	v_add_f64 v[2:3], v[2:3], v[4:5]
	v_mul_f64 v[4:5], v[88:89], v[198:199]
	v_fma_f64 v[4:5], v[86:87], v[216:217], -v[4:5]
	v_add_f64 v[2:3], v[2:3], v[4:5]
	s_waitcnt vmcnt(2) lgkmcnt(0)
	v_mul_f64 v[248:249], v[114:115], v[242:243]
	v_mul_f64 v[4:5], v[92:93], v[218:219]
	s_waitcnt vmcnt(0)
	v_fmac_f64_e32 v[248:249], v[116:117], v[244:245]
	v_add_f64 v[240:241], v[240:241], v[248:249]
	buffer_load_dword v248, off, s[0:3], 0 offset:112
	buffer_load_dword v249, off, s[0:3], 0 offset:116
	;; [unrolled: 1-line block ×4, first 2 shown]
	v_fma_f64 v[4:5], v[90:91], v[220:221], -v[4:5]
	v_add_f64 v[2:3], v[2:3], v[4:5]
	v_mul_f64 v[4:5], v[96:97], v[224:225]
	v_fma_f64 v[4:5], v[94:95], v[228:229], -v[4:5]
	v_add_f64 v[2:3], v[2:3], v[4:5]
	v_mul_f64 v[4:5], v[100:101], v[226:227]
	v_fma_f64 v[4:5], v[98:99], v[230:231], -v[4:5]
	v_add_f64 v[2:3], v[2:3], v[4:5]
	v_mul_f64 v[4:5], v[104:105], v[234:235]
	v_fma_f64 v[4:5], v[102:103], v[236:237], -v[4:5]
	v_add_f64 v[2:3], v[2:3], v[4:5]
	v_mul_f64 v[4:5], v[108:109], v[222:223]
	v_fma_f64 v[4:5], v[106:107], v[232:233], -v[4:5]
	v_add_f64 v[2:3], v[2:3], v[4:5]
	v_mul_f64 v[4:5], v[112:113], v[200:201]
	v_fma_f64 v[4:5], v[110:111], v[238:239], -v[4:5]
	v_add_f64 v[2:3], v[2:3], v[4:5]
	v_mul_f64 v[4:5], v[116:117], v[242:243]
	v_fma_f64 v[4:5], v[114:115], v[244:245], -v[4:5]
	v_add_f64 v[2:3], v[2:3], v[4:5]
	v_accvgpr_read_b32 v0, a137
	v_cmp_lt_u32_e32 vcc, 5, v0
	s_waitcnt vmcnt(2)
	v_add_f64 v[2:3], v[248:249], -v[2:3]
	s_waitcnt vmcnt(0)
	v_add_f64 v[4:5], v[246:247], -v[240:241]
	buffer_store_dword v3, off, s[0:3], 0 offset:116
	buffer_store_dword v2, off, s[0:3], 0 offset:112
	;; [unrolled: 1-line block ×4, first 2 shown]
	s_and_saveexec_b64 s[4:5], vcc
	s_cbranch_execz .LBB109_279
; %bb.278:
	v_accvgpr_read_b32 v0, a132
	buffer_load_dword v2, v0, s[0:3], 0 offen
	buffer_load_dword v3, v0, s[0:3], 0 offen offset:4
	buffer_load_dword v4, v0, s[0:3], 0 offen offset:8
	;; [unrolled: 1-line block ×3, first 2 shown]
	v_accvgpr_read_b32 v0, a138
	buffer_store_dword v1, off, s[0:3], 0 offset:96
	buffer_store_dword v1, off, s[0:3], 0 offset:100
	buffer_store_dword v1, off, s[0:3], 0 offset:104
	buffer_store_dword v1, off, s[0:3], 0 offset:108
	s_waitcnt vmcnt(4)
	ds_write_b128 v0, v[2:5]
.LBB109_279:
	s_or_b64 exec, exec, s[4:5]
	s_waitcnt lgkmcnt(0)
	; wave barrier
	s_waitcnt lgkmcnt(0)
	buffer_load_dword v56, off, s[0:3], 0 offset:112
	buffer_load_dword v57, off, s[0:3], 0 offset:116
	;; [unrolled: 1-line block ×42, first 2 shown]
	ds_read_b128 v[78:81], v1 offset:832
	ds_read_b128 v[90:93], v1 offset:848
	;; [unrolled: 1-line block ×10, first 2 shown]
	buffer_load_dword v105, off, s[0:3], 0 offset:260
	buffer_load_dword v104, off, s[0:3], 0 offset:256
	ds_read_b128 v[106:109], v1 offset:992
	buffer_load_dword v3, off, s[0:3], 0 offset:316
	buffer_load_dword v2, off, s[0:3], 0 offset:312
	s_waitcnt vmcnt(38) lgkmcnt(9)
	v_mul_f64 v[4:5], v[90:91], v[62:63]
	v_fmac_f64_e32 v[4:5], v[92:93], v[54:55]
	s_waitcnt vmcnt(36) lgkmcnt(8)
	v_mul_f64 v[6:7], v[114:115], v[58:59]
	v_mul_f64 v[58:59], v[116:117], v[58:59]
	s_waitcnt vmcnt(34) lgkmcnt(6)
	v_mul_f64 v[10:11], v[242:243], v[70:71]
	v_mul_f64 v[70:71], v[244:245], v[70:71]
	s_waitcnt vmcnt(32)
	v_fmac_f64_e32 v[10:11], v[244:245], v[72:73]
	s_waitcnt vmcnt(30)
	v_mul_f64 v[8:9], v[238:239], v[64:65]
	s_waitcnt vmcnt(28) lgkmcnt(4)
	v_mul_f64 v[14:15], v[250:251], v[82:83]
	v_mul_f64 v[82:83], v[252:253], v[82:83]
	s_waitcnt vmcnt(26)
	v_fmac_f64_e32 v[14:15], v[252:253], v[84:85]
	s_waitcnt vmcnt(24)
	v_mul_f64 v[12:13], v[246:247], v[74:75]
	v_mul_f64 v[74:75], v[248:249], v[74:75]
	s_waitcnt vmcnt(22) lgkmcnt(2)
	v_mul_f64 v[18:19], v[204:205], v[94:95]
	v_mul_f64 v[94:95], v[206:207], v[94:95]
	s_waitcnt vmcnt(19)
	v_mul_f64 v[16:17], v[200:201], v[86:87]
	v_mul_f64 v[86:87], v[202:203], v[86:87]
	s_waitcnt vmcnt(17) lgkmcnt(1)
	v_mul_f64 v[20:21], v[98:99], v[102:103]
	s_waitcnt vmcnt(15)
	v_fmac_f64_e32 v[6:7], v[116:117], v[68:69]
	s_waitcnt vmcnt(13)
	v_fmac_f64_e32 v[8:9], v[240:241], v[66:67]
	;; [unrolled: 2-line block ×3, first 2 shown]
	v_fma_f64 v[246:247], v[246:247], v[76:77], -v[74:75]
	s_waitcnt vmcnt(9)
	v_fmac_f64_e32 v[16:17], v[202:203], v[88:89]
	s_waitcnt vmcnt(8)
	v_fmac_f64_e32 v[18:19], v[206:207], v[96:97]
	v_fma_f64 v[248:249], v[250:251], v[84:85], -v[82:83]
	v_fma_f64 v[202:203], v[200:201], v[88:89], -v[86:87]
	;; [unrolled: 1-line block ×3, first 2 shown]
	s_waitcnt vmcnt(2)
	v_fmac_f64_e32 v[20:21], v[100:101], v[104:105]
	v_mul_f64 v[100:101], v[100:101], v[102:103]
	s_waitcnt vmcnt(0)
	v_pk_mov_b32 v[22:23], v[2:3], v[2:3] op_sel:[0,1]
	buffer_load_dword v3, off, s[0:3], 0 offset:308
	buffer_load_dword v2, off, s[0:3], 0 offset:304
	;; [unrolled: 1-line block ×78, first 2 shown]
	ds_read_b128 v[118:121], v1 offset:1008
	v_accvgpr_write_b32 a141, v23
	v_accvgpr_write_b32 a140, v22
	v_fma_f64 v[250:251], v[98:99], v[104:105], -v[100:101]
	s_waitcnt vmcnt(62)
	v_pk_mov_b32 v[24:25], v[2:3], v[2:3] op_sel:[0,1]
	v_mul_f64 v[2:3], v[78:79], v[60:61]
	v_fmac_f64_e32 v[2:3], v[80:81], v[56:57]
	v_add_f64 v[2:3], v[2:3], 0
	v_add_f64 v[2:3], v[2:3], v[4:5]
	;; [unrolled: 1-line block ×9, first 2 shown]
	s_waitcnt lgkmcnt(1)
	v_mul_f64 v[8:9], v[106:107], v[110:111]
	v_add_f64 v[6:7], v[2:3], v[20:21]
	v_fmac_f64_e32 v[8:9], v[108:109], v[112:113]
	v_add_f64 v[10:11], v[6:7], v[8:9]
	ds_read_b128 v[6:9], v1 offset:1024
	s_waitcnt lgkmcnt(1)
	v_mul_f64 v[12:13], v[118:119], v[122:123]
	v_fmac_f64_e32 v[12:13], v[120:121], v[138:139]
	v_add_f64 v[14:15], v[10:11], v[12:13]
	ds_read_b128 v[10:13], v1 offset:1040
	s_waitcnt lgkmcnt(1)
	v_mul_f64 v[16:17], v[6:7], v[22:23]
	;; [unrolled: 5-line block ×3, first 2 shown]
	v_fmac_f64_e32 v[20:21], v[12:13], v[146:147]
	v_add_f64 v[22:23], v[18:19], v[20:21]
	ds_read_b128 v[18:21], v1 offset:1072
	v_accvgpr_write_b32 a143, v25
	v_accvgpr_write_b32 a142, v24
	s_waitcnt lgkmcnt(1)
	v_mul_f64 v[24:25], v[14:15], v[124:125]
	v_fmac_f64_e32 v[24:25], v[16:17], v[126:127]
	v_add_f64 v[26:27], v[22:23], v[24:25]
	ds_read_b128 v[22:25], v1 offset:1088
	s_waitcnt vmcnt(58) lgkmcnt(1)
	v_mul_f64 v[28:29], v[18:19], v[150:151]
	s_waitcnt vmcnt(56)
	v_fmac_f64_e32 v[28:29], v[20:21], v[154:155]
	v_add_f64 v[30:31], v[26:27], v[28:29]
	ds_read_b128 v[26:29], v1 offset:1104
	s_waitcnt lgkmcnt(1)
	v_mul_f64 v[32:33], v[22:23], v[128:129]
	v_fmac_f64_e32 v[32:33], v[24:25], v[130:131]
	v_add_f64 v[34:35], v[30:31], v[32:33]
	ds_read_b128 v[30:33], v1 offset:1120
	s_waitcnt vmcnt(50) lgkmcnt(1)
	v_mul_f64 v[36:37], v[26:27], v[158:159]
	s_waitcnt vmcnt(48)
	v_fmac_f64_e32 v[36:37], v[28:29], v[162:163]
	v_add_f64 v[38:39], v[34:35], v[36:37]
	ds_read_b128 v[34:37], v1 offset:1136
	;; [unrolled: 11-line block ×4, first 2 shown]
	buffer_load_dword v198, off, s[0:3], 0 offset:632
	buffer_load_dword v215, off, s[0:3], 0 offset:620
	;; [unrolled: 1-line block ×28, first 2 shown]
	s_waitcnt lgkmcnt(1)
	v_mul_f64 v[208:209], v[46:47], v[144:145]
	v_fmac_f64_e32 v[208:209], v[48:49], v[148:149]
	v_mul_f64 v[60:61], v[80:81], v[60:61]
	v_add_f64 v[192:193], v[192:193], v[208:209]
	s_waitcnt vmcnt(54) lgkmcnt(0)
	v_mul_f64 v[208:209], v[50:51], v[182:183]
	v_fma_f64 v[254:255], v[78:79], v[56:57], -v[60:61]
	v_mul_f64 v[56:57], v[92:93], v[62:63]
	v_fma_f64 v[2:3], v[90:91], v[54:55], -v[56:57]
	s_waitcnt vmcnt(52)
	v_fmac_f64_e32 v[208:209], v[52:53], v[184:185]
	ds_read_b128 v[54:57], v1 offset:1216
	v_add_f64 v[4:5], v[192:193], v[208:209]
	v_fma_f64 v[192:193], v[114:115], v[68:69], -v[58:59]
	ds_read_b128 v[58:61], v1 offset:1232
	v_mul_f64 v[62:63], v[240:241], v[64:65]
	v_fma_f64 v[208:209], v[238:239], v[66:67], -v[62:63]
	ds_read_b128 v[62:65], v1 offset:1248
	s_waitcnt lgkmcnt(2)
	v_mul_f64 v[68:69], v[54:55], v[152:153]
	v_fmac_f64_e32 v[68:69], v[56:57], v[156:157]
	s_waitcnt vmcnt(46) lgkmcnt(1)
	v_mul_f64 v[66:67], v[58:59], v[186:187]
	v_add_f64 v[4:5], v[4:5], v[68:69]
	s_waitcnt vmcnt(44)
	v_fmac_f64_e32 v[66:67], v[60:61], v[188:189]
	v_add_f64 v[4:5], v[4:5], v[66:67]
	v_fma_f64 v[240:241], v[242:243], v[72:73], -v[70:71]
	ds_read_b128 v[70:73], v1 offset:1280
	s_waitcnt lgkmcnt(1)
	v_mul_f64 v[66:67], v[62:63], v[160:161]
	v_fmac_f64_e32 v[66:67], v[64:65], v[164:165]
	v_add_f64 v[4:5], v[4:5], v[66:67]
	ds_read_b128 v[66:69], v1 offset:1264
	ds_read_b128 v[74:77], v1 offset:1296
	;; [unrolled: 1-line block ×5, first 2 shown]
	s_waitcnt vmcnt(38) lgkmcnt(4)
	v_mul_f64 v[78:79], v[66:67], v[190:191]
	s_waitcnt vmcnt(36)
	v_fmac_f64_e32 v[78:79], v[68:69], v[194:195]
	v_add_f64 v[4:5], v[4:5], v[78:79]
	v_mul_f64 v[78:79], v[70:71], v[168:169]
	v_fmac_f64_e32 v[78:79], v[72:73], v[172:173]
	v_add_f64 v[4:5], v[4:5], v[78:79]
	s_waitcnt vmcnt(30) lgkmcnt(3)
	v_mul_f64 v[78:79], v[74:75], v[196:197]
	s_waitcnt vmcnt(28)
	v_fmac_f64_e32 v[78:79], v[76:77], v[210:211]
	v_add_f64 v[4:5], v[4:5], v[78:79]
	ds_read_b128 v[78:81], v1 offset:1312
	v_mul_f64 v[108:109], v[108:109], v[110:111]
	v_fma_f64 v[252:253], v[106:107], v[112:113], -v[108:109]
	v_mul_f64 v[120:121], v[120:121], v[122:123]
	v_fma_f64 v[118:119], v[118:119], v[138:139], -v[120:121]
	s_waitcnt lgkmcnt(0)
	v_mul_f64 v[90:91], v[78:79], v[176:177]
	v_fmac_f64_e32 v[90:91], v[80:81], v[180:181]
	v_add_f64 v[4:5], v[4:5], v[90:91]
	ds_read_b128 v[98:101], v1 offset:1392
	ds_read_b128 v[106:109], v1 offset:1424
	s_waitcnt vmcnt(9) lgkmcnt(1)
	v_mul_f64 v[110:111], v[98:99], v[230:231]
	v_mul_f64 v[90:91], v[82:83], v[214:215]
	s_waitcnt vmcnt(7)
	v_fmac_f64_e32 v[110:111], v[100:101], v[234:235]
	v_fmac_f64_e32 v[90:91], v[84:85], v[216:217]
	v_add_f64 v[4:5], v[4:5], v[90:91]
	v_mul_f64 v[90:91], v[86:87], v[198:199]
	v_fmac_f64_e32 v[90:91], v[88:89], v[212:213]
	v_add_f64 v[4:5], v[4:5], v[90:91]
	ds_read_b128 v[90:93], v1 offset:1360
	v_mul_f64 v[102:103], v[94:95], v[224:225]
	v_fmac_f64_e32 v[102:103], v[96:97], v[226:227]
	s_waitcnt lgkmcnt(0)
	v_mul_f64 v[114:115], v[90:91], v[218:219]
	v_fmac_f64_e32 v[114:115], v[92:93], v[220:221]
	v_add_f64 v[4:5], v[4:5], v[114:115]
	v_add_f64 v[4:5], v[4:5], v[102:103]
	ds_read_b128 v[102:105], v1 offset:1408
	buffer_load_dword v200, off, s[0:3], 0 offset:728
	buffer_load_dword v201, off, s[0:3], 0 offset:732
	;; [unrolled: 1-line block ×4, first 2 shown]
	v_add_f64 v[4:5], v[4:5], v[110:111]
	s_waitcnt vmcnt(9) lgkmcnt(0)
	v_mul_f64 v[110:111], v[102:103], v[222:223]
	s_waitcnt vmcnt(8)
	v_fmac_f64_e32 v[110:111], v[104:105], v[228:229]
	v_add_f64 v[4:5], v[4:5], v[110:111]
	s_waitcnt vmcnt(6)
	v_mul_f64 v[110:111], v[106:107], v[232:233]
	s_waitcnt vmcnt(4)
	v_fmac_f64_e32 v[110:111], v[108:109], v[236:237]
	v_add_f64 v[4:5], v[4:5], v[110:111]
	ds_read_b128 v[110:113], v1 offset:1440
	buffer_load_dword v243, off, s[0:3], 0 offset:748
	buffer_load_dword v242, off, s[0:3], 0 offset:744
	;; [unrolled: 1-line block ×4, first 2 shown]
	s_waitcnt vmcnt(6) lgkmcnt(0)
	v_mul_f64 v[114:115], v[110:111], v[200:201]
	s_waitcnt vmcnt(4)
	v_fmac_f64_e32 v[114:115], v[112:113], v[238:239]
	v_add_f64 v[4:5], v[4:5], v[114:115]
	ds_read_b128 v[114:117], v1 offset:1456
	v_accvgpr_read_b32 v0, a140
	v_accvgpr_read_b32 v1, a141
	v_mul_f64 v[8:9], v[8:9], v[0:1]
	v_accvgpr_read_b32 v0, a142
	v_accvgpr_read_b32 v1, a143
	v_fma_f64 v[6:7], v[6:7], v[0:1], -v[8:9]
	s_waitcnt vmcnt(2) lgkmcnt(0)
	v_mul_f64 v[206:207], v[114:115], v[242:243]
	v_accvgpr_read_b32 v0, a137
	s_waitcnt vmcnt(0)
	v_fmac_f64_e32 v[206:207], v[116:117], v[244:245]
	v_add_f64 v[4:5], v[4:5], v[206:207]
	v_add_f64 v[206:207], v[254:255], 0
	;; [unrolled: 1-line block ×8, first 2 shown]
	buffer_load_dword v248, off, s[0:3], 0 offset:96
	buffer_load_dword v249, off, s[0:3], 0 offset:100
	;; [unrolled: 1-line block ×4, first 2 shown]
	v_add_f64 v[2:3], v[2:3], v[202:203]
	v_add_f64 v[254:255], v[2:3], v[204:205]
	;; [unrolled: 1-line block ×6, first 2 shown]
	v_mul_f64 v[6:7], v[12:13], v[142:143]
	v_fma_f64 v[6:7], v[10:11], v[146:147], -v[6:7]
	v_add_f64 v[2:3], v[2:3], v[6:7]
	v_mul_f64 v[6:7], v[16:17], v[124:125]
	v_fma_f64 v[6:7], v[14:15], v[126:127], -v[6:7]
	v_add_f64 v[2:3], v[2:3], v[6:7]
	;; [unrolled: 3-line block ×27, first 2 shown]
	s_waitcnt vmcnt(2)
	v_add_f64 v[2:3], v[248:249], -v[2:3]
	v_cmp_lt_u32_e32 vcc, 4, v0
	s_waitcnt vmcnt(0)
	v_add_f64 v[4:5], v[246:247], -v[4:5]
	buffer_store_dword v3, off, s[0:3], 0 offset:100
	buffer_store_dword v2, off, s[0:3], 0 offset:96
	;; [unrolled: 1-line block ×4, first 2 shown]
	s_and_saveexec_b64 s[4:5], vcc
	s_cbranch_execz .LBB109_281
; %bb.280:
	v_accvgpr_read_b32 v0, a133
	buffer_load_dword v2, v0, s[0:3], 0 offen
	buffer_load_dword v3, v0, s[0:3], 0 offen offset:4
	buffer_load_dword v4, v0, s[0:3], 0 offen offset:8
	buffer_load_dword v5, v0, s[0:3], 0 offen offset:12
	v_mov_b32_e32 v0, 0
	v_accvgpr_read_b32 v1, a138
	buffer_store_dword v0, off, s[0:3], 0 offset:80
	buffer_store_dword v0, off, s[0:3], 0 offset:84
	;; [unrolled: 1-line block ×4, first 2 shown]
	s_waitcnt vmcnt(4)
	ds_write_b128 v1, v[2:5]
.LBB109_281:
	s_or_b64 exec, exec, s[4:5]
	s_waitcnt lgkmcnt(0)
	; wave barrier
	s_waitcnt lgkmcnt(0)
	buffer_load_dword v54, off, s[0:3], 0 offset:96
	buffer_load_dword v55, off, s[0:3], 0 offset:100
	buffer_load_dword v56, off, s[0:3], 0 offset:104
	buffer_load_dword v57, off, s[0:3], 0 offset:108
	buffer_load_dword v58, off, s[0:3], 0 offset:112
	buffer_load_dword v59, off, s[0:3], 0 offset:116
	buffer_load_dword v62, off, s[0:3], 0 offset:120
	buffer_load_dword v63, off, s[0:3], 0 offset:124
	buffer_load_dword v60, off, s[0:3], 0 offset:136
	buffer_load_dword v61, off, s[0:3], 0 offset:140
	buffer_load_dword v65, off, s[0:3], 0 offset:172
	buffer_load_dword v64, off, s[0:3], 0 offset:168
	buffer_load_dword v117, off, s[0:3], 0 offset:164
	buffer_load_dword v116, off, s[0:3], 0 offset:160
	buffer_load_dword v241, off, s[0:3], 0 offset:156
	buffer_load_dword v240, off, s[0:3], 0 offset:152
	buffer_load_dword v75, off, s[0:3], 0 offset:204
	buffer_load_dword v74, off, s[0:3], 0 offset:200
	buffer_load_dword v77, off, s[0:3], 0 offset:196
	buffer_load_dword v76, off, s[0:3], 0 offset:192
	buffer_load_dword v71, off, s[0:3], 0 offset:188
	buffer_load_dword v70, off, s[0:3], 0 offset:184
	buffer_load_dword v87, off, s[0:3], 0 offset:236
	buffer_load_dword v86, off, s[0:3], 0 offset:232
	buffer_load_dword v88, off, s[0:3], 0 offset:224
	buffer_load_dword v79, off, s[0:3], 0 offset:220
	buffer_load_dword v78, off, s[0:3], 0 offset:216
	buffer_load_dword v91, off, s[0:3], 0 offset:252
	buffer_load_dword v90, off, s[0:3], 0 offset:248
	buffer_load_dword v84, off, s[0:3], 0 offset:128
	buffer_load_dword v85, off, s[0:3], 0 offset:132
	buffer_load_dword v83, off, s[0:3], 0 offset:148
	buffer_load_dword v82, off, s[0:3], 0 offset:144
	buffer_load_dword v73, off, s[0:3], 0 offset:180
	buffer_load_dword v72, off, s[0:3], 0 offset:176
	buffer_load_dword v81, off, s[0:3], 0 offset:212
	buffer_load_dword v80, off, s[0:3], 0 offset:208
	buffer_load_dword v89, off, s[0:3], 0 offset:228
	buffer_load_dword v102, off, s[0:3], 0 offset:264
	buffer_load_dword v104, off, s[0:3], 0 offset:256
	buffer_load_dword v105, off, s[0:3], 0 offset:260
	buffer_load_dword v103, off, s[0:3], 0 offset:268
	buffer_load_dword v93, off, s[0:3], 0 offset:244
	buffer_load_dword v92, off, s[0:3], 0 offset:240
	buffer_load_dword v3, off, s[0:3], 0 offset:300
	buffer_load_dword v2, off, s[0:3], 0 offset:296
	v_mov_b32_e32 v1, 0
	v_accvgpr_read_b32 v0, a137
	v_cmp_lt_u32_e32 vcc, 3, v0
	s_waitcnt vmcnt(0)
	v_pk_mov_b32 v[22:23], v[2:3], v[2:3] op_sel:[0,1]
	buffer_load_dword v3, off, s[0:3], 0 offset:292
	buffer_load_dword v2, off, s[0:3], 0 offset:288
	;; [unrolled: 1-line block ×3, first 2 shown]
	ds_read_b128 v[94:97], v1 offset:816
	ds_read_b128 v[108:111], v1 offset:832
	;; [unrolled: 1-line block ×11, first 2 shown]
	buffer_load_dword v106, off, s[0:3], 0 offset:280
	buffer_load_dword v193, off, s[0:3], 0 offset:276
	;; [unrolled: 1-line block ×75, first 2 shown]
	s_waitcnt lgkmcnt(9)
	v_mul_f64 v[4:5], v[108:109], v[62:63]
	s_waitcnt lgkmcnt(8)
	v_mul_f64 v[6:7], v[112:113], v[60:61]
	v_fmac_f64_e32 v[4:5], v[110:111], v[58:59]
	s_waitcnt lgkmcnt(7)
	v_mul_f64 v[8:9], v[194:195], v[240:241]
	v_fmac_f64_e32 v[6:7], v[114:115], v[84:85]
	;; [unrolled: 3-line block ×5, first 2 shown]
	ds_read_b128 v[66:69], v1 offset:992
	ds_read_b128 v[118:121], v1 offset:1008
	s_waitcnt lgkmcnt(5)
	v_mul_f64 v[16:17], v[248:249], v[78:79]
	v_fmac_f64_e32 v[14:15], v[246:247], v[76:77]
	s_waitcnt lgkmcnt(4)
	v_mul_f64 v[18:19], v[252:253], v[86:87]
	v_fmac_f64_e32 v[16:17], v[250:251], v[80:81]
	;; [unrolled: 3-line block ×3, first 2 shown]
	v_fmac_f64_e32 v[20:21], v[208:209], v[92:93]
	v_accvgpr_write_b32 a141, v23
	v_accvgpr_write_b32 a140, v22
	v_mul_f64 v[62:63], v[110:111], v[62:63]
	v_mul_f64 v[70:71], v[204:205], v[70:71]
	;; [unrolled: 1-line block ×3, first 2 shown]
	v_fma_f64 v[244:245], v[244:245], v[76:77], -v[74:75]
	v_mul_f64 v[78:79], v[250:251], v[78:79]
	v_fma_f64 v[250:251], v[248:249], v[80:81], -v[78:79]
	v_mul_f64 v[86:87], v[254:255], v[86:87]
	;; [unrolled: 2-line block ×3, first 2 shown]
	v_fma_f64 v[254:255], v[206:207], v[92:93], -v[90:91]
	s_waitcnt vmcnt(62)
	v_pk_mov_b32 v[24:25], v[2:3], v[2:3] op_sel:[0,1]
	v_mul_f64 v[2:3], v[94:95], v[56:57]
	v_fmac_f64_e32 v[2:3], v[96:97], v[54:55]
	v_add_f64 v[2:3], v[2:3], 0
	v_add_f64 v[2:3], v[2:3], v[4:5]
	;; [unrolled: 1-line block ×9, first 2 shown]
	s_waitcnt lgkmcnt(2)
	v_mul_f64 v[4:5], v[98:99], v[102:103]
	v_add_f64 v[2:3], v[2:3], v[20:21]
	v_fmac_f64_e32 v[4:5], v[100:101], v[104:105]
	s_waitcnt lgkmcnt(1)
	v_mul_f64 v[8:9], v[66:67], v[106:107]
	v_add_f64 v[6:7], v[2:3], v[4:5]
	v_fmac_f64_e32 v[8:9], v[68:69], v[192:193]
	s_waitcnt lgkmcnt(0)
	v_mul_f64 v[12:13], v[118:119], v[22:23]
	v_add_f64 v[10:11], v[6:7], v[8:9]
	ds_read_b128 v[6:9], v1 offset:1024
	v_fmac_f64_e32 v[12:13], v[120:121], v[24:25]
	v_add_f64 v[14:15], v[10:11], v[12:13]
	ds_read_b128 v[10:13], v1 offset:1040
	v_accvgpr_write_b32 a143, v25
	s_waitcnt lgkmcnt(1)
	v_mul_f64 v[16:17], v[6:7], v[138:139]
	v_fmac_f64_e32 v[16:17], v[8:9], v[142:143]
	v_add_f64 v[18:19], v[14:15], v[16:17]
	s_waitcnt lgkmcnt(0)
	v_mul_f64 v[20:21], v[10:11], v[122:123]
	ds_read_b128 v[14:17], v1 offset:1056
	v_fmac_f64_e32 v[20:21], v[12:13], v[124:125]
	v_add_f64 v[22:23], v[18:19], v[20:21]
	ds_read_b128 v[18:21], v1 offset:1072
	v_accvgpr_write_b32 a142, v24
	s_waitcnt vmcnt(58) lgkmcnt(1)
	v_mul_f64 v[24:25], v[14:15], v[146:147]
	s_waitcnt vmcnt(56)
	v_fmac_f64_e32 v[24:25], v[16:17], v[150:151]
	v_add_f64 v[26:27], v[22:23], v[24:25]
	s_waitcnt lgkmcnt(0)
	v_mul_f64 v[28:29], v[18:19], v[126:127]
	ds_read_b128 v[22:25], v1 offset:1088
	v_fmac_f64_e32 v[28:29], v[20:21], v[128:129]
	v_add_f64 v[30:31], v[26:27], v[28:29]
	ds_read_b128 v[26:29], v1 offset:1104
	v_mul_f64 v[56:57], v[96:97], v[56:57]
	s_waitcnt vmcnt(50) lgkmcnt(1)
	v_mul_f64 v[32:33], v[22:23], v[154:155]
	s_waitcnt vmcnt(48)
	v_fmac_f64_e32 v[32:33], v[24:25], v[158:159]
	v_add_f64 v[34:35], v[30:31], v[32:33]
	s_waitcnt lgkmcnt(0)
	v_mul_f64 v[36:37], v[26:27], v[130:131]
	ds_read_b128 v[30:33], v1 offset:1120
	v_fmac_f64_e32 v[36:37], v[28:29], v[132:133]
	v_add_f64 v[38:39], v[34:35], v[36:37]
	ds_read_b128 v[34:37], v1 offset:1136
	v_fma_f64 v[2:3], v[94:95], v[54:55], -v[56:57]
	s_waitcnt vmcnt(42) lgkmcnt(1)
	v_mul_f64 v[40:41], v[30:31], v[162:163]
	s_waitcnt vmcnt(40)
	v_fmac_f64_e32 v[40:41], v[32:33], v[166:167]
	v_add_f64 v[42:43], v[38:39], v[40:41]
	s_waitcnt lgkmcnt(0)
	v_mul_f64 v[44:45], v[34:35], v[134:135]
	ds_read_b128 v[38:41], v1 offset:1152
	v_fmac_f64_e32 v[44:45], v[36:37], v[136:137]
	v_add_f64 v[46:47], v[42:43], v[44:45]
	ds_read_b128 v[42:45], v1 offset:1168
	v_fma_f64 v[94:95], v[108:109], v[58:59], -v[62:63]
	s_waitcnt vmcnt(34) lgkmcnt(1)
	v_mul_f64 v[48:49], v[38:39], v[170:171]
	s_waitcnt vmcnt(32)
	v_fmac_f64_e32 v[48:49], v[40:41], v[210:211]
	v_add_f64 v[50:51], v[46:47], v[48:49]
	s_waitcnt lgkmcnt(0)
	v_mul_f64 v[52:53], v[42:43], v[140:141]
	v_fmac_f64_e32 v[52:53], v[44:45], v[144:145]
	ds_read_b128 v[46:49], v1 offset:1184
	v_add_f64 v[178:179], v[50:51], v[52:53]
	ds_read_b128 v[50:53], v1 offset:1200
	buffer_load_dword v175, off, s[0:3], 0 offset:604
	buffer_load_dword v174, off, s[0:3], 0 offset:600
	;; [unrolled: 1-line block ×4, first 2 shown]
	v_mul_f64 v[58:59], v[114:115], v[60:61]
	s_waitcnt vmcnt(30) lgkmcnt(1)
	v_mul_f64 v[180:181], v[46:47], v[214:215]
	s_waitcnt vmcnt(28)
	v_fmac_f64_e32 v[180:181], v[48:49], v[216:217]
	v_add_f64 v[242:243], v[178:179], v[180:181]
	buffer_load_dword v180, off, s[0:3], 0 offset:616
	buffer_load_dword v182, off, s[0:3], 0 offset:608
	;; [unrolled: 1-line block ×12, first 2 shown]
	ds_read_b128 v[54:57], v1 offset:1216
	buffer_load_dword v191, off, s[0:3], 0 offset:668
	buffer_load_dword v190, off, s[0:3], 0 offset:664
	;; [unrolled: 1-line block ×12, first 2 shown]
	s_waitcnt lgkmcnt(1)
	v_mul_f64 v[4:5], v[50:51], v[148:149]
	v_fma_f64 v[96:97], v[112:113], v[84:85], -v[58:59]
	v_mul_f64 v[58:59], v[196:197], v[240:241]
	v_fmac_f64_e32 v[4:5], v[52:53], v[152:153]
	v_fma_f64 v[108:109], v[194:195], v[82:83], -v[58:59]
	s_waitcnt vmcnt(46) lgkmcnt(0)
	v_mul_f64 v[58:59], v[54:55], v[218:219]
	v_add_f64 v[4:5], v[242:243], v[4:5]
	s_waitcnt vmcnt(44)
	v_fmac_f64_e32 v[58:59], v[56:57], v[220:221]
	buffer_load_dword v240, off, s[0:3], 0 offset:712
	buffer_load_dword v242, off, s[0:3], 0 offset:704
	;; [unrolled: 1-line block ×4, first 2 shown]
	v_add_f64 v[4:5], v[4:5], v[58:59]
	ds_read_b128 v[58:61], v1 offset:1232
	v_mul_f64 v[62:63], v[200:201], v[64:65]
	v_fma_f64 v[198:199], v[198:199], v[116:117], -v[62:63]
	ds_read_b128 v[62:65], v1 offset:1248
	v_fma_f64 v[200:201], v[202:203], v[72:73], -v[70:71]
	ds_read_b128 v[202:205], v1 offset:1264
	ds_read_b128 v[74:77], v1 offset:1296
	s_waitcnt lgkmcnt(3)
	v_mul_f64 v[82:83], v[58:59], v[156:157]
	v_fmac_f64_e32 v[82:83], v[60:61], v[160:161]
	s_waitcnt vmcnt(42) lgkmcnt(2)
	v_mul_f64 v[70:71], v[62:63], v[222:223]
	v_add_f64 v[4:5], v[4:5], v[82:83]
	s_waitcnt vmcnt(40)
	v_fmac_f64_e32 v[70:71], v[64:65], v[224:225]
	v_add_f64 v[4:5], v[4:5], v[70:71]
	s_waitcnt lgkmcnt(1)
	v_mul_f64 v[70:71], v[202:203], v[164:165]
	v_fmac_f64_e32 v[70:71], v[204:205], v[168:169]
	v_add_f64 v[4:5], v[4:5], v[70:71]
	ds_read_b128 v[70:73], v1 offset:1280
	ds_read_b128 v[78:81], v1 offset:1312
	;; [unrolled: 1-line block ×4, first 2 shown]
	v_mul_f64 v[68:69], v[68:69], v[106:107]
	s_waitcnt vmcnt(34) lgkmcnt(3)
	v_mul_f64 v[82:83], v[70:71], v[226:227]
	s_waitcnt vmcnt(32)
	v_fmac_f64_e32 v[82:83], v[72:73], v[228:229]
	v_add_f64 v[4:5], v[4:5], v[82:83]
	v_mul_f64 v[82:83], v[74:75], v[172:173]
	v_fmac_f64_e32 v[82:83], v[76:77], v[212:213]
	v_add_f64 v[4:5], v[4:5], v[82:83]
	v_fma_f64 v[66:67], v[66:67], v[192:193], -v[68:69]
	v_accvgpr_write_b32 a145, v67
	v_accvgpr_write_b32 a144, v66
	v_add_f64 v[2:3], v[2:3], 0
	v_add_f64 v[2:3], v[2:3], v[94:95]
	;; [unrolled: 1-line block ×7, first 2 shown]
	ds_read_b128 v[86:89], v1 offset:1344
	v_add_f64 v[2:3], v[2:3], v[250:251]
	v_add_f64 v[2:3], v[2:3], v[252:253]
	;; [unrolled: 1-line block ×3, first 2 shown]
	v_accvgpr_read_b32 v94, a142
	v_accvgpr_read_b32 v95, a143
	s_waitcnt vmcnt(30) lgkmcnt(3)
	v_mul_f64 v[82:83], v[78:79], v[174:175]
	s_waitcnt vmcnt(28)
	v_fmac_f64_e32 v[82:83], v[80:81], v[176:177]
	v_add_f64 v[4:5], v[4:5], v[82:83]
	ds_read_b128 v[82:85], v1 offset:1328
	s_waitcnt vmcnt(14) lgkmcnt(2)
	v_mul_f64 v[112:113], v[206:207], v[190:191]
	s_waitcnt lgkmcnt(0)
	v_mul_f64 v[110:111], v[82:83], v[180:181]
	v_fmac_f64_e32 v[110:111], v[84:85], v[182:183]
	v_add_f64 v[4:5], v[4:5], v[110:111]
	v_mul_f64 v[110:111], v[86:87], v[184:185]
	v_fmac_f64_e32 v[110:111], v[88:89], v[188:189]
	v_add_f64 v[4:5], v[4:5], v[110:111]
	;; [unrolled: 3-line block ×3, first 2 shown]
	v_mul_f64 v[4:5], v[100:101], v[102:103]
	v_fma_f64 v[4:5], v[98:99], v[104:105], -v[4:5]
	ds_read_b128 v[98:101], v1 offset:1392
	ds_read_b128 v[102:105], v1 offset:1408
	s_waitcnt vmcnt(12)
	v_fmac_f64_e32 v[112:113], v[208:209], v[230:231]
	v_add_f64 v[66:67], v[110:111], v[112:113]
	v_add_f64 v[252:253], v[2:3], v[4:5]
	s_waitcnt vmcnt(9) lgkmcnt(1)
	v_mul_f64 v[68:69], v[98:99], v[232:233]
	s_waitcnt vmcnt(8)
	v_fmac_f64_e32 v[68:69], v[100:101], v[234:235]
	v_add_f64 v[66:67], v[66:67], v[68:69]
	s_waitcnt vmcnt(6) lgkmcnt(0)
	v_mul_f64 v[68:69], v[102:103], v[236:237]
	s_waitcnt vmcnt(4)
	v_fmac_f64_e32 v[68:69], v[104:105], v[238:239]
	v_add_f64 v[106:107], v[66:67], v[68:69]
	ds_read_b128 v[66:69], v1 offset:1424
	buffer_load_dword v195, off, s[0:3], 0 offset:732
	buffer_load_dword v194, off, s[0:3], 0 offset:728
	;; [unrolled: 1-line block ×4, first 2 shown]
	v_accvgpr_read_b32 v4, a140
	v_accvgpr_read_b32 v2, a144
	;; [unrolled: 1-line block ×3, first 2 shown]
	s_waitcnt vmcnt(5) lgkmcnt(0)
	v_mul_f64 v[110:111], v[66:67], v[240:241]
	s_waitcnt vmcnt(4)
	v_fmac_f64_e32 v[110:111], v[68:69], v[242:243]
	v_add_f64 v[106:107], v[106:107], v[110:111]
	ds_read_b128 v[110:113], v1 offset:1440
	buffer_load_dword v246, off, s[0:3], 0 offset:744
	buffer_load_dword v247, off, s[0:3], 0 offset:748
	;; [unrolled: 1-line block ×4, first 2 shown]
	v_accvgpr_read_b32 v3, a145
	v_mul_f64 v[4:5], v[120:121], v[4:5]
	v_add_f64 v[2:3], v[252:253], v[2:3]
	v_fma_f64 v[4:5], v[118:119], v[94:95], -v[4:5]
	v_add_f64 v[2:3], v[2:3], v[4:5]
	v_mul_f64 v[4:5], v[8:9], v[138:139]
	v_fma_f64 v[4:5], v[6:7], v[142:143], -v[4:5]
	v_add_f64 v[2:3], v[2:3], v[4:5]
	v_mul_f64 v[4:5], v[12:13], v[122:123]
	;; [unrolled: 3-line block ×22, first 2 shown]
	s_waitcnt vmcnt(6) lgkmcnt(0)
	v_mul_f64 v[114:115], v[110:111], v[194:195]
	v_fma_f64 v[4:5], v[90:91], v[186:187], -v[4:5]
	s_waitcnt vmcnt(4)
	v_fmac_f64_e32 v[114:115], v[112:113], v[196:197]
	v_add_f64 v[106:107], v[106:107], v[114:115]
	ds_read_b128 v[114:117], v1 offset:1456
	buffer_load_dword v250, off, s[0:3], 0 offset:80
	buffer_load_dword v251, off, s[0:3], 0 offset:84
	;; [unrolled: 1-line block ×4, first 2 shown]
	v_add_f64 v[2:3], v[2:3], v[4:5]
	v_mul_f64 v[4:5], v[208:209], v[190:191]
	v_fma_f64 v[4:5], v[206:207], v[230:231], -v[4:5]
	v_add_f64 v[2:3], v[2:3], v[4:5]
	v_mul_f64 v[4:5], v[100:101], v[232:233]
	v_fma_f64 v[4:5], v[98:99], v[234:235], -v[4:5]
	v_add_f64 v[2:3], v[2:3], v[4:5]
	v_mul_f64 v[4:5], v[104:105], v[236:237]
	v_fma_f64 v[4:5], v[102:103], v[238:239], -v[4:5]
	v_add_f64 v[2:3], v[2:3], v[4:5]
	v_mul_f64 v[4:5], v[68:69], v[240:241]
	v_fma_f64 v[4:5], v[66:67], v[242:243], -v[4:5]
	v_add_f64 v[2:3], v[2:3], v[4:5]
	v_mul_f64 v[4:5], v[112:113], v[194:195]
	v_fma_f64 v[4:5], v[110:111], v[196:197], -v[4:5]
	v_add_f64 v[2:3], v[2:3], v[4:5]
	s_waitcnt vmcnt(6) lgkmcnt(0)
	v_mul_f64 v[4:5], v[116:117], v[246:247]
	v_mul_f64 v[192:193], v[114:115], v[246:247]
	s_waitcnt vmcnt(4)
	v_fma_f64 v[4:5], v[114:115], v[248:249], -v[4:5]
	v_fmac_f64_e32 v[192:193], v[116:117], v[248:249]
	v_add_f64 v[2:3], v[2:3], v[4:5]
	v_add_f64 v[106:107], v[106:107], v[192:193]
	s_waitcnt vmcnt(2)
	v_add_f64 v[2:3], v[250:251], -v[2:3]
	s_waitcnt vmcnt(0)
	v_add_f64 v[4:5], v[198:199], -v[106:107]
	buffer_store_dword v3, off, s[0:3], 0 offset:84
	buffer_store_dword v2, off, s[0:3], 0 offset:80
	;; [unrolled: 1-line block ×4, first 2 shown]
	s_and_saveexec_b64 s[4:5], vcc
	s_cbranch_execz .LBB109_283
; %bb.282:
	v_accvgpr_read_b32 v0, a134
	buffer_load_dword v2, v0, s[0:3], 0 offen
	buffer_load_dword v3, v0, s[0:3], 0 offen offset:4
	buffer_load_dword v4, v0, s[0:3], 0 offen offset:8
	;; [unrolled: 1-line block ×3, first 2 shown]
	v_accvgpr_read_b32 v0, a138
	buffer_store_dword v1, off, s[0:3], 0 offset:64
	buffer_store_dword v1, off, s[0:3], 0 offset:68
	buffer_store_dword v1, off, s[0:3], 0 offset:72
	buffer_store_dword v1, off, s[0:3], 0 offset:76
	s_waitcnt vmcnt(4)
	ds_write_b128 v0, v[2:5]
.LBB109_283:
	s_or_b64 exec, exec, s[4:5]
	s_waitcnt lgkmcnt(0)
	; wave barrier
	s_waitcnt lgkmcnt(0)
	buffer_load_dword v178, off, s[0:3], 0 offset:80
	buffer_load_dword v179, off, s[0:3], 0 offset:84
	;; [unrolled: 1-line block ×42, first 2 shown]
	ds_read_b128 v[110:113], v1 offset:800
	ds_read_b128 v[114:117], v1 offset:816
	;; [unrolled: 1-line block ×10, first 2 shown]
	buffer_load_dword v193, off, s[0:3], 0 offset:228
	buffer_load_dword v192, off, s[0:3], 0 offset:224
	ds_read_b128 v[90:93], v1 offset:960
	buffer_load_dword v105, off, s[0:3], 0 offset:284
	buffer_load_dword v104, off, s[0:3], 0 offset:280
	;; [unrolled: 1-line block ×6, first 2 shown]
	s_waitcnt vmcnt(46) lgkmcnt(10)
	v_mul_f64 v[2:3], v[110:111], v[180:181]
	v_fmac_f64_e32 v[2:3], v[112:113], v[178:179]
	v_add_f64 v[2:3], v[2:3], 0
	v_mul_f64 v[112:113], v[112:113], v[180:181]
	s_waitcnt vmcnt(42) lgkmcnt(9)
	v_mul_f64 v[4:5], v[114:115], v[62:63]
	v_fmac_f64_e32 v[4:5], v[116:117], v[56:57]
	v_add_f64 v[2:3], v[2:3], v[4:5]
	buffer_load_dword v99, off, s[0:3], 0 offset:260
	buffer_load_dword v98, off, s[0:3], 0 offset:256
	;; [unrolled: 1-line block ×4, first 2 shown]
	s_waitcnt vmcnt(44) lgkmcnt(8)
	v_mul_f64 v[6:7], v[194:195], v[54:55]
	s_waitcnt vmcnt(42) lgkmcnt(6)
	v_mul_f64 v[10:11], v[202:203], v[64:65]
	s_waitcnt vmcnt(40)
	v_fmac_f64_e32 v[10:11], v[204:205], v[66:67]
	v_mul_f64 v[62:63], v[116:117], v[62:63]
	s_waitcnt vmcnt(38)
	v_mul_f64 v[8:9], v[198:199], v[68:69]
	v_fma_f64 v[56:57], v[114:115], v[56:57], -v[62:63]
	s_waitcnt vmcnt(36) lgkmcnt(4)
	v_mul_f64 v[14:15], v[244:245], v[70:71]
	v_mul_f64 v[62:63], v[200:201], v[68:69]
	s_waitcnt vmcnt(34)
	v_fmac_f64_e32 v[14:15], v[246:247], v[72:73]
	v_mul_f64 v[54:55], v[196:197], v[54:55]
	s_waitcnt vmcnt(32)
	v_mul_f64 v[12:13], v[206:207], v[74:75]
	s_waitcnt vmcnt(30) lgkmcnt(2)
	v_mul_f64 v[18:19], v[252:253], v[78:79]
	v_mul_f64 v[78:79], v[254:255], v[78:79]
	s_waitcnt vmcnt(27)
	v_mul_f64 v[16:17], v[248:249], v[76:77]
	s_waitcnt vmcnt(25) lgkmcnt(1)
	v_mul_f64 v[20:21], v[82:83], v[86:87]
	s_waitcnt vmcnt(23)
	v_fmac_f64_e32 v[6:7], v[196:197], v[100:101]
	v_add_f64 v[2:3], v[2:3], v[6:7]
	s_waitcnt vmcnt(21)
	v_fmac_f64_e32 v[8:9], v[200:201], v[228:229]
	v_add_f64 v[2:3], v[2:3], v[8:9]
	;; [unrolled: 3-line block ×3, first 2 shown]
	v_add_f64 v[2:3], v[2:3], v[12:13]
	s_waitcnt vmcnt(17)
	v_fmac_f64_e32 v[16:17], v[250:251], v[88:89]
	v_add_f64 v[2:3], v[2:3], v[14:15]
	s_waitcnt vmcnt(16)
	v_fmac_f64_e32 v[18:19], v[254:255], v[80:81]
	v_add_f64 v[2:3], v[2:3], v[16:17]
	v_add_f64 v[2:3], v[2:3], v[18:19]
	v_fma_f64 v[198:199], v[198:199], v[228:229], -v[62:63]
	s_waitcnt vmcnt(10)
	v_fmac_f64_e32 v[20:21], v[84:85], v[192:193]
	v_add_f64 v[2:3], v[2:3], v[20:21]
	v_mul_f64 v[84:85], v[84:85], v[86:87]
	v_fma_f64 v[254:255], v[82:83], v[192:193], -v[84:85]
	v_fma_f64 v[54:55], v[194:195], v[100:101], -v[54:55]
	s_waitcnt vmcnt(0)
	v_pk_mov_b32 v[18:19], v[4:5], v[4:5] op_sel:[0,1]
	buffer_load_dword v5, off, s[0:3], 0 offset:308
	buffer_load_dword v4, off, s[0:3], 0 offset:304
	v_accvgpr_write_b32 a141, v19
	v_accvgpr_write_b32 a140, v18
	s_waitcnt vmcnt(0)
	v_pk_mov_b32 v[22:23], v[4:5], v[4:5] op_sel:[0,1]
	buffer_load_dword v135, off, s[0:3], 0 offset:300
	buffer_load_dword v134, off, s[0:3], 0 offset:296
	;; [unrolled: 1-line block ×6, first 2 shown]
	v_accvgpr_write_b32 a143, v23
	v_accvgpr_write_b32 a142, v22
	s_waitcnt vmcnt(0)
	v_pk_mov_b32 v[26:27], v[4:5], v[4:5] op_sel:[0,1]
	buffer_load_dword v5, off, s[0:3], 0 offset:340
	buffer_load_dword v4, off, s[0:3], 0 offset:336
	v_accvgpr_write_b32 a145, v27
	v_accvgpr_write_b32 a144, v26
	s_waitcnt vmcnt(0)
	v_pk_mov_b32 v[28:29], v[4:5], v[4:5] op_sel:[0,1]
	buffer_load_dword v143, off, s[0:3], 0 offset:332
	buffer_load_dword v142, off, s[0:3], 0 offset:328
	buffer_load_dword v147, off, s[0:3], 0 offset:324
	buffer_load_dword v146, off, s[0:3], 0 offset:320
	buffer_load_dword v5, off, s[0:3], 0 offset:380
	buffer_load_dword v4, off, s[0:3], 0 offset:376
	buffer_load_dword v129, off, s[0:3], 0 offset:372
	buffer_load_dword v128, off, s[0:3], 0 offset:368
	buffer_load_dword v151, off, s[0:3], 0 offset:364
	buffer_load_dword v150, off, s[0:3], 0 offset:360
	buffer_load_dword v155, off, s[0:3], 0 offset:356
	buffer_load_dword v154, off, s[0:3], 0 offset:352
	buffer_load_dword v131, off, s[0:3], 0 offset:412
	buffer_load_dword v130, off, s[0:3], 0 offset:408
	buffer_load_dword v133, off, s[0:3], 0 offset:404
	buffer_load_dword v132, off, s[0:3], 0 offset:400
	buffer_load_dword v159, off, s[0:3], 0 offset:396
	buffer_load_dword v158, off, s[0:3], 0 offset:392
	buffer_load_dword v163, off, s[0:3], 0 offset:388
	buffer_load_dword v162, off, s[0:3], 0 offset:384
	buffer_load_dword v137, off, s[0:3], 0 offset:444
	buffer_load_dword v136, off, s[0:3], 0 offset:440
	buffer_load_dword v141, off, s[0:3], 0 offset:436
	buffer_load_dword v140, off, s[0:3], 0 offset:432
	buffer_load_dword v167, off, s[0:3], 0 offset:428
	buffer_load_dword v166, off, s[0:3], 0 offset:424
	buffer_load_dword v171, off, s[0:3], 0 offset:420
	buffer_load_dword v170, off, s[0:3], 0 offset:416
	buffer_load_dword v145, off, s[0:3], 0 offset:476
	buffer_load_dword v144, off, s[0:3], 0 offset:472
	buffer_load_dword v149, off, s[0:3], 0 offset:468
	buffer_load_dword v148, off, s[0:3], 0 offset:464
	buffer_load_dword v211, off, s[0:3], 0 offset:460
	buffer_load_dword v210, off, s[0:3], 0 offset:456
	buffer_load_dword v213, off, s[0:3], 0 offset:452
	buffer_load_dword v212, off, s[0:3], 0 offset:448
	buffer_load_dword v153, off, s[0:3], 0 offset:508
	buffer_load_dword v152, off, s[0:3], 0 offset:504
	buffer_load_dword v157, off, s[0:3], 0 offset:500
	buffer_load_dword v156, off, s[0:3], 0 offset:496
	buffer_load_dword v215, off, s[0:3], 0 offset:492
	buffer_load_dword v214, off, s[0:3], 0 offset:488
	buffer_load_dword v217, off, s[0:3], 0 offset:484
	buffer_load_dword v216, off, s[0:3], 0 offset:480
	buffer_load_dword v161, off, s[0:3], 0 offset:540
	buffer_load_dword v160, off, s[0:3], 0 offset:536
	buffer_load_dword v165, off, s[0:3], 0 offset:532
	buffer_load_dword v164, off, s[0:3], 0 offset:528
	buffer_load_dword v219, off, s[0:3], 0 offset:524
	buffer_load_dword v218, off, s[0:3], 0 offset:520
	buffer_load_dword v221, off, s[0:3], 0 offset:516
	buffer_load_dword v220, off, s[0:3], 0 offset:512
	buffer_load_dword v169, off, s[0:3], 0 offset:572
	buffer_load_dword v168, off, s[0:3], 0 offset:568
	buffer_load_dword v173, off, s[0:3], 0 offset:564
	buffer_load_dword v172, off, s[0:3], 0 offset:560
	buffer_load_dword v223, off, s[0:3], 0 offset:556
	buffer_load_dword v222, off, s[0:3], 0 offset:552
	buffer_load_dword v225, off, s[0:3], 0 offset:548
	buffer_load_dword v224, off, s[0:3], 0 offset:544
	ds_read_b128 v[240:243], v1 offset:976
	ds_read_b128 v[58:61], v1 offset:992
	;; [unrolled: 1-line block ×5, first 2 shown]
	v_accvgpr_write_b32 a147, v29
	s_waitcnt lgkmcnt(3)
	v_mul_f64 v[8:9], v[58:59], v[104:105]
	v_fmac_f64_e32 v[8:9], v[60:61], v[106:107]
	s_waitcnt lgkmcnt(2)
	v_mul_f64 v[12:13], v[122:123], v[134:135]
	v_fmac_f64_e32 v[12:13], v[124:125], v[138:139]
	;; [unrolled: 3-line block ×3, first 2 shown]
	v_accvgpr_write_b32 a146, v28
	v_mul_f64 v[60:61], v[60:61], v[104:105]
	s_waitcnt vmcnt(54)
	v_pk_mov_b32 v[34:35], v[4:5], v[4:5] op_sel:[0,1]
	v_mul_f64 v[4:5], v[90:91], v[96:97]
	v_fmac_f64_e32 v[4:5], v[92:93], v[102:103]
	v_add_f64 v[2:3], v[2:3], v[4:5]
	v_mul_f64 v[4:5], v[240:241], v[108:109]
	v_fmac_f64_e32 v[4:5], v[242:243], v[98:99]
	v_add_f64 v[6:7], v[2:3], v[4:5]
	v_add_f64 v[10:11], v[6:7], v[8:9]
	;; [unrolled: 1-line block ×4, first 2 shown]
	ds_read_b128 v[14:17], v1 offset:1056
	s_waitcnt lgkmcnt(1)
	v_mul_f64 v[20:21], v[118:119], v[142:143]
	v_fmac_f64_e32 v[20:21], v[120:121], v[146:147]
	v_add_f64 v[22:23], v[18:19], v[20:21]
	ds_read_b128 v[18:21], v1 offset:1072
	s_waitcnt lgkmcnt(1)
	v_mul_f64 v[24:25], v[14:15], v[26:27]
	v_fmac_f64_e32 v[24:25], v[16:17], v[28:29]
	v_add_f64 v[26:27], v[22:23], v[24:25]
	ds_read_b128 v[22:25], v1 offset:1088
	s_waitcnt vmcnt(50) lgkmcnt(1)
	v_mul_f64 v[28:29], v[18:19], v[150:151]
	s_waitcnt vmcnt(48)
	v_fmac_f64_e32 v[28:29], v[20:21], v[154:155]
	v_add_f64 v[30:31], v[26:27], v[28:29]
	ds_read_b128 v[26:29], v1 offset:1104
	s_waitcnt lgkmcnt(1)
	v_mul_f64 v[32:33], v[22:23], v[34:35]
	v_accvgpr_write_b32 a149, v35
	v_fmac_f64_e32 v[32:33], v[24:25], v[128:129]
	v_accvgpr_write_b32 a148, v34
	v_add_f64 v[34:35], v[30:31], v[32:33]
	ds_read_b128 v[30:33], v1 offset:1120
	s_waitcnt vmcnt(42) lgkmcnt(1)
	v_mul_f64 v[36:37], v[26:27], v[158:159]
	s_waitcnt vmcnt(40)
	v_fmac_f64_e32 v[36:37], v[28:29], v[162:163]
	v_add_f64 v[38:39], v[34:35], v[36:37]
	ds_read_b128 v[34:37], v1 offset:1136
	s_waitcnt lgkmcnt(1)
	v_mul_f64 v[40:41], v[30:31], v[130:131]
	v_fmac_f64_e32 v[40:41], v[32:33], v[132:133]
	v_add_f64 v[42:43], v[38:39], v[40:41]
	ds_read_b128 v[38:41], v1 offset:1152
	s_waitcnt vmcnt(34) lgkmcnt(1)
	v_mul_f64 v[44:45], v[34:35], v[166:167]
	s_waitcnt vmcnt(32)
	v_fmac_f64_e32 v[44:45], v[36:37], v[170:171]
	v_add_f64 v[46:47], v[42:43], v[44:45]
	ds_read_b128 v[42:45], v1 offset:1168
	s_waitcnt lgkmcnt(1)
	v_mul_f64 v[48:49], v[38:39], v[136:137]
	v_fmac_f64_e32 v[48:49], v[40:41], v[140:141]
	v_add_f64 v[50:51], v[46:47], v[48:49]
	ds_read_b128 v[46:49], v1 offset:1184
	s_waitcnt vmcnt(26) lgkmcnt(1)
	v_mul_f64 v[52:53], v[42:43], v[210:211]
	s_waitcnt vmcnt(24)
	v_fmac_f64_e32 v[52:53], v[44:45], v[212:213]
	v_add_f64 v[2:3], v[50:51], v[52:53]
	ds_read_b128 v[50:53], v1 offset:1200
	buffer_load_dword v13, off, s[0:3], 0 offset:588
	buffer_load_dword v12, off, s[0:3], 0 offset:584
	;; [unrolled: 1-line block ×8, first 2 shown]
	v_fma_f64 v[6:7], v[110:111], v[178:179], -v[112:113]
	buffer_load_dword v179, off, s[0:3], 0 offset:636
	buffer_load_dword v185, off, s[0:3], 0 offset:620
	;; [unrolled: 1-line block ×12, first 2 shown]
	s_waitcnt lgkmcnt(1)
	v_mul_f64 v[4:5], v[46:47], v[144:145]
	v_fmac_f64_e32 v[4:5], v[48:49], v[148:149]
	v_add_f64 v[62:63], v[2:3], v[4:5]
	v_mul_f64 v[2:3], v[204:205], v[64:65]
	buffer_load_dword v230, off, s[0:3], 0 offset:664
	buffer_load_dword v232, off, s[0:3], 0 offset:656
	;; [unrolled: 1-line block ×12, first 2 shown]
	v_fma_f64 v[200:201], v[202:203], v[66:67], -v[2:3]
	buffer_load_dword v203, off, s[0:3], 0 offset:716
	buffer_load_dword v202, off, s[0:3], 0 offset:712
	buffer_load_dword v205, off, s[0:3], 0 offset:708
	buffer_load_dword v204, off, s[0:3], 0 offset:704
	ds_read_b128 v[8:11], v1 offset:1216
	s_waitcnt vmcnt(54) lgkmcnt(1)
	v_mul_f64 v[64:65], v[50:51], v[214:215]
	s_waitcnt vmcnt(52)
	v_fmac_f64_e32 v[64:65], v[52:53], v[216:217]
	v_add_f64 v[62:63], v[62:63], v[64:65]
	v_mul_f64 v[64:65], v[208:209], v[74:75]
	v_fma_f64 v[2:3], v[206:207], v[94:95], -v[64:65]
	ds_read_b128 v[206:209], v1 offset:1232
	s_waitcnt lgkmcnt(1)
	v_mul_f64 v[4:5], v[8:9], v[152:153]
	v_fmac_f64_e32 v[4:5], v[10:11], v[156:157]
	v_add_f64 v[4:5], v[62:63], v[4:5]
	ds_read_b128 v[62:65], v1 offset:1248
	v_mul_f64 v[66:67], v[246:247], v[70:71]
	s_waitcnt vmcnt(46) lgkmcnt(1)
	v_mul_f64 v[70:71], v[206:207], v[218:219]
	v_fma_f64 v[94:95], v[244:245], v[72:73], -v[66:67]
	ds_read_b128 v[66:69], v1 offset:1264
	s_waitcnt vmcnt(44)
	v_fmac_f64_e32 v[70:71], v[208:209], v[220:221]
	v_add_f64 v[4:5], v[4:5], v[70:71]
	v_mul_f64 v[70:71], v[250:251], v[76:77]
	v_fma_f64 v[248:249], v[248:249], v[88:89], -v[70:71]
	ds_read_b128 v[70:73], v1 offset:1280
	s_waitcnt lgkmcnt(2)
	v_mul_f64 v[74:75], v[62:63], v[160:161]
	v_fmac_f64_e32 v[74:75], v[64:65], v[164:165]
	v_add_f64 v[4:5], v[4:5], v[74:75]
	s_waitcnt vmcnt(38) lgkmcnt(1)
	v_mul_f64 v[74:75], v[66:67], v[222:223]
	s_waitcnt vmcnt(36)
	v_fmac_f64_e32 v[74:75], v[68:69], v[224:225]
	v_add_f64 v[4:5], v[4:5], v[74:75]
	v_fma_f64 v[250:251], v[252:253], v[80:81], -v[78:79]
	ds_read_b128 v[78:81], v1 offset:1312
	s_waitcnt lgkmcnt(1)
	v_mul_f64 v[74:75], v[70:71], v[168:169]
	v_fmac_f64_e32 v[74:75], v[72:73], v[172:173]
	v_add_f64 v[4:5], v[4:5], v[74:75]
	ds_read_b128 v[74:77], v1 offset:1296
	ds_read_b128 v[82:85], v1 offset:1328
	v_mul_f64 v[92:93], v[92:93], v[96:97]
	v_fma_f64 v[96:97], v[90:91], v[102:103], -v[92:93]
	v_fma_f64 v[252:253], v[58:59], v[106:107], -v[60:61]
	ds_read_b128 v[90:93], v1 offset:1360
	s_waitcnt vmcnt(25) lgkmcnt(1)
	v_mul_f64 v[100:101], v[82:83], v[184:185]
	s_waitcnt vmcnt(23)
	v_fmac_f64_e32 v[100:101], v[84:85], v[190:191]
	v_mul_f64 v[88:89], v[74:75], v[12:13]
	v_fmac_f64_e32 v[88:89], v[76:77], v[126:127]
	v_mul_f64 v[86:87], v[78:79], v[180:181]
	v_add_f64 v[4:5], v[4:5], v[88:89]
	v_fmac_f64_e32 v[86:87], v[80:81], v[182:183]
	v_add_f64 v[4:5], v[4:5], v[86:87]
	ds_read_b128 v[86:89], v1 offset:1344
	v_add_f64 v[4:5], v[4:5], v[100:101]
	s_waitcnt vmcnt(18) lgkmcnt(1)
	v_mul_f64 v[102:103], v[90:91], v[186:187]
	s_waitcnt vmcnt(16)
	v_fmac_f64_e32 v[102:103], v[92:93], v[226:227]
	s_waitcnt lgkmcnt(0)
	v_mul_f64 v[100:101], v[86:87], v[178:179]
	v_fmac_f64_e32 v[100:101], v[88:89], v[188:189]
	v_add_f64 v[4:5], v[4:5], v[100:101]
	v_mul_f64 v[100:101], v[242:243], v[108:109]
	v_fma_f64 v[192:193], v[240:241], v[98:99], -v[100:101]
	ds_read_b128 v[98:101], v1 offset:1376
	ds_read_b128 v[240:243], v1 offset:1392
	v_add_f64 v[4:5], v[4:5], v[102:103]
	ds_read_b128 v[102:105], v1 offset:1408
	ds_read_b128 v[106:109], v1 offset:1424
	buffer_load_dword v194, off, s[0:3], 0 offset:728
	buffer_load_dword v195, off, s[0:3], 0 offset:732
	;; [unrolled: 1-line block ×4, first 2 shown]
	ds_read_b128 v[110:113], v1 offset:1440
	buffer_load_dword v245, off, s[0:3], 0 offset:748
	buffer_load_dword v244, off, s[0:3], 0 offset:744
	;; [unrolled: 1-line block ×4, first 2 shown]
	s_waitcnt vmcnt(21) lgkmcnt(4)
	v_mul_f64 v[58:59], v[98:99], v[230:231]
	s_waitcnt vmcnt(20)
	v_fmac_f64_e32 v[58:59], v[100:101], v[232:233]
	v_add_f64 v[4:5], v[4:5], v[58:59]
	s_waitcnt vmcnt(17) lgkmcnt(3)
	v_mul_f64 v[58:59], v[240:241], v[236:237]
	s_waitcnt vmcnt(15)
	v_fmac_f64_e32 v[58:59], v[242:243], v[238:239]
	v_add_f64 v[4:5], v[4:5], v[58:59]
	s_waitcnt vmcnt(13) lgkmcnt(2)
	v_mul_f64 v[58:59], v[102:103], v[228:229]
	s_waitcnt vmcnt(12)
	v_fmac_f64_e32 v[58:59], v[104:105], v[234:235]
	ds_read_b128 v[114:117], v1 offset:1456
	v_add_f64 v[4:5], v[4:5], v[58:59]
	s_waitcnt vmcnt(10) lgkmcnt(2)
	v_mul_f64 v[58:59], v[106:107], v[202:203]
	s_waitcnt vmcnt(8)
	v_fmac_f64_e32 v[58:59], v[108:109], v[204:205]
	v_add_f64 v[4:5], v[4:5], v[58:59]
	v_accvgpr_read_b32 v0, a140
	v_accvgpr_read_b32 v1, a141
	s_waitcnt vmcnt(6) lgkmcnt(1)
	v_mul_f64 v[58:59], v[110:111], v[194:195]
	s_waitcnt vmcnt(4)
	v_fmac_f64_e32 v[58:59], v[112:113], v[196:197]
	v_add_f64 v[4:5], v[4:5], v[58:59]
	s_waitcnt vmcnt(2) lgkmcnt(0)
	v_mul_f64 v[58:59], v[114:115], v[244:245]
	s_waitcnt vmcnt(0)
	v_fmac_f64_e32 v[58:59], v[116:117], v[246:247]
	v_add_f64 v[58:59], v[4:5], v[58:59]
	v_add_f64 v[4:5], v[6:7], 0
	;; [unrolled: 1-line block ×10, first 2 shown]
	buffer_load_dword v250, off, s[0:3], 0 offset:64
	buffer_load_dword v251, off, s[0:3], 0 offset:68
	buffer_load_dword v248, off, s[0:3], 0 offset:72
	buffer_load_dword v249, off, s[0:3], 0 offset:76
	v_add_f64 v[2:3], v[2:3], v[254:255]
	v_add_f64 v[254:255], v[2:3], v[96:97]
	;; [unrolled: 1-line block ×3, first 2 shown]
	v_mul_f64 v[4:5], v[124:125], v[134:135]
	v_add_f64 v[2:3], v[2:3], v[252:253]
	v_fma_f64 v[4:5], v[122:123], v[138:139], -v[4:5]
	v_add_f64 v[2:3], v[2:3], v[4:5]
	v_mul_f64 v[4:5], v[176:177], v[0:1]
	v_accvgpr_read_b32 v0, a142
	v_accvgpr_read_b32 v1, a143
	v_fma_f64 v[4:5], v[174:175], v[0:1], -v[4:5]
	v_add_f64 v[2:3], v[2:3], v[4:5]
	v_mul_f64 v[4:5], v[120:121], v[142:143]
	v_accvgpr_read_b32 v0, a144
	v_fma_f64 v[4:5], v[118:119], v[146:147], -v[4:5]
	v_accvgpr_read_b32 v1, a145
	v_add_f64 v[2:3], v[2:3], v[4:5]
	v_mul_f64 v[4:5], v[16:17], v[0:1]
	v_accvgpr_read_b32 v0, a146
	v_accvgpr_read_b32 v1, a147
	v_fma_f64 v[4:5], v[14:15], v[0:1], -v[4:5]
	v_add_f64 v[2:3], v[2:3], v[4:5]
	v_mul_f64 v[4:5], v[20:21], v[150:151]
	v_accvgpr_read_b32 v0, a148
	v_fma_f64 v[4:5], v[18:19], v[154:155], -v[4:5]
	v_accvgpr_read_b32 v1, a149
	v_add_f64 v[2:3], v[2:3], v[4:5]
	v_mul_f64 v[4:5], v[24:25], v[0:1]
	v_fma_f64 v[4:5], v[22:23], v[128:129], -v[4:5]
	v_add_f64 v[2:3], v[2:3], v[4:5]
	v_mul_f64 v[4:5], v[28:29], v[158:159]
	v_fma_f64 v[4:5], v[26:27], v[162:163], -v[4:5]
	;; [unrolled: 3-line block ×24, first 2 shown]
	v_add_f64 v[2:3], v[2:3], v[4:5]
	v_accvgpr_read_b32 v0, a137
	s_waitcnt vmcnt(2)
	v_add_f64 v[2:3], v[250:251], -v[2:3]
	v_cmp_lt_u32_e32 vcc, 2, v0
	s_waitcnt vmcnt(0)
	v_add_f64 v[4:5], v[248:249], -v[58:59]
	buffer_store_dword v3, off, s[0:3], 0 offset:68
	buffer_store_dword v2, off, s[0:3], 0 offset:64
	;; [unrolled: 1-line block ×4, first 2 shown]
	s_and_saveexec_b64 s[4:5], vcc
	s_cbranch_execz .LBB109_285
; %bb.284:
	v_accvgpr_read_b32 v0, a135
	buffer_load_dword v2, v0, s[0:3], 0 offen
	buffer_load_dword v3, v0, s[0:3], 0 offen offset:4
	buffer_load_dword v4, v0, s[0:3], 0 offen offset:8
	;; [unrolled: 1-line block ×3, first 2 shown]
	v_mov_b32_e32 v0, 0
	v_accvgpr_read_b32 v1, a138
	buffer_store_dword v0, off, s[0:3], 0 offset:48
	buffer_store_dword v0, off, s[0:3], 0 offset:52
	buffer_store_dword v0, off, s[0:3], 0 offset:56
	buffer_store_dword v0, off, s[0:3], 0 offset:60
	s_waitcnt vmcnt(4)
	ds_write_b128 v1, v[2:5]
.LBB109_285:
	s_or_b64 exec, exec, s[4:5]
	s_waitcnt lgkmcnt(0)
	; wave barrier
	s_waitcnt lgkmcnt(0)
	buffer_load_dword v50, off, s[0:3], 0 offset:64
	buffer_load_dword v51, off, s[0:3], 0 offset:68
	;; [unrolled: 1-line block ×54, first 2 shown]
	v_mov_b32_e32 v122, 0
	ds_read_b128 v[102:105], v122 offset:784
	ds_read_b128 v[106:109], v122 offset:800
	;; [unrolled: 1-line block ×9, first 2 shown]
	s_waitcnt vmcnt(50) lgkmcnt(8)
	v_mul_f64 v[2:3], v[102:103], v[56:57]
	v_fmac_f64_e32 v[2:3], v[104:105], v[50:51]
	v_add_f64 v[2:3], v[2:3], 0
	s_waitcnt vmcnt(46) lgkmcnt(7)
	v_mul_f64 v[4:5], v[106:107], v[58:59]
	v_fmac_f64_e32 v[4:5], v[108:109], v[52:53]
	s_waitcnt vmcnt(44) lgkmcnt(6)
	v_mul_f64 v[6:7], v[110:111], v[54:55]
	v_add_f64 v[2:3], v[2:3], v[4:5]
	s_waitcnt vmcnt(42) lgkmcnt(4)
	v_mul_f64 v[10:11], v[234:235], v[62:63]
	s_waitcnt vmcnt(40)
	v_fmac_f64_e32 v[10:11], v[236:237], v[60:61]
	s_waitcnt vmcnt(38)
	v_mul_f64 v[8:9], v[114:115], v[64:65]
	s_waitcnt vmcnt(36) lgkmcnt(2)
	v_mul_f64 v[14:15], v[198:199], v[66:67]
	s_waitcnt vmcnt(34)
	v_fmac_f64_e32 v[14:15], v[200:201], v[70:71]
	s_waitcnt vmcnt(32)
	v_mul_f64 v[12:13], v[194:195], v[76:77]
	s_waitcnt vmcnt(30) lgkmcnt(1)
	v_mul_f64 v[16:17], v[202:203], v[68:69]
	s_waitcnt vmcnt(28)
	v_fmac_f64_e32 v[6:7], v[112:113], v[184:185]
	v_add_f64 v[2:3], v[2:3], v[6:7]
	s_waitcnt vmcnt(26)
	v_fmac_f64_e32 v[8:9], v[116:117], v[228:229]
	v_add_f64 v[2:3], v[2:3], v[8:9]
	;; [unrolled: 3-line block ×3, first 2 shown]
	v_add_f64 v[2:3], v[2:3], v[12:13]
	v_add_f64 v[2:3], v[2:3], v[14:15]
	s_waitcnt vmcnt(22)
	v_fmac_f64_e32 v[16:17], v[204:205], v[72:73]
	v_add_f64 v[2:3], v[2:3], v[16:17]
	s_waitcnt vmcnt(0)
	v_pk_mov_b32 v[18:19], v[0:1], v[0:1] op_sel:[0,1]
	buffer_load_dword v1, off, s[0:3], 0 offset:292
	buffer_load_dword v0, off, s[0:3], 0 offset:288
	v_accvgpr_write_b32 a141, v19
	v_accvgpr_write_b32 a140, v18
	s_waitcnt vmcnt(0)
	v_pk_mov_b32 v[14:15], v[0:1], v[0:1] op_sel:[0,1]
	buffer_load_dword v193, off, s[0:3], 0 offset:284
	buffer_load_dword v192, off, s[0:3], 0 offset:280
	;; [unrolled: 1-line block ×6, first 2 shown]
	v_accvgpr_write_b32 a143, v15
	v_accvgpr_write_b32 a142, v14
	s_waitcnt vmcnt(0)
	v_pk_mov_b32 v[22:23], v[4:5], v[4:5] op_sel:[0,1]
	buffer_load_dword v5, off, s[0:3], 0 offset:324
	buffer_load_dword v4, off, s[0:3], 0 offset:320
	v_accvgpr_write_b32 a145, v23
	v_accvgpr_write_b32 a144, v22
	s_waitcnt vmcnt(0)
	v_pk_mov_b32 v[24:25], v[4:5], v[4:5] op_sel:[0,1]
	buffer_load_dword v139, off, s[0:3], 0 offset:316
	buffer_load_dword v138, off, s[0:3], 0 offset:312
	;; [unrolled: 1-line block ×52, first 2 shown]
	ds_read_b128 v[244:247], v122 offset:928
	ds_read_b128 v[248:251], v122 offset:944
	;; [unrolled: 1-line block ×7, first 2 shown]
	v_accvgpr_write_b32 a147, v25
	v_accvgpr_write_b32 a146, v24
	s_waitcnt lgkmcnt(2)
	v_mul_f64 v[8:9], v[188:189], v[192:193]
	v_fmac_f64_e32 v[8:9], v[190:191], v[0:1]
	s_waitcnt lgkmcnt(1)
	v_mul_f64 v[12:13], v[124:125], v[18:19]
	v_fmac_f64_e32 v[12:13], v[126:127], v[14:15]
	s_waitcnt vmcnt(46)
	v_pk_mov_b32 v[30:31], v[4:5], v[4:5] op_sel:[0,1]
	v_mul_f64 v[4:5], v[206:207], v[74:75]
	v_fmac_f64_e32 v[4:5], v[208:209], v[84:85]
	v_add_f64 v[2:3], v[2:3], v[4:5]
	v_mul_f64 v[4:5], v[244:245], v[90:91]
	v_fmac_f64_e32 v[4:5], v[246:247], v[92:93]
	v_add_f64 v[2:3], v[2:3], v[4:5]
	;; [unrolled: 3-line block ×5, first 2 shown]
	v_add_f64 v[10:11], v[6:7], v[8:9]
	v_add_f64 v[14:15], v[10:11], v[12:13]
	ds_read_b128 v[10:13], v122 offset:1040
	s_waitcnt lgkmcnt(1)
	v_mul_f64 v[16:17], v[118:119], v[138:139]
	v_fmac_f64_e32 v[16:17], v[120:121], v[142:143]
	v_add_f64 v[18:19], v[14:15], v[16:17]
	ds_read_b128 v[14:17], v122 offset:1056
	s_waitcnt lgkmcnt(1)
	v_mul_f64 v[20:21], v[10:11], v[22:23]
	v_fmac_f64_e32 v[20:21], v[12:13], v[24:25]
	v_add_f64 v[22:23], v[18:19], v[20:21]
	ds_read_b128 v[18:21], v122 offset:1072
	s_waitcnt vmcnt(42) lgkmcnt(1)
	v_mul_f64 v[24:25], v[14:15], v[146:147]
	s_waitcnt vmcnt(40)
	v_fmac_f64_e32 v[24:25], v[16:17], v[150:151]
	v_add_f64 v[26:27], v[22:23], v[24:25]
	ds_read_b128 v[22:25], v122 offset:1088
	s_waitcnt lgkmcnt(1)
	v_mul_f64 v[28:29], v[18:19], v[30:31]
	v_accvgpr_write_b32 a149, v31
	v_fmac_f64_e32 v[28:29], v[20:21], v[128:129]
	v_accvgpr_write_b32 a148, v30
	v_add_f64 v[30:31], v[26:27], v[28:29]
	ds_read_b128 v[26:29], v122 offset:1104
	s_waitcnt vmcnt(34) lgkmcnt(1)
	v_mul_f64 v[32:33], v[22:23], v[154:155]
	s_waitcnt vmcnt(32)
	v_fmac_f64_e32 v[32:33], v[24:25], v[158:159]
	v_add_f64 v[34:35], v[30:31], v[32:33]
	ds_read_b128 v[30:33], v122 offset:1120
	s_waitcnt lgkmcnt(1)
	v_mul_f64 v[36:37], v[26:27], v[130:131]
	v_fmac_f64_e32 v[36:37], v[28:29], v[132:133]
	v_add_f64 v[38:39], v[34:35], v[36:37]
	ds_read_b128 v[34:37], v122 offset:1136
	s_waitcnt vmcnt(26) lgkmcnt(1)
	v_mul_f64 v[40:41], v[30:31], v[162:163]
	s_waitcnt vmcnt(24)
	v_fmac_f64_e32 v[40:41], v[32:33], v[164:165]
	v_add_f64 v[42:43], v[38:39], v[40:41]
	ds_read_b128 v[38:41], v122 offset:1152
	s_waitcnt lgkmcnt(1)
	v_mul_f64 v[44:45], v[34:35], v[134:135]
	v_fmac_f64_e32 v[44:45], v[36:37], v[136:137]
	v_add_f64 v[46:47], v[42:43], v[44:45]
	ds_read_b128 v[42:45], v122 offset:1168
	buffer_load_dword v175, off, s[0:3], 0 offset:556
	buffer_load_dword v215, off, s[0:3], 0 offset:540
	buffer_load_dword v214, off, s[0:3], 0 offset:536
	buffer_load_dword v219, off, s[0:3], 0 offset:532
	buffer_load_dword v218, off, s[0:3], 0 offset:528
	buffer_load_dword v174, off, s[0:3], 0 offset:552
	buffer_load_dword v217, off, s[0:3], 0 offset:548
	buffer_load_dword v216, off, s[0:3], 0 offset:544
	s_waitcnt vmcnt(26) lgkmcnt(1)
	v_mul_f64 v[48:49], v[38:39], v[166:167]
	s_waitcnt vmcnt(24)
	v_fmac_f64_e32 v[48:49], v[40:41], v[168:169]
	v_add_f64 v[178:179], v[46:47], v[48:49]
	ds_read_b128 v[46:49], v122 offset:1184
	buffer_load_dword v177, off, s[0:3], 0 offset:572
	buffer_load_dword v176, off, s[0:3], 0 offset:568
	;; [unrolled: 1-line block ×4, first 2 shown]
	s_waitcnt lgkmcnt(1)
	v_mul_f64 v[180:181], v[42:43], v[140:141]
	v_fmac_f64_e32 v[180:181], v[44:45], v[144:145]
	v_add_f64 v[2:3], v[178:179], v[180:181]
	buffer_load_dword v223, off, s[0:3], 0 offset:588
	buffer_load_dword v222, off, s[0:3], 0 offset:584
	;; [unrolled: 1-line block ×8, first 2 shown]
	v_mul_f64 v[4:5], v[104:105], v[56:57]
	v_fma_f64 v[6:7], v[102:103], v[50:51], -v[4:5]
	buffer_load_dword v180, off, s[0:3], 0 offset:616
	v_mul_f64 v[50:51], v[108:109], v[58:59]
	v_fma_f64 v[102:103], v[106:107], v[52:53], -v[50:51]
	buffer_load_dword v182, off, s[0:3], 0 offset:608
	buffer_load_dword v181, off, s[0:3], 0 offset:620
	;; [unrolled: 1-line block ×3, first 2 shown]
	v_mul_f64 v[50:51], v[112:113], v[54:55]
	v_fma_f64 v[104:105], v[110:111], v[184:185], -v[50:51]
	buffer_load_dword v185, off, s[0:3], 0 offset:636
	buffer_load_dword v184, off, s[0:3], 0 offset:632
	;; [unrolled: 1-line block ×8, first 2 shown]
	v_mul_f64 v[50:51], v[116:117], v[64:65]
	v_fma_f64 v[106:107], v[114:115], v[228:229], -v[50:51]
	v_mul_f64 v[50:51], v[236:237], v[62:63]
	v_fma_f64 v[108:109], v[234:235], v[60:61], -v[50:51]
	buffer_load_dword v229, off, s[0:3], 0 offset:684
	buffer_load_dword v235, off, s[0:3], 0 offset:668
	;; [unrolled: 1-line block ×12, first 2 shown]
	ds_read_b128 v[50:53], v122 offset:1200
	v_mul_f64 v[54:55], v[196:197], v[76:77]
	v_fma_f64 v[78:79], v[194:195], v[78:79], -v[54:55]
	ds_read_b128 v[54:57], v122 offset:1216
	s_waitcnt vmcnt(54) lgkmcnt(2)
	v_mul_f64 v[58:59], v[46:47], v[170:171]
	s_waitcnt vmcnt(52)
	v_fmac_f64_e32 v[58:59], v[48:49], v[172:173]
	v_add_f64 v[2:3], v[2:3], v[58:59]
	s_waitcnt lgkmcnt(1)
	v_mul_f64 v[58:59], v[50:51], v[148:149]
	v_fmac_f64_e32 v[58:59], v[52:53], v[152:153]
	v_add_f64 v[2:3], v[2:3], v[58:59]
	s_waitcnt vmcnt(46) lgkmcnt(0)
	v_mul_f64 v[58:59], v[54:55], v[210:211]
	s_waitcnt vmcnt(44)
	v_fmac_f64_e32 v[58:59], v[56:57], v[212:213]
	v_add_f64 v[2:3], v[2:3], v[58:59]
	ds_read_b128 v[58:61], v122 offset:1232
	v_mul_f64 v[62:63], v[200:201], v[66:67]
	v_fma_f64 v[198:199], v[198:199], v[70:71], -v[62:63]
	ds_read_b128 v[62:65], v122 offset:1248
	v_mul_f64 v[66:67], v[204:205], v[68:69]
	v_fma_f64 v[200:201], v[202:203], v[72:73], -v[66:67]
	ds_read_b128 v[66:69], v122 offset:1264
	s_waitcnt lgkmcnt(2)
	v_mul_f64 v[70:71], v[58:59], v[156:157]
	v_fmac_f64_e32 v[70:71], v[60:61], v[160:161]
	v_add_f64 v[2:3], v[2:3], v[70:71]
	v_mul_f64 v[74:75], v[208:209], v[74:75]
	v_fma_f64 v[194:195], v[206:207], v[84:85], -v[74:75]
	ds_read_b128 v[74:77], v122 offset:1296
	v_mul_f64 v[90:91], v[246:247], v[90:91]
	ds_read_b128 v[206:209], v122 offset:1328
	v_fma_f64 v[244:245], v[244:245], v[92:93], -v[90:91]
	v_mul_f64 v[90:91], v[254:255], v[98:99]
	v_fma_f64 v[254:255], v[252:253], v[100:101], -v[90:91]
	ds_read_b128 v[90:93], v122 offset:1360
	v_mul_f64 v[82:83], v[82:83], v[94:95]
	v_fma_f64 v[4:5], v[80:81], v[96:97], -v[82:83]
	ds_read_b128 v[94:97], v122 offset:1376
	v_add_f64 v[6:7], v[6:7], 0
	ds_read_b128 v[202:205], v122 offset:1312
	v_add_f64 v[6:7], v[6:7], v[102:103]
	v_add_f64 v[6:7], v[6:7], v[104:105]
	;; [unrolled: 1-line block ×9, first 2 shown]
	s_waitcnt vmcnt(41) lgkmcnt(6)
	v_mul_f64 v[70:71], v[62:63], v[214:215]
	s_waitcnt vmcnt(39)
	v_fmac_f64_e32 v[70:71], v[64:65], v[218:219]
	v_add_f64 v[2:3], v[2:3], v[70:71]
	s_waitcnt vmcnt(38) lgkmcnt(5)
	v_mul_f64 v[70:71], v[66:67], v[174:175]
	s_waitcnt vmcnt(36)
	v_fmac_f64_e32 v[70:71], v[68:69], v[216:217]
	v_add_f64 v[2:3], v[2:3], v[70:71]
	ds_read_b128 v[70:73], v122 offset:1280
	s_waitcnt vmcnt(34) lgkmcnt(0)
	v_mul_f64 v[84:85], v[70:71], v[176:177]
	s_waitcnt vmcnt(32)
	v_fmac_f64_e32 v[84:85], v[72:73], v[220:221]
	v_add_f64 v[2:3], v[2:3], v[84:85]
	s_waitcnt vmcnt(30)
	v_mul_f64 v[84:85], v[74:75], v[222:223]
	s_waitcnt vmcnt(28)
	v_fmac_f64_e32 v[84:85], v[76:77], v[226:227]
	v_add_f64 v[2:3], v[2:3], v[84:85]
	s_waitcnt vmcnt(26)
	v_mul_f64 v[84:85], v[202:203], v[224:225]
	s_waitcnt vmcnt(24)
	v_fmac_f64_e32 v[84:85], v[204:205], v[178:179]
	v_add_f64 v[2:3], v[2:3], v[84:85]
	v_mul_f64 v[84:85], v[250:251], v[86:87]
	v_fma_f64 v[250:251], v[248:249], v[88:89], -v[84:85]
	ds_read_b128 v[86:89], v122 offset:1344
	s_waitcnt vmcnt(21)
	v_mul_f64 v[84:85], v[206:207], v[180:181]
	s_waitcnt vmcnt(20)
	v_fmac_f64_e32 v[84:85], v[208:209], v[182:183]
	v_add_f64 v[2:3], v[2:3], v[84:85]
	s_waitcnt vmcnt(14)
	v_mul_f64 v[8:9], v[90:91], v[230:231]
	s_waitcnt lgkmcnt(0)
	v_mul_f64 v[98:99], v[86:87], v[184:185]
	v_fmac_f64_e32 v[98:99], v[88:89], v[186:187]
	v_add_f64 v[2:3], v[2:3], v[98:99]
	s_waitcnt vmcnt(12)
	v_fmac_f64_e32 v[8:9], v[92:93], v[232:233]
	buffer_load_dword v84, off, s[0:3], 0 offset:712
	v_add_f64 v[8:9], v[2:3], v[8:9]
	v_mul_f64 v[2:3], v[190:191], v[192:193]
	ds_read_b128 v[98:101], v122 offset:1392
	v_fma_f64 v[252:253], v[188:189], v[0:1], -v[2:3]
	ds_read_b128 v[0:3], v122 offset:1408
	buffer_load_dword v190, off, s[0:3], 0 offset:704
	buffer_load_dword v85, off, s[0:3], 0 offset:716
	;; [unrolled: 1-line block ×3, first 2 shown]
	s_waitcnt vmcnt(13)
	v_mul_f64 v[80:81], v[94:95], v[234:235]
	s_waitcnt vmcnt(11)
	v_fmac_f64_e32 v[80:81], v[96:97], v[240:241]
	v_add_f64 v[8:9], v[8:9], v[80:81]
	s_waitcnt vmcnt(10) lgkmcnt(1)
	v_mul_f64 v[80:81], v[98:99], v[228:229]
	s_waitcnt vmcnt(8)
	v_fmac_f64_e32 v[80:81], v[100:101], v[238:239]
	v_add_f64 v[8:9], v[8:9], v[80:81]
	s_waitcnt vmcnt(6) lgkmcnt(0)
	v_mul_f64 v[80:81], v[0:1], v[236:237]
	s_waitcnt vmcnt(4)
	v_fmac_f64_e32 v[80:81], v[2:3], v[242:243]
	v_add_f64 v[8:9], v[8:9], v[80:81]
	ds_read_b128 v[80:83], v122 offset:1424
	buffer_load_dword v189, off, s[0:3], 0 offset:732
	buffer_load_dword v188, off, s[0:3], 0 offset:728
	;; [unrolled: 1-line block ×4, first 2 shown]
	v_add_f64 v[6:7], v[6:7], v[250:251]
	v_add_f64 v[6:7], v[6:7], v[254:255]
	;; [unrolled: 1-line block ×3, first 2 shown]
	v_accvgpr_read_b32 v6, a140
	v_accvgpr_read_b32 v7, a141
	v_mul_f64 v[6:7], v[126:127], v[6:7]
	v_add_f64 v[4:5], v[200:201], v[252:253]
	v_mul_f64 v[2:3], v[2:3], v[236:237]
	v_fma_f64 v[0:1], v[0:1], v[242:243], -v[2:3]
	s_waitcnt vmcnt(5) lgkmcnt(0)
	v_mul_f64 v[110:111], v[80:81], v[84:85]
	s_waitcnt vmcnt(4)
	v_fmac_f64_e32 v[110:111], v[82:83], v[190:191]
	v_add_f64 v[8:9], v[8:9], v[110:111]
	ds_read_b128 v[110:113], v122 offset:1440
	buffer_load_dword v246, off, s[0:3], 0 offset:744
	buffer_load_dword v247, off, s[0:3], 0 offset:748
	;; [unrolled: 1-line block ×4, first 2 shown]
	v_mul_f64 v[2:3], v[82:83], v[84:85]
	v_fma_f64 v[2:3], v[80:81], v[190:191], -v[2:3]
	s_waitcnt vmcnt(6) lgkmcnt(0)
	v_mul_f64 v[114:115], v[110:111], v[188:189]
	s_waitcnt vmcnt(4)
	v_fmac_f64_e32 v[114:115], v[112:113], v[196:197]
	v_add_f64 v[8:9], v[8:9], v[114:115]
	ds_read_b128 v[114:117], v122 offset:1456
	buffer_load_dword v250, off, s[0:3], 0 offset:48
	buffer_load_dword v251, off, s[0:3], 0 offset:52
	;; [unrolled: 1-line block ×4, first 2 shown]
	s_waitcnt vmcnt(6) lgkmcnt(0)
	v_mul_f64 v[192:193], v[114:115], v[246:247]
	s_waitcnt vmcnt(4)
	v_fmac_f64_e32 v[192:193], v[116:117], v[248:249]
	v_add_f64 v[192:193], v[8:9], v[192:193]
	v_accvgpr_read_b32 v8, a142
	v_accvgpr_read_b32 v9, a143
	v_fma_f64 v[6:7], v[124:125], v[8:9], -v[6:7]
	v_add_f64 v[4:5], v[4:5], v[6:7]
	v_mul_f64 v[6:7], v[120:121], v[138:139]
	v_fma_f64 v[6:7], v[118:119], v[142:143], -v[6:7]
	v_add_f64 v[4:5], v[4:5], v[6:7]
	v_accvgpr_read_b32 v6, a144
	v_accvgpr_read_b32 v7, a145
	;; [unrolled: 1-line block ×3, first 2 shown]
	v_mul_f64 v[6:7], v[12:13], v[6:7]
	v_accvgpr_read_b32 v9, a147
	v_fma_f64 v[6:7], v[10:11], v[8:9], -v[6:7]
	v_add_f64 v[4:5], v[4:5], v[6:7]
	v_mul_f64 v[6:7], v[16:17], v[146:147]
	v_fma_f64 v[6:7], v[14:15], v[150:151], -v[6:7]
	v_add_f64 v[4:5], v[4:5], v[6:7]
	v_accvgpr_read_b32 v6, a148
	v_accvgpr_read_b32 v7, a149
	v_mul_f64 v[6:7], v[20:21], v[6:7]
	v_fma_f64 v[6:7], v[18:19], v[128:129], -v[6:7]
	v_add_f64 v[4:5], v[4:5], v[6:7]
	v_mul_f64 v[6:7], v[24:25], v[154:155]
	v_fma_f64 v[6:7], v[22:23], v[158:159], -v[6:7]
	v_add_f64 v[4:5], v[4:5], v[6:7]
	;; [unrolled: 3-line block ×21, first 2 shown]
	v_add_f64 v[0:1], v[4:5], v[0:1]
	v_add_f64 v[0:1], v[0:1], v[2:3]
	v_mul_f64 v[2:3], v[112:113], v[188:189]
	v_fma_f64 v[2:3], v[110:111], v[196:197], -v[2:3]
	v_add_f64 v[0:1], v[0:1], v[2:3]
	v_mul_f64 v[2:3], v[116:117], v[246:247]
	v_fma_f64 v[2:3], v[114:115], v[248:249], -v[2:3]
	v_add_f64 v[0:1], v[0:1], v[2:3]
	s_waitcnt vmcnt(2)
	v_add_f64 v[0:1], v[250:251], -v[0:1]
	s_waitcnt vmcnt(0)
	v_add_f64 v[2:3], v[198:199], -v[192:193]
	buffer_store_dword v1, off, s[0:3], 0 offset:52
	buffer_store_dword v0, off, s[0:3], 0 offset:48
	;; [unrolled: 1-line block ×4, first 2 shown]
	v_accvgpr_read_b32 v0, a137
	v_cmp_lt_u32_e32 vcc, 1, v0
	s_and_saveexec_b64 s[4:5], vcc
	s_cbranch_execz .LBB109_287
; %bb.286:
	v_accvgpr_read_b32 v0, a136
	buffer_load_dword v2, v0, s[0:3], 0 offen
	buffer_load_dword v3, v0, s[0:3], 0 offen offset:4
	buffer_load_dword v4, v0, s[0:3], 0 offen offset:8
	;; [unrolled: 1-line block ×3, first 2 shown]
	v_accvgpr_read_b32 v0, a138
	buffer_store_dword v122, off, s[0:3], 0 offset:32
	buffer_store_dword v122, off, s[0:3], 0 offset:36
	;; [unrolled: 1-line block ×4, first 2 shown]
	s_waitcnt vmcnt(4)
	ds_write_b128 v0, v[2:5]
.LBB109_287:
	s_or_b64 exec, exec, s[4:5]
	s_waitcnt lgkmcnt(0)
	; wave barrier
	s_waitcnt lgkmcnt(0)
	buffer_load_dword v138, off, s[0:3], 0 offset:48
	buffer_load_dword v139, off, s[0:3], 0 offset:52
	;; [unrolled: 1-line block ×36, first 2 shown]
	ds_read_b128 v[82:85], v122 offset:768
	ds_read_b128 v[78:81], v122 offset:784
	;; [unrolled: 1-line block ×9, first 2 shown]
	buffer_load_dword v179, off, s[0:3], 0 offset:220
	buffer_load_dword v178, off, s[0:3], 0 offset:216
	;; [unrolled: 1-line block ×19, first 2 shown]
	s_waitcnt vmcnt(51) lgkmcnt(8)
	v_mul_f64 v[0:1], v[82:83], v[146:147]
	v_fmac_f64_e32 v[0:1], v[84:85], v[138:139]
	v_add_f64 v[0:1], v[0:1], 0
	s_waitcnt vmcnt(47) lgkmcnt(7)
	v_mul_f64 v[2:3], v[78:79], v[150:151]
	v_fmac_f64_e32 v[2:3], v[80:81], v[148:149]
	s_waitcnt vmcnt(45) lgkmcnt(6)
	v_mul_f64 v[4:5], v[74:75], v[154:155]
	v_add_f64 v[0:1], v[0:1], v[2:3]
	s_waitcnt vmcnt(43) lgkmcnt(4)
	v_mul_f64 v[8:9], v[62:63], v[164:165]
	v_mul_f64 v[80:81], v[80:81], v[150:151]
	s_waitcnt vmcnt(41)
	v_fmac_f64_e32 v[8:9], v[64:65], v[166:167]
	v_fma_f64 v[78:79], v[78:79], v[148:149], -v[80:81]
	s_waitcnt vmcnt(39)
	v_mul_f64 v[6:7], v[70:71], v[100:101]
	v_mul_f64 v[64:65], v[64:65], v[164:165]
	s_waitcnt vmcnt(37) lgkmcnt(2)
	v_mul_f64 v[12:13], v[54:55], v[104:105]
	s_waitcnt vmcnt(35)
	v_fmac_f64_e32 v[12:13], v[56:57], v[108:109]
	v_mul_f64 v[56:57], v[56:57], v[104:105]
	s_waitcnt vmcnt(33)
	v_mul_f64 v[10:11], v[50:51], v[112:113]
	s_waitcnt vmcnt(31) lgkmcnt(1)
	v_mul_f64 v[14:15], v[58:59], v[106:107]
	s_waitcnt vmcnt(29)
	v_fmac_f64_e32 v[4:5], v[76:77], v[152:153]
	v_add_f64 v[0:1], v[0:1], v[4:5]
	s_waitcnt vmcnt(27)
	v_fmac_f64_e32 v[6:7], v[72:73], v[116:117]
	v_add_f64 v[0:1], v[0:1], v[6:7]
	;; [unrolled: 3-line block ×3, first 2 shown]
	v_add_f64 v[0:1], v[0:1], v[10:11]
	v_add_f64 v[2:3], v[0:1], v[12:13]
	buffer_load_dword v188, off, s[0:3], 0 offset:272
	buffer_load_dword v1, off, s[0:3], 0 offset:268
	;; [unrolled: 1-line block ×7, first 2 shown]
	s_waitcnt vmcnt(30)
	v_fmac_f64_e32 v[14:15], v[60:61], v[110:111]
	v_add_f64 v[2:3], v[2:3], v[14:15]
	v_mul_f64 v[76:77], v[76:77], v[154:155]
	v_fma_f64 v[80:81], v[74:75], v[152:153], -v[76:77]
	v_mul_f64 v[52:53], v[52:53], v[112:113]
	v_fma_f64 v[114:115], v[50:51], v[114:115], -v[52:53]
	;; [unrolled: 2-line block ×3, first 2 shown]
	v_fma_f64 v[116:117], v[62:63], v[166:167], -v[64:65]
	v_mul_f64 v[60:61], v[60:61], v[106:107]
	s_waitcnt vmcnt(0)
	v_pk_mov_b32 v[18:19], v[4:5], v[4:5] op_sel:[0,1]
	buffer_load_dword v5, off, s[0:3], 0 offset:308
	buffer_load_dword v4, off, s[0:3], 0 offset:304
	v_accvgpr_write_b32 a141, v19
	v_accvgpr_write_b32 a140, v18
	s_waitcnt vmcnt(0)
	v_pk_mov_b32 v[20:21], v[4:5], v[4:5] op_sel:[0,1]
	buffer_load_dword v223, off, s[0:3], 0 offset:300
	buffer_load_dword v222, off, s[0:3], 0 offset:296
	;; [unrolled: 1-line block ×6, first 2 shown]
	v_accvgpr_write_b32 a143, v21
	v_accvgpr_write_b32 a142, v20
	s_waitcnt vmcnt(0)
	v_pk_mov_b32 v[26:27], v[4:5], v[4:5] op_sel:[0,1]
	buffer_load_dword v5, off, s[0:3], 0 offset:340
	buffer_load_dword v4, off, s[0:3], 0 offset:336
	v_accvgpr_write_b32 a145, v27
	v_accvgpr_write_b32 a144, v26
	s_waitcnt vmcnt(0)
	v_pk_mov_b32 v[28:29], v[4:5], v[4:5] op_sel:[0,1]
	buffer_load_dword v231, off, s[0:3], 0 offset:332
	buffer_load_dword v230, off, s[0:3], 0 offset:328
	;; [unrolled: 1-line block ×6, first 2 shown]
	v_accvgpr_write_b32 a147, v29
	v_accvgpr_write_b32 a146, v28
	s_waitcnt vmcnt(0)
	v_pk_mov_b32 v[34:35], v[4:5], v[4:5] op_sel:[0,1]
	buffer_load_dword v5, off, s[0:3], 0 offset:372
	buffer_load_dword v4, off, s[0:3], 0 offset:368
	v_accvgpr_write_b32 a149, v35
	v_accvgpr_write_b32 a148, v34
	s_waitcnt vmcnt(0)
	v_pk_mov_b32 v[36:37], v[4:5], v[4:5] op_sel:[0,1]
	buffer_load_dword v239, off, s[0:3], 0 offset:364
	buffer_load_dword v238, off, s[0:3], 0 offset:360
	buffer_load_dword v243, off, s[0:3], 0 offset:356
	buffer_load_dword v242, off, s[0:3], 0 offset:352
	buffer_load_dword v5, off, s[0:3], 0 offset:412
	buffer_load_dword v4, off, s[0:3], 0 offset:408
	buffer_load_dword v221, off, s[0:3], 0 offset:404
	buffer_load_dword v220, off, s[0:3], 0 offset:400
	buffer_load_dword v247, off, s[0:3], 0 offset:396
	buffer_load_dword v246, off, s[0:3], 0 offset:392
	buffer_load_dword v249, off, s[0:3], 0 offset:388
	buffer_load_dword v248, off, s[0:3], 0 offset:384
	buffer_load_dword v225, off, s[0:3], 0 offset:444
	buffer_load_dword v224, off, s[0:3], 0 offset:440
	buffer_load_dword v229, off, s[0:3], 0 offset:436
	buffer_load_dword v228, off, s[0:3], 0 offset:432
	buffer_load_dword v251, off, s[0:3], 0 offset:428
	buffer_load_dword v250, off, s[0:3], 0 offset:424
	buffer_load_dword v253, off, s[0:3], 0 offset:420
	buffer_load_dword v252, off, s[0:3], 0 offset:416
	buffer_load_dword v233, off, s[0:3], 0 offset:476
	buffer_load_dword v232, off, s[0:3], 0 offset:472
	buffer_load_dword v237, off, s[0:3], 0 offset:468
	buffer_load_dword v236, off, s[0:3], 0 offset:464
	buffer_load_dword v255, off, s[0:3], 0 offset:460
	buffer_load_dword v254, off, s[0:3], 0 offset:456
	buffer_load_dword v217, off, s[0:3], 0 offset:452
	buffer_load_dword v216, off, s[0:3], 0 offset:448
	buffer_load_dword v241, off, s[0:3], 0 offset:508
	buffer_load_dword v240, off, s[0:3], 0 offset:504
	buffer_load_dword v245, off, s[0:3], 0 offset:500
	buffer_load_dword v244, off, s[0:3], 0 offset:496
	buffer_load_dword v219, off, s[0:3], 0 offset:492
	buffer_load_dword v218, off, s[0:3], 0 offset:488
	buffer_load_dword v193, off, s[0:3], 0 offset:484
	buffer_load_dword v192, off, s[0:3], 0 offset:480
	ds_read_b128 v[200:203], v122 offset:912
	ds_read_b128 v[204:207], v122 offset:928
	;; [unrolled: 1-line block ×9, first 2 shown]
	v_accvgpr_write_b32 a151, v37
	s_waitcnt lgkmcnt(3)
	v_mul_f64 v[8:9], v[94:95], v[186:187]
	v_fmac_f64_e32 v[8:9], v[96:97], v[188:189]
	s_waitcnt lgkmcnt(2)
	v_mul_f64 v[12:13], v[212:213], v[222:223]
	v_fmac_f64_e32 v[12:13], v[214:215], v[226:227]
	;; [unrolled: 3-line block ×3, first 2 shown]
	v_accvgpr_write_b32 a150, v36
	v_mul_f64 v[70:71], v[202:203], v[182:183]
	v_mul_f64 v[96:97], v[96:97], v[186:187]
	s_waitcnt vmcnt(30)
	v_pk_mov_b32 v[42:43], v[4:5], v[4:5] op_sel:[0,1]
	v_mul_f64 v[4:5], v[66:67], v[102:103]
	v_fmac_f64_e32 v[4:5], v[68:69], v[176:177]
	v_add_f64 v[2:3], v[2:3], v[4:5]
	v_mul_f64 v[4:5], v[200:201], v[182:183]
	v_fmac_f64_e32 v[4:5], v[202:203], v[184:185]
	v_add_f64 v[2:3], v[2:3], v[4:5]
	;; [unrolled: 3-line block ×6, first 2 shown]
	v_add_f64 v[10:11], v[6:7], v[8:9]
	v_add_f64 v[14:15], v[10:11], v[12:13]
	;; [unrolled: 1-line block ×3, first 2 shown]
	ds_read_b128 v[14:17], v122 offset:1056
	s_waitcnt lgkmcnt(1)
	v_mul_f64 v[20:21], v[124:125], v[230:231]
	v_fmac_f64_e32 v[20:21], v[126:127], v[234:235]
	v_add_f64 v[22:23], v[18:19], v[20:21]
	ds_read_b128 v[18:21], v122 offset:1072
	s_waitcnt lgkmcnt(1)
	v_mul_f64 v[24:25], v[14:15], v[26:27]
	v_fmac_f64_e32 v[24:25], v[16:17], v[28:29]
	v_add_f64 v[26:27], v[22:23], v[24:25]
	;; [unrolled: 5-line block ×4, first 2 shown]
	ds_read_b128 v[30:33], v122 offset:1120
	s_waitcnt vmcnt(26) lgkmcnt(1)
	v_mul_f64 v[36:37], v[26:27], v[246:247]
	s_waitcnt vmcnt(24)
	v_fmac_f64_e32 v[36:37], v[28:29], v[248:249]
	v_add_f64 v[38:39], v[34:35], v[36:37]
	ds_read_b128 v[34:37], v122 offset:1136
	s_waitcnt lgkmcnt(1)
	v_mul_f64 v[40:41], v[30:31], v[42:43]
	v_accvgpr_write_b32 a153, v43
	v_fmac_f64_e32 v[40:41], v[32:33], v[220:221]
	v_accvgpr_write_b32 a152, v42
	v_add_f64 v[42:43], v[38:39], v[40:41]
	ds_read_b128 v[38:41], v122 offset:1152
	s_waitcnt vmcnt(18) lgkmcnt(1)
	v_mul_f64 v[44:45], v[34:35], v[250:251]
	s_waitcnt vmcnt(16)
	v_fmac_f64_e32 v[44:45], v[36:37], v[252:253]
	v_add_f64 v[46:47], v[42:43], v[44:45]
	ds_read_b128 v[42:45], v122 offset:1168
	buffer_load_dword v129, off, s[0:3], 0 offset:524
	buffer_load_dword v128, off, s[0:3], 0 offset:520
	;; [unrolled: 1-line block ×4, first 2 shown]
	s_waitcnt lgkmcnt(1)
	v_mul_f64 v[48:49], v[38:39], v[224:225]
	v_fmac_f64_e32 v[48:49], v[40:41], v[228:229]
	v_add_f64 v[132:133], v[46:47], v[48:49]
	ds_read_b128 v[46:49], v122 offset:1184
	buffer_load_dword v135, off, s[0:3], 0 offset:540
	buffer_load_dword v134, off, s[0:3], 0 offset:536
	;; [unrolled: 1-line block ×4, first 2 shown]
	s_waitcnt vmcnt(18) lgkmcnt(1)
	v_mul_f64 v[140:141], v[42:43], v[254:255]
	s_waitcnt vmcnt(16)
	v_fmac_f64_e32 v[140:141], v[44:45], v[216:217]
	v_add_f64 v[2:3], v[132:133], v[140:141]
	buffer_load_dword v133, off, s[0:3], 0 offset:572
	buffer_load_dword v141, off, s[0:3], 0 offset:556
	;; [unrolled: 1-line block ×8, first 2 shown]
	v_mul_f64 v[4:5], v[84:85], v[146:147]
	v_fma_f64 v[10:11], v[82:83], v[138:139], -v[4:5]
	buffer_load_dword v138, off, s[0:3], 0 offset:600
	buffer_load_dword v147, off, s[0:3], 0 offset:588
	;; [unrolled: 1-line block ×20, first 2 shown]
	s_waitcnt lgkmcnt(0)
	v_mul_f64 v[50:51], v[46:47], v[232:233]
	v_fmac_f64_e32 v[50:51], v[48:49], v[236:237]
	buffer_load_dword v167, off, s[0:3], 0 offset:668
	buffer_load_dword v166, off, s[0:3], 0 offset:664
	;; [unrolled: 1-line block ×12, first 2 shown]
	v_add_f64 v[2:3], v[2:3], v[50:51]
	ds_read_b128 v[50:53], v122 offset:1200
	v_fma_f64 v[6:7], v[54:55], v[108:109], -v[56:57]
	ds_read_b128 v[54:57], v122 offset:1216
	v_fma_f64 v[4:5], v[58:59], v[110:111], -v[60:61]
	ds_read_b128 v[58:61], v122 offset:1232
	ds_read_b128 v[62:65], v122 offset:1248
	s_waitcnt vmcnt(50) lgkmcnt(3)
	v_mul_f64 v[8:9], v[50:51], v[218:219]
	s_waitcnt vmcnt(48)
	v_fmac_f64_e32 v[8:9], v[52:53], v[192:193]
	v_add_f64 v[2:3], v[2:3], v[8:9]
	s_waitcnt lgkmcnt(2)
	v_mul_f64 v[8:9], v[54:55], v[240:241]
	v_fmac_f64_e32 v[8:9], v[56:57], v[244:245]
	v_add_f64 v[2:3], v[2:3], v[8:9]
	v_fma_f64 v[200:201], v[200:201], v[184:185], -v[70:71]
	ds_read_b128 v[74:77], v122 offset:1296
	v_mul_f64 v[88:89], v[88:89], v[190:191]
	v_fma_f64 v[190:191], v[86:87], v[194:195], -v[88:89]
	ds_read_b128 v[86:89], v122 offset:1360
	v_mul_f64 v[0:1], v[92:93], v[0:1]
	v_add_f64 v[10:11], v[10:11], 0
	v_add_f64 v[10:11], v[10:11], v[78:79]
	;; [unrolled: 1-line block ×8, first 2 shown]
	v_mul_f64 v[6:7], v[214:215], v[222:223]
	v_fma_f64 v[6:7], v[212:213], v[226:227], -v[6:7]
	ds_read_b128 v[70:73], v122 offset:1280
	s_waitcnt vmcnt(46) lgkmcnt(4)
	v_mul_f64 v[8:9], v[58:59], v[128:129]
	s_waitcnt vmcnt(44)
	v_fmac_f64_e32 v[8:9], v[60:61], v[130:131]
	v_add_f64 v[2:3], v[2:3], v[8:9]
	v_mul_f64 v[8:9], v[68:69], v[102:103]
	v_fma_f64 v[8:9], v[66:67], v[176:177], -v[8:9]
	ds_read_b128 v[66:69], v122 offset:1264
	s_waitcnt vmcnt(42) lgkmcnt(4)
	v_mul_f64 v[12:13], v[62:63], v[134:135]
	s_waitcnt vmcnt(40)
	v_fmac_f64_e32 v[12:13], v[64:65], v[136:137]
	v_add_f64 v[2:3], v[2:3], v[12:13]
	v_add_f64 v[4:5], v[4:5], v[8:9]
	s_waitcnt vmcnt(37) lgkmcnt(0)
	v_mul_f64 v[12:13], v[66:67], v[140:141]
	s_waitcnt vmcnt(35)
	v_fmac_f64_e32 v[12:13], v[68:69], v[144:145]
	v_add_f64 v[2:3], v[2:3], v[12:13]
	s_waitcnt vmcnt(34)
	v_mul_f64 v[12:13], v[70:71], v[132:133]
	s_waitcnt vmcnt(32)
	v_fmac_f64_e32 v[12:13], v[72:73], v[142:143]
	v_add_f64 v[2:3], v[2:3], v[12:13]
	v_mul_f64 v[12:13], v[206:207], v[178:179]
	v_fma_f64 v[12:13], v[204:205], v[180:181], -v[12:13]
	ds_read_b128 v[202:205], v122 offset:1312
	s_waitcnt vmcnt(29)
	v_mul_f64 v[82:83], v[74:75], v[146:147]
	s_waitcnt vmcnt(27)
	v_fmac_f64_e32 v[82:83], v[76:77], v[150:151]
	v_add_f64 v[2:3], v[2:3], v[82:83]
	v_mul_f64 v[82:83], v[120:121], v[196:197]
	v_fma_f64 v[206:207], v[118:119], v[198:199], -v[82:83]
	ds_read_b128 v[82:85], v122 offset:1328
	ds_read_b128 v[118:121], v122 offset:1344
	s_waitcnt vmcnt(25) lgkmcnt(2)
	v_mul_f64 v[102:103], v[202:203], v[138:139]
	s_waitcnt vmcnt(24)
	v_fmac_f64_e32 v[102:103], v[204:205], v[148:149]
	v_add_f64 v[2:3], v[2:3], v[102:103]
	s_waitcnt vmcnt(21) lgkmcnt(1)
	v_mul_f64 v[102:103], v[82:83], v[154:155]
	s_waitcnt vmcnt(19)
	v_fmac_f64_e32 v[102:103], v[84:85], v[160:161]
	v_add_f64 v[2:3], v[2:3], v[102:103]
	;; [unrolled: 5-line block ×3, first 2 shown]
	v_fma_f64 v[196:197], v[90:91], v[98:99], -v[0:1]
	ds_read_b128 v[0:3], v122 offset:1376
	s_waitcnt vmcnt(14)
	v_mul_f64 v[104:105], v[86:87], v[156:157]
	s_waitcnt vmcnt(12)
	v_fmac_f64_e32 v[104:105], v[88:89], v[162:163]
	v_add_f64 v[98:99], v[102:103], v[104:105]
	ds_read_b128 v[90:93], v122 offset:1392
	ds_read_b128 v[102:105], v122 offset:1408
	buffer_load_dword v177, off, s[0:3], 0 offset:716
	buffer_load_dword v176, off, s[0:3], 0 offset:712
	;; [unrolled: 1-line block ×4, first 2 shown]
	ds_read_b128 v[106:109], v122 offset:1424
	buffer_load_dword v180, off, s[0:3], 0 offset:728
	buffer_load_dword v181, off, s[0:3], 0 offset:732
	;; [unrolled: 1-line block ×4, first 2 shown]
	v_fma_f64 v[198:199], v[94:95], v[188:189], -v[96:97]
	s_waitcnt vmcnt(18) lgkmcnt(3)
	v_mul_f64 v[94:95], v[0:1], v[166:167]
	s_waitcnt vmcnt(16)
	v_fmac_f64_e32 v[94:95], v[2:3], v[168:169]
	s_waitcnt vmcnt(13) lgkmcnt(2)
	v_mul_f64 v[96:97], v[90:91], v[172:173]
	v_add_f64 v[94:95], v[98:99], v[94:95]
	s_waitcnt vmcnt(11)
	v_fmac_f64_e32 v[96:97], v[92:93], v[174:175]
	ds_read_b128 v[110:113], v122 offset:1440
	v_add_f64 v[94:95], v[94:95], v[96:97]
	s_waitcnt vmcnt(9) lgkmcnt(2)
	v_mul_f64 v[96:97], v[102:103], v[164:165]
	s_waitcnt vmcnt(8)
	v_fmac_f64_e32 v[96:97], v[104:105], v[170:171]
	v_add_f64 v[94:95], v[94:95], v[96:97]
	buffer_load_dword v187, off, s[0:3], 0 offset:748
	buffer_load_dword v186, off, s[0:3], 0 offset:744
	buffer_load_dword v189, off, s[0:3], 0 offset:740
	buffer_load_dword v188, off, s[0:3], 0 offset:736
	v_add_f64 v[4:5], v[4:5], v[200:201]
	v_add_f64 v[4:5], v[4:5], v[12:13]
	;; [unrolled: 1-line block ×7, first 2 shown]
	v_accvgpr_read_b32 v6, a140
	v_accvgpr_read_b32 v7, a141
	v_accvgpr_read_b32 v8, a142
	v_mul_f64 v[6:7], v[210:211], v[6:7]
	v_accvgpr_read_b32 v9, a143
	v_fma_f64 v[6:7], v[208:209], v[8:9], -v[6:7]
	v_add_f64 v[4:5], v[4:5], v[6:7]
	v_mul_f64 v[6:7], v[126:127], v[230:231]
	v_fma_f64 v[6:7], v[124:125], v[234:235], -v[6:7]
	v_add_f64 v[4:5], v[4:5], v[6:7]
	v_accvgpr_read_b32 v6, a144
	v_accvgpr_read_b32 v7, a145
	v_accvgpr_read_b32 v8, a146
	v_mul_f64 v[6:7], v[16:17], v[6:7]
	v_accvgpr_read_b32 v9, a147
	v_fma_f64 v[6:7], v[14:15], v[8:9], -v[6:7]
	v_add_f64 v[4:5], v[4:5], v[6:7]
	v_mul_f64 v[6:7], v[20:21], v[238:239]
	v_fma_f64 v[6:7], v[18:19], v[242:243], -v[6:7]
	v_add_f64 v[4:5], v[4:5], v[6:7]
	v_accvgpr_read_b32 v6, a148
	v_accvgpr_read_b32 v7, a149
	v_accvgpr_read_b32 v8, a150
	v_mul_f64 v[6:7], v[24:25], v[6:7]
	v_accvgpr_read_b32 v9, a151
	v_fma_f64 v[6:7], v[22:23], v[8:9], -v[6:7]
	v_add_f64 v[4:5], v[4:5], v[6:7]
	v_mul_f64 v[6:7], v[28:29], v[246:247]
	v_fma_f64 v[6:7], v[26:27], v[248:249], -v[6:7]
	v_add_f64 v[4:5], v[4:5], v[6:7]
	v_accvgpr_read_b32 v6, a152
	v_accvgpr_read_b32 v7, a153
	v_mul_f64 v[6:7], v[32:33], v[6:7]
	v_fma_f64 v[6:7], v[30:31], v[220:221], -v[6:7]
	v_add_f64 v[4:5], v[4:5], v[6:7]
	v_mul_f64 v[6:7], v[36:37], v[250:251]
	v_fma_f64 v[6:7], v[34:35], v[252:253], -v[6:7]
	v_add_f64 v[4:5], v[4:5], v[6:7]
	;; [unrolled: 3-line block ×8, first 2 shown]
	s_waitcnt vmcnt(10) lgkmcnt(1)
	v_mul_f64 v[96:97], v[106:107], v[176:177]
	v_mul_f64 v[6:7], v[64:65], v[134:135]
	s_waitcnt vmcnt(8)
	v_fmac_f64_e32 v[96:97], v[108:109], v[178:179]
	v_add_f64 v[94:95], v[94:95], v[96:97]
	s_waitcnt vmcnt(6) lgkmcnt(0)
	v_mul_f64 v[96:97], v[110:111], v[180:181]
	s_waitcnt vmcnt(4)
	v_fmac_f64_e32 v[96:97], v[112:113], v[182:183]
	v_add_f64 v[98:99], v[94:95], v[96:97]
	ds_read_b128 v[94:97], v122 offset:1456
	buffer_load_dword v194, off, s[0:3], 0 offset:32
	buffer_load_dword v195, off, s[0:3], 0 offset:36
	;; [unrolled: 1-line block ×4, first 2 shown]
	v_fma_f64 v[6:7], v[62:63], v[136:137], -v[6:7]
	v_add_f64 v[4:5], v[4:5], v[6:7]
	v_mul_f64 v[6:7], v[68:69], v[140:141]
	v_fma_f64 v[6:7], v[66:67], v[144:145], -v[6:7]
	v_add_f64 v[4:5], v[4:5], v[6:7]
	v_mul_f64 v[6:7], v[72:73], v[132:133]
	;; [unrolled: 3-line block ×7, first 2 shown]
	v_fma_f64 v[6:7], v[86:87], v[162:163], -v[6:7]
	v_mul_f64 v[2:3], v[2:3], v[166:167]
	v_add_f64 v[4:5], v[4:5], v[6:7]
	v_fma_f64 v[0:1], v[0:1], v[168:169], -v[2:3]
	v_mul_f64 v[2:3], v[92:93], v[172:173]
	v_add_f64 v[0:1], v[4:5], v[0:1]
	v_fma_f64 v[2:3], v[90:91], v[174:175], -v[2:3]
	v_add_f64 v[0:1], v[0:1], v[2:3]
	v_mul_f64 v[2:3], v[104:105], v[164:165]
	v_fma_f64 v[2:3], v[102:103], v[170:171], -v[2:3]
	v_add_f64 v[0:1], v[0:1], v[2:3]
	v_mul_f64 v[2:3], v[108:109], v[176:177]
	;; [unrolled: 3-line block ×3, first 2 shown]
	v_fma_f64 v[2:3], v[110:111], v[182:183], -v[2:3]
	v_add_f64 v[0:1], v[0:1], v[2:3]
	s_waitcnt vmcnt(6) lgkmcnt(0)
	v_mul_f64 v[2:3], v[96:97], v[186:187]
	v_mul_f64 v[122:123], v[94:95], v[186:187]
	s_waitcnt vmcnt(4)
	v_fma_f64 v[2:3], v[94:95], v[188:189], -v[2:3]
	v_fmac_f64_e32 v[122:123], v[96:97], v[188:189]
	v_add_f64 v[0:1], v[0:1], v[2:3]
	v_add_f64 v[184:185], v[98:99], v[122:123]
	s_waitcnt vmcnt(2)
	v_add_f64 v[0:1], v[194:195], -v[0:1]
	s_waitcnt vmcnt(0)
	v_add_f64 v[2:3], v[190:191], -v[184:185]
	buffer_store_dword v1, off, s[0:3], 0 offset:36
	buffer_store_dword v0, off, s[0:3], 0 offset:32
	;; [unrolled: 1-line block ×4, first 2 shown]
	v_accvgpr_read_b32 v0, a137
	v_cmp_ne_u32_e32 vcc, 0, v0
	s_and_saveexec_b64 s[4:5], vcc
	s_cbranch_execz .LBB109_289
; %bb.288:
	buffer_load_dword v0, off, s[0:3], 0 offset:16
	buffer_load_dword v1, off, s[0:3], 0 offset:20
	;; [unrolled: 1-line block ×4, first 2 shown]
	v_mov_b32_e32 v4, 0
	v_accvgpr_read_b32 v5, a138
	buffer_store_dword v4, off, s[0:3], 0 offset:16
	buffer_store_dword v4, off, s[0:3], 0 offset:20
	;; [unrolled: 1-line block ×4, first 2 shown]
	s_waitcnt vmcnt(4)
	ds_write_b128 v5, v[0:3]
.LBB109_289:
	s_or_b64 exec, exec, s[4:5]
	s_waitcnt lgkmcnt(0)
	; wave barrier
	s_waitcnt lgkmcnt(0)
	buffer_load_dword v54, off, s[0:3], 0 offset:32
	buffer_load_dword v55, off, s[0:3], 0 offset:36
	;; [unrolled: 1-line block ×36, first 2 shown]
	v_mov_b32_e32 v16, 0
	buffer_load_dword v85, off, s[0:3], 0 offset:204
	buffer_load_dword v84, off, s[0:3], 0 offset:200
	;; [unrolled: 1-line block ×18, first 2 shown]
	ds_read_b128 v[108:111], v16 offset:752
	ds_read_b128 v[112:115], v16 offset:768
	;; [unrolled: 1-line block ×9, first 2 shown]
	s_and_b64 vcc, exec, s[16:17]
	s_waitcnt vmcnt(50) lgkmcnt(8)
	v_mul_f64 v[0:1], v[108:109], v[56:57]
	v_fmac_f64_e32 v[0:1], v[110:111], v[54:55]
	v_add_f64 v[0:1], v[0:1], 0
	s_waitcnt vmcnt(46) lgkmcnt(7)
	v_mul_f64 v[2:3], v[112:113], v[52:53]
	v_fmac_f64_e32 v[2:3], v[114:115], v[48:49]
	s_waitcnt vmcnt(44) lgkmcnt(6)
	v_mul_f64 v[4:5], v[146:147], v[50:51]
	v_add_f64 v[0:1], v[0:1], v[2:3]
	s_waitcnt vmcnt(42) lgkmcnt(4)
	v_mul_f64 v[8:9], v[158:159], v[58:59]
	v_mul_f64 v[52:53], v[114:115], v[52:53]
	s_waitcnt vmcnt(40)
	v_fmac_f64_e32 v[8:9], v[160:161], v[60:61]
	s_waitcnt vmcnt(38)
	v_mul_f64 v[6:7], v[154:155], v[62:63]
	s_waitcnt vmcnt(36) lgkmcnt(2)
	v_mul_f64 v[12:13], v[166:167], v[72:73]
	s_waitcnt vmcnt(34)
	v_fmac_f64_e32 v[12:13], v[168:169], v[70:71]
	s_waitcnt vmcnt(32)
	v_mul_f64 v[10:11], v[162:163], v[74:75]
	s_waitcnt vmcnt(30) lgkmcnt(1)
	v_mul_f64 v[14:15], v[174:175], v[64:65]
	s_waitcnt vmcnt(28)
	v_fmac_f64_e32 v[4:5], v[148:149], v[80:81]
	v_add_f64 v[0:1], v[0:1], v[4:5]
	s_waitcnt vmcnt(26)
	v_fmac_f64_e32 v[6:7], v[156:157], v[78:79]
	v_add_f64 v[0:1], v[0:1], v[6:7]
	;; [unrolled: 3-line block ×3, first 2 shown]
	v_add_f64 v[0:1], v[0:1], v[10:11]
	v_add_f64 v[4:5], v[0:1], v[12:13]
	buffer_load_dword v103, off, s[0:3], 0 offset:260
	buffer_load_dword v102, off, s[0:3], 0 offset:256
	;; [unrolled: 1-line block ×8, first 2 shown]
	s_waitcnt vmcnt(30)
	v_fmac_f64_e32 v[14:15], v[176:177], v[68:69]
	v_add_f64 v[4:5], v[4:5], v[14:15]
	s_waitcnt vmcnt(0)
	v_pk_mov_b32 v[12:13], v[6:7], v[6:7] op_sel:[0,1]
	buffer_load_dword v7, off, s[0:3], 0 offset:292
	buffer_load_dword v6, off, s[0:3], 0 offset:288
	v_accvgpr_write_b32 a139, v13
	v_accvgpr_write_b32 a138, v12
	s_waitcnt vmcnt(0)
	v_pk_mov_b32 v[18:19], v[6:7], v[6:7] op_sel:[0,1]
	buffer_load_dword v105, off, s[0:3], 0 offset:284
	buffer_load_dword v104, off, s[0:3], 0 offset:280
	buffer_load_dword v107, off, s[0:3], 0 offset:276
	buffer_load_dword v106, off, s[0:3], 0 offset:272
	buffer_load_dword v7, off, s[0:3], 0 offset:332
	buffer_load_dword v6, off, s[0:3], 0 offset:328
	v_accvgpr_write_b32 a141, v19
	v_accvgpr_write_b32 a140, v18
	s_waitcnt vmcnt(0)
	v_pk_mov_b32 v[20:21], v[6:7], v[6:7] op_sel:[0,1]
	buffer_load_dword v7, off, s[0:3], 0 offset:324
	buffer_load_dword v6, off, s[0:3], 0 offset:320
	v_accvgpr_write_b32 a143, v21
	v_accvgpr_write_b32 a142, v20
	s_waitcnt vmcnt(0)
	v_pk_mov_b32 v[22:23], v[6:7], v[6:7] op_sel:[0,1]
	buffer_load_dword v229, off, s[0:3], 0 offset:316
	buffer_load_dword v228, off, s[0:3], 0 offset:312
	buffer_load_dword v233, off, s[0:3], 0 offset:308
	buffer_load_dword v232, off, s[0:3], 0 offset:304
	buffer_load_dword v7, off, s[0:3], 0 offset:364
	buffer_load_dword v6, off, s[0:3], 0 offset:360
	v_accvgpr_write_b32 a145, v23
	v_accvgpr_write_b32 a144, v22
	;; [unrolled: 16-line block ×3, first 2 shown]
	s_waitcnt vmcnt(0)
	v_pk_mov_b32 v[36:37], v[6:7], v[6:7] op_sel:[0,1]
	buffer_load_dword v7, off, s[0:3], 0 offset:388
	buffer_load_dword v6, off, s[0:3], 0 offset:384
	;; [unrolled: 1-line block ×30, first 2 shown]
	ds_read_b128 v[182:185], v16 offset:896
	ds_read_b128 v[186:189], v16 offset:912
	;; [unrolled: 1-line block ×11, first 2 shown]
	s_waitcnt lgkmcnt(3)
	v_mul_f64 v[10:11], v[218:219], v[12:13]
	v_fmac_f64_e32 v[10:11], v[220:221], v[18:19]
	s_waitcnt lgkmcnt(2)
	v_mul_f64 v[14:15], v[214:215], v[228:229]
	v_fmac_f64_e32 v[14:15], v[216:217], v[232:233]
	s_waitcnt lgkmcnt(1)
	v_mul_f64 v[18:19], v[210:211], v[20:21]
	v_fmac_f64_e32 v[18:19], v[212:213], v[22:23]
	s_waitcnt vmcnt(28)
	v_pk_mov_b32 v[38:39], v[6:7], v[6:7] op_sel:[0,1]
	v_mul_f64 v[6:7], v[178:179], v[66:67]
	v_fmac_f64_e32 v[6:7], v[180:181], v[82:83]
	v_add_f64 v[4:5], v[4:5], v[6:7]
	v_mul_f64 v[6:7], v[182:183], v[88:89]
	v_fmac_f64_e32 v[6:7], v[184:185], v[90:91]
	v_add_f64 v[4:5], v[4:5], v[6:7]
	;; [unrolled: 3-line block ×8, first 2 shown]
	v_add_f64 v[12:13], v[8:9], v[10:11]
	v_add_f64 v[4:5], v[12:13], v[14:15]
	ds_read_b128 v[12:15], v16 offset:1072
	s_waitcnt lgkmcnt(1)
	v_mul_f64 v[22:23], v[116:117], v[236:237]
	v_add_f64 v[20:21], v[4:5], v[18:19]
	v_fmac_f64_e32 v[22:23], v[118:119], v[240:241]
	v_add_f64 v[24:25], v[20:21], v[22:23]
	ds_read_b128 v[20:23], v16 offset:1088
	s_waitcnt lgkmcnt(1)
	v_mul_f64 v[26:27], v[12:13], v[28:29]
	v_fmac_f64_e32 v[26:27], v[14:15], v[30:31]
	v_add_f64 v[28:29], v[24:25], v[26:27]
	ds_read_b128 v[24:27], v16 offset:1104
	s_waitcnt vmcnt(26) lgkmcnt(1)
	v_mul_f64 v[30:31], v[20:21], v[244:245]
	s_waitcnt vmcnt(24)
	v_fmac_f64_e32 v[30:31], v[22:23], v[246:247]
	v_add_f64 v[32:33], v[28:29], v[30:31]
	ds_read_b128 v[28:31], v16 offset:1120
	s_waitcnt lgkmcnt(1)
	v_mul_f64 v[34:35], v[24:25], v[36:37]
	v_fmac_f64_e32 v[34:35], v[26:27], v[38:39]
	v_accvgpr_write_b32 a151, v39
	v_pk_mov_b32 v[18:19], v[36:37], v[36:37] op_sel:[0,1]
	v_accvgpr_write_b32 a150, v38
	v_add_f64 v[36:37], v[32:33], v[34:35]
	ds_read_b128 v[32:35], v16 offset:1136
	s_waitcnt vmcnt(18) lgkmcnt(1)
	v_mul_f64 v[38:39], v[28:29], v[248:249]
	s_waitcnt vmcnt(16)
	v_fmac_f64_e32 v[38:39], v[30:31], v[250:251]
	v_add_f64 v[40:41], v[36:37], v[38:39]
	ds_read_b128 v[36:39], v16 offset:1152
	s_waitcnt lgkmcnt(1)
	v_mul_f64 v[42:43], v[32:33], v[224:225]
	v_fmac_f64_e32 v[42:43], v[34:35], v[226:227]
	v_add_f64 v[44:45], v[40:41], v[42:43]
	ds_read_b128 v[40:43], v16 offset:1168
	s_waitcnt vmcnt(10) lgkmcnt(1)
	v_mul_f64 v[46:47], v[36:37], v[252:253]
	s_waitcnt vmcnt(8)
	v_fmac_f64_e32 v[46:47], v[38:39], v[254:255]
	v_add_f64 v[126:127], v[44:45], v[46:47]
	ds_read_b128 v[44:47], v16 offset:1184
	buffer_load_dword v123, off, s[0:3], 0 offset:524
	buffer_load_dword v125, off, s[0:3], 0 offset:508
	;; [unrolled: 1-line block ×8, first 2 shown]
	s_waitcnt lgkmcnt(1)
	v_mul_f64 v[132:133], v[40:41], v[230:231]
	v_fmac_f64_e32 v[132:133], v[42:43], v[234:235]
	v_add_f64 v[4:5], v[126:127], v[132:133]
	buffer_load_dword v127, off, s[0:3], 0 offset:556
	buffer_load_dword v133, off, s[0:3], 0 offset:540
	buffer_load_dword v132, off, s[0:3], 0 offset:536
	buffer_load_dword v135, off, s[0:3], 0 offset:532
	buffer_load_dword v134, off, s[0:3], 0 offset:528
	buffer_load_dword v126, off, s[0:3], 0 offset:552
	buffer_load_dword v139, off, s[0:3], 0 offset:548
	buffer_load_dword v138, off, s[0:3], 0 offset:544
	buffer_load_dword v137, off, s[0:3], 0 offset:572
	buffer_load_dword v136, off, s[0:3], 0 offset:568
	buffer_load_dword v141, off, s[0:3], 0 offset:564
	buffer_load_dword v140, off, s[0:3], 0 offset:560
	buffer_load_dword v142, off, s[0:3], 0 offset:584
	buffer_load_dword v144, off, s[0:3], 0 offset:576
	buffer_load_dword v143, off, s[0:3], 0 offset:588
	buffer_load_dword v145, off, s[0:3], 0 offset:580
	v_mul_f64 v[6:7], v[110:111], v[56:57]
	v_fma_f64 v[8:9], v[108:109], v[54:55], -v[6:7]
	v_fma_f64 v[108:109], v[112:113], v[48:49], -v[52:53]
	v_mul_f64 v[48:49], v[148:149], v[50:51]
	v_fma_f64 v[110:111], v[146:147], v[80:81], -v[48:49]
	buffer_load_dword v147, off, s[0:3], 0 offset:620
	buffer_load_dword v149, off, s[0:3], 0 offset:604
	;; [unrolled: 1-line block ×8, first 2 shown]
	v_mul_f64 v[48:49], v[156:157], v[62:63]
	v_fma_f64 v[112:113], v[154:155], v[78:79], -v[48:49]
	buffer_load_dword v155, off, s[0:3], 0 offset:636
	buffer_load_dword v154, off, s[0:3], 0 offset:632
	;; [unrolled: 1-line block ×4, first 2 shown]
	v_mul_f64 v[50:51], v[160:161], v[58:59]
	v_fma_f64 v[114:115], v[158:159], v[60:61], -v[50:51]
	v_mul_f64 v[50:51], v[164:165], v[74:75]
	v_fma_f64 v[6:7], v[162:163], v[76:77], -v[50:51]
	buffer_load_dword v161, off, s[0:3], 0 offset:652
	buffer_load_dword v160, off, s[0:3], 0 offset:648
	;; [unrolled: 1-line block ×4, first 2 shown]
	s_waitcnt vmcnt(42) lgkmcnt(0)
	v_mul_f64 v[48:49], v[44:45], v[222:223]
	v_mul_f64 v[10:11], v[168:169], v[72:73]
	s_waitcnt vmcnt(40)
	v_fmac_f64_e32 v[48:49], v[46:47], v[120:121]
	v_fma_f64 v[10:11], v[166:167], v[70:71], -v[10:11]
	buffer_load_dword v158, off, s[0:3], 0 offset:680
	buffer_load_dword v167, off, s[0:3], 0 offset:668
	;; [unrolled: 1-line block ×12, first 2 shown]
	v_add_f64 v[4:5], v[4:5], v[48:49]
	ds_read_b128 v[48:51], v16 offset:1200
	v_mul_f64 v[52:53], v[176:177], v[64:65]
	v_fma_f64 v[174:175], v[174:175], v[68:69], -v[52:53]
	ds_read_b128 v[52:55], v16 offset:1216
	v_mul_f64 v[56:57], v[180:181], v[66:67]
	v_fma_f64 v[176:177], v[178:179], v[82:83], -v[56:57]
	ds_read_b128 v[56:59], v16 offset:1232
	s_waitcnt lgkmcnt(2)
	v_mul_f64 v[60:61], v[48:49], v[238:239]
	v_fmac_f64_e32 v[60:61], v[50:51], v[242:243]
	v_add_f64 v[4:5], v[4:5], v[60:61]
	v_mul_f64 v[64:65], v[184:185], v[88:89]
	v_fma_f64 v[182:183], v[182:183], v[90:91], -v[64:65]
	ds_read_b128 v[64:67], v16 offset:1264
	v_mul_f64 v[68:69], v[188:189], v[84:85]
	v_fma_f64 v[188:189], v[186:187], v[86:87], -v[68:69]
	v_mul_f64 v[76:77], v[192:193], v[98:99]
	v_fma_f64 v[190:191], v[190:191], v[100:101], -v[76:77]
	;; [unrolled: 2-line block ×3, first 2 shown]
	ds_read_b128 v[80:83], v16 offset:1328
	ds_read_b128 v[88:91], v16 offset:1360
	v_mul_f64 v[2:3], v[200:201], v[2:3]
	v_fma_f64 v[198:199], v[198:199], v[0:1], -v[2:3]
	v_mul_f64 v[2:3], v[204:205], v[92:93]
	ds_read_b128 v[68:71], v16 offset:1280
	v_fma_f64 v[194:195], v[202:203], v[102:103], -v[2:3]
	ds_read_b128 v[96:99], v16 offset:1392
	ds_read_b128 v[100:103], v16 offset:1408
	v_add_f64 v[8:9], v[8:9], 0
	v_add_f64 v[8:9], v[8:9], v[108:109]
	;; [unrolled: 1-line block ×7, first 2 shown]
	ds_read_b128 v[76:79], v16 offset:1312
	v_add_f64 v[6:7], v[6:7], v[174:175]
	v_add_f64 v[6:7], v[6:7], v[176:177]
	;; [unrolled: 1-line block ×6, first 2 shown]
	v_accvgpr_read_b32 v8, a138
	v_add_f64 v[198:199], v[6:7], v[198:199]
	v_accvgpr_read_b32 v9, a139
	v_accvgpr_read_b32 v10, a140
	ds_read_b128 v[92:95], v16 offset:1376
	v_add_f64 v[6:7], v[198:199], v[194:195]
	s_waitcnt vmcnt(49) lgkmcnt(9)
	v_mul_f64 v[60:61], v[52:53], v[124:125]
	v_mul_f64 v[8:9], v[220:221], v[8:9]
	s_waitcnt vmcnt(47)
	v_fmac_f64_e32 v[60:61], v[54:55], v[130:131]
	v_add_f64 v[4:5], v[4:5], v[60:61]
	s_waitcnt vmcnt(46) lgkmcnt(8)
	v_mul_f64 v[60:61], v[56:57], v[122:123]
	s_waitcnt vmcnt(44)
	v_fmac_f64_e32 v[60:61], v[58:59], v[128:129]
	v_add_f64 v[4:5], v[4:5], v[60:61]
	ds_read_b128 v[60:63], v16 offset:1248
	v_accvgpr_read_b32 v11, a141
	v_fma_f64 v[8:9], v[218:219], v[10:11], -v[8:9]
	v_accvgpr_read_b32 v10, a144
	v_accvgpr_read_b32 v11, a145
	s_waitcnt vmcnt(41) lgkmcnt(0)
	v_mul_f64 v[72:73], v[60:61], v[132:133]
	s_waitcnt vmcnt(39)
	v_fmac_f64_e32 v[72:73], v[62:63], v[134:135]
	v_add_f64 v[4:5], v[4:5], v[72:73]
	s_waitcnt vmcnt(38)
	v_mul_f64 v[72:73], v[64:65], v[126:127]
	s_waitcnt vmcnt(36)
	v_fmac_f64_e32 v[72:73], v[66:67], v[138:139]
	v_add_f64 v[4:5], v[4:5], v[72:73]
	s_waitcnt vmcnt(34)
	v_mul_f64 v[72:73], v[68:69], v[136:137]
	s_waitcnt vmcnt(32)
	v_fmac_f64_e32 v[72:73], v[70:71], v[140:141]
	v_add_f64 v[4:5], v[4:5], v[72:73]
	ds_read_b128 v[72:75], v16 offset:1296
	s_waitcnt vmcnt(14)
	v_mul_f64 v[2:3], v[88:89], v[160:161]
	s_waitcnt vmcnt(12)
	v_fmac_f64_e32 v[2:3], v[90:91], v[162:163]
	s_waitcnt lgkmcnt(0)
	v_mul_f64 v[84:85], v[72:73], v[142:143]
	v_fmac_f64_e32 v[84:85], v[74:75], v[144:145]
	v_add_f64 v[4:5], v[4:5], v[84:85]
	v_mul_f64 v[84:85], v[76:77], v[148:149]
	v_fmac_f64_e32 v[84:85], v[78:79], v[152:153]
	v_add_f64 v[4:5], v[4:5], v[84:85]
	v_mul_f64 v[84:85], v[80:81], v[146:147]
	v_fmac_f64_e32 v[84:85], v[82:83], v[150:151]
	v_add_f64 v[4:5], v[4:5], v[84:85]
	ds_read_b128 v[84:87], v16 offset:1344
	s_waitcnt lgkmcnt(0)
	v_mul_f64 v[0:1], v[84:85], v[154:155]
	v_fmac_f64_e32 v[0:1], v[86:87], v[156:157]
	v_add_f64 v[0:1], v[4:5], v[0:1]
	buffer_load_dword v4, off, s[0:3], 0 offset:712
	buffer_load_dword v5, off, s[0:3], 0 offset:716
	;; [unrolled: 1-line block ×4, first 2 shown]
	v_add_f64 v[0:1], v[0:1], v[2:3]
	v_mul_f64 v[2:3], v[208:209], v[104:105]
	v_fma_f64 v[206:207], v[206:207], v[106:107], -v[2:3]
	ds_read_b128 v[104:107], v16 offset:1424
	buffer_load_dword v179, off, s[0:3], 0 offset:732
	buffer_load_dword v178, off, s[0:3], 0 offset:728
	;; [unrolled: 1-line block ×4, first 2 shown]
	s_waitcnt vmcnt(17)
	v_mul_f64 v[2:3], v[92:93], v[166:167]
	s_waitcnt vmcnt(15)
	v_fmac_f64_e32 v[2:3], v[94:95], v[170:171]
	v_add_f64 v[0:1], v[0:1], v[2:3]
	s_waitcnt vmcnt(13)
	v_mul_f64 v[2:3], v[96:97], v[158:159]
	s_waitcnt vmcnt(12)
	v_fmac_f64_e32 v[2:3], v[98:99], v[164:165]
	v_add_f64 v[0:1], v[0:1], v[2:3]
	;; [unrolled: 5-line block ×3, first 2 shown]
	v_add_f64 v[6:7], v[6:7], v[206:207]
	v_add_f64 v[6:7], v[6:7], v[8:9]
	v_mul_f64 v[8:9], v[216:217], v[228:229]
	v_fma_f64 v[8:9], v[214:215], v[232:233], -v[8:9]
	v_add_f64 v[6:7], v[6:7], v[8:9]
	v_accvgpr_read_b32 v8, a142
	v_accvgpr_read_b32 v9, a143
	v_mul_f64 v[8:9], v[212:213], v[8:9]
	v_fma_f64 v[8:9], v[210:211], v[10:11], -v[8:9]
	v_add_f64 v[6:7], v[6:7], v[8:9]
	v_mul_f64 v[8:9], v[118:119], v[236:237]
	v_fma_f64 v[8:9], v[116:117], v[240:241], -v[8:9]
	v_add_f64 v[6:7], v[6:7], v[8:9]
	v_accvgpr_read_b32 v8, a146
	v_accvgpr_read_b32 v9, a147
	;; [unrolled: 1-line block ×3, first 2 shown]
	v_mul_f64 v[8:9], v[14:15], v[8:9]
	v_accvgpr_read_b32 v11, a149
	v_fma_f64 v[8:9], v[12:13], v[10:11], -v[8:9]
	v_add_f64 v[6:7], v[6:7], v[8:9]
	v_mul_f64 v[8:9], v[22:23], v[244:245]
	v_fma_f64 v[8:9], v[20:21], v[246:247], -v[8:9]
	v_accvgpr_read_b32 v10, a150
	v_add_f64 v[6:7], v[6:7], v[8:9]
	v_mul_f64 v[8:9], v[26:27], v[18:19]
	v_accvgpr_read_b32 v11, a151
	v_fma_f64 v[8:9], v[24:25], v[10:11], -v[8:9]
	v_add_f64 v[6:7], v[6:7], v[8:9]
	v_mul_f64 v[8:9], v[30:31], v[248:249]
	v_fma_f64 v[8:9], v[28:29], v[250:251], -v[8:9]
	v_add_f64 v[6:7], v[6:7], v[8:9]
	v_mul_f64 v[8:9], v[34:35], v[224:225]
	v_fma_f64 v[8:9], v[32:33], v[226:227], -v[8:9]
	v_add_f64 v[6:7], v[6:7], v[8:9]
	v_mul_f64 v[8:9], v[38:39], v[252:253]
	v_fma_f64 v[8:9], v[36:37], v[254:255], -v[8:9]
	v_add_f64 v[6:7], v[6:7], v[8:9]
	v_mul_f64 v[8:9], v[42:43], v[230:231]
	v_fma_f64 v[8:9], v[40:41], v[234:235], -v[8:9]
	v_add_f64 v[6:7], v[6:7], v[8:9]
	v_mul_f64 v[8:9], v[46:47], v[222:223]
	v_fma_f64 v[8:9], v[44:45], v[120:121], -v[8:9]
	v_add_f64 v[6:7], v[6:7], v[8:9]
	v_mul_f64 v[8:9], v[50:51], v[238:239]
	v_fma_f64 v[8:9], v[48:49], v[242:243], -v[8:9]
	v_add_f64 v[6:7], v[6:7], v[8:9]
	v_mul_f64 v[8:9], v[54:55], v[124:125]
	v_fma_f64 v[8:9], v[52:53], v[130:131], -v[8:9]
	v_add_f64 v[6:7], v[6:7], v[8:9]
	v_mul_f64 v[8:9], v[58:59], v[122:123]
	v_fma_f64 v[8:9], v[56:57], v[128:129], -v[8:9]
	v_add_f64 v[6:7], v[6:7], v[8:9]
	v_mul_f64 v[8:9], v[62:63], v[132:133]
	v_fma_f64 v[8:9], v[60:61], v[134:135], -v[8:9]
	v_add_f64 v[6:7], v[6:7], v[8:9]
	v_mul_f64 v[8:9], v[66:67], v[126:127]
	v_fma_f64 v[8:9], v[64:65], v[138:139], -v[8:9]
	v_add_f64 v[6:7], v[6:7], v[8:9]
	v_mul_f64 v[8:9], v[70:71], v[136:137]
	v_fma_f64 v[8:9], v[68:69], v[140:141], -v[8:9]
	v_add_f64 v[6:7], v[6:7], v[8:9]
	v_mul_f64 v[8:9], v[74:75], v[142:143]
	v_fma_f64 v[8:9], v[72:73], v[144:145], -v[8:9]
	s_waitcnt vmcnt(6) lgkmcnt(0)
	v_mul_f64 v[2:3], v[104:105], v[4:5]
	v_add_f64 v[6:7], v[6:7], v[8:9]
	s_waitcnt vmcnt(4)
	v_fmac_f64_e32 v[2:3], v[106:107], v[192:193]
	v_add_f64 v[184:185], v[0:1], v[2:3]
	ds_read_b128 v[0:3], v16 offset:1440
	v_mul_f64 v[8:9], v[78:79], v[148:149]
	v_fma_f64 v[8:9], v[76:77], v[152:153], -v[8:9]
	v_add_f64 v[6:7], v[6:7], v[8:9]
	v_mul_f64 v[8:9], v[82:83], v[146:147]
	s_waitcnt vmcnt(2) lgkmcnt(0)
	v_mul_f64 v[186:187], v[0:1], v[178:179]
	s_waitcnt vmcnt(0)
	v_fmac_f64_e32 v[186:187], v[2:3], v[180:181]
	v_add_f64 v[204:205], v[184:185], v[186:187]
	buffer_load_dword v184, off, s[0:3], 0 offset:744
	buffer_load_dword v185, off, s[0:3], 0 offset:748
	;; [unrolled: 1-line block ×4, first 2 shown]
	ds_read_b128 v[200:203], v16 offset:1456
	buffer_load_dword v190, off, s[0:3], 0 offset:16
	buffer_load_dword v191, off, s[0:3], 0 offset:20
	buffer_load_dword v188, off, s[0:3], 0 offset:24
	buffer_load_dword v189, off, s[0:3], 0 offset:28
	v_fma_f64 v[8:9], v[80:81], v[150:151], -v[8:9]
	v_add_f64 v[6:7], v[6:7], v[8:9]
	v_mul_f64 v[8:9], v[86:87], v[154:155]
	v_fma_f64 v[8:9], v[84:85], v[156:157], -v[8:9]
	v_add_f64 v[6:7], v[6:7], v[8:9]
	v_mul_f64 v[8:9], v[90:91], v[160:161]
	v_fma_f64 v[8:9], v[88:89], v[162:163], -v[8:9]
	v_add_f64 v[6:7], v[6:7], v[8:9]
	v_mul_f64 v[8:9], v[94:95], v[166:167]
	v_fma_f64 v[8:9], v[92:93], v[170:171], -v[8:9]
	v_add_f64 v[6:7], v[6:7], v[8:9]
	v_mul_f64 v[8:9], v[98:99], v[158:159]
	v_fma_f64 v[8:9], v[96:97], v[164:165], -v[8:9]
	v_add_f64 v[6:7], v[6:7], v[8:9]
	v_mul_f64 v[8:9], v[102:103], v[168:169]
	v_fma_f64 v[8:9], v[100:101], v[172:173], -v[8:9]
	v_mul_f64 v[4:5], v[106:107], v[4:5]
	v_add_f64 v[6:7], v[6:7], v[8:9]
	v_fma_f64 v[4:5], v[104:105], v[192:193], -v[4:5]
	v_mul_f64 v[2:3], v[2:3], v[178:179]
	v_add_f64 v[4:5], v[6:7], v[4:5]
	v_fma_f64 v[0:1], v[0:1], v[180:181], -v[2:3]
	v_add_f64 v[0:1], v[4:5], v[0:1]
	s_waitcnt vmcnt(6) lgkmcnt(0)
	v_mul_f64 v[2:3], v[202:203], v[184:185]
	v_mul_f64 v[208:209], v[200:201], v[184:185]
	s_waitcnt vmcnt(4)
	v_fma_f64 v[2:3], v[200:201], v[186:187], -v[2:3]
	v_fmac_f64_e32 v[208:209], v[202:203], v[186:187]
	v_add_f64 v[0:1], v[0:1], v[2:3]
	v_add_f64 v[204:205], v[204:205], v[208:209]
	s_waitcnt vmcnt(2)
	v_add_f64 v[0:1], v[190:191], -v[0:1]
	s_waitcnt vmcnt(0)
	v_add_f64 v[2:3], v[188:189], -v[204:205]
	buffer_store_dword v1, off, s[0:3], 0 offset:20
	buffer_store_dword v0, off, s[0:3], 0 offset:16
	;; [unrolled: 1-line block ×4, first 2 shown]
	s_cbranch_vccz .LBB109_381
; %bb.290:
	v_pk_mov_b32 v[0:1], s[10:11], s[10:11] op_sel:[0,1]
	flat_load_dword v0, v[0:1] offset:176
	s_waitcnt vmcnt(0) lgkmcnt(0)
	v_add_u32_e32 v0, -1, v0
	v_cmp_ne_u32_e32 vcc, 44, v0
	s_and_saveexec_b64 s[4:5], vcc
	s_cbranch_execz .LBB109_292
; %bb.291:
	v_mov_b32_e32 v1, 16
	v_accvgpr_read_b32 v9, a93
	v_lshl_add_u32 v0, v0, 4, v1
	buffer_load_dword v1, v9, s[0:3], 0 offen offset:4
	buffer_load_dword v2, v9, s[0:3], 0 offen offset:8
	buffer_load_dword v3, v9, s[0:3], 0 offen offset:12
	buffer_load_dword v4, v0, s[0:3], 0 offen
	buffer_load_dword v5, v0, s[0:3], 0 offen offset:4
	buffer_load_dword v6, v0, s[0:3], 0 offen offset:8
	buffer_load_dword v7, v0, s[0:3], 0 offen offset:12
	buffer_load_dword v8, v9, s[0:3], 0 offen
	s_waitcnt vmcnt(4)
	buffer_store_dword v4, v9, s[0:3], 0 offen
	s_waitcnt vmcnt(4)
	buffer_store_dword v5, v9, s[0:3], 0 offen offset:4
	s_waitcnt vmcnt(4)
	buffer_store_dword v6, v9, s[0:3], 0 offen offset:8
	s_waitcnt vmcnt(4)
	buffer_store_dword v7, v9, s[0:3], 0 offen offset:12
	buffer_store_dword v3, v0, s[0:3], 0 offen offset:12
	buffer_store_dword v2, v0, s[0:3], 0 offen offset:8
	buffer_store_dword v1, v0, s[0:3], 0 offen offset:4
	s_waitcnt vmcnt(7)
	buffer_store_dword v8, v0, s[0:3], 0 offen
.LBB109_292:
	s_or_b64 exec, exec, s[4:5]
	v_pk_mov_b32 v[0:1], s[10:11], s[10:11] op_sel:[0,1]
	flat_load_dword v0, v[0:1] offset:172
	s_waitcnt vmcnt(0) lgkmcnt(0)
	v_add_u32_e32 v0, -1, v0
	v_cmp_ne_u32_e32 vcc, 43, v0
	s_and_saveexec_b64 s[4:5], vcc
	s_cbranch_execz .LBB109_294
; %bb.293:
	v_mov_b32_e32 v1, 16
	v_accvgpr_read_b32 v9, a94
	v_lshl_add_u32 v0, v0, 4, v1
	buffer_load_dword v1, v9, s[0:3], 0 offen offset:4
	buffer_load_dword v2, v9, s[0:3], 0 offen offset:8
	buffer_load_dword v3, v9, s[0:3], 0 offen offset:12
	buffer_load_dword v4, v0, s[0:3], 0 offen
	buffer_load_dword v5, v0, s[0:3], 0 offen offset:4
	buffer_load_dword v6, v0, s[0:3], 0 offen offset:8
	buffer_load_dword v7, v0, s[0:3], 0 offen offset:12
	buffer_load_dword v8, v9, s[0:3], 0 offen
	s_waitcnt vmcnt(4)
	buffer_store_dword v4, v9, s[0:3], 0 offen
	s_waitcnt vmcnt(4)
	buffer_store_dword v5, v9, s[0:3], 0 offen offset:4
	s_waitcnt vmcnt(4)
	buffer_store_dword v6, v9, s[0:3], 0 offen offset:8
	s_waitcnt vmcnt(4)
	buffer_store_dword v7, v9, s[0:3], 0 offen offset:12
	buffer_store_dword v3, v0, s[0:3], 0 offen offset:12
	buffer_store_dword v2, v0, s[0:3], 0 offen offset:8
	buffer_store_dword v1, v0, s[0:3], 0 offen offset:4
	s_waitcnt vmcnt(7)
	buffer_store_dword v8, v0, s[0:3], 0 offen
.LBB109_294:
	s_or_b64 exec, exec, s[4:5]
	;; [unrolled: 34-line block ×44, first 2 shown]
	v_pk_mov_b32 v[0:1], s[10:11], s[10:11] op_sel:[0,1]
	flat_load_dword v0, v[0:1]
	s_waitcnt vmcnt(0) lgkmcnt(0)
	v_add_u32_e32 v0, -1, v0
	v_cmp_ne_u32_e32 vcc, 0, v0
	s_and_saveexec_b64 s[4:5], vcc
	s_cbranch_execz .LBB109_380
; %bb.379:
	v_mov_b32_e32 v1, 16
	v_lshl_add_u32 v0, v0, 4, v1
	buffer_load_dword v1, v0, s[0:3], 0 offen
	buffer_load_dword v2, v0, s[0:3], 0 offen offset:4
	buffer_load_dword v3, v0, s[0:3], 0 offen offset:8
	;; [unrolled: 1-line block ×3, first 2 shown]
	buffer_load_dword v5, off, s[0:3], 0 offset:28
	buffer_load_dword v6, off, s[0:3], 0 offset:24
	;; [unrolled: 1-line block ×4, first 2 shown]
	s_waitcnt vmcnt(7)
	buffer_store_dword v1, off, s[0:3], 0 offset:16
	s_waitcnt vmcnt(7)
	buffer_store_dword v2, off, s[0:3], 0 offset:20
	;; [unrolled: 2-line block ×4, first 2 shown]
	s_waitcnt vmcnt(7)
	buffer_store_dword v5, v0, s[0:3], 0 offen offset:12
	s_waitcnt vmcnt(7)
	buffer_store_dword v6, v0, s[0:3], 0 offen offset:8
	;; [unrolled: 2-line block ×3, first 2 shown]
	s_waitcnt vmcnt(7)
	buffer_store_dword v8, v0, s[0:3], 0 offen
.LBB109_380:
	s_or_b64 exec, exec, s[4:5]
.LBB109_381:
	buffer_load_dword v0, off, s[0:3], 0 offset:16
	buffer_load_dword v1, off, s[0:3], 0 offset:20
	;; [unrolled: 1-line block ×4, first 2 shown]
	v_accvgpr_read_b32 v4, a74
	v_accvgpr_read_b32 v5, a75
	s_waitcnt vmcnt(0)
	global_store_dwordx4 v[4:5], v[0:3], off
	s_nop 0
	v_accvgpr_read_b32 v3, a136
	buffer_load_dword v0, v3, s[0:3], 0 offen
	buffer_load_dword v1, v3, s[0:3], 0 offen offset:4
	buffer_load_dword v2, v3, s[0:3], 0 offen offset:8
	s_nop 0
	buffer_load_dword v3, v3, s[0:3], 0 offen offset:12
	v_accvgpr_read_b32 v4, a68
	v_accvgpr_read_b32 v5, a69
	s_waitcnt vmcnt(0)
	global_store_dwordx4 v[4:5], v[0:3], off
	s_nop 0
	v_accvgpr_read_b32 v3, a135
	buffer_load_dword v0, v3, s[0:3], 0 offen
	buffer_load_dword v1, v3, s[0:3], 0 offen offset:4
	buffer_load_dword v2, v3, s[0:3], 0 offen offset:8
	s_nop 0
	buffer_load_dword v3, v3, s[0:3], 0 offen offset:12
	;; [unrolled: 11-line block ×4, first 2 shown]
	v_accvgpr_read_b32 v4, a48
	v_accvgpr_read_b32 v5, a49
	s_waitcnt vmcnt(0)
	global_store_dwordx4 v[4:5], v[0:3], off
	v_accvgpr_read_b32 v4, a132
	buffer_load_dword v0, v4, s[0:3], 0 offen
	buffer_load_dword v1, v4, s[0:3], 0 offen offset:4
	buffer_load_dword v2, v4, s[0:3], 0 offen offset:8
	buffer_load_dword v3, v4, s[0:3], 0 offen offset:12
	v_accvgpr_read_b32 v4, a90
	v_accvgpr_read_b32 v5, a91
	s_waitcnt vmcnt(0)
	global_store_dwordx4 v[4:5], v[0:3], off
	v_accvgpr_read_b32 v4, a131
	buffer_load_dword v0, v4, s[0:3], 0 offen
	buffer_load_dword v1, v4, s[0:3], 0 offen offset:4
	buffer_load_dword v2, v4, s[0:3], 0 offen offset:8
	buffer_load_dword v3, v4, s[0:3], 0 offen offset:12
	;; [unrolled: 9-line block ×41, first 2 shown]
	v_accvgpr_read_b32 v5, a1
	v_accvgpr_read_b32 v4, a0
	s_waitcnt vmcnt(0)
	global_store_dwordx4 v[4:5], v[0:3], off
	s_endpgm
	.section	.rodata,"a",@progbits
	.p2align	6, 0x0
	.amdhsa_kernel _ZN9rocsolver6v33100L18getri_kernel_smallILi46E19rocblas_complex_numIdEPKPS3_EEvT1_iilPiilS8_bb
		.amdhsa_group_segment_fixed_size 1480
		.amdhsa_private_segment_fixed_size 768
		.amdhsa_kernarg_size 60
		.amdhsa_user_sgpr_count 8
		.amdhsa_user_sgpr_private_segment_buffer 1
		.amdhsa_user_sgpr_dispatch_ptr 0
		.amdhsa_user_sgpr_queue_ptr 0
		.amdhsa_user_sgpr_kernarg_segment_ptr 1
		.amdhsa_user_sgpr_dispatch_id 0
		.amdhsa_user_sgpr_flat_scratch_init 1
		.amdhsa_user_sgpr_kernarg_preload_length 0
		.amdhsa_user_sgpr_kernarg_preload_offset 0
		.amdhsa_user_sgpr_private_segment_size 0
		.amdhsa_uses_dynamic_stack 0
		.amdhsa_system_sgpr_private_segment_wavefront_offset 1
		.amdhsa_system_sgpr_workgroup_id_x 1
		.amdhsa_system_sgpr_workgroup_id_y 0
		.amdhsa_system_sgpr_workgroup_id_z 0
		.amdhsa_system_sgpr_workgroup_info 0
		.amdhsa_system_vgpr_workitem_id 0
		.amdhsa_next_free_vgpr 410
		.amdhsa_next_free_sgpr 22
		.amdhsa_accum_offset 256
		.amdhsa_reserve_vcc 1
		.amdhsa_reserve_flat_scratch 1
		.amdhsa_float_round_mode_32 0
		.amdhsa_float_round_mode_16_64 0
		.amdhsa_float_denorm_mode_32 3
		.amdhsa_float_denorm_mode_16_64 3
		.amdhsa_dx10_clamp 1
		.amdhsa_ieee_mode 1
		.amdhsa_fp16_overflow 0
		.amdhsa_tg_split 0
		.amdhsa_exception_fp_ieee_invalid_op 0
		.amdhsa_exception_fp_denorm_src 0
		.amdhsa_exception_fp_ieee_div_zero 0
		.amdhsa_exception_fp_ieee_overflow 0
		.amdhsa_exception_fp_ieee_underflow 0
		.amdhsa_exception_fp_ieee_inexact 0
		.amdhsa_exception_int_div_zero 0
	.end_amdhsa_kernel
	.section	.text._ZN9rocsolver6v33100L18getri_kernel_smallILi46E19rocblas_complex_numIdEPKPS3_EEvT1_iilPiilS8_bb,"axG",@progbits,_ZN9rocsolver6v33100L18getri_kernel_smallILi46E19rocblas_complex_numIdEPKPS3_EEvT1_iilPiilS8_bb,comdat
.Lfunc_end109:
	.size	_ZN9rocsolver6v33100L18getri_kernel_smallILi46E19rocblas_complex_numIdEPKPS3_EEvT1_iilPiilS8_bb, .Lfunc_end109-_ZN9rocsolver6v33100L18getri_kernel_smallILi46E19rocblas_complex_numIdEPKPS3_EEvT1_iilPiilS8_bb
                                        ; -- End function
	.section	.AMDGPU.csdata,"",@progbits
; Kernel info:
; codeLenInByte = 136028
; NumSgprs: 28
; NumVgprs: 256
; NumAgprs: 154
; TotalNumVgprs: 410
; ScratchSize: 768
; MemoryBound: 0
; FloatMode: 240
; IeeeMode: 1
; LDSByteSize: 1480 bytes/workgroup (compile time only)
; SGPRBlocks: 3
; VGPRBlocks: 51
; NumSGPRsForWavesPerEU: 28
; NumVGPRsForWavesPerEU: 410
; AccumOffset: 256
; Occupancy: 1
; WaveLimiterHint : 1
; COMPUTE_PGM_RSRC2:SCRATCH_EN: 1
; COMPUTE_PGM_RSRC2:USER_SGPR: 8
; COMPUTE_PGM_RSRC2:TRAP_HANDLER: 0
; COMPUTE_PGM_RSRC2:TGID_X_EN: 1
; COMPUTE_PGM_RSRC2:TGID_Y_EN: 0
; COMPUTE_PGM_RSRC2:TGID_Z_EN: 0
; COMPUTE_PGM_RSRC2:TIDIG_COMP_CNT: 0
; COMPUTE_PGM_RSRC3_GFX90A:ACCUM_OFFSET: 63
; COMPUTE_PGM_RSRC3_GFX90A:TG_SPLIT: 0
	.section	.text._ZN9rocsolver6v33100L18getri_kernel_smallILi47E19rocblas_complex_numIdEPKPS3_EEvT1_iilPiilS8_bb,"axG",@progbits,_ZN9rocsolver6v33100L18getri_kernel_smallILi47E19rocblas_complex_numIdEPKPS3_EEvT1_iilPiilS8_bb,comdat
	.globl	_ZN9rocsolver6v33100L18getri_kernel_smallILi47E19rocblas_complex_numIdEPKPS3_EEvT1_iilPiilS8_bb ; -- Begin function _ZN9rocsolver6v33100L18getri_kernel_smallILi47E19rocblas_complex_numIdEPKPS3_EEvT1_iilPiilS8_bb
	.p2align	8
	.type	_ZN9rocsolver6v33100L18getri_kernel_smallILi47E19rocblas_complex_numIdEPKPS3_EEvT1_iilPiilS8_bb,@function
_ZN9rocsolver6v33100L18getri_kernel_smallILi47E19rocblas_complex_numIdEPKPS3_EEvT1_iilPiilS8_bb: ; @_ZN9rocsolver6v33100L18getri_kernel_smallILi47E19rocblas_complex_numIdEPKPS3_EEvT1_iilPiilS8_bb
; %bb.0:
	s_add_u32 flat_scratch_lo, s6, s9
	s_addc_u32 flat_scratch_hi, s7, 0
	s_add_u32 s0, s0, s9
	v_mov_b32_e32 v254, v0
	s_addc_u32 s1, s1, 0
	v_cmp_gt_u32_e32 vcc, 47, v254
	s_and_saveexec_b64 s[6:7], vcc
	s_cbranch_execz .LBB110_202
; %bb.1:
	s_load_dword s18, s[4:5], 0x38
	s_load_dwordx2 s[6:7], s[4:5], 0x0
	s_load_dwordx4 s[12:15], s[4:5], 0x28
	s_waitcnt lgkmcnt(0)
	s_bitcmp1_b32 s18, 8
	s_cselect_b64 s[16:17], -1, 0
	s_ashr_i32 s9, s8, 31
	s_lshl_b64 s[10:11], s[8:9], 3
	s_add_u32 s6, s6, s10
	s_addc_u32 s7, s7, s11
	s_load_dwordx2 s[6:7], s[6:7], 0x0
	s_bfe_u32 s10, s18, 0x10008
	s_cmp_eq_u32 s10, 0
                                        ; implicit-def: $sgpr10_sgpr11
	s_cbranch_scc1 .LBB110_3
; %bb.2:
	s_load_dword s10, s[4:5], 0x20
	s_load_dwordx2 s[20:21], s[4:5], 0x18
	s_mul_i32 s11, s8, s13
	s_mul_hi_u32 s13, s8, s12
	s_add_i32 s13, s13, s11
	s_mul_i32 s19, s9, s12
	s_add_i32 s13, s13, s19
	s_mul_i32 s12, s8, s12
	s_waitcnt lgkmcnt(0)
	s_ashr_i32 s11, s10, 31
	s_lshl_b64 s[12:13], s[12:13], 2
	s_add_u32 s12, s20, s12
	s_addc_u32 s13, s21, s13
	s_lshl_b64 s[10:11], s[10:11], 2
	s_add_u32 s10, s12, s10
	s_addc_u32 s11, s13, s11
.LBB110_3:
	s_load_dwordx2 s[4:5], s[4:5], 0x8
	v_lshlrev_b32_e32 v1, 4, v254
	s_waitcnt lgkmcnt(0)
	s_ashr_i32 s13, s4, 31
	s_mov_b32 s12, s4
	s_lshl_b64 s[12:13], s[12:13], 4
	s_add_u32 s6, s6, s12
	s_addc_u32 s7, s7, s13
	v_mov_b32_e32 v0, s7
	v_add_co_u32_e32 v6, vcc, s6, v1
	global_load_dwordx4 v[2:5], v1, s[6:7]
	s_ashr_i32 s13, s5, 31
	s_mov_b32 s12, s5
	v_addc_co_u32_e32 v7, vcc, 0, v0, vcc
	s_lshl_b64 s[12:13], s[12:13], 4
	v_mov_b32_e32 v0, s13
	v_add_co_u32_e32 v10, vcc, s12, v6
	v_accvgpr_write_b32 a0, v6
	s_add_i32 s4, s5, s5
	v_accvgpr_write_b32 a1, v7
	v_addc_co_u32_e32 v11, vcc, v7, v0, vcc
	v_add_u32_e32 v6, s4, v254
	v_accvgpr_write_b32 a2, v10
	v_ashrrev_i32_e32 v7, 31, v6
	v_accvgpr_write_b32 a3, v11
	global_load_dwordx4 v[10:13], v[10:11], off
	v_lshlrev_b64 v[8:9], 4, v[6:7]
	v_mov_b32_e32 v0, s7
	v_add_co_u32_e32 v8, vcc, s6, v8
	v_addc_co_u32_e32 v9, vcc, v0, v9, vcc
	v_add_u32_e32 v6, s5, v6
	v_accvgpr_write_b32 a4, v8
	global_load_dwordx4 v[14:17], v[8:9], off
	v_ashrrev_i32_e32 v7, 31, v6
	v_accvgpr_write_b32 a5, v9
	v_lshlrev_b64 v[8:9], 4, v[6:7]
	v_add_co_u32_e32 v8, vcc, s6, v8
	v_addc_co_u32_e32 v9, vcc, v0, v9, vcc
	v_add_u32_e32 v6, s5, v6
	v_accvgpr_write_b32 a6, v8
	global_load_dwordx4 v[18:21], v[8:9], off
	v_ashrrev_i32_e32 v7, 31, v6
	v_accvgpr_write_b32 a7, v9
	v_add_u32_e32 v8, s5, v6
	v_lshlrev_b64 v[6:7], 4, v[6:7]
	v_add_co_u32_e32 v24, vcc, s6, v6
	v_addc_co_u32_e32 v25, vcc, v0, v7, vcc
	v_ashrrev_i32_e32 v9, 31, v8
	global_load_dwordx4 v[26:29], v[24:25], off
	v_lshlrev_b64 v[6:7], 4, v[8:9]
	v_mov_b32_e32 v22, s7
	v_add_co_u32_e32 v6, vcc, s6, v6
	v_addc_co_u32_e32 v7, vcc, v22, v7, vcc
	global_load_dwordx4 v[30:33], v[6:7], off
	v_add_u32_e32 v22, s5, v8
	v_accvgpr_write_b32 a9, v7
	v_ashrrev_i32_e32 v23, 31, v22
	v_accvgpr_write_b32 a8, v6
	v_lshlrev_b64 v[6:7], 4, v[22:23]
	v_add_co_u32_e32 v6, vcc, s6, v6
	v_addc_co_u32_e32 v7, vcc, v0, v7, vcc
	v_add_u32_e32 v22, s5, v22
	v_accvgpr_write_b32 a12, v24
	v_accvgpr_write_b32 a15, v7
	v_ashrrev_i32_e32 v23, 31, v22
	v_accvgpr_write_b32 a13, v25
	v_accvgpr_write_b32 a14, v6
	global_load_dwordx4 v[6:9], v[6:7], off
	v_add_u32_e32 v24, s5, v22
	v_lshlrev_b64 v[22:23], 4, v[22:23]
	v_ashrrev_i32_e32 v25, 31, v24
	v_add_co_u32_e32 v34, vcc, s6, v22
	v_addc_co_u32_e32 v35, vcc, v0, v23, vcc
	v_lshlrev_b64 v[22:23], 4, v[24:25]
	s_waitcnt vmcnt(6)
	buffer_store_dword v5, off, s[0:3], 0 offset:28
	buffer_store_dword v4, off, s[0:3], 0 offset:24
	buffer_store_dword v3, off, s[0:3], 0 offset:20
	buffer_store_dword v2, off, s[0:3], 0 offset:16
	s_waitcnt vmcnt(9)
	buffer_store_dword v13, off, s[0:3], 0 offset:44
	buffer_store_dword v12, off, s[0:3], 0 offset:40
	buffer_store_dword v11, off, s[0:3], 0 offset:36
	buffer_store_dword v10, off, s[0:3], 0 offset:32
	;; [unrolled: 5-line block ×4, first 2 shown]
	v_add_co_u32_e32 v2, vcc, s6, v22
	global_load_dwordx4 v[10:13], v[34:35], off
	v_addc_co_u32_e32 v3, vcc, v0, v23, vcc
	global_load_dwordx4 v[14:17], v[2:3], off
	v_accvgpr_write_b32 a17, v3
	v_accvgpr_write_b32 a16, v2
	v_add_u32_e32 v2, s5, v24
	v_ashrrev_i32_e32 v3, 31, v2
	v_lshlrev_b64 v[4:5], 4, v[2:3]
	v_add_co_u32_e32 v18, vcc, s6, v4
	v_addc_co_u32_e32 v19, vcc, v0, v5, vcc
	v_add_u32_e32 v2, s5, v2
	v_accvgpr_write_b32 a18, v18
	v_ashrrev_i32_e32 v3, 31, v2
	v_accvgpr_write_b32 a19, v19
	global_load_dwordx4 v[18:21], v[18:19], off
	v_lshlrev_b64 v[4:5], 4, v[2:3]
	v_add_co_u32_e32 v4, vcc, s6, v4
	v_addc_co_u32_e32 v5, vcc, v0, v5, vcc
	global_load_dwordx4 v[22:25], v[4:5], off
	v_add_u32_e32 v2, s5, v2
	v_accvgpr_write_b32 a21, v5
	v_ashrrev_i32_e32 v3, 31, v2
	v_accvgpr_write_b32 a10, v34
	v_accvgpr_write_b32 a20, v4
	v_lshlrev_b64 v[4:5], 4, v[2:3]
	v_accvgpr_write_b32 a11, v35
	v_add_co_u32_e32 v34, vcc, s6, v4
	v_addc_co_u32_e32 v35, vcc, v0, v5, vcc
	s_waitcnt vmcnt(22)
	buffer_store_dword v29, off, s[0:3], 0 offset:92
	buffer_store_dword v28, off, s[0:3], 0 offset:88
	buffer_store_dword v27, off, s[0:3], 0 offset:84
	buffer_store_dword v26, off, s[0:3], 0 offset:80
	s_waitcnt vmcnt(25)
	buffer_store_dword v33, off, s[0:3], 0 offset:108
	buffer_store_dword v32, off, s[0:3], 0 offset:104
	;; [unrolled: 1-line block ×4, first 2 shown]
	v_add_u32_e32 v2, s5, v2
	v_ashrrev_i32_e32 v3, 31, v2
	global_load_dwordx4 v[26:29], v[34:35], off
	v_lshlrev_b64 v[4:5], 4, v[2:3]
	v_add_co_u32_e32 v4, vcc, s6, v4
	v_addc_co_u32_e32 v5, vcc, v0, v5, vcc
	global_load_dwordx4 v[30:33], v[4:5], off
	v_add_u32_e32 v2, s5, v2
	v_accvgpr_write_b32 a25, v5
	v_ashrrev_i32_e32 v3, 31, v2
	v_accvgpr_write_b32 a22, v34
	v_accvgpr_write_b32 a24, v4
	v_lshlrev_b64 v[4:5], 4, v[2:3]
	v_accvgpr_write_b32 a23, v35
	v_add_co_u32_e32 v34, vcc, s6, v4
	v_addc_co_u32_e32 v35, vcc, v0, v5, vcc
	v_add_u32_e32 v2, s5, v2
	v_accvgpr_write_b32 a26, v34
	v_ashrrev_i32_e32 v3, 31, v2
	v_accvgpr_write_b32 a27, v35
	global_load_dwordx4 v[34:37], v[34:35], off
	v_lshlrev_b64 v[4:5], 4, v[2:3]
	v_add_co_u32_e32 v4, vcc, s6, v4
	v_addc_co_u32_e32 v5, vcc, v0, v5, vcc
	v_add_u32_e32 v2, s5, v2
	v_accvgpr_write_b32 a29, v5
	global_load_dwordx4 v[38:41], v[4:5], off
	v_ashrrev_i32_e32 v3, 31, v2
	v_accvgpr_write_b32 a28, v4
	v_lshlrev_b64 v[4:5], 4, v[2:3]
	v_add_co_u32_e32 v42, vcc, s6, v4
	v_addc_co_u32_e32 v43, vcc, v0, v5, vcc
	v_add_u32_e32 v2, s5, v2
	v_accvgpr_write_b32 a30, v42
	v_ashrrev_i32_e32 v3, 31, v2
	v_accvgpr_write_b32 a31, v43
	global_load_dwordx4 v[42:45], v[42:43], off
	v_lshlrev_b64 v[4:5], 4, v[2:3]
	v_add_co_u32_e32 v4, vcc, s6, v4
	v_addc_co_u32_e32 v5, vcc, v0, v5, vcc
	global_load_dwordx4 v[46:49], v[4:5], off
	v_add_u32_e32 v2, s5, v2
	v_accvgpr_write_b32 a33, v5
	v_ashrrev_i32_e32 v3, 31, v2
	v_accvgpr_write_b32 a32, v4
	v_lshlrev_b64 v[4:5], 4, v[2:3]
	v_add_co_u32_e32 v50, vcc, s6, v4
	v_addc_co_u32_e32 v51, vcc, v0, v5, vcc
	v_add_u32_e32 v2, s5, v2
	v_accvgpr_write_b32 a34, v50
	v_ashrrev_i32_e32 v3, 31, v2
	v_accvgpr_write_b32 a35, v51
	global_load_dwordx4 v[50:53], v[50:51], off
	v_lshlrev_b64 v[4:5], 4, v[2:3]
	v_add_co_u32_e32 v4, vcc, s6, v4
	v_addc_co_u32_e32 v5, vcc, v0, v5, vcc
	global_load_dwordx4 v[54:57], v[4:5], off
	v_add_u32_e32 v2, s5, v2
	v_accvgpr_write_b32 a37, v5
	v_ashrrev_i32_e32 v3, 31, v2
	v_accvgpr_write_b32 a36, v4
	v_lshlrev_b64 v[4:5], 4, v[2:3]
	v_add_co_u32_e32 v58, vcc, s6, v4
	v_addc_co_u32_e32 v59, vcc, v0, v5, vcc
	v_add_u32_e32 v2, s5, v2
	v_accvgpr_write_b32 a38, v58
	v_ashrrev_i32_e32 v3, 31, v2
	v_accvgpr_write_b32 a39, v59
	global_load_dwordx4 v[58:61], v[58:59], off
	v_lshlrev_b64 v[4:5], 4, v[2:3]
	v_add_co_u32_e32 v4, vcc, s6, v4
	v_addc_co_u32_e32 v5, vcc, v0, v5, vcc
	global_load_dwordx4 v[62:65], v[4:5], off
	v_add_u32_e32 v2, s5, v2
	v_accvgpr_write_b32 a41, v5
	v_ashrrev_i32_e32 v3, 31, v2
	v_accvgpr_write_b32 a40, v4
	v_lshlrev_b64 v[4:5], 4, v[2:3]
	v_add_co_u32_e32 v66, vcc, s6, v4
	v_addc_co_u32_e32 v67, vcc, v0, v5, vcc
	v_add_u32_e32 v2, s5, v2
	v_accvgpr_write_b32 a42, v66
	v_ashrrev_i32_e32 v3, 31, v2
	v_accvgpr_write_b32 a43, v67
	global_load_dwordx4 v[66:69], v[66:67], off
	v_lshlrev_b64 v[4:5], 4, v[2:3]
	v_add_co_u32_e32 v4, vcc, s6, v4
	v_addc_co_u32_e32 v5, vcc, v0, v5, vcc
	global_load_dwordx4 v[70:73], v[4:5], off
	v_add_u32_e32 v2, s5, v2
	v_accvgpr_write_b32 a45, v5
	v_ashrrev_i32_e32 v3, 31, v2
	v_accvgpr_write_b32 a44, v4
	v_lshlrev_b64 v[4:5], 4, v[2:3]
	v_add_co_u32_e32 v74, vcc, s6, v4
	v_addc_co_u32_e32 v75, vcc, v0, v5, vcc
	v_add_u32_e32 v2, s5, v2
	v_accvgpr_write_b32 a46, v74
	v_ashrrev_i32_e32 v3, 31, v2
	v_accvgpr_write_b32 a47, v75
	global_load_dwordx4 v[74:77], v[74:75], off
	v_lshlrev_b64 v[4:5], 4, v[2:3]
	v_add_co_u32_e32 v4, vcc, s6, v4
	v_addc_co_u32_e32 v5, vcc, v0, v5, vcc
	global_load_dwordx4 v[78:81], v[4:5], off
	v_add_u32_e32 v2, s5, v2
	v_accvgpr_write_b32 a49, v5
	v_ashrrev_i32_e32 v3, 31, v2
	v_accvgpr_write_b32 a48, v4
	v_lshlrev_b64 v[4:5], 4, v[2:3]
	v_add_co_u32_e32 v4, vcc, s6, v4
	v_add_u32_e32 v86, s5, v2
	v_addc_co_u32_e32 v5, vcc, v0, v5, vcc
	v_ashrrev_i32_e32 v87, 31, v86
	v_lshlrev_b64 v[2:3], 4, v[86:87]
	global_load_dwordx4 v[82:85], v[4:5], off
	v_add_co_u32_e32 v2, vcc, s6, v2
	v_addc_co_u32_e32 v3, vcc, v0, v3, vcc
	v_accvgpr_write_b32 a51, v5
	v_accvgpr_write_b32 a53, v3
	;; [unrolled: 1-line block ×4, first 2 shown]
	global_load_dwordx4 v[2:5], v[2:3], off
	s_bitcmp0_b32 s18, 0
	s_waitcnt vmcnt(44)
	buffer_store_dword v9, off, s[0:3], 0 offset:124
	buffer_store_dword v8, off, s[0:3], 0 offset:120
	buffer_store_dword v7, off, s[0:3], 0 offset:116
	buffer_store_dword v6, off, s[0:3], 0 offset:112
	s_waitcnt vmcnt(31)
	buffer_store_dword v13, off, s[0:3], 0 offset:140
	buffer_store_dword v12, off, s[0:3], 0 offset:136
	buffer_store_dword v11, off, s[0:3], 0 offset:132
	buffer_store_dword v10, off, s[0:3], 0 offset:128
	;; [unrolled: 5-line block ×16, first 2 shown]
	buffer_store_dword v73, off, s[0:3], 0 offset:380
	buffer_store_dword v72, off, s[0:3], 0 offset:376
	;; [unrolled: 1-line block ×12, first 2 shown]
	s_waitcnt vmcnt(62)
	buffer_store_dword v85, off, s[0:3], 0 offset:428
	buffer_store_dword v84, off, s[0:3], 0 offset:424
	;; [unrolled: 1-line block ×5, first 2 shown]
	v_add_u32_e32 v6, s5, v86
	v_ashrrev_i32_e32 v7, 31, v6
	v_lshlrev_b64 v[8:9], 4, v[6:7]
	v_add_u32_e32 v14, s5, v6
	v_add_co_u32_e32 v8, vcc, s6, v8
	v_ashrrev_i32_e32 v15, 31, v14
	v_addc_co_u32_e32 v9, vcc, v0, v9, vcc
	v_lshlrev_b64 v[6:7], 4, v[14:15]
	v_add_co_u32_e32 v10, vcc, s6, v6
	v_accvgpr_write_b32 a57, v9
	v_addc_co_u32_e32 v11, vcc, v0, v7, vcc
	v_accvgpr_write_b32 a56, v8
	global_load_dwordx4 v[6:9], v[8:9], off
	v_add_u32_e32 v14, s5, v14
	v_accvgpr_write_b32 a59, v11
	v_ashrrev_i32_e32 v15, 31, v14
	v_accvgpr_write_b32 a58, v10
	global_load_dwordx4 v[10:13], v[10:11], off
	v_lshlrev_b64 v[16:17], 4, v[14:15]
	v_add_u32_e32 v22, s5, v14
	v_add_co_u32_e32 v16, vcc, s6, v16
	v_ashrrev_i32_e32 v23, 31, v22
	v_addc_co_u32_e32 v17, vcc, v0, v17, vcc
	v_lshlrev_b64 v[14:15], 4, v[22:23]
	v_add_co_u32_e32 v18, vcc, s6, v14
	v_accvgpr_write_b32 a61, v17
	v_addc_co_u32_e32 v19, vcc, v0, v15, vcc
	v_accvgpr_write_b32 a60, v16
	global_load_dwordx4 v[14:17], v[16:17], off
	v_add_u32_e32 v22, s5, v22
	v_accvgpr_write_b32 a63, v19
	v_ashrrev_i32_e32 v23, 31, v22
	v_accvgpr_write_b32 a62, v18
	global_load_dwordx4 v[18:21], v[18:19], off
	v_lshlrev_b64 v[24:25], 4, v[22:23]
	v_add_u32_e32 v30, s5, v22
	v_add_co_u32_e32 v24, vcc, s6, v24
	v_ashrrev_i32_e32 v31, 31, v30
	v_addc_co_u32_e32 v25, vcc, v0, v25, vcc
	v_lshlrev_b64 v[22:23], 4, v[30:31]
	v_add_co_u32_e32 v26, vcc, s6, v22
	v_accvgpr_write_b32 a65, v25
	v_addc_co_u32_e32 v27, vcc, v0, v23, vcc
	v_accvgpr_write_b32 a64, v24
	global_load_dwordx4 v[22:25], v[24:25], off
	v_add_u32_e32 v30, s5, v30
	v_accvgpr_write_b32 a67, v27
	v_ashrrev_i32_e32 v31, 31, v30
	v_accvgpr_write_b32 a66, v26
	global_load_dwordx4 v[26:29], v[26:27], off
	v_lshlrev_b64 v[32:33], 4, v[30:31]
	v_add_u32_e32 v38, s5, v30
	v_add_co_u32_e32 v32, vcc, s6, v32
	v_ashrrev_i32_e32 v39, 31, v38
	v_addc_co_u32_e32 v33, vcc, v0, v33, vcc
	v_lshlrev_b64 v[30:31], 4, v[38:39]
	v_add_co_u32_e32 v34, vcc, s6, v30
	v_accvgpr_write_b32 a69, v33
	v_addc_co_u32_e32 v35, vcc, v0, v31, vcc
	v_accvgpr_write_b32 a68, v32
	global_load_dwordx4 v[30:33], v[32:33], off
	v_add_u32_e32 v38, s5, v38
	v_accvgpr_write_b32 a71, v35
	v_ashrrev_i32_e32 v39, 31, v38
	v_accvgpr_write_b32 a70, v34
	global_load_dwordx4 v[34:37], v[34:35], off
	v_lshlrev_b64 v[40:41], 4, v[38:39]
	v_add_u32_e32 v46, s5, v38
	v_add_co_u32_e32 v40, vcc, s6, v40
	v_ashrrev_i32_e32 v47, 31, v46
	v_addc_co_u32_e32 v41, vcc, v0, v41, vcc
	v_lshlrev_b64 v[38:39], 4, v[46:47]
	v_add_co_u32_e32 v42, vcc, s6, v38
	v_accvgpr_write_b32 a73, v41
	v_addc_co_u32_e32 v43, vcc, v0, v39, vcc
	v_accvgpr_write_b32 a72, v40
	global_load_dwordx4 v[38:41], v[40:41], off
	v_add_u32_e32 v46, s5, v46
	v_accvgpr_write_b32 a75, v43
	v_ashrrev_i32_e32 v47, 31, v46
	v_accvgpr_write_b32 a74, v42
	global_load_dwordx4 v[42:45], v[42:43], off
	v_lshlrev_b64 v[48:49], 4, v[46:47]
	v_add_u32_e32 v54, s5, v46
	v_add_co_u32_e32 v48, vcc, s6, v48
	v_ashrrev_i32_e32 v55, 31, v54
	v_addc_co_u32_e32 v49, vcc, v0, v49, vcc
	v_lshlrev_b64 v[46:47], 4, v[54:55]
	v_add_co_u32_e32 v50, vcc, s6, v46
	v_accvgpr_write_b32 a77, v49
	v_addc_co_u32_e32 v51, vcc, v0, v47, vcc
	v_accvgpr_write_b32 a76, v48
	global_load_dwordx4 v[46:49], v[48:49], off
	v_add_u32_e32 v54, s5, v54
	v_accvgpr_write_b32 a79, v51
	v_ashrrev_i32_e32 v55, 31, v54
	v_accvgpr_write_b32 a78, v50
	global_load_dwordx4 v[50:53], v[50:51], off
	v_lshlrev_b64 v[56:57], 4, v[54:55]
	v_add_u32_e32 v62, s5, v54
	v_add_co_u32_e32 v56, vcc, s6, v56
	v_ashrrev_i32_e32 v63, 31, v62
	v_addc_co_u32_e32 v57, vcc, v0, v57, vcc
	v_lshlrev_b64 v[54:55], 4, v[62:63]
	v_add_co_u32_e32 v58, vcc, s6, v54
	v_accvgpr_write_b32 a81, v57
	v_addc_co_u32_e32 v59, vcc, v0, v55, vcc
	v_accvgpr_write_b32 a80, v56
	global_load_dwordx4 v[54:57], v[56:57], off
	v_add_u32_e32 v62, s5, v62
	v_accvgpr_write_b32 a83, v59
	v_ashrrev_i32_e32 v63, 31, v62
	v_accvgpr_write_b32 a82, v58
	global_load_dwordx4 v[58:61], v[58:59], off
	v_lshlrev_b64 v[64:65], 4, v[62:63]
	v_add_u32_e32 v70, s5, v62
	v_add_co_u32_e32 v64, vcc, s6, v64
	v_ashrrev_i32_e32 v71, 31, v70
	v_addc_co_u32_e32 v65, vcc, v0, v65, vcc
	v_lshlrev_b64 v[62:63], 4, v[70:71]
	v_add_co_u32_e32 v66, vcc, s6, v62
	v_accvgpr_write_b32 a85, v65
	v_addc_co_u32_e32 v67, vcc, v0, v63, vcc
	v_accvgpr_write_b32 a84, v64
	global_load_dwordx4 v[62:65], v[64:65], off
	v_add_u32_e32 v70, s5, v70
	v_accvgpr_write_b32 a87, v67
	v_ashrrev_i32_e32 v71, 31, v70
	v_accvgpr_write_b32 a86, v66
	global_load_dwordx4 v[66:69], v[66:67], off
	v_lshlrev_b64 v[72:73], 4, v[70:71]
	v_add_u32_e32 v78, s5, v70
	v_add_co_u32_e32 v72, vcc, s6, v72
	v_ashrrev_i32_e32 v79, 31, v78
	v_addc_co_u32_e32 v73, vcc, v0, v73, vcc
	v_lshlrev_b64 v[70:71], 4, v[78:79]
	v_add_co_u32_e32 v74, vcc, s6, v70
	v_accvgpr_write_b32 a89, v73
	v_addc_co_u32_e32 v75, vcc, v0, v71, vcc
	v_accvgpr_write_b32 a88, v72
	global_load_dwordx4 v[70:73], v[72:73], off
	v_add_u32_e32 v78, s5, v78
	v_accvgpr_write_b32 a91, v75
	v_ashrrev_i32_e32 v79, 31, v78
	v_accvgpr_write_b32 a90, v74
	global_load_dwordx4 v[74:77], v[74:75], off
	v_lshlrev_b64 v[80:81], 4, v[78:79]
	v_add_co_u32_e32 v80, vcc, s6, v80
	v_addc_co_u32_e32 v81, vcc, v0, v81, vcc
	v_add_u32_e32 v78, s5, v78
	v_ashrrev_i32_e32 v79, 31, v78
	v_accvgpr_write_b32 a93, v81
	v_lshlrev_b64 v[82:83], 4, v[78:79]
	v_accvgpr_write_b32 a92, v80
	global_load_dwordx4 v[78:81], v[80:81], off
	v_add_co_u32_e32 v82, vcc, s6, v82
	v_addc_co_u32_e32 v83, vcc, v0, v83, vcc
	v_accvgpr_write_b32 a54, v82
	v_accvgpr_write_b32 a55, v83
	global_load_dwordx4 v[82:85], v[82:83], off
	v_mov_b32_e32 v0, 16
	buffer_store_dword v4, off, s[0:3], 0 offset:440
	buffer_store_dword v3, off, s[0:3], 0 offset:436
	buffer_store_dword v2, off, s[0:3], 0 offset:432
	s_waitcnt vmcnt(22)
	buffer_store_dword v9, off, s[0:3], 0 offset:460
	buffer_store_dword v8, off, s[0:3], 0 offset:456
	buffer_store_dword v7, off, s[0:3], 0 offset:452
	buffer_store_dword v6, off, s[0:3], 0 offset:448
	s_waitcnt vmcnt(25)
	buffer_store_dword v13, off, s[0:3], 0 offset:476
	;; [unrolled: 5-line block ×15, first 2 shown]
	buffer_store_dword v64, off, s[0:3], 0 offset:680
	buffer_store_dword v63, off, s[0:3], 0 offset:676
	;; [unrolled: 1-line block ×11, first 2 shown]
	s_waitcnt vmcnt(62)
	buffer_store_dword v77, off, s[0:3], 0 offset:732
	buffer_store_dword v76, off, s[0:3], 0 offset:728
	;; [unrolled: 1-line block ×12, first 2 shown]
	v_add_u32_e32 v2, 16, v0
	v_accvgpr_write_b32 a139, v2
	v_add_u32_e32 v2, 32, v0
	v_accvgpr_write_b32 a138, v2
	;; [unrolled: 2-line block ×44, first 2 shown]
	v_add_u32_e32 v2, 0x2d0, v0
	v_add_u32_e32 v0, 0x2e0, v0
	v_accvgpr_write_b32 a95, v2
	v_accvgpr_write_b32 a94, v0
	s_mov_b64 s[6:7], -1
	s_cbranch_scc1 .LBB110_200
; %bb.4:
	v_cmp_eq_u32_e64 s[4:5], 0, v254
	s_and_saveexec_b64 s[6:7], s[4:5]
	s_cbranch_execz .LBB110_6
; %bb.5:
	v_mov_b32_e32 v0, 0
	ds_write_b32 v0, v0 offset:1504
.LBB110_6:
	s_or_b64 exec, exec, s[6:7]
	v_mov_b32_e32 v0, 16
	v_lshl_add_u32 v12, v254, 4, v0
	s_waitcnt lgkmcnt(0)
	; wave barrier
	s_waitcnt lgkmcnt(0)
	buffer_load_dword v2, v12, s[0:3], 0 offen
	buffer_load_dword v3, v12, s[0:3], 0 offen offset:4
	buffer_load_dword v4, v12, s[0:3], 0 offen offset:8
	buffer_load_dword v5, v12, s[0:3], 0 offen offset:12
	s_waitcnt vmcnt(2)
	v_cmp_eq_f64_e32 vcc, 0, v[2:3]
	s_waitcnt vmcnt(0)
	v_cmp_eq_f64_e64 s[6:7], 0, v[4:5]
	s_and_b64 s[6:7], vcc, s[6:7]
	s_and_saveexec_b64 s[12:13], s[6:7]
	s_cbranch_execz .LBB110_10
; %bb.7:
	v_mov_b32_e32 v2, 0
	ds_read_b32 v0, v2 offset:1504
	v_add_u32_e32 v3, 1, v254
	s_waitcnt lgkmcnt(0)
	v_readfirstlane_b32 s6, v0
	s_cmp_eq_u32 s6, 0
	s_cselect_b64 s[18:19], -1, 0
	v_cmp_gt_i32_e32 vcc, s6, v3
	s_or_b64 s[18:19], s[18:19], vcc
	s_and_b64 exec, exec, s[18:19]
	s_cbranch_execz .LBB110_10
; %bb.8:
	s_mov_b64 s[18:19], 0
	v_mov_b32_e32 v4, s6
.LBB110_9:                              ; =>This Inner Loop Header: Depth=1
	ds_cmpst_rtn_b32 v4, v2, v4, v3 offset:1504
	s_waitcnt lgkmcnt(0)
	v_cmp_ne_u32_e32 vcc, 0, v4
	v_cmp_le_i32_e64 s[6:7], v4, v3
	s_and_b64 s[6:7], vcc, s[6:7]
	s_and_b64 s[6:7], exec, s[6:7]
	s_or_b64 s[18:19], s[6:7], s[18:19]
	s_andn2_b64 exec, exec, s[18:19]
	s_cbranch_execnz .LBB110_9
.LBB110_10:
	s_or_b64 exec, exec, s[12:13]
	v_mov_b32_e32 v3, 0
	s_waitcnt lgkmcnt(0)
	; wave barrier
	ds_read_b32 v2, v3 offset:1504
	s_and_saveexec_b64 s[6:7], s[4:5]
	s_cbranch_execz .LBB110_12
; %bb.11:
	s_lshl_b64 s[12:13], s[8:9], 2
	s_add_u32 s12, s14, s12
	s_addc_u32 s13, s15, s13
	s_waitcnt lgkmcnt(0)
	global_store_dword v3, v2, s[12:13]
.LBB110_12:
	s_or_b64 exec, exec, s[6:7]
	s_waitcnt lgkmcnt(0)
	v_cmp_ne_u32_e32 vcc, 0, v2
	s_mov_b64 s[6:7], 0
	s_cbranch_vccnz .LBB110_200
; %bb.13:
	buffer_load_dword v7, v12, s[0:3], 0 offen offset:4
	buffer_load_dword v6, v12, s[0:3], 0 offen
	buffer_load_dword v9, v12, s[0:3], 0 offen offset:12
	buffer_load_dword v8, v12, s[0:3], 0 offen offset:8
                                        ; implicit-def: $vgpr10_vgpr11
	s_waitcnt vmcnt(3)
	v_xor_b32_e32 v0, 0x80000000, v7
	s_waitcnt vmcnt(2)
	v_cmp_gt_f64_e32 vcc, 0, v[6:7]
	s_waitcnt vmcnt(1)
	v_xor_b32_e32 v4, 0x80000000, v9
	v_cndmask_b32_e32 v3, v7, v0, vcc
	s_waitcnt vmcnt(0)
	v_cmp_gt_f64_e32 vcc, 0, v[8:9]
	v_mov_b32_e32 v2, v6
	v_cndmask_b32_e32 v5, v9, v4, vcc
	v_mov_b32_e32 v4, v8
	v_cmp_ngt_f64_e32 vcc, v[2:3], v[4:5]
                                        ; implicit-def: $vgpr4_vgpr5
	s_and_saveexec_b64 s[6:7], vcc
	s_xor_b64 s[6:7], exec, s[6:7]
	s_cbranch_execz .LBB110_15
; %bb.14:
	v_div_scale_f64 v[2:3], s[12:13], v[8:9], v[8:9], v[6:7]
	v_rcp_f64_e32 v[4:5], v[2:3]
	v_div_scale_f64 v[10:11], vcc, v[6:7], v[8:9], v[6:7]
	v_fma_f64 v[14:15], -v[2:3], v[4:5], 1.0
	v_fmac_f64_e32 v[4:5], v[4:5], v[14:15]
	v_fma_f64 v[14:15], -v[2:3], v[4:5], 1.0
	v_fmac_f64_e32 v[4:5], v[4:5], v[14:15]
	v_mul_f64 v[14:15], v[10:11], v[4:5]
	v_fma_f64 v[2:3], -v[2:3], v[14:15], v[10:11]
	v_div_fmas_f64 v[2:3], v[2:3], v[4:5], v[14:15]
	v_div_fixup_f64 v[2:3], v[2:3], v[8:9], v[6:7]
	v_fmac_f64_e32 v[8:9], v[6:7], v[2:3]
	v_div_scale_f64 v[4:5], s[12:13], v[8:9], v[8:9], 1.0
	v_rcp_f64_e32 v[6:7], v[4:5]
	v_fma_f64 v[10:11], -v[4:5], v[6:7], 1.0
	v_fmac_f64_e32 v[6:7], v[6:7], v[10:11]
	v_fma_f64 v[10:11], -v[4:5], v[6:7], 1.0
	v_fmac_f64_e32 v[6:7], v[6:7], v[10:11]
	v_div_scale_f64 v[10:11], vcc, 1.0, v[8:9], 1.0
	v_mul_f64 v[14:15], v[10:11], v[6:7]
	v_fma_f64 v[4:5], -v[4:5], v[14:15], v[10:11]
	s_nop 1
	v_div_fmas_f64 v[4:5], v[4:5], v[6:7], v[14:15]
	v_div_fixup_f64 v[4:5], v[4:5], v[8:9], 1.0
	v_mul_f64 v[10:11], v[2:3], v[4:5]
	v_xor_b32_e32 v5, 0x80000000, v5
	v_xor_b32_e32 v3, 0x80000000, v11
	v_mov_b32_e32 v2, v10
                                        ; implicit-def: $vgpr6_vgpr7
                                        ; implicit-def: $vgpr8_vgpr9
.LBB110_15:
	s_andn2_saveexec_b64 s[6:7], s[6:7]
	s_cbranch_execz .LBB110_17
; %bb.16:
	v_div_scale_f64 v[2:3], s[12:13], v[6:7], v[6:7], v[8:9]
	v_rcp_f64_e32 v[4:5], v[2:3]
	v_div_scale_f64 v[10:11], vcc, v[8:9], v[6:7], v[8:9]
	v_fma_f64 v[14:15], -v[2:3], v[4:5], 1.0
	v_fmac_f64_e32 v[4:5], v[4:5], v[14:15]
	v_fma_f64 v[14:15], -v[2:3], v[4:5], 1.0
	v_fmac_f64_e32 v[4:5], v[4:5], v[14:15]
	v_mul_f64 v[14:15], v[10:11], v[4:5]
	v_fma_f64 v[2:3], -v[2:3], v[14:15], v[10:11]
	v_div_fmas_f64 v[2:3], v[2:3], v[4:5], v[14:15]
	v_div_fixup_f64 v[4:5], v[2:3], v[6:7], v[8:9]
	v_fmac_f64_e32 v[6:7], v[8:9], v[4:5]
	v_div_scale_f64 v[2:3], s[12:13], v[6:7], v[6:7], 1.0
	v_rcp_f64_e32 v[8:9], v[2:3]
	v_fma_f64 v[10:11], -v[2:3], v[8:9], 1.0
	v_fmac_f64_e32 v[8:9], v[8:9], v[10:11]
	v_fma_f64 v[10:11], -v[2:3], v[8:9], 1.0
	v_fmac_f64_e32 v[8:9], v[8:9], v[10:11]
	v_div_scale_f64 v[10:11], vcc, 1.0, v[6:7], 1.0
	v_mul_f64 v[14:15], v[10:11], v[8:9]
	v_fma_f64 v[2:3], -v[2:3], v[14:15], v[10:11]
	s_nop 1
	v_div_fmas_f64 v[2:3], v[2:3], v[8:9], v[14:15]
	v_div_fixup_f64 v[10:11], v[2:3], v[6:7], 1.0
	v_xor_b32_e32 v3, 0x80000000, v11
	v_mov_b32_e32 v2, v10
	v_mul_f64 v[4:5], v[4:5], -v[10:11]
.LBB110_17:
	s_or_b64 exec, exec, s[6:7]
	buffer_store_dword v11, v12, s[0:3], 0 offen offset:4
	buffer_store_dword v10, v12, s[0:3], 0 offen
	buffer_store_dword v5, v12, s[0:3], 0 offen offset:12
	buffer_store_dword v4, v12, s[0:3], 0 offen offset:8
	v_accvgpr_read_b32 v0, a139
	buffer_load_dword v11, v0, s[0:3], 0 offen offset:12
	buffer_load_dword v10, v0, s[0:3], 0 offen offset:8
	buffer_load_dword v9, v0, s[0:3], 0 offen offset:4
	buffer_load_dword v8, v0, s[0:3], 0 offen
	v_xor_b32_e32 v5, 0x80000000, v5
	v_add_u32_e32 v6, 0x2f0, v1
	ds_write_b128 v1, v[2:5]
	s_waitcnt vmcnt(0)
	ds_write_b128 v1, v[8:11] offset:752
	s_waitcnt lgkmcnt(0)
	; wave barrier
	s_waitcnt lgkmcnt(0)
	s_and_saveexec_b64 s[6:7], s[4:5]
	s_cbranch_execz .LBB110_19
; %bb.18:
	buffer_load_dword v14, v12, s[0:3], 0 offen offset:8
	buffer_load_dword v15, v12, s[0:3], 0 offen offset:12
	buffer_load_dword v16, v12, s[0:3], 0 offen
	buffer_load_dword v17, v12, s[0:3], 0 offen offset:4
	ds_read_b128 v[2:5], v6
	v_mov_b32_e32 v0, 0
	ds_read_b128 v[8:11], v0 offset:16
	s_waitcnt vmcnt(2) lgkmcnt(1)
	v_mul_f64 v[18:19], v[4:5], v[14:15]
	v_mul_f64 v[14:15], v[2:3], v[14:15]
	s_waitcnt vmcnt(0)
	v_fmac_f64_e32 v[14:15], v[4:5], v[16:17]
	v_fma_f64 v[2:3], v[2:3], v[16:17], -v[18:19]
	v_add_f64 v[4:5], v[14:15], 0
	v_add_f64 v[2:3], v[2:3], 0
	s_waitcnt lgkmcnt(0)
	v_mul_f64 v[14:15], v[4:5], v[10:11]
	v_mul_f64 v[10:11], v[2:3], v[10:11]
	v_fma_f64 v[2:3], v[2:3], v[8:9], -v[14:15]
	v_fmac_f64_e32 v[10:11], v[4:5], v[8:9]
	buffer_store_dword v2, off, s[0:3], 0 offset:32
	buffer_store_dword v3, off, s[0:3], 0 offset:36
	buffer_store_dword v10, off, s[0:3], 0 offset:40
	buffer_store_dword v11, off, s[0:3], 0 offset:44
.LBB110_19:
	s_or_b64 exec, exec, s[6:7]
	v_accvgpr_read_b32 v0, a138
	s_waitcnt lgkmcnt(0)
	; wave barrier
	buffer_load_dword v2, v0, s[0:3], 0 offen
	buffer_load_dword v3, v0, s[0:3], 0 offen offset:4
	buffer_load_dword v4, v0, s[0:3], 0 offen offset:8
	;; [unrolled: 1-line block ×3, first 2 shown]
	v_cmp_gt_u32_e32 vcc, 2, v254
	s_waitcnt vmcnt(0)
	ds_write_b128 v6, v[2:5]
	s_waitcnt lgkmcnt(0)
	; wave barrier
	s_waitcnt lgkmcnt(0)
	s_and_saveexec_b64 s[6:7], vcc
	s_cbranch_execz .LBB110_23
; %bb.20:
	buffer_load_dword v8, v12, s[0:3], 0 offen offset:8
	buffer_load_dword v9, v12, s[0:3], 0 offen offset:12
	buffer_load_dword v10, v12, s[0:3], 0 offen
	buffer_load_dword v11, v12, s[0:3], 0 offen offset:4
	ds_read_b128 v[2:5], v6
	s_waitcnt vmcnt(2) lgkmcnt(0)
	v_mul_f64 v[12:13], v[4:5], v[8:9]
	v_mul_f64 v[8:9], v[2:3], v[8:9]
	s_waitcnt vmcnt(0)
	v_fma_f64 v[2:3], v[2:3], v[10:11], -v[12:13]
	v_fmac_f64_e32 v[8:9], v[4:5], v[10:11]
	v_add_f64 v[4:5], v[2:3], 0
	v_add_f64 v[2:3], v[8:9], 0
	s_and_saveexec_b64 s[12:13], s[4:5]
	s_cbranch_execz .LBB110_22
; %bb.21:
	buffer_load_dword v12, off, s[0:3], 0 offset:40
	buffer_load_dword v13, off, s[0:3], 0 offset:44
	;; [unrolled: 1-line block ×4, first 2 shown]
	v_mov_b32_e32 v0, 0
	ds_read_b128 v[8:11], v0 offset:768
	s_waitcnt vmcnt(2) lgkmcnt(0)
	v_mul_f64 v[16:17], v[8:9], v[12:13]
	v_mul_f64 v[12:13], v[10:11], v[12:13]
	s_waitcnt vmcnt(0)
	v_fmac_f64_e32 v[16:17], v[10:11], v[14:15]
	v_fma_f64 v[8:9], v[8:9], v[14:15], -v[12:13]
	v_add_f64 v[2:3], v[2:3], v[16:17]
	v_add_f64 v[4:5], v[4:5], v[8:9]
.LBB110_22:
	s_or_b64 exec, exec, s[12:13]
	v_mov_b32_e32 v0, 0
	ds_read_b128 v[8:11], v0 offset:32
	s_waitcnt lgkmcnt(0)
	v_mul_f64 v[12:13], v[2:3], v[10:11]
	v_mul_f64 v[10:11], v[4:5], v[10:11]
	v_fma_f64 v[4:5], v[4:5], v[8:9], -v[12:13]
	v_fmac_f64_e32 v[10:11], v[2:3], v[8:9]
	buffer_store_dword v5, off, s[0:3], 0 offset:52
	buffer_store_dword v4, off, s[0:3], 0 offset:48
	;; [unrolled: 1-line block ×4, first 2 shown]
.LBB110_23:
	s_or_b64 exec, exec, s[6:7]
	v_accvgpr_read_b32 v0, a137
	s_waitcnt lgkmcnt(0)
	; wave barrier
	buffer_load_dword v2, v0, s[0:3], 0 offen
	buffer_load_dword v3, v0, s[0:3], 0 offen offset:4
	buffer_load_dword v4, v0, s[0:3], 0 offen offset:8
	;; [unrolled: 1-line block ×3, first 2 shown]
	v_cmp_gt_u32_e32 vcc, 3, v254
	v_add_u32_e32 v7, -1, v254
	s_waitcnt vmcnt(0)
	ds_write_b128 v6, v[2:5]
	s_waitcnt lgkmcnt(0)
	; wave barrier
	s_waitcnt lgkmcnt(0)
	s_and_saveexec_b64 s[4:5], vcc
	s_cbranch_execz .LBB110_27
; %bb.24:
	v_pk_mov_b32 v[2:3], 0, 0
	v_add_u32_e32 v8, -1, v254
	v_add_u32_e32 v9, 0x2f0, v1
	v_add_u32_e32 v10, 16, v1
	s_mov_b64 s[6:7], 0
	v_pk_mov_b32 v[4:5], v[2:3], v[2:3] op_sel:[0,1]
.LBB110_25:                             ; =>This Inner Loop Header: Depth=1
	buffer_load_dword v16, v10, s[0:3], 0 offen offset:8
	buffer_load_dword v17, v10, s[0:3], 0 offen offset:12
	buffer_load_dword v18, v10, s[0:3], 0 offen
	buffer_load_dword v19, v10, s[0:3], 0 offen offset:4
	ds_read_b128 v[12:15], v9
	v_add_u32_e32 v8, 1, v8
	v_cmp_lt_u32_e32 vcc, 1, v8
	v_add_u32_e32 v9, 16, v9
	v_add_u32_e32 v10, 16, v10
	s_or_b64 s[6:7], vcc, s[6:7]
	s_waitcnt vmcnt(2) lgkmcnt(0)
	v_mul_f64 v[20:21], v[14:15], v[16:17]
	v_mul_f64 v[16:17], v[12:13], v[16:17]
	s_waitcnt vmcnt(0)
	v_fma_f64 v[12:13], v[12:13], v[18:19], -v[20:21]
	v_fmac_f64_e32 v[16:17], v[14:15], v[18:19]
	v_add_f64 v[4:5], v[4:5], v[12:13]
	v_add_f64 v[2:3], v[2:3], v[16:17]
	s_andn2_b64 exec, exec, s[6:7]
	s_cbranch_execnz .LBB110_25
; %bb.26:
	s_or_b64 exec, exec, s[6:7]
	v_mov_b32_e32 v0, 0
	ds_read_b128 v[8:11], v0 offset:48
	s_waitcnt lgkmcnt(0)
	v_mul_f64 v[12:13], v[2:3], v[10:11]
	v_mul_f64 v[10:11], v[4:5], v[10:11]
	v_fma_f64 v[4:5], v[4:5], v[8:9], -v[12:13]
	v_fmac_f64_e32 v[10:11], v[2:3], v[8:9]
	buffer_store_dword v5, off, s[0:3], 0 offset:68
	buffer_store_dword v4, off, s[0:3], 0 offset:64
	buffer_store_dword v11, off, s[0:3], 0 offset:76
	buffer_store_dword v10, off, s[0:3], 0 offset:72
.LBB110_27:
	s_or_b64 exec, exec, s[4:5]
	v_accvgpr_read_b32 v0, a136
	s_waitcnt lgkmcnt(0)
	; wave barrier
	buffer_load_dword v2, v0, s[0:3], 0 offen
	buffer_load_dword v3, v0, s[0:3], 0 offen offset:4
	buffer_load_dword v4, v0, s[0:3], 0 offen offset:8
	buffer_load_dword v5, v0, s[0:3], 0 offen offset:12
	v_cmp_gt_u32_e32 vcc, 4, v254
	s_waitcnt vmcnt(0)
	ds_write_b128 v6, v[2:5]
	s_waitcnt lgkmcnt(0)
	; wave barrier
	s_waitcnt lgkmcnt(0)
	s_and_saveexec_b64 s[4:5], vcc
	s_cbranch_execz .LBB110_31
; %bb.28:
	v_pk_mov_b32 v[2:3], 0, 0
	v_add_u32_e32 v8, -1, v254
	v_add_u32_e32 v9, 0x2f0, v1
	v_add_u32_e32 v10, 16, v1
	s_mov_b64 s[6:7], 0
	v_pk_mov_b32 v[4:5], v[2:3], v[2:3] op_sel:[0,1]
.LBB110_29:                             ; =>This Inner Loop Header: Depth=1
	buffer_load_dword v16, v10, s[0:3], 0 offen offset:8
	buffer_load_dword v17, v10, s[0:3], 0 offen offset:12
	buffer_load_dword v18, v10, s[0:3], 0 offen
	buffer_load_dword v19, v10, s[0:3], 0 offen offset:4
	ds_read_b128 v[12:15], v9
	v_add_u32_e32 v8, 1, v8
	v_cmp_lt_u32_e32 vcc, 2, v8
	v_add_u32_e32 v9, 16, v9
	v_add_u32_e32 v10, 16, v10
	s_or_b64 s[6:7], vcc, s[6:7]
	s_waitcnt vmcnt(2) lgkmcnt(0)
	v_mul_f64 v[20:21], v[14:15], v[16:17]
	v_mul_f64 v[16:17], v[12:13], v[16:17]
	s_waitcnt vmcnt(0)
	v_fma_f64 v[12:13], v[12:13], v[18:19], -v[20:21]
	v_fmac_f64_e32 v[16:17], v[14:15], v[18:19]
	v_add_f64 v[4:5], v[4:5], v[12:13]
	v_add_f64 v[2:3], v[2:3], v[16:17]
	s_andn2_b64 exec, exec, s[6:7]
	s_cbranch_execnz .LBB110_29
; %bb.30:
	s_or_b64 exec, exec, s[6:7]
	v_mov_b32_e32 v0, 0
	ds_read_b128 v[8:11], v0 offset:64
	s_waitcnt lgkmcnt(0)
	v_mul_f64 v[12:13], v[2:3], v[10:11]
	v_mul_f64 v[10:11], v[4:5], v[10:11]
	v_fma_f64 v[4:5], v[4:5], v[8:9], -v[12:13]
	v_fmac_f64_e32 v[10:11], v[2:3], v[8:9]
	buffer_store_dword v5, off, s[0:3], 0 offset:84
	buffer_store_dword v4, off, s[0:3], 0 offset:80
	buffer_store_dword v11, off, s[0:3], 0 offset:92
	buffer_store_dword v10, off, s[0:3], 0 offset:88
.LBB110_31:
	s_or_b64 exec, exec, s[4:5]
	v_accvgpr_read_b32 v0, a135
	s_waitcnt lgkmcnt(0)
	; wave barrier
	buffer_load_dword v2, v0, s[0:3], 0 offen
	buffer_load_dword v3, v0, s[0:3], 0 offen offset:4
	buffer_load_dword v4, v0, s[0:3], 0 offen offset:8
	buffer_load_dword v5, v0, s[0:3], 0 offen offset:12
	v_cmp_gt_u32_e32 vcc, 5, v254
	;; [unrolled: 58-line block ×19, first 2 shown]
	s_waitcnt vmcnt(0)
	ds_write_b128 v6, v[2:5]
	s_waitcnt lgkmcnt(0)
	; wave barrier
	s_waitcnt lgkmcnt(0)
	s_and_saveexec_b64 s[4:5], vcc
	s_cbranch_execz .LBB110_103
; %bb.100:
	v_pk_mov_b32 v[2:3], 0, 0
	v_add_u32_e32 v8, -1, v254
	v_add_u32_e32 v9, 0x2f0, v1
	v_add_u32_e32 v10, 16, v1
	s_mov_b64 s[6:7], 0
	v_pk_mov_b32 v[4:5], v[2:3], v[2:3] op_sel:[0,1]
.LBB110_101:                            ; =>This Inner Loop Header: Depth=1
	buffer_load_dword v16, v10, s[0:3], 0 offen offset:8
	buffer_load_dword v17, v10, s[0:3], 0 offen offset:12
	buffer_load_dword v18, v10, s[0:3], 0 offen
	buffer_load_dword v19, v10, s[0:3], 0 offen offset:4
	ds_read_b128 v[12:15], v9
	v_add_u32_e32 v8, 1, v8
	v_cmp_lt_u32_e32 vcc, 20, v8
	v_add_u32_e32 v9, 16, v9
	v_add_u32_e32 v10, 16, v10
	s_or_b64 s[6:7], vcc, s[6:7]
	s_waitcnt vmcnt(2) lgkmcnt(0)
	v_mul_f64 v[20:21], v[14:15], v[16:17]
	v_mul_f64 v[16:17], v[12:13], v[16:17]
	s_waitcnt vmcnt(0)
	v_fma_f64 v[12:13], v[12:13], v[18:19], -v[20:21]
	v_fmac_f64_e32 v[16:17], v[14:15], v[18:19]
	v_add_f64 v[4:5], v[4:5], v[12:13]
	v_add_f64 v[2:3], v[2:3], v[16:17]
	s_andn2_b64 exec, exec, s[6:7]
	s_cbranch_execnz .LBB110_101
; %bb.102:
	s_or_b64 exec, exec, s[6:7]
	v_mov_b32_e32 v0, 0
	ds_read_b128 v[8:11], v0 offset:352
	s_waitcnt lgkmcnt(0)
	v_mul_f64 v[12:13], v[2:3], v[10:11]
	v_mul_f64 v[10:11], v[4:5], v[10:11]
	v_fma_f64 v[4:5], v[4:5], v[8:9], -v[12:13]
	v_fmac_f64_e32 v[10:11], v[2:3], v[8:9]
	buffer_store_dword v5, off, s[0:3], 0 offset:372
	buffer_store_dword v4, off, s[0:3], 0 offset:368
	buffer_store_dword v11, off, s[0:3], 0 offset:380
	buffer_store_dword v10, off, s[0:3], 0 offset:376
.LBB110_103:
	s_or_b64 exec, exec, s[4:5]
	v_accvgpr_read_b32 v0, a117
	s_waitcnt lgkmcnt(0)
	; wave barrier
	buffer_load_dword v2, v0, s[0:3], 0 offen
	buffer_load_dword v3, v0, s[0:3], 0 offen offset:4
	buffer_load_dword v4, v0, s[0:3], 0 offen offset:8
	buffer_load_dword v5, v0, s[0:3], 0 offen offset:12
	v_cmp_gt_u32_e32 vcc, 23, v254
	s_waitcnt vmcnt(0)
	ds_write_b128 v6, v[2:5]
	s_waitcnt lgkmcnt(0)
	; wave barrier
	s_waitcnt lgkmcnt(0)
	s_and_saveexec_b64 s[4:5], vcc
	s_cbranch_execz .LBB110_107
; %bb.104:
	v_pk_mov_b32 v[2:3], 0, 0
	v_add_u32_e32 v8, -1, v254
	v_add_u32_e32 v9, 0x2f0, v1
	v_add_u32_e32 v10, 16, v1
	s_mov_b64 s[6:7], 0
	v_pk_mov_b32 v[4:5], v[2:3], v[2:3] op_sel:[0,1]
.LBB110_105:                            ; =>This Inner Loop Header: Depth=1
	buffer_load_dword v16, v10, s[0:3], 0 offen offset:8
	buffer_load_dword v17, v10, s[0:3], 0 offen offset:12
	buffer_load_dword v18, v10, s[0:3], 0 offen
	buffer_load_dword v19, v10, s[0:3], 0 offen offset:4
	ds_read_b128 v[12:15], v9
	v_add_u32_e32 v8, 1, v8
	v_cmp_lt_u32_e32 vcc, 21, v8
	v_add_u32_e32 v9, 16, v9
	v_add_u32_e32 v10, 16, v10
	s_or_b64 s[6:7], vcc, s[6:7]
	s_waitcnt vmcnt(2) lgkmcnt(0)
	v_mul_f64 v[20:21], v[14:15], v[16:17]
	v_mul_f64 v[16:17], v[12:13], v[16:17]
	s_waitcnt vmcnt(0)
	v_fma_f64 v[12:13], v[12:13], v[18:19], -v[20:21]
	v_fmac_f64_e32 v[16:17], v[14:15], v[18:19]
	v_add_f64 v[4:5], v[4:5], v[12:13]
	v_add_f64 v[2:3], v[2:3], v[16:17]
	s_andn2_b64 exec, exec, s[6:7]
	s_cbranch_execnz .LBB110_105
; %bb.106:
	s_or_b64 exec, exec, s[6:7]
	v_mov_b32_e32 v0, 0
	ds_read_b128 v[8:11], v0 offset:368
	s_waitcnt lgkmcnt(0)
	v_mul_f64 v[12:13], v[2:3], v[10:11]
	v_mul_f64 v[10:11], v[4:5], v[10:11]
	v_fma_f64 v[4:5], v[4:5], v[8:9], -v[12:13]
	v_fmac_f64_e32 v[10:11], v[2:3], v[8:9]
	buffer_store_dword v5, off, s[0:3], 0 offset:388
	buffer_store_dword v4, off, s[0:3], 0 offset:384
	buffer_store_dword v11, off, s[0:3], 0 offset:396
	buffer_store_dword v10, off, s[0:3], 0 offset:392
.LBB110_107:
	s_or_b64 exec, exec, s[4:5]
	v_accvgpr_read_b32 v0, a116
	s_waitcnt lgkmcnt(0)
	; wave barrier
	buffer_load_dword v2, v0, s[0:3], 0 offen
	buffer_load_dword v3, v0, s[0:3], 0 offen offset:4
	buffer_load_dword v4, v0, s[0:3], 0 offen offset:8
	buffer_load_dword v5, v0, s[0:3], 0 offen offset:12
	v_cmp_gt_u32_e32 vcc, 24, v254
	;; [unrolled: 58-line block ×23, first 2 shown]
	s_waitcnt vmcnt(0)
	ds_write_b128 v6, v[2:5]
	s_waitcnt lgkmcnt(0)
	; wave barrier
	s_waitcnt lgkmcnt(0)
	s_and_saveexec_b64 s[4:5], vcc
	s_cbranch_execz .LBB110_195
; %bb.192:
	v_pk_mov_b32 v[2:3], 0, 0
	v_add_u32_e32 v8, -1, v254
	v_add_u32_e32 v9, 0x2f0, v1
	v_add_u32_e32 v10, 16, v1
	s_mov_b64 s[6:7], 0
	v_pk_mov_b32 v[4:5], v[2:3], v[2:3] op_sel:[0,1]
.LBB110_193:                            ; =>This Inner Loop Header: Depth=1
	buffer_load_dword v16, v10, s[0:3], 0 offen offset:8
	buffer_load_dword v17, v10, s[0:3], 0 offen offset:12
	buffer_load_dword v18, v10, s[0:3], 0 offen
	buffer_load_dword v19, v10, s[0:3], 0 offen offset:4
	ds_read_b128 v[12:15], v9
	v_add_u32_e32 v8, 1, v8
	v_cmp_lt_u32_e32 vcc, 43, v8
	v_add_u32_e32 v9, 16, v9
	v_add_u32_e32 v10, 16, v10
	s_or_b64 s[6:7], vcc, s[6:7]
	s_waitcnt vmcnt(2) lgkmcnt(0)
	v_mul_f64 v[20:21], v[14:15], v[16:17]
	v_mul_f64 v[16:17], v[12:13], v[16:17]
	s_waitcnt vmcnt(0)
	v_fma_f64 v[12:13], v[12:13], v[18:19], -v[20:21]
	v_fmac_f64_e32 v[16:17], v[14:15], v[18:19]
	v_add_f64 v[4:5], v[4:5], v[12:13]
	v_add_f64 v[2:3], v[2:3], v[16:17]
	s_andn2_b64 exec, exec, s[6:7]
	s_cbranch_execnz .LBB110_193
; %bb.194:
	s_or_b64 exec, exec, s[6:7]
	v_mov_b32_e32 v0, 0
	ds_read_b128 v[8:11], v0 offset:720
	s_waitcnt lgkmcnt(0)
	v_mul_f64 v[12:13], v[2:3], v[10:11]
	v_mul_f64 v[10:11], v[4:5], v[10:11]
	v_fma_f64 v[4:5], v[4:5], v[8:9], -v[12:13]
	v_fmac_f64_e32 v[10:11], v[2:3], v[8:9]
	buffer_store_dword v5, off, s[0:3], 0 offset:740
	buffer_store_dword v4, off, s[0:3], 0 offset:736
	;; [unrolled: 1-line block ×4, first 2 shown]
.LBB110_195:
	s_or_b64 exec, exec, s[4:5]
	v_accvgpr_read_b32 v0, a94
	s_waitcnt lgkmcnt(0)
	; wave barrier
	buffer_load_dword v2, v0, s[0:3], 0 offen
	buffer_load_dword v3, v0, s[0:3], 0 offen offset:4
	buffer_load_dword v4, v0, s[0:3], 0 offen offset:8
	;; [unrolled: 1-line block ×3, first 2 shown]
	v_cmp_ne_u32_e32 vcc, 46, v254
	s_waitcnt vmcnt(0)
	ds_write_b128 v6, v[2:5]
	s_waitcnt lgkmcnt(0)
	; wave barrier
	s_waitcnt lgkmcnt(0)
	s_and_saveexec_b64 s[4:5], vcc
	s_cbranch_execz .LBB110_199
; %bb.196:
	v_pk_mov_b32 v[2:3], 0, 0
	v_add_u32_e32 v6, 0x2f0, v1
	v_add_u32_e32 v1, 16, v1
	s_mov_b64 s[6:7], 0
	v_pk_mov_b32 v[4:5], v[2:3], v[2:3] op_sel:[0,1]
.LBB110_197:                            ; =>This Inner Loop Header: Depth=1
	buffer_load_dword v12, v1, s[0:3], 0 offen offset:8
	buffer_load_dword v13, v1, s[0:3], 0 offen offset:12
	buffer_load_dword v14, v1, s[0:3], 0 offen
	buffer_load_dword v15, v1, s[0:3], 0 offen offset:4
	ds_read_b128 v[8:11], v6
	v_add_u32_e32 v7, 1, v7
	v_cmp_lt_u32_e32 vcc, 44, v7
	v_add_u32_e32 v6, 16, v6
	v_add_u32_e32 v1, 16, v1
	s_or_b64 s[6:7], vcc, s[6:7]
	s_waitcnt vmcnt(2) lgkmcnt(0)
	v_mul_f64 v[16:17], v[10:11], v[12:13]
	v_mul_f64 v[12:13], v[8:9], v[12:13]
	s_waitcnt vmcnt(0)
	v_fma_f64 v[8:9], v[8:9], v[14:15], -v[16:17]
	v_fmac_f64_e32 v[12:13], v[10:11], v[14:15]
	v_add_f64 v[4:5], v[4:5], v[8:9]
	v_add_f64 v[2:3], v[2:3], v[12:13]
	s_andn2_b64 exec, exec, s[6:7]
	s_cbranch_execnz .LBB110_197
; %bb.198:
	s_or_b64 exec, exec, s[6:7]
	v_mov_b32_e32 v0, 0
	ds_read_b128 v[6:9], v0 offset:736
	s_waitcnt lgkmcnt(0)
	v_mul_f64 v[10:11], v[2:3], v[8:9]
	v_mul_f64 v[8:9], v[4:5], v[8:9]
	v_fma_f64 v[4:5], v[4:5], v[6:7], -v[10:11]
	v_fmac_f64_e32 v[8:9], v[2:3], v[6:7]
	buffer_store_dword v5, off, s[0:3], 0 offset:756
	buffer_store_dword v4, off, s[0:3], 0 offset:752
	;; [unrolled: 1-line block ×4, first 2 shown]
.LBB110_199:
	s_or_b64 exec, exec, s[4:5]
	s_mov_b64 s[6:7], -1
	s_waitcnt lgkmcnt(0)
	; wave barrier
.LBB110_200:
	s_and_b64 vcc, exec, s[6:7]
	s_cbranch_vccz .LBB110_202
; %bb.201:
	s_lshl_b64 s[4:5], s[8:9], 2
	s_add_u32 s4, s14, s4
	s_addc_u32 s5, s15, s5
	v_mov_b32_e32 v0, 0
	global_load_dword v0, v0, s[4:5]
	s_waitcnt vmcnt(0)
	v_cmp_ne_u32_e32 vcc, 0, v0
	s_cbranch_vccz .LBB110_203
.LBB110_202:
	s_endpgm
.LBB110_203:
	v_mov_b32_e32 v0, 0x2f0
	v_lshl_add_u32 v0, v254, 4, v0
	v_accvgpr_write_b32 a141, v0
	v_cmp_eq_u32_e32 vcc, 46, v254
	s_and_saveexec_b64 s[4:5], vcc
	s_cbranch_execz .LBB110_205
; %bb.204:
	v_accvgpr_read_b32 v0, a95
	buffer_load_dword v2, v0, s[0:3], 0 offen
	buffer_load_dword v3, v0, s[0:3], 0 offen offset:4
	buffer_load_dword v4, v0, s[0:3], 0 offen offset:8
	;; [unrolled: 1-line block ×3, first 2 shown]
	v_mov_b32_e32 v0, 0
	v_accvgpr_read_b32 v1, a141
	buffer_store_dword v0, off, s[0:3], 0 offset:736
	buffer_store_dword v0, off, s[0:3], 0 offset:740
	;; [unrolled: 1-line block ×4, first 2 shown]
	s_waitcnt vmcnt(4)
	ds_write_b128 v1, v[2:5]
.LBB110_205:
	s_or_b64 exec, exec, s[4:5]
	s_waitcnt lgkmcnt(0)
	; wave barrier
	s_waitcnt lgkmcnt(0)
	buffer_load_dword v6, off, s[0:3], 0 offset:760
	buffer_load_dword v7, off, s[0:3], 0 offset:764
	;; [unrolled: 1-line block ×8, first 2 shown]
	v_mov_b32_e32 v1, 0
	ds_read_b128 v[2:5], v1 offset:1488
	v_cmp_lt_u32_e32 vcc, 44, v254
	s_waitcnt vmcnt(6) lgkmcnt(0)
	v_mul_f64 v[14:15], v[2:3], v[6:7]
	v_mul_f64 v[6:7], v[4:5], v[6:7]
	s_waitcnt vmcnt(4)
	v_fma_f64 v[2:3], v[2:3], v[8:9], -v[6:7]
	v_fmac_f64_e32 v[14:15], v[4:5], v[8:9]
	v_add_f64 v[2:3], v[2:3], 0
	v_add_f64 v[4:5], v[14:15], 0
	s_waitcnt vmcnt(2)
	v_add_f64 v[2:3], v[10:11], -v[2:3]
	s_waitcnt vmcnt(0)
	v_add_f64 v[4:5], v[12:13], -v[4:5]
	buffer_store_dword v2, off, s[0:3], 0 offset:736
	buffer_store_dword v3, off, s[0:3], 0 offset:740
	;; [unrolled: 1-line block ×4, first 2 shown]
	s_and_saveexec_b64 s[4:5], vcc
	s_cbranch_execz .LBB110_207
; %bb.206:
	v_accvgpr_read_b32 v0, a96
	buffer_load_dword v2, v0, s[0:3], 0 offen
	buffer_load_dword v3, v0, s[0:3], 0 offen offset:4
	buffer_load_dword v4, v0, s[0:3], 0 offen offset:8
	buffer_load_dword v5, v0, s[0:3], 0 offen offset:12
	v_accvgpr_read_b32 v0, a141
	buffer_store_dword v1, off, s[0:3], 0 offset:720
	buffer_store_dword v1, off, s[0:3], 0 offset:724
	;; [unrolled: 1-line block ×4, first 2 shown]
	s_waitcnt vmcnt(4)
	ds_write_b128 v0, v[2:5]
.LBB110_207:
	s_or_b64 exec, exec, s[4:5]
	s_waitcnt lgkmcnt(0)
	; wave barrier
	s_waitcnt lgkmcnt(0)
	buffer_load_dword v10, off, s[0:3], 0 offset:744
	buffer_load_dword v11, off, s[0:3], 0 offset:748
	;; [unrolled: 1-line block ×12, first 2 shown]
	ds_read_b128 v[2:5], v1 offset:1472
	ds_read_b128 v[6:9], v1 offset:1488
	v_cmp_lt_u32_e32 vcc, 43, v254
	s_waitcnt vmcnt(10) lgkmcnt(1)
	v_mul_f64 v[22:23], v[2:3], v[10:11]
	v_mul_f64 v[10:11], v[4:5], v[10:11]
	s_waitcnt vmcnt(8) lgkmcnt(0)
	v_mul_f64 v[24:25], v[6:7], v[12:13]
	v_mul_f64 v[12:13], v[8:9], v[12:13]
	s_waitcnt vmcnt(6)
	v_fma_f64 v[2:3], v[2:3], v[14:15], -v[10:11]
	v_fmac_f64_e32 v[22:23], v[4:5], v[14:15]
	s_waitcnt vmcnt(4)
	v_fma_f64 v[4:5], v[6:7], v[16:17], -v[12:13]
	v_add_f64 v[2:3], v[2:3], 0
	v_fmac_f64_e32 v[24:25], v[8:9], v[16:17]
	v_add_f64 v[6:7], v[22:23], 0
	v_add_f64 v[2:3], v[2:3], v[4:5]
	;; [unrolled: 1-line block ×3, first 2 shown]
	s_waitcnt vmcnt(2)
	v_add_f64 v[2:3], v[18:19], -v[2:3]
	s_waitcnt vmcnt(0)
	v_add_f64 v[4:5], v[20:21], -v[6:7]
	buffer_store_dword v2, off, s[0:3], 0 offset:720
	buffer_store_dword v3, off, s[0:3], 0 offset:724
	;; [unrolled: 1-line block ×4, first 2 shown]
	s_and_saveexec_b64 s[4:5], vcc
	s_cbranch_execz .LBB110_209
; %bb.208:
	v_accvgpr_read_b32 v0, a97
	buffer_load_dword v2, v0, s[0:3], 0 offen
	buffer_load_dword v3, v0, s[0:3], 0 offen offset:4
	buffer_load_dword v4, v0, s[0:3], 0 offen offset:8
	;; [unrolled: 1-line block ×3, first 2 shown]
	v_mov_b32_e32 v0, 0
	v_accvgpr_read_b32 v1, a141
	buffer_store_dword v0, off, s[0:3], 0 offset:704
	buffer_store_dword v0, off, s[0:3], 0 offset:708
	;; [unrolled: 1-line block ×4, first 2 shown]
	s_waitcnt vmcnt(4)
	ds_write_b128 v1, v[2:5]
.LBB110_209:
	s_or_b64 exec, exec, s[4:5]
	s_waitcnt lgkmcnt(0)
	; wave barrier
	s_waitcnt lgkmcnt(0)
	buffer_load_dword v14, off, s[0:3], 0 offset:728
	buffer_load_dword v15, off, s[0:3], 0 offset:732
	;; [unrolled: 1-line block ×16, first 2 shown]
	v_mov_b32_e32 v1, 0
	ds_read_b128 v[2:5], v1 offset:1456
	ds_read_b128 v[6:9], v1 offset:1472
	ds_read_b128 v[10:13], v1 offset:1488
	v_cmp_lt_u32_e32 vcc, 42, v254
	s_waitcnt vmcnt(14) lgkmcnt(2)
	v_mul_f64 v[30:31], v[2:3], v[14:15]
	v_mul_f64 v[14:15], v[4:5], v[14:15]
	s_waitcnt vmcnt(12) lgkmcnt(1)
	v_mul_f64 v[32:33], v[6:7], v[16:17]
	v_mul_f64 v[16:17], v[8:9], v[16:17]
	;; [unrolled: 3-line block ×3, first 2 shown]
	s_waitcnt vmcnt(8)
	v_fma_f64 v[2:3], v[2:3], v[20:21], -v[14:15]
	v_fmac_f64_e32 v[30:31], v[4:5], v[20:21]
	s_waitcnt vmcnt(6)
	v_fma_f64 v[4:5], v[6:7], v[22:23], -v[16:17]
	v_add_f64 v[2:3], v[2:3], 0
	v_fmac_f64_e32 v[32:33], v[8:9], v[22:23]
	s_waitcnt vmcnt(4)
	v_fma_f64 v[6:7], v[10:11], v[24:25], -v[18:19]
	v_add_f64 v[8:9], v[30:31], 0
	v_add_f64 v[2:3], v[2:3], v[4:5]
	v_fmac_f64_e32 v[34:35], v[12:13], v[24:25]
	v_add_f64 v[8:9], v[8:9], v[32:33]
	v_add_f64 v[2:3], v[2:3], v[6:7]
	;; [unrolled: 1-line block ×3, first 2 shown]
	s_waitcnt vmcnt(2)
	v_add_f64 v[2:3], v[26:27], -v[2:3]
	s_waitcnt vmcnt(0)
	v_add_f64 v[4:5], v[28:29], -v[4:5]
	buffer_store_dword v2, off, s[0:3], 0 offset:704
	buffer_store_dword v3, off, s[0:3], 0 offset:708
	;; [unrolled: 1-line block ×4, first 2 shown]
	s_and_saveexec_b64 s[4:5], vcc
	s_cbranch_execz .LBB110_211
; %bb.210:
	v_accvgpr_read_b32 v0, a98
	buffer_load_dword v2, v0, s[0:3], 0 offen
	buffer_load_dword v3, v0, s[0:3], 0 offen offset:4
	buffer_load_dword v4, v0, s[0:3], 0 offen offset:8
	;; [unrolled: 1-line block ×3, first 2 shown]
	v_accvgpr_read_b32 v0, a141
	buffer_store_dword v1, off, s[0:3], 0 offset:688
	buffer_store_dword v1, off, s[0:3], 0 offset:692
	;; [unrolled: 1-line block ×4, first 2 shown]
	s_waitcnt vmcnt(4)
	ds_write_b128 v0, v[2:5]
.LBB110_211:
	s_or_b64 exec, exec, s[4:5]
	s_waitcnt lgkmcnt(0)
	; wave barrier
	s_waitcnt lgkmcnt(0)
	buffer_load_dword v18, off, s[0:3], 0 offset:712
	buffer_load_dword v19, off, s[0:3], 0 offset:716
	;; [unrolled: 1-line block ×20, first 2 shown]
	ds_read_b128 v[2:5], v1 offset:1440
	ds_read_b128 v[6:9], v1 offset:1456
	;; [unrolled: 1-line block ×4, first 2 shown]
	v_cmp_lt_u32_e32 vcc, 41, v254
	s_waitcnt vmcnt(18) lgkmcnt(3)
	v_mul_f64 v[38:39], v[2:3], v[18:19]
	v_mul_f64 v[18:19], v[4:5], v[18:19]
	s_waitcnt vmcnt(16) lgkmcnt(2)
	v_mul_f64 v[40:41], v[6:7], v[20:21]
	v_mul_f64 v[20:21], v[8:9], v[20:21]
	;; [unrolled: 3-line block ×4, first 2 shown]
	s_waitcnt vmcnt(10)
	v_fma_f64 v[2:3], v[2:3], v[26:27], -v[18:19]
	v_fmac_f64_e32 v[38:39], v[4:5], v[26:27]
	s_waitcnt vmcnt(8)
	v_fma_f64 v[4:5], v[6:7], v[28:29], -v[20:21]
	v_add_f64 v[2:3], v[2:3], 0
	v_fmac_f64_e32 v[40:41], v[8:9], v[28:29]
	s_waitcnt vmcnt(6)
	v_fma_f64 v[6:7], v[10:11], v[30:31], -v[22:23]
	v_add_f64 v[10:11], v[38:39], 0
	v_add_f64 v[2:3], v[2:3], v[4:5]
	v_fmac_f64_e32 v[42:43], v[12:13], v[30:31]
	s_waitcnt vmcnt(4)
	v_fma_f64 v[8:9], v[14:15], v[32:33], -v[24:25]
	v_add_f64 v[10:11], v[10:11], v[40:41]
	v_add_f64 v[2:3], v[2:3], v[6:7]
	v_fmac_f64_e32 v[44:45], v[16:17], v[32:33]
	v_add_f64 v[4:5], v[10:11], v[42:43]
	v_add_f64 v[2:3], v[2:3], v[8:9]
	;; [unrolled: 1-line block ×3, first 2 shown]
	s_waitcnt vmcnt(2)
	v_add_f64 v[2:3], v[34:35], -v[2:3]
	s_waitcnt vmcnt(0)
	v_add_f64 v[4:5], v[36:37], -v[4:5]
	buffer_store_dword v2, off, s[0:3], 0 offset:688
	buffer_store_dword v3, off, s[0:3], 0 offset:692
	buffer_store_dword v4, off, s[0:3], 0 offset:696
	buffer_store_dword v5, off, s[0:3], 0 offset:700
	s_and_saveexec_b64 s[4:5], vcc
	s_cbranch_execz .LBB110_213
; %bb.212:
	v_accvgpr_read_b32 v0, a99
	buffer_load_dword v2, v0, s[0:3], 0 offen
	buffer_load_dword v3, v0, s[0:3], 0 offen offset:4
	buffer_load_dword v4, v0, s[0:3], 0 offen offset:8
	;; [unrolled: 1-line block ×3, first 2 shown]
	v_mov_b32_e32 v0, 0
	v_accvgpr_read_b32 v1, a141
	buffer_store_dword v0, off, s[0:3], 0 offset:672
	buffer_store_dword v0, off, s[0:3], 0 offset:676
	;; [unrolled: 1-line block ×4, first 2 shown]
	s_waitcnt vmcnt(4)
	ds_write_b128 v1, v[2:5]
.LBB110_213:
	s_or_b64 exec, exec, s[4:5]
	s_waitcnt lgkmcnt(0)
	; wave barrier
	s_waitcnt lgkmcnt(0)
	buffer_load_dword v22, off, s[0:3], 0 offset:696
	buffer_load_dword v23, off, s[0:3], 0 offset:700
	buffer_load_dword v24, off, s[0:3], 0 offset:712
	buffer_load_dword v25, off, s[0:3], 0 offset:716
	buffer_load_dword v26, off, s[0:3], 0 offset:728
	buffer_load_dword v27, off, s[0:3], 0 offset:732
	buffer_load_dword v28, off, s[0:3], 0 offset:760
	buffer_load_dword v30, off, s[0:3], 0 offset:752
	buffer_load_dword v33, off, s[0:3], 0 offset:748
	buffer_load_dword v32, off, s[0:3], 0 offset:744
	buffer_load_dword v29, off, s[0:3], 0 offset:764
	buffer_load_dword v34, off, s[0:3], 0 offset:688
	buffer_load_dword v35, off, s[0:3], 0 offset:692
	buffer_load_dword v36, off, s[0:3], 0 offset:704
	buffer_load_dword v37, off, s[0:3], 0 offset:708
	buffer_load_dword v38, off, s[0:3], 0 offset:720
	buffer_load_dword v39, off, s[0:3], 0 offset:724
	buffer_load_dword v41, off, s[0:3], 0 offset:740
	buffer_load_dword v40, off, s[0:3], 0 offset:736
	buffer_load_dword v31, off, s[0:3], 0 offset:756
	buffer_load_dword v42, off, s[0:3], 0 offset:672
	buffer_load_dword v43, off, s[0:3], 0 offset:676
	buffer_load_dword v44, off, s[0:3], 0 offset:680
	buffer_load_dword v45, off, s[0:3], 0 offset:684
	v_mov_b32_e32 v1, 0
	ds_read_b128 v[2:5], v1 offset:1424
	ds_read_b128 v[6:9], v1 offset:1440
	;; [unrolled: 1-line block ×5, first 2 shown]
	v_cmp_lt_u32_e32 vcc, 40, v254
	s_waitcnt vmcnt(22) lgkmcnt(4)
	v_mul_f64 v[46:47], v[2:3], v[22:23]
	v_mul_f64 v[22:23], v[4:5], v[22:23]
	s_waitcnt vmcnt(20) lgkmcnt(3)
	v_mul_f64 v[48:49], v[6:7], v[24:25]
	v_mul_f64 v[24:25], v[8:9], v[24:25]
	;; [unrolled: 3-line block ×4, first 2 shown]
	s_waitcnt vmcnt(13) lgkmcnt(0)
	v_mul_f64 v[54:55], v[18:19], v[28:29]
	s_waitcnt vmcnt(11)
	v_fma_f64 v[2:3], v[2:3], v[34:35], -v[22:23]
	v_fmac_f64_e32 v[46:47], v[4:5], v[34:35]
	s_waitcnt vmcnt(9)
	v_fma_f64 v[4:5], v[6:7], v[36:37], -v[24:25]
	v_add_f64 v[2:3], v[2:3], 0
	v_fmac_f64_e32 v[48:49], v[8:9], v[36:37]
	s_waitcnt vmcnt(7)
	v_fmac_f64_e32 v[50:51], v[12:13], v[38:39]
	v_fma_f64 v[6:7], v[10:11], v[38:39], -v[26:27]
	v_add_f64 v[12:13], v[46:47], 0
	v_add_f64 v[2:3], v[2:3], v[4:5]
	v_mul_f64 v[28:29], v[20:21], v[28:29]
	s_waitcnt vmcnt(5)
	v_fma_f64 v[8:9], v[14:15], v[40:41], -v[32:33]
	v_add_f64 v[12:13], v[12:13], v[48:49]
	v_add_f64 v[2:3], v[2:3], v[6:7]
	v_fmac_f64_e32 v[52:53], v[16:17], v[40:41]
	s_waitcnt vmcnt(4)
	v_fma_f64 v[10:11], v[18:19], v[30:31], -v[28:29]
	v_add_f64 v[4:5], v[12:13], v[50:51]
	v_add_f64 v[2:3], v[2:3], v[8:9]
	v_fmac_f64_e32 v[54:55], v[20:21], v[30:31]
	v_add_f64 v[4:5], v[4:5], v[52:53]
	v_add_f64 v[2:3], v[2:3], v[10:11]
	;; [unrolled: 1-line block ×3, first 2 shown]
	s_waitcnt vmcnt(2)
	v_add_f64 v[2:3], v[42:43], -v[2:3]
	s_waitcnt vmcnt(0)
	v_add_f64 v[4:5], v[44:45], -v[4:5]
	buffer_store_dword v3, off, s[0:3], 0 offset:676
	buffer_store_dword v2, off, s[0:3], 0 offset:672
	;; [unrolled: 1-line block ×4, first 2 shown]
	s_and_saveexec_b64 s[4:5], vcc
	s_cbranch_execz .LBB110_215
; %bb.214:
	v_accvgpr_read_b32 v0, a100
	buffer_load_dword v2, v0, s[0:3], 0 offen
	buffer_load_dword v3, v0, s[0:3], 0 offen offset:4
	buffer_load_dword v4, v0, s[0:3], 0 offen offset:8
	;; [unrolled: 1-line block ×3, first 2 shown]
	v_accvgpr_read_b32 v0, a141
	buffer_store_dword v1, off, s[0:3], 0 offset:656
	buffer_store_dword v1, off, s[0:3], 0 offset:660
	;; [unrolled: 1-line block ×4, first 2 shown]
	s_waitcnt vmcnt(4)
	ds_write_b128 v0, v[2:5]
.LBB110_215:
	s_or_b64 exec, exec, s[4:5]
	s_waitcnt lgkmcnt(0)
	; wave barrier
	s_waitcnt lgkmcnt(0)
	buffer_load_dword v26, off, s[0:3], 0 offset:680
	buffer_load_dword v27, off, s[0:3], 0 offset:684
	;; [unrolled: 1-line block ×28, first 2 shown]
	ds_read_b128 v[2:5], v1 offset:1408
	ds_read_b128 v[6:9], v1 offset:1424
	;; [unrolled: 1-line block ×6, first 2 shown]
	v_cmp_lt_u32_e32 vcc, 39, v254
	s_waitcnt vmcnt(26) lgkmcnt(5)
	v_mul_f64 v[54:55], v[2:3], v[26:27]
	v_mul_f64 v[26:27], v[4:5], v[26:27]
	s_waitcnt vmcnt(24) lgkmcnt(4)
	v_mul_f64 v[56:57], v[6:7], v[28:29]
	v_mul_f64 v[28:29], v[8:9], v[28:29]
	;; [unrolled: 3-line block ×4, first 2 shown]
	s_waitcnt vmcnt(17)
	v_mul_f64 v[60:61], v[14:15], v[36:37]
	v_mul_f64 v[36:37], v[16:17], v[36:37]
	s_waitcnt vmcnt(15) lgkmcnt(0)
	v_mul_f64 v[64:65], v[22:23], v[38:39]
	v_mul_f64 v[38:39], v[24:25], v[38:39]
	s_waitcnt vmcnt(14)
	v_fmac_f64_e32 v[62:63], v[20:21], v[34:35]
	s_waitcnt vmcnt(12)
	v_fma_f64 v[2:3], v[2:3], v[40:41], -v[26:27]
	v_fmac_f64_e32 v[54:55], v[4:5], v[40:41]
	s_waitcnt vmcnt(10)
	v_fma_f64 v[4:5], v[6:7], v[42:43], -v[28:29]
	v_add_f64 v[2:3], v[2:3], 0
	v_fmac_f64_e32 v[56:57], v[8:9], v[42:43]
	s_waitcnt vmcnt(8)
	v_fma_f64 v[6:7], v[10:11], v[44:45], -v[30:31]
	s_waitcnt vmcnt(6)
	v_fma_f64 v[8:9], v[14:15], v[46:47], -v[36:37]
	v_add_f64 v[14:15], v[54:55], 0
	v_add_f64 v[2:3], v[2:3], v[4:5]
	v_fmac_f64_e32 v[58:59], v[12:13], v[44:45]
	v_add_f64 v[14:15], v[14:15], v[56:57]
	v_add_f64 v[2:3], v[2:3], v[6:7]
	v_fmac_f64_e32 v[60:61], v[16:17], v[46:47]
	v_fma_f64 v[10:11], v[18:19], v[34:35], -v[32:33]
	v_add_f64 v[4:5], v[14:15], v[58:59]
	v_add_f64 v[2:3], v[2:3], v[8:9]
	s_waitcnt vmcnt(4)
	v_fma_f64 v[12:13], v[22:23], v[48:49], -v[38:39]
	v_add_f64 v[4:5], v[4:5], v[60:61]
	v_add_f64 v[2:3], v[2:3], v[10:11]
	v_fmac_f64_e32 v[64:65], v[24:25], v[48:49]
	v_add_f64 v[4:5], v[4:5], v[62:63]
	v_add_f64 v[2:3], v[2:3], v[12:13]
	v_add_f64 v[4:5], v[4:5], v[64:65]
	s_waitcnt vmcnt(2)
	v_add_f64 v[2:3], v[50:51], -v[2:3]
	s_waitcnt vmcnt(0)
	v_add_f64 v[4:5], v[52:53], -v[4:5]
	buffer_store_dword v3, off, s[0:3], 0 offset:660
	buffer_store_dword v2, off, s[0:3], 0 offset:656
	;; [unrolled: 1-line block ×4, first 2 shown]
	s_and_saveexec_b64 s[4:5], vcc
	s_cbranch_execz .LBB110_217
; %bb.216:
	v_accvgpr_read_b32 v0, a101
	buffer_load_dword v2, v0, s[0:3], 0 offen
	buffer_load_dword v3, v0, s[0:3], 0 offen offset:4
	buffer_load_dword v4, v0, s[0:3], 0 offen offset:8
	;; [unrolled: 1-line block ×3, first 2 shown]
	v_mov_b32_e32 v0, 0
	v_accvgpr_read_b32 v1, a141
	buffer_store_dword v0, off, s[0:3], 0 offset:640
	buffer_store_dword v0, off, s[0:3], 0 offset:644
	;; [unrolled: 1-line block ×4, first 2 shown]
	s_waitcnt vmcnt(4)
	ds_write_b128 v1, v[2:5]
.LBB110_217:
	s_or_b64 exec, exec, s[4:5]
	s_waitcnt lgkmcnt(0)
	; wave barrier
	s_waitcnt lgkmcnt(0)
	buffer_load_dword v30, off, s[0:3], 0 offset:664
	buffer_load_dword v31, off, s[0:3], 0 offset:668
	;; [unrolled: 1-line block ×32, first 2 shown]
	v_mov_b32_e32 v1, 0
	ds_read_b128 v[2:5], v1 offset:1392
	ds_read_b128 v[6:9], v1 offset:1408
	;; [unrolled: 1-line block ×7, first 2 shown]
	v_cmp_lt_u32_e32 vcc, 38, v254
	s_waitcnt vmcnt(30) lgkmcnt(6)
	v_mul_f64 v[62:63], v[2:3], v[30:31]
	v_mul_f64 v[30:31], v[4:5], v[30:31]
	s_waitcnt vmcnt(28) lgkmcnt(5)
	v_mul_f64 v[64:65], v[6:7], v[32:33]
	v_mul_f64 v[32:33], v[8:9], v[32:33]
	;; [unrolled: 3-line block ×4, first 2 shown]
	s_waitcnt vmcnt(21)
	v_mul_f64 v[68:69], v[14:15], v[40:41]
	v_mul_f64 v[40:41], v[16:17], v[40:41]
	s_waitcnt vmcnt(17) lgkmcnt(1)
	v_mul_f64 v[72:73], v[22:23], v[46:47]
	v_mul_f64 v[46:47], v[24:25], v[46:47]
	s_waitcnt vmcnt(16) lgkmcnt(0)
	v_mul_f64 v[74:75], v[26:27], v[42:43]
	v_mul_f64 v[42:43], v[28:29], v[42:43]
	s_waitcnt vmcnt(13)
	v_fma_f64 v[2:3], v[2:3], v[48:49], -v[30:31]
	v_fmac_f64_e32 v[62:63], v[4:5], v[48:49]
	s_waitcnt vmcnt(11)
	v_fma_f64 v[4:5], v[6:7], v[50:51], -v[32:33]
	v_add_f64 v[2:3], v[2:3], 0
	v_fmac_f64_e32 v[64:65], v[8:9], v[50:51]
	s_waitcnt vmcnt(9)
	v_fma_f64 v[6:7], v[10:11], v[52:53], -v[34:35]
	s_waitcnt vmcnt(7)
	v_fmac_f64_e32 v[68:69], v[16:17], v[54:55]
	v_add_f64 v[16:17], v[62:63], 0
	v_add_f64 v[2:3], v[2:3], v[4:5]
	v_fmac_f64_e32 v[66:67], v[12:13], v[52:53]
	v_fma_f64 v[8:9], v[14:15], v[54:55], -v[40:41]
	v_add_f64 v[16:17], v[16:17], v[64:65]
	v_add_f64 v[2:3], v[2:3], v[6:7]
	v_fma_f64 v[10:11], v[18:19], v[38:39], -v[36:37]
	v_add_f64 v[4:5], v[16:17], v[66:67]
	v_add_f64 v[2:3], v[2:3], v[8:9]
	v_fmac_f64_e32 v[70:71], v[20:21], v[38:39]
	s_waitcnt vmcnt(5)
	v_fma_f64 v[12:13], v[22:23], v[56:57], -v[46:47]
	v_add_f64 v[4:5], v[4:5], v[68:69]
	v_add_f64 v[2:3], v[2:3], v[10:11]
	v_fmac_f64_e32 v[72:73], v[24:25], v[56:57]
	s_waitcnt vmcnt(4)
	v_fma_f64 v[14:15], v[26:27], v[44:45], -v[42:43]
	v_add_f64 v[4:5], v[4:5], v[70:71]
	v_add_f64 v[2:3], v[2:3], v[12:13]
	v_fmac_f64_e32 v[74:75], v[28:29], v[44:45]
	v_add_f64 v[4:5], v[4:5], v[72:73]
	v_add_f64 v[2:3], v[2:3], v[14:15]
	;; [unrolled: 1-line block ×3, first 2 shown]
	s_waitcnt vmcnt(2)
	v_add_f64 v[2:3], v[58:59], -v[2:3]
	s_waitcnt vmcnt(0)
	v_add_f64 v[4:5], v[60:61], -v[4:5]
	buffer_store_dword v3, off, s[0:3], 0 offset:644
	buffer_store_dword v2, off, s[0:3], 0 offset:640
	buffer_store_dword v5, off, s[0:3], 0 offset:652
	buffer_store_dword v4, off, s[0:3], 0 offset:648
	s_and_saveexec_b64 s[4:5], vcc
	s_cbranch_execz .LBB110_219
; %bb.218:
	v_accvgpr_read_b32 v0, a102
	buffer_load_dword v2, v0, s[0:3], 0 offen
	buffer_load_dword v3, v0, s[0:3], 0 offen offset:4
	buffer_load_dword v4, v0, s[0:3], 0 offen offset:8
	;; [unrolled: 1-line block ×3, first 2 shown]
	v_accvgpr_read_b32 v0, a141
	buffer_store_dword v1, off, s[0:3], 0 offset:624
	buffer_store_dword v1, off, s[0:3], 0 offset:628
	;; [unrolled: 1-line block ×4, first 2 shown]
	s_waitcnt vmcnt(4)
	ds_write_b128 v0, v[2:5]
.LBB110_219:
	s_or_b64 exec, exec, s[4:5]
	s_waitcnt lgkmcnt(0)
	; wave barrier
	s_waitcnt lgkmcnt(0)
	buffer_load_dword v34, off, s[0:3], 0 offset:648
	buffer_load_dword v35, off, s[0:3], 0 offset:652
	;; [unrolled: 1-line block ×36, first 2 shown]
	ds_read_b128 v[2:5], v1 offset:1376
	ds_read_b128 v[6:9], v1 offset:1392
	;; [unrolled: 1-line block ×8, first 2 shown]
	v_cmp_lt_u32_e32 vcc, 37, v254
	s_waitcnt vmcnt(34) lgkmcnt(7)
	v_mul_f64 v[70:71], v[2:3], v[34:35]
	v_mul_f64 v[34:35], v[4:5], v[34:35]
	s_waitcnt vmcnt(32) lgkmcnt(6)
	v_mul_f64 v[72:73], v[6:7], v[36:37]
	v_mul_f64 v[36:37], v[8:9], v[36:37]
	;; [unrolled: 3-line block ×4, first 2 shown]
	s_waitcnt vmcnt(25)
	v_mul_f64 v[76:77], v[14:15], v[44:45]
	v_mul_f64 v[44:45], v[16:17], v[44:45]
	s_waitcnt vmcnt(23) lgkmcnt(1)
	v_mul_f64 v[82:83], v[26:27], v[46:47]
	v_mul_f64 v[46:47], v[28:29], v[46:47]
	s_waitcnt vmcnt(20)
	v_mul_f64 v[80:81], v[22:23], v[50:51]
	v_mul_f64 v[50:51], v[24:25], v[50:51]
	s_waitcnt vmcnt(18) lgkmcnt(0)
	v_mul_f64 v[84:85], v[30:31], v[52:53]
	s_waitcnt vmcnt(17)
	v_fmac_f64_e32 v[78:79], v[20:21], v[42:43]
	s_waitcnt vmcnt(16)
	v_fmac_f64_e32 v[82:83], v[28:29], v[48:49]
	s_waitcnt vmcnt(14)
	v_fma_f64 v[2:3], v[2:3], v[54:55], -v[34:35]
	v_fmac_f64_e32 v[70:71], v[4:5], v[54:55]
	s_waitcnt vmcnt(12)
	v_fma_f64 v[4:5], v[6:7], v[56:57], -v[36:37]
	v_add_f64 v[2:3], v[2:3], 0
	v_fmac_f64_e32 v[72:73], v[8:9], v[56:57]
	s_waitcnt vmcnt(10)
	v_fma_f64 v[6:7], v[10:11], v[58:59], -v[38:39]
	s_waitcnt vmcnt(8)
	v_fmac_f64_e32 v[76:77], v[16:17], v[60:61]
	v_add_f64 v[16:17], v[70:71], 0
	v_add_f64 v[2:3], v[2:3], v[4:5]
	v_fmac_f64_e32 v[74:75], v[12:13], v[58:59]
	v_fma_f64 v[8:9], v[14:15], v[60:61], -v[44:45]
	v_add_f64 v[16:17], v[16:17], v[72:73]
	v_add_f64 v[2:3], v[2:3], v[6:7]
	v_fma_f64 v[10:11], v[18:19], v[42:43], -v[40:41]
	v_add_f64 v[4:5], v[16:17], v[74:75]
	v_add_f64 v[2:3], v[2:3], v[8:9]
	s_waitcnt vmcnt(6)
	v_fma_f64 v[12:13], v[22:23], v[62:63], -v[50:51]
	v_add_f64 v[4:5], v[4:5], v[76:77]
	v_add_f64 v[2:3], v[2:3], v[10:11]
	v_fmac_f64_e32 v[80:81], v[24:25], v[62:63]
	v_fma_f64 v[14:15], v[26:27], v[48:49], -v[46:47]
	v_add_f64 v[4:5], v[4:5], v[78:79]
	v_add_f64 v[2:3], v[2:3], v[12:13]
	v_mul_f64 v[6:7], v[32:33], v[52:53]
	v_add_f64 v[4:5], v[4:5], v[80:81]
	v_add_f64 v[2:3], v[2:3], v[14:15]
	s_waitcnt vmcnt(4)
	v_fma_f64 v[6:7], v[30:31], v[64:65], -v[6:7]
	v_fmac_f64_e32 v[84:85], v[32:33], v[64:65]
	v_add_f64 v[4:5], v[4:5], v[82:83]
	v_add_f64 v[2:3], v[2:3], v[6:7]
	;; [unrolled: 1-line block ×3, first 2 shown]
	s_waitcnt vmcnt(2)
	v_add_f64 v[2:3], v[66:67], -v[2:3]
	s_waitcnt vmcnt(0)
	v_add_f64 v[4:5], v[68:69], -v[4:5]
	buffer_store_dword v3, off, s[0:3], 0 offset:628
	buffer_store_dword v2, off, s[0:3], 0 offset:624
	;; [unrolled: 1-line block ×4, first 2 shown]
	s_and_saveexec_b64 s[4:5], vcc
	s_cbranch_execz .LBB110_221
; %bb.220:
	v_accvgpr_read_b32 v0, a103
	buffer_load_dword v2, v0, s[0:3], 0 offen
	buffer_load_dword v3, v0, s[0:3], 0 offen offset:4
	buffer_load_dword v4, v0, s[0:3], 0 offen offset:8
	;; [unrolled: 1-line block ×3, first 2 shown]
	v_mov_b32_e32 v0, 0
	v_accvgpr_read_b32 v1, a141
	buffer_store_dword v0, off, s[0:3], 0 offset:608
	buffer_store_dword v0, off, s[0:3], 0 offset:612
	;; [unrolled: 1-line block ×4, first 2 shown]
	s_waitcnt vmcnt(4)
	ds_write_b128 v1, v[2:5]
.LBB110_221:
	s_or_b64 exec, exec, s[4:5]
	s_waitcnt lgkmcnt(0)
	; wave barrier
	s_waitcnt lgkmcnt(0)
	buffer_load_dword v38, off, s[0:3], 0 offset:632
	buffer_load_dword v39, off, s[0:3], 0 offset:636
	;; [unrolled: 1-line block ×40, first 2 shown]
	v_mov_b32_e32 v1, 0
	ds_read_b128 v[2:5], v1 offset:1360
	ds_read_b128 v[6:9], v1 offset:1376
	;; [unrolled: 1-line block ×9, first 2 shown]
	v_cmp_lt_u32_e32 vcc, 36, v254
	s_waitcnt vmcnt(38) lgkmcnt(8)
	v_mul_f64 v[78:79], v[2:3], v[38:39]
	v_mul_f64 v[38:39], v[4:5], v[38:39]
	s_waitcnt vmcnt(36) lgkmcnt(7)
	v_mul_f64 v[80:81], v[6:7], v[40:41]
	v_mul_f64 v[40:41], v[8:9], v[40:41]
	;; [unrolled: 3-line block ×3, first 2 shown]
	s_waitcnt vmcnt(32) lgkmcnt(4)
	v_mul_f64 v[86:87], v[18:19], v[44:45]
	s_waitcnt vmcnt(30)
	v_fmac_f64_e32 v[86:87], v[20:21], v[46:47]
	s_waitcnt vmcnt(28)
	v_mul_f64 v[84:85], v[14:15], v[48:49]
	v_mul_f64 v[48:49], v[16:17], v[48:49]
	s_waitcnt vmcnt(26) lgkmcnt(2)
	v_mul_f64 v[90:91], v[26:27], v[50:51]
	s_waitcnt vmcnt(24)
	v_fmac_f64_e32 v[90:91], v[28:29], v[52:53]
	s_waitcnt vmcnt(22)
	v_mul_f64 v[88:89], v[22:23], v[54:55]
	s_waitcnt vmcnt(18) lgkmcnt(1)
	v_mul_f64 v[92:93], v[30:31], v[60:61]
	s_waitcnt vmcnt(17) lgkmcnt(0)
	v_mul_f64 v[94:95], v[34:35], v[56:57]
	s_waitcnt vmcnt(15)
	v_fma_f64 v[2:3], v[2:3], v[62:63], -v[38:39]
	v_fmac_f64_e32 v[78:79], v[4:5], v[62:63]
	s_waitcnt vmcnt(13)
	v_fma_f64 v[4:5], v[6:7], v[64:65], -v[40:41]
	v_add_f64 v[2:3], v[2:3], 0
	s_waitcnt vmcnt(11)
	v_fma_f64 v[6:7], v[10:11], v[66:67], -v[42:43]
	v_add_f64 v[2:3], v[2:3], v[4:5]
	v_fmac_f64_e32 v[80:81], v[8:9], v[64:65]
	s_waitcnt vmcnt(9)
	v_fma_f64 v[8:9], v[14:15], v[68:69], -v[48:49]
	v_add_f64 v[2:3], v[2:3], v[6:7]
	v_mul_f64 v[6:7], v[20:21], v[44:45]
	v_add_f64 v[2:3], v[2:3], v[8:9]
	v_fma_f64 v[6:7], v[18:19], v[46:47], -v[6:7]
	v_add_f64 v[2:3], v[2:3], v[6:7]
	v_mul_f64 v[6:7], v[24:25], v[54:55]
	v_add_f64 v[10:11], v[78:79], 0
	s_waitcnt vmcnt(7)
	v_fma_f64 v[6:7], v[22:23], v[70:71], -v[6:7]
	v_fmac_f64_e32 v[82:83], v[12:13], v[66:67]
	v_add_f64 v[10:11], v[10:11], v[80:81]
	v_add_f64 v[2:3], v[2:3], v[6:7]
	v_mul_f64 v[6:7], v[28:29], v[50:51]
	v_fmac_f64_e32 v[84:85], v[16:17], v[68:69]
	v_add_f64 v[4:5], v[10:11], v[82:83]
	v_fma_f64 v[6:7], v[26:27], v[52:53], -v[6:7]
	v_add_f64 v[4:5], v[4:5], v[84:85]
	v_add_f64 v[2:3], v[2:3], v[6:7]
	v_mul_f64 v[6:7], v[32:33], v[60:61]
	v_fmac_f64_e32 v[88:89], v[24:25], v[70:71]
	v_add_f64 v[4:5], v[4:5], v[86:87]
	s_waitcnt vmcnt(5)
	v_fma_f64 v[6:7], v[30:31], v[72:73], -v[6:7]
	v_add_f64 v[4:5], v[4:5], v[88:89]
	v_add_f64 v[2:3], v[2:3], v[6:7]
	v_mul_f64 v[6:7], v[36:37], v[56:57]
	v_fmac_f64_e32 v[92:93], v[32:33], v[72:73]
	v_add_f64 v[4:5], v[4:5], v[90:91]
	s_waitcnt vmcnt(4)
	v_fma_f64 v[6:7], v[34:35], v[58:59], -v[6:7]
	v_fmac_f64_e32 v[94:95], v[36:37], v[58:59]
	v_add_f64 v[4:5], v[4:5], v[92:93]
	v_add_f64 v[2:3], v[2:3], v[6:7]
	;; [unrolled: 1-line block ×3, first 2 shown]
	s_waitcnt vmcnt(2)
	v_add_f64 v[2:3], v[74:75], -v[2:3]
	s_waitcnt vmcnt(0)
	v_add_f64 v[4:5], v[76:77], -v[4:5]
	buffer_store_dword v3, off, s[0:3], 0 offset:612
	buffer_store_dword v2, off, s[0:3], 0 offset:608
	;; [unrolled: 1-line block ×4, first 2 shown]
	s_and_saveexec_b64 s[4:5], vcc
	s_cbranch_execz .LBB110_223
; %bb.222:
	v_accvgpr_read_b32 v0, a104
	buffer_load_dword v2, v0, s[0:3], 0 offen
	buffer_load_dword v3, v0, s[0:3], 0 offen offset:4
	buffer_load_dword v4, v0, s[0:3], 0 offen offset:8
	;; [unrolled: 1-line block ×3, first 2 shown]
	v_accvgpr_read_b32 v0, a141
	buffer_store_dword v1, off, s[0:3], 0 offset:592
	buffer_store_dword v1, off, s[0:3], 0 offset:596
	;; [unrolled: 1-line block ×4, first 2 shown]
	s_waitcnt vmcnt(4)
	ds_write_b128 v0, v[2:5]
.LBB110_223:
	s_or_b64 exec, exec, s[4:5]
	s_waitcnt lgkmcnt(0)
	; wave barrier
	s_waitcnt lgkmcnt(0)
	buffer_load_dword v4, off, s[0:3], 0 offset:608
	buffer_load_dword v5, off, s[0:3], 0 offset:612
	;; [unrolled: 1-line block ×44, first 2 shown]
	ds_read_b128 v[6:9], v1 offset:1344
	ds_read_b128 v[10:13], v1 offset:1360
	;; [unrolled: 1-line block ×10, first 2 shown]
	v_cmp_lt_u32_e32 vcc, 35, v254
	s_waitcnt vmcnt(40) lgkmcnt(9)
	v_mul_f64 v[86:87], v[6:7], v[46:47]
	v_mul_f64 v[46:47], v[8:9], v[46:47]
	s_waitcnt vmcnt(38) lgkmcnt(8)
	v_mul_f64 v[88:89], v[10:11], v[48:49]
	v_mul_f64 v[48:49], v[12:13], v[48:49]
	v_fmac_f64_e32 v[86:87], v[8:9], v[4:5]
	v_fma_f64 v[4:5], v[6:7], v[4:5], -v[46:47]
	s_waitcnt vmcnt(36) lgkmcnt(7)
	v_mul_f64 v[90:91], v[14:15], v[2:3]
	v_add_f64 v[4:5], v[4:5], 0
	v_mul_f64 v[2:3], v[16:17], v[2:3]
	v_add_f64 v[8:9], v[86:87], 0
	s_waitcnt vmcnt(30) lgkmcnt(6)
	v_mul_f64 v[92:93], v[18:19], v[54:55]
	s_waitcnt lgkmcnt(5)
	v_mul_f64 v[94:95], v[22:23], v[50:51]
	v_fmac_f64_e32 v[94:95], v[24:25], v[52:53]
	s_waitcnt vmcnt(28) lgkmcnt(3)
	v_mul_f64 v[98:99], v[30:31], v[56:57]
	s_waitcnt vmcnt(26)
	v_fmac_f64_e32 v[98:99], v[32:33], v[58:59]
	s_waitcnt vmcnt(24)
	v_mul_f64 v[96:97], v[26:27], v[60:61]
	s_waitcnt vmcnt(22) lgkmcnt(1)
	v_mul_f64 v[102:103], v[38:39], v[62:63]
	s_waitcnt vmcnt(20)
	v_fmac_f64_e32 v[102:103], v[40:41], v[64:65]
	s_waitcnt vmcnt(18)
	v_mul_f64 v[100:101], v[34:35], v[66:67]
	s_waitcnt vmcnt(16) lgkmcnt(0)
	v_mul_f64 v[104:105], v[42:43], v[68:69]
	s_waitcnt vmcnt(14)
	v_fma_f64 v[6:7], v[10:11], v[70:71], -v[48:49]
	v_add_f64 v[4:5], v[4:5], v[6:7]
	s_waitcnt vmcnt(12)
	v_fma_f64 v[2:3], v[14:15], v[72:73], -v[2:3]
	v_add_f64 v[2:3], v[4:5], v[2:3]
	v_mul_f64 v[4:5], v[20:21], v[54:55]
	s_waitcnt vmcnt(10)
	v_fma_f64 v[4:5], v[18:19], v[74:75], -v[4:5]
	v_add_f64 v[2:3], v[2:3], v[4:5]
	v_mul_f64 v[4:5], v[24:25], v[50:51]
	v_fma_f64 v[4:5], v[22:23], v[52:53], -v[4:5]
	v_add_f64 v[2:3], v[2:3], v[4:5]
	v_mul_f64 v[4:5], v[28:29], v[60:61]
	s_waitcnt vmcnt(8)
	v_fma_f64 v[4:5], v[26:27], v[76:77], -v[4:5]
	v_fmac_f64_e32 v[88:89], v[12:13], v[70:71]
	v_add_f64 v[2:3], v[2:3], v[4:5]
	v_mul_f64 v[4:5], v[32:33], v[56:57]
	v_fmac_f64_e32 v[90:91], v[16:17], v[72:73]
	v_add_f64 v[8:9], v[8:9], v[88:89]
	v_fma_f64 v[4:5], v[30:31], v[58:59], -v[4:5]
	v_fmac_f64_e32 v[92:93], v[20:21], v[74:75]
	v_add_f64 v[6:7], v[8:9], v[90:91]
	v_add_f64 v[2:3], v[2:3], v[4:5]
	v_mul_f64 v[4:5], v[36:37], v[66:67]
	v_add_f64 v[6:7], v[6:7], v[92:93]
	s_waitcnt vmcnt(6)
	v_fma_f64 v[4:5], v[34:35], v[78:79], -v[4:5]
	v_fmac_f64_e32 v[96:97], v[28:29], v[76:77]
	v_add_f64 v[6:7], v[6:7], v[94:95]
	v_add_f64 v[2:3], v[2:3], v[4:5]
	v_mul_f64 v[4:5], v[40:41], v[62:63]
	v_add_f64 v[6:7], v[6:7], v[96:97]
	v_fma_f64 v[4:5], v[38:39], v[64:65], -v[4:5]
	v_fmac_f64_e32 v[100:101], v[36:37], v[78:79]
	v_add_f64 v[6:7], v[6:7], v[98:99]
	v_add_f64 v[2:3], v[2:3], v[4:5]
	v_mul_f64 v[4:5], v[44:45], v[68:69]
	v_add_f64 v[6:7], v[6:7], v[100:101]
	s_waitcnt vmcnt(4)
	v_fma_f64 v[4:5], v[42:43], v[80:81], -v[4:5]
	v_fmac_f64_e32 v[104:105], v[44:45], v[80:81]
	v_add_f64 v[6:7], v[6:7], v[102:103]
	v_add_f64 v[2:3], v[2:3], v[4:5]
	;; [unrolled: 1-line block ×3, first 2 shown]
	s_waitcnt vmcnt(2)
	v_add_f64 v[2:3], v[82:83], -v[2:3]
	s_waitcnt vmcnt(0)
	v_add_f64 v[4:5], v[84:85], -v[6:7]
	buffer_store_dword v3, off, s[0:3], 0 offset:596
	buffer_store_dword v2, off, s[0:3], 0 offset:592
	buffer_store_dword v5, off, s[0:3], 0 offset:604
	buffer_store_dword v4, off, s[0:3], 0 offset:600
	s_and_saveexec_b64 s[4:5], vcc
	s_cbranch_execz .LBB110_225
; %bb.224:
	v_accvgpr_read_b32 v0, a105
	buffer_load_dword v2, v0, s[0:3], 0 offen
	buffer_load_dword v3, v0, s[0:3], 0 offen offset:4
	buffer_load_dword v4, v0, s[0:3], 0 offen offset:8
	;; [unrolled: 1-line block ×3, first 2 shown]
	v_mov_b32_e32 v0, 0
	v_accvgpr_read_b32 v1, a141
	buffer_store_dword v0, off, s[0:3], 0 offset:576
	buffer_store_dword v0, off, s[0:3], 0 offset:580
	;; [unrolled: 1-line block ×4, first 2 shown]
	s_waitcnt vmcnt(4)
	ds_write_b128 v1, v[2:5]
.LBB110_225:
	s_or_b64 exec, exec, s[4:5]
	v_mov_b32_e32 v1, 0
	s_waitcnt lgkmcnt(0)
	; wave barrier
	s_waitcnt lgkmcnt(0)
	ds_read_b128 v[14:17], v1 offset:1328
	ds_read_b128 v[10:13], v1 offset:1344
	;; [unrolled: 1-line block ×4, first 2 shown]
	buffer_load_dword v48, off, s[0:3], 0 offset:576
	buffer_load_dword v49, off, s[0:3], 0 offset:580
	;; [unrolled: 1-line block ×20, first 2 shown]
	v_cmp_lt_u32_e32 vcc, 34, v254
	s_waitcnt vmcnt(12) lgkmcnt(3)
	v_mul_f64 v[18:19], v[14:15], v[56:57]
	v_fmac_f64_e32 v[18:19], v[16:17], v[50:51]
	v_add_f64 v[18:19], v[18:19], 0
	v_mul_f64 v[16:17], v[16:17], v[56:57]
	s_waitcnt vmcnt(8) lgkmcnt(2)
	v_mul_f64 v[20:21], v[10:11], v[58:59]
	v_fmac_f64_e32 v[20:21], v[12:13], v[52:53]
	v_add_f64 v[18:19], v[18:19], v[20:21]
	v_fma_f64 v[14:15], v[14:15], v[50:51], -v[16:17]
	s_waitcnt vmcnt(4) lgkmcnt(1)
	v_mul_f64 v[20:21], v[6:7], v[60:61]
	v_fmac_f64_e32 v[20:21], v[8:9], v[54:55]
	v_add_f64 v[18:19], v[18:19], v[20:21]
	s_waitcnt vmcnt(0) lgkmcnt(0)
	v_mul_f64 v[20:21], v[2:3], v[64:65]
	v_fmac_f64_e32 v[20:21], v[4:5], v[62:63]
	v_add_f64 v[22:23], v[18:19], v[20:21]
	ds_read_b128 v[18:21], v1 offset:1392
	buffer_load_dword v67, off, s[0:3], 0 offset:660
	buffer_load_dword v66, off, s[0:3], 0 offset:656
	;; [unrolled: 1-line block ×4, first 2 shown]
	v_mul_f64 v[12:13], v[12:13], v[58:59]
	v_add_f64 v[14:15], v[14:15], 0
	v_fma_f64 v[10:11], v[10:11], v[52:53], -v[12:13]
	v_mul_f64 v[8:9], v[8:9], v[60:61]
	v_add_f64 v[10:11], v[14:15], v[10:11]
	v_fma_f64 v[6:7], v[6:7], v[54:55], -v[8:9]
	;; [unrolled: 3-line block ×3, first 2 shown]
	v_add_f64 v[2:3], v[6:7], v[2:3]
	s_waitcnt vmcnt(0) lgkmcnt(0)
	v_mul_f64 v[24:25], v[18:19], v[68:69]
	v_fmac_f64_e32 v[24:25], v[20:21], v[66:67]
	v_add_f64 v[26:27], v[22:23], v[24:25]
	ds_read_b128 v[22:25], v1 offset:1408
	buffer_load_dword v71, off, s[0:3], 0 offset:676
	buffer_load_dword v70, off, s[0:3], 0 offset:672
	buffer_load_dword v73, off, s[0:3], 0 offset:684
	buffer_load_dword v72, off, s[0:3], 0 offset:680
	v_mul_f64 v[4:5], v[20:21], v[68:69]
	v_fma_f64 v[4:5], v[18:19], v[66:67], -v[4:5]
	v_add_f64 v[2:3], v[2:3], v[4:5]
	s_waitcnt vmcnt(0) lgkmcnt(0)
	v_mul_f64 v[28:29], v[22:23], v[72:73]
	v_fmac_f64_e32 v[28:29], v[24:25], v[70:71]
	v_add_f64 v[30:31], v[26:27], v[28:29]
	ds_read_b128 v[26:29], v1 offset:1424
	buffer_load_dword v75, off, s[0:3], 0 offset:692
	buffer_load_dword v74, off, s[0:3], 0 offset:688
	buffer_load_dword v77, off, s[0:3], 0 offset:700
	buffer_load_dword v76, off, s[0:3], 0 offset:696
	v_mul_f64 v[4:5], v[24:25], v[72:73]
	v_fma_f64 v[4:5], v[22:23], v[70:71], -v[4:5]
	;; [unrolled: 12-line block ×6, first 2 shown]
	v_add_f64 v[2:3], v[2:3], v[4:5]
	s_waitcnt vmcnt(0) lgkmcnt(0)
	v_mul_f64 v[4:5], v[44:45], v[92:93]
	v_mul_f64 v[96:97], v[42:43], v[92:93]
	v_fma_f64 v[4:5], v[42:43], v[90:91], -v[4:5]
	v_fmac_f64_e32 v[96:97], v[44:45], v[90:91]
	v_add_f64 v[2:3], v[2:3], v[4:5]
	v_add_f64 v[94:95], v[94:95], v[96:97]
	v_add_f64 v[2:3], v[48:49], -v[2:3]
	v_add_f64 v[4:5], v[46:47], -v[94:95]
	buffer_store_dword v3, off, s[0:3], 0 offset:580
	buffer_store_dword v2, off, s[0:3], 0 offset:576
	;; [unrolled: 1-line block ×4, first 2 shown]
	s_and_saveexec_b64 s[4:5], vcc
	s_cbranch_execz .LBB110_227
; %bb.226:
	v_accvgpr_read_b32 v0, a106
	buffer_load_dword v2, v0, s[0:3], 0 offen
	buffer_load_dword v3, v0, s[0:3], 0 offen offset:4
	buffer_load_dword v4, v0, s[0:3], 0 offen offset:8
	buffer_load_dword v5, v0, s[0:3], 0 offen offset:12
	v_accvgpr_read_b32 v0, a141
	buffer_store_dword v1, off, s[0:3], 0 offset:560
	buffer_store_dword v1, off, s[0:3], 0 offset:564
	;; [unrolled: 1-line block ×4, first 2 shown]
	s_waitcnt vmcnt(4)
	ds_write_b128 v0, v[2:5]
.LBB110_227:
	s_or_b64 exec, exec, s[4:5]
	s_waitcnt lgkmcnt(0)
	; wave barrier
	s_waitcnt lgkmcnt(0)
	buffer_load_dword v2, off, s[0:3], 0 offset:576
	buffer_load_dword v3, off, s[0:3], 0 offset:580
	;; [unrolled: 1-line block ×52, first 2 shown]
	ds_read_b128 v[12:15], v1 offset:1312
	ds_read_b128 v[16:19], v1 offset:1328
	;; [unrolled: 1-line block ×10, first 2 shown]
	v_cmp_lt_u32_e32 vcc, 33, v254
	s_waitcnt vmcnt(48) lgkmcnt(9)
	v_mul_f64 v[52:53], v[12:13], v[6:7]
	v_mul_f64 v[6:7], v[14:15], v[6:7]
	v_fmac_f64_e32 v[52:53], v[14:15], v[2:3]
	v_fma_f64 v[2:3], v[12:13], v[2:3], -v[6:7]
	s_waitcnt vmcnt(44) lgkmcnt(8)
	v_mul_f64 v[54:55], v[16:17], v[8:9]
	v_mul_f64 v[6:7], v[18:19], v[8:9]
	v_fmac_f64_e32 v[54:55], v[18:19], v[4:5]
	v_add_f64 v[2:3], v[2:3], 0
	v_fma_f64 v[4:5], v[16:17], v[4:5], -v[6:7]
	v_add_f64 v[2:3], v[2:3], v[4:5]
	s_waitcnt vmcnt(42) lgkmcnt(7)
	v_mul_f64 v[4:5], v[22:23], v[10:11]
	v_mul_f64 v[56:57], v[20:21], v[10:11]
	v_add_f64 v[52:53], v[52:53], 0
	s_waitcnt vmcnt(36) lgkmcnt(6)
	v_mul_f64 v[58:59], v[24:25], v[64:65]
	v_add_f64 v[52:53], v[52:53], v[54:55]
	s_waitcnt lgkmcnt(5)
	v_mul_f64 v[102:103], v[28:29], v[60:61]
	v_fmac_f64_e32 v[102:103], v[30:31], v[62:63]
	s_waitcnt vmcnt(34) lgkmcnt(3)
	v_mul_f64 v[106:107], v[36:37], v[66:67]
	s_waitcnt vmcnt(30)
	v_mul_f64 v[104:105], v[32:33], v[70:71]
	v_fmac_f64_e32 v[106:107], v[38:39], v[68:69]
	s_waitcnt vmcnt(26) lgkmcnt(2)
	v_mul_f64 v[108:109], v[40:41], v[76:77]
	s_waitcnt vmcnt(25) lgkmcnt(1)
	v_mul_f64 v[110:111], v[44:45], v[72:73]
	s_waitcnt vmcnt(23)
	v_fma_f64 v[4:5], v[20:21], v[78:79], -v[4:5]
	v_add_f64 v[2:3], v[2:3], v[4:5]
	v_mul_f64 v[4:5], v[26:27], v[64:65]
	s_waitcnt vmcnt(21)
	v_fma_f64 v[4:5], v[24:25], v[80:81], -v[4:5]
	v_fmac_f64_e32 v[56:57], v[22:23], v[78:79]
	v_add_f64 v[2:3], v[2:3], v[4:5]
	v_mul_f64 v[4:5], v[30:31], v[60:61]
	v_fmac_f64_e32 v[58:59], v[26:27], v[80:81]
	v_add_f64 v[52:53], v[52:53], v[56:57]
	v_fma_f64 v[4:5], v[28:29], v[62:63], -v[4:5]
	v_add_f64 v[52:53], v[52:53], v[58:59]
	v_add_f64 v[2:3], v[2:3], v[4:5]
	v_mul_f64 v[4:5], v[34:35], v[70:71]
	s_waitcnt vmcnt(19)
	v_fmac_f64_e32 v[104:105], v[34:35], v[82:83]
	v_add_f64 v[52:53], v[52:53], v[102:103]
	v_fma_f64 v[4:5], v[32:33], v[82:83], -v[4:5]
	v_add_f64 v[52:53], v[52:53], v[104:105]
	v_add_f64 v[2:3], v[2:3], v[4:5]
	v_mul_f64 v[4:5], v[38:39], v[66:67]
	s_waitcnt vmcnt(17)
	v_fmac_f64_e32 v[108:109], v[42:43], v[84:85]
	v_add_f64 v[52:53], v[52:53], v[106:107]
	v_fma_f64 v[4:5], v[36:37], v[68:69], -v[4:5]
	s_waitcnt vmcnt(16)
	v_fmac_f64_e32 v[110:111], v[46:47], v[74:75]
	v_add_f64 v[52:53], v[52:53], v[108:109]
	v_add_f64 v[2:3], v[2:3], v[4:5]
	v_mul_f64 v[4:5], v[42:43], v[76:77]
	v_add_f64 v[102:103], v[52:53], v[110:111]
	ds_read_b128 v[52:55], v1 offset:1472
	ds_read_b128 v[56:59], v1 offset:1488
	v_fma_f64 v[4:5], v[40:41], v[84:85], -v[4:5]
	v_add_f64 v[2:3], v[2:3], v[4:5]
	v_mul_f64 v[4:5], v[46:47], v[72:73]
	v_fma_f64 v[4:5], v[44:45], v[74:75], -v[4:5]
	v_add_f64 v[2:3], v[2:3], v[4:5]
	s_waitcnt vmcnt(12) lgkmcnt(2)
	v_mul_f64 v[4:5], v[50:51], v[90:91]
	v_mul_f64 v[104:105], v[48:49], v[90:91]
	s_waitcnt vmcnt(10)
	v_fma_f64 v[4:5], v[48:49], v[92:93], -v[4:5]
	v_fmac_f64_e32 v[104:105], v[50:51], v[92:93]
	v_add_f64 v[2:3], v[2:3], v[4:5]
	s_waitcnt vmcnt(8) lgkmcnt(1)
	v_mul_f64 v[4:5], v[54:55], v[86:87]
	v_add_f64 v[102:103], v[102:103], v[104:105]
	v_mul_f64 v[104:105], v[52:53], v[86:87]
	v_fma_f64 v[4:5], v[52:53], v[88:89], -v[4:5]
	v_fmac_f64_e32 v[104:105], v[54:55], v[88:89]
	v_add_f64 v[2:3], v[2:3], v[4:5]
	s_waitcnt vmcnt(6) lgkmcnt(0)
	v_mul_f64 v[4:5], v[58:59], v[94:95]
	v_add_f64 v[102:103], v[102:103], v[104:105]
	v_mul_f64 v[104:105], v[56:57], v[94:95]
	s_waitcnt vmcnt(4)
	v_fma_f64 v[4:5], v[56:57], v[96:97], -v[4:5]
	v_fmac_f64_e32 v[104:105], v[58:59], v[96:97]
	v_add_f64 v[2:3], v[2:3], v[4:5]
	v_add_f64 v[102:103], v[102:103], v[104:105]
	s_waitcnt vmcnt(2)
	v_add_f64 v[2:3], v[98:99], -v[2:3]
	s_waitcnt vmcnt(0)
	v_add_f64 v[4:5], v[100:101], -v[102:103]
	buffer_store_dword v3, off, s[0:3], 0 offset:564
	buffer_store_dword v2, off, s[0:3], 0 offset:560
	;; [unrolled: 1-line block ×4, first 2 shown]
	s_and_saveexec_b64 s[4:5], vcc
	s_cbranch_execz .LBB110_229
; %bb.228:
	v_accvgpr_read_b32 v0, a107
	buffer_load_dword v2, v0, s[0:3], 0 offen
	buffer_load_dword v3, v0, s[0:3], 0 offen offset:4
	buffer_load_dword v4, v0, s[0:3], 0 offen offset:8
	;; [unrolled: 1-line block ×3, first 2 shown]
	v_mov_b32_e32 v0, 0
	v_accvgpr_read_b32 v1, a141
	buffer_store_dword v0, off, s[0:3], 0 offset:544
	buffer_store_dword v0, off, s[0:3], 0 offset:548
	;; [unrolled: 1-line block ×4, first 2 shown]
	s_waitcnt vmcnt(4)
	ds_write_b128 v1, v[2:5]
.LBB110_229:
	s_or_b64 exec, exec, s[4:5]
	s_waitcnt lgkmcnt(0)
	; wave barrier
	s_waitcnt lgkmcnt(0)
	buffer_load_dword v2, off, s[0:3], 0 offset:560
	buffer_load_dword v3, off, s[0:3], 0 offset:564
	;; [unrolled: 1-line block ×56, first 2 shown]
	v_mov_b32_e32 v1, 0
	ds_read_b128 v[30:33], v1 offset:1296
	ds_read_b128 v[34:37], v1 offset:1312
	;; [unrolled: 1-line block ×9, first 2 shown]
	v_cmp_lt_u32_e32 vcc, 32, v254
	s_waitcnt vmcnt(52) lgkmcnt(8)
	v_mul_f64 v[62:63], v[30:31], v[6:7]
	v_fmac_f64_e32 v[62:63], v[32:33], v[2:3]
	v_mul_f64 v[6:7], v[32:33], v[6:7]
	v_add_f64 v[62:63], v[62:63], 0
	s_waitcnt vmcnt(48) lgkmcnt(7)
	v_mul_f64 v[64:65], v[34:35], v[8:9]
	v_fmac_f64_e32 v[64:65], v[36:37], v[4:5]
	s_waitcnt vmcnt(46) lgkmcnt(6)
	v_mul_f64 v[66:67], v[38:39], v[10:11]
	v_fma_f64 v[2:3], v[30:31], v[2:3], -v[6:7]
	v_mul_f64 v[6:7], v[36:37], v[8:9]
	s_waitcnt vmcnt(44) lgkmcnt(5)
	v_mul_f64 v[68:69], v[42:43], v[12:13]
	v_add_f64 v[62:63], v[62:63], v[64:65]
	v_add_f64 v[2:3], v[2:3], 0
	v_fma_f64 v[4:5], v[34:35], v[4:5], -v[6:7]
	v_add_f64 v[2:3], v[2:3], v[4:5]
	v_mul_f64 v[4:5], v[40:41], v[10:11]
	s_waitcnt vmcnt(37) lgkmcnt(4)
	v_mul_f64 v[70:71], v[46:47], v[20:21]
	s_waitcnt lgkmcnt(3)
	v_mul_f64 v[72:73], v[50:51], v[18:19]
	s_waitcnt vmcnt(35)
	v_fmac_f64_e32 v[70:71], v[48:49], v[22:23]
	s_waitcnt lgkmcnt(2)
	v_mul_f64 v[74:75], v[54:55], v[14:15]
	s_waitcnt vmcnt(33)
	v_fmac_f64_e32 v[66:67], v[40:41], v[28:29]
	v_add_f64 v[62:63], v[62:63], v[66:67]
	s_waitcnt vmcnt(31)
	v_fmac_f64_e32 v[68:69], v[44:45], v[26:27]
	v_add_f64 v[62:63], v[62:63], v[68:69]
	v_fma_f64 v[4:5], v[38:39], v[28:29], -v[4:5]
	s_waitcnt vmcnt(29)
	v_fmac_f64_e32 v[72:73], v[52:53], v[24:25]
	v_add_f64 v[62:63], v[62:63], v[70:71]
	v_add_f64 v[2:3], v[2:3], v[4:5]
	v_mul_f64 v[4:5], v[44:45], v[12:13]
	s_waitcnt vmcnt(28)
	v_fmac_f64_e32 v[74:75], v[56:57], v[16:17]
	v_add_f64 v[62:63], v[62:63], v[72:73]
	v_fma_f64 v[4:5], v[42:43], v[26:27], -v[4:5]
	v_add_f64 v[66:67], v[62:63], v[74:75]
	ds_read_b128 v[62:65], v1 offset:1424
	s_waitcnt vmcnt(24) lgkmcnt(2)
	v_mul_f64 v[68:69], v[58:59], v[86:87]
	v_add_f64 v[2:3], v[2:3], v[4:5]
	v_mul_f64 v[4:5], v[48:49], v[20:21]
	s_waitcnt vmcnt(22)
	v_fmac_f64_e32 v[68:69], v[60:61], v[88:89]
	v_fma_f64 v[4:5], v[46:47], v[22:23], -v[4:5]
	v_add_f64 v[70:71], v[66:67], v[68:69]
	ds_read_b128 v[66:69], v1 offset:1440
	v_add_f64 v[2:3], v[2:3], v[4:5]
	v_mul_f64 v[4:5], v[52:53], v[18:19]
	v_fma_f64 v[4:5], v[50:51], v[24:25], -v[4:5]
	v_add_f64 v[2:3], v[2:3], v[4:5]
	v_mul_f64 v[4:5], v[56:57], v[14:15]
	s_waitcnt vmcnt(21) lgkmcnt(1)
	v_mul_f64 v[72:73], v[62:63], v[82:83]
	v_fma_f64 v[4:5], v[54:55], v[16:17], -v[4:5]
	s_waitcnt vmcnt(20)
	v_fmac_f64_e32 v[72:73], v[64:65], v[84:85]
	v_add_f64 v[2:3], v[2:3], v[4:5]
	v_mul_f64 v[4:5], v[60:61], v[86:87]
	v_add_f64 v[74:75], v[70:71], v[72:73]
	ds_read_b128 v[70:73], v1 offset:1456
	s_waitcnt vmcnt(16) lgkmcnt(1)
	v_mul_f64 v[76:77], v[66:67], v[94:95]
	v_fma_f64 v[4:5], v[58:59], v[88:89], -v[4:5]
	s_waitcnt vmcnt(14)
	v_fmac_f64_e32 v[76:77], v[68:69], v[96:97]
	v_add_f64 v[2:3], v[2:3], v[4:5]
	v_mul_f64 v[4:5], v[64:65], v[82:83]
	v_add_f64 v[110:111], v[74:75], v[76:77]
	ds_read_b128 v[74:77], v1 offset:1472
	v_fma_f64 v[4:5], v[62:63], v[84:85], -v[4:5]
	v_add_f64 v[2:3], v[2:3], v[4:5]
	v_mul_f64 v[4:5], v[68:69], v[94:95]
	v_fma_f64 v[4:5], v[66:67], v[96:97], -v[4:5]
	v_add_f64 v[2:3], v[2:3], v[4:5]
	s_waitcnt vmcnt(13) lgkmcnt(1)
	v_mul_f64 v[4:5], v[72:73], v[90:91]
	v_mul_f64 v[112:113], v[70:71], v[90:91]
	s_waitcnt vmcnt(12)
	v_fma_f64 v[4:5], v[70:71], v[92:93], -v[4:5]
	v_fmac_f64_e32 v[112:113], v[72:73], v[92:93]
	v_add_f64 v[2:3], v[2:3], v[4:5]
	s_waitcnt vmcnt(8) lgkmcnt(0)
	v_mul_f64 v[4:5], v[76:77], v[102:103]
	v_add_f64 v[110:111], v[110:111], v[112:113]
	v_mul_f64 v[112:113], v[74:75], v[102:103]
	s_waitcnt vmcnt(6)
	v_fma_f64 v[4:5], v[74:75], v[104:105], -v[4:5]
	v_fmac_f64_e32 v[112:113], v[76:77], v[104:105]
	v_add_f64 v[2:3], v[2:3], v[4:5]
	s_waitcnt vmcnt(5)
	v_mul_f64 v[4:5], v[80:81], v[98:99]
	v_add_f64 v[110:111], v[110:111], v[112:113]
	v_mul_f64 v[112:113], v[78:79], v[98:99]
	s_waitcnt vmcnt(4)
	v_fma_f64 v[4:5], v[78:79], v[100:101], -v[4:5]
	v_fmac_f64_e32 v[112:113], v[80:81], v[100:101]
	v_add_f64 v[2:3], v[2:3], v[4:5]
	v_add_f64 v[110:111], v[110:111], v[112:113]
	s_waitcnt vmcnt(2)
	v_add_f64 v[2:3], v[106:107], -v[2:3]
	s_waitcnt vmcnt(0)
	v_add_f64 v[4:5], v[108:109], -v[110:111]
	buffer_store_dword v3, off, s[0:3], 0 offset:548
	buffer_store_dword v2, off, s[0:3], 0 offset:544
	;; [unrolled: 1-line block ×4, first 2 shown]
	s_and_saveexec_b64 s[4:5], vcc
	s_cbranch_execz .LBB110_231
; %bb.230:
	v_accvgpr_read_b32 v0, a108
	buffer_load_dword v2, v0, s[0:3], 0 offen
	buffer_load_dword v3, v0, s[0:3], 0 offen offset:4
	buffer_load_dword v4, v0, s[0:3], 0 offen offset:8
	;; [unrolled: 1-line block ×3, first 2 shown]
	v_accvgpr_read_b32 v0, a141
	buffer_store_dword v1, off, s[0:3], 0 offset:528
	buffer_store_dword v1, off, s[0:3], 0 offset:532
	;; [unrolled: 1-line block ×4, first 2 shown]
	s_waitcnt vmcnt(4)
	ds_write_b128 v0, v[2:5]
.LBB110_231:
	s_or_b64 exec, exec, s[4:5]
	s_waitcnt lgkmcnt(0)
	; wave barrier
	s_waitcnt lgkmcnt(0)
	buffer_load_dword v2, off, s[0:3], 0 offset:544
	buffer_load_dword v3, off, s[0:3], 0 offset:548
	;; [unrolled: 1-line block ×60, first 2 shown]
	ds_read_b128 v[30:33], v1 offset:1280
	ds_read_b128 v[34:37], v1 offset:1296
	;; [unrolled: 1-line block ×8, first 2 shown]
	v_cmp_lt_u32_e32 vcc, 31, v254
	ds_read_b128 v[82:85], v1 offset:1488
	s_waitcnt vmcnt(56) lgkmcnt(8)
	v_mul_f64 v[62:63], v[30:31], v[6:7]
	v_fmac_f64_e32 v[62:63], v[32:33], v[2:3]
	v_add_f64 v[62:63], v[62:63], 0
	v_mul_f64 v[6:7], v[32:33], v[6:7]
	s_waitcnt vmcnt(52) lgkmcnt(7)
	v_mul_f64 v[64:65], v[34:35], v[8:9]
	v_fmac_f64_e32 v[64:65], v[36:37], v[4:5]
	s_waitcnt vmcnt(50) lgkmcnt(6)
	v_mul_f64 v[66:67], v[38:39], v[10:11]
	v_add_f64 v[62:63], v[62:63], v[64:65]
	s_waitcnt vmcnt(48) lgkmcnt(4)
	v_mul_f64 v[70:71], v[46:47], v[12:13]
	v_fma_f64 v[2:3], v[30:31], v[2:3], -v[6:7]
	s_waitcnt vmcnt(46)
	v_fmac_f64_e32 v[70:71], v[48:49], v[14:15]
	v_mul_f64 v[6:7], v[36:37], v[8:9]
	s_waitcnt vmcnt(44)
	v_mul_f64 v[68:69], v[42:43], v[16:17]
	v_add_f64 v[2:3], v[2:3], 0
	v_fma_f64 v[4:5], v[34:35], v[4:5], -v[6:7]
	v_add_f64 v[2:3], v[2:3], v[4:5]
	s_waitcnt vmcnt(40) lgkmcnt(3)
	v_mul_f64 v[72:73], v[50:51], v[22:23]
	v_mul_f64 v[4:5], v[40:41], v[10:11]
	s_waitcnt vmcnt(38)
	v_fmac_f64_e32 v[66:67], v[40:41], v[28:29]
	v_add_f64 v[62:63], v[62:63], v[66:67]
	s_waitcnt vmcnt(36)
	v_fmac_f64_e32 v[68:69], v[44:45], v[26:27]
	v_add_f64 v[62:63], v[62:63], v[68:69]
	;; [unrolled: 3-line block ×3, first 2 shown]
	s_waitcnt vmcnt(33) lgkmcnt(2)
	v_mul_f64 v[64:65], v[54:55], v[18:19]
	v_add_f64 v[62:63], v[62:63], v[72:73]
	s_waitcnt vmcnt(32)
	v_fmac_f64_e32 v[64:65], v[56:57], v[20:21]
	v_add_f64 v[66:67], v[62:63], v[64:65]
	ds_read_b128 v[62:65], v1 offset:1408
	v_fma_f64 v[4:5], v[38:39], v[28:29], -v[4:5]
	v_add_f64 v[2:3], v[2:3], v[4:5]
	v_mul_f64 v[4:5], v[44:45], v[16:17]
	v_fma_f64 v[4:5], v[42:43], v[26:27], -v[4:5]
	s_waitcnt vmcnt(28) lgkmcnt(2)
	v_mul_f64 v[68:69], v[58:59], v[90:91]
	v_add_f64 v[2:3], v[2:3], v[4:5]
	v_mul_f64 v[4:5], v[48:49], v[12:13]
	s_waitcnt vmcnt(26)
	v_fmac_f64_e32 v[68:69], v[60:61], v[92:93]
	v_fma_f64 v[4:5], v[46:47], v[14:15], -v[4:5]
	v_add_f64 v[70:71], v[66:67], v[68:69]
	ds_read_b128 v[66:69], v1 offset:1424
	s_waitcnt vmcnt(25) lgkmcnt(1)
	v_mul_f64 v[72:73], v[62:63], v[86:87]
	v_add_f64 v[2:3], v[2:3], v[4:5]
	v_mul_f64 v[4:5], v[52:53], v[22:23]
	s_waitcnt vmcnt(24)
	v_fmac_f64_e32 v[72:73], v[64:65], v[88:89]
	v_fma_f64 v[4:5], v[50:51], v[24:25], -v[4:5]
	v_add_f64 v[74:75], v[70:71], v[72:73]
	ds_read_b128 v[70:73], v1 offset:1440
	v_add_f64 v[2:3], v[2:3], v[4:5]
	v_mul_f64 v[4:5], v[56:57], v[18:19]
	v_fma_f64 v[4:5], v[54:55], v[20:21], -v[4:5]
	v_add_f64 v[2:3], v[2:3], v[4:5]
	v_mul_f64 v[4:5], v[60:61], v[90:91]
	s_waitcnt vmcnt(20) lgkmcnt(1)
	v_mul_f64 v[76:77], v[66:67], v[98:99]
	v_fma_f64 v[4:5], v[58:59], v[92:93], -v[4:5]
	s_waitcnt vmcnt(18)
	v_fmac_f64_e32 v[76:77], v[68:69], v[100:101]
	v_add_f64 v[2:3], v[2:3], v[4:5]
	v_mul_f64 v[4:5], v[64:65], v[86:87]
	v_add_f64 v[78:79], v[74:75], v[76:77]
	ds_read_b128 v[74:77], v1 offset:1456
	s_waitcnt vmcnt(17) lgkmcnt(1)
	v_mul_f64 v[80:81], v[70:71], v[94:95]
	v_fma_f64 v[4:5], v[62:63], v[88:89], -v[4:5]
	s_waitcnt vmcnt(16)
	v_fmac_f64_e32 v[80:81], v[72:73], v[96:97]
	v_add_f64 v[2:3], v[2:3], v[4:5]
	v_mul_f64 v[4:5], v[68:69], v[98:99]
	v_add_f64 v[118:119], v[78:79], v[80:81]
	ds_read_b128 v[78:81], v1 offset:1472
	v_fma_f64 v[4:5], v[66:67], v[100:101], -v[4:5]
	v_add_f64 v[2:3], v[2:3], v[4:5]
	v_mul_f64 v[4:5], v[72:73], v[94:95]
	v_fma_f64 v[4:5], v[70:71], v[96:97], -v[4:5]
	v_add_f64 v[2:3], v[2:3], v[4:5]
	s_waitcnt vmcnt(12) lgkmcnt(1)
	v_mul_f64 v[4:5], v[76:77], v[106:107]
	v_mul_f64 v[120:121], v[74:75], v[106:107]
	s_waitcnt vmcnt(10)
	v_fma_f64 v[4:5], v[74:75], v[108:109], -v[4:5]
	v_fmac_f64_e32 v[120:121], v[76:77], v[108:109]
	v_add_f64 v[2:3], v[2:3], v[4:5]
	s_waitcnt vmcnt(9) lgkmcnt(0)
	v_mul_f64 v[4:5], v[80:81], v[102:103]
	v_add_f64 v[118:119], v[118:119], v[120:121]
	v_mul_f64 v[120:121], v[78:79], v[102:103]
	s_waitcnt vmcnt(8)
	v_fma_f64 v[4:5], v[78:79], v[104:105], -v[4:5]
	v_fmac_f64_e32 v[120:121], v[80:81], v[104:105]
	v_add_f64 v[2:3], v[2:3], v[4:5]
	s_waitcnt vmcnt(6)
	v_mul_f64 v[4:5], v[84:85], v[110:111]
	v_add_f64 v[118:119], v[118:119], v[120:121]
	v_mul_f64 v[120:121], v[82:83], v[110:111]
	s_waitcnt vmcnt(4)
	v_fma_f64 v[4:5], v[82:83], v[112:113], -v[4:5]
	v_fmac_f64_e32 v[120:121], v[84:85], v[112:113]
	v_add_f64 v[2:3], v[2:3], v[4:5]
	v_add_f64 v[118:119], v[118:119], v[120:121]
	s_waitcnt vmcnt(2)
	v_add_f64 v[2:3], v[114:115], -v[2:3]
	s_waitcnt vmcnt(0)
	v_add_f64 v[4:5], v[116:117], -v[118:119]
	buffer_store_dword v3, off, s[0:3], 0 offset:532
	buffer_store_dword v2, off, s[0:3], 0 offset:528
	;; [unrolled: 1-line block ×4, first 2 shown]
	s_and_saveexec_b64 s[4:5], vcc
	s_cbranch_execz .LBB110_233
; %bb.232:
	v_accvgpr_read_b32 v0, a109
	buffer_load_dword v2, v0, s[0:3], 0 offen
	buffer_load_dword v3, v0, s[0:3], 0 offen offset:4
	buffer_load_dword v4, v0, s[0:3], 0 offen offset:8
	;; [unrolled: 1-line block ×3, first 2 shown]
	v_mov_b32_e32 v0, 0
	v_accvgpr_read_b32 v1, a141
	buffer_store_dword v0, off, s[0:3], 0 offset:512
	buffer_store_dword v0, off, s[0:3], 0 offset:516
	;; [unrolled: 1-line block ×4, first 2 shown]
	s_waitcnt vmcnt(4)
	ds_write_b128 v1, v[2:5]
.LBB110_233:
	s_or_b64 exec, exec, s[4:5]
	s_waitcnt lgkmcnt(0)
	; wave barrier
	s_waitcnt lgkmcnt(0)
	buffer_load_dword v2, off, s[0:3], 0 offset:528
	buffer_load_dword v3, off, s[0:3], 0 offset:532
	;; [unrolled: 1-line block ×64, first 2 shown]
	v_mov_b32_e32 v1, 0
	ds_read_b128 v[38:41], v1 offset:1264
	ds_read_b128 v[42:45], v1 offset:1280
	;; [unrolled: 1-line block ×7, first 2 shown]
	v_cmp_lt_u32_e32 vcc, 30, v254
	s_waitcnt vmcnt(60) lgkmcnt(6)
	v_mul_f64 v[62:63], v[38:39], v[4:5]
	v_fmac_f64_e32 v[62:63], v[40:41], v[2:3]
	s_waitcnt vmcnt(58) lgkmcnt(5)
	v_mul_f64 v[64:65], v[42:43], v[6:7]
	v_add_f64 v[62:63], v[62:63], 0
	s_waitcnt vmcnt(56) lgkmcnt(4)
	v_mul_f64 v[66:67], v[46:47], v[8:9]
	v_mul_f64 v[4:5], v[40:41], v[4:5]
	s_waitcnt vmcnt(54) lgkmcnt(2)
	v_mul_f64 v[70:71], v[54:55], v[10:11]
	v_fma_f64 v[2:3], v[38:39], v[2:3], -v[4:5]
	v_mul_f64 v[4:5], v[44:45], v[6:7]
	s_waitcnt vmcnt(51)
	v_mul_f64 v[68:69], v[50:51], v[14:15]
	v_add_f64 v[2:3], v[2:3], 0
	s_waitcnt vmcnt(49)
	v_fmac_f64_e32 v[64:65], v[44:45], v[20:21]
	v_add_f64 v[62:63], v[62:63], v[64:65]
	s_waitcnt vmcnt(47)
	v_fmac_f64_e32 v[66:67], v[48:49], v[18:19]
	;; [unrolled: 3-line block ×4, first 2 shown]
	v_add_f64 v[66:67], v[62:63], v[70:71]
	ds_read_b128 v[62:65], v1 offset:1360
	s_waitcnt vmcnt(40) lgkmcnt(2)
	v_mul_f64 v[68:69], v[58:59], v[26:27]
	v_fma_f64 v[4:5], v[42:43], v[20:21], -v[4:5]
	s_waitcnt vmcnt(38)
	v_fmac_f64_e32 v[68:69], v[60:61], v[28:29]
	v_add_f64 v[70:71], v[66:67], v[68:69]
	ds_read_b128 v[66:69], v1 offset:1376
	s_waitcnt vmcnt(37) lgkmcnt(1)
	v_mul_f64 v[72:73], v[62:63], v[22:23]
	s_waitcnt vmcnt(36)
	v_fmac_f64_e32 v[72:73], v[64:65], v[24:25]
	v_add_f64 v[2:3], v[2:3], v[4:5]
	v_mul_f64 v[4:5], v[48:49], v[8:9]
	v_add_f64 v[74:75], v[70:71], v[72:73]
	ds_read_b128 v[70:73], v1 offset:1392
	s_waitcnt vmcnt(32) lgkmcnt(1)
	v_mul_f64 v[76:77], v[66:67], v[34:35]
	v_fma_f64 v[4:5], v[46:47], v[18:19], -v[4:5]
	s_waitcnt vmcnt(30)
	v_fmac_f64_e32 v[76:77], v[68:69], v[36:37]
	v_add_f64 v[2:3], v[2:3], v[4:5]
	v_mul_f64 v[4:5], v[52:53], v[14:15]
	v_add_f64 v[78:79], v[74:75], v[76:77]
	ds_read_b128 v[74:77], v1 offset:1408
	v_fma_f64 v[4:5], v[50:51], v[16:17], -v[4:5]
	v_add_f64 v[2:3], v[2:3], v[4:5]
	v_mul_f64 v[4:5], v[56:57], v[10:11]
	v_fma_f64 v[4:5], v[54:55], v[12:13], -v[4:5]
	s_waitcnt vmcnt(29) lgkmcnt(1)
	v_mul_f64 v[80:81], v[70:71], v[30:31]
	v_add_f64 v[2:3], v[2:3], v[4:5]
	v_mul_f64 v[4:5], v[60:61], v[26:27]
	s_waitcnt vmcnt(28)
	v_fmac_f64_e32 v[80:81], v[72:73], v[32:33]
	v_fma_f64 v[4:5], v[58:59], v[28:29], -v[4:5]
	v_add_f64 v[82:83], v[78:79], v[80:81]
	ds_read_b128 v[78:81], v1 offset:1424
	s_waitcnt vmcnt(24) lgkmcnt(1)
	v_mul_f64 v[84:85], v[74:75], v[102:103]
	v_add_f64 v[2:3], v[2:3], v[4:5]
	v_mul_f64 v[4:5], v[64:65], v[22:23]
	s_waitcnt vmcnt(22)
	v_fmac_f64_e32 v[84:85], v[76:77], v[104:105]
	v_fma_f64 v[4:5], v[62:63], v[24:25], -v[4:5]
	v_add_f64 v[86:87], v[82:83], v[84:85]
	ds_read_b128 v[82:85], v1 offset:1440
	v_add_f64 v[2:3], v[2:3], v[4:5]
	v_mul_f64 v[4:5], v[68:69], v[34:35]
	v_fma_f64 v[4:5], v[66:67], v[36:37], -v[4:5]
	v_add_f64 v[2:3], v[2:3], v[4:5]
	v_mul_f64 v[4:5], v[72:73], v[30:31]
	s_waitcnt vmcnt(21) lgkmcnt(1)
	v_mul_f64 v[88:89], v[78:79], v[98:99]
	v_fma_f64 v[4:5], v[70:71], v[32:33], -v[4:5]
	s_waitcnt vmcnt(20)
	v_fmac_f64_e32 v[88:89], v[80:81], v[100:101]
	v_add_f64 v[2:3], v[2:3], v[4:5]
	v_mul_f64 v[4:5], v[76:77], v[102:103]
	v_add_f64 v[90:91], v[86:87], v[88:89]
	ds_read_b128 v[86:89], v1 offset:1456
	s_waitcnt vmcnt(16) lgkmcnt(1)
	v_mul_f64 v[92:93], v[82:83], v[110:111]
	v_fma_f64 v[4:5], v[74:75], v[104:105], -v[4:5]
	s_waitcnt vmcnt(14)
	v_fmac_f64_e32 v[92:93], v[84:85], v[112:113]
	v_add_f64 v[2:3], v[2:3], v[4:5]
	v_mul_f64 v[4:5], v[80:81], v[98:99]
	v_add_f64 v[126:127], v[90:91], v[92:93]
	ds_read_b128 v[90:93], v1 offset:1472
	v_fma_f64 v[4:5], v[78:79], v[100:101], -v[4:5]
	v_add_f64 v[2:3], v[2:3], v[4:5]
	v_mul_f64 v[4:5], v[84:85], v[110:111]
	v_fma_f64 v[4:5], v[82:83], v[112:113], -v[4:5]
	v_add_f64 v[2:3], v[2:3], v[4:5]
	s_waitcnt vmcnt(13) lgkmcnt(1)
	v_mul_f64 v[4:5], v[88:89], v[106:107]
	v_mul_f64 v[128:129], v[86:87], v[106:107]
	s_waitcnt vmcnt(12)
	v_fma_f64 v[4:5], v[86:87], v[108:109], -v[4:5]
	v_fmac_f64_e32 v[128:129], v[88:89], v[108:109]
	v_add_f64 v[2:3], v[2:3], v[4:5]
	s_waitcnt vmcnt(8) lgkmcnt(0)
	v_mul_f64 v[4:5], v[92:93], v[118:119]
	v_add_f64 v[126:127], v[126:127], v[128:129]
	v_mul_f64 v[128:129], v[90:91], v[118:119]
	s_waitcnt vmcnt(6)
	v_fma_f64 v[4:5], v[90:91], v[120:121], -v[4:5]
	v_fmac_f64_e32 v[128:129], v[92:93], v[120:121]
	v_add_f64 v[2:3], v[2:3], v[4:5]
	s_waitcnt vmcnt(5)
	v_mul_f64 v[4:5], v[96:97], v[114:115]
	v_add_f64 v[126:127], v[126:127], v[128:129]
	v_mul_f64 v[128:129], v[94:95], v[114:115]
	s_waitcnt vmcnt(4)
	v_fma_f64 v[4:5], v[94:95], v[116:117], -v[4:5]
	v_fmac_f64_e32 v[128:129], v[96:97], v[116:117]
	v_add_f64 v[2:3], v[2:3], v[4:5]
	v_add_f64 v[126:127], v[126:127], v[128:129]
	s_waitcnt vmcnt(2)
	v_add_f64 v[2:3], v[122:123], -v[2:3]
	s_waitcnt vmcnt(0)
	v_add_f64 v[4:5], v[124:125], -v[126:127]
	buffer_store_dword v3, off, s[0:3], 0 offset:516
	buffer_store_dword v2, off, s[0:3], 0 offset:512
	buffer_store_dword v5, off, s[0:3], 0 offset:524
	buffer_store_dword v4, off, s[0:3], 0 offset:520
	s_and_saveexec_b64 s[4:5], vcc
	s_cbranch_execz .LBB110_235
; %bb.234:
	v_accvgpr_read_b32 v0, a110
	buffer_load_dword v2, v0, s[0:3], 0 offen
	buffer_load_dword v3, v0, s[0:3], 0 offen offset:4
	buffer_load_dword v4, v0, s[0:3], 0 offen offset:8
	;; [unrolled: 1-line block ×3, first 2 shown]
	v_accvgpr_read_b32 v0, a141
	buffer_store_dword v1, off, s[0:3], 0 offset:496
	buffer_store_dword v1, off, s[0:3], 0 offset:500
	;; [unrolled: 1-line block ×4, first 2 shown]
	s_waitcnt vmcnt(4)
	ds_write_b128 v0, v[2:5]
.LBB110_235:
	s_or_b64 exec, exec, s[4:5]
	s_waitcnt lgkmcnt(0)
	; wave barrier
	s_waitcnt lgkmcnt(0)
	buffer_load_dword v2, off, s[0:3], 0 offset:512
	buffer_load_dword v3, off, s[0:3], 0 offset:516
	buffer_load_dword v4, off, s[0:3], 0 offset:520
	buffer_load_dword v5, off, s[0:3], 0 offset:524
	buffer_load_dword v6, off, s[0:3], 0 offset:552
	buffer_load_dword v7, off, s[0:3], 0 offset:556
	buffer_load_dword v9, off, s[0:3], 0 offset:588
	buffer_load_dword v11, off, s[0:3], 0 offset:580
	buffer_load_dword v13, off, s[0:3], 0 offset:572
	buffer_load_dword v12, off, s[0:3], 0 offset:568
	buffer_load_dword v18, off, s[0:3], 0 offset:536
	buffer_load_dword v19, off, s[0:3], 0 offset:540
	buffer_load_dword v20, off, s[0:3], 0 offset:528
	buffer_load_dword v16, off, s[0:3], 0 offset:544
	buffer_load_dword v17, off, s[0:3], 0 offset:548
	buffer_load_dword v21, off, s[0:3], 0 offset:532
	buffer_load_dword v15, off, s[0:3], 0 offset:564
	buffer_load_dword v14, off, s[0:3], 0 offset:560
	buffer_load_dword v8, off, s[0:3], 0 offset:584
	buffer_load_dword v10, off, s[0:3], 0 offset:576
	buffer_load_dword v23, off, s[0:3], 0 offset:620
	buffer_load_dword v25, off, s[0:3], 0 offset:612
	buffer_load_dword v27, off, s[0:3], 0 offset:604
	buffer_load_dword v26, off, s[0:3], 0 offset:600
	buffer_load_dword v29, off, s[0:3], 0 offset:596
	buffer_load_dword v28, off, s[0:3], 0 offset:592
	buffer_load_dword v22, off, s[0:3], 0 offset:616
	buffer_load_dword v24, off, s[0:3], 0 offset:608
	buffer_load_dword v31, off, s[0:3], 0 offset:652
	buffer_load_dword v33, off, s[0:3], 0 offset:644
	buffer_load_dword v35, off, s[0:3], 0 offset:636
	buffer_load_dword v34, off, s[0:3], 0 offset:632
	buffer_load_dword v37, off, s[0:3], 0 offset:628
	buffer_load_dword v36, off, s[0:3], 0 offset:624
	buffer_load_dword v30, off, s[0:3], 0 offset:648
	buffer_load_dword v32, off, s[0:3], 0 offset:640
	buffer_load_dword v39, off, s[0:3], 0 offset:684
	buffer_load_dword v41, off, s[0:3], 0 offset:676
	buffer_load_dword v43, off, s[0:3], 0 offset:668
	buffer_load_dword v42, off, s[0:3], 0 offset:664
	buffer_load_dword v45, off, s[0:3], 0 offset:660
	buffer_load_dword v44, off, s[0:3], 0 offset:656
	buffer_load_dword v38, off, s[0:3], 0 offset:680
	buffer_load_dword v40, off, s[0:3], 0 offset:672
	buffer_load_dword v111, off, s[0:3], 0 offset:716
	buffer_load_dword v113, off, s[0:3], 0 offset:708
	buffer_load_dword v115, off, s[0:3], 0 offset:700
	buffer_load_dword v114, off, s[0:3], 0 offset:696
	buffer_load_dword v117, off, s[0:3], 0 offset:692
	buffer_load_dword v116, off, s[0:3], 0 offset:688
	buffer_load_dword v110, off, s[0:3], 0 offset:712
	buffer_load_dword v112, off, s[0:3], 0 offset:704
	buffer_load_dword v119, off, s[0:3], 0 offset:748
	buffer_load_dword v121, off, s[0:3], 0 offset:740
	buffer_load_dword v123, off, s[0:3], 0 offset:732
	buffer_load_dword v122, off, s[0:3], 0 offset:728
	buffer_load_dword v125, off, s[0:3], 0 offset:724
	buffer_load_dword v124, off, s[0:3], 0 offset:720
	buffer_load_dword v118, off, s[0:3], 0 offset:744
	buffer_load_dword v120, off, s[0:3], 0 offset:736
	buffer_load_dword v127, off, s[0:3], 0 offset:764
	buffer_load_dword v126, off, s[0:3], 0 offset:760
	buffer_load_dword v129, off, s[0:3], 0 offset:756
	buffer_load_dword v128, off, s[0:3], 0 offset:752
	ds_read_b128 v[46:49], v1 offset:1248
	ds_read_b128 v[50:53], v1 offset:1264
	;; [unrolled: 1-line block ×4, first 2 shown]
	buffer_load_dword v130, off, s[0:3], 0 offset:496
	buffer_load_dword v131, off, s[0:3], 0 offset:500
	;; [unrolled: 1-line block ×4, first 2 shown]
	v_cmp_lt_u32_e32 vcc, 29, v254
	ds_read_b128 v[106:109], v1 offset:1488
	s_waitcnt vmcnt(62) lgkmcnt(4)
	v_mul_f64 v[62:63], v[46:47], v[4:5]
	v_fmac_f64_e32 v[62:63], v[48:49], v[2:3]
	v_add_f64 v[62:63], v[62:63], 0
	s_waitcnt lgkmcnt(2)
	v_mul_f64 v[66:67], v[54:55], v[6:7]
	v_mul_f64 v[4:5], v[48:49], v[4:5]
	v_fma_f64 v[2:3], v[46:47], v[2:3], -v[4:5]
	s_waitcnt vmcnt(58) lgkmcnt(1)
	v_mul_f64 v[68:69], v[58:59], v[12:13]
	v_add_f64 v[2:3], v[2:3], 0
	s_waitcnt vmcnt(56)
	v_mul_f64 v[64:65], v[50:51], v[18:19]
	v_mul_f64 v[4:5], v[52:53], v[18:19]
	s_waitcnt vmcnt(53)
	v_fmac_f64_e32 v[66:67], v[56:57], v[16:17]
	s_waitcnt vmcnt(52)
	v_fmac_f64_e32 v[64:65], v[52:53], v[20:21]
	v_add_f64 v[70:71], v[62:63], v[64:65]
	ds_read_b128 v[62:65], v1 offset:1312
	v_add_f64 v[66:67], v[70:71], v[66:67]
	s_waitcnt vmcnt(50)
	v_fmac_f64_e32 v[68:69], v[60:61], v[14:15]
	v_add_f64 v[70:71], v[66:67], v[68:69]
	ds_read_b128 v[66:69], v1 offset:1328
	s_waitcnt vmcnt(49) lgkmcnt(1)
	v_mul_f64 v[72:73], v[62:63], v[8:9]
	s_waitcnt vmcnt(48)
	v_fmac_f64_e32 v[72:73], v[64:65], v[10:11]
	v_add_f64 v[74:75], v[70:71], v[72:73]
	ds_read_b128 v[70:73], v1 offset:1344
	s_waitcnt vmcnt(44) lgkmcnt(1)
	v_mul_f64 v[76:77], v[66:67], v[26:27]
	;; [unrolled: 6-line block ×3, first 2 shown]
	s_waitcnt vmcnt(40)
	v_fmac_f64_e32 v[80:81], v[72:73], v[24:25]
	v_add_f64 v[82:83], v[78:79], v[80:81]
	ds_read_b128 v[78:81], v1 offset:1376
	v_fma_f64 v[4:5], v[50:51], v[20:21], -v[4:5]
	v_add_f64 v[2:3], v[2:3], v[4:5]
	v_mul_f64 v[4:5], v[56:57], v[6:7]
	s_waitcnt vmcnt(36) lgkmcnt(1)
	v_mul_f64 v[84:85], v[74:75], v[34:35]
	v_fma_f64 v[4:5], v[54:55], v[16:17], -v[4:5]
	s_waitcnt vmcnt(34)
	v_fmac_f64_e32 v[84:85], v[76:77], v[36:37]
	v_add_f64 v[2:3], v[2:3], v[4:5]
	v_mul_f64 v[4:5], v[60:61], v[12:13]
	v_add_f64 v[86:87], v[82:83], v[84:85]
	ds_read_b128 v[82:85], v1 offset:1392
	s_waitcnt vmcnt(33) lgkmcnt(1)
	v_mul_f64 v[88:89], v[78:79], v[30:31]
	v_fma_f64 v[4:5], v[58:59], v[14:15], -v[4:5]
	s_waitcnt vmcnt(32)
	v_fmac_f64_e32 v[88:89], v[80:81], v[32:33]
	v_add_f64 v[2:3], v[2:3], v[4:5]
	v_mul_f64 v[4:5], v[64:65], v[8:9]
	v_add_f64 v[90:91], v[86:87], v[88:89]
	ds_read_b128 v[86:89], v1 offset:1408
	v_fma_f64 v[4:5], v[62:63], v[10:11], -v[4:5]
	v_add_f64 v[2:3], v[2:3], v[4:5]
	v_mul_f64 v[4:5], v[68:69], v[26:27]
	v_fma_f64 v[4:5], v[66:67], v[28:29], -v[4:5]
	s_waitcnt vmcnt(28) lgkmcnt(1)
	v_mul_f64 v[92:93], v[82:83], v[42:43]
	v_add_f64 v[2:3], v[2:3], v[4:5]
	v_mul_f64 v[4:5], v[72:73], v[22:23]
	s_waitcnt vmcnt(26)
	v_fmac_f64_e32 v[92:93], v[84:85], v[44:45]
	v_fma_f64 v[4:5], v[70:71], v[24:25], -v[4:5]
	v_add_f64 v[94:95], v[90:91], v[92:93]
	ds_read_b128 v[90:93], v1 offset:1424
	s_waitcnt vmcnt(25) lgkmcnt(1)
	v_mul_f64 v[96:97], v[86:87], v[38:39]
	v_add_f64 v[2:3], v[2:3], v[4:5]
	v_mul_f64 v[4:5], v[76:77], v[34:35]
	s_waitcnt vmcnt(24)
	v_fmac_f64_e32 v[96:97], v[88:89], v[40:41]
	v_fma_f64 v[4:5], v[74:75], v[36:37], -v[4:5]
	v_add_f64 v[98:99], v[94:95], v[96:97]
	ds_read_b128 v[94:97], v1 offset:1440
	v_add_f64 v[2:3], v[2:3], v[4:5]
	v_mul_f64 v[4:5], v[80:81], v[30:31]
	v_fma_f64 v[4:5], v[78:79], v[32:33], -v[4:5]
	v_add_f64 v[2:3], v[2:3], v[4:5]
	v_mul_f64 v[4:5], v[84:85], v[42:43]
	s_waitcnt vmcnt(20) lgkmcnt(1)
	v_mul_f64 v[100:101], v[90:91], v[114:115]
	v_fma_f64 v[4:5], v[82:83], v[44:45], -v[4:5]
	s_waitcnt vmcnt(18)
	v_fmac_f64_e32 v[100:101], v[92:93], v[116:117]
	v_add_f64 v[2:3], v[2:3], v[4:5]
	v_mul_f64 v[4:5], v[88:89], v[38:39]
	v_add_f64 v[102:103], v[98:99], v[100:101]
	ds_read_b128 v[98:101], v1 offset:1456
	s_waitcnt vmcnt(17) lgkmcnt(1)
	v_mul_f64 v[104:105], v[94:95], v[110:111]
	v_fma_f64 v[4:5], v[86:87], v[40:41], -v[4:5]
	s_waitcnt vmcnt(16)
	v_fmac_f64_e32 v[104:105], v[96:97], v[112:113]
	v_add_f64 v[2:3], v[2:3], v[4:5]
	v_mul_f64 v[4:5], v[92:93], v[114:115]
	v_add_f64 v[134:135], v[102:103], v[104:105]
	ds_read_b128 v[102:105], v1 offset:1472
	v_fma_f64 v[4:5], v[90:91], v[116:117], -v[4:5]
	v_add_f64 v[2:3], v[2:3], v[4:5]
	v_mul_f64 v[4:5], v[96:97], v[110:111]
	v_fma_f64 v[4:5], v[94:95], v[112:113], -v[4:5]
	v_add_f64 v[2:3], v[2:3], v[4:5]
	s_waitcnt vmcnt(12) lgkmcnt(1)
	v_mul_f64 v[4:5], v[100:101], v[122:123]
	v_mul_f64 v[136:137], v[98:99], v[122:123]
	s_waitcnt vmcnt(10)
	v_fma_f64 v[4:5], v[98:99], v[124:125], -v[4:5]
	v_fmac_f64_e32 v[136:137], v[100:101], v[124:125]
	v_add_f64 v[2:3], v[2:3], v[4:5]
	s_waitcnt vmcnt(9) lgkmcnt(0)
	v_mul_f64 v[4:5], v[104:105], v[118:119]
	v_add_f64 v[134:135], v[134:135], v[136:137]
	v_mul_f64 v[136:137], v[102:103], v[118:119]
	s_waitcnt vmcnt(8)
	v_fma_f64 v[4:5], v[102:103], v[120:121], -v[4:5]
	v_fmac_f64_e32 v[136:137], v[104:105], v[120:121]
	v_add_f64 v[2:3], v[2:3], v[4:5]
	s_waitcnt vmcnt(6)
	v_mul_f64 v[4:5], v[108:109], v[126:127]
	v_add_f64 v[134:135], v[134:135], v[136:137]
	v_mul_f64 v[136:137], v[106:107], v[126:127]
	s_waitcnt vmcnt(4)
	v_fma_f64 v[4:5], v[106:107], v[128:129], -v[4:5]
	v_fmac_f64_e32 v[136:137], v[108:109], v[128:129]
	v_add_f64 v[2:3], v[2:3], v[4:5]
	v_add_f64 v[134:135], v[134:135], v[136:137]
	s_waitcnt vmcnt(2)
	v_add_f64 v[2:3], v[130:131], -v[2:3]
	s_waitcnt vmcnt(0)
	v_add_f64 v[4:5], v[132:133], -v[134:135]
	buffer_store_dword v3, off, s[0:3], 0 offset:500
	buffer_store_dword v2, off, s[0:3], 0 offset:496
	;; [unrolled: 1-line block ×4, first 2 shown]
	s_and_saveexec_b64 s[4:5], vcc
	s_cbranch_execz .LBB110_237
; %bb.236:
	v_accvgpr_read_b32 v0, a111
	buffer_load_dword v2, v0, s[0:3], 0 offen
	buffer_load_dword v3, v0, s[0:3], 0 offen offset:4
	buffer_load_dword v4, v0, s[0:3], 0 offen offset:8
	buffer_load_dword v5, v0, s[0:3], 0 offen offset:12
	v_mov_b32_e32 v0, 0
	v_accvgpr_read_b32 v1, a141
	buffer_store_dword v0, off, s[0:3], 0 offset:480
	buffer_store_dword v0, off, s[0:3], 0 offset:484
	;; [unrolled: 1-line block ×4, first 2 shown]
	s_waitcnt vmcnt(4)
	ds_write_b128 v1, v[2:5]
.LBB110_237:
	s_or_b64 exec, exec, s[4:5]
	s_waitcnt lgkmcnt(0)
	; wave barrier
	s_waitcnt lgkmcnt(0)
	buffer_load_dword v2, off, s[0:3], 0 offset:496
	buffer_load_dword v3, off, s[0:3], 0 offset:500
	buffer_load_dword v6, off, s[0:3], 0 offset:504
	buffer_load_dword v7, off, s[0:3], 0 offset:508
	buffer_load_dword v4, off, s[0:3], 0 offset:512
	buffer_load_dword v5, off, s[0:3], 0 offset:516
	buffer_load_dword v10, off, s[0:3], 0 offset:520
	buffer_load_dword v11, off, s[0:3], 0 offset:524
	buffer_load_dword v8, off, s[0:3], 0 offset:528
	buffer_load_dword v9, off, s[0:3], 0 offset:532
	buffer_load_dword v12, off, s[0:3], 0 offset:536
	buffer_load_dword v13, off, s[0:3], 0 offset:540
	buffer_load_dword v15, off, s[0:3], 0 offset:572
	buffer_load_dword v17, off, s[0:3], 0 offset:564
	buffer_load_dword v19, off, s[0:3], 0 offset:556
	buffer_load_dword v18, off, s[0:3], 0 offset:552
	buffer_load_dword v21, off, s[0:3], 0 offset:548
	buffer_load_dword v20, off, s[0:3], 0 offset:544
	buffer_load_dword v14, off, s[0:3], 0 offset:568
	buffer_load_dword v16, off, s[0:3], 0 offset:560
	buffer_load_dword v23, off, s[0:3], 0 offset:604
	buffer_load_dword v25, off, s[0:3], 0 offset:596
	buffer_load_dword v27, off, s[0:3], 0 offset:588
	buffer_load_dword v26, off, s[0:3], 0 offset:584
	buffer_load_dword v29, off, s[0:3], 0 offset:580
	buffer_load_dword v28, off, s[0:3], 0 offset:576
	buffer_load_dword v22, off, s[0:3], 0 offset:600
	buffer_load_dword v24, off, s[0:3], 0 offset:592
	buffer_load_dword v31, off, s[0:3], 0 offset:636
	buffer_load_dword v33, off, s[0:3], 0 offset:628
	buffer_load_dword v35, off, s[0:3], 0 offset:620
	buffer_load_dword v34, off, s[0:3], 0 offset:616
	buffer_load_dword v37, off, s[0:3], 0 offset:612
	buffer_load_dword v36, off, s[0:3], 0 offset:608
	buffer_load_dword v30, off, s[0:3], 0 offset:632
	buffer_load_dword v32, off, s[0:3], 0 offset:624
	buffer_load_dword v39, off, s[0:3], 0 offset:668
	buffer_load_dword v41, off, s[0:3], 0 offset:660
	buffer_load_dword v43, off, s[0:3], 0 offset:652
	buffer_load_dword v42, off, s[0:3], 0 offset:648
	buffer_load_dword v45, off, s[0:3], 0 offset:644
	buffer_load_dword v44, off, s[0:3], 0 offset:640
	buffer_load_dword v38, off, s[0:3], 0 offset:664
	buffer_load_dword v40, off, s[0:3], 0 offset:656
	buffer_load_dword v115, off, s[0:3], 0 offset:700
	buffer_load_dword v117, off, s[0:3], 0 offset:692
	buffer_load_dword v119, off, s[0:3], 0 offset:684
	buffer_load_dword v118, off, s[0:3], 0 offset:680
	buffer_load_dword v121, off, s[0:3], 0 offset:676
	buffer_load_dword v120, off, s[0:3], 0 offset:672
	buffer_load_dword v114, off, s[0:3], 0 offset:696
	buffer_load_dword v116, off, s[0:3], 0 offset:688
	buffer_load_dword v123, off, s[0:3], 0 offset:732
	buffer_load_dword v125, off, s[0:3], 0 offset:724
	buffer_load_dword v127, off, s[0:3], 0 offset:716
	buffer_load_dword v126, off, s[0:3], 0 offset:712
	buffer_load_dword v129, off, s[0:3], 0 offset:708
	buffer_load_dword v128, off, s[0:3], 0 offset:704
	buffer_load_dword v122, off, s[0:3], 0 offset:728
	buffer_load_dword v124, off, s[0:3], 0 offset:720
	buffer_load_dword v131, off, s[0:3], 0 offset:764
	buffer_load_dword v133, off, s[0:3], 0 offset:756
	buffer_load_dword v135, off, s[0:3], 0 offset:748
	buffer_load_dword v134, off, s[0:3], 0 offset:744
	buffer_load_dword v137, off, s[0:3], 0 offset:740
	buffer_load_dword v136, off, s[0:3], 0 offset:736
	buffer_load_dword v130, off, s[0:3], 0 offset:760
	buffer_load_dword v132, off, s[0:3], 0 offset:752
	v_mov_b32_e32 v1, 0
	buffer_load_dword v138, off, s[0:3], 0 offset:480
	buffer_load_dword v139, off, s[0:3], 0 offset:484
	;; [unrolled: 1-line block ×3, first 2 shown]
	ds_read_b128 v[46:49], v1 offset:1232
	ds_read_b128 v[50:53], v1 offset:1248
	buffer_load_dword v141, off, s[0:3], 0 offset:492
	ds_read_b128 v[54:57], v1 offset:1264
	ds_read_b128 v[58:61], v1 offset:1280
	ds_read_b128 v[110:113], v1 offset:1488
	v_cmp_lt_u32_e32 vcc, 28, v254
	s_waitcnt vmcnt(62) lgkmcnt(4)
	v_mul_f64 v[62:63], v[46:47], v[6:7]
	v_fmac_f64_e32 v[62:63], v[48:49], v[2:3]
	v_add_f64 v[62:63], v[62:63], 0
	v_mul_f64 v[6:7], v[48:49], v[6:7]
	s_waitcnt lgkmcnt(3)
	v_mul_f64 v[64:65], v[50:51], v[10:11]
	v_fmac_f64_e32 v[64:65], v[52:53], v[4:5]
	v_add_f64 v[62:63], v[62:63], v[64:65]
	v_fma_f64 v[2:3], v[46:47], v[2:3], -v[6:7]
	s_waitcnt vmcnt(60) lgkmcnt(2)
	v_mul_f64 v[64:65], v[54:55], v[12:13]
	v_fmac_f64_e32 v[64:65], v[56:57], v[8:9]
	v_add_f64 v[66:67], v[62:63], v[64:65]
	ds_read_b128 v[62:65], v1 offset:1296
	s_waitcnt vmcnt(56) lgkmcnt(2)
	v_mul_f64 v[68:69], v[58:59], v[18:19]
	v_mul_f64 v[6:7], v[52:53], v[10:11]
	s_waitcnt vmcnt(54)
	v_fmac_f64_e32 v[68:69], v[60:61], v[20:21]
	v_add_f64 v[70:71], v[66:67], v[68:69]
	ds_read_b128 v[66:69], v1 offset:1312
	s_waitcnt vmcnt(53) lgkmcnt(1)
	v_mul_f64 v[72:73], v[62:63], v[14:15]
	s_waitcnt vmcnt(52)
	v_fmac_f64_e32 v[72:73], v[64:65], v[16:17]
	v_add_f64 v[74:75], v[70:71], v[72:73]
	ds_read_b128 v[70:73], v1 offset:1328
	s_waitcnt vmcnt(48) lgkmcnt(1)
	;; [unrolled: 6-line block ×4, first 2 shown]
	v_mul_f64 v[84:85], v[74:75], v[34:35]
	s_waitcnt vmcnt(38)
	v_fmac_f64_e32 v[84:85], v[76:77], v[36:37]
	v_add_f64 v[2:3], v[2:3], 0
	v_fma_f64 v[4:5], v[50:51], v[4:5], -v[6:7]
	v_add_f64 v[86:87], v[82:83], v[84:85]
	ds_read_b128 v[82:85], v1 offset:1376
	v_add_f64 v[2:3], v[2:3], v[4:5]
	v_mul_f64 v[4:5], v[56:57], v[12:13]
	v_fma_f64 v[4:5], v[54:55], v[8:9], -v[4:5]
	v_add_f64 v[2:3], v[2:3], v[4:5]
	v_mul_f64 v[4:5], v[60:61], v[18:19]
	s_waitcnt vmcnt(37) lgkmcnt(1)
	v_mul_f64 v[88:89], v[78:79], v[30:31]
	v_fma_f64 v[4:5], v[58:59], v[20:21], -v[4:5]
	s_waitcnt vmcnt(36)
	v_fmac_f64_e32 v[88:89], v[80:81], v[32:33]
	v_add_f64 v[2:3], v[2:3], v[4:5]
	v_mul_f64 v[4:5], v[64:65], v[14:15]
	v_add_f64 v[90:91], v[86:87], v[88:89]
	ds_read_b128 v[86:89], v1 offset:1392
	s_waitcnt vmcnt(32) lgkmcnt(1)
	v_mul_f64 v[92:93], v[82:83], v[42:43]
	v_fma_f64 v[4:5], v[62:63], v[16:17], -v[4:5]
	s_waitcnt vmcnt(30)
	v_fmac_f64_e32 v[92:93], v[84:85], v[44:45]
	v_add_f64 v[2:3], v[2:3], v[4:5]
	v_mul_f64 v[4:5], v[68:69], v[26:27]
	v_add_f64 v[94:95], v[90:91], v[92:93]
	ds_read_b128 v[90:93], v1 offset:1408
	v_fma_f64 v[4:5], v[66:67], v[28:29], -v[4:5]
	v_add_f64 v[2:3], v[2:3], v[4:5]
	v_mul_f64 v[4:5], v[72:73], v[22:23]
	v_fma_f64 v[4:5], v[70:71], v[24:25], -v[4:5]
	s_waitcnt vmcnt(29) lgkmcnt(1)
	v_mul_f64 v[96:97], v[86:87], v[38:39]
	v_add_f64 v[2:3], v[2:3], v[4:5]
	v_mul_f64 v[4:5], v[76:77], v[34:35]
	s_waitcnt vmcnt(28)
	v_fmac_f64_e32 v[96:97], v[88:89], v[40:41]
	v_fma_f64 v[4:5], v[74:75], v[36:37], -v[4:5]
	v_add_f64 v[98:99], v[94:95], v[96:97]
	ds_read_b128 v[94:97], v1 offset:1424
	s_waitcnt vmcnt(24) lgkmcnt(1)
	v_mul_f64 v[100:101], v[90:91], v[118:119]
	v_add_f64 v[2:3], v[2:3], v[4:5]
	v_mul_f64 v[4:5], v[80:81], v[30:31]
	s_waitcnt vmcnt(22)
	v_fmac_f64_e32 v[100:101], v[92:93], v[120:121]
	v_fma_f64 v[4:5], v[78:79], v[32:33], -v[4:5]
	v_add_f64 v[102:103], v[98:99], v[100:101]
	ds_read_b128 v[98:101], v1 offset:1440
	v_add_f64 v[2:3], v[2:3], v[4:5]
	v_mul_f64 v[4:5], v[84:85], v[42:43]
	v_fma_f64 v[4:5], v[82:83], v[44:45], -v[4:5]
	v_add_f64 v[2:3], v[2:3], v[4:5]
	v_mul_f64 v[4:5], v[88:89], v[38:39]
	s_waitcnt vmcnt(21) lgkmcnt(1)
	v_mul_f64 v[104:105], v[94:95], v[114:115]
	v_fma_f64 v[4:5], v[86:87], v[40:41], -v[4:5]
	s_waitcnt vmcnt(20)
	v_fmac_f64_e32 v[104:105], v[96:97], v[116:117]
	v_add_f64 v[2:3], v[2:3], v[4:5]
	v_mul_f64 v[4:5], v[92:93], v[118:119]
	v_add_f64 v[106:107], v[102:103], v[104:105]
	ds_read_b128 v[102:105], v1 offset:1456
	s_waitcnt vmcnt(16) lgkmcnt(1)
	v_mul_f64 v[108:109], v[98:99], v[126:127]
	v_fma_f64 v[4:5], v[90:91], v[120:121], -v[4:5]
	s_waitcnt vmcnt(14)
	v_fmac_f64_e32 v[108:109], v[100:101], v[128:129]
	v_add_f64 v[2:3], v[2:3], v[4:5]
	v_mul_f64 v[4:5], v[96:97], v[114:115]
	v_add_f64 v[142:143], v[106:107], v[108:109]
	ds_read_b128 v[106:109], v1 offset:1472
	v_fma_f64 v[4:5], v[94:95], v[116:117], -v[4:5]
	v_add_f64 v[2:3], v[2:3], v[4:5]
	v_mul_f64 v[4:5], v[100:101], v[126:127]
	v_fma_f64 v[4:5], v[98:99], v[128:129], -v[4:5]
	v_add_f64 v[2:3], v[2:3], v[4:5]
	s_waitcnt vmcnt(13) lgkmcnt(1)
	v_mul_f64 v[4:5], v[104:105], v[122:123]
	v_mul_f64 v[144:145], v[102:103], v[122:123]
	s_waitcnt vmcnt(12)
	v_fma_f64 v[4:5], v[102:103], v[124:125], -v[4:5]
	v_fmac_f64_e32 v[144:145], v[104:105], v[124:125]
	v_add_f64 v[2:3], v[2:3], v[4:5]
	s_waitcnt vmcnt(8) lgkmcnt(0)
	v_mul_f64 v[4:5], v[108:109], v[134:135]
	v_add_f64 v[142:143], v[142:143], v[144:145]
	v_mul_f64 v[144:145], v[106:107], v[134:135]
	s_waitcnt vmcnt(6)
	v_fma_f64 v[4:5], v[106:107], v[136:137], -v[4:5]
	v_fmac_f64_e32 v[144:145], v[108:109], v[136:137]
	v_add_f64 v[2:3], v[2:3], v[4:5]
	s_waitcnt vmcnt(5)
	v_mul_f64 v[4:5], v[112:113], v[130:131]
	v_add_f64 v[142:143], v[142:143], v[144:145]
	v_mul_f64 v[144:145], v[110:111], v[130:131]
	s_waitcnt vmcnt(4)
	v_fma_f64 v[4:5], v[110:111], v[132:133], -v[4:5]
	v_fmac_f64_e32 v[144:145], v[112:113], v[132:133]
	v_add_f64 v[2:3], v[2:3], v[4:5]
	v_add_f64 v[142:143], v[142:143], v[144:145]
	s_waitcnt vmcnt(2)
	v_add_f64 v[2:3], v[138:139], -v[2:3]
	s_waitcnt vmcnt(0)
	v_add_f64 v[4:5], v[140:141], -v[142:143]
	buffer_store_dword v3, off, s[0:3], 0 offset:484
	buffer_store_dword v2, off, s[0:3], 0 offset:480
	;; [unrolled: 1-line block ×4, first 2 shown]
	s_and_saveexec_b64 s[4:5], vcc
	s_cbranch_execz .LBB110_239
; %bb.238:
	v_accvgpr_read_b32 v0, a112
	buffer_load_dword v2, v0, s[0:3], 0 offen
	buffer_load_dword v3, v0, s[0:3], 0 offen offset:4
	buffer_load_dword v4, v0, s[0:3], 0 offen offset:8
	;; [unrolled: 1-line block ×3, first 2 shown]
	v_accvgpr_read_b32 v0, a141
	buffer_store_dword v1, off, s[0:3], 0 offset:464
	buffer_store_dword v1, off, s[0:3], 0 offset:468
	;; [unrolled: 1-line block ×4, first 2 shown]
	s_waitcnt vmcnt(4)
	ds_write_b128 v0, v[2:5]
.LBB110_239:
	s_or_b64 exec, exec, s[4:5]
	s_waitcnt lgkmcnt(0)
	; wave barrier
	s_waitcnt lgkmcnt(0)
	buffer_load_dword v2, off, s[0:3], 0 offset:480
	buffer_load_dword v3, off, s[0:3], 0 offset:484
	;; [unrolled: 1-line block ×72, first 2 shown]
	ds_read_b128 v[52:55], v1 offset:1216
	buffer_load_dword v146, off, s[0:3], 0 offset:464
	buffer_load_dword v147, off, s[0:3], 0 offset:468
	;; [unrolled: 1-line block ×4, first 2 shown]
	ds_read_b128 v[56:59], v1 offset:1232
	ds_read_b128 v[60:63], v1 offset:1248
	;; [unrolled: 1-line block ×3, first 2 shown]
	v_cmp_lt_u32_e32 vcc, 27, v254
	ds_read_b128 v[124:127], v1 offset:1488
	s_waitcnt vmcnt(62) lgkmcnt(4)
	v_mul_f64 v[68:69], v[52:53], v[8:9]
	v_fmac_f64_e32 v[68:69], v[54:55], v[2:3]
	v_add_f64 v[68:69], v[68:69], 0
	v_mul_f64 v[8:9], v[54:55], v[8:9]
	s_waitcnt lgkmcnt(3)
	v_mul_f64 v[70:71], v[56:57], v[10:11]
	v_fmac_f64_e32 v[70:71], v[58:59], v[4:5]
	v_add_f64 v[68:69], v[68:69], v[70:71]
	v_fma_f64 v[2:3], v[52:53], v[2:3], -v[8:9]
	s_waitcnt lgkmcnt(2)
	v_mul_f64 v[70:71], v[60:61], v[12:13]
	v_fmac_f64_e32 v[70:71], v[62:63], v[6:7]
	v_add_f64 v[72:73], v[68:69], v[70:71]
	ds_read_b128 v[68:71], v1 offset:1280
	s_waitcnt vmcnt(60) lgkmcnt(2)
	v_mul_f64 v[74:75], v[64:65], v[18:19]
	v_mul_f64 v[8:9], v[58:59], v[10:11]
	s_waitcnt vmcnt(58)
	v_fmac_f64_e32 v[74:75], v[66:67], v[20:21]
	v_add_f64 v[76:77], v[72:73], v[74:75]
	ds_read_b128 v[72:75], v1 offset:1296
	s_waitcnt vmcnt(57) lgkmcnt(1)
	v_mul_f64 v[78:79], v[68:69], v[14:15]
	s_waitcnt vmcnt(56)
	v_fmac_f64_e32 v[78:79], v[70:71], v[16:17]
	v_add_f64 v[80:81], v[76:77], v[78:79]
	ds_read_b128 v[76:79], v1 offset:1312
	s_waitcnt vmcnt(52) lgkmcnt(1)
	;; [unrolled: 6-line block ×4, first 2 shown]
	v_mul_f64 v[90:91], v[80:81], v[34:35]
	s_waitcnt vmcnt(42)
	v_fmac_f64_e32 v[90:91], v[82:83], v[36:37]
	v_add_f64 v[2:3], v[2:3], 0
	v_fma_f64 v[4:5], v[56:57], v[4:5], -v[8:9]
	v_add_f64 v[92:93], v[88:89], v[90:91]
	ds_read_b128 v[88:91], v1 offset:1360
	s_waitcnt vmcnt(41) lgkmcnt(1)
	v_mul_f64 v[94:95], v[84:85], v[30:31]
	v_add_f64 v[2:3], v[2:3], v[4:5]
	v_mul_f64 v[4:5], v[62:63], v[12:13]
	s_waitcnt vmcnt(40)
	v_fmac_f64_e32 v[94:95], v[86:87], v[32:33]
	v_fma_f64 v[4:5], v[60:61], v[6:7], -v[4:5]
	v_add_f64 v[96:97], v[92:93], v[94:95]
	ds_read_b128 v[92:95], v1 offset:1376
	v_add_f64 v[2:3], v[2:3], v[4:5]
	v_mul_f64 v[4:5], v[66:67], v[18:19]
	v_fma_f64 v[4:5], v[64:65], v[20:21], -v[4:5]
	v_add_f64 v[2:3], v[2:3], v[4:5]
	v_mul_f64 v[4:5], v[70:71], v[14:15]
	s_waitcnt vmcnt(36) lgkmcnt(1)
	v_mul_f64 v[98:99], v[88:89], v[42:43]
	v_fma_f64 v[4:5], v[68:69], v[16:17], -v[4:5]
	s_waitcnt vmcnt(34)
	v_fmac_f64_e32 v[98:99], v[90:91], v[44:45]
	v_add_f64 v[2:3], v[2:3], v[4:5]
	v_mul_f64 v[4:5], v[74:75], v[26:27]
	v_add_f64 v[100:101], v[96:97], v[98:99]
	ds_read_b128 v[96:99], v1 offset:1392
	s_waitcnt vmcnt(33) lgkmcnt(1)
	v_mul_f64 v[102:103], v[92:93], v[38:39]
	v_fma_f64 v[4:5], v[72:73], v[28:29], -v[4:5]
	s_waitcnt vmcnt(32)
	v_fmac_f64_e32 v[102:103], v[94:95], v[40:41]
	v_add_f64 v[2:3], v[2:3], v[4:5]
	v_mul_f64 v[4:5], v[78:79], v[22:23]
	v_add_f64 v[104:105], v[100:101], v[102:103]
	ds_read_b128 v[100:103], v1 offset:1408
	v_fma_f64 v[4:5], v[76:77], v[24:25], -v[4:5]
	v_add_f64 v[2:3], v[2:3], v[4:5]
	v_mul_f64 v[4:5], v[82:83], v[34:35]
	v_fma_f64 v[4:5], v[80:81], v[36:37], -v[4:5]
	s_waitcnt vmcnt(28) lgkmcnt(1)
	v_mul_f64 v[106:107], v[96:97], v[50:51]
	v_add_f64 v[2:3], v[2:3], v[4:5]
	v_mul_f64 v[4:5], v[86:87], v[30:31]
	s_waitcnt vmcnt(26)
	v_fmac_f64_e32 v[106:107], v[98:99], v[116:117]
	v_fma_f64 v[4:5], v[84:85], v[32:33], -v[4:5]
	v_add_f64 v[108:109], v[104:105], v[106:107]
	ds_read_b128 v[104:107], v1 offset:1424
	s_waitcnt vmcnt(25) lgkmcnt(1)
	v_mul_f64 v[110:111], v[100:101], v[46:47]
	v_add_f64 v[2:3], v[2:3], v[4:5]
	v_mul_f64 v[4:5], v[90:91], v[42:43]
	s_waitcnt vmcnt(24)
	v_fmac_f64_e32 v[110:111], v[102:103], v[48:49]
	v_fma_f64 v[4:5], v[88:89], v[44:45], -v[4:5]
	v_add_f64 v[112:113], v[108:109], v[110:111]
	ds_read_b128 v[108:111], v1 offset:1440
	v_add_f64 v[2:3], v[2:3], v[4:5]
	v_mul_f64 v[4:5], v[94:95], v[38:39]
	v_fma_f64 v[4:5], v[92:93], v[40:41], -v[4:5]
	v_add_f64 v[2:3], v[2:3], v[4:5]
	v_mul_f64 v[4:5], v[98:99], v[50:51]
	s_waitcnt vmcnt(20) lgkmcnt(1)
	v_mul_f64 v[114:115], v[104:105], v[130:131]
	v_fma_f64 v[4:5], v[96:97], v[116:117], -v[4:5]
	s_waitcnt vmcnt(18)
	v_fmac_f64_e32 v[114:115], v[106:107], v[132:133]
	v_add_f64 v[2:3], v[2:3], v[4:5]
	v_mul_f64 v[4:5], v[102:103], v[46:47]
	v_add_f64 v[120:121], v[112:113], v[114:115]
	ds_read_b128 v[112:115], v1 offset:1456
	s_waitcnt vmcnt(17) lgkmcnt(1)
	v_mul_f64 v[122:123], v[108:109], v[118:119]
	v_fma_f64 v[4:5], v[100:101], v[48:49], -v[4:5]
	s_waitcnt vmcnt(16)
	v_fmac_f64_e32 v[122:123], v[110:111], v[128:129]
	v_add_f64 v[2:3], v[2:3], v[4:5]
	v_mul_f64 v[4:5], v[106:107], v[130:131]
	v_add_f64 v[150:151], v[120:121], v[122:123]
	ds_read_b128 v[120:123], v1 offset:1472
	v_fma_f64 v[4:5], v[104:105], v[132:133], -v[4:5]
	v_add_f64 v[2:3], v[2:3], v[4:5]
	v_mul_f64 v[4:5], v[110:111], v[118:119]
	v_fma_f64 v[4:5], v[108:109], v[128:129], -v[4:5]
	v_add_f64 v[2:3], v[2:3], v[4:5]
	s_waitcnt vmcnt(12) lgkmcnt(1)
	v_mul_f64 v[4:5], v[114:115], v[138:139]
	v_mul_f64 v[152:153], v[112:113], v[138:139]
	s_waitcnt vmcnt(10)
	v_fma_f64 v[4:5], v[112:113], v[140:141], -v[4:5]
	v_fmac_f64_e32 v[152:153], v[114:115], v[140:141]
	v_add_f64 v[2:3], v[2:3], v[4:5]
	s_waitcnt vmcnt(9) lgkmcnt(0)
	v_mul_f64 v[4:5], v[122:123], v[134:135]
	v_add_f64 v[150:151], v[150:151], v[152:153]
	v_mul_f64 v[152:153], v[120:121], v[134:135]
	s_waitcnt vmcnt(8)
	v_fma_f64 v[4:5], v[120:121], v[136:137], -v[4:5]
	v_fmac_f64_e32 v[152:153], v[122:123], v[136:137]
	v_add_f64 v[2:3], v[2:3], v[4:5]
	s_waitcnt vmcnt(6)
	v_mul_f64 v[4:5], v[126:127], v[142:143]
	v_add_f64 v[150:151], v[150:151], v[152:153]
	v_mul_f64 v[152:153], v[124:125], v[142:143]
	s_waitcnt vmcnt(4)
	v_fma_f64 v[4:5], v[124:125], v[144:145], -v[4:5]
	v_fmac_f64_e32 v[152:153], v[126:127], v[144:145]
	v_add_f64 v[2:3], v[2:3], v[4:5]
	v_add_f64 v[150:151], v[150:151], v[152:153]
	s_waitcnt vmcnt(2)
	v_add_f64 v[2:3], v[146:147], -v[2:3]
	s_waitcnt vmcnt(0)
	v_add_f64 v[4:5], v[148:149], -v[150:151]
	buffer_store_dword v3, off, s[0:3], 0 offset:468
	buffer_store_dword v2, off, s[0:3], 0 offset:464
	buffer_store_dword v5, off, s[0:3], 0 offset:476
	buffer_store_dword v4, off, s[0:3], 0 offset:472
	s_and_saveexec_b64 s[4:5], vcc
	s_cbranch_execz .LBB110_241
; %bb.240:
	v_accvgpr_read_b32 v0, a113
	buffer_load_dword v2, v0, s[0:3], 0 offen
	buffer_load_dword v3, v0, s[0:3], 0 offen offset:4
	buffer_load_dword v4, v0, s[0:3], 0 offen offset:8
	;; [unrolled: 1-line block ×3, first 2 shown]
	v_mov_b32_e32 v0, 0
	v_accvgpr_read_b32 v1, a141
	buffer_store_dword v0, off, s[0:3], 0 offset:448
	buffer_store_dword v0, off, s[0:3], 0 offset:452
	;; [unrolled: 1-line block ×4, first 2 shown]
	s_waitcnt vmcnt(4)
	ds_write_b128 v1, v[2:5]
.LBB110_241:
	s_or_b64 exec, exec, s[4:5]
	s_waitcnt lgkmcnt(0)
	; wave barrier
	s_waitcnt lgkmcnt(0)
	buffer_load_dword v2, off, s[0:3], 0 offset:464
	buffer_load_dword v3, off, s[0:3], 0 offset:468
	;; [unrolled: 1-line block ×76, first 2 shown]
	v_mov_b32_e32 v1, 0
	ds_read_b128 v[54:57], v1 offset:1200
	buffer_load_dword v154, off, s[0:3], 0 offset:448
	buffer_load_dword v155, off, s[0:3], 0 offset:452
	;; [unrolled: 1-line block ×4, first 2 shown]
	ds_read_b128 v[58:61], v1 offset:1216
	ds_read_b128 v[62:65], v1 offset:1232
	;; [unrolled: 1-line block ×4, first 2 shown]
	v_cmp_lt_u32_e32 vcc, 26, v254
	s_waitcnt vmcnt(62) lgkmcnt(4)
	v_mul_f64 v[70:71], v[54:55], v[8:9]
	v_fmac_f64_e32 v[70:71], v[56:57], v[2:3]
	v_add_f64 v[70:71], v[70:71], 0
	v_mul_f64 v[8:9], v[56:57], v[8:9]
	s_waitcnt lgkmcnt(3)
	v_mul_f64 v[72:73], v[58:59], v[10:11]
	v_fmac_f64_e32 v[72:73], v[60:61], v[4:5]
	v_add_f64 v[70:71], v[70:71], v[72:73]
	v_fma_f64 v[2:3], v[54:55], v[2:3], -v[8:9]
	s_waitcnt lgkmcnt(2)
	v_mul_f64 v[72:73], v[62:63], v[12:13]
	v_fmac_f64_e32 v[72:73], v[64:65], v[6:7]
	v_add_f64 v[74:75], v[70:71], v[72:73]
	ds_read_b128 v[70:73], v1 offset:1264
	s_waitcnt lgkmcnt(2)
	v_mul_f64 v[76:77], v[66:67], v[18:19]
	v_mul_f64 v[8:9], v[60:61], v[10:11]
	v_fmac_f64_e32 v[76:77], v[68:69], v[20:21]
	v_add_f64 v[78:79], v[74:75], v[76:77]
	ds_read_b128 v[74:77], v1 offset:1280
	s_waitcnt vmcnt(61) lgkmcnt(1)
	v_mul_f64 v[80:81], v[70:71], v[14:15]
	s_waitcnt vmcnt(60)
	v_fmac_f64_e32 v[80:81], v[72:73], v[16:17]
	v_add_f64 v[82:83], v[78:79], v[80:81]
	ds_read_b128 v[78:81], v1 offset:1296
	s_waitcnt vmcnt(56) lgkmcnt(1)
	v_mul_f64 v[84:85], v[74:75], v[26:27]
	s_waitcnt vmcnt(54)
	;; [unrolled: 6-line block ×4, first 2 shown]
	v_fmac_f64_e32 v[92:93], v[84:85], v[36:37]
	v_add_f64 v[94:95], v[90:91], v[92:93]
	ds_read_b128 v[90:93], v1 offset:1344
	v_add_f64 v[2:3], v[2:3], 0
	v_fma_f64 v[4:5], v[58:59], v[4:5], -v[8:9]
	s_waitcnt vmcnt(45) lgkmcnt(1)
	v_mul_f64 v[96:97], v[86:87], v[30:31]
	v_add_f64 v[2:3], v[2:3], v[4:5]
	v_mul_f64 v[4:5], v[64:65], v[12:13]
	s_waitcnt vmcnt(44)
	v_fmac_f64_e32 v[96:97], v[88:89], v[32:33]
	v_fma_f64 v[4:5], v[62:63], v[6:7], -v[4:5]
	v_add_f64 v[98:99], v[94:95], v[96:97]
	ds_read_b128 v[94:97], v1 offset:1360
	s_waitcnt vmcnt(40) lgkmcnt(1)
	v_mul_f64 v[100:101], v[90:91], v[42:43]
	v_add_f64 v[2:3], v[2:3], v[4:5]
	v_mul_f64 v[4:5], v[68:69], v[18:19]
	s_waitcnt vmcnt(38)
	v_fmac_f64_e32 v[100:101], v[92:93], v[44:45]
	v_fma_f64 v[4:5], v[66:67], v[20:21], -v[4:5]
	v_add_f64 v[102:103], v[98:99], v[100:101]
	ds_read_b128 v[98:101], v1 offset:1376
	v_add_f64 v[2:3], v[2:3], v[4:5]
	v_mul_f64 v[4:5], v[72:73], v[14:15]
	v_fma_f64 v[4:5], v[70:71], v[16:17], -v[4:5]
	v_add_f64 v[2:3], v[2:3], v[4:5]
	v_mul_f64 v[4:5], v[76:77], v[26:27]
	s_waitcnt vmcnt(37) lgkmcnt(1)
	v_mul_f64 v[104:105], v[94:95], v[38:39]
	v_fma_f64 v[4:5], v[74:75], v[28:29], -v[4:5]
	s_waitcnt vmcnt(36)
	v_fmac_f64_e32 v[104:105], v[96:97], v[40:41]
	v_add_f64 v[2:3], v[2:3], v[4:5]
	v_mul_f64 v[4:5], v[80:81], v[22:23]
	v_add_f64 v[106:107], v[102:103], v[104:105]
	ds_read_b128 v[102:105], v1 offset:1392
	s_waitcnt vmcnt(32) lgkmcnt(1)
	v_mul_f64 v[108:109], v[98:99], v[50:51]
	v_fma_f64 v[4:5], v[78:79], v[24:25], -v[4:5]
	s_waitcnt vmcnt(30)
	v_fmac_f64_e32 v[108:109], v[100:101], v[52:53]
	v_add_f64 v[2:3], v[2:3], v[4:5]
	v_mul_f64 v[4:5], v[84:85], v[34:35]
	v_add_f64 v[110:111], v[106:107], v[108:109]
	ds_read_b128 v[106:109], v1 offset:1408
	v_fma_f64 v[4:5], v[82:83], v[36:37], -v[4:5]
	v_add_f64 v[2:3], v[2:3], v[4:5]
	v_mul_f64 v[4:5], v[88:89], v[30:31]
	v_fma_f64 v[4:5], v[86:87], v[32:33], -v[4:5]
	s_waitcnt vmcnt(29) lgkmcnt(1)
	v_mul_f64 v[112:113], v[102:103], v[46:47]
	v_add_f64 v[2:3], v[2:3], v[4:5]
	v_mul_f64 v[4:5], v[92:93], v[42:43]
	s_waitcnt vmcnt(28)
	v_fmac_f64_e32 v[112:113], v[104:105], v[48:49]
	v_fma_f64 v[4:5], v[90:91], v[44:45], -v[4:5]
	v_add_f64 v[114:115], v[110:111], v[112:113]
	ds_read_b128 v[110:113], v1 offset:1424
	s_waitcnt vmcnt(24) lgkmcnt(1)
	v_mul_f64 v[116:117], v[106:107], v[134:135]
	v_add_f64 v[2:3], v[2:3], v[4:5]
	v_mul_f64 v[4:5], v[96:97], v[38:39]
	s_waitcnt vmcnt(22)
	v_fmac_f64_e32 v[116:117], v[108:109], v[136:137]
	v_fma_f64 v[4:5], v[94:95], v[40:41], -v[4:5]
	v_add_f64 v[120:121], v[114:115], v[116:117]
	ds_read_b128 v[114:117], v1 offset:1440
	v_add_f64 v[2:3], v[2:3], v[4:5]
	v_mul_f64 v[4:5], v[100:101], v[50:51]
	v_fma_f64 v[4:5], v[98:99], v[52:53], -v[4:5]
	v_add_f64 v[2:3], v[2:3], v[4:5]
	v_mul_f64 v[4:5], v[104:105], v[46:47]
	s_waitcnt vmcnt(21) lgkmcnt(1)
	v_mul_f64 v[122:123], v[110:111], v[118:119]
	v_fma_f64 v[4:5], v[102:103], v[48:49], -v[4:5]
	s_waitcnt vmcnt(20)
	v_fmac_f64_e32 v[122:123], v[112:113], v[132:133]
	v_add_f64 v[2:3], v[2:3], v[4:5]
	v_mul_f64 v[4:5], v[108:109], v[134:135]
	v_add_f64 v[124:125], v[120:121], v[122:123]
	ds_read_b128 v[120:123], v1 offset:1456
	s_waitcnt vmcnt(16) lgkmcnt(1)
	v_mul_f64 v[126:127], v[114:115], v[142:143]
	v_fma_f64 v[4:5], v[106:107], v[136:137], -v[4:5]
	s_waitcnt vmcnt(14)
	v_fmac_f64_e32 v[126:127], v[116:117], v[144:145]
	v_add_f64 v[2:3], v[2:3], v[4:5]
	v_mul_f64 v[4:5], v[112:113], v[118:119]
	v_add_f64 v[158:159], v[124:125], v[126:127]
	ds_read_b128 v[124:127], v1 offset:1472
	v_fma_f64 v[4:5], v[110:111], v[132:133], -v[4:5]
	v_add_f64 v[2:3], v[2:3], v[4:5]
	v_mul_f64 v[4:5], v[116:117], v[142:143]
	v_fma_f64 v[4:5], v[114:115], v[144:145], -v[4:5]
	v_add_f64 v[2:3], v[2:3], v[4:5]
	s_waitcnt vmcnt(13) lgkmcnt(1)
	v_mul_f64 v[4:5], v[122:123], v[138:139]
	v_mul_f64 v[160:161], v[120:121], v[138:139]
	s_waitcnt vmcnt(12)
	v_fma_f64 v[4:5], v[120:121], v[140:141], -v[4:5]
	v_fmac_f64_e32 v[160:161], v[122:123], v[140:141]
	v_add_f64 v[2:3], v[2:3], v[4:5]
	s_waitcnt vmcnt(8) lgkmcnt(0)
	v_mul_f64 v[4:5], v[126:127], v[150:151]
	v_add_f64 v[158:159], v[158:159], v[160:161]
	v_mul_f64 v[160:161], v[124:125], v[150:151]
	s_waitcnt vmcnt(6)
	v_fma_f64 v[4:5], v[124:125], v[152:153], -v[4:5]
	v_fmac_f64_e32 v[160:161], v[126:127], v[152:153]
	v_add_f64 v[2:3], v[2:3], v[4:5]
	s_waitcnt vmcnt(5)
	v_mul_f64 v[4:5], v[130:131], v[146:147]
	v_add_f64 v[158:159], v[158:159], v[160:161]
	v_mul_f64 v[160:161], v[128:129], v[146:147]
	s_waitcnt vmcnt(4)
	v_fma_f64 v[4:5], v[128:129], v[148:149], -v[4:5]
	v_fmac_f64_e32 v[160:161], v[130:131], v[148:149]
	v_add_f64 v[2:3], v[2:3], v[4:5]
	v_add_f64 v[158:159], v[158:159], v[160:161]
	s_waitcnt vmcnt(2)
	v_add_f64 v[2:3], v[154:155], -v[2:3]
	s_waitcnt vmcnt(0)
	v_add_f64 v[4:5], v[156:157], -v[158:159]
	buffer_store_dword v3, off, s[0:3], 0 offset:452
	buffer_store_dword v2, off, s[0:3], 0 offset:448
	;; [unrolled: 1-line block ×4, first 2 shown]
	s_and_saveexec_b64 s[4:5], vcc
	s_cbranch_execz .LBB110_243
; %bb.242:
	v_accvgpr_read_b32 v0, a114
	buffer_load_dword v2, v0, s[0:3], 0 offen
	buffer_load_dword v3, v0, s[0:3], 0 offen offset:4
	buffer_load_dword v4, v0, s[0:3], 0 offen offset:8
	;; [unrolled: 1-line block ×3, first 2 shown]
	v_accvgpr_read_b32 v0, a141
	buffer_store_dword v1, off, s[0:3], 0 offset:432
	buffer_store_dword v1, off, s[0:3], 0 offset:436
	;; [unrolled: 1-line block ×4, first 2 shown]
	s_waitcnt vmcnt(4)
	ds_write_b128 v0, v[2:5]
.LBB110_243:
	s_or_b64 exec, exec, s[4:5]
	s_waitcnt lgkmcnt(0)
	; wave barrier
	s_waitcnt lgkmcnt(0)
	buffer_load_dword v2, off, s[0:3], 0 offset:448
	buffer_load_dword v3, off, s[0:3], 0 offset:452
	;; [unrolled: 1-line block ×76, first 2 shown]
	ds_read_b128 v[54:57], v1 offset:1184
	buffer_load_dword v159, off, s[0:3], 0 offset:764
	buffer_load_dword v158, off, s[0:3], 0 offset:760
	buffer_load_dword v161, off, s[0:3], 0 offset:756
	buffer_load_dword v160, off, s[0:3], 0 offset:752
	buffer_load_dword v162, off, s[0:3], 0 offset:432
	buffer_load_dword v163, off, s[0:3], 0 offset:436
	buffer_load_dword v164, off, s[0:3], 0 offset:440
	buffer_load_dword v165, off, s[0:3], 0 offset:444
	ds_read_b128 v[58:61], v1 offset:1200
	ds_read_b128 v[62:65], v1 offset:1216
	;; [unrolled: 1-line block ×3, first 2 shown]
	v_cmp_lt_u32_e32 vcc, 25, v254
	ds_read_b128 v[132:135], v1 offset:1488
	s_waitcnt vmcnt(62) lgkmcnt(4)
	v_mul_f64 v[70:71], v[54:55], v[8:9]
	v_fmac_f64_e32 v[70:71], v[56:57], v[2:3]
	v_add_f64 v[70:71], v[70:71], 0
	v_mul_f64 v[8:9], v[56:57], v[8:9]
	s_waitcnt lgkmcnt(3)
	v_mul_f64 v[72:73], v[58:59], v[10:11]
	v_fmac_f64_e32 v[72:73], v[60:61], v[4:5]
	v_add_f64 v[70:71], v[70:71], v[72:73]
	v_fma_f64 v[2:3], v[54:55], v[2:3], -v[8:9]
	s_waitcnt lgkmcnt(2)
	v_mul_f64 v[72:73], v[62:63], v[12:13]
	v_fmac_f64_e32 v[72:73], v[64:65], v[6:7]
	v_add_f64 v[74:75], v[70:71], v[72:73]
	ds_read_b128 v[70:73], v1 offset:1248
	v_mul_f64 v[8:9], v[60:61], v[10:11]
	v_add_f64 v[2:3], v[2:3], 0
	s_waitcnt lgkmcnt(2)
	v_mul_f64 v[76:77], v[66:67], v[18:19]
	v_fma_f64 v[4:5], v[58:59], v[4:5], -v[8:9]
	v_fmac_f64_e32 v[76:77], v[68:69], v[20:21]
	v_add_f64 v[78:79], v[74:75], v[76:77]
	ds_read_b128 v[74:77], v1 offset:1264
	s_waitcnt lgkmcnt(1)
	v_mul_f64 v[80:81], v[70:71], v[14:15]
	v_fmac_f64_e32 v[80:81], v[72:73], v[16:17]
	v_add_f64 v[82:83], v[78:79], v[80:81]
	ds_read_b128 v[78:81], v1 offset:1280
	s_waitcnt vmcnt(58) lgkmcnt(1)
	v_mul_f64 v[84:85], v[74:75], v[26:27]
	s_waitcnt vmcnt(56)
	v_fmac_f64_e32 v[84:85], v[76:77], v[28:29]
	v_add_f64 v[86:87], v[82:83], v[84:85]
	ds_read_b128 v[82:85], v1 offset:1296
	s_waitcnt lgkmcnt(1)
	v_mul_f64 v[88:89], v[78:79], v[22:23]
	v_fmac_f64_e32 v[88:89], v[80:81], v[24:25]
	v_add_f64 v[90:91], v[86:87], v[88:89]
	ds_read_b128 v[86:89], v1 offset:1312
	s_waitcnt vmcnt(50) lgkmcnt(1)
	v_mul_f64 v[92:93], v[82:83], v[34:35]
	s_waitcnt vmcnt(48)
	v_fmac_f64_e32 v[92:93], v[84:85], v[36:37]
	v_add_f64 v[94:95], v[90:91], v[92:93]
	ds_read_b128 v[90:93], v1 offset:1328
	s_waitcnt lgkmcnt(1)
	v_mul_f64 v[96:97], v[86:87], v[30:31]
	v_fmac_f64_e32 v[96:97], v[88:89], v[32:33]
	v_add_f64 v[98:99], v[94:95], v[96:97]
	ds_read_b128 v[94:97], v1 offset:1344
	v_add_f64 v[2:3], v[2:3], v[4:5]
	v_mul_f64 v[4:5], v[64:65], v[12:13]
	v_fma_f64 v[4:5], v[62:63], v[6:7], -v[4:5]
	s_waitcnt vmcnt(42) lgkmcnt(1)
	v_mul_f64 v[100:101], v[90:91], v[42:43]
	v_add_f64 v[2:3], v[2:3], v[4:5]
	v_mul_f64 v[4:5], v[68:69], v[18:19]
	s_waitcnt vmcnt(40)
	v_fmac_f64_e32 v[100:101], v[92:93], v[44:45]
	v_fma_f64 v[4:5], v[66:67], v[20:21], -v[4:5]
	v_add_f64 v[102:103], v[98:99], v[100:101]
	ds_read_b128 v[98:101], v1 offset:1360
	s_waitcnt lgkmcnt(1)
	v_mul_f64 v[104:105], v[94:95], v[38:39]
	v_add_f64 v[2:3], v[2:3], v[4:5]
	v_mul_f64 v[4:5], v[72:73], v[14:15]
	v_fmac_f64_e32 v[104:105], v[96:97], v[40:41]
	v_fma_f64 v[4:5], v[70:71], v[16:17], -v[4:5]
	v_add_f64 v[106:107], v[102:103], v[104:105]
	ds_read_b128 v[102:105], v1 offset:1376
	v_add_f64 v[2:3], v[2:3], v[4:5]
	v_mul_f64 v[4:5], v[76:77], v[26:27]
	v_fma_f64 v[4:5], v[74:75], v[28:29], -v[4:5]
	v_add_f64 v[2:3], v[2:3], v[4:5]
	v_mul_f64 v[4:5], v[80:81], v[22:23]
	s_waitcnt vmcnt(34) lgkmcnt(1)
	v_mul_f64 v[108:109], v[98:99], v[50:51]
	v_fma_f64 v[4:5], v[78:79], v[24:25], -v[4:5]
	s_waitcnt vmcnt(32)
	v_fmac_f64_e32 v[108:109], v[100:101], v[52:53]
	v_add_f64 v[2:3], v[2:3], v[4:5]
	v_mul_f64 v[4:5], v[84:85], v[34:35]
	v_add_f64 v[110:111], v[106:107], v[108:109]
	ds_read_b128 v[106:109], v1 offset:1392
	s_waitcnt lgkmcnt(1)
	v_mul_f64 v[112:113], v[102:103], v[46:47]
	v_fma_f64 v[4:5], v[82:83], v[36:37], -v[4:5]
	v_fmac_f64_e32 v[112:113], v[104:105], v[48:49]
	v_add_f64 v[2:3], v[2:3], v[4:5]
	v_mul_f64 v[4:5], v[88:89], v[30:31]
	v_add_f64 v[114:115], v[110:111], v[112:113]
	ds_read_b128 v[110:113], v1 offset:1408
	v_fma_f64 v[4:5], v[86:87], v[32:33], -v[4:5]
	v_add_f64 v[2:3], v[2:3], v[4:5]
	v_mul_f64 v[4:5], v[92:93], v[42:43]
	v_fma_f64 v[4:5], v[90:91], v[44:45], -v[4:5]
	s_waitcnt vmcnt(26) lgkmcnt(1)
	v_mul_f64 v[116:117], v[106:107], v[138:139]
	v_add_f64 v[2:3], v[2:3], v[4:5]
	v_mul_f64 v[4:5], v[96:97], v[38:39]
	s_waitcnt vmcnt(24)
	v_fmac_f64_e32 v[116:117], v[108:109], v[140:141]
	v_fma_f64 v[4:5], v[94:95], v[40:41], -v[4:5]
	v_add_f64 v[120:121], v[114:115], v[116:117]
	ds_read_b128 v[114:117], v1 offset:1424
	s_waitcnt lgkmcnt(1)
	v_mul_f64 v[122:123], v[110:111], v[118:119]
	v_add_f64 v[2:3], v[2:3], v[4:5]
	v_mul_f64 v[4:5], v[100:101], v[50:51]
	v_fmac_f64_e32 v[122:123], v[112:113], v[136:137]
	v_fma_f64 v[4:5], v[98:99], v[52:53], -v[4:5]
	v_add_f64 v[124:125], v[120:121], v[122:123]
	ds_read_b128 v[120:123], v1 offset:1440
	v_add_f64 v[2:3], v[2:3], v[4:5]
	v_mul_f64 v[4:5], v[104:105], v[46:47]
	v_fma_f64 v[4:5], v[102:103], v[48:49], -v[4:5]
	v_add_f64 v[2:3], v[2:3], v[4:5]
	v_mul_f64 v[4:5], v[108:109], v[138:139]
	s_waitcnt vmcnt(18) lgkmcnt(1)
	v_mul_f64 v[126:127], v[114:115], v[146:147]
	v_fma_f64 v[4:5], v[106:107], v[140:141], -v[4:5]
	s_waitcnt vmcnt(16)
	v_fmac_f64_e32 v[126:127], v[116:117], v[148:149]
	v_add_f64 v[2:3], v[2:3], v[4:5]
	v_mul_f64 v[4:5], v[112:113], v[118:119]
	v_add_f64 v[128:129], v[124:125], v[126:127]
	ds_read_b128 v[124:127], v1 offset:1456
	s_waitcnt lgkmcnt(1)
	v_mul_f64 v[130:131], v[120:121], v[142:143]
	v_fma_f64 v[4:5], v[110:111], v[136:137], -v[4:5]
	v_fmac_f64_e32 v[130:131], v[122:123], v[144:145]
	v_add_f64 v[2:3], v[2:3], v[4:5]
	v_mul_f64 v[4:5], v[116:117], v[146:147]
	v_add_f64 v[166:167], v[128:129], v[130:131]
	ds_read_b128 v[128:131], v1 offset:1472
	v_fma_f64 v[4:5], v[114:115], v[148:149], -v[4:5]
	v_add_f64 v[2:3], v[2:3], v[4:5]
	v_mul_f64 v[4:5], v[122:123], v[142:143]
	v_fma_f64 v[4:5], v[120:121], v[144:145], -v[4:5]
	v_add_f64 v[2:3], v[2:3], v[4:5]
	s_waitcnt vmcnt(10) lgkmcnt(1)
	v_mul_f64 v[4:5], v[126:127], v[154:155]
	v_mul_f64 v[168:169], v[124:125], v[154:155]
	s_waitcnt vmcnt(8)
	v_fma_f64 v[4:5], v[124:125], v[156:157], -v[4:5]
	v_fmac_f64_e32 v[168:169], v[126:127], v[156:157]
	v_add_f64 v[2:3], v[2:3], v[4:5]
	s_waitcnt lgkmcnt(0)
	v_mul_f64 v[4:5], v[130:131], v[150:151]
	v_add_f64 v[166:167], v[166:167], v[168:169]
	v_mul_f64 v[168:169], v[128:129], v[150:151]
	v_fma_f64 v[4:5], v[128:129], v[152:153], -v[4:5]
	v_fmac_f64_e32 v[168:169], v[130:131], v[152:153]
	v_add_f64 v[2:3], v[2:3], v[4:5]
	s_waitcnt vmcnt(6)
	v_mul_f64 v[4:5], v[134:135], v[158:159]
	v_add_f64 v[166:167], v[166:167], v[168:169]
	v_mul_f64 v[168:169], v[132:133], v[158:159]
	s_waitcnt vmcnt(4)
	v_fma_f64 v[4:5], v[132:133], v[160:161], -v[4:5]
	v_fmac_f64_e32 v[168:169], v[134:135], v[160:161]
	v_add_f64 v[2:3], v[2:3], v[4:5]
	v_add_f64 v[166:167], v[166:167], v[168:169]
	s_waitcnt vmcnt(2)
	v_add_f64 v[2:3], v[162:163], -v[2:3]
	s_waitcnt vmcnt(0)
	v_add_f64 v[4:5], v[164:165], -v[166:167]
	buffer_store_dword v3, off, s[0:3], 0 offset:436
	buffer_store_dword v2, off, s[0:3], 0 offset:432
	;; [unrolled: 1-line block ×4, first 2 shown]
	s_and_saveexec_b64 s[4:5], vcc
	s_cbranch_execz .LBB110_245
; %bb.244:
	v_accvgpr_read_b32 v0, a115
	buffer_load_dword v2, v0, s[0:3], 0 offen
	buffer_load_dword v3, v0, s[0:3], 0 offen offset:4
	buffer_load_dword v4, v0, s[0:3], 0 offen offset:8
	;; [unrolled: 1-line block ×3, first 2 shown]
	v_mov_b32_e32 v0, 0
	v_accvgpr_read_b32 v1, a141
	buffer_store_dword v0, off, s[0:3], 0 offset:416
	buffer_store_dword v0, off, s[0:3], 0 offset:420
	;; [unrolled: 1-line block ×4, first 2 shown]
	s_waitcnt vmcnt(4)
	ds_write_b128 v1, v[2:5]
.LBB110_245:
	s_or_b64 exec, exec, s[4:5]
	s_waitcnt lgkmcnt(0)
	; wave barrier
	s_waitcnt lgkmcnt(0)
	buffer_load_dword v4, off, s[0:3], 0 offset:416
	buffer_load_dword v5, off, s[0:3], 0 offset:420
	;; [unrolled: 1-line block ×84, first 2 shown]
	v_mov_b32_e32 v1, 0
	ds_read_b128 v[66:69], v1 offset:1168
	buffer_load_dword v171, off, s[0:3], 0 offset:764
	buffer_load_dword v170, off, s[0:3], 0 offset:760
	;; [unrolled: 1-line block ×4, first 2 shown]
	ds_read_b128 v[70:73], v1 offset:1184
	ds_read_b128 v[74:77], v1 offset:1200
	;; [unrolled: 1-line block ×4, first 2 shown]
	v_cmp_lt_u32_e32 vcc, 24, v254
	s_waitcnt vmcnt(62) lgkmcnt(4)
	v_mul_f64 v[82:83], v[66:67], v[12:13]
	v_fmac_f64_e32 v[82:83], v[68:69], v[6:7]
	s_waitcnt lgkmcnt(3)
	v_mul_f64 v[84:85], v[70:71], v[14:15]
	v_add_f64 v[82:83], v[82:83], 0
	v_fmac_f64_e32 v[84:85], v[72:73], v[8:9]
	v_add_f64 v[82:83], v[82:83], v[84:85]
	s_waitcnt lgkmcnt(2)
	v_mul_f64 v[84:85], v[74:75], v[16:17]
	v_fmac_f64_e32 v[84:85], v[76:77], v[10:11]
	v_add_f64 v[86:87], v[82:83], v[84:85]
	ds_read_b128 v[82:85], v1 offset:1232
	v_mul_f64 v[12:13], v[68:69], v[12:13]
	s_waitcnt lgkmcnt(2)
	v_mul_f64 v[88:89], v[78:79], v[22:23]
	v_fma_f64 v[6:7], v[66:67], v[6:7], -v[12:13]
	v_fmac_f64_e32 v[88:89], v[80:81], v[24:25]
	v_add_f64 v[90:91], v[86:87], v[88:89]
	ds_read_b128 v[86:89], v1 offset:1248
	s_waitcnt lgkmcnt(1)
	v_mul_f64 v[92:93], v[82:83], v[18:19]
	v_fmac_f64_e32 v[92:93], v[84:85], v[20:21]
	v_add_f64 v[94:95], v[90:91], v[92:93]
	ds_read_b128 v[90:93], v1 offset:1264
	s_waitcnt vmcnt(58) lgkmcnt(1)
	v_mul_f64 v[96:97], v[86:87], v[30:31]
	s_waitcnt vmcnt(56)
	v_fmac_f64_e32 v[96:97], v[88:89], v[32:33]
	v_add_f64 v[98:99], v[94:95], v[96:97]
	ds_read_b128 v[94:97], v1 offset:1280
	s_waitcnt lgkmcnt(1)
	v_mul_f64 v[100:101], v[90:91], v[26:27]
	v_fmac_f64_e32 v[100:101], v[92:93], v[28:29]
	v_add_f64 v[102:103], v[98:99], v[100:101]
	ds_read_b128 v[98:101], v1 offset:1296
	s_waitcnt vmcnt(50) lgkmcnt(1)
	v_mul_f64 v[104:105], v[94:95], v[38:39]
	s_waitcnt vmcnt(48)
	v_fmac_f64_e32 v[104:105], v[96:97], v[40:41]
	v_add_f64 v[106:107], v[102:103], v[104:105]
	ds_read_b128 v[102:105], v1 offset:1312
	s_waitcnt lgkmcnt(1)
	v_mul_f64 v[108:109], v[98:99], v[34:35]
	v_fmac_f64_e32 v[108:109], v[100:101], v[36:37]
	v_mul_f64 v[12:13], v[72:73], v[14:15]
	v_add_f64 v[110:111], v[106:107], v[108:109]
	ds_read_b128 v[106:109], v1 offset:1328
	s_waitcnt vmcnt(42) lgkmcnt(1)
	v_mul_f64 v[112:113], v[102:103], v[46:47]
	v_add_f64 v[6:7], v[6:7], 0
	v_fma_f64 v[8:9], v[70:71], v[8:9], -v[12:13]
	s_waitcnt vmcnt(40)
	v_fmac_f64_e32 v[112:113], v[104:105], v[48:49]
	v_add_f64 v[6:7], v[6:7], v[8:9]
	v_mul_f64 v[8:9], v[76:77], v[16:17]
	v_add_f64 v[114:115], v[110:111], v[112:113]
	ds_read_b128 v[110:113], v1 offset:1344
	v_fma_f64 v[8:9], v[74:75], v[10:11], -v[8:9]
	v_add_f64 v[6:7], v[6:7], v[8:9]
	v_mul_f64 v[8:9], v[80:81], v[22:23]
	v_fma_f64 v[8:9], v[78:79], v[24:25], -v[8:9]
	s_waitcnt lgkmcnt(1)
	v_mul_f64 v[116:117], v[106:107], v[42:43]
	v_add_f64 v[6:7], v[6:7], v[8:9]
	v_mul_f64 v[8:9], v[84:85], v[18:19]
	v_fmac_f64_e32 v[116:117], v[108:109], v[44:45]
	v_fma_f64 v[8:9], v[82:83], v[20:21], -v[8:9]
	v_add_f64 v[120:121], v[114:115], v[116:117]
	ds_read_b128 v[114:117], v1 offset:1360
	s_waitcnt vmcnt(34) lgkmcnt(1)
	v_mul_f64 v[122:123], v[110:111], v[54:55]
	v_add_f64 v[6:7], v[6:7], v[8:9]
	v_mul_f64 v[8:9], v[88:89], v[30:31]
	s_waitcnt vmcnt(32)
	v_fmac_f64_e32 v[122:123], v[112:113], v[56:57]
	v_fma_f64 v[8:9], v[86:87], v[32:33], -v[8:9]
	v_add_f64 v[124:125], v[120:121], v[122:123]
	ds_read_b128 v[120:123], v1 offset:1376
	v_add_f64 v[6:7], v[6:7], v[8:9]
	v_mul_f64 v[8:9], v[92:93], v[26:27]
	v_fma_f64 v[8:9], v[90:91], v[28:29], -v[8:9]
	v_add_f64 v[6:7], v[6:7], v[8:9]
	v_mul_f64 v[8:9], v[96:97], v[38:39]
	s_waitcnt lgkmcnt(1)
	v_mul_f64 v[126:127], v[114:115], v[50:51]
	v_fma_f64 v[8:9], v[94:95], v[40:41], -v[8:9]
	v_fmac_f64_e32 v[126:127], v[116:117], v[52:53]
	v_add_f64 v[6:7], v[6:7], v[8:9]
	v_mul_f64 v[8:9], v[100:101], v[34:35]
	v_add_f64 v[128:129], v[124:125], v[126:127]
	ds_read_b128 v[124:127], v1 offset:1392
	s_waitcnt vmcnt(26) lgkmcnt(1)
	v_mul_f64 v[130:131], v[120:121], v[62:63]
	v_fma_f64 v[8:9], v[98:99], v[36:37], -v[8:9]
	s_waitcnt vmcnt(24)
	v_fmac_f64_e32 v[130:131], v[122:123], v[64:65]
	v_add_f64 v[6:7], v[6:7], v[8:9]
	v_mul_f64 v[8:9], v[104:105], v[46:47]
	v_add_f64 v[132:133], v[128:129], v[130:131]
	ds_read_b128 v[128:131], v1 offset:1408
	v_fma_f64 v[8:9], v[102:103], v[48:49], -v[8:9]
	v_add_f64 v[6:7], v[6:7], v[8:9]
	v_mul_f64 v[8:9], v[108:109], v[42:43]
	v_fma_f64 v[8:9], v[106:107], v[44:45], -v[8:9]
	s_waitcnt lgkmcnt(1)
	v_mul_f64 v[134:135], v[124:125], v[58:59]
	v_add_f64 v[6:7], v[6:7], v[8:9]
	v_mul_f64 v[8:9], v[112:113], v[54:55]
	v_fmac_f64_e32 v[134:135], v[126:127], v[60:61]
	v_fma_f64 v[8:9], v[110:111], v[56:57], -v[8:9]
	v_add_f64 v[136:137], v[132:133], v[134:135]
	ds_read_b128 v[132:135], v1 offset:1424
	s_waitcnt vmcnt(18) lgkmcnt(1)
	v_mul_f64 v[138:139], v[128:129], v[154:155]
	v_add_f64 v[6:7], v[6:7], v[8:9]
	v_mul_f64 v[8:9], v[116:117], v[50:51]
	s_waitcnt vmcnt(16)
	v_fmac_f64_e32 v[138:139], v[130:131], v[156:157]
	v_fma_f64 v[8:9], v[114:115], v[52:53], -v[8:9]
	v_add_f64 v[140:141], v[136:137], v[138:139]
	ds_read_b128 v[136:139], v1 offset:1440
	v_add_f64 v[6:7], v[6:7], v[8:9]
	v_mul_f64 v[8:9], v[122:123], v[62:63]
	v_fma_f64 v[8:9], v[120:121], v[64:65], -v[8:9]
	v_add_f64 v[6:7], v[6:7], v[8:9]
	v_mul_f64 v[8:9], v[126:127], v[58:59]
	s_waitcnt lgkmcnt(1)
	v_mul_f64 v[142:143], v[132:133], v[118:119]
	v_fma_f64 v[8:9], v[124:125], v[60:61], -v[8:9]
	v_fmac_f64_e32 v[142:143], v[134:135], v[152:153]
	v_add_f64 v[6:7], v[6:7], v[8:9]
	v_mul_f64 v[8:9], v[130:131], v[154:155]
	v_add_f64 v[144:145], v[140:141], v[142:143]
	ds_read_b128 v[140:143], v1 offset:1456
	s_waitcnt vmcnt(10) lgkmcnt(1)
	v_mul_f64 v[146:147], v[136:137], v[162:163]
	v_fma_f64 v[8:9], v[128:129], v[156:157], -v[8:9]
	s_waitcnt vmcnt(8)
	v_fmac_f64_e32 v[146:147], v[138:139], v[164:165]
	v_add_f64 v[6:7], v[6:7], v[8:9]
	v_mul_f64 v[8:9], v[134:135], v[118:119]
	v_add_f64 v[174:175], v[144:145], v[146:147]
	ds_read_b128 v[144:147], v1 offset:1472
	v_fma_f64 v[8:9], v[132:133], v[152:153], -v[8:9]
	v_add_f64 v[6:7], v[6:7], v[8:9]
	v_mul_f64 v[8:9], v[138:139], v[162:163]
	v_fma_f64 v[8:9], v[136:137], v[164:165], -v[8:9]
	v_add_f64 v[6:7], v[6:7], v[8:9]
	s_waitcnt lgkmcnt(1)
	v_mul_f64 v[8:9], v[142:143], v[158:159]
	v_mul_f64 v[176:177], v[140:141], v[158:159]
	v_fma_f64 v[8:9], v[140:141], v[160:161], -v[8:9]
	v_fmac_f64_e32 v[176:177], v[142:143], v[160:161]
	v_add_f64 v[6:7], v[6:7], v[8:9]
	s_waitcnt vmcnt(6) lgkmcnt(0)
	v_mul_f64 v[8:9], v[146:147], v[166:167]
	v_add_f64 v[174:175], v[174:175], v[176:177]
	v_mul_f64 v[176:177], v[144:145], v[166:167]
	s_waitcnt vmcnt(4)
	v_fma_f64 v[8:9], v[144:145], v[168:169], -v[8:9]
	v_fmac_f64_e32 v[176:177], v[146:147], v[168:169]
	v_add_f64 v[6:7], v[6:7], v[8:9]
	s_waitcnt vmcnt(2)
	v_mul_f64 v[8:9], v[150:151], v[170:171]
	v_add_f64 v[174:175], v[174:175], v[176:177]
	v_mul_f64 v[176:177], v[148:149], v[170:171]
	s_waitcnt vmcnt(0)
	v_fma_f64 v[8:9], v[148:149], v[172:173], -v[8:9]
	v_fmac_f64_e32 v[176:177], v[150:151], v[172:173]
	v_add_f64 v[6:7], v[6:7], v[8:9]
	v_add_f64 v[174:175], v[174:175], v[176:177]
	v_add_f64 v[4:5], v[4:5], -v[6:7]
	v_add_f64 v[2:3], v[2:3], -v[174:175]
	buffer_store_dword v5, off, s[0:3], 0 offset:420
	buffer_store_dword v4, off, s[0:3], 0 offset:416
	;; [unrolled: 1-line block ×4, first 2 shown]
	s_and_saveexec_b64 s[4:5], vcc
	s_cbranch_execz .LBB110_247
; %bb.246:
	v_accvgpr_read_b32 v0, a116
	buffer_load_dword v2, v0, s[0:3], 0 offen
	buffer_load_dword v3, v0, s[0:3], 0 offen offset:4
	buffer_load_dword v4, v0, s[0:3], 0 offen offset:8
	;; [unrolled: 1-line block ×3, first 2 shown]
	v_accvgpr_read_b32 v0, a141
	buffer_store_dword v1, off, s[0:3], 0 offset:400
	buffer_store_dword v1, off, s[0:3], 0 offset:404
	;; [unrolled: 1-line block ×4, first 2 shown]
	s_waitcnt vmcnt(4)
	ds_write_b128 v0, v[2:5]
.LBB110_247:
	s_or_b64 exec, exec, s[4:5]
	s_waitcnt lgkmcnt(0)
	; wave barrier
	s_waitcnt lgkmcnt(0)
	ds_read_b128 v[14:17], v1 offset:1152
	ds_read_b128 v[10:13], v1 offset:1168
	;; [unrolled: 1-line block ×4, first 2 shown]
	buffer_load_dword v20, off, s[0:3], 0 offset:400
	buffer_load_dword v21, off, s[0:3], 0 offset:404
	;; [unrolled: 1-line block ×92, first 2 shown]
	s_waitcnt vmcnt(62) lgkmcnt(3)
	v_mul_f64 v[86:87], v[14:15], v[28:29]
	v_fmac_f64_e32 v[86:87], v[16:17], v[22:23]
	s_waitcnt lgkmcnt(2)
	v_mul_f64 v[88:89], v[10:11], v[30:31]
	v_add_f64 v[86:87], v[86:87], 0
	v_fmac_f64_e32 v[88:89], v[12:13], v[24:25]
	v_add_f64 v[86:87], v[86:87], v[88:89]
	s_waitcnt lgkmcnt(1)
	v_mul_f64 v[88:89], v[6:7], v[32:33]
	v_fmac_f64_e32 v[88:89], v[8:9], v[26:27]
	v_add_f64 v[90:91], v[86:87], v[88:89]
	ds_read_b128 v[86:89], v1 offset:1216
	v_mul_f64 v[16:17], v[16:17], v[28:29]
	v_fma_f64 v[14:15], v[14:15], v[22:23], -v[16:17]
	s_waitcnt lgkmcnt(1)
	v_mul_f64 v[92:93], v[2:3], v[38:39]
	v_mul_f64 v[12:13], v[12:13], v[30:31]
	v_fmac_f64_e32 v[92:93], v[4:5], v[40:41]
	v_add_f64 v[94:95], v[90:91], v[92:93]
	ds_read_b128 v[90:93], v1 offset:1232
	s_waitcnt lgkmcnt(1)
	v_mul_f64 v[96:97], v[86:87], v[34:35]
	v_fmac_f64_e32 v[96:97], v[88:89], v[36:37]
	v_add_f64 v[98:99], v[94:95], v[96:97]
	ds_read_b128 v[94:97], v1 offset:1248
	s_waitcnt lgkmcnt(1)
	v_mul_f64 v[100:101], v[90:91], v[46:47]
	s_waitcnt vmcnt(60)
	v_fmac_f64_e32 v[100:101], v[92:93], v[48:49]
	v_add_f64 v[102:103], v[98:99], v[100:101]
	ds_read_b128 v[98:101], v1 offset:1264
	s_waitcnt lgkmcnt(1)
	v_mul_f64 v[104:105], v[94:95], v[42:43]
	v_fmac_f64_e32 v[104:105], v[96:97], v[44:45]
	v_add_f64 v[106:107], v[102:103], v[104:105]
	ds_read_b128 v[102:105], v1 offset:1280
	s_waitcnt vmcnt(54) lgkmcnt(1)
	v_mul_f64 v[108:109], v[98:99], v[54:55]
	s_waitcnt vmcnt(52)
	v_fmac_f64_e32 v[108:109], v[100:101], v[56:57]
	v_add_f64 v[110:111], v[106:107], v[108:109]
	ds_read_b128 v[106:109], v1 offset:1296
	s_waitcnt lgkmcnt(1)
	v_mul_f64 v[112:113], v[102:103], v[50:51]
	v_fmac_f64_e32 v[112:113], v[104:105], v[52:53]
	v_add_f64 v[114:115], v[110:111], v[112:113]
	ds_read_b128 v[110:113], v1 offset:1312
	s_waitcnt vmcnt(46) lgkmcnt(1)
	v_mul_f64 v[116:117], v[106:107], v[62:63]
	s_waitcnt vmcnt(44)
	v_fmac_f64_e32 v[116:117], v[108:109], v[64:65]
	v_add_f64 v[120:121], v[114:115], v[116:117]
	ds_read_b128 v[114:117], v1 offset:1328
	s_waitcnt lgkmcnt(1)
	v_mul_f64 v[122:123], v[110:111], v[58:59]
	v_fmac_f64_e32 v[122:123], v[112:113], v[60:61]
	v_add_f64 v[14:15], v[14:15], 0
	v_fma_f64 v[10:11], v[10:11], v[24:25], -v[12:13]
	v_mul_f64 v[8:9], v[8:9], v[32:33]
	v_add_f64 v[124:125], v[120:121], v[122:123]
	ds_read_b128 v[120:123], v1 offset:1344
	v_add_f64 v[10:11], v[14:15], v[10:11]
	v_fma_f64 v[6:7], v[6:7], v[26:27], -v[8:9]
	v_mul_f64 v[4:5], v[4:5], v[38:39]
	v_add_f64 v[6:7], v[10:11], v[6:7]
	v_fma_f64 v[2:3], v[2:3], v[40:41], -v[4:5]
	v_mul_f64 v[4:5], v[88:89], v[34:35]
	v_add_f64 v[2:3], v[6:7], v[2:3]
	v_fma_f64 v[4:5], v[86:87], v[36:37], -v[4:5]
	s_waitcnt vmcnt(38) lgkmcnt(1)
	v_mul_f64 v[126:127], v[114:115], v[70:71]
	v_add_f64 v[2:3], v[2:3], v[4:5]
	v_mul_f64 v[4:5], v[92:93], v[46:47]
	s_waitcnt vmcnt(36)
	v_fmac_f64_e32 v[126:127], v[116:117], v[72:73]
	v_fma_f64 v[4:5], v[90:91], v[48:49], -v[4:5]
	v_add_f64 v[128:129], v[124:125], v[126:127]
	ds_read_b128 v[124:127], v1 offset:1360
	s_waitcnt lgkmcnt(1)
	v_mul_f64 v[130:131], v[120:121], v[66:67]
	v_add_f64 v[2:3], v[2:3], v[4:5]
	v_mul_f64 v[4:5], v[96:97], v[42:43]
	v_fmac_f64_e32 v[130:131], v[122:123], v[68:69]
	v_fma_f64 v[4:5], v[94:95], v[44:45], -v[4:5]
	v_add_f64 v[132:133], v[128:129], v[130:131]
	ds_read_b128 v[128:131], v1 offset:1376
	v_add_f64 v[2:3], v[2:3], v[4:5]
	v_mul_f64 v[4:5], v[100:101], v[54:55]
	v_fma_f64 v[4:5], v[98:99], v[56:57], -v[4:5]
	v_add_f64 v[2:3], v[2:3], v[4:5]
	v_mul_f64 v[4:5], v[104:105], v[50:51]
	s_waitcnt vmcnt(30) lgkmcnt(1)
	v_mul_f64 v[134:135], v[124:125], v[78:79]
	v_fma_f64 v[4:5], v[102:103], v[52:53], -v[4:5]
	s_waitcnt vmcnt(28)
	v_fmac_f64_e32 v[134:135], v[126:127], v[80:81]
	v_add_f64 v[2:3], v[2:3], v[4:5]
	v_mul_f64 v[4:5], v[108:109], v[62:63]
	v_add_f64 v[136:137], v[132:133], v[134:135]
	ds_read_b128 v[132:135], v1 offset:1392
	s_waitcnt lgkmcnt(1)
	v_mul_f64 v[138:139], v[128:129], v[74:75]
	v_fma_f64 v[4:5], v[106:107], v[64:65], -v[4:5]
	v_fmac_f64_e32 v[138:139], v[130:131], v[76:77]
	v_add_f64 v[2:3], v[2:3], v[4:5]
	v_mul_f64 v[4:5], v[112:113], v[58:59]
	v_add_f64 v[140:141], v[136:137], v[138:139]
	ds_read_b128 v[136:139], v1 offset:1408
	v_fma_f64 v[4:5], v[110:111], v[60:61], -v[4:5]
	v_add_f64 v[2:3], v[2:3], v[4:5]
	v_mul_f64 v[4:5], v[116:117], v[70:71]
	v_fma_f64 v[4:5], v[114:115], v[72:73], -v[4:5]
	s_waitcnt vmcnt(22) lgkmcnt(1)
	v_mul_f64 v[142:143], v[132:133], v[118:119]
	v_add_f64 v[2:3], v[2:3], v[4:5]
	v_mul_f64 v[4:5], v[122:123], v[66:67]
	s_waitcnt vmcnt(20)
	v_fmac_f64_e32 v[142:143], v[134:135], v[160:161]
	v_fma_f64 v[4:5], v[120:121], v[68:69], -v[4:5]
	v_add_f64 v[144:145], v[140:141], v[142:143]
	ds_read_b128 v[140:143], v1 offset:1424
	s_waitcnt lgkmcnt(1)
	v_mul_f64 v[146:147], v[136:137], v[82:83]
	v_add_f64 v[2:3], v[2:3], v[4:5]
	v_mul_f64 v[4:5], v[126:127], v[78:79]
	v_fmac_f64_e32 v[146:147], v[138:139], v[84:85]
	v_fma_f64 v[4:5], v[124:125], v[80:81], -v[4:5]
	v_add_f64 v[148:149], v[144:145], v[146:147]
	ds_read_b128 v[144:147], v1 offset:1440
	v_add_f64 v[2:3], v[2:3], v[4:5]
	v_mul_f64 v[4:5], v[130:131], v[74:75]
	v_fma_f64 v[4:5], v[128:129], v[76:77], -v[4:5]
	v_add_f64 v[2:3], v[2:3], v[4:5]
	v_mul_f64 v[4:5], v[134:135], v[118:119]
	s_waitcnt vmcnt(14) lgkmcnt(1)
	v_mul_f64 v[150:151], v[140:141], v[166:167]
	v_fma_f64 v[4:5], v[132:133], v[160:161], -v[4:5]
	s_waitcnt vmcnt(12)
	v_fmac_f64_e32 v[150:151], v[142:143], v[168:169]
	v_add_f64 v[2:3], v[2:3], v[4:5]
	v_mul_f64 v[4:5], v[138:139], v[82:83]
	v_add_f64 v[152:153], v[148:149], v[150:151]
	ds_read_b128 v[148:151], v1 offset:1456
	s_waitcnt lgkmcnt(1)
	v_mul_f64 v[154:155], v[144:145], v[162:163]
	v_fma_f64 v[4:5], v[136:137], v[84:85], -v[4:5]
	v_fmac_f64_e32 v[154:155], v[146:147], v[164:165]
	v_add_f64 v[2:3], v[2:3], v[4:5]
	v_mul_f64 v[4:5], v[142:143], v[166:167]
	v_add_f64 v[182:183], v[152:153], v[154:155]
	ds_read_b128 v[152:155], v1 offset:1472
	ds_read_b128 v[156:159], v1 offset:1488
	v_fma_f64 v[4:5], v[140:141], v[168:169], -v[4:5]
	v_add_f64 v[2:3], v[2:3], v[4:5]
	v_mul_f64 v[4:5], v[146:147], v[162:163]
	v_fma_f64 v[4:5], v[144:145], v[164:165], -v[4:5]
	v_add_f64 v[2:3], v[2:3], v[4:5]
	s_waitcnt vmcnt(6) lgkmcnt(2)
	v_mul_f64 v[4:5], v[150:151], v[174:175]
	v_mul_f64 v[184:185], v[148:149], v[174:175]
	s_waitcnt vmcnt(4)
	v_fma_f64 v[4:5], v[148:149], v[176:177], -v[4:5]
	v_fmac_f64_e32 v[184:185], v[150:151], v[176:177]
	v_add_f64 v[2:3], v[2:3], v[4:5]
	s_waitcnt lgkmcnt(1)
	v_mul_f64 v[4:5], v[154:155], v[170:171]
	v_add_f64 v[182:183], v[182:183], v[184:185]
	v_mul_f64 v[184:185], v[152:153], v[170:171]
	v_fma_f64 v[4:5], v[152:153], v[172:173], -v[4:5]
	v_fmac_f64_e32 v[184:185], v[154:155], v[172:173]
	v_add_f64 v[2:3], v[2:3], v[4:5]
	s_waitcnt vmcnt(2) lgkmcnt(0)
	v_mul_f64 v[4:5], v[158:159], v[178:179]
	v_add_f64 v[182:183], v[182:183], v[184:185]
	v_mul_f64 v[184:185], v[156:157], v[178:179]
	s_waitcnt vmcnt(0)
	v_fma_f64 v[4:5], v[156:157], v[180:181], -v[4:5]
	v_fmac_f64_e32 v[184:185], v[158:159], v[180:181]
	v_add_f64 v[2:3], v[2:3], v[4:5]
	v_add_f64 v[182:183], v[182:183], v[184:185]
	v_add_f64 v[2:3], v[20:21], -v[2:3]
	v_cmp_lt_u32_e32 vcc, 23, v254
	v_add_f64 v[4:5], v[18:19], -v[182:183]
	buffer_store_dword v3, off, s[0:3], 0 offset:404
	buffer_store_dword v2, off, s[0:3], 0 offset:400
	;; [unrolled: 1-line block ×4, first 2 shown]
	s_and_saveexec_b64 s[4:5], vcc
	s_cbranch_execz .LBB110_249
; %bb.248:
	v_accvgpr_read_b32 v0, a117
	buffer_load_dword v2, v0, s[0:3], 0 offen
	buffer_load_dword v3, v0, s[0:3], 0 offen offset:4
	buffer_load_dword v4, v0, s[0:3], 0 offen offset:8
	buffer_load_dword v5, v0, s[0:3], 0 offen offset:12
	v_mov_b32_e32 v0, 0
	v_accvgpr_read_b32 v1, a141
	buffer_store_dword v0, off, s[0:3], 0 offset:384
	buffer_store_dword v0, off, s[0:3], 0 offset:388
	;; [unrolled: 1-line block ×4, first 2 shown]
	s_waitcnt vmcnt(4)
	ds_write_b128 v1, v[2:5]
.LBB110_249:
	s_or_b64 exec, exec, s[4:5]
	s_waitcnt lgkmcnt(0)
	; wave barrier
	s_waitcnt lgkmcnt(0)
	buffer_load_dword v9, off, s[0:3], 0 offset:412
	buffer_load_dword v6, off, s[0:3], 0 offset:424
	;; [unrolled: 1-line block ×64, first 2 shown]
	v_mov_b32_e32 v1, 0
	ds_read_b128 v[74:77], v1 offset:1136
	ds_read_b128 v[78:81], v1 offset:1152
	buffer_load_dword v67, off, s[0:3], 0 offset:668
	buffer_load_dword v66, off, s[0:3], 0 offset:664
	;; [unrolled: 1-line block ×8, first 2 shown]
	ds_read_b128 v[82:85], v1 offset:1168
	ds_read_b128 v[86:89], v1 offset:1184
	buffer_load_dword v119, off, s[0:3], 0 offset:700
	buffer_load_dword v118, off, s[0:3], 0 offset:696
	;; [unrolled: 1-line block ×24, first 2 shown]
	ds_read_b128 v[164:167], v1 offset:1488
	v_cmp_lt_u32_e32 vcc, 22, v254
	s_waitcnt vmcnt(62) lgkmcnt(1)
	v_mul_f64 v[96:97], v[86:87], v[22:23]
	v_fmac_f64_e32 v[96:97], v[88:89], v[24:25]
	v_mul_f64 v[92:93], v[78:79], v[6:7]
	v_mul_f64 v[90:91], v[74:75], v[8:9]
	;; [unrolled: 1-line block ×3, first 2 shown]
	v_fmac_f64_e32 v[90:91], v[76:77], v[10:11]
	v_add_f64 v[90:91], v[90:91], 0
	v_fma_f64 v[8:9], v[74:75], v[10:11], -v[8:9]
	v_mul_f64 v[6:7], v[80:81], v[6:7]
	v_add_f64 v[8:9], v[8:9], 0
	v_fmac_f64_e32 v[92:93], v[80:81], v[14:15]
	v_add_f64 v[90:91], v[90:91], v[92:93]
	v_mul_f64 v[92:93], v[82:83], v[16:17]
	v_fmac_f64_e32 v[92:93], v[84:85], v[12:13]
	v_add_f64 v[94:95], v[90:91], v[92:93]
	ds_read_b128 v[90:93], v1 offset:1200
	v_add_f64 v[98:99], v[94:95], v[96:97]
	ds_read_b128 v[94:97], v1 offset:1216
	v_fma_f64 v[6:7], v[78:79], v[14:15], -v[6:7]
	v_add_f64 v[6:7], v[8:9], v[6:7]
	s_waitcnt lgkmcnt(1)
	v_mul_f64 v[100:101], v[90:91], v[18:19]
	v_fmac_f64_e32 v[100:101], v[92:93], v[20:21]
	v_add_f64 v[102:103], v[98:99], v[100:101]
	ds_read_b128 v[98:101], v1 offset:1232
	s_waitcnt lgkmcnt(1)
	v_mul_f64 v[104:105], v[94:95], v[30:31]
	v_fmac_f64_e32 v[104:105], v[96:97], v[32:33]
	v_add_f64 v[106:107], v[102:103], v[104:105]
	ds_read_b128 v[102:105], v1 offset:1248
	;; [unrolled: 5-line block ×3, first 2 shown]
	s_waitcnt vmcnt(58) lgkmcnt(1)
	v_mul_f64 v[112:113], v[102:103], v[38:39]
	s_waitcnt vmcnt(56)
	v_fmac_f64_e32 v[112:113], v[104:105], v[40:41]
	v_add_f64 v[114:115], v[110:111], v[112:113]
	ds_read_b128 v[110:113], v1 offset:1280
	s_waitcnt lgkmcnt(1)
	v_mul_f64 v[116:117], v[106:107], v[34:35]
	v_fmac_f64_e32 v[116:117], v[108:109], v[36:37]
	v_add_f64 v[120:121], v[114:115], v[116:117]
	ds_read_b128 v[114:117], v1 offset:1296
	s_waitcnt vmcnt(50) lgkmcnt(1)
	v_mul_f64 v[122:123], v[110:111], v[46:47]
	s_waitcnt vmcnt(48)
	v_fmac_f64_e32 v[122:123], v[112:113], v[48:49]
	v_add_f64 v[124:125], v[120:121], v[122:123]
	ds_read_b128 v[120:123], v1 offset:1312
	v_mul_f64 v[8:9], v[84:85], v[16:17]
	s_waitcnt lgkmcnt(1)
	v_mul_f64 v[126:127], v[114:115], v[42:43]
	v_fma_f64 v[8:9], v[82:83], v[12:13], -v[8:9]
	v_fmac_f64_e32 v[126:127], v[116:117], v[44:45]
	v_add_f64 v[6:7], v[6:7], v[8:9]
	v_mul_f64 v[8:9], v[88:89], v[22:23]
	v_add_f64 v[128:129], v[124:125], v[126:127]
	ds_read_b128 v[124:127], v1 offset:1328
	s_waitcnt vmcnt(42) lgkmcnt(1)
	v_mul_f64 v[130:131], v[120:121], v[54:55]
	v_fma_f64 v[8:9], v[86:87], v[24:25], -v[8:9]
	s_waitcnt vmcnt(40)
	v_fmac_f64_e32 v[130:131], v[122:123], v[56:57]
	v_add_f64 v[6:7], v[6:7], v[8:9]
	v_mul_f64 v[8:9], v[92:93], v[18:19]
	v_add_f64 v[132:133], v[128:129], v[130:131]
	ds_read_b128 v[128:131], v1 offset:1344
	v_fma_f64 v[8:9], v[90:91], v[20:21], -v[8:9]
	v_add_f64 v[6:7], v[6:7], v[8:9]
	v_mul_f64 v[8:9], v[96:97], v[30:31]
	v_fma_f64 v[8:9], v[94:95], v[32:33], -v[8:9]
	s_waitcnt lgkmcnt(1)
	v_mul_f64 v[134:135], v[124:125], v[50:51]
	v_add_f64 v[6:7], v[6:7], v[8:9]
	v_mul_f64 v[8:9], v[100:101], v[26:27]
	v_fmac_f64_e32 v[134:135], v[126:127], v[52:53]
	v_fma_f64 v[8:9], v[98:99], v[28:29], -v[8:9]
	v_add_f64 v[136:137], v[132:133], v[134:135]
	ds_read_b128 v[132:135], v1 offset:1360
	s_waitcnt vmcnt(34) lgkmcnt(1)
	v_mul_f64 v[138:139], v[128:129], v[62:63]
	v_add_f64 v[6:7], v[6:7], v[8:9]
	v_mul_f64 v[8:9], v[104:105], v[38:39]
	s_waitcnt vmcnt(32)
	v_fmac_f64_e32 v[138:139], v[130:131], v[64:65]
	v_fma_f64 v[8:9], v[102:103], v[40:41], -v[8:9]
	v_add_f64 v[140:141], v[136:137], v[138:139]
	ds_read_b128 v[136:139], v1 offset:1376
	v_add_f64 v[6:7], v[6:7], v[8:9]
	v_mul_f64 v[8:9], v[108:109], v[34:35]
	v_fma_f64 v[8:9], v[106:107], v[36:37], -v[8:9]
	v_add_f64 v[6:7], v[6:7], v[8:9]
	v_mul_f64 v[8:9], v[112:113], v[46:47]
	s_waitcnt lgkmcnt(1)
	v_mul_f64 v[142:143], v[132:133], v[58:59]
	v_fma_f64 v[8:9], v[110:111], v[48:49], -v[8:9]
	v_fmac_f64_e32 v[142:143], v[134:135], v[60:61]
	v_add_f64 v[6:7], v[6:7], v[8:9]
	v_mul_f64 v[8:9], v[116:117], v[42:43]
	v_add_f64 v[144:145], v[140:141], v[142:143]
	ds_read_b128 v[140:143], v1 offset:1392
	s_waitcnt vmcnt(26) lgkmcnt(1)
	v_mul_f64 v[146:147], v[136:137], v[70:71]
	v_fma_f64 v[8:9], v[114:115], v[44:45], -v[8:9]
	s_waitcnt vmcnt(24)
	v_fmac_f64_e32 v[146:147], v[138:139], v[72:73]
	v_add_f64 v[6:7], v[6:7], v[8:9]
	v_mul_f64 v[8:9], v[122:123], v[54:55]
	v_add_f64 v[148:149], v[144:145], v[146:147]
	ds_read_b128 v[144:147], v1 offset:1408
	v_fma_f64 v[8:9], v[120:121], v[56:57], -v[8:9]
	v_add_f64 v[6:7], v[6:7], v[8:9]
	v_mul_f64 v[8:9], v[126:127], v[50:51]
	v_fma_f64 v[8:9], v[124:125], v[52:53], -v[8:9]
	s_waitcnt lgkmcnt(1)
	v_mul_f64 v[150:151], v[140:141], v[66:67]
	v_add_f64 v[6:7], v[6:7], v[8:9]
	v_mul_f64 v[8:9], v[130:131], v[62:63]
	v_fmac_f64_e32 v[150:151], v[142:143], v[68:69]
	v_fma_f64 v[8:9], v[128:129], v[64:65], -v[8:9]
	v_add_f64 v[152:153], v[148:149], v[150:151]
	ds_read_b128 v[148:151], v1 offset:1424
	s_waitcnt vmcnt(18) lgkmcnt(1)
	v_mul_f64 v[154:155], v[144:145], v[170:171]
	v_add_f64 v[6:7], v[6:7], v[8:9]
	v_mul_f64 v[8:9], v[134:135], v[58:59]
	s_waitcnt vmcnt(16)
	v_fmac_f64_e32 v[154:155], v[146:147], v[172:173]
	v_fma_f64 v[8:9], v[132:133], v[60:61], -v[8:9]
	v_add_f64 v[156:157], v[152:153], v[154:155]
	ds_read_b128 v[152:155], v1 offset:1440
	v_add_f64 v[6:7], v[6:7], v[8:9]
	v_mul_f64 v[8:9], v[138:139], v[70:71]
	v_fma_f64 v[8:9], v[136:137], v[72:73], -v[8:9]
	v_add_f64 v[6:7], v[6:7], v[8:9]
	v_mul_f64 v[8:9], v[142:143], v[66:67]
	s_waitcnt lgkmcnt(1)
	v_mul_f64 v[158:159], v[148:149], v[118:119]
	v_fma_f64 v[8:9], v[140:141], v[68:69], -v[8:9]
	v_fmac_f64_e32 v[158:159], v[150:151], v[168:169]
	v_add_f64 v[6:7], v[6:7], v[8:9]
	v_mul_f64 v[8:9], v[146:147], v[170:171]
	v_add_f64 v[160:161], v[156:157], v[158:159]
	ds_read_b128 v[156:159], v1 offset:1456
	s_waitcnt vmcnt(10) lgkmcnt(1)
	v_mul_f64 v[162:163], v[152:153], v[178:179]
	v_fma_f64 v[8:9], v[144:145], v[172:173], -v[8:9]
	s_waitcnt vmcnt(8)
	v_fmac_f64_e32 v[162:163], v[154:155], v[180:181]
	v_add_f64 v[6:7], v[6:7], v[8:9]
	v_mul_f64 v[8:9], v[150:151], v[118:119]
	v_add_f64 v[190:191], v[160:161], v[162:163]
	ds_read_b128 v[160:163], v1 offset:1472
	v_fma_f64 v[8:9], v[148:149], v[168:169], -v[8:9]
	v_add_f64 v[6:7], v[6:7], v[8:9]
	v_mul_f64 v[8:9], v[154:155], v[178:179]
	v_fma_f64 v[8:9], v[152:153], v[180:181], -v[8:9]
	v_add_f64 v[6:7], v[6:7], v[8:9]
	s_waitcnt lgkmcnt(1)
	v_mul_f64 v[8:9], v[158:159], v[174:175]
	v_mul_f64 v[192:193], v[156:157], v[174:175]
	v_fma_f64 v[8:9], v[156:157], v[176:177], -v[8:9]
	v_fmac_f64_e32 v[192:193], v[158:159], v[176:177]
	v_add_f64 v[6:7], v[6:7], v[8:9]
	s_waitcnt vmcnt(2) lgkmcnt(0)
	v_mul_f64 v[8:9], v[162:163], v[186:187]
	v_add_f64 v[190:191], v[190:191], v[192:193]
	v_mul_f64 v[192:193], v[160:161], v[186:187]
	s_waitcnt vmcnt(0)
	v_fma_f64 v[8:9], v[160:161], v[188:189], -v[8:9]
	v_fmac_f64_e32 v[192:193], v[162:163], v[188:189]
	v_add_f64 v[6:7], v[6:7], v[8:9]
	v_mul_f64 v[8:9], v[166:167], v[182:183]
	v_add_f64 v[190:191], v[190:191], v[192:193]
	v_mul_f64 v[192:193], v[164:165], v[182:183]
	v_fma_f64 v[8:9], v[164:165], v[184:185], -v[8:9]
	v_fmac_f64_e32 v[192:193], v[166:167], v[184:185]
	v_add_f64 v[6:7], v[6:7], v[8:9]
	v_add_f64 v[190:191], v[190:191], v[192:193]
	v_add_f64 v[4:5], v[4:5], -v[6:7]
	v_add_f64 v[2:3], v[2:3], -v[190:191]
	buffer_store_dword v5, off, s[0:3], 0 offset:388
	buffer_store_dword v4, off, s[0:3], 0 offset:384
	;; [unrolled: 1-line block ×4, first 2 shown]
	s_and_saveexec_b64 s[4:5], vcc
	s_cbranch_execz .LBB110_251
; %bb.250:
	v_accvgpr_read_b32 v0, a118
	buffer_load_dword v2, v0, s[0:3], 0 offen
	buffer_load_dword v3, v0, s[0:3], 0 offen offset:4
	buffer_load_dword v4, v0, s[0:3], 0 offen offset:8
	;; [unrolled: 1-line block ×3, first 2 shown]
	v_accvgpr_read_b32 v0, a141
	buffer_store_dword v1, off, s[0:3], 0 offset:368
	buffer_store_dword v1, off, s[0:3], 0 offset:372
	;; [unrolled: 1-line block ×4, first 2 shown]
	s_waitcnt vmcnt(4)
	ds_write_b128 v0, v[2:5]
.LBB110_251:
	s_or_b64 exec, exec, s[4:5]
	s_waitcnt lgkmcnt(0)
	; wave barrier
	s_waitcnt lgkmcnt(0)
	buffer_load_dword v22, off, s[0:3], 0 offset:384
	buffer_load_dword v23, off, s[0:3], 0 offset:388
	;; [unrolled: 1-line block ×16, first 2 shown]
	ds_read_b128 v[2:5], v1 offset:1120
	ds_read_b128 v[6:9], v1 offset:1136
	;; [unrolled: 1-line block ×4, first 2 shown]
	buffer_load_dword v35, off, s[0:3], 0 offset:460
	buffer_load_dword v34, off, s[0:3], 0 offset:456
	;; [unrolled: 1-line block ×48, first 2 shown]
	v_cmp_lt_u32_e32 vcc, 21, v254
	s_waitcnt vmcnt(42) lgkmcnt(0)
	v_mul_f64 v[104:105], v[14:15], v[38:39]
	s_waitcnt vmcnt(40)
	v_fmac_f64_e32 v[104:105], v[16:17], v[40:41]
	v_mul_f64 v[82:83], v[2:3], v[24:25]
	v_fmac_f64_e32 v[82:83], v[4:5], v[22:23]
	v_add_f64 v[82:83], v[82:83], 0
	v_mul_f64 v[4:5], v[4:5], v[24:25]
	v_mul_f64 v[84:85], v[6:7], v[32:33]
	v_fma_f64 v[2:3], v[2:3], v[22:23], -v[4:5]
	v_mul_f64 v[98:99], v[10:11], v[26:27]
	v_fmac_f64_e32 v[98:99], v[12:13], v[30:31]
	v_fmac_f64_e32 v[84:85], v[8:9], v[28:29]
	v_add_f64 v[100:101], v[82:83], v[84:85]
	buffer_load_dword v83, off, s[0:3], 0 offset:652
	buffer_load_dword v82, off, s[0:3], 0 offset:648
	;; [unrolled: 1-line block ×32, first 2 shown]
	v_add_f64 v[102:103], v[100:101], v[98:99]
	ds_read_b128 v[98:101], v1 offset:1184
	buffer_load_dword v195, off, s[0:3], 0 offset:764
	buffer_load_dword v194, off, s[0:3], 0 offset:760
	;; [unrolled: 1-line block ×4, first 2 shown]
	v_add_f64 v[106:107], v[102:103], v[104:105]
	ds_read_b128 v[102:105], v1 offset:1200
	v_mul_f64 v[4:5], v[8:9], v[32:33]
	s_waitcnt lgkmcnt(1)
	v_mul_f64 v[108:109], v[98:99], v[34:35]
	v_fmac_f64_e32 v[108:109], v[100:101], v[36:37]
	v_add_f64 v[110:111], v[106:107], v[108:109]
	ds_read_b128 v[106:109], v1 offset:1216
	s_waitcnt vmcnt(62) lgkmcnt(1)
	v_mul_f64 v[112:113], v[102:103], v[46:47]
	v_fmac_f64_e32 v[112:113], v[104:105], v[48:49]
	v_add_f64 v[114:115], v[110:111], v[112:113]
	ds_read_b128 v[110:113], v1 offset:1232
	s_waitcnt lgkmcnt(1)
	v_mul_f64 v[116:117], v[106:107], v[42:43]
	v_fmac_f64_e32 v[116:117], v[108:109], v[44:45]
	v_add_f64 v[120:121], v[114:115], v[116:117]
	ds_read_b128 v[114:117], v1 offset:1248
	s_waitcnt lgkmcnt(1)
	v_mul_f64 v[122:123], v[110:111], v[54:55]
	s_waitcnt vmcnt(60)
	v_fmac_f64_e32 v[122:123], v[112:113], v[56:57]
	v_add_f64 v[124:125], v[120:121], v[122:123]
	ds_read_b128 v[120:123], v1 offset:1264
	s_waitcnt lgkmcnt(1)
	v_mul_f64 v[126:127], v[114:115], v[50:51]
	v_fmac_f64_e32 v[126:127], v[116:117], v[52:53]
	v_add_f64 v[128:129], v[124:125], v[126:127]
	ds_read_b128 v[124:127], v1 offset:1280
	s_waitcnt vmcnt(54) lgkmcnt(1)
	v_mul_f64 v[130:131], v[120:121], v[62:63]
	s_waitcnt vmcnt(52)
	v_fmac_f64_e32 v[130:131], v[122:123], v[64:65]
	v_add_f64 v[132:133], v[128:129], v[130:131]
	ds_read_b128 v[128:131], v1 offset:1296
	s_waitcnt lgkmcnt(1)
	v_mul_f64 v[134:135], v[124:125], v[58:59]
	v_fmac_f64_e32 v[134:135], v[126:127], v[60:61]
	v_add_f64 v[2:3], v[2:3], 0
	v_fma_f64 v[4:5], v[6:7], v[28:29], -v[4:5]
	v_add_f64 v[136:137], v[132:133], v[134:135]
	ds_read_b128 v[132:135], v1 offset:1312
	v_add_f64 v[2:3], v[2:3], v[4:5]
	v_mul_f64 v[4:5], v[12:13], v[26:27]
	v_fma_f64 v[4:5], v[10:11], v[30:31], -v[4:5]
	v_add_f64 v[2:3], v[2:3], v[4:5]
	v_mul_f64 v[4:5], v[16:17], v[38:39]
	s_waitcnt vmcnt(46) lgkmcnt(1)
	v_mul_f64 v[138:139], v[128:129], v[70:71]
	v_fma_f64 v[4:5], v[14:15], v[40:41], -v[4:5]
	s_waitcnt vmcnt(44)
	v_fmac_f64_e32 v[138:139], v[130:131], v[72:73]
	v_add_f64 v[2:3], v[2:3], v[4:5]
	v_mul_f64 v[4:5], v[100:101], v[34:35]
	v_add_f64 v[140:141], v[136:137], v[138:139]
	ds_read_b128 v[136:139], v1 offset:1328
	s_waitcnt lgkmcnt(1)
	v_mul_f64 v[142:143], v[132:133], v[66:67]
	v_fma_f64 v[4:5], v[98:99], v[36:37], -v[4:5]
	v_fmac_f64_e32 v[142:143], v[134:135], v[68:69]
	v_add_f64 v[2:3], v[2:3], v[4:5]
	v_mul_f64 v[4:5], v[104:105], v[46:47]
	v_add_f64 v[144:145], v[140:141], v[142:143]
	ds_read_b128 v[140:143], v1 offset:1344
	v_fma_f64 v[4:5], v[102:103], v[48:49], -v[4:5]
	v_add_f64 v[2:3], v[2:3], v[4:5]
	v_mul_f64 v[4:5], v[108:109], v[42:43]
	v_fma_f64 v[4:5], v[106:107], v[44:45], -v[4:5]
	s_waitcnt vmcnt(38) lgkmcnt(1)
	v_mul_f64 v[146:147], v[136:137], v[78:79]
	v_add_f64 v[2:3], v[2:3], v[4:5]
	v_mul_f64 v[4:5], v[112:113], v[54:55]
	s_waitcnt vmcnt(36)
	v_fmac_f64_e32 v[146:147], v[138:139], v[80:81]
	v_fma_f64 v[4:5], v[110:111], v[56:57], -v[4:5]
	v_add_f64 v[148:149], v[144:145], v[146:147]
	ds_read_b128 v[144:147], v1 offset:1360
	s_waitcnt lgkmcnt(1)
	v_mul_f64 v[150:151], v[140:141], v[74:75]
	v_add_f64 v[2:3], v[2:3], v[4:5]
	v_mul_f64 v[4:5], v[116:117], v[50:51]
	v_fmac_f64_e32 v[150:151], v[142:143], v[76:77]
	v_fma_f64 v[4:5], v[114:115], v[52:53], -v[4:5]
	v_add_f64 v[152:153], v[148:149], v[150:151]
	ds_read_b128 v[148:151], v1 offset:1376
	v_add_f64 v[2:3], v[2:3], v[4:5]
	v_mul_f64 v[4:5], v[122:123], v[62:63]
	v_fma_f64 v[4:5], v[120:121], v[64:65], -v[4:5]
	v_add_f64 v[2:3], v[2:3], v[4:5]
	v_mul_f64 v[4:5], v[126:127], v[58:59]
	s_waitcnt vmcnt(30) lgkmcnt(1)
	v_mul_f64 v[154:155], v[144:145], v[86:87]
	v_fma_f64 v[4:5], v[124:125], v[60:61], -v[4:5]
	s_waitcnt vmcnt(28)
	v_fmac_f64_e32 v[154:155], v[146:147], v[88:89]
	v_add_f64 v[2:3], v[2:3], v[4:5]
	v_mul_f64 v[4:5], v[130:131], v[70:71]
	v_add_f64 v[156:157], v[152:153], v[154:155]
	ds_read_b128 v[152:155], v1 offset:1392
	s_waitcnt lgkmcnt(1)
	v_mul_f64 v[158:159], v[148:149], v[82:83]
	v_fma_f64 v[4:5], v[128:129], v[72:73], -v[4:5]
	v_fmac_f64_e32 v[158:159], v[150:151], v[84:85]
	v_add_f64 v[2:3], v[2:3], v[4:5]
	v_mul_f64 v[4:5], v[134:135], v[66:67]
	v_add_f64 v[160:161], v[156:157], v[158:159]
	ds_read_b128 v[156:159], v1 offset:1408
	v_fma_f64 v[4:5], v[132:133], v[68:69], -v[4:5]
	v_add_f64 v[2:3], v[2:3], v[4:5]
	v_mul_f64 v[4:5], v[138:139], v[78:79]
	v_fma_f64 v[4:5], v[136:137], v[80:81], -v[4:5]
	s_waitcnt vmcnt(22) lgkmcnt(1)
	v_mul_f64 v[162:163], v[152:153], v[94:95]
	v_add_f64 v[2:3], v[2:3], v[4:5]
	v_mul_f64 v[4:5], v[142:143], v[74:75]
	s_waitcnt vmcnt(20)
	v_fmac_f64_e32 v[162:163], v[154:155], v[96:97]
	v_fma_f64 v[4:5], v[140:141], v[76:77], -v[4:5]
	v_add_f64 v[164:165], v[160:161], v[162:163]
	ds_read_b128 v[160:163], v1 offset:1424
	s_waitcnt lgkmcnt(1)
	v_mul_f64 v[166:167], v[156:157], v[90:91]
	v_add_f64 v[2:3], v[2:3], v[4:5]
	v_mul_f64 v[4:5], v[146:147], v[86:87]
	v_fmac_f64_e32 v[166:167], v[158:159], v[92:93]
	v_fma_f64 v[4:5], v[144:145], v[88:89], -v[4:5]
	v_add_f64 v[168:169], v[164:165], v[166:167]
	ds_read_b128 v[164:167], v1 offset:1440
	v_add_f64 v[2:3], v[2:3], v[4:5]
	v_mul_f64 v[4:5], v[150:151], v[82:83]
	v_fma_f64 v[4:5], v[148:149], v[84:85], -v[4:5]
	v_add_f64 v[2:3], v[2:3], v[4:5]
	v_mul_f64 v[4:5], v[154:155], v[94:95]
	s_waitcnt vmcnt(14) lgkmcnt(1)
	v_mul_f64 v[170:171], v[160:161], v[182:183]
	v_fma_f64 v[4:5], v[152:153], v[96:97], -v[4:5]
	s_waitcnt vmcnt(12)
	v_fmac_f64_e32 v[170:171], v[162:163], v[184:185]
	v_add_f64 v[2:3], v[2:3], v[4:5]
	v_mul_f64 v[4:5], v[158:159], v[90:91]
	v_add_f64 v[172:173], v[168:169], v[170:171]
	ds_read_b128 v[168:171], v1 offset:1456
	s_waitcnt lgkmcnt(1)
	v_mul_f64 v[174:175], v[164:165], v[118:119]
	v_fma_f64 v[4:5], v[156:157], v[92:93], -v[4:5]
	v_fmac_f64_e32 v[174:175], v[166:167], v[180:181]
	v_add_f64 v[2:3], v[2:3], v[4:5]
	v_mul_f64 v[4:5], v[162:163], v[182:183]
	v_add_f64 v[198:199], v[172:173], v[174:175]
	ds_read_b128 v[172:175], v1 offset:1472
	v_fma_f64 v[4:5], v[160:161], v[184:185], -v[4:5]
	v_add_f64 v[2:3], v[2:3], v[4:5]
	v_mul_f64 v[4:5], v[166:167], v[118:119]
	ds_read_b128 v[176:179], v1 offset:1488
	v_fma_f64 v[4:5], v[164:165], v[180:181], -v[4:5]
	v_add_f64 v[2:3], v[2:3], v[4:5]
	s_waitcnt vmcnt(6) lgkmcnt(2)
	v_mul_f64 v[4:5], v[170:171], v[190:191]
	v_mul_f64 v[200:201], v[168:169], v[190:191]
	s_waitcnt vmcnt(4)
	v_fma_f64 v[4:5], v[168:169], v[192:193], -v[4:5]
	v_fmac_f64_e32 v[200:201], v[170:171], v[192:193]
	v_add_f64 v[2:3], v[2:3], v[4:5]
	s_waitcnt lgkmcnt(1)
	v_mul_f64 v[4:5], v[174:175], v[186:187]
	v_add_f64 v[198:199], v[198:199], v[200:201]
	v_mul_f64 v[200:201], v[172:173], v[186:187]
	v_fma_f64 v[4:5], v[172:173], v[188:189], -v[4:5]
	v_fmac_f64_e32 v[200:201], v[174:175], v[188:189]
	v_add_f64 v[2:3], v[2:3], v[4:5]
	s_waitcnt vmcnt(2) lgkmcnt(0)
	v_mul_f64 v[4:5], v[178:179], v[194:195]
	v_add_f64 v[198:199], v[198:199], v[200:201]
	v_mul_f64 v[200:201], v[176:177], v[194:195]
	s_waitcnt vmcnt(0)
	v_fma_f64 v[4:5], v[176:177], v[196:197], -v[4:5]
	v_fmac_f64_e32 v[200:201], v[178:179], v[196:197]
	v_add_f64 v[2:3], v[2:3], v[4:5]
	v_add_f64 v[198:199], v[198:199], v[200:201]
	v_add_f64 v[2:3], v[20:21], -v[2:3]
	v_add_f64 v[4:5], v[18:19], -v[198:199]
	buffer_store_dword v3, off, s[0:3], 0 offset:372
	buffer_store_dword v2, off, s[0:3], 0 offset:368
	;; [unrolled: 1-line block ×4, first 2 shown]
	s_and_saveexec_b64 s[4:5], vcc
	s_cbranch_execz .LBB110_253
; %bb.252:
	v_accvgpr_read_b32 v0, a119
	buffer_load_dword v2, v0, s[0:3], 0 offen
	buffer_load_dword v3, v0, s[0:3], 0 offen offset:4
	buffer_load_dword v4, v0, s[0:3], 0 offen offset:8
	buffer_load_dword v5, v0, s[0:3], 0 offen offset:12
	v_mov_b32_e32 v0, 0
	v_accvgpr_read_b32 v1, a141
	buffer_store_dword v0, off, s[0:3], 0 offset:352
	buffer_store_dword v0, off, s[0:3], 0 offset:356
	;; [unrolled: 1-line block ×4, first 2 shown]
	s_waitcnt vmcnt(4)
	ds_write_b128 v1, v[2:5]
.LBB110_253:
	s_or_b64 exec, exec, s[4:5]
	s_waitcnt lgkmcnt(0)
	; wave barrier
	s_waitcnt lgkmcnt(0)
	buffer_load_dword v22, off, s[0:3], 0 offset:368
	buffer_load_dword v23, off, s[0:3], 0 offset:372
	;; [unrolled: 1-line block ×64, first 2 shown]
	v_mov_b32_e32 v1, 0
	ds_read_b128 v[18:21], v1 offset:1104
	ds_read_b128 v[14:17], v1 offset:1120
	;; [unrolled: 1-line block ×5, first 2 shown]
	v_cmp_lt_u32_e32 vcc, 20, v254
	s_waitcnt vmcnt(60) lgkmcnt(4)
	v_mul_f64 v[86:87], v[18:19], v[26:27]
	v_fmac_f64_e32 v[86:87], v[20:21], v[22:23]
	v_add_f64 v[86:87], v[86:87], 0
	v_mul_f64 v[20:21], v[20:21], v[26:27]
	s_waitcnt vmcnt(56) lgkmcnt(3)
	v_mul_f64 v[88:89], v[14:15], v[28:29]
	v_fmac_f64_e32 v[88:89], v[16:17], v[24:25]
	s_waitcnt vmcnt(54) lgkmcnt(2)
	v_mul_f64 v[90:91], v[10:11], v[30:31]
	v_add_f64 v[86:87], v[86:87], v[88:89]
	v_fma_f64 v[18:19], v[18:19], v[22:23], -v[20:21]
	v_mul_f64 v[16:17], v[16:17], v[28:29]
	s_waitcnt vmcnt(50) lgkmcnt(1)
	v_mul_f64 v[102:103], v[6:7], v[40:41]
	v_add_f64 v[18:19], v[18:19], 0
	s_waitcnt vmcnt(48)
	v_fmac_f64_e32 v[90:91], v[12:13], v[44:45]
	v_add_f64 v[104:105], v[86:87], v[90:91]
	buffer_load_dword v87, off, s[0:3], 0 offset:636
	buffer_load_dword v86, off, s[0:3], 0 offset:632
	;; [unrolled: 1-line block ×40, first 2 shown]
	s_waitcnt vmcnt(62)
	v_fmac_f64_e32 v[102:103], v[8:9], v[42:43]
	v_add_f64 v[106:107], v[104:105], v[102:103]
	ds_read_b128 v[102:105], v1 offset:1184
	s_waitcnt lgkmcnt(1)
	v_mul_f64 v[108:109], v[2:3], v[36:37]
	v_fmac_f64_e32 v[108:109], v[4:5], v[38:39]
	v_add_f64 v[110:111], v[106:107], v[108:109]
	ds_read_b128 v[106:109], v1 offset:1200
	s_waitcnt lgkmcnt(1)
	v_mul_f64 v[112:113], v[102:103], v[50:51]
	;; [unrolled: 5-line block ×5, first 2 shown]
	v_fmac_f64_e32 v[126:127], v[116:117], v[56:57]
	v_add_f64 v[128:129], v[124:125], v[126:127]
	ds_read_b128 v[124:127], v1 offset:1264
	s_waitcnt vmcnt(58) lgkmcnt(1)
	v_mul_f64 v[130:131], v[120:121], v[66:67]
	s_waitcnt vmcnt(56)
	v_fmac_f64_e32 v[130:131], v[122:123], v[68:69]
	v_add_f64 v[132:133], v[128:129], v[130:131]
	ds_read_b128 v[128:131], v1 offset:1280
	s_waitcnt lgkmcnt(1)
	v_mul_f64 v[134:135], v[124:125], v[62:63]
	v_fmac_f64_e32 v[134:135], v[126:127], v[64:65]
	v_add_f64 v[136:137], v[132:133], v[134:135]
	ds_read_b128 v[132:135], v1 offset:1296
	s_waitcnt vmcnt(50) lgkmcnt(1)
	v_mul_f64 v[138:139], v[128:129], v[74:75]
	s_waitcnt vmcnt(48)
	v_fmac_f64_e32 v[138:139], v[130:131], v[76:77]
	v_add_f64 v[140:141], v[136:137], v[138:139]
	ds_read_b128 v[136:139], v1 offset:1312
	v_fma_f64 v[14:15], v[14:15], v[24:25], -v[16:17]
	v_mul_f64 v[12:13], v[12:13], v[30:31]
	v_add_f64 v[14:15], v[18:19], v[14:15]
	v_fma_f64 v[10:11], v[10:11], v[44:45], -v[12:13]
	v_mul_f64 v[8:9], v[8:9], v[40:41]
	s_waitcnt lgkmcnt(1)
	v_mul_f64 v[142:143], v[132:133], v[70:71]
	v_add_f64 v[10:11], v[14:15], v[10:11]
	v_fma_f64 v[6:7], v[6:7], v[42:43], -v[8:9]
	v_mul_f64 v[4:5], v[4:5], v[36:37]
	v_fmac_f64_e32 v[142:143], v[134:135], v[72:73]
	v_add_f64 v[6:7], v[10:11], v[6:7]
	v_fma_f64 v[2:3], v[2:3], v[38:39], -v[4:5]
	v_mul_f64 v[4:5], v[104:105], v[50:51]
	v_add_f64 v[144:145], v[140:141], v[142:143]
	ds_read_b128 v[140:143], v1 offset:1328
	s_waitcnt vmcnt(42) lgkmcnt(1)
	v_mul_f64 v[146:147], v[136:137], v[82:83]
	v_add_f64 v[2:3], v[6:7], v[2:3]
	v_fma_f64 v[4:5], v[102:103], v[52:53], -v[4:5]
	s_waitcnt vmcnt(40)
	v_fmac_f64_e32 v[146:147], v[138:139], v[84:85]
	v_add_f64 v[2:3], v[2:3], v[4:5]
	v_mul_f64 v[4:5], v[108:109], v[46:47]
	v_add_f64 v[148:149], v[144:145], v[146:147]
	ds_read_b128 v[144:147], v1 offset:1344
	v_fma_f64 v[4:5], v[106:107], v[48:49], -v[4:5]
	v_add_f64 v[2:3], v[2:3], v[4:5]
	v_mul_f64 v[4:5], v[112:113], v[58:59]
	v_fma_f64 v[4:5], v[110:111], v[60:61], -v[4:5]
	s_waitcnt lgkmcnt(1)
	v_mul_f64 v[150:151], v[140:141], v[78:79]
	v_add_f64 v[2:3], v[2:3], v[4:5]
	v_mul_f64 v[4:5], v[116:117], v[54:55]
	v_fmac_f64_e32 v[150:151], v[142:143], v[80:81]
	v_fma_f64 v[4:5], v[114:115], v[56:57], -v[4:5]
	v_add_f64 v[152:153], v[148:149], v[150:151]
	ds_read_b128 v[148:151], v1 offset:1360
	s_waitcnt vmcnt(34) lgkmcnt(1)
	v_mul_f64 v[154:155], v[144:145], v[90:91]
	v_add_f64 v[2:3], v[2:3], v[4:5]
	v_mul_f64 v[4:5], v[122:123], v[66:67]
	s_waitcnt vmcnt(32)
	v_fmac_f64_e32 v[154:155], v[146:147], v[92:93]
	v_fma_f64 v[4:5], v[120:121], v[68:69], -v[4:5]
	v_add_f64 v[156:157], v[152:153], v[154:155]
	ds_read_b128 v[152:155], v1 offset:1376
	v_add_f64 v[2:3], v[2:3], v[4:5]
	v_mul_f64 v[4:5], v[126:127], v[62:63]
	v_fma_f64 v[4:5], v[124:125], v[64:65], -v[4:5]
	v_add_f64 v[2:3], v[2:3], v[4:5]
	v_mul_f64 v[4:5], v[130:131], v[74:75]
	s_waitcnt lgkmcnt(1)
	v_mul_f64 v[158:159], v[148:149], v[86:87]
	v_fma_f64 v[4:5], v[128:129], v[76:77], -v[4:5]
	v_fmac_f64_e32 v[158:159], v[150:151], v[88:89]
	v_add_f64 v[2:3], v[2:3], v[4:5]
	v_mul_f64 v[4:5], v[134:135], v[70:71]
	v_add_f64 v[160:161], v[156:157], v[158:159]
	ds_read_b128 v[156:159], v1 offset:1392
	s_waitcnt vmcnt(26) lgkmcnt(1)
	v_mul_f64 v[162:163], v[152:153], v[98:99]
	v_fma_f64 v[4:5], v[132:133], v[72:73], -v[4:5]
	s_waitcnt vmcnt(24)
	v_fmac_f64_e32 v[162:163], v[154:155], v[100:101]
	v_add_f64 v[2:3], v[2:3], v[4:5]
	v_mul_f64 v[4:5], v[138:139], v[82:83]
	v_add_f64 v[164:165], v[160:161], v[162:163]
	ds_read_b128 v[160:163], v1 offset:1408
	v_fma_f64 v[4:5], v[136:137], v[84:85], -v[4:5]
	v_add_f64 v[2:3], v[2:3], v[4:5]
	v_mul_f64 v[4:5], v[142:143], v[78:79]
	v_fma_f64 v[4:5], v[140:141], v[80:81], -v[4:5]
	s_waitcnt lgkmcnt(1)
	v_mul_f64 v[166:167], v[156:157], v[94:95]
	v_add_f64 v[2:3], v[2:3], v[4:5]
	v_mul_f64 v[4:5], v[146:147], v[90:91]
	v_fmac_f64_e32 v[166:167], v[158:159], v[96:97]
	v_fma_f64 v[4:5], v[144:145], v[92:93], -v[4:5]
	v_add_f64 v[168:169], v[164:165], v[166:167]
	ds_read_b128 v[164:167], v1 offset:1424
	s_waitcnt vmcnt(18) lgkmcnt(1)
	v_mul_f64 v[170:171], v[160:161], v[186:187]
	v_add_f64 v[2:3], v[2:3], v[4:5]
	v_mul_f64 v[4:5], v[150:151], v[86:87]
	s_waitcnt vmcnt(16)
	v_fmac_f64_e32 v[170:171], v[162:163], v[188:189]
	v_fma_f64 v[4:5], v[148:149], v[88:89], -v[4:5]
	v_add_f64 v[172:173], v[168:169], v[170:171]
	ds_read_b128 v[168:171], v1 offset:1440
	v_add_f64 v[2:3], v[2:3], v[4:5]
	v_mul_f64 v[4:5], v[154:155], v[98:99]
	v_fma_f64 v[4:5], v[152:153], v[100:101], -v[4:5]
	v_add_f64 v[2:3], v[2:3], v[4:5]
	v_mul_f64 v[4:5], v[158:159], v[94:95]
	s_waitcnt lgkmcnt(1)
	v_mul_f64 v[174:175], v[164:165], v[118:119]
	v_fma_f64 v[4:5], v[156:157], v[96:97], -v[4:5]
	v_fmac_f64_e32 v[174:175], v[166:167], v[184:185]
	v_add_f64 v[2:3], v[2:3], v[4:5]
	v_mul_f64 v[4:5], v[162:163], v[186:187]
	v_add_f64 v[176:177], v[172:173], v[174:175]
	ds_read_b128 v[172:175], v1 offset:1456
	s_waitcnt vmcnt(10) lgkmcnt(1)
	v_mul_f64 v[178:179], v[168:169], v[194:195]
	v_fma_f64 v[4:5], v[160:161], v[188:189], -v[4:5]
	s_waitcnt vmcnt(8)
	v_fmac_f64_e32 v[178:179], v[170:171], v[196:197]
	v_add_f64 v[2:3], v[2:3], v[4:5]
	v_mul_f64 v[4:5], v[166:167], v[118:119]
	v_add_f64 v[206:207], v[176:177], v[178:179]
	ds_read_b128 v[176:179], v1 offset:1472
	ds_read_b128 v[180:183], v1 offset:1488
	v_fma_f64 v[4:5], v[164:165], v[184:185], -v[4:5]
	v_add_f64 v[2:3], v[2:3], v[4:5]
	v_mul_f64 v[4:5], v[170:171], v[194:195]
	v_fma_f64 v[4:5], v[168:169], v[196:197], -v[4:5]
	v_add_f64 v[2:3], v[2:3], v[4:5]
	s_waitcnt lgkmcnt(2)
	v_mul_f64 v[4:5], v[174:175], v[190:191]
	v_mul_f64 v[208:209], v[172:173], v[190:191]
	v_fma_f64 v[4:5], v[172:173], v[192:193], -v[4:5]
	v_fmac_f64_e32 v[208:209], v[174:175], v[192:193]
	v_add_f64 v[2:3], v[2:3], v[4:5]
	s_waitcnt vmcnt(2) lgkmcnt(1)
	v_mul_f64 v[4:5], v[178:179], v[202:203]
	v_add_f64 v[206:207], v[206:207], v[208:209]
	v_mul_f64 v[208:209], v[176:177], v[202:203]
	s_waitcnt vmcnt(0)
	v_fma_f64 v[4:5], v[176:177], v[204:205], -v[4:5]
	v_fmac_f64_e32 v[208:209], v[178:179], v[204:205]
	v_add_f64 v[2:3], v[2:3], v[4:5]
	s_waitcnt lgkmcnt(0)
	v_mul_f64 v[4:5], v[182:183], v[198:199]
	v_add_f64 v[206:207], v[206:207], v[208:209]
	v_mul_f64 v[208:209], v[180:181], v[198:199]
	v_fma_f64 v[4:5], v[180:181], v[200:201], -v[4:5]
	v_fmac_f64_e32 v[208:209], v[182:183], v[200:201]
	v_add_f64 v[2:3], v[2:3], v[4:5]
	v_add_f64 v[206:207], v[206:207], v[208:209]
	v_add_f64 v[2:3], v[34:35], -v[2:3]
	v_add_f64 v[4:5], v[32:33], -v[206:207]
	buffer_store_dword v3, off, s[0:3], 0 offset:356
	buffer_store_dword v2, off, s[0:3], 0 offset:352
	buffer_store_dword v5, off, s[0:3], 0 offset:364
	buffer_store_dword v4, off, s[0:3], 0 offset:360
	s_and_saveexec_b64 s[4:5], vcc
	s_cbranch_execz .LBB110_255
; %bb.254:
	v_accvgpr_read_b32 v0, a120
	buffer_load_dword v2, v0, s[0:3], 0 offen
	buffer_load_dword v3, v0, s[0:3], 0 offen offset:4
	buffer_load_dword v4, v0, s[0:3], 0 offen offset:8
	;; [unrolled: 1-line block ×3, first 2 shown]
	v_accvgpr_read_b32 v0, a141
	buffer_store_dword v1, off, s[0:3], 0 offset:336
	buffer_store_dword v1, off, s[0:3], 0 offset:340
	;; [unrolled: 1-line block ×4, first 2 shown]
	s_waitcnt vmcnt(4)
	ds_write_b128 v0, v[2:5]
.LBB110_255:
	s_or_b64 exec, exec, s[4:5]
	s_waitcnt lgkmcnt(0)
	; wave barrier
	s_waitcnt lgkmcnt(0)
	buffer_load_dword v26, off, s[0:3], 0 offset:352
	buffer_load_dword v27, off, s[0:3], 0 offset:356
	;; [unrolled: 1-line block ×24, first 2 shown]
	ds_read_b128 v[22:25], v1 offset:1088
	ds_read_b128 v[18:21], v1 offset:1104
	;; [unrolled: 1-line block ×6, first 2 shown]
	buffer_load_dword v51, off, s[0:3], 0 offset:460
	buffer_load_dword v50, off, s[0:3], 0 offset:456
	;; [unrolled: 1-line block ×40, first 2 shown]
	v_cmp_lt_u32_e32 vcc, 19, v254
	s_waitcnt vmcnt(34) lgkmcnt(0)
	v_mul_f64 v[122:123], v[14:15], v[54:55]
	s_waitcnt vmcnt(32)
	v_fmac_f64_e32 v[122:123], v[16:17], v[56:57]
	v_mul_f64 v[90:91], v[22:23], v[28:29]
	v_fmac_f64_e32 v[90:91], v[24:25], v[26:27]
	v_mul_f64 v[92:93], v[18:19], v[30:31]
	v_add_f64 v[90:91], v[90:91], 0
	v_mul_f64 v[94:95], v[10:11], v[32:33]
	v_mul_f64 v[24:25], v[24:25], v[28:29]
	v_mul_f64 v[114:115], v[2:3], v[38:39]
	v_fma_f64 v[22:23], v[22:23], v[26:27], -v[24:25]
	v_add_f64 v[22:23], v[22:23], 0
	v_mul_f64 v[96:97], v[6:7], v[42:43]
	v_fmac_f64_e32 v[92:93], v[20:21], v[48:49]
	v_add_f64 v[90:91], v[90:91], v[92:93]
	v_fmac_f64_e32 v[94:95], v[12:13], v[46:47]
	v_add_f64 v[90:91], v[90:91], v[94:95]
	v_fmac_f64_e32 v[96:97], v[8:9], v[44:45]
	v_add_f64 v[116:117], v[90:91], v[96:97]
	buffer_load_dword v91, off, s[0:3], 0 offset:620
	buffer_load_dword v90, off, s[0:3], 0 offset:616
	;; [unrolled: 1-line block ×40, first 2 shown]
	v_fmac_f64_e32 v[114:115], v[4:5], v[40:41]
	v_add_f64 v[120:121], v[116:117], v[114:115]
	ds_read_b128 v[114:117], v1 offset:1184
	buffer_load_dword v211, off, s[0:3], 0 offset:764
	buffer_load_dword v210, off, s[0:3], 0 offset:760
	;; [unrolled: 1-line block ×4, first 2 shown]
	v_add_f64 v[124:125], v[120:121], v[122:123]
	ds_read_b128 v[120:123], v1 offset:1200
	v_mul_f64 v[20:21], v[20:21], v[30:31]
	s_waitcnt lgkmcnt(1)
	v_mul_f64 v[126:127], v[114:115], v[50:51]
	v_fmac_f64_e32 v[126:127], v[116:117], v[52:53]
	v_add_f64 v[128:129], v[124:125], v[126:127]
	ds_read_b128 v[124:127], v1 offset:1216
	s_waitcnt vmcnt(62) lgkmcnt(1)
	v_mul_f64 v[130:131], v[120:121], v[62:63]
	v_fmac_f64_e32 v[130:131], v[122:123], v[64:65]
	v_add_f64 v[132:133], v[128:129], v[130:131]
	ds_read_b128 v[128:131], v1 offset:1232
	s_waitcnt lgkmcnt(1)
	v_mul_f64 v[134:135], v[124:125], v[58:59]
	v_fmac_f64_e32 v[134:135], v[126:127], v[60:61]
	v_add_f64 v[136:137], v[132:133], v[134:135]
	ds_read_b128 v[132:135], v1 offset:1248
	s_waitcnt lgkmcnt(1)
	v_mul_f64 v[138:139], v[128:129], v[70:71]
	s_waitcnt vmcnt(60)
	v_fmac_f64_e32 v[138:139], v[130:131], v[72:73]
	v_add_f64 v[140:141], v[136:137], v[138:139]
	ds_read_b128 v[136:139], v1 offset:1264
	s_waitcnt lgkmcnt(1)
	v_mul_f64 v[142:143], v[132:133], v[66:67]
	v_fmac_f64_e32 v[142:143], v[134:135], v[68:69]
	v_add_f64 v[144:145], v[140:141], v[142:143]
	ds_read_b128 v[140:143], v1 offset:1280
	s_waitcnt vmcnt(54) lgkmcnt(1)
	v_mul_f64 v[146:147], v[136:137], v[78:79]
	s_waitcnt vmcnt(52)
	v_fmac_f64_e32 v[146:147], v[138:139], v[80:81]
	v_add_f64 v[148:149], v[144:145], v[146:147]
	ds_read_b128 v[144:147], v1 offset:1296
	s_waitcnt lgkmcnt(1)
	v_mul_f64 v[150:151], v[140:141], v[74:75]
	v_fmac_f64_e32 v[150:151], v[142:143], v[76:77]
	v_fma_f64 v[18:19], v[18:19], v[48:49], -v[20:21]
	v_mul_f64 v[12:13], v[12:13], v[32:33]
	v_add_f64 v[152:153], v[148:149], v[150:151]
	ds_read_b128 v[148:151], v1 offset:1312
	v_add_f64 v[18:19], v[22:23], v[18:19]
	v_fma_f64 v[10:11], v[10:11], v[46:47], -v[12:13]
	v_mul_f64 v[8:9], v[8:9], v[42:43]
	v_add_f64 v[10:11], v[18:19], v[10:11]
	v_fma_f64 v[6:7], v[6:7], v[44:45], -v[8:9]
	v_mul_f64 v[4:5], v[4:5], v[38:39]
	;; [unrolled: 3-line block ×3, first 2 shown]
	s_waitcnt vmcnt(46) lgkmcnt(1)
	v_mul_f64 v[154:155], v[144:145], v[86:87]
	v_add_f64 v[2:3], v[6:7], v[2:3]
	v_fma_f64 v[4:5], v[14:15], v[56:57], -v[4:5]
	s_waitcnt vmcnt(44)
	v_fmac_f64_e32 v[154:155], v[146:147], v[88:89]
	v_add_f64 v[2:3], v[2:3], v[4:5]
	v_mul_f64 v[4:5], v[116:117], v[50:51]
	v_add_f64 v[156:157], v[152:153], v[154:155]
	ds_read_b128 v[152:155], v1 offset:1328
	s_waitcnt lgkmcnt(1)
	v_mul_f64 v[158:159], v[148:149], v[82:83]
	v_fma_f64 v[4:5], v[114:115], v[52:53], -v[4:5]
	v_fmac_f64_e32 v[158:159], v[150:151], v[84:85]
	v_add_f64 v[2:3], v[2:3], v[4:5]
	v_mul_f64 v[4:5], v[122:123], v[62:63]
	v_add_f64 v[160:161], v[156:157], v[158:159]
	ds_read_b128 v[156:159], v1 offset:1344
	v_fma_f64 v[4:5], v[120:121], v[64:65], -v[4:5]
	v_add_f64 v[2:3], v[2:3], v[4:5]
	v_mul_f64 v[4:5], v[126:127], v[58:59]
	v_fma_f64 v[4:5], v[124:125], v[60:61], -v[4:5]
	s_waitcnt vmcnt(38) lgkmcnt(1)
	v_mul_f64 v[162:163], v[152:153], v[94:95]
	v_add_f64 v[2:3], v[2:3], v[4:5]
	v_mul_f64 v[4:5], v[130:131], v[70:71]
	s_waitcnt vmcnt(36)
	v_fmac_f64_e32 v[162:163], v[154:155], v[96:97]
	v_fma_f64 v[4:5], v[128:129], v[72:73], -v[4:5]
	v_add_f64 v[164:165], v[160:161], v[162:163]
	ds_read_b128 v[160:163], v1 offset:1360
	s_waitcnt lgkmcnt(1)
	v_mul_f64 v[166:167], v[156:157], v[90:91]
	v_add_f64 v[2:3], v[2:3], v[4:5]
	v_mul_f64 v[4:5], v[134:135], v[66:67]
	v_fmac_f64_e32 v[166:167], v[158:159], v[92:93]
	v_fma_f64 v[4:5], v[132:133], v[68:69], -v[4:5]
	v_add_f64 v[168:169], v[164:165], v[166:167]
	ds_read_b128 v[164:167], v1 offset:1376
	v_add_f64 v[2:3], v[2:3], v[4:5]
	v_mul_f64 v[4:5], v[138:139], v[78:79]
	v_fma_f64 v[4:5], v[136:137], v[80:81], -v[4:5]
	v_add_f64 v[2:3], v[2:3], v[4:5]
	v_mul_f64 v[4:5], v[142:143], v[74:75]
	s_waitcnt vmcnt(30) lgkmcnt(1)
	v_mul_f64 v[170:171], v[160:161], v[102:103]
	v_fma_f64 v[4:5], v[140:141], v[76:77], -v[4:5]
	s_waitcnt vmcnt(28)
	v_fmac_f64_e32 v[170:171], v[162:163], v[104:105]
	v_add_f64 v[2:3], v[2:3], v[4:5]
	v_mul_f64 v[4:5], v[146:147], v[86:87]
	v_add_f64 v[172:173], v[168:169], v[170:171]
	ds_read_b128 v[168:171], v1 offset:1392
	s_waitcnt lgkmcnt(1)
	v_mul_f64 v[174:175], v[164:165], v[98:99]
	v_fma_f64 v[4:5], v[144:145], v[88:89], -v[4:5]
	v_fmac_f64_e32 v[174:175], v[166:167], v[100:101]
	v_add_f64 v[2:3], v[2:3], v[4:5]
	v_mul_f64 v[4:5], v[150:151], v[82:83]
	v_add_f64 v[176:177], v[172:173], v[174:175]
	ds_read_b128 v[172:175], v1 offset:1408
	v_fma_f64 v[4:5], v[148:149], v[84:85], -v[4:5]
	v_add_f64 v[2:3], v[2:3], v[4:5]
	v_mul_f64 v[4:5], v[154:155], v[94:95]
	v_fma_f64 v[4:5], v[152:153], v[96:97], -v[4:5]
	s_waitcnt vmcnt(22) lgkmcnt(1)
	v_mul_f64 v[178:179], v[168:169], v[110:111]
	v_add_f64 v[2:3], v[2:3], v[4:5]
	v_mul_f64 v[4:5], v[158:159], v[90:91]
	s_waitcnt vmcnt(20)
	v_fmac_f64_e32 v[178:179], v[170:171], v[112:113]
	v_fma_f64 v[4:5], v[156:157], v[92:93], -v[4:5]
	v_add_f64 v[180:181], v[176:177], v[178:179]
	ds_read_b128 v[176:179], v1 offset:1424
	s_waitcnt lgkmcnt(1)
	v_mul_f64 v[182:183], v[172:173], v[106:107]
	v_add_f64 v[2:3], v[2:3], v[4:5]
	v_mul_f64 v[4:5], v[162:163], v[102:103]
	v_fmac_f64_e32 v[182:183], v[174:175], v[108:109]
	v_fma_f64 v[4:5], v[160:161], v[104:105], -v[4:5]
	v_add_f64 v[184:185], v[180:181], v[182:183]
	ds_read_b128 v[180:183], v1 offset:1440
	v_add_f64 v[2:3], v[2:3], v[4:5]
	v_mul_f64 v[4:5], v[166:167], v[98:99]
	v_fma_f64 v[4:5], v[164:165], v[100:101], -v[4:5]
	v_add_f64 v[2:3], v[2:3], v[4:5]
	v_mul_f64 v[4:5], v[170:171], v[110:111]
	s_waitcnt vmcnt(14) lgkmcnt(1)
	v_mul_f64 v[186:187], v[176:177], v[198:199]
	v_fma_f64 v[4:5], v[168:169], v[112:113], -v[4:5]
	s_waitcnt vmcnt(12)
	v_fmac_f64_e32 v[186:187], v[178:179], v[200:201]
	v_add_f64 v[2:3], v[2:3], v[4:5]
	v_mul_f64 v[4:5], v[174:175], v[106:107]
	v_add_f64 v[188:189], v[184:185], v[186:187]
	ds_read_b128 v[184:187], v1 offset:1456
	s_waitcnt lgkmcnt(1)
	v_mul_f64 v[190:191], v[180:181], v[118:119]
	v_fma_f64 v[4:5], v[172:173], v[108:109], -v[4:5]
	v_fmac_f64_e32 v[190:191], v[182:183], v[196:197]
	v_add_f64 v[2:3], v[2:3], v[4:5]
	v_mul_f64 v[4:5], v[178:179], v[198:199]
	v_add_f64 v[214:215], v[188:189], v[190:191]
	ds_read_b128 v[188:191], v1 offset:1472
	v_fma_f64 v[4:5], v[176:177], v[200:201], -v[4:5]
	v_add_f64 v[2:3], v[2:3], v[4:5]
	v_mul_f64 v[4:5], v[182:183], v[118:119]
	ds_read_b128 v[192:195], v1 offset:1488
	v_fma_f64 v[4:5], v[180:181], v[196:197], -v[4:5]
	v_add_f64 v[2:3], v[2:3], v[4:5]
	s_waitcnt vmcnt(6) lgkmcnt(2)
	v_mul_f64 v[4:5], v[186:187], v[206:207]
	v_mul_f64 v[216:217], v[184:185], v[206:207]
	s_waitcnt vmcnt(4)
	v_fma_f64 v[4:5], v[184:185], v[208:209], -v[4:5]
	v_fmac_f64_e32 v[216:217], v[186:187], v[208:209]
	v_add_f64 v[2:3], v[2:3], v[4:5]
	s_waitcnt lgkmcnt(1)
	v_mul_f64 v[4:5], v[190:191], v[202:203]
	v_add_f64 v[214:215], v[214:215], v[216:217]
	v_mul_f64 v[216:217], v[188:189], v[202:203]
	v_fma_f64 v[4:5], v[188:189], v[204:205], -v[4:5]
	v_fmac_f64_e32 v[216:217], v[190:191], v[204:205]
	v_add_f64 v[2:3], v[2:3], v[4:5]
	s_waitcnt vmcnt(2) lgkmcnt(0)
	v_mul_f64 v[4:5], v[194:195], v[210:211]
	v_add_f64 v[214:215], v[214:215], v[216:217]
	v_mul_f64 v[216:217], v[192:193], v[210:211]
	s_waitcnt vmcnt(0)
	v_fma_f64 v[4:5], v[192:193], v[212:213], -v[4:5]
	v_fmac_f64_e32 v[216:217], v[194:195], v[212:213]
	v_add_f64 v[2:3], v[2:3], v[4:5]
	v_add_f64 v[214:215], v[214:215], v[216:217]
	v_add_f64 v[2:3], v[36:37], -v[2:3]
	v_add_f64 v[4:5], v[34:35], -v[214:215]
	buffer_store_dword v3, off, s[0:3], 0 offset:340
	buffer_store_dword v2, off, s[0:3], 0 offset:336
	;; [unrolled: 1-line block ×4, first 2 shown]
	s_and_saveexec_b64 s[4:5], vcc
	s_cbranch_execz .LBB110_257
; %bb.256:
	v_accvgpr_read_b32 v0, a121
	buffer_load_dword v2, v0, s[0:3], 0 offen
	buffer_load_dword v3, v0, s[0:3], 0 offen offset:4
	buffer_load_dword v4, v0, s[0:3], 0 offen offset:8
	;; [unrolled: 1-line block ×3, first 2 shown]
	v_mov_b32_e32 v0, 0
	v_accvgpr_read_b32 v1, a141
	buffer_store_dword v0, off, s[0:3], 0 offset:320
	buffer_store_dword v0, off, s[0:3], 0 offset:324
	;; [unrolled: 1-line block ×4, first 2 shown]
	s_waitcnt vmcnt(4)
	ds_write_b128 v1, v[2:5]
.LBB110_257:
	s_or_b64 exec, exec, s[4:5]
	s_waitcnt lgkmcnt(0)
	; wave barrier
	s_waitcnt lgkmcnt(0)
	buffer_load_dword v30, off, s[0:3], 0 offset:336
	buffer_load_dword v31, off, s[0:3], 0 offset:340
	buffer_load_dword v34, off, s[0:3], 0 offset:344
	buffer_load_dword v35, off, s[0:3], 0 offset:348
	buffer_load_dword v32, off, s[0:3], 0 offset:352
	buffer_load_dword v33, off, s[0:3], 0 offset:356
	buffer_load_dword v36, off, s[0:3], 0 offset:360
	buffer_load_dword v37, off, s[0:3], 0 offset:364
	buffer_load_dword v38, off, s[0:3], 0 offset:376
	buffer_load_dword v39, off, s[0:3], 0 offset:380
	buffer_load_dword v41, off, s[0:3], 0 offset:412
	buffer_load_dword v40, off, s[0:3], 0 offset:408
	buffer_load_dword v43, off, s[0:3], 0 offset:404
	buffer_load_dword v42, off, s[0:3], 0 offset:400
	buffer_load_dword v49, off, s[0:3], 0 offset:396
	buffer_load_dword v48, off, s[0:3], 0 offset:392
	buffer_load_dword v51, off, s[0:3], 0 offset:444
	buffer_load_dword v53, off, s[0:3], 0 offset:436
	buffer_load_dword v55, off, s[0:3], 0 offset:428
	buffer_load_dword v54, off, s[0:3], 0 offset:424
	buffer_load_dword v60, off, s[0:3], 0 offset:368
	buffer_load_dword v61, off, s[0:3], 0 offset:372
	buffer_load_dword v59, off, s[0:3], 0 offset:388
	buffer_load_dword v58, off, s[0:3], 0 offset:384
	buffer_load_dword v57, off, s[0:3], 0 offset:420
	buffer_load_dword v56, off, s[0:3], 0 offset:416
	buffer_load_dword v50, off, s[0:3], 0 offset:440
	buffer_load_dword v52, off, s[0:3], 0 offset:432
	buffer_load_dword v46, off, s[0:3], 0 offset:320
	buffer_load_dword v47, off, s[0:3], 0 offset:324
	buffer_load_dword v44, off, s[0:3], 0 offset:328
	buffer_load_dword v45, off, s[0:3], 0 offset:332
	buffer_load_dword v63, off, s[0:3], 0 offset:476
	buffer_load_dword v62, off, s[0:3], 0 offset:472
	buffer_load_dword v65, off, s[0:3], 0 offset:468
	buffer_load_dword v64, off, s[0:3], 0 offset:464
	buffer_load_dword v67, off, s[0:3], 0 offset:460
	buffer_load_dword v66, off, s[0:3], 0 offset:456
	buffer_load_dword v69, off, s[0:3], 0 offset:452
	buffer_load_dword v68, off, s[0:3], 0 offset:448
	buffer_load_dword v71, off, s[0:3], 0 offset:508
	buffer_load_dword v70, off, s[0:3], 0 offset:504
	buffer_load_dword v73, off, s[0:3], 0 offset:500
	buffer_load_dword v72, off, s[0:3], 0 offset:496
	buffer_load_dword v75, off, s[0:3], 0 offset:492
	buffer_load_dword v74, off, s[0:3], 0 offset:488
	buffer_load_dword v77, off, s[0:3], 0 offset:484
	buffer_load_dword v76, off, s[0:3], 0 offset:480
	buffer_load_dword v79, off, s[0:3], 0 offset:540
	buffer_load_dword v78, off, s[0:3], 0 offset:536
	buffer_load_dword v81, off, s[0:3], 0 offset:532
	buffer_load_dword v80, off, s[0:3], 0 offset:528
	buffer_load_dword v83, off, s[0:3], 0 offset:524
	buffer_load_dword v82, off, s[0:3], 0 offset:520
	buffer_load_dword v85, off, s[0:3], 0 offset:516
	buffer_load_dword v84, off, s[0:3], 0 offset:512
	v_mov_b32_e32 v1, 0
	ds_read_b128 v[26:29], v1 offset:1072
	ds_read_b128 v[22:25], v1 offset:1088
	;; [unrolled: 1-line block ×7, first 2 shown]
	v_cmp_lt_u32_e32 vcc, 18, v254
	s_waitcnt vmcnt(52) lgkmcnt(6)
	v_mul_f64 v[86:87], v[26:27], v[34:35]
	v_fmac_f64_e32 v[86:87], v[28:29], v[30:31]
	v_add_f64 v[86:87], v[86:87], 0
	v_mul_f64 v[28:29], v[28:29], v[34:35]
	s_waitcnt vmcnt(48) lgkmcnt(5)
	v_mul_f64 v[88:89], v[22:23], v[36:37]
	v_fmac_f64_e32 v[88:89], v[24:25], v[32:33]
	s_waitcnt vmcnt(46) lgkmcnt(4)
	v_mul_f64 v[90:91], v[18:19], v[38:39]
	v_add_f64 v[86:87], v[86:87], v[88:89]
	s_waitcnt vmcnt(44) lgkmcnt(2)
	v_mul_f64 v[94:95], v[10:11], v[40:41]
	v_fma_f64 v[26:27], v[26:27], v[30:31], -v[28:29]
	s_waitcnt vmcnt(42)
	v_fmac_f64_e32 v[94:95], v[12:13], v[42:43]
	v_mul_f64 v[24:25], v[24:25], v[36:37]
	s_waitcnt vmcnt(40)
	v_mul_f64 v[92:93], v[14:15], v[48:49]
	v_add_f64 v[26:27], v[26:27], 0
	v_fma_f64 v[22:23], v[22:23], v[32:33], -v[24:25]
	v_add_f64 v[22:23], v[26:27], v[22:23]
	s_waitcnt vmcnt(36) lgkmcnt(1)
	v_mul_f64 v[110:111], v[6:7], v[54:55]
	v_mul_f64 v[12:13], v[12:13], v[40:41]
	s_waitcnt vmcnt(34)
	v_fmac_f64_e32 v[90:91], v[20:21], v[60:61]
	v_add_f64 v[86:87], v[86:87], v[90:91]
	s_waitcnt vmcnt(32)
	v_fmac_f64_e32 v[92:93], v[16:17], v[58:59]
	v_add_f64 v[86:87], v[86:87], v[92:93]
	v_add_f64 v[116:117], v[86:87], v[94:95]
	buffer_load_dword v87, off, s[0:3], 0 offset:572
	buffer_load_dword v86, off, s[0:3], 0 offset:568
	;; [unrolled: 1-line block ×56, first 2 shown]
	ds_read_b128 v[126:129], v1 offset:1184
	ds_read_b128 v[130:133], v1 offset:1200
	v_mul_f64 v[20:21], v[20:21], v[38:39]
	v_fma_f64 v[18:19], v[18:19], v[60:61], -v[20:21]
	v_mul_f64 v[16:17], v[16:17], v[48:49]
	s_waitcnt vmcnt(62)
	v_fmac_f64_e32 v[110:111], v[8:9], v[56:57]
	v_add_f64 v[18:19], v[22:23], v[18:19]
	v_fma_f64 v[14:15], v[14:15], v[58:59], -v[16:17]
	v_add_f64 v[110:111], v[116:117], v[110:111]
	s_waitcnt lgkmcnt(2)
	v_mul_f64 v[116:117], v[2:3], v[50:51]
	v_add_f64 v[14:15], v[18:19], v[14:15]
	v_fma_f64 v[10:11], v[10:11], v[42:43], -v[12:13]
	v_mul_f64 v[8:9], v[8:9], v[54:55]
	v_fmac_f64_e32 v[116:117], v[4:5], v[52:53]
	ds_read_b128 v[134:137], v1 offset:1216
	ds_read_b128 v[138:141], v1 offset:1232
	v_add_f64 v[10:11], v[14:15], v[10:11]
	v_fma_f64 v[6:7], v[6:7], v[56:57], -v[8:9]
	v_mul_f64 v[4:5], v[4:5], v[50:51]
	v_add_f64 v[6:7], v[10:11], v[6:7]
	v_fma_f64 v[2:3], v[2:3], v[52:53], -v[4:5]
	s_waitcnt lgkmcnt(3)
	v_mul_f64 v[4:5], v[128:129], v[66:67]
	v_add_f64 v[110:111], v[110:111], v[116:117]
	v_mul_f64 v[116:117], v[126:127], v[66:67]
	v_add_f64 v[2:3], v[6:7], v[2:3]
	v_fma_f64 v[4:5], v[126:127], v[68:69], -v[4:5]
	v_fmac_f64_e32 v[116:117], v[128:129], v[68:69]
	v_add_f64 v[2:3], v[2:3], v[4:5]
	s_waitcnt lgkmcnt(2)
	v_mul_f64 v[4:5], v[132:133], v[62:63]
	v_add_f64 v[110:111], v[110:111], v[116:117]
	v_mul_f64 v[116:117], v[130:131], v[62:63]
	ds_read_b128 v[142:145], v1 offset:1248
	ds_read_b128 v[146:149], v1 offset:1264
	v_fma_f64 v[4:5], v[130:131], v[64:65], -v[4:5]
	v_fmac_f64_e32 v[116:117], v[132:133], v[64:65]
	v_add_f64 v[2:3], v[2:3], v[4:5]
	s_waitcnt lgkmcnt(3)
	v_mul_f64 v[4:5], v[136:137], v[74:75]
	v_add_f64 v[110:111], v[110:111], v[116:117]
	v_mul_f64 v[116:117], v[134:135], v[74:75]
	v_fma_f64 v[4:5], v[134:135], v[76:77], -v[4:5]
	v_fmac_f64_e32 v[116:117], v[136:137], v[76:77]
	v_add_f64 v[2:3], v[2:3], v[4:5]
	s_waitcnt lgkmcnt(2)
	v_mul_f64 v[4:5], v[140:141], v[70:71]
	v_add_f64 v[110:111], v[110:111], v[116:117]
	v_mul_f64 v[116:117], v[138:139], v[70:71]
	ds_read_b128 v[150:153], v1 offset:1280
	ds_read_b128 v[154:157], v1 offset:1296
	v_fma_f64 v[4:5], v[138:139], v[72:73], -v[4:5]
	v_fmac_f64_e32 v[116:117], v[140:141], v[72:73]
	v_add_f64 v[2:3], v[2:3], v[4:5]
	s_waitcnt vmcnt(58) lgkmcnt(3)
	v_mul_f64 v[4:5], v[144:145], v[82:83]
	v_add_f64 v[110:111], v[110:111], v[116:117]
	v_mul_f64 v[116:117], v[142:143], v[82:83]
	s_waitcnt vmcnt(56)
	v_fma_f64 v[4:5], v[142:143], v[84:85], -v[4:5]
	v_fmac_f64_e32 v[116:117], v[144:145], v[84:85]
	v_add_f64 v[2:3], v[2:3], v[4:5]
	s_waitcnt lgkmcnt(2)
	v_mul_f64 v[4:5], v[148:149], v[78:79]
	v_add_f64 v[110:111], v[110:111], v[116:117]
	v_mul_f64 v[116:117], v[146:147], v[78:79]
	ds_read_b128 v[158:161], v1 offset:1312
	ds_read_b128 v[162:165], v1 offset:1328
	v_fma_f64 v[4:5], v[146:147], v[80:81], -v[4:5]
	v_fmac_f64_e32 v[116:117], v[148:149], v[80:81]
	v_add_f64 v[2:3], v[2:3], v[4:5]
	s_waitcnt vmcnt(50) lgkmcnt(3)
	v_mul_f64 v[4:5], v[152:153], v[90:91]
	v_add_f64 v[110:111], v[110:111], v[116:117]
	v_mul_f64 v[116:117], v[150:151], v[90:91]
	s_waitcnt vmcnt(48)
	;; [unrolled: 17-line block ×7, first 2 shown]
	v_fma_f64 v[4:5], v[190:191], v[216:217], -v[4:5]
	v_fmac_f64_e32 v[116:117], v[192:193], v[216:217]
	v_add_f64 v[2:3], v[2:3], v[4:5]
	s_waitcnt lgkmcnt(2)
	v_mul_f64 v[4:5], v[196:197], v[206:207]
	v_add_f64 v[110:111], v[110:111], v[116:117]
	v_mul_f64 v[116:117], v[194:195], v[206:207]
	v_fma_f64 v[4:5], v[194:195], v[208:209], -v[4:5]
	v_fmac_f64_e32 v[116:117], v[196:197], v[208:209]
	v_add_f64 v[2:3], v[2:3], v[4:5]
	s_waitcnt vmcnt(2) lgkmcnt(1)
	v_mul_f64 v[4:5], v[200:201], v[222:223]
	v_add_f64 v[110:111], v[110:111], v[116:117]
	v_mul_f64 v[116:117], v[198:199], v[222:223]
	s_waitcnt vmcnt(0)
	v_fma_f64 v[4:5], v[198:199], v[224:225], -v[4:5]
	v_fmac_f64_e32 v[116:117], v[200:201], v[224:225]
	v_add_f64 v[2:3], v[2:3], v[4:5]
	s_waitcnt lgkmcnt(0)
	v_mul_f64 v[4:5], v[214:215], v[218:219]
	v_add_f64 v[110:111], v[110:111], v[116:117]
	v_mul_f64 v[116:117], v[212:213], v[218:219]
	v_fma_f64 v[4:5], v[212:213], v[220:221], -v[4:5]
	v_fmac_f64_e32 v[116:117], v[214:215], v[220:221]
	v_add_f64 v[2:3], v[2:3], v[4:5]
	v_add_f64 v[110:111], v[110:111], v[116:117]
	v_add_f64 v[2:3], v[46:47], -v[2:3]
	v_add_f64 v[4:5], v[44:45], -v[110:111]
	buffer_store_dword v3, off, s[0:3], 0 offset:324
	buffer_store_dword v2, off, s[0:3], 0 offset:320
	buffer_store_dword v5, off, s[0:3], 0 offset:332
	buffer_store_dword v4, off, s[0:3], 0 offset:328
	s_and_saveexec_b64 s[4:5], vcc
	s_cbranch_execz .LBB110_259
; %bb.258:
	v_accvgpr_read_b32 v0, a122
	buffer_load_dword v2, v0, s[0:3], 0 offen
	buffer_load_dword v3, v0, s[0:3], 0 offen offset:4
	buffer_load_dword v4, v0, s[0:3], 0 offen offset:8
	;; [unrolled: 1-line block ×3, first 2 shown]
	v_accvgpr_read_b32 v0, a141
	buffer_store_dword v1, off, s[0:3], 0 offset:304
	buffer_store_dword v1, off, s[0:3], 0 offset:308
	;; [unrolled: 1-line block ×4, first 2 shown]
	s_waitcnt vmcnt(4)
	ds_write_b128 v0, v[2:5]
.LBB110_259:
	s_or_b64 exec, exec, s[4:5]
	s_waitcnt lgkmcnt(0)
	; wave barrier
	s_waitcnt lgkmcnt(0)
	buffer_load_dword v34, off, s[0:3], 0 offset:320
	buffer_load_dword v35, off, s[0:3], 0 offset:324
	;; [unrolled: 1-line block ×32, first 2 shown]
	ds_read_b128 v[30:33], v1 offset:1056
	ds_read_b128 v[26:29], v1 offset:1072
	;; [unrolled: 1-line block ×8, first 2 shown]
	buffer_load_dword v67, off, s[0:3], 0 offset:460
	buffer_load_dword v66, off, s[0:3], 0 offset:456
	;; [unrolled: 1-line block ×24, first 2 shown]
	v_cmp_lt_u32_e32 vcc, 17, v254
	s_waitcnt vmcnt(52) lgkmcnt(7)
	v_mul_f64 v[90:91], v[30:31], v[38:39]
	v_fmac_f64_e32 v[90:91], v[32:33], v[34:35]
	v_add_f64 v[90:91], v[90:91], 0
	v_mul_f64 v[32:33], v[32:33], v[38:39]
	s_waitcnt vmcnt(48) lgkmcnt(6)
	v_mul_f64 v[92:93], v[26:27], v[40:41]
	v_fmac_f64_e32 v[92:93], v[28:29], v[36:37]
	s_waitcnt vmcnt(46) lgkmcnt(5)
	v_mul_f64 v[94:95], v[22:23], v[42:43]
	v_add_f64 v[90:91], v[90:91], v[92:93]
	s_waitcnt vmcnt(44) lgkmcnt(4)
	v_mul_f64 v[96:97], v[18:19], v[48:49]
	v_fma_f64 v[30:31], v[30:31], v[34:35], -v[32:33]
	s_waitcnt vmcnt(42) lgkmcnt(1)
	v_mul_f64 v[124:125], v[2:3], v[50:51]
	v_mul_f64 v[28:29], v[28:29], v[40:41]
	s_waitcnt vmcnt(18) lgkmcnt(0)
	v_mul_f64 v[138:139], v[14:15], v[70:71]
	v_mul_f64 v[100:101], v[6:7], v[54:55]
	s_waitcnt vmcnt(16)
	v_fmac_f64_e32 v[138:139], v[16:17], v[72:73]
	v_mul_f64 v[98:99], v[10:11], v[56:57]
	v_add_f64 v[30:31], v[30:31], 0
	v_fmac_f64_e32 v[98:99], v[12:13], v[58:59]
	v_fma_f64 v[26:27], v[26:27], v[36:37], -v[28:29]
	v_fmac_f64_e32 v[94:95], v[24:25], v[64:65]
	v_add_f64 v[90:91], v[90:91], v[94:95]
	v_fmac_f64_e32 v[96:97], v[20:21], v[62:63]
	v_add_f64 v[90:91], v[90:91], v[96:97]
	;; [unrolled: 2-line block ×3, first 2 shown]
	v_add_f64 v[126:127], v[90:91], v[100:101]
	buffer_load_dword v91, off, s[0:3], 0 offset:556
	buffer_load_dword v90, off, s[0:3], 0 offset:552
	;; [unrolled: 1-line block ×56, first 2 shown]
	v_fmac_f64_e32 v[124:125], v[4:5], v[52:53]
	v_add_f64 v[136:137], v[126:127], v[124:125]
	ds_read_b128 v[124:127], v1 offset:1184
	buffer_load_dword v227, off, s[0:3], 0 offset:764
	buffer_load_dword v226, off, s[0:3], 0 offset:760
	;; [unrolled: 1-line block ×4, first 2 shown]
	v_add_f64 v[140:141], v[136:137], v[138:139]
	ds_read_b128 v[136:139], v1 offset:1200
	v_mul_f64 v[24:25], v[24:25], v[42:43]
	s_waitcnt lgkmcnt(1)
	v_mul_f64 v[142:143], v[124:125], v[66:67]
	v_fmac_f64_e32 v[142:143], v[126:127], v[68:69]
	v_add_f64 v[144:145], v[140:141], v[142:143]
	ds_read_b128 v[140:143], v1 offset:1216
	s_waitcnt vmcnt(62) lgkmcnt(1)
	v_mul_f64 v[146:147], v[136:137], v[78:79]
	v_fmac_f64_e32 v[146:147], v[138:139], v[80:81]
	v_add_f64 v[148:149], v[144:145], v[146:147]
	ds_read_b128 v[144:147], v1 offset:1232
	s_waitcnt lgkmcnt(1)
	v_mul_f64 v[150:151], v[140:141], v[74:75]
	v_fmac_f64_e32 v[150:151], v[142:143], v[76:77]
	v_add_f64 v[152:153], v[148:149], v[150:151]
	ds_read_b128 v[148:151], v1 offset:1248
	s_waitcnt lgkmcnt(1)
	v_mul_f64 v[154:155], v[144:145], v[86:87]
	s_waitcnt vmcnt(60)
	v_fmac_f64_e32 v[154:155], v[146:147], v[88:89]
	v_add_f64 v[156:157], v[152:153], v[154:155]
	ds_read_b128 v[152:155], v1 offset:1264
	s_waitcnt lgkmcnt(1)
	v_mul_f64 v[158:159], v[148:149], v[82:83]
	v_fmac_f64_e32 v[158:159], v[150:151], v[84:85]
	v_add_f64 v[160:161], v[156:157], v[158:159]
	ds_read_b128 v[156:159], v1 offset:1280
	v_add_f64 v[26:27], v[30:31], v[26:27]
	v_fma_f64 v[22:23], v[22:23], v[64:65], -v[24:25]
	s_waitcnt vmcnt(54) lgkmcnt(1)
	v_mul_f64 v[162:163], v[152:153], v[94:95]
	v_mul_f64 v[20:21], v[20:21], v[48:49]
	s_waitcnt vmcnt(52)
	v_fmac_f64_e32 v[162:163], v[154:155], v[96:97]
	v_add_f64 v[164:165], v[160:161], v[162:163]
	ds_read_b128 v[160:163], v1 offset:1296
	s_waitcnt lgkmcnt(1)
	v_mul_f64 v[166:167], v[156:157], v[90:91]
	v_fmac_f64_e32 v[166:167], v[158:159], v[92:93]
	v_add_f64 v[22:23], v[26:27], v[22:23]
	v_fma_f64 v[18:19], v[18:19], v[62:63], -v[20:21]
	v_mul_f64 v[12:13], v[12:13], v[56:57]
	v_add_f64 v[168:169], v[164:165], v[166:167]
	ds_read_b128 v[164:167], v1 offset:1312
	v_add_f64 v[18:19], v[22:23], v[18:19]
	v_fma_f64 v[10:11], v[10:11], v[58:59], -v[12:13]
	v_mul_f64 v[8:9], v[8:9], v[54:55]
	v_add_f64 v[10:11], v[18:19], v[10:11]
	v_fma_f64 v[6:7], v[6:7], v[60:61], -v[8:9]
	v_mul_f64 v[4:5], v[4:5], v[50:51]
	;; [unrolled: 3-line block ×3, first 2 shown]
	s_waitcnt vmcnt(46) lgkmcnt(1)
	v_mul_f64 v[170:171], v[160:161], v[102:103]
	v_add_f64 v[2:3], v[6:7], v[2:3]
	v_fma_f64 v[4:5], v[14:15], v[72:73], -v[4:5]
	s_waitcnt vmcnt(44)
	v_fmac_f64_e32 v[170:171], v[162:163], v[104:105]
	v_add_f64 v[2:3], v[2:3], v[4:5]
	v_mul_f64 v[4:5], v[126:127], v[66:67]
	v_add_f64 v[172:173], v[168:169], v[170:171]
	ds_read_b128 v[168:171], v1 offset:1328
	s_waitcnt lgkmcnt(1)
	v_mul_f64 v[174:175], v[164:165], v[98:99]
	v_fma_f64 v[4:5], v[124:125], v[68:69], -v[4:5]
	v_fmac_f64_e32 v[174:175], v[166:167], v[100:101]
	v_add_f64 v[2:3], v[2:3], v[4:5]
	v_mul_f64 v[4:5], v[138:139], v[78:79]
	v_add_f64 v[176:177], v[172:173], v[174:175]
	ds_read_b128 v[172:175], v1 offset:1344
	v_fma_f64 v[4:5], v[136:137], v[80:81], -v[4:5]
	v_add_f64 v[2:3], v[2:3], v[4:5]
	v_mul_f64 v[4:5], v[142:143], v[74:75]
	v_fma_f64 v[4:5], v[140:141], v[76:77], -v[4:5]
	s_waitcnt vmcnt(38) lgkmcnt(1)
	v_mul_f64 v[178:179], v[168:169], v[110:111]
	v_add_f64 v[2:3], v[2:3], v[4:5]
	v_mul_f64 v[4:5], v[146:147], v[86:87]
	s_waitcnt vmcnt(36)
	v_fmac_f64_e32 v[178:179], v[170:171], v[112:113]
	v_fma_f64 v[4:5], v[144:145], v[88:89], -v[4:5]
	v_add_f64 v[180:181], v[176:177], v[178:179]
	ds_read_b128 v[176:179], v1 offset:1360
	s_waitcnt lgkmcnt(1)
	v_mul_f64 v[182:183], v[172:173], v[106:107]
	v_add_f64 v[2:3], v[2:3], v[4:5]
	v_mul_f64 v[4:5], v[150:151], v[82:83]
	v_fmac_f64_e32 v[182:183], v[174:175], v[108:109]
	v_fma_f64 v[4:5], v[148:149], v[84:85], -v[4:5]
	v_add_f64 v[184:185], v[180:181], v[182:183]
	ds_read_b128 v[180:183], v1 offset:1376
	v_add_f64 v[2:3], v[2:3], v[4:5]
	v_mul_f64 v[4:5], v[154:155], v[94:95]
	v_fma_f64 v[4:5], v[152:153], v[96:97], -v[4:5]
	v_add_f64 v[2:3], v[2:3], v[4:5]
	v_mul_f64 v[4:5], v[158:159], v[90:91]
	s_waitcnt vmcnt(30) lgkmcnt(1)
	v_mul_f64 v[186:187], v[176:177], v[120:121]
	v_fma_f64 v[4:5], v[156:157], v[92:93], -v[4:5]
	s_waitcnt vmcnt(28)
	v_fmac_f64_e32 v[186:187], v[178:179], v[122:123]
	v_add_f64 v[2:3], v[2:3], v[4:5]
	v_mul_f64 v[4:5], v[162:163], v[102:103]
	v_add_f64 v[188:189], v[184:185], v[186:187]
	ds_read_b128 v[184:187], v1 offset:1392
	s_waitcnt lgkmcnt(1)
	v_mul_f64 v[190:191], v[180:181], v[114:115]
	v_fma_f64 v[4:5], v[160:161], v[104:105], -v[4:5]
	v_fmac_f64_e32 v[190:191], v[182:183], v[116:117]
	v_add_f64 v[2:3], v[2:3], v[4:5]
	v_mul_f64 v[4:5], v[166:167], v[98:99]
	v_add_f64 v[192:193], v[188:189], v[190:191]
	ds_read_b128 v[188:191], v1 offset:1408
	v_fma_f64 v[4:5], v[164:165], v[100:101], -v[4:5]
	v_add_f64 v[2:3], v[2:3], v[4:5]
	v_mul_f64 v[4:5], v[170:171], v[110:111]
	v_fma_f64 v[4:5], v[168:169], v[112:113], -v[4:5]
	s_waitcnt vmcnt(22) lgkmcnt(1)
	v_mul_f64 v[194:195], v[184:185], v[132:133]
	v_add_f64 v[2:3], v[2:3], v[4:5]
	v_mul_f64 v[4:5], v[174:175], v[106:107]
	s_waitcnt vmcnt(20)
	v_fmac_f64_e32 v[194:195], v[186:187], v[134:135]
	v_fma_f64 v[4:5], v[172:173], v[108:109], -v[4:5]
	v_add_f64 v[196:197], v[192:193], v[194:195]
	ds_read_b128 v[192:195], v1 offset:1424
	s_waitcnt lgkmcnt(1)
	v_mul_f64 v[198:199], v[188:189], v[128:129]
	v_add_f64 v[2:3], v[2:3], v[4:5]
	v_mul_f64 v[4:5], v[178:179], v[120:121]
	v_fmac_f64_e32 v[198:199], v[190:191], v[130:131]
	v_fma_f64 v[4:5], v[176:177], v[122:123], -v[4:5]
	v_add_f64 v[200:201], v[196:197], v[198:199]
	ds_read_b128 v[196:199], v1 offset:1440
	v_add_f64 v[2:3], v[2:3], v[4:5]
	v_mul_f64 v[4:5], v[182:183], v[114:115]
	v_fma_f64 v[4:5], v[180:181], v[116:117], -v[4:5]
	v_add_f64 v[2:3], v[2:3], v[4:5]
	v_mul_f64 v[4:5], v[186:187], v[132:133]
	s_waitcnt vmcnt(14) lgkmcnt(1)
	v_mul_f64 v[202:203], v[192:193], v[206:207]
	v_fma_f64 v[4:5], v[184:185], v[134:135], -v[4:5]
	s_waitcnt vmcnt(12)
	v_fmac_f64_e32 v[202:203], v[194:195], v[208:209]
	v_add_f64 v[2:3], v[2:3], v[4:5]
	v_mul_f64 v[4:5], v[190:191], v[128:129]
	v_add_f64 v[212:213], v[200:201], v[202:203]
	ds_read_b128 v[200:203], v1 offset:1456
	s_waitcnt lgkmcnt(1)
	v_mul_f64 v[214:215], v[196:197], v[118:119]
	v_fma_f64 v[4:5], v[188:189], v[130:131], -v[4:5]
	v_fmac_f64_e32 v[214:215], v[198:199], v[204:205]
	v_add_f64 v[2:3], v[2:3], v[4:5]
	v_mul_f64 v[4:5], v[194:195], v[206:207]
	v_add_f64 v[230:231], v[212:213], v[214:215]
	ds_read_b128 v[212:215], v1 offset:1472
	v_fma_f64 v[4:5], v[192:193], v[208:209], -v[4:5]
	v_add_f64 v[2:3], v[2:3], v[4:5]
	v_mul_f64 v[4:5], v[198:199], v[118:119]
	ds_read_b128 v[216:219], v1 offset:1488
	v_fma_f64 v[4:5], v[196:197], v[204:205], -v[4:5]
	v_add_f64 v[2:3], v[2:3], v[4:5]
	s_waitcnt vmcnt(6) lgkmcnt(2)
	v_mul_f64 v[4:5], v[202:203], v[222:223]
	v_mul_f64 v[232:233], v[200:201], v[222:223]
	s_waitcnt vmcnt(4)
	v_fma_f64 v[4:5], v[200:201], v[224:225], -v[4:5]
	v_fmac_f64_e32 v[232:233], v[202:203], v[224:225]
	v_add_f64 v[2:3], v[2:3], v[4:5]
	s_waitcnt lgkmcnt(1)
	v_mul_f64 v[4:5], v[214:215], v[210:211]
	v_add_f64 v[230:231], v[230:231], v[232:233]
	v_mul_f64 v[232:233], v[212:213], v[210:211]
	v_fma_f64 v[4:5], v[212:213], v[220:221], -v[4:5]
	v_fmac_f64_e32 v[232:233], v[214:215], v[220:221]
	v_add_f64 v[2:3], v[2:3], v[4:5]
	s_waitcnt vmcnt(2) lgkmcnt(0)
	v_mul_f64 v[4:5], v[218:219], v[226:227]
	v_add_f64 v[230:231], v[230:231], v[232:233]
	v_mul_f64 v[232:233], v[216:217], v[226:227]
	s_waitcnt vmcnt(0)
	v_fma_f64 v[4:5], v[216:217], v[228:229], -v[4:5]
	v_fmac_f64_e32 v[232:233], v[218:219], v[228:229]
	v_add_f64 v[2:3], v[2:3], v[4:5]
	v_add_f64 v[230:231], v[230:231], v[232:233]
	v_add_f64 v[2:3], v[46:47], -v[2:3]
	v_add_f64 v[4:5], v[44:45], -v[230:231]
	buffer_store_dword v3, off, s[0:3], 0 offset:308
	buffer_store_dword v2, off, s[0:3], 0 offset:304
	;; [unrolled: 1-line block ×4, first 2 shown]
	s_and_saveexec_b64 s[4:5], vcc
	s_cbranch_execz .LBB110_261
; %bb.260:
	v_accvgpr_read_b32 v0, a123
	buffer_load_dword v2, v0, s[0:3], 0 offen
	buffer_load_dword v3, v0, s[0:3], 0 offen offset:4
	buffer_load_dword v4, v0, s[0:3], 0 offen offset:8
	buffer_load_dword v5, v0, s[0:3], 0 offen offset:12
	v_mov_b32_e32 v0, 0
	v_accvgpr_read_b32 v1, a141
	buffer_store_dword v0, off, s[0:3], 0 offset:288
	buffer_store_dword v0, off, s[0:3], 0 offset:292
	buffer_store_dword v0, off, s[0:3], 0 offset:296
	buffer_store_dword v0, off, s[0:3], 0 offset:300
	s_waitcnt vmcnt(4)
	ds_write_b128 v1, v[2:5]
.LBB110_261:
	s_or_b64 exec, exec, s[4:5]
	s_waitcnt lgkmcnt(0)
	; wave barrier
	s_waitcnt lgkmcnt(0)
	buffer_load_dword v38, off, s[0:3], 0 offset:304
	buffer_load_dword v39, off, s[0:3], 0 offset:308
	;; [unrolled: 1-line block ×48, first 2 shown]
	v_mov_b32_e32 v1, 0
	ds_read_b128 v[34:37], v1 offset:1040
	ds_read_b128 v[30:33], v1 offset:1056
	;; [unrolled: 1-line block ×9, first 2 shown]
	v_cmp_lt_u32_e32 vcc, 16, v254
	s_waitcnt vmcnt(44) lgkmcnt(8)
	v_mul_f64 v[86:87], v[34:35], v[42:43]
	v_fmac_f64_e32 v[86:87], v[36:37], v[38:39]
	v_add_f64 v[86:87], v[86:87], 0
	v_mul_f64 v[36:37], v[36:37], v[42:43]
	s_waitcnt vmcnt(40) lgkmcnt(7)
	v_mul_f64 v[88:89], v[30:31], v[44:45]
	v_fmac_f64_e32 v[88:89], v[32:33], v[40:41]
	s_waitcnt vmcnt(38) lgkmcnt(6)
	v_mul_f64 v[90:91], v[26:27], v[46:47]
	v_add_f64 v[86:87], v[86:87], v[88:89]
	s_waitcnt vmcnt(36) lgkmcnt(4)
	v_mul_f64 v[94:95], v[18:19], v[48:49]
	v_fma_f64 v[34:35], v[34:35], v[38:39], -v[36:37]
	s_waitcnt vmcnt(34)
	v_fmac_f64_e32 v[94:95], v[20:21], v[50:51]
	v_mul_f64 v[32:33], v[32:33], v[44:45]
	s_waitcnt vmcnt(32)
	v_mul_f64 v[92:93], v[22:23], v[52:53]
	v_add_f64 v[34:35], v[34:35], 0
	s_waitcnt vmcnt(30) lgkmcnt(2)
	v_mul_f64 v[98:99], v[10:11], v[54:55]
	v_fma_f64 v[30:31], v[30:31], v[40:41], -v[32:33]
	s_waitcnt vmcnt(28)
	v_fmac_f64_e32 v[98:99], v[12:13], v[56:57]
	v_add_f64 v[30:31], v[34:35], v[30:31]
	s_waitcnt vmcnt(26)
	v_mul_f64 v[96:97], v[14:15], v[58:59]
	v_mul_f64 v[20:21], v[20:21], v[48:49]
	v_fma_f64 v[18:19], v[18:19], v[50:51], -v[20:21]
	v_mul_f64 v[12:13], v[12:13], v[54:55]
	s_waitcnt vmcnt(22) lgkmcnt(1)
	v_mul_f64 v[110:111], v[6:7], v[68:69]
	v_fma_f64 v[10:11], v[10:11], v[56:57], -v[12:13]
	s_waitcnt vmcnt(20)
	v_fmac_f64_e32 v[90:91], v[28:29], v[76:77]
	v_add_f64 v[86:87], v[86:87], v[90:91]
	s_waitcnt vmcnt(18)
	v_fmac_f64_e32 v[92:93], v[24:25], v[74:75]
	v_add_f64 v[86:87], v[86:87], v[92:93]
	;; [unrolled: 3-line block ×3, first 2 shown]
	v_add_f64 v[86:87], v[86:87], v[96:97]
	v_add_f64 v[112:113], v[86:87], v[98:99]
	buffer_load_dword v87, off, s[0:3], 0 offset:508
	buffer_load_dword v86, off, s[0:3], 0 offset:504
	;; [unrolled: 1-line block ×72, first 2 shown]
	s_waitcnt vmcnt(62)
	v_fmac_f64_e32 v[110:111], v[8:9], v[70:71]
	v_add_f64 v[144:145], v[112:113], v[110:111]
	ds_read_b128 v[110:113], v1 offset:1184
	s_waitcnt lgkmcnt(1)
	v_mul_f64 v[146:147], v[2:3], v[64:65]
	v_fmac_f64_e32 v[146:147], v[4:5], v[66:67]
	v_add_f64 v[148:149], v[144:145], v[146:147]
	ds_read_b128 v[144:147], v1 offset:1200
	s_waitcnt lgkmcnt(1)
	v_mul_f64 v[150:151], v[110:111], v[82:83]
	;; [unrolled: 5-line block ×5, first 2 shown]
	v_fmac_f64_e32 v[162:163], v[154:155], v[88:89]
	v_add_f64 v[164:165], v[160:161], v[162:163]
	ds_read_b128 v[160:163], v1 offset:1264
	s_waitcnt vmcnt(58) lgkmcnt(1)
	v_mul_f64 v[166:167], v[156:157], v[98:99]
	s_waitcnt vmcnt(56)
	v_fmac_f64_e32 v[166:167], v[158:159], v[100:101]
	v_add_f64 v[168:169], v[164:165], v[166:167]
	ds_read_b128 v[164:167], v1 offset:1280
	s_waitcnt lgkmcnt(1)
	v_mul_f64 v[170:171], v[160:161], v[94:95]
	v_fmac_f64_e32 v[170:171], v[162:163], v[96:97]
	v_mul_f64 v[28:29], v[28:29], v[46:47]
	v_add_f64 v[172:173], v[168:169], v[170:171]
	ds_read_b128 v[168:171], v1 offset:1296
	s_waitcnt vmcnt(50) lgkmcnt(1)
	v_mul_f64 v[174:175], v[164:165], v[106:107]
	v_fma_f64 v[26:27], v[26:27], v[76:77], -v[28:29]
	v_mul_f64 v[24:25], v[24:25], v[52:53]
	s_waitcnt vmcnt(48)
	v_fmac_f64_e32 v[174:175], v[166:167], v[108:109]
	v_add_f64 v[26:27], v[30:31], v[26:27]
	v_fma_f64 v[22:23], v[22:23], v[74:75], -v[24:25]
	v_add_f64 v[176:177], v[172:173], v[174:175]
	ds_read_b128 v[172:175], v1 offset:1312
	v_add_f64 v[22:23], v[26:27], v[22:23]
	v_mul_f64 v[16:17], v[16:17], v[58:59]
	v_add_f64 v[18:19], v[22:23], v[18:19]
	v_fma_f64 v[14:15], v[14:15], v[72:73], -v[16:17]
	v_add_f64 v[14:15], v[18:19], v[14:15]
	v_mul_f64 v[8:9], v[8:9], v[68:69]
	s_waitcnt lgkmcnt(1)
	v_mul_f64 v[178:179], v[168:169], v[102:103]
	v_add_f64 v[10:11], v[14:15], v[10:11]
	v_fma_f64 v[6:7], v[6:7], v[70:71], -v[8:9]
	v_mul_f64 v[4:5], v[4:5], v[64:65]
	v_fmac_f64_e32 v[178:179], v[170:171], v[104:105]
	v_add_f64 v[6:7], v[10:11], v[6:7]
	v_fma_f64 v[2:3], v[2:3], v[66:67], -v[4:5]
	v_mul_f64 v[4:5], v[112:113], v[82:83]
	v_add_f64 v[180:181], v[176:177], v[178:179]
	ds_read_b128 v[176:179], v1 offset:1328
	s_waitcnt vmcnt(42) lgkmcnt(1)
	v_mul_f64 v[182:183], v[172:173], v[120:121]
	v_add_f64 v[2:3], v[6:7], v[2:3]
	v_fma_f64 v[4:5], v[110:111], v[84:85], -v[4:5]
	s_waitcnt vmcnt(40)
	v_fmac_f64_e32 v[182:183], v[174:175], v[122:123]
	v_add_f64 v[2:3], v[2:3], v[4:5]
	v_mul_f64 v[4:5], v[146:147], v[78:79]
	v_add_f64 v[184:185], v[180:181], v[182:183]
	ds_read_b128 v[180:183], v1 offset:1344
	v_fma_f64 v[4:5], v[144:145], v[80:81], -v[4:5]
	v_add_f64 v[2:3], v[2:3], v[4:5]
	v_mul_f64 v[4:5], v[150:151], v[90:91]
	v_fma_f64 v[4:5], v[148:149], v[92:93], -v[4:5]
	s_waitcnt lgkmcnt(1)
	v_mul_f64 v[186:187], v[176:177], v[114:115]
	v_add_f64 v[2:3], v[2:3], v[4:5]
	v_mul_f64 v[4:5], v[154:155], v[86:87]
	v_fmac_f64_e32 v[186:187], v[178:179], v[116:117]
	v_fma_f64 v[4:5], v[152:153], v[88:89], -v[4:5]
	v_add_f64 v[188:189], v[184:185], v[186:187]
	ds_read_b128 v[184:187], v1 offset:1360
	s_waitcnt vmcnt(34) lgkmcnt(1)
	v_mul_f64 v[190:191], v[180:181], v[128:129]
	v_add_f64 v[2:3], v[2:3], v[4:5]
	v_mul_f64 v[4:5], v[158:159], v[98:99]
	s_waitcnt vmcnt(32)
	v_fmac_f64_e32 v[190:191], v[182:183], v[130:131]
	v_fma_f64 v[4:5], v[156:157], v[100:101], -v[4:5]
	v_add_f64 v[192:193], v[188:189], v[190:191]
	ds_read_b128 v[188:191], v1 offset:1376
	v_add_f64 v[2:3], v[2:3], v[4:5]
	v_mul_f64 v[4:5], v[162:163], v[94:95]
	v_fma_f64 v[4:5], v[160:161], v[96:97], -v[4:5]
	v_add_f64 v[2:3], v[2:3], v[4:5]
	v_mul_f64 v[4:5], v[166:167], v[106:107]
	s_waitcnt lgkmcnt(1)
	v_mul_f64 v[194:195], v[184:185], v[124:125]
	v_fma_f64 v[4:5], v[164:165], v[108:109], -v[4:5]
	v_fmac_f64_e32 v[194:195], v[186:187], v[126:127]
	v_add_f64 v[2:3], v[2:3], v[4:5]
	v_mul_f64 v[4:5], v[170:171], v[102:103]
	v_add_f64 v[196:197], v[192:193], v[194:195]
	ds_read_b128 v[192:195], v1 offset:1392
	s_waitcnt vmcnt(26) lgkmcnt(1)
	v_mul_f64 v[198:199], v[188:189], v[136:137]
	v_fma_f64 v[4:5], v[168:169], v[104:105], -v[4:5]
	s_waitcnt vmcnt(24)
	v_fmac_f64_e32 v[198:199], v[190:191], v[138:139]
	v_add_f64 v[2:3], v[2:3], v[4:5]
	v_mul_f64 v[4:5], v[174:175], v[120:121]
	v_add_f64 v[200:201], v[196:197], v[198:199]
	ds_read_b128 v[196:199], v1 offset:1408
	v_fma_f64 v[4:5], v[172:173], v[122:123], -v[4:5]
	v_add_f64 v[2:3], v[2:3], v[4:5]
	v_mul_f64 v[4:5], v[178:179], v[114:115]
	v_fma_f64 v[4:5], v[176:177], v[116:117], -v[4:5]
	s_waitcnt lgkmcnt(1)
	v_mul_f64 v[202:203], v[192:193], v[132:133]
	v_add_f64 v[2:3], v[2:3], v[4:5]
	v_mul_f64 v[4:5], v[182:183], v[128:129]
	v_fmac_f64_e32 v[202:203], v[194:195], v[134:135]
	v_fma_f64 v[4:5], v[180:181], v[130:131], -v[4:5]
	v_add_f64 v[212:213], v[200:201], v[202:203]
	ds_read_b128 v[200:203], v1 offset:1424
	s_waitcnt vmcnt(18) lgkmcnt(1)
	v_mul_f64 v[214:215], v[196:197], v[118:119]
	v_add_f64 v[2:3], v[2:3], v[4:5]
	v_mul_f64 v[4:5], v[186:187], v[124:125]
	s_waitcnt vmcnt(16)
	v_fmac_f64_e32 v[214:215], v[198:199], v[204:205]
	v_fma_f64 v[4:5], v[184:185], v[126:127], -v[4:5]
	v_add_f64 v[216:217], v[212:213], v[214:215]
	ds_read_b128 v[212:215], v1 offset:1440
	v_add_f64 v[2:3], v[2:3], v[4:5]
	v_mul_f64 v[4:5], v[190:191], v[136:137]
	v_fma_f64 v[4:5], v[188:189], v[138:139], -v[4:5]
	v_add_f64 v[2:3], v[2:3], v[4:5]
	v_mul_f64 v[4:5], v[194:195], v[132:133]
	s_waitcnt lgkmcnt(1)
	v_mul_f64 v[218:219], v[200:201], v[140:141]
	v_fma_f64 v[4:5], v[192:193], v[134:135], -v[4:5]
	v_fmac_f64_e32 v[218:219], v[202:203], v[142:143]
	v_add_f64 v[2:3], v[2:3], v[4:5]
	v_mul_f64 v[4:5], v[198:199], v[118:119]
	v_add_f64 v[220:221], v[216:217], v[218:219]
	ds_read_b128 v[216:219], v1 offset:1456
	s_waitcnt vmcnt(10) lgkmcnt(1)
	v_mul_f64 v[222:223], v[212:213], v[210:211]
	v_fma_f64 v[4:5], v[196:197], v[204:205], -v[4:5]
	s_waitcnt vmcnt(8)
	v_fmac_f64_e32 v[222:223], v[214:215], v[228:229]
	v_add_f64 v[2:3], v[2:3], v[4:5]
	v_mul_f64 v[4:5], v[202:203], v[140:141]
	v_add_f64 v[238:239], v[220:221], v[222:223]
	ds_read_b128 v[220:223], v1 offset:1472
	ds_read_b128 v[224:227], v1 offset:1488
	v_fma_f64 v[4:5], v[200:201], v[142:143], -v[4:5]
	v_add_f64 v[2:3], v[2:3], v[4:5]
	v_mul_f64 v[4:5], v[214:215], v[210:211]
	v_fma_f64 v[4:5], v[212:213], v[228:229], -v[4:5]
	v_add_f64 v[2:3], v[2:3], v[4:5]
	s_waitcnt lgkmcnt(2)
	v_mul_f64 v[4:5], v[218:219], v[206:207]
	v_mul_f64 v[240:241], v[216:217], v[206:207]
	v_fma_f64 v[4:5], v[216:217], v[208:209], -v[4:5]
	v_fmac_f64_e32 v[240:241], v[218:219], v[208:209]
	v_add_f64 v[2:3], v[2:3], v[4:5]
	s_waitcnt vmcnt(2) lgkmcnt(1)
	v_mul_f64 v[4:5], v[222:223], v[234:235]
	v_add_f64 v[238:239], v[238:239], v[240:241]
	v_mul_f64 v[240:241], v[220:221], v[234:235]
	s_waitcnt vmcnt(0)
	v_fma_f64 v[4:5], v[220:221], v[236:237], -v[4:5]
	v_fmac_f64_e32 v[240:241], v[222:223], v[236:237]
	v_add_f64 v[2:3], v[2:3], v[4:5]
	s_waitcnt lgkmcnt(0)
	v_mul_f64 v[4:5], v[226:227], v[230:231]
	v_add_f64 v[238:239], v[238:239], v[240:241]
	v_mul_f64 v[240:241], v[224:225], v[230:231]
	v_fma_f64 v[4:5], v[224:225], v[232:233], -v[4:5]
	v_fmac_f64_e32 v[240:241], v[226:227], v[232:233]
	v_add_f64 v[2:3], v[2:3], v[4:5]
	v_add_f64 v[238:239], v[238:239], v[240:241]
	v_add_f64 v[2:3], v[62:63], -v[2:3]
	v_add_f64 v[4:5], v[60:61], -v[238:239]
	buffer_store_dword v3, off, s[0:3], 0 offset:292
	buffer_store_dword v2, off, s[0:3], 0 offset:288
	;; [unrolled: 1-line block ×4, first 2 shown]
	s_and_saveexec_b64 s[4:5], vcc
	s_cbranch_execz .LBB110_263
; %bb.262:
	v_accvgpr_read_b32 v0, a124
	buffer_load_dword v2, v0, s[0:3], 0 offen
	buffer_load_dword v3, v0, s[0:3], 0 offen offset:4
	buffer_load_dword v4, v0, s[0:3], 0 offen offset:8
	;; [unrolled: 1-line block ×3, first 2 shown]
	v_accvgpr_read_b32 v0, a141
	buffer_store_dword v1, off, s[0:3], 0 offset:272
	buffer_store_dword v1, off, s[0:3], 0 offset:276
	;; [unrolled: 1-line block ×4, first 2 shown]
	s_waitcnt vmcnt(4)
	ds_write_b128 v0, v[2:5]
.LBB110_263:
	s_or_b64 exec, exec, s[4:5]
	s_waitcnt lgkmcnt(0)
	; wave barrier
	s_waitcnt lgkmcnt(0)
	buffer_load_dword v48, off, s[0:3], 0 offset:288
	buffer_load_dword v49, off, s[0:3], 0 offset:292
	;; [unrolled: 1-line block ×40, first 2 shown]
	ds_read_b128 v[38:41], v1 offset:1024
	ds_read_b128 v[34:37], v1 offset:1040
	;; [unrolled: 1-line block ×10, first 2 shown]
	buffer_load_dword v83, off, s[0:3], 0 offset:460
	buffer_load_dword v82, off, s[0:3], 0 offset:456
	;; [unrolled: 1-line block ×8, first 2 shown]
	v_cmp_lt_u32_e32 vcc, 15, v254
	s_waitcnt vmcnt(44) lgkmcnt(9)
	v_mul_f64 v[90:91], v[38:39], v[50:51]
	v_fmac_f64_e32 v[90:91], v[40:41], v[48:49]
	v_add_f64 v[90:91], v[90:91], 0
	v_mul_f64 v[40:41], v[40:41], v[50:51]
	s_waitcnt vmcnt(40) lgkmcnt(8)
	v_mul_f64 v[92:93], v[34:35], v[44:45]
	v_fmac_f64_e32 v[92:93], v[36:37], v[42:43]
	s_waitcnt vmcnt(38) lgkmcnt(7)
	v_mul_f64 v[94:95], v[30:31], v[46:47]
	v_add_f64 v[90:91], v[90:91], v[92:93]
	s_waitcnt vmcnt(36) lgkmcnt(5)
	v_mul_f64 v[98:99], v[22:23], v[52:53]
	v_mul_f64 v[36:37], v[36:37], v[44:45]
	s_waitcnt vmcnt(34)
	v_fmac_f64_e32 v[98:99], v[24:25], v[54:55]
	v_fma_f64 v[34:35], v[34:35], v[42:43], -v[36:37]
	s_waitcnt vmcnt(32)
	v_mul_f64 v[96:97], v[26:27], v[56:57]
	v_mul_f64 v[24:25], v[24:25], v[52:53]
	s_waitcnt vmcnt(30) lgkmcnt(4)
	v_mul_f64 v[100:101], v[18:19], v[62:63]
	v_fma_f64 v[22:23], v[22:23], v[54:55], -v[24:25]
	s_waitcnt vmcnt(28) lgkmcnt(1)
	v_mul_f64 v[124:125], v[2:3], v[64:65]
	s_waitcnt vmcnt(25)
	v_mul_f64 v[104:105], v[6:7], v[68:69]
	s_waitcnt vmcnt(23)
	;; [unrolled: 2-line block ×3, first 2 shown]
	v_fmac_f64_e32 v[102:103], v[12:13], v[72:73]
	v_mul_f64 v[12:13], v[12:13], v[70:71]
	s_waitcnt vmcnt(19)
	v_fmac_f64_e32 v[94:95], v[32:33], v[80:81]
	v_add_f64 v[90:91], v[90:91], v[94:95]
	s_waitcnt vmcnt(17)
	v_fmac_f64_e32 v[96:97], v[28:29], v[78:79]
	v_add_f64 v[90:91], v[90:91], v[96:97]
	;; [unrolled: 3-line block ×3, first 2 shown]
	v_add_f64 v[90:91], v[90:91], v[100:101]
	s_waitcnt vmcnt(13)
	v_fmac_f64_e32 v[104:105], v[8:9], v[74:75]
	v_add_f64 v[90:91], v[90:91], v[102:103]
	v_add_f64 v[126:127], v[90:91], v[104:105]
	buffer_load_dword v91, off, s[0:3], 0 offset:492
	buffer_load_dword v90, off, s[0:3], 0 offset:488
	buffer_load_dword v93, off, s[0:3], 0 offset:484
	buffer_load_dword v92, off, s[0:3], 0 offset:480
	buffer_load_dword v95, off, s[0:3], 0 offset:476
	buffer_load_dword v94, off, s[0:3], 0 offset:472
	buffer_load_dword v97, off, s[0:3], 0 offset:468
	buffer_load_dword v96, off, s[0:3], 0 offset:464
	buffer_load_dword v99, off, s[0:3], 0 offset:524
	buffer_load_dword v98, off, s[0:3], 0 offset:520
	buffer_load_dword v101, off, s[0:3], 0 offset:516
	buffer_load_dword v100, off, s[0:3], 0 offset:512
	buffer_load_dword v103, off, s[0:3], 0 offset:508
	buffer_load_dword v102, off, s[0:3], 0 offset:504
	buffer_load_dword v105, off, s[0:3], 0 offset:500
	buffer_load_dword v104, off, s[0:3], 0 offset:496
	buffer_load_dword v107, off, s[0:3], 0 offset:556
	buffer_load_dword v106, off, s[0:3], 0 offset:552
	buffer_load_dword v109, off, s[0:3], 0 offset:548
	buffer_load_dword v108, off, s[0:3], 0 offset:544
	buffer_load_dword v111, off, s[0:3], 0 offset:540
	buffer_load_dword v110, off, s[0:3], 0 offset:536
	buffer_load_dword v113, off, s[0:3], 0 offset:532
	buffer_load_dword v112, off, s[0:3], 0 offset:528
	buffer_load_dword v115, off, s[0:3], 0 offset:588
	buffer_load_dword v114, off, s[0:3], 0 offset:584
	buffer_load_dword v117, off, s[0:3], 0 offset:580
	buffer_load_dword v116, off, s[0:3], 0 offset:576
	buffer_load_dword v121, off, s[0:3], 0 offset:572
	buffer_load_dword v120, off, s[0:3], 0 offset:568
	buffer_load_dword v123, off, s[0:3], 0 offset:564
	buffer_load_dword v122, off, s[0:3], 0 offset:560
	buffer_load_dword v129, off, s[0:3], 0 offset:620
	buffer_load_dword v128, off, s[0:3], 0 offset:616
	buffer_load_dword v131, off, s[0:3], 0 offset:612
	buffer_load_dword v130, off, s[0:3], 0 offset:608
	buffer_load_dword v133, off, s[0:3], 0 offset:604
	buffer_load_dword v132, off, s[0:3], 0 offset:600
	buffer_load_dword v135, off, s[0:3], 0 offset:596
	buffer_load_dword v134, off, s[0:3], 0 offset:592
	buffer_load_dword v137, off, s[0:3], 0 offset:652
	buffer_load_dword v136, off, s[0:3], 0 offset:648
	buffer_load_dword v139, off, s[0:3], 0 offset:644
	buffer_load_dword v138, off, s[0:3], 0 offset:640
	buffer_load_dword v141, off, s[0:3], 0 offset:636
	buffer_load_dword v140, off, s[0:3], 0 offset:632
	buffer_load_dword v143, off, s[0:3], 0 offset:628
	buffer_load_dword v142, off, s[0:3], 0 offset:624
	buffer_load_dword v145, off, s[0:3], 0 offset:684
	buffer_load_dword v144, off, s[0:3], 0 offset:680
	buffer_load_dword v147, off, s[0:3], 0 offset:676
	buffer_load_dword v146, off, s[0:3], 0 offset:672
	buffer_load_dword v149, off, s[0:3], 0 offset:668
	buffer_load_dword v148, off, s[0:3], 0 offset:664
	buffer_load_dword v151, off, s[0:3], 0 offset:660
	buffer_load_dword v150, off, s[0:3], 0 offset:656
	buffer_load_dword v119, off, s[0:3], 0 offset:716
	buffer_load_dword v118, off, s[0:3], 0 offset:712
	buffer_load_dword v205, off, s[0:3], 0 offset:708
	buffer_load_dword v204, off, s[0:3], 0 offset:704
	buffer_load_dword v207, off, s[0:3], 0 offset:700
	buffer_load_dword v206, off, s[0:3], 0 offset:696
	buffer_load_dword v209, off, s[0:3], 0 offset:692
	buffer_load_dword v208, off, s[0:3], 0 offset:688
	buffer_load_dword v211, off, s[0:3], 0 offset:748
	buffer_load_dword v210, off, s[0:3], 0 offset:744
	buffer_load_dword v229, off, s[0:3], 0 offset:740
	buffer_load_dword v228, off, s[0:3], 0 offset:736
	buffer_load_dword v231, off, s[0:3], 0 offset:732
	buffer_load_dword v230, off, s[0:3], 0 offset:728
	buffer_load_dword v233, off, s[0:3], 0 offset:724
	buffer_load_dword v232, off, s[0:3], 0 offset:720
	s_waitcnt vmcnt(62)
	v_fmac_f64_e32 v[124:125], v[4:5], v[66:67]
	v_add_f64 v[152:153], v[126:127], v[124:125]
	ds_read_b128 v[124:127], v1 offset:1184
	s_waitcnt lgkmcnt(1)
	v_mul_f64 v[154:155], v[14:15], v[86:87]
	v_fmac_f64_e32 v[154:155], v[16:17], v[88:89]
	buffer_load_dword v235, off, s[0:3], 0 offset:764
	buffer_load_dword v234, off, s[0:3], 0 offset:760
	;; [unrolled: 1-line block ×4, first 2 shown]
	v_add_f64 v[156:157], v[152:153], v[154:155]
	s_waitcnt lgkmcnt(0)
	v_mul_f64 v[158:159], v[124:125], v[82:83]
	ds_read_b128 v[152:155], v1 offset:1200
	v_fmac_f64_e32 v[158:159], v[126:127], v[84:85]
	v_add_f64 v[160:161], v[156:157], v[158:159]
	ds_read_b128 v[156:159], v1 offset:1216
	v_mul_f64 v[32:33], v[32:33], v[46:47]
	s_waitcnt lgkmcnt(1)
	v_mul_f64 v[162:163], v[152:153], v[94:95]
	v_fma_f64 v[30:31], v[30:31], v[80:81], -v[32:33]
	v_fmac_f64_e32 v[162:163], v[154:155], v[96:97]
	s_waitcnt lgkmcnt(0)
	v_mul_f64 v[166:167], v[156:157], v[90:91]
	v_add_f64 v[164:165], v[160:161], v[162:163]
	ds_read_b128 v[160:163], v1 offset:1232
	v_fmac_f64_e32 v[166:167], v[158:159], v[92:93]
	v_add_f64 v[168:169], v[164:165], v[166:167]
	ds_read_b128 v[164:167], v1 offset:1248
	v_mul_f64 v[28:29], v[28:29], v[56:57]
	s_waitcnt vmcnt(62) lgkmcnt(1)
	v_mul_f64 v[170:171], v[160:161], v[102:103]
	s_waitcnt vmcnt(60)
	v_fmac_f64_e32 v[170:171], v[162:163], v[104:105]
	v_add_f64 v[172:173], v[168:169], v[170:171]
	s_waitcnt lgkmcnt(0)
	v_mul_f64 v[174:175], v[164:165], v[98:99]
	ds_read_b128 v[168:171], v1 offset:1264
	v_fmac_f64_e32 v[174:175], v[166:167], v[100:101]
	v_add_f64 v[176:177], v[172:173], v[174:175]
	ds_read_b128 v[172:175], v1 offset:1280
	v_fma_f64 v[26:27], v[26:27], v[78:79], -v[28:29]
	s_waitcnt vmcnt(54) lgkmcnt(1)
	v_mul_f64 v[178:179], v[168:169], v[110:111]
	s_waitcnt vmcnt(52)
	v_fmac_f64_e32 v[178:179], v[170:171], v[112:113]
	v_add_f64 v[180:181], v[176:177], v[178:179]
	s_waitcnt lgkmcnt(0)
	v_mul_f64 v[182:183], v[172:173], v[106:107]
	ds_read_b128 v[176:179], v1 offset:1296
	v_fmac_f64_e32 v[182:183], v[174:175], v[108:109]
	v_add_f64 v[184:185], v[180:181], v[182:183]
	ds_read_b128 v[180:183], v1 offset:1312
	v_mul_f64 v[20:21], v[20:21], v[62:63]
	s_waitcnt vmcnt(46) lgkmcnt(1)
	v_mul_f64 v[186:187], v[176:177], v[120:121]
	s_waitcnt vmcnt(44)
	v_fmac_f64_e32 v[186:187], v[178:179], v[122:123]
	v_add_f64 v[188:189], v[184:185], v[186:187]
	s_waitcnt lgkmcnt(0)
	v_mul_f64 v[190:191], v[180:181], v[114:115]
	ds_read_b128 v[184:187], v1 offset:1328
	v_fmac_f64_e32 v[190:191], v[182:183], v[116:117]
	v_add_f64 v[192:193], v[188:189], v[190:191]
	ds_read_b128 v[188:191], v1 offset:1344
	v_fma_f64 v[18:19], v[18:19], v[76:77], -v[20:21]
	s_waitcnt vmcnt(38) lgkmcnt(1)
	v_mul_f64 v[194:195], v[184:185], v[132:133]
	s_waitcnt vmcnt(36)
	v_fmac_f64_e32 v[194:195], v[186:187], v[134:135]
	v_add_f64 v[196:197], v[192:193], v[194:195]
	s_waitcnt lgkmcnt(0)
	v_mul_f64 v[198:199], v[188:189], v[128:129]
	ds_read_b128 v[192:195], v1 offset:1360
	v_fmac_f64_e32 v[198:199], v[190:191], v[130:131]
	v_add_f64 v[200:201], v[196:197], v[198:199]
	ds_read_b128 v[196:199], v1 offset:1376
	v_fma_f64 v[10:11], v[10:11], v[72:73], -v[12:13]
	s_waitcnt vmcnt(30) lgkmcnt(1)
	v_mul_f64 v[202:203], v[192:193], v[140:141]
	s_waitcnt vmcnt(28)
	v_fmac_f64_e32 v[202:203], v[194:195], v[142:143]
	v_add_f64 v[212:213], v[200:201], v[202:203]
	s_waitcnt lgkmcnt(0)
	v_mul_f64 v[214:215], v[196:197], v[136:137]
	ds_read_b128 v[200:203], v1 offset:1392
	v_fmac_f64_e32 v[214:215], v[198:199], v[138:139]
	v_add_f64 v[216:217], v[212:213], v[214:215]
	ds_read_b128 v[212:215], v1 offset:1408
	v_mul_f64 v[8:9], v[8:9], v[68:69]
	s_waitcnt vmcnt(22) lgkmcnt(1)
	v_mul_f64 v[218:219], v[200:201], v[148:149]
	s_waitcnt vmcnt(20)
	v_fmac_f64_e32 v[218:219], v[202:203], v[150:151]
	v_add_f64 v[220:221], v[216:217], v[218:219]
	s_waitcnt lgkmcnt(0)
	v_mul_f64 v[222:223], v[212:213], v[144:145]
	ds_read_b128 v[216:219], v1 offset:1424
	v_fmac_f64_e32 v[222:223], v[214:215], v[146:147]
	v_add_f64 v[224:225], v[220:221], v[222:223]
	ds_read_b128 v[220:223], v1 offset:1440
	v_fma_f64 v[6:7], v[6:7], v[74:75], -v[8:9]
	s_waitcnt vmcnt(14) lgkmcnt(1)
	v_mul_f64 v[226:227], v[216:217], v[206:207]
	s_waitcnt vmcnt(12)
	v_fmac_f64_e32 v[226:227], v[218:219], v[208:209]
	v_add_f64 v[238:239], v[224:225], v[226:227]
	s_waitcnt lgkmcnt(0)
	v_mul_f64 v[240:241], v[220:221], v[118:119]
	v_fmac_f64_e32 v[240:241], v[222:223], v[204:205]
	v_add_f64 v[238:239], v[238:239], v[240:241]
	v_fma_f64 v[240:241], v[38:39], v[48:49], -v[40:41]
	v_add_f64 v[240:241], v[240:241], 0
	v_add_f64 v[34:35], v[240:241], v[34:35]
	;; [unrolled: 1-line block ×7, first 2 shown]
	v_mul_f64 v[4:5], v[4:5], v[64:65]
	v_add_f64 v[6:7], v[10:11], v[6:7]
	v_fma_f64 v[2:3], v[2:3], v[66:67], -v[4:5]
	v_mul_f64 v[4:5], v[16:17], v[86:87]
	v_add_f64 v[2:3], v[6:7], v[2:3]
	v_fma_f64 v[4:5], v[14:15], v[88:89], -v[4:5]
	v_add_f64 v[2:3], v[2:3], v[4:5]
	v_mul_f64 v[4:5], v[126:127], v[82:83]
	v_fma_f64 v[4:5], v[124:125], v[84:85], -v[4:5]
	v_add_f64 v[2:3], v[2:3], v[4:5]
	v_mul_f64 v[4:5], v[154:155], v[94:95]
	v_fma_f64 v[4:5], v[152:153], v[96:97], -v[4:5]
	v_add_f64 v[2:3], v[2:3], v[4:5]
	v_mul_f64 v[4:5], v[158:159], v[90:91]
	v_fma_f64 v[4:5], v[156:157], v[92:93], -v[4:5]
	v_add_f64 v[2:3], v[2:3], v[4:5]
	v_mul_f64 v[4:5], v[162:163], v[102:103]
	v_fma_f64 v[4:5], v[160:161], v[104:105], -v[4:5]
	v_add_f64 v[2:3], v[2:3], v[4:5]
	v_mul_f64 v[4:5], v[166:167], v[98:99]
	v_fma_f64 v[4:5], v[164:165], v[100:101], -v[4:5]
	v_add_f64 v[2:3], v[2:3], v[4:5]
	v_mul_f64 v[4:5], v[170:171], v[110:111]
	v_fma_f64 v[4:5], v[168:169], v[112:113], -v[4:5]
	v_add_f64 v[2:3], v[2:3], v[4:5]
	v_mul_f64 v[4:5], v[174:175], v[106:107]
	v_fma_f64 v[4:5], v[172:173], v[108:109], -v[4:5]
	v_add_f64 v[2:3], v[2:3], v[4:5]
	v_mul_f64 v[4:5], v[178:179], v[120:121]
	v_fma_f64 v[4:5], v[176:177], v[122:123], -v[4:5]
	v_add_f64 v[2:3], v[2:3], v[4:5]
	v_mul_f64 v[4:5], v[182:183], v[114:115]
	v_fma_f64 v[4:5], v[180:181], v[116:117], -v[4:5]
	v_add_f64 v[2:3], v[2:3], v[4:5]
	v_mul_f64 v[4:5], v[186:187], v[132:133]
	v_fma_f64 v[4:5], v[184:185], v[134:135], -v[4:5]
	v_add_f64 v[2:3], v[2:3], v[4:5]
	v_mul_f64 v[4:5], v[190:191], v[128:129]
	v_fma_f64 v[4:5], v[188:189], v[130:131], -v[4:5]
	v_add_f64 v[2:3], v[2:3], v[4:5]
	v_mul_f64 v[4:5], v[194:195], v[140:141]
	v_fma_f64 v[4:5], v[192:193], v[142:143], -v[4:5]
	v_add_f64 v[2:3], v[2:3], v[4:5]
	v_mul_f64 v[4:5], v[198:199], v[136:137]
	v_fma_f64 v[4:5], v[196:197], v[138:139], -v[4:5]
	v_add_f64 v[2:3], v[2:3], v[4:5]
	v_mul_f64 v[4:5], v[202:203], v[148:149]
	v_fma_f64 v[4:5], v[200:201], v[150:151], -v[4:5]
	v_add_f64 v[2:3], v[2:3], v[4:5]
	v_mul_f64 v[4:5], v[214:215], v[144:145]
	ds_read_b128 v[224:227], v1 offset:1456
	ds_read_b128 v[38:41], v1 offset:1472
	v_fma_f64 v[4:5], v[212:213], v[146:147], -v[4:5]
	v_add_f64 v[2:3], v[2:3], v[4:5]
	v_mul_f64 v[4:5], v[218:219], v[206:207]
	v_fma_f64 v[4:5], v[216:217], v[208:209], -v[4:5]
	v_add_f64 v[2:3], v[2:3], v[4:5]
	v_mul_f64 v[4:5], v[222:223], v[118:119]
	ds_read_b128 v[48:51], v1 offset:1488
	v_fma_f64 v[4:5], v[220:221], v[204:205], -v[4:5]
	v_add_f64 v[2:3], v[2:3], v[4:5]
	s_waitcnt vmcnt(6) lgkmcnt(2)
	v_mul_f64 v[4:5], v[226:227], v[230:231]
	v_mul_f64 v[242:243], v[224:225], v[230:231]
	s_waitcnt vmcnt(4)
	v_fma_f64 v[4:5], v[224:225], v[232:233], -v[4:5]
	v_fmac_f64_e32 v[242:243], v[226:227], v[232:233]
	v_add_f64 v[2:3], v[2:3], v[4:5]
	s_waitcnt lgkmcnt(1)
	v_mul_f64 v[4:5], v[40:41], v[210:211]
	v_add_f64 v[238:239], v[238:239], v[242:243]
	v_mul_f64 v[242:243], v[38:39], v[210:211]
	v_fma_f64 v[4:5], v[38:39], v[228:229], -v[4:5]
	v_fmac_f64_e32 v[242:243], v[40:41], v[228:229]
	v_add_f64 v[2:3], v[2:3], v[4:5]
	s_waitcnt vmcnt(2) lgkmcnt(0)
	v_mul_f64 v[4:5], v[50:51], v[234:235]
	v_add_f64 v[238:239], v[238:239], v[242:243]
	v_mul_f64 v[242:243], v[48:49], v[234:235]
	s_waitcnt vmcnt(0)
	v_fma_f64 v[4:5], v[48:49], v[236:237], -v[4:5]
	v_fmac_f64_e32 v[242:243], v[50:51], v[236:237]
	v_add_f64 v[2:3], v[2:3], v[4:5]
	v_add_f64 v[238:239], v[238:239], v[242:243]
	v_add_f64 v[2:3], v[60:61], -v[2:3]
	v_add_f64 v[4:5], v[58:59], -v[238:239]
	buffer_store_dword v3, off, s[0:3], 0 offset:276
	buffer_store_dword v2, off, s[0:3], 0 offset:272
	;; [unrolled: 1-line block ×4, first 2 shown]
	s_and_saveexec_b64 s[4:5], vcc
	s_cbranch_execz .LBB110_265
; %bb.264:
	v_accvgpr_read_b32 v0, a125
	buffer_load_dword v2, v0, s[0:3], 0 offen
	buffer_load_dword v3, v0, s[0:3], 0 offen offset:4
	buffer_load_dword v4, v0, s[0:3], 0 offen offset:8
	;; [unrolled: 1-line block ×3, first 2 shown]
	v_mov_b32_e32 v0, 0
	v_accvgpr_read_b32 v1, a141
	buffer_store_dword v0, off, s[0:3], 0 offset:256
	buffer_store_dword v0, off, s[0:3], 0 offset:260
	buffer_store_dword v0, off, s[0:3], 0 offset:264
	buffer_store_dword v0, off, s[0:3], 0 offset:268
	s_waitcnt vmcnt(4)
	ds_write_b128 v1, v[2:5]
.LBB110_265:
	s_or_b64 exec, exec, s[4:5]
	s_waitcnt lgkmcnt(0)
	; wave barrier
	s_waitcnt lgkmcnt(0)
	buffer_load_dword v106, off, s[0:3], 0 offset:272
	buffer_load_dword v107, off, s[0:3], 0 offset:276
	;; [unrolled: 1-line block ×49, first 2 shown]
	v_mov_b32_e32 v1, 0
	ds_read_b128 v[110:113], v1 offset:1008
	ds_read_b128 v[250:253], v1 offset:1024
	;; [unrolled: 1-line block ×10, first 2 shown]
	buffer_load_dword v160, off, s[0:3], 0 offset:464
	buffer_load_dword v175, off, s[0:3], 0 offset:460
	buffer_load_dword v174, off, s[0:3], 0 offset:456
	buffer_load_dword v179, off, s[0:3], 0 offset:452
	buffer_load_dword v178, off, s[0:3], 0 offset:448
	buffer_load_dword v163, off, s[0:3], 0 offset:508
	buffer_load_dword v162, off, s[0:3], 0 offset:504
	buffer_load_dword v165, off, s[0:3], 0 offset:500
	buffer_load_dword v164, off, s[0:3], 0 offset:496
	buffer_load_dword v183, off, s[0:3], 0 offset:492
	buffer_load_dword v182, off, s[0:3], 0 offset:488
	buffer_load_dword v187, off, s[0:3], 0 offset:484
	buffer_load_dword v186, off, s[0:3], 0 offset:480
	buffer_load_dword v167, off, s[0:3], 0 offset:540
	buffer_load_dword v166, off, s[0:3], 0 offset:536
	buffer_load_dword v169, off, s[0:3], 0 offset:532
	buffer_load_dword v168, off, s[0:3], 0 offset:528
	buffer_load_dword v191, off, s[0:3], 0 offset:524
	buffer_load_dword v190, off, s[0:3], 0 offset:520
	buffer_load_dword v195, off, s[0:3], 0 offset:516
	buffer_load_dword v194, off, s[0:3], 0 offset:512
	buffer_load_dword v171, off, s[0:3], 0 offset:572
	buffer_load_dword v170, off, s[0:3], 0 offset:568
	buffer_load_dword v173, off, s[0:3], 0 offset:564
	buffer_load_dword v172, off, s[0:3], 0 offset:560
	buffer_load_dword v199, off, s[0:3], 0 offset:556
	buffer_load_dword v198, off, s[0:3], 0 offset:552
	buffer_load_dword v203, off, s[0:3], 0 offset:548
	buffer_load_dword v202, off, s[0:3], 0 offset:544
	buffer_load_dword v177, off, s[0:3], 0 offset:604
	buffer_load_dword v176, off, s[0:3], 0 offset:600
	buffer_load_dword v181, off, s[0:3], 0 offset:596
	buffer_load_dword v180, off, s[0:3], 0 offset:592
	buffer_load_dword v215, off, s[0:3], 0 offset:588
	buffer_load_dword v214, off, s[0:3], 0 offset:584
	buffer_load_dword v219, off, s[0:3], 0 offset:580
	buffer_load_dword v218, off, s[0:3], 0 offset:576
	buffer_load_dword v185, off, s[0:3], 0 offset:636
	buffer_load_dword v184, off, s[0:3], 0 offset:632
	buffer_load_dword v189, off, s[0:3], 0 offset:628
	buffer_load_dword v188, off, s[0:3], 0 offset:624
	buffer_load_dword v223, off, s[0:3], 0 offset:620
	buffer_load_dword v222, off, s[0:3], 0 offset:616
	buffer_load_dword v225, off, s[0:3], 0 offset:612
	buffer_load_dword v224, off, s[0:3], 0 offset:608
	buffer_load_dword v193, off, s[0:3], 0 offset:668
	buffer_load_dword v192, off, s[0:3], 0 offset:664
	buffer_load_dword v197, off, s[0:3], 0 offset:660
	buffer_load_dword v196, off, s[0:3], 0 offset:656
	buffer_load_dword v227, off, s[0:3], 0 offset:652
	buffer_load_dword v226, off, s[0:3], 0 offset:648
	buffer_load_dword v229, off, s[0:3], 0 offset:644
	buffer_load_dword v228, off, s[0:3], 0 offset:640
	buffer_load_dword v201, off, s[0:3], 0 offset:700
	buffer_load_dword v200, off, s[0:3], 0 offset:696
	buffer_load_dword v213, off, s[0:3], 0 offset:692
	buffer_load_dword v212, off, s[0:3], 0 offset:688
	buffer_load_dword v233, off, s[0:3], 0 offset:684
	buffer_load_dword v232, off, s[0:3], 0 offset:680
	buffer_load_dword v237, off, s[0:3], 0 offset:676
	buffer_load_dword v236, off, s[0:3], 0 offset:672
	buffer_load_dword v217, off, s[0:3], 0 offset:732
	buffer_load_dword v216, off, s[0:3], 0 offset:728
	buffer_load_dword v221, off, s[0:3], 0 offset:724
	buffer_load_dword v220, off, s[0:3], 0 offset:720
	buffer_load_dword v239, off, s[0:3], 0 offset:716
	buffer_load_dword v238, off, s[0:3], 0 offset:712
	buffer_load_dword v241, off, s[0:3], 0 offset:708
	buffer_load_dword v240, off, s[0:3], 0 offset:704
	v_accvgpr_write_b32 a140, v254
	v_cmp_lt_u32_e32 vcc, 14, v254
	s_waitcnt vmcnt(62) lgkmcnt(9)
	v_mul_f64 v[34:35], v[110:111], v[108:109]
	v_fmac_f64_e32 v[34:35], v[112:113], v[106:107]
	v_add_f64 v[34:35], v[34:35], 0
	v_mul_f64 v[108:109], v[112:113], v[108:109]
	s_waitcnt lgkmcnt(8)
	v_mul_f64 v[36:37], v[250:251], v[116:117]
	v_fmac_f64_e32 v[36:37], v[252:253], v[114:115]
	s_waitcnt lgkmcnt(7)
	v_mul_f64 v[38:39], v[30:31], v[120:121]
	v_add_f64 v[34:35], v[34:35], v[36:37]
	s_waitcnt lgkmcnt(5)
	v_mul_f64 v[42:43], v[22:23], v[122:123]
	v_mul_f64 v[116:117], v[252:253], v[116:117]
	v_fmac_f64_e32 v[42:43], v[24:25], v[124:125]
	v_fma_f64 v[248:249], v[110:111], v[106:107], -v[108:109]
	v_mul_f64 v[40:41], v[26:27], v[126:127]
	v_fma_f64 v[250:251], v[250:251], v[114:115], -v[116:117]
	s_waitcnt lgkmcnt(3)
	v_mul_f64 v[46:47], v[14:15], v[128:129]
	v_mul_f64 v[24:25], v[24:25], v[122:123]
	v_fmac_f64_e32 v[46:47], v[16:17], v[130:131]
	v_fma_f64 v[22:23], v[22:23], v[124:125], -v[24:25]
	v_mul_f64 v[44:45], v[18:19], v[132:133]
	v_mul_f64 v[16:17], v[16:17], v[128:129]
	s_waitcnt lgkmcnt(1)
	v_mul_f64 v[50:51], v[6:7], v[134:135]
	v_fma_f64 v[14:15], v[14:15], v[130:131], -v[16:17]
	v_fmac_f64_e32 v[50:51], v[8:9], v[136:137]
	v_mul_f64 v[8:9], v[8:9], v[134:135]
	v_mul_f64 v[48:49], v[10:11], v[142:143]
	v_fma_f64 v[6:7], v[6:7], v[136:137], -v[8:9]
	s_waitcnt lgkmcnt(0)
	v_mul_f64 v[52:53], v[2:3], v[138:139]
	v_fmac_f64_e32 v[38:39], v[32:33], v[154:155]
	v_add_f64 v[34:35], v[34:35], v[38:39]
	v_fmac_f64_e32 v[40:41], v[28:29], v[152:153]
	v_add_f64 v[34:35], v[34:35], v[40:41]
	;; [unrolled: 2-line block ×3, first 2 shown]
	v_add_f64 v[34:35], v[34:35], v[44:45]
	v_fmac_f64_e32 v[48:49], v[12:13], v[148:149]
	v_add_f64 v[34:35], v[34:35], v[46:47]
	v_add_f64 v[34:35], v[34:35], v[48:49]
	v_fmac_f64_e32 v[52:53], v[4:5], v[146:147]
	v_add_f64 v[34:35], v[34:35], v[50:51]
	v_add_f64 v[42:43], v[34:35], v[52:53]
	ds_read_b128 v[38:41], v1 offset:1168
	ds_read_b128 v[34:37], v1 offset:1184
	buffer_load_dword v231, off, s[0:3], 0 offset:764
	buffer_load_dword v230, off, s[0:3], 0 offset:760
	;; [unrolled: 1-line block ×8, first 2 shown]
	ds_read_b128 v[110:113], v1 offset:1456
	ds_read_b128 v[106:109], v1 offset:1472
	s_waitcnt lgkmcnt(3)
	v_mul_f64 v[44:45], v[38:39], v[144:145]
	v_fmac_f64_e32 v[44:45], v[40:41], v[156:157]
	v_add_f64 v[46:47], v[42:43], v[44:45]
	ds_read_b128 v[42:45], v1 offset:1200
	s_waitcnt lgkmcnt(3)
	v_mul_f64 v[48:49], v[34:35], v[174:175]
	v_fmac_f64_e32 v[48:49], v[36:37], v[178:179]
	v_add_f64 v[50:51], v[46:47], v[48:49]
	;; [unrolled: 5-line block ×3, first 2 shown]
	ds_read_b128 v[50:53], v1 offset:1232
	s_waitcnt vmcnt(62) lgkmcnt(1)
	v_mul_f64 v[56:57], v[46:47], v[182:183]
	v_fmac_f64_e32 v[56:57], v[48:49], v[186:187]
	v_add_f64 v[58:59], v[54:55], v[56:57]
	ds_read_b128 v[54:57], v1 offset:1248
	s_waitcnt lgkmcnt(1)
	v_mul_f64 v[60:61], v[50:51], v[162:163]
	v_fmac_f64_e32 v[60:61], v[52:53], v[164:165]
	v_add_f64 v[62:63], v[58:59], v[60:61]
	ds_read_b128 v[58:61], v1 offset:1264
	s_waitcnt vmcnt(58) lgkmcnt(1)
	v_mul_f64 v[64:65], v[54:55], v[190:191]
	s_waitcnt vmcnt(56)
	v_fmac_f64_e32 v[64:65], v[56:57], v[194:195]
	v_add_f64 v[66:67], v[62:63], v[64:65]
	ds_read_b128 v[62:65], v1 offset:1280
	s_waitcnt lgkmcnt(1)
	v_mul_f64 v[68:69], v[58:59], v[166:167]
	v_fmac_f64_e32 v[68:69], v[60:61], v[168:169]
	v_add_f64 v[70:71], v[66:67], v[68:69]
	ds_read_b128 v[66:69], v1 offset:1296
	s_waitcnt vmcnt(50) lgkmcnt(1)
	v_mul_f64 v[72:73], v[62:63], v[198:199]
	s_waitcnt vmcnt(48)
	;; [unrolled: 11-line block ×5, first 2 shown]
	v_fmac_f64_e32 v[96:97], v[88:89], v[228:229]
	v_add_f64 v[98:99], v[94:95], v[96:97]
	ds_read_b128 v[94:97], v1 offset:1408
	s_waitcnt lgkmcnt(1)
	v_mul_f64 v[100:101], v[90:91], v[192:193]
	v_fmac_f64_e32 v[100:101], v[92:93], v[196:197]
	v_add_f64 v[118:119], v[98:99], v[100:101]
	ds_read_b128 v[98:101], v1 offset:1424
	ds_read_b128 v[102:105], v1 offset:1440
	;; [unrolled: 1-line block ×3, first 2 shown]
	buffer_load_dword v252, off, s[0:3], 0 offset:264
	buffer_load_dword v253, off, s[0:3], 0 offset:268
	s_waitcnt vmcnt(20) lgkmcnt(3)
	v_mul_f64 v[204:205], v[94:95], v[232:233]
	s_waitcnt vmcnt(18)
	v_fmac_f64_e32 v[204:205], v[96:97], v[236:237]
	v_add_f64 v[118:119], v[118:119], v[204:205]
	s_waitcnt lgkmcnt(2)
	v_mul_f64 v[204:205], v[98:99], v[200:201]
	v_fmac_f64_e32 v[204:205], v[100:101], v[212:213]
	v_add_f64 v[118:119], v[118:119], v[204:205]
	s_waitcnt vmcnt(12) lgkmcnt(1)
	v_mul_f64 v[204:205], v[102:103], v[238:239]
	s_waitcnt vmcnt(10)
	v_fmac_f64_e32 v[204:205], v[104:105], v[240:241]
	v_add_f64 v[118:119], v[118:119], v[204:205]
	v_mul_f64 v[204:205], v[110:111], v[216:217]
	v_fmac_f64_e32 v[204:205], v[112:113], v[220:221]
	v_add_f64 v[118:119], v[118:119], v[204:205]
	s_waitcnt vmcnt(4)
	v_mul_f64 v[204:205], v[106:107], v[242:243]
	v_mul_f64 v[32:33], v[32:33], v[120:121]
	s_waitcnt vmcnt(2)
	v_fmac_f64_e32 v[204:205], v[108:109], v[244:245]
	v_add_f64 v[118:119], v[118:119], v[204:205]
	s_waitcnt lgkmcnt(0)
	v_mul_f64 v[204:205], v[114:115], v[230:231]
	v_fmac_f64_e32 v[204:205], v[116:117], v[234:235]
	v_add_f64 v[246:247], v[118:119], v[204:205]
	v_add_f64 v[118:119], v[248:249], 0
	;; [unrolled: 1-line block ×3, first 2 shown]
	v_fma_f64 v[30:31], v[30:31], v[154:155], -v[32:33]
	v_mul_f64 v[28:29], v[28:29], v[126:127]
	v_add_f64 v[30:31], v[118:119], v[30:31]
	v_fma_f64 v[26:27], v[26:27], v[152:153], -v[28:29]
	v_add_f64 v[26:27], v[30:31], v[26:27]
	v_mul_f64 v[20:21], v[20:21], v[132:133]
	v_add_f64 v[22:23], v[26:27], v[22:23]
	v_fma_f64 v[18:19], v[18:19], v[150:151], -v[20:21]
	v_add_f64 v[18:19], v[22:23], v[18:19]
	;; [unrolled: 4-line block ×3, first 2 shown]
	v_mul_f64 v[4:5], v[4:5], v[138:139]
	v_add_f64 v[6:7], v[10:11], v[6:7]
	v_fma_f64 v[2:3], v[2:3], v[146:147], -v[4:5]
	v_mul_f64 v[4:5], v[40:41], v[144:145]
	v_add_f64 v[2:3], v[6:7], v[2:3]
	v_fma_f64 v[4:5], v[38:39], v[156:157], -v[4:5]
	v_add_f64 v[2:3], v[2:3], v[4:5]
	v_mul_f64 v[4:5], v[36:37], v[174:175]
	v_fma_f64 v[4:5], v[34:35], v[178:179], -v[4:5]
	v_add_f64 v[2:3], v[2:3], v[4:5]
	v_mul_f64 v[4:5], v[44:45], v[158:159]
	;; [unrolled: 3-line block ×20, first 2 shown]
	v_fma_f64 v[4:5], v[114:115], v[234:235], -v[4:5]
	v_add_f64 v[2:3], v[2:3], v[4:5]
	v_add_f64 v[2:3], v[140:141], -v[2:3]
	s_waitcnt vmcnt(0)
	v_add_f64 v[4:5], v[252:253], -v[246:247]
	buffer_store_dword v3, off, s[0:3], 0 offset:260
	buffer_store_dword v2, off, s[0:3], 0 offset:256
	;; [unrolled: 1-line block ×4, first 2 shown]
	s_and_saveexec_b64 s[4:5], vcc
	s_cbranch_execz .LBB110_267
; %bb.266:
	v_accvgpr_read_b32 v0, a126
	buffer_load_dword v2, v0, s[0:3], 0 offen
	buffer_load_dword v3, v0, s[0:3], 0 offen offset:4
	buffer_load_dword v4, v0, s[0:3], 0 offen offset:8
	buffer_load_dword v5, v0, s[0:3], 0 offen offset:12
	v_accvgpr_read_b32 v0, a141
	buffer_store_dword v1, off, s[0:3], 0 offset:240
	buffer_store_dword v1, off, s[0:3], 0 offset:244
	;; [unrolled: 1-line block ×4, first 2 shown]
	s_waitcnt vmcnt(4)
	ds_write_b128 v0, v[2:5]
.LBB110_267:
	s_or_b64 exec, exec, s[4:5]
	s_waitcnt lgkmcnt(0)
	; wave barrier
	s_waitcnt lgkmcnt(0)
	buffer_load_dword v112, off, s[0:3], 0 offset:256
	buffer_load_dword v113, off, s[0:3], 0 offset:260
	;; [unrolled: 1-line block ×36, first 2 shown]
	ds_read_b128 v[102:105], v1 offset:992
	ds_read_b128 v[106:109], v1 offset:1008
	;; [unrolled: 1-line block ×9, first 2 shown]
	buffer_load_dword v145, off, s[0:3], 0 offset:428
	buffer_load_dword v144, off, s[0:3], 0 offset:424
	;; [unrolled: 1-line block ×78, first 2 shown]
	v_accvgpr_read_b32 v210, a140
	v_cmp_lt_u32_e32 vcc, 13, v210
	s_waitcnt vmcnt(62) lgkmcnt(8)
	v_mul_f64 v[26:27], v[102:103], v[246:247]
	v_fmac_f64_e32 v[26:27], v[104:105], v[112:113]
	v_add_f64 v[26:27], v[26:27], 0
	v_mul_f64 v[104:105], v[104:105], v[246:247]
	s_waitcnt lgkmcnt(7)
	v_mul_f64 v[28:29], v[106:107], v[248:249]
	v_fmac_f64_e32 v[28:29], v[108:109], v[110:111]
	s_waitcnt lgkmcnt(6)
	v_mul_f64 v[30:31], v[114:115], v[244:245]
	v_add_f64 v[26:27], v[26:27], v[28:29]
	s_waitcnt lgkmcnt(4)
	v_mul_f64 v[34:35], v[18:19], v[120:121]
	v_fma_f64 v[246:247], v[102:103], v[112:113], -v[104:105]
	v_fmac_f64_e32 v[34:35], v[20:21], v[122:123]
	v_mul_f64 v[108:109], v[108:109], v[248:249]
	v_mul_f64 v[32:33], v[22:23], v[124:125]
	v_fma_f64 v[248:249], v[106:107], v[110:111], -v[108:109]
	s_waitcnt lgkmcnt(2)
	v_mul_f64 v[38:39], v[10:11], v[126:127]
	v_mul_f64 v[20:21], v[20:21], v[120:121]
	v_fmac_f64_e32 v[38:39], v[12:13], v[128:129]
	v_fma_f64 v[18:19], v[18:19], v[122:123], -v[20:21]
	v_mul_f64 v[36:37], v[14:15], v[132:133]
	v_mul_f64 v[12:13], v[12:13], v[126:127]
	s_waitcnt lgkmcnt(1)
	v_mul_f64 v[40:41], v[6:7], v[130:131]
	v_fma_f64 v[10:11], v[10:11], v[128:129], -v[12:13]
	v_fmac_f64_e32 v[30:31], v[116:117], v[250:251]
	v_add_f64 v[26:27], v[26:27], v[30:31]
	v_fmac_f64_e32 v[32:33], v[24:25], v[140:141]
	v_add_f64 v[26:27], v[26:27], v[32:33]
	;; [unrolled: 2-line block ×3, first 2 shown]
	v_add_f64 v[26:27], v[26:27], v[36:37]
	v_fmac_f64_e32 v[40:41], v[8:9], v[136:137]
	v_add_f64 v[30:31], v[26:27], v[38:39]
	v_add_f64 v[30:31], v[30:31], v[40:41]
	s_waitcnt lgkmcnt(0)
	v_mul_f64 v[32:33], v[2:3], v[134:135]
	v_fmac_f64_e32 v[32:33], v[4:5], v[142:143]
	ds_read_b128 v[26:29], v1 offset:1136
	v_add_f64 v[34:35], v[30:31], v[32:33]
	ds_read_b128 v[30:33], v1 offset:1152
	buffer_load_dword v231, off, s[0:3], 0 offset:692
	buffer_load_dword v230, off, s[0:3], 0 offset:688
	v_mul_f64 v[116:117], v[116:117], v[244:245]
	s_waitcnt lgkmcnt(1)
	v_mul_f64 v[36:37], v[26:27], v[148:149]
	v_fmac_f64_e32 v[36:37], v[28:29], v[150:151]
	v_add_f64 v[38:39], v[34:35], v[36:37]
	ds_read_b128 v[34:37], v1 offset:1168
	s_waitcnt lgkmcnt(1)
	v_mul_f64 v[40:41], v[30:31], v[144:145]
	v_fmac_f64_e32 v[40:41], v[32:33], v[146:147]
	v_add_f64 v[42:43], v[38:39], v[40:41]
	ds_read_b128 v[38:41], v1 offset:1184
	;; [unrolled: 5-line block ×4, first 2 shown]
	buffer_load_dword v233, off, s[0:3], 0 offset:748
	buffer_load_dword v235, off, s[0:3], 0 offset:732
	;; [unrolled: 1-line block ×12, first 2 shown]
	s_waitcnt vmcnt(62) lgkmcnt(1)
	v_mul_f64 v[52:53], v[42:43], v[176:177]
	v_fmac_f64_e32 v[52:53], v[44:45], v[180:181]
	v_add_f64 v[54:55], v[50:51], v[52:53]
	ds_read_b128 v[50:53], v1 offset:1232
	s_waitcnt lgkmcnt(1)
	v_mul_f64 v[56:57], v[46:47], v[156:157]
	v_fmac_f64_e32 v[56:57], v[48:49], v[158:159]
	v_add_f64 v[58:59], v[54:55], v[56:57]
	ds_read_b128 v[54:57], v1 offset:1248
	s_waitcnt lgkmcnt(1)
	v_mul_f64 v[60:61], v[50:51], v[184:185]
	s_waitcnt vmcnt(60)
	v_fmac_f64_e32 v[60:61], v[52:53], v[188:189]
	v_add_f64 v[62:63], v[58:59], v[60:61]
	ds_read_b128 v[58:61], v1 offset:1264
	s_waitcnt lgkmcnt(1)
	v_mul_f64 v[64:65], v[54:55], v[164:165]
	v_fmac_f64_e32 v[64:65], v[56:57], v[166:167]
	v_add_f64 v[66:67], v[62:63], v[64:65]
	ds_read_b128 v[62:65], v1 offset:1280
	s_waitcnt vmcnt(54) lgkmcnt(1)
	v_mul_f64 v[68:69], v[58:59], v[192:193]
	s_waitcnt vmcnt(52)
	v_fmac_f64_e32 v[68:69], v[60:61], v[196:197]
	v_add_f64 v[70:71], v[66:67], v[68:69]
	ds_read_b128 v[66:69], v1 offset:1296
	s_waitcnt lgkmcnt(1)
	v_mul_f64 v[72:73], v[62:63], v[168:169]
	v_fmac_f64_e32 v[72:73], v[64:65], v[170:171]
	v_add_f64 v[74:75], v[70:71], v[72:73]
	ds_read_b128 v[70:73], v1 offset:1312
	s_waitcnt vmcnt(46) lgkmcnt(1)
	;; [unrolled: 11-line block ×4, first 2 shown]
	v_mul_f64 v[92:93], v[82:83], v[220:221]
	s_waitcnt vmcnt(28)
	v_fmac_f64_e32 v[92:93], v[84:85], v[222:223]
	v_add_f64 v[98:99], v[90:91], v[92:93]
	ds_read_b128 v[90:93], v1 offset:1392
	ds_read_b128 v[94:97], v1 offset:1408
	s_waitcnt lgkmcnt(2)
	v_mul_f64 v[100:101], v[86:87], v[186:187]
	v_fmac_f64_e32 v[100:101], v[88:89], v[190:191]
	v_add_f64 v[98:99], v[98:99], v[100:101]
	s_waitcnt vmcnt(22) lgkmcnt(1)
	v_mul_f64 v[100:101], v[90:91], v[224:225]
	s_waitcnt vmcnt(20)
	v_fmac_f64_e32 v[100:101], v[92:93], v[226:227]
	v_add_f64 v[98:99], v[98:99], v[100:101]
	s_waitcnt lgkmcnt(0)
	v_mul_f64 v[100:101], v[94:95], v[194:195]
	v_fmac_f64_e32 v[100:101], v[96:97], v[198:199]
	v_add_f64 v[118:119], v[98:99], v[100:101]
	ds_read_b128 v[98:101], v1 offset:1424
	ds_read_b128 v[102:105], v1 offset:1440
	ds_read_b128 v[106:109], v1 offset:1456
	v_fma_f64 v[250:251], v[114:115], v[250:251], -v[116:117]
	ds_read_b128 v[114:117], v1 offset:1488
	s_waitcnt vmcnt(14) lgkmcnt(3)
	v_mul_f64 v[112:113], v[98:99], v[228:229]
	s_waitcnt lgkmcnt(2)
	v_mul_f64 v[110:111], v[102:103], v[202:203]
	s_waitcnt vmcnt(12)
	v_fmac_f64_e32 v[112:113], v[100:101], v[230:231]
	v_add_f64 v[112:113], v[118:119], v[112:113]
	v_fmac_f64_e32 v[110:111], v[104:105], v[214:215]
	v_add_f64 v[118:119], v[112:113], v[110:111]
	ds_read_b128 v[110:113], v1 offset:1472
	buffer_load_dword v254, off, s[0:3], 0 offset:240
	buffer_load_dword v255, off, s[0:3], 0 offset:244
	;; [unrolled: 1-line block ×4, first 2 shown]
	v_mul_f64 v[24:25], v[24:25], v[124:125]
	v_fma_f64 v[22:23], v[22:23], v[140:141], -v[24:25]
	v_mul_f64 v[16:17], v[16:17], v[132:133]
	s_waitcnt vmcnt(13) lgkmcnt(2)
	v_mul_f64 v[204:205], v[106:107], v[234:235]
	v_fma_f64 v[14:15], v[14:15], v[138:139], -v[16:17]
	s_waitcnt vmcnt(11)
	v_fmac_f64_e32 v[204:205], v[108:109], v[240:241]
	v_add_f64 v[118:119], v[118:119], v[204:205]
	s_waitcnt vmcnt(10) lgkmcnt(0)
	v_mul_f64 v[204:205], v[110:111], v[232:233]
	s_waitcnt vmcnt(8)
	v_fmac_f64_e32 v[204:205], v[112:113], v[238:239]
	v_add_f64 v[118:119], v[118:119], v[204:205]
	s_waitcnt vmcnt(6)
	v_mul_f64 v[204:205], v[114:115], v[236:237]
	v_mul_f64 v[8:9], v[8:9], v[130:131]
	s_waitcnt vmcnt(4)
	v_fmac_f64_e32 v[204:205], v[116:117], v[242:243]
	v_add_f64 v[244:245], v[118:119], v[204:205]
	v_add_f64 v[118:119], v[246:247], 0
	;; [unrolled: 1-line block ×8, first 2 shown]
	v_fma_f64 v[6:7], v[6:7], v[136:137], -v[8:9]
	v_mul_f64 v[4:5], v[4:5], v[134:135]
	v_add_f64 v[6:7], v[10:11], v[6:7]
	v_fma_f64 v[2:3], v[2:3], v[142:143], -v[4:5]
	v_mul_f64 v[4:5], v[28:29], v[148:149]
	v_add_f64 v[2:3], v[6:7], v[2:3]
	v_fma_f64 v[4:5], v[26:27], v[150:151], -v[4:5]
	v_add_f64 v[2:3], v[2:3], v[4:5]
	v_mul_f64 v[4:5], v[32:33], v[144:145]
	v_fma_f64 v[4:5], v[30:31], v[146:147], -v[4:5]
	v_add_f64 v[2:3], v[2:3], v[4:5]
	v_mul_f64 v[4:5], v[36:37], v[160:161]
	;; [unrolled: 3-line block ×22, first 2 shown]
	v_fma_f64 v[4:5], v[114:115], v[242:243], -v[4:5]
	v_add_f64 v[2:3], v[2:3], v[4:5]
	s_waitcnt vmcnt(2)
	v_add_f64 v[2:3], v[254:255], -v[2:3]
	s_waitcnt vmcnt(0)
	v_add_f64 v[4:5], v[252:253], -v[244:245]
	buffer_store_dword v3, off, s[0:3], 0 offset:244
	buffer_store_dword v2, off, s[0:3], 0 offset:240
	;; [unrolled: 1-line block ×4, first 2 shown]
	s_and_saveexec_b64 s[4:5], vcc
	s_cbranch_execz .LBB110_269
; %bb.268:
	v_accvgpr_read_b32 v0, a127
	buffer_load_dword v2, v0, s[0:3], 0 offen
	buffer_load_dword v3, v0, s[0:3], 0 offen offset:4
	buffer_load_dword v4, v0, s[0:3], 0 offen offset:8
	;; [unrolled: 1-line block ×3, first 2 shown]
	v_mov_b32_e32 v0, 0
	v_accvgpr_read_b32 v1, a141
	buffer_store_dword v0, off, s[0:3], 0 offset:224
	buffer_store_dword v0, off, s[0:3], 0 offset:228
	;; [unrolled: 1-line block ×4, first 2 shown]
	s_waitcnt vmcnt(4)
	ds_write_b128 v1, v[2:5]
.LBB110_269:
	s_or_b64 exec, exec, s[4:5]
	s_waitcnt lgkmcnt(0)
	; wave barrier
	s_waitcnt lgkmcnt(0)
	buffer_load_dword v94, off, s[0:3], 0 offset:240
	buffer_load_dword v95, off, s[0:3], 0 offset:244
	;; [unrolled: 1-line block ×52, first 2 shown]
	v_mov_b32_e32 v1, 0
	ds_read_b128 v[102:105], v1 offset:976
	ds_read_b128 v[114:117], v1 offset:992
	;; [unrolled: 1-line block ×10, first 2 shown]
	v_cmp_lt_u32_e32 vcc, 12, v210
	s_waitcnt vmcnt(48) lgkmcnt(9)
	v_mul_f64 v[26:27], v[102:103], v[96:97]
	v_fmac_f64_e32 v[26:27], v[104:105], v[94:95]
	v_add_f64 v[26:27], v[26:27], 0
	v_mul_f64 v[96:97], v[104:105], v[96:97]
	s_waitcnt vmcnt(44) lgkmcnt(8)
	v_mul_f64 v[28:29], v[114:115], v[100:101]
	v_fmac_f64_e32 v[28:29], v[116:117], v[98:99]
	s_waitcnt vmcnt(42) lgkmcnt(7)
	v_mul_f64 v[30:31], v[244:245], v[106:107]
	v_add_f64 v[26:27], v[26:27], v[28:29]
	s_waitcnt vmcnt(40) lgkmcnt(5)
	v_mul_f64 v[34:35], v[22:23], v[122:123]
	v_fma_f64 v[204:205], v[102:103], v[94:95], -v[96:97]
	s_waitcnt vmcnt(38)
	v_fmac_f64_e32 v[34:35], v[24:25], v[126:127]
	v_mul_f64 v[100:101], v[116:117], v[100:101]
	s_waitcnt vmcnt(36)
	v_mul_f64 v[32:33], v[250:251], v[110:111]
	v_fma_f64 v[206:207], v[114:115], v[98:99], -v[100:101]
	s_waitcnt vmcnt(34) lgkmcnt(3)
	v_mul_f64 v[38:39], v[14:15], v[120:121]
	v_mul_f64 v[106:107], v[246:247], v[106:107]
	s_waitcnt vmcnt(32)
	v_fmac_f64_e32 v[38:39], v[16:17], v[124:125]
	v_mul_f64 v[110:111], v[252:253], v[110:111]
	s_waitcnt vmcnt(30)
	v_mul_f64 v[36:37], v[18:19], v[132:133]
	v_mul_f64 v[24:25], v[24:25], v[122:123]
	v_fma_f64 v[22:23], v[22:23], v[126:127], -v[24:25]
	s_waitcnt vmcnt(27) lgkmcnt(2)
	v_mul_f64 v[40:41], v[10:11], v[130:131]
	s_waitcnt vmcnt(26) lgkmcnt(1)
	v_mul_f64 v[42:43], v[6:7], v[128:129]
	v_mul_f64 v[16:17], v[16:17], v[120:121]
	s_waitcnt vmcnt(24)
	v_fmac_f64_e32 v[30:31], v[246:247], v[108:109]
	v_add_f64 v[26:27], v[26:27], v[30:31]
	s_waitcnt vmcnt(22)
	v_fmac_f64_e32 v[32:33], v[252:253], v[112:113]
	v_add_f64 v[26:27], v[26:27], v[32:33]
	;; [unrolled: 3-line block ×3, first 2 shown]
	v_add_f64 v[26:27], v[26:27], v[36:37]
	s_waitcnt vmcnt(18)
	v_fmac_f64_e32 v[40:41], v[12:13], v[134:135]
	v_add_f64 v[26:27], v[26:27], v[38:39]
	v_add_f64 v[26:27], v[26:27], v[40:41]
	s_waitcnt vmcnt(16)
	v_fmac_f64_e32 v[42:43], v[8:9], v[140:141]
	v_add_f64 v[34:35], v[26:27], v[42:43]
	ds_read_b128 v[26:29], v1 offset:1136
	ds_read_b128 v[30:33], v1 offset:1152
	buffer_load_dword v157, off, s[0:3], 0 offset:476
	buffer_load_dword v156, off, s[0:3], 0 offset:472
	;; [unrolled: 1-line block ×56, first 2 shown]
	s_waitcnt vmcnt(62) lgkmcnt(2)
	v_mul_f64 v[36:37], v[2:3], v[144:145]
	v_fmac_f64_e32 v[36:37], v[4:5], v[146:147]
	v_add_f64 v[34:35], v[34:35], v[36:37]
	s_waitcnt lgkmcnt(1)
	v_mul_f64 v[36:37], v[26:27], v[138:139]
	v_fmac_f64_e32 v[36:37], v[28:29], v[142:143]
	v_add_f64 v[34:35], v[34:35], v[36:37]
	s_waitcnt lgkmcnt(0)
	v_mul_f64 v[36:37], v[30:31], v[148:149]
	s_waitcnt vmcnt(60)
	v_fmac_f64_e32 v[36:37], v[32:33], v[152:153]
	v_add_f64 v[42:43], v[34:35], v[36:37]
	ds_read_b128 v[34:37], v1 offset:1168
	buffer_load_dword v201, off, s[0:3], 0 offset:700
	buffer_load_dword v200, off, s[0:3], 0 offset:696
	;; [unrolled: 1-line block ×16, first 2 shown]
	ds_read_b128 v[38:41], v1 offset:1184
	buffer_load_dword v231, off, s[0:3], 0 offset:764
	buffer_load_dword v230, off, s[0:3], 0 offset:760
	;; [unrolled: 1-line block ×8, first 2 shown]
	ds_read_b128 v[98:101], v1 offset:1424
	s_waitcnt vmcnt(62) lgkmcnt(2)
	v_mul_f64 v[44:45], v[34:35], v[150:151]
	v_fmac_f64_e32 v[44:45], v[36:37], v[154:155]
	v_add_f64 v[46:47], v[42:43], v[44:45]
	ds_read_b128 v[42:45], v1 offset:1200
	v_fma_f64 v[248:249], v[244:245], v[108:109], -v[106:107]
	ds_read_b128 v[106:109], v1 offset:1456
	v_fma_f64 v[246:247], v[250:251], v[112:113], -v[110:111]
	v_mul_f64 v[20:21], v[20:21], v[132:133]
	v_fma_f64 v[18:19], v[18:19], v[136:137], -v[20:21]
	v_fma_f64 v[14:15], v[14:15], v[124:125], -v[16:17]
	v_mul_f64 v[12:13], v[12:13], v[130:131]
	v_fma_f64 v[10:11], v[10:11], v[134:135], -v[12:13]
	v_mul_f64 v[8:9], v[8:9], v[128:129]
	;; [unrolled: 2-line block ×3, first 2 shown]
	s_waitcnt lgkmcnt(3)
	v_mul_f64 v[48:49], v[38:39], v[172:173]
	v_fma_f64 v[2:3], v[2:3], v[146:147], -v[4:5]
	v_fmac_f64_e32 v[48:49], v[40:41], v[176:177]
	v_add_f64 v[50:51], v[46:47], v[48:49]
	ds_read_b128 v[46:49], v1 offset:1216
	s_waitcnt lgkmcnt(2)
	v_mul_f64 v[52:53], v[42:43], v[156:157]
	v_fmac_f64_e32 v[52:53], v[44:45], v[158:159]
	v_add_f64 v[54:55], v[50:51], v[52:53]
	ds_read_b128 v[50:53], v1 offset:1232
	s_waitcnt lgkmcnt(1)
	v_mul_f64 v[56:57], v[46:47], v[180:181]
	;; [unrolled: 5-line block ×3, first 2 shown]
	v_fmac_f64_e32 v[60:61], v[52:53], v[162:163]
	v_add_f64 v[62:63], v[58:59], v[60:61]
	ds_read_b128 v[58:61], v1 offset:1264
	s_waitcnt vmcnt(58) lgkmcnt(1)
	v_mul_f64 v[64:65], v[54:55], v[188:189]
	s_waitcnt vmcnt(56)
	v_fmac_f64_e32 v[64:65], v[56:57], v[192:193]
	v_add_f64 v[66:67], v[62:63], v[64:65]
	ds_read_b128 v[62:65], v1 offset:1280
	s_waitcnt lgkmcnt(1)
	v_mul_f64 v[68:69], v[58:59], v[164:165]
	v_fmac_f64_e32 v[68:69], v[60:61], v[166:167]
	v_add_f64 v[70:71], v[66:67], v[68:69]
	ds_read_b128 v[66:69], v1 offset:1296
	s_waitcnt vmcnt(50) lgkmcnt(1)
	v_mul_f64 v[72:73], v[62:63], v[196:197]
	s_waitcnt vmcnt(48)
	v_fmac_f64_e32 v[72:73], v[64:65], v[198:199]
	v_add_f64 v[74:75], v[70:71], v[72:73]
	ds_read_b128 v[70:73], v1 offset:1312
	s_waitcnt lgkmcnt(1)
	v_mul_f64 v[76:77], v[66:67], v[168:169]
	v_fmac_f64_e32 v[76:77], v[68:69], v[170:171]
	v_add_f64 v[78:79], v[74:75], v[76:77]
	ds_read_b128 v[74:77], v1 offset:1328
	s_waitcnt vmcnt(42) lgkmcnt(1)
	v_mul_f64 v[80:81], v[70:71], v[202:203]
	s_waitcnt vmcnt(40)
	v_fmac_f64_e32 v[80:81], v[72:73], v[214:215]
	v_add_f64 v[82:83], v[78:79], v[80:81]
	ds_read_b128 v[78:81], v1 offset:1344
	s_waitcnt lgkmcnt(1)
	v_mul_f64 v[84:85], v[74:75], v[174:175]
	v_fmac_f64_e32 v[84:85], v[76:77], v[178:179]
	v_add_f64 v[90:91], v[82:83], v[84:85]
	ds_read_b128 v[82:85], v1 offset:1360
	ds_read_b128 v[86:89], v1 offset:1376
	s_waitcnt vmcnt(34) lgkmcnt(2)
	v_mul_f64 v[92:93], v[78:79], v[218:219]
	s_waitcnt vmcnt(32)
	v_fmac_f64_e32 v[92:93], v[80:81], v[224:225]
	v_add_f64 v[90:91], v[90:91], v[92:93]
	s_waitcnt lgkmcnt(1)
	v_mul_f64 v[92:93], v[82:83], v[182:183]
	v_fmac_f64_e32 v[92:93], v[84:85], v[186:187]
	v_add_f64 v[90:91], v[90:91], v[92:93]
	s_waitcnt vmcnt(27) lgkmcnt(0)
	v_mul_f64 v[92:93], v[86:87], v[222:223]
	s_waitcnt vmcnt(25)
	v_fmac_f64_e32 v[92:93], v[88:89], v[226:227]
	v_add_f64 v[118:119], v[90:91], v[92:93]
	ds_read_b128 v[90:93], v1 offset:1392
	ds_read_b128 v[94:97], v1 offset:1408
	;; [unrolled: 1-line block ×3, first 2 shown]
	v_mul_f64 v[4:5], v[28:29], v[138:139]
	v_fma_f64 v[4:5], v[26:27], v[142:143], -v[4:5]
	s_waitcnt lgkmcnt(2)
	v_mul_f64 v[102:103], v[90:91], v[190:191]
	s_waitcnt vmcnt(24)
	v_fmac_f64_e32 v[102:103], v[92:93], v[194:195]
	s_waitcnt vmcnt(18) lgkmcnt(1)
	v_mul_f64 v[104:105], v[94:95], v[228:229]
	v_add_f64 v[102:103], v[118:119], v[102:103]
	s_waitcnt vmcnt(16)
	v_fmac_f64_e32 v[104:105], v[96:97], v[232:233]
	v_add_f64 v[102:103], v[102:103], v[104:105]
	v_mul_f64 v[104:105], v[98:99], v[200:201]
	v_fmac_f64_e32 v[104:105], v[100:101], v[212:213]
	v_add_f64 v[114:115], v[102:103], v[104:105]
	ds_read_b128 v[102:105], v1 offset:1440
	s_waitcnt vmcnt(10) lgkmcnt(0)
	v_mul_f64 v[116:117], v[102:103], v[236:237]
	s_waitcnt vmcnt(8)
	v_fmac_f64_e32 v[116:117], v[104:105], v[238:239]
	v_add_f64 v[114:115], v[114:115], v[116:117]
	v_mul_f64 v[116:117], v[106:107], v[216:217]
	v_fmac_f64_e32 v[116:117], v[108:109], v[220:221]
	v_add_f64 v[114:115], v[114:115], v[116:117]
	s_waitcnt vmcnt(2)
	v_mul_f64 v[116:117], v[110:111], v[240:241]
	s_waitcnt vmcnt(0)
	v_fmac_f64_e32 v[116:117], v[112:113], v[242:243]
	v_add_f64 v[118:119], v[114:115], v[116:117]
	ds_read_b128 v[114:117], v1 offset:1488
	buffer_load_dword v252, off, s[0:3], 0 offset:224
	buffer_load_dword v253, off, s[0:3], 0 offset:228
	s_waitcnt lgkmcnt(0)
	v_mul_f64 v[208:209], v[114:115], v[230:231]
	v_fmac_f64_e32 v[208:209], v[116:117], v[234:235]
	v_add_f64 v[244:245], v[118:119], v[208:209]
	v_add_f64 v[118:119], v[204:205], 0
	;; [unrolled: 1-line block ×4, first 2 shown]
	buffer_load_dword v248, off, s[0:3], 0 offset:232
	buffer_load_dword v249, off, s[0:3], 0 offset:236
	v_add_f64 v[118:119], v[118:119], v[246:247]
	v_add_f64 v[22:23], v[118:119], v[22:23]
	;; [unrolled: 1-line block ×8, first 2 shown]
	v_mul_f64 v[4:5], v[32:33], v[148:149]
	v_fma_f64 v[4:5], v[30:31], v[152:153], -v[4:5]
	v_add_f64 v[2:3], v[2:3], v[4:5]
	v_mul_f64 v[4:5], v[36:37], v[150:151]
	v_fma_f64 v[4:5], v[34:35], v[154:155], -v[4:5]
	v_add_f64 v[2:3], v[2:3], v[4:5]
	;; [unrolled: 3-line block ×22, first 2 shown]
	s_waitcnt vmcnt(2)
	v_add_f64 v[2:3], v[252:253], -v[2:3]
	s_waitcnt vmcnt(0)
	v_add_f64 v[4:5], v[248:249], -v[244:245]
	buffer_store_dword v3, off, s[0:3], 0 offset:228
	buffer_store_dword v2, off, s[0:3], 0 offset:224
	;; [unrolled: 1-line block ×4, first 2 shown]
	s_and_saveexec_b64 s[4:5], vcc
	s_cbranch_execz .LBB110_271
; %bb.270:
	v_accvgpr_read_b32 v0, a128
	buffer_load_dword v2, v0, s[0:3], 0 offen
	buffer_load_dword v3, v0, s[0:3], 0 offen offset:4
	buffer_load_dword v4, v0, s[0:3], 0 offen offset:8
	;; [unrolled: 1-line block ×3, first 2 shown]
	v_accvgpr_read_b32 v0, a141
	buffer_store_dword v1, off, s[0:3], 0 offset:208
	buffer_store_dword v1, off, s[0:3], 0 offset:212
	;; [unrolled: 1-line block ×4, first 2 shown]
	s_waitcnt vmcnt(4)
	ds_write_b128 v0, v[2:5]
.LBB110_271:
	s_or_b64 exec, exec, s[4:5]
	s_waitcnt lgkmcnt(0)
	; wave barrier
	s_waitcnt lgkmcnt(0)
	buffer_load_dword v86, off, s[0:3], 0 offset:224
	buffer_load_dword v87, off, s[0:3], 0 offset:228
	;; [unrolled: 1-line block ×42, first 2 shown]
	ds_read_b128 v[94:97], v1 offset:960
	ds_read_b128 v[106:109], v1 offset:976
	;; [unrolled: 1-line block ×10, first 2 shown]
	buffer_load_dword v147, off, s[0:3], 0 offset:372
	buffer_load_dword v146, off, s[0:3], 0 offset:368
	ds_read_b128 v[6:9], v1 offset:1120
	buffer_load_dword v143, off, s[0:3], 0 offset:428
	buffer_load_dword v142, off, s[0:3], 0 offset:424
	;; [unrolled: 1-line block ×80, first 2 shown]
	s_waitcnt vmcnt(62) lgkmcnt(10)
	v_mul_f64 v[26:27], v[94:95], v[88:89]
	v_fmac_f64_e32 v[26:27], v[96:97], v[86:87]
	v_add_f64 v[26:27], v[26:27], 0
	v_mul_f64 v[88:89], v[96:97], v[88:89]
	s_waitcnt lgkmcnt(9)
	v_mul_f64 v[28:29], v[106:107], v[92:93]
	v_fmac_f64_e32 v[28:29], v[108:109], v[90:91]
	s_waitcnt lgkmcnt(8)
	v_mul_f64 v[30:31], v[114:115], v[98:99]
	v_add_f64 v[26:27], v[26:27], v[28:29]
	s_waitcnt lgkmcnt(6)
	v_mul_f64 v[34:35], v[248:249], v[110:111]
	v_fma_f64 v[204:205], v[94:95], v[86:87], -v[88:89]
	v_fmac_f64_e32 v[34:35], v[250:251], v[112:113]
	v_mul_f64 v[92:93], v[108:109], v[92:93]
	v_mul_f64 v[32:33], v[244:245], v[102:103]
	;; [unrolled: 1-line block ×3, first 2 shown]
	s_waitcnt lgkmcnt(4)
	v_mul_f64 v[38:39], v[18:19], v[120:121]
	v_mul_f64 v[102:103], v[246:247], v[102:103]
	v_fmac_f64_e32 v[38:39], v[20:21], v[122:123]
	v_mul_f64 v[110:111], v[250:251], v[110:111]
	v_mul_f64 v[36:37], v[22:23], v[124:125]
	v_fma_f64 v[248:249], v[248:249], v[112:113], -v[110:111]
	s_waitcnt lgkmcnt(2)
	v_mul_f64 v[42:43], v[10:11], v[126:127]
	v_add_f64 v[204:205], v[204:205], 0
	v_mul_f64 v[20:21], v[20:21], v[120:121]
	v_mul_f64 v[40:41], v[14:15], v[132:133]
	v_fma_f64 v[18:19], v[18:19], v[122:123], -v[20:21]
	s_waitcnt lgkmcnt(1)
	v_mul_f64 v[44:45], v[2:3], v[130:131]
	v_fmac_f64_e32 v[30:31], v[116:117], v[100:101]
	v_add_f64 v[26:27], v[26:27], v[30:31]
	v_fmac_f64_e32 v[32:33], v[246:247], v[104:105]
	v_add_f64 v[26:27], v[26:27], v[32:33]
	;; [unrolled: 2-line block ×3, first 2 shown]
	v_add_f64 v[26:27], v[26:27], v[36:37]
	v_fmac_f64_e32 v[40:41], v[16:17], v[134:135]
	v_add_f64 v[26:27], v[26:27], v[38:39]
	v_fmac_f64_e32 v[42:43], v[12:13], v[128:129]
	v_add_f64 v[26:27], v[26:27], v[40:41]
	v_add_f64 v[26:27], v[26:27], v[42:43]
	s_waitcnt lgkmcnt(0)
	v_mul_f64 v[32:33], v[6:7], v[138:139]
	v_fmac_f64_e32 v[44:45], v[4:5], v[146:147]
	v_add_f64 v[30:31], v[26:27], v[44:45]
	ds_read_b128 v[26:29], v1 offset:1136
	v_fmac_f64_e32 v[32:33], v[8:9], v[140:141]
	v_add_f64 v[34:35], v[30:31], v[32:33]
	ds_read_b128 v[30:33], v1 offset:1152
	v_fma_f64 v[206:207], v[114:115], v[100:101], -v[98:99]
	s_waitcnt lgkmcnt(1)
	v_mul_f64 v[36:37], v[26:27], v[148:149]
	v_fmac_f64_e32 v[36:37], v[28:29], v[164:165]
	v_add_f64 v[38:39], v[34:35], v[36:37]
	ds_read_b128 v[34:37], v1 offset:1168
	s_waitcnt lgkmcnt(1)
	v_mul_f64 v[40:41], v[30:31], v[142:143]
	v_fmac_f64_e32 v[40:41], v[32:33], v[144:145]
	v_add_f64 v[42:43], v[38:39], v[40:41]
	ds_read_b128 v[38:41], v1 offset:1184
	;; [unrolled: 5-line block ×4, first 2 shown]
	s_waitcnt vmcnt(58) lgkmcnt(1)
	v_mul_f64 v[52:53], v[42:43], v[176:177]
	s_waitcnt vmcnt(56)
	v_fmac_f64_e32 v[52:53], v[44:45], v[180:181]
	v_add_f64 v[54:55], v[50:51], v[52:53]
	ds_read_b128 v[50:53], v1 offset:1232
	buffer_load_dword v232, off, s[0:3], 0 offset:744
	buffer_load_dword v237, off, s[0:3], 0 offset:732
	;; [unrolled: 1-line block ×8, first 2 shown]
	s_waitcnt lgkmcnt(1)
	v_mul_f64 v[56:57], v[46:47], v[154:155]
	v_fmac_f64_e32 v[56:57], v[48:49], v[156:157]
	v_add_f64 v[58:59], v[54:55], v[56:57]
	ds_read_b128 v[54:57], v1 offset:1248
	s_waitcnt vmcnt(58) lgkmcnt(1)
	v_mul_f64 v[60:61], v[50:51], v[184:185]
	s_waitcnt vmcnt(56)
	v_fmac_f64_e32 v[60:61], v[52:53], v[188:189]
	buffer_load_dword v241, off, s[0:3], 0 offset:764
	buffer_load_dword v240, off, s[0:3], 0 offset:760
	;; [unrolled: 1-line block ×4, first 2 shown]
	v_add_f64 v[62:63], v[58:59], v[60:61]
	ds_read_b128 v[58:61], v1 offset:1264
	s_waitcnt lgkmcnt(1)
	v_mul_f64 v[64:65], v[54:55], v[158:159]
	v_fmac_f64_e32 v[64:65], v[56:57], v[160:161]
	v_add_f64 v[66:67], v[62:63], v[64:65]
	ds_read_b128 v[62:65], v1 offset:1280
	s_waitcnt vmcnt(54) lgkmcnt(1)
	v_mul_f64 v[68:69], v[58:59], v[192:193]
	s_waitcnt vmcnt(52)
	v_fmac_f64_e32 v[68:69], v[60:61], v[196:197]
	v_add_f64 v[70:71], v[66:67], v[68:69]
	ds_read_b128 v[66:69], v1 offset:1296
	s_waitcnt lgkmcnt(1)
	v_mul_f64 v[72:73], v[62:63], v[162:163]
	v_fmac_f64_e32 v[72:73], v[64:65], v[166:167]
	v_add_f64 v[74:75], v[70:71], v[72:73]
	ds_read_b128 v[70:73], v1 offset:1312
	s_waitcnt vmcnt(46) lgkmcnt(1)
	v_mul_f64 v[76:77], v[66:67], v[200:201]
	s_waitcnt vmcnt(44)
	v_fmac_f64_e32 v[76:77], v[68:69], v[212:213]
	v_add_f64 v[82:83], v[74:75], v[76:77]
	ds_read_b128 v[74:77], v1 offset:1328
	ds_read_b128 v[78:81], v1 offset:1344
	s_waitcnt lgkmcnt(2)
	v_mul_f64 v[84:85], v[70:71], v[170:171]
	v_fmac_f64_e32 v[84:85], v[72:73], v[174:175]
	v_add_f64 v[82:83], v[82:83], v[84:85]
	s_waitcnt vmcnt(38) lgkmcnt(1)
	v_mul_f64 v[84:85], v[74:75], v[216:217]
	s_waitcnt vmcnt(36)
	v_fmac_f64_e32 v[84:85], v[76:77], v[218:219]
	v_add_f64 v[82:83], v[82:83], v[84:85]
	s_waitcnt lgkmcnt(0)
	v_mul_f64 v[84:85], v[78:79], v[178:179]
	v_fmac_f64_e32 v[84:85], v[80:81], v[182:183]
	v_add_f64 v[118:119], v[82:83], v[84:85]
	ds_read_b128 v[82:85], v1 offset:1360
	ds_read_b128 v[86:89], v1 offset:1376
	;; [unrolled: 1-line block ×3, first 2 shown]
	v_fma_f64 v[246:247], v[244:245], v[104:105], -v[102:103]
	ds_read_b128 v[102:105], v1 offset:1456
	ds_read_b128 v[110:113], v1 offset:1472
	s_waitcnt vmcnt(30) lgkmcnt(4)
	v_mul_f64 v[94:95], v[82:83], v[220:221]
	s_waitcnt vmcnt(28)
	v_fmac_f64_e32 v[94:95], v[84:85], v[222:223]
	v_add_f64 v[94:95], v[118:119], v[94:95]
	v_fma_f64 v[118:119], v[106:107], v[90:91], -v[92:93]
	ds_read_b128 v[90:93], v1 offset:1392
	s_waitcnt lgkmcnt(4)
	v_mul_f64 v[96:97], v[86:87], v[186:187]
	v_fmac_f64_e32 v[96:97], v[88:89], v[190:191]
	v_add_f64 v[106:107], v[94:95], v[96:97]
	ds_read_b128 v[94:97], v1 offset:1408
	s_waitcnt vmcnt(22) lgkmcnt(1)
	v_mul_f64 v[108:109], v[90:91], v[224:225]
	s_waitcnt vmcnt(20)
	v_fmac_f64_e32 v[108:109], v[92:93], v[226:227]
	v_add_f64 v[106:107], v[106:107], v[108:109]
	v_add_f64 v[118:119], v[204:205], v[118:119]
	s_waitcnt lgkmcnt(0)
	v_mul_f64 v[108:109], v[94:95], v[194:195]
	v_fmac_f64_e32 v[108:109], v[96:97], v[198:199]
	v_add_f64 v[114:115], v[106:107], v[108:109]
	ds_read_b128 v[106:109], v1 offset:1440
	s_waitcnt vmcnt(14)
	v_mul_f64 v[116:117], v[98:99], v[228:229]
	s_waitcnt vmcnt(12)
	v_fmac_f64_e32 v[116:117], v[100:101], v[230:231]
	v_add_f64 v[114:115], v[114:115], v[116:117]
	v_add_f64 v[250:251], v[118:119], v[206:207]
	s_waitcnt lgkmcnt(0)
	v_mul_f64 v[116:117], v[106:107], v[202:203]
	v_fmac_f64_e32 v[116:117], v[108:109], v[214:215]
	v_add_f64 v[114:115], v[114:115], v[116:117]
	v_add_f64 v[118:119], v[250:251], v[246:247]
	v_mul_f64 v[24:25], v[24:25], v[124:125]
	v_add_f64 v[118:119], v[118:119], v[248:249]
	v_fma_f64 v[22:23], v[22:23], v[136:137], -v[24:25]
	v_add_f64 v[22:23], v[118:119], v[22:23]
	v_mul_f64 v[16:17], v[16:17], v[132:133]
	v_add_f64 v[18:19], v[22:23], v[18:19]
	v_fma_f64 v[14:15], v[14:15], v[134:135], -v[16:17]
	v_mul_f64 v[12:13], v[12:13], v[126:127]
	s_waitcnt vmcnt(9)
	v_mul_f64 v[116:117], v[102:103], v[236:237]
	v_add_f64 v[14:15], v[18:19], v[14:15]
	s_waitcnt vmcnt(7)
	v_fmac_f64_e32 v[116:117], v[104:105], v[238:239]
	v_add_f64 v[114:115], v[114:115], v[116:117]
	s_waitcnt vmcnt(5)
	v_mul_f64 v[116:117], v[110:111], v[232:233]
	s_waitcnt vmcnt(4)
	v_fmac_f64_e32 v[116:117], v[112:113], v[234:235]
	v_add_f64 v[208:209], v[114:115], v[116:117]
	ds_read_b128 v[114:117], v1 offset:1488
	buffer_load_dword v254, off, s[0:3], 0 offset:208
	buffer_load_dword v255, off, s[0:3], 0 offset:212
	;; [unrolled: 1-line block ×4, first 2 shown]
	v_fma_f64 v[10:11], v[10:11], v[128:129], -v[12:13]
	v_mul_f64 v[4:5], v[4:5], v[130:131]
	v_add_f64 v[10:11], v[14:15], v[10:11]
	v_fma_f64 v[2:3], v[2:3], v[146:147], -v[4:5]
	v_mul_f64 v[4:5], v[8:9], v[138:139]
	v_add_f64 v[2:3], v[10:11], v[2:3]
	v_fma_f64 v[4:5], v[6:7], v[140:141], -v[4:5]
	v_add_f64 v[2:3], v[2:3], v[4:5]
	v_mul_f64 v[4:5], v[28:29], v[148:149]
	v_fma_f64 v[4:5], v[26:27], v[164:165], -v[4:5]
	v_add_f64 v[2:3], v[2:3], v[4:5]
	v_mul_f64 v[4:5], v[32:33], v[142:143]
	;; [unrolled: 3-line block ×22, first 2 shown]
	v_fma_f64 v[4:5], v[110:111], v[234:235], -v[4:5]
	v_add_f64 v[2:3], v[2:3], v[4:5]
	s_waitcnt vmcnt(6) lgkmcnt(0)
	v_mul_f64 v[4:5], v[116:117], v[240:241]
	s_waitcnt vmcnt(4)
	v_fma_f64 v[4:5], v[114:115], v[242:243], -v[4:5]
	v_mul_f64 v[210:211], v[114:115], v[240:241]
	v_add_f64 v[2:3], v[2:3], v[4:5]
	v_fmac_f64_e32 v[210:211], v[116:117], v[242:243]
	s_waitcnt vmcnt(2)
	v_add_f64 v[2:3], v[254:255], -v[2:3]
	v_accvgpr_read_b32 v254, a140
	v_add_f64 v[244:245], v[208:209], v[210:211]
	v_cmp_lt_u32_e32 vcc, 11, v254
	s_waitcnt vmcnt(0)
	v_add_f64 v[4:5], v[252:253], -v[244:245]
	buffer_store_dword v3, off, s[0:3], 0 offset:212
	buffer_store_dword v2, off, s[0:3], 0 offset:208
	;; [unrolled: 1-line block ×4, first 2 shown]
	s_and_saveexec_b64 s[4:5], vcc
	s_cbranch_execz .LBB110_273
; %bb.272:
	v_accvgpr_read_b32 v0, a129
	buffer_load_dword v2, v0, s[0:3], 0 offen
	buffer_load_dword v3, v0, s[0:3], 0 offen offset:4
	buffer_load_dword v4, v0, s[0:3], 0 offen offset:8
	;; [unrolled: 1-line block ×3, first 2 shown]
	v_mov_b32_e32 v0, 0
	v_accvgpr_read_b32 v1, a141
	buffer_store_dword v0, off, s[0:3], 0 offset:192
	buffer_store_dword v0, off, s[0:3], 0 offset:196
	;; [unrolled: 1-line block ×4, first 2 shown]
	s_waitcnt vmcnt(4)
	ds_write_b128 v1, v[2:5]
.LBB110_273:
	s_or_b64 exec, exec, s[4:5]
	s_waitcnt lgkmcnt(0)
	; wave barrier
	s_waitcnt lgkmcnt(0)
	buffer_load_dword v82, off, s[0:3], 0 offset:208
	buffer_load_dword v83, off, s[0:3], 0 offset:212
	;; [unrolled: 1-line block ×54, first 2 shown]
	v_mov_b32_e32 v1, 0
	ds_read_b128 v[90:93], v1 offset:944
	ds_read_b128 v[106:109], v1 offset:960
	;; [unrolled: 1-line block ×9, first 2 shown]
	buffer_load_dword v151, off, s[0:3], 0 offset:436
	buffer_load_dword v150, off, s[0:3], 0 offset:432
	;; [unrolled: 1-line block ×62, first 2 shown]
	v_cmp_lt_u32_e32 vcc, 10, v254
	s_waitcnt vmcnt(62) lgkmcnt(8)
	v_mul_f64 v[14:15], v[90:91], v[84:85]
	v_fmac_f64_e32 v[14:15], v[92:93], v[82:83]
	v_add_f64 v[14:15], v[14:15], 0
	v_mul_f64 v[84:85], v[92:93], v[84:85]
	s_waitcnt lgkmcnt(7)
	v_mul_f64 v[16:17], v[106:107], v[88:89]
	v_fmac_f64_e32 v[16:17], v[108:109], v[86:87]
	s_waitcnt lgkmcnt(6)
	v_mul_f64 v[18:19], v[114:115], v[94:95]
	v_add_f64 v[14:15], v[14:15], v[16:17]
	s_waitcnt lgkmcnt(4)
	v_mul_f64 v[22:23], v[246:247], v[102:103]
	v_fma_f64 v[204:205], v[90:91], v[82:83], -v[84:85]
	v_fmac_f64_e32 v[22:23], v[248:249], v[104:105]
	v_mul_f64 v[88:89], v[108:109], v[88:89]
	v_mul_f64 v[20:21], v[242:243], v[98:99]
	v_fma_f64 v[206:207], v[106:107], v[86:87], -v[88:89]
	s_waitcnt lgkmcnt(2)
	v_mul_f64 v[26:27], v[10:11], v[120:121]
	v_mul_f64 v[94:95], v[116:117], v[94:95]
	v_fmac_f64_e32 v[26:27], v[12:13], v[122:123]
	v_mul_f64 v[98:99], v[244:245], v[98:99]
	v_mul_f64 v[24:25], v[250:251], v[110:111]
	;; [unrolled: 1-line block ×3, first 2 shown]
	s_waitcnt lgkmcnt(1)
	v_mul_f64 v[28:29], v[6:7], v[124:125]
	v_mul_f64 v[110:111], v[252:253], v[110:111]
	v_fmac_f64_e32 v[18:19], v[116:117], v[96:97]
	v_add_f64 v[14:15], v[14:15], v[18:19]
	v_fmac_f64_e32 v[20:21], v[244:245], v[100:101]
	v_add_f64 v[14:15], v[14:15], v[20:21]
	;; [unrolled: 2-line block ×3, first 2 shown]
	v_add_f64 v[14:15], v[14:15], v[24:25]
	v_fmac_f64_e32 v[28:29], v[8:9], v[128:129]
	v_add_f64 v[14:15], v[14:15], v[26:27]
	v_add_f64 v[18:19], v[14:15], v[28:29]
	ds_read_b128 v[14:17], v1 offset:1088
	s_waitcnt lgkmcnt(1)
	v_mul_f64 v[20:21], v[2:3], v[126:127]
	v_fmac_f64_e32 v[20:21], v[4:5], v[130:131]
	v_add_f64 v[22:23], v[18:19], v[20:21]
	ds_read_b128 v[18:21], v1 offset:1104
	s_waitcnt lgkmcnt(1)
	v_mul_f64 v[24:25], v[14:15], v[136:137]
	v_fmac_f64_e32 v[24:25], v[16:17], v[138:139]
	;; [unrolled: 5-line block ×5, first 2 shown]
	v_add_f64 v[38:39], v[34:35], v[36:37]
	ds_read_b128 v[34:37], v1 offset:1168
	s_waitcnt vmcnt(58) lgkmcnt(1)
	v_mul_f64 v[40:41], v[30:31], v[164:165]
	s_waitcnt vmcnt(56)
	v_fmac_f64_e32 v[40:41], v[32:33], v[168:169]
	v_add_f64 v[42:43], v[38:39], v[40:41]
	ds_read_b128 v[38:41], v1 offset:1184
	s_waitcnt lgkmcnt(1)
	v_mul_f64 v[44:45], v[34:35], v[144:145]
	v_fmac_f64_e32 v[44:45], v[36:37], v[150:151]
	v_add_f64 v[46:47], v[42:43], v[44:45]
	ds_read_b128 v[42:45], v1 offset:1200
	s_waitcnt vmcnt(50) lgkmcnt(1)
	v_mul_f64 v[48:49], v[38:39], v[172:173]
	s_waitcnt vmcnt(48)
	v_fmac_f64_e32 v[48:49], v[40:41], v[176:177]
	v_add_f64 v[50:51], v[46:47], v[48:49]
	ds_read_b128 v[46:49], v1 offset:1216
	buffer_load_dword v221, off, s[0:3], 0 offset:684
	buffer_load_dword v220, off, s[0:3], 0 offset:680
	;; [unrolled: 1-line block ×8, first 2 shown]
	s_waitcnt lgkmcnt(1)
	v_mul_f64 v[52:53], v[42:43], v[152:153]
	v_fmac_f64_e32 v[52:53], v[44:45], v[154:155]
	v_add_f64 v[54:55], v[50:51], v[52:53]
	ds_read_b128 v[50:53], v1 offset:1232
	s_waitcnt vmcnt(50) lgkmcnt(1)
	v_mul_f64 v[56:57], v[46:47], v[180:181]
	s_waitcnt vmcnt(48)
	v_fmac_f64_e32 v[56:57], v[48:49], v[184:185]
	buffer_load_dword v225, off, s[0:3], 0 offset:732
	buffer_load_dword v231, off, s[0:3], 0 offset:716
	;; [unrolled: 1-line block ×12, first 2 shown]
	v_add_f64 v[58:59], v[54:55], v[56:57]
	ds_read_b128 v[54:57], v1 offset:1248
	s_waitcnt lgkmcnt(1)
	v_mul_f64 v[60:61], v[50:51], v[156:157]
	v_fmac_f64_e32 v[60:61], v[52:53], v[158:159]
	v_add_f64 v[62:63], v[58:59], v[60:61]
	ds_read_b128 v[58:61], v1 offset:1264
	s_waitcnt vmcnt(54) lgkmcnt(1)
	v_mul_f64 v[64:65], v[54:55], v[188:189]
	s_waitcnt vmcnt(52)
	v_fmac_f64_e32 v[64:65], v[56:57], v[192:193]
	v_add_f64 v[66:67], v[62:63], v[64:65]
	ds_read_b128 v[62:65], v1 offset:1280
	s_waitcnt lgkmcnt(1)
	v_mul_f64 v[68:69], v[58:59], v[160:161]
	v_fmac_f64_e32 v[68:69], v[60:61], v[162:163]
	v_add_f64 v[70:71], v[66:67], v[68:69]
	ds_read_b128 v[66:69], v1 offset:1296
	s_waitcnt vmcnt(46) lgkmcnt(1)
	v_mul_f64 v[72:73], v[62:63], v[196:197]
	s_waitcnt vmcnt(44)
	v_fmac_f64_e32 v[72:73], v[64:65], v[198:199]
	v_add_f64 v[78:79], v[70:71], v[72:73]
	ds_read_b128 v[70:73], v1 offset:1312
	ds_read_b128 v[74:77], v1 offset:1328
	s_waitcnt lgkmcnt(2)
	v_mul_f64 v[80:81], v[66:67], v[166:167]
	v_fmac_f64_e32 v[80:81], v[68:69], v[170:171]
	v_add_f64 v[78:79], v[78:79], v[80:81]
	s_waitcnt vmcnt(38) lgkmcnt(1)
	v_mul_f64 v[80:81], v[70:71], v[200:201]
	s_waitcnt vmcnt(36)
	v_fmac_f64_e32 v[80:81], v[72:73], v[202:203]
	v_add_f64 v[78:79], v[78:79], v[80:81]
	s_waitcnt lgkmcnt(0)
	v_mul_f64 v[80:81], v[74:75], v[174:175]
	v_fmac_f64_e32 v[80:81], v[76:77], v[178:179]
	v_add_f64 v[118:119], v[78:79], v[80:81]
	ds_read_b128 v[78:81], v1 offset:1344
	ds_read_b128 v[82:85], v1 offset:1360
	;; [unrolled: 1-line block ×3, first 2 shown]
	v_fma_f64 v[208:209], v[242:243], v[100:101], -v[98:99]
	ds_read_b128 v[98:101], v1 offset:1424
	s_waitcnt vmcnt(30) lgkmcnt(3)
	v_mul_f64 v[90:91], v[78:79], v[212:213]
	s_waitcnt vmcnt(28)
	v_fmac_f64_e32 v[90:91], v[80:81], v[214:215]
	s_waitcnt lgkmcnt(2)
	v_mul_f64 v[92:93], v[82:83], v[182:183]
	v_add_f64 v[90:91], v[118:119], v[90:91]
	v_fmac_f64_e32 v[92:93], v[84:85], v[186:187]
	v_add_f64 v[90:91], v[90:91], v[92:93]
	v_fma_f64 v[118:119], v[114:115], v[96:97], -v[94:95]
	ds_read_b128 v[94:97], v1 offset:1408
	s_waitcnt vmcnt(22) lgkmcnt(2)
	v_mul_f64 v[92:93], v[86:87], v[216:217]
	s_waitcnt vmcnt(20)
	v_fmac_f64_e32 v[92:93], v[88:89], v[218:219]
	v_add_f64 v[106:107], v[90:91], v[92:93]
	ds_read_b128 v[90:93], v1 offset:1392
	buffer_load_dword v240, off, s[0:3], 0 offset:760
	v_fma_f64 v[210:211], v[246:247], v[104:105], -v[102:103]
	ds_read_b128 v[102:105], v1 offset:1440
	v_fma_f64 v[250:251], v[250:251], v[112:113], -v[110:111]
	s_waitcnt lgkmcnt(1)
	v_mul_f64 v[108:109], v[90:91], v[190:191]
	v_fmac_f64_e32 v[108:109], v[92:93], v[194:195]
	v_add_f64 v[106:107], v[106:107], v[108:109]
	ds_read_b128 v[110:113], v1 offset:1472
	v_add_f64 v[204:205], v[204:205], 0
	v_add_f64 v[204:205], v[204:205], v[206:207]
	;; [unrolled: 1-line block ×5, first 2 shown]
	v_mul_f64 v[12:13], v[12:13], v[120:121]
	v_add_f64 v[118:119], v[252:253], v[250:251]
	v_fma_f64 v[10:11], v[10:11], v[122:123], -v[12:13]
	v_mul_f64 v[8:9], v[8:9], v[124:125]
	v_add_f64 v[10:11], v[118:119], v[10:11]
	v_fma_f64 v[6:7], v[6:7], v[128:129], -v[8:9]
	;; [unrolled: 3-line block ×3, first 2 shown]
	v_mul_f64 v[4:5], v[16:17], v[136:137]
	v_add_f64 v[2:3], v[6:7], v[2:3]
	s_waitcnt vmcnt(19)
	v_mul_f64 v[108:109], v[94:95], v[220:221]
	v_fma_f64 v[4:5], v[14:15], v[138:139], -v[4:5]
	s_waitcnt vmcnt(17)
	v_fmac_f64_e32 v[108:109], v[96:97], v[222:223]
	v_add_f64 v[106:107], v[106:107], v[108:109]
	s_waitcnt vmcnt(15)
	v_mul_f64 v[108:109], v[98:99], v[226:227]
	s_waitcnt vmcnt(13)
	v_fmac_f64_e32 v[108:109], v[100:101], v[228:229]
	v_add_f64 v[114:115], v[106:107], v[108:109]
	ds_read_b128 v[106:109], v1 offset:1456
	buffer_load_dword v244, off, s[0:3], 0 offset:752
	buffer_load_dword v241, off, s[0:3], 0 offset:764
	buffer_load_dword v245, off, s[0:3], 0 offset:756
	s_waitcnt vmcnt(13) lgkmcnt(2)
	v_mul_f64 v[116:117], v[102:103], v[230:231]
	s_waitcnt vmcnt(11)
	v_fmac_f64_e32 v[116:117], v[104:105], v[236:237]
	v_add_f64 v[114:115], v[114:115], v[116:117]
	s_waitcnt vmcnt(10) lgkmcnt(0)
	v_mul_f64 v[116:117], v[106:107], v[224:225]
	s_waitcnt vmcnt(8)
	v_fmac_f64_e32 v[116:117], v[108:109], v[234:235]
	v_add_f64 v[114:115], v[114:115], v[116:117]
	s_waitcnt vmcnt(6)
	v_mul_f64 v[116:117], v[110:111], v[232:233]
	s_waitcnt vmcnt(4)
	v_fmac_f64_e32 v[116:117], v[112:113], v[238:239]
	v_add_f64 v[242:243], v[114:115], v[116:117]
	ds_read_b128 v[114:117], v1 offset:1488
	buffer_load_dword v248, off, s[0:3], 0 offset:192
	buffer_load_dword v249, off, s[0:3], 0 offset:196
	v_add_f64 v[2:3], v[2:3], v[4:5]
	v_mul_f64 v[4:5], v[20:21], v[132:133]
	v_fma_f64 v[4:5], v[18:19], v[134:135], -v[4:5]
	v_add_f64 v[2:3], v[2:3], v[4:5]
	v_mul_f64 v[4:5], v[24:25], v[146:147]
	v_fma_f64 v[4:5], v[22:23], v[148:149], -v[4:5]
	;; [unrolled: 3-line block ×22, first 2 shown]
	v_add_f64 v[2:3], v[2:3], v[4:5]
	s_waitcnt vmcnt(3) lgkmcnt(0)
	v_mul_f64 v[246:247], v[114:115], v[240:241]
	s_waitcnt vmcnt(2)
	v_fmac_f64_e32 v[246:247], v[116:117], v[244:245]
	v_add_f64 v[242:243], v[242:243], v[246:247]
	buffer_load_dword v246, off, s[0:3], 0 offset:200
	buffer_load_dword v247, off, s[0:3], 0 offset:204
	v_mul_f64 v[4:5], v[108:109], v[224:225]
	v_fma_f64 v[4:5], v[106:107], v[234:235], -v[4:5]
	v_add_f64 v[2:3], v[2:3], v[4:5]
	v_mul_f64 v[4:5], v[112:113], v[232:233]
	v_fma_f64 v[4:5], v[110:111], v[238:239], -v[4:5]
	v_add_f64 v[2:3], v[2:3], v[4:5]
	;; [unrolled: 3-line block ×3, first 2 shown]
	s_waitcnt vmcnt(2)
	v_add_f64 v[2:3], v[248:249], -v[2:3]
	s_waitcnt vmcnt(0)
	v_add_f64 v[4:5], v[246:247], -v[242:243]
	buffer_store_dword v3, off, s[0:3], 0 offset:196
	buffer_store_dword v2, off, s[0:3], 0 offset:192
	;; [unrolled: 1-line block ×4, first 2 shown]
	s_and_saveexec_b64 s[4:5], vcc
	s_cbranch_execz .LBB110_275
; %bb.274:
	v_accvgpr_read_b32 v0, a130
	buffer_load_dword v2, v0, s[0:3], 0 offen
	buffer_load_dword v3, v0, s[0:3], 0 offen offset:4
	buffer_load_dword v4, v0, s[0:3], 0 offen offset:8
	;; [unrolled: 1-line block ×3, first 2 shown]
	v_accvgpr_read_b32 v0, a141
	buffer_store_dword v1, off, s[0:3], 0 offset:176
	buffer_store_dword v1, off, s[0:3], 0 offset:180
	;; [unrolled: 1-line block ×4, first 2 shown]
	s_waitcnt vmcnt(4)
	ds_write_b128 v0, v[2:5]
.LBB110_275:
	s_or_b64 exec, exec, s[4:5]
	s_waitcnt lgkmcnt(0)
	; wave barrier
	s_waitcnt lgkmcnt(0)
	buffer_load_dword v84, off, s[0:3], 0 offset:192
	buffer_load_dword v85, off, s[0:3], 0 offset:196
	;; [unrolled: 1-line block ×34, first 2 shown]
	ds_read_b128 v[74:77], v1 offset:928
	ds_read_b128 v[78:81], v1 offset:944
	;; [unrolled: 1-line block ×8, first 2 shown]
	buffer_load_dword v127, off, s[0:3], 0 offset:308
	buffer_load_dword v126, off, s[0:3], 0 offset:304
	ds_read_b128 v[6:9], v1 offset:1056
	buffer_load_dword v129, off, s[0:3], 0 offset:364
	buffer_load_dword v128, off, s[0:3], 0 offset:360
	;; [unrolled: 1-line block ×80, first 2 shown]
	s_waitcnt vmcnt(62) lgkmcnt(8)
	v_mul_f64 v[10:11], v[74:75], v[106:107]
	v_fmac_f64_e32 v[10:11], v[76:77], v[84:85]
	v_add_f64 v[10:11], v[10:11], 0
	v_mul_f64 v[76:77], v[76:77], v[106:107]
	s_waitcnt lgkmcnt(7)
	v_mul_f64 v[12:13], v[78:79], v[96:97]
	v_fmac_f64_e32 v[12:13], v[80:81], v[82:83]
	s_waitcnt lgkmcnt(6)
	v_mul_f64 v[14:15], v[86:87], v[94:95]
	v_add_f64 v[10:11], v[10:11], v[12:13]
	s_waitcnt lgkmcnt(4)
	v_mul_f64 v[18:19], v[98:99], v[108:109]
	v_fma_f64 v[204:205], v[74:75], v[84:85], -v[76:77]
	v_fmac_f64_e32 v[18:19], v[100:101], v[114:115]
	v_mul_f64 v[80:81], v[80:81], v[96:97]
	v_mul_f64 v[16:17], v[90:91], v[116:117]
	v_fma_f64 v[206:207], v[78:79], v[82:83], -v[80:81]
	s_waitcnt lgkmcnt(2)
	v_mul_f64 v[22:23], v[110:111], v[240:241]
	v_mul_f64 v[100:101], v[100:101], v[108:109]
	v_fma_f64 v[210:211], v[98:99], v[114:115], -v[100:101]
	v_mul_f64 v[20:21], v[102:103], v[244:245]
	v_add_f64 v[204:205], v[204:205], 0
	s_waitcnt lgkmcnt(1)
	v_mul_f64 v[24:25], v[2:3], v[120:121]
	v_add_f64 v[204:205], v[204:205], v[206:207]
	v_fmac_f64_e32 v[14:15], v[88:89], v[250:251]
	v_add_f64 v[10:11], v[10:11], v[14:15]
	v_fmac_f64_e32 v[16:17], v[92:93], v[248:249]
	;; [unrolled: 2-line block ×4, first 2 shown]
	v_add_f64 v[10:11], v[10:11], v[20:21]
	v_add_f64 v[10:11], v[10:11], v[22:23]
	s_waitcnt lgkmcnt(0)
	v_mul_f64 v[16:17], v[6:7], v[122:123]
	v_fmac_f64_e32 v[16:17], v[8:9], v[124:125]
	v_fmac_f64_e32 v[24:25], v[4:5], v[126:127]
	v_add_f64 v[14:15], v[10:11], v[24:25]
	ds_read_b128 v[10:13], v1 offset:1072
	v_add_f64 v[18:19], v[14:15], v[16:17]
	ds_read_b128 v[14:17], v1 offset:1088
	v_mul_f64 v[88:89], v[88:89], v[94:95]
	v_mul_f64 v[92:93], v[92:93], v[116:117]
	s_waitcnt lgkmcnt(1)
	v_mul_f64 v[20:21], v[10:11], v[132:133]
	v_fmac_f64_e32 v[20:21], v[12:13], v[134:135]
	s_waitcnt lgkmcnt(0)
	v_mul_f64 v[24:25], v[14:15], v[128:129]
	v_add_f64 v[22:23], v[18:19], v[20:21]
	ds_read_b128 v[18:21], v1 offset:1104
	v_fmac_f64_e32 v[24:25], v[16:17], v[130:131]
	v_add_f64 v[26:27], v[22:23], v[24:25]
	ds_read_b128 v[22:25], v1 offset:1120
	v_fma_f64 v[208:209], v[90:91], v[248:249], -v[92:93]
	s_waitcnt lgkmcnt(1)
	v_mul_f64 v[28:29], v[18:19], v[144:145]
	v_fmac_f64_e32 v[28:29], v[20:21], v[146:147]
	v_add_f64 v[30:31], v[26:27], v[28:29]
	s_waitcnt lgkmcnt(0)
	v_mul_f64 v[32:33], v[22:23], v[136:137]
	ds_read_b128 v[26:29], v1 offset:1136
	v_fmac_f64_e32 v[32:33], v[24:25], v[138:139]
	v_add_f64 v[34:35], v[30:31], v[32:33]
	ds_read_b128 v[30:33], v1 offset:1152
	v_mul_f64 v[104:105], v[104:105], v[244:245]
	s_waitcnt vmcnt(58) lgkmcnt(1)
	v_mul_f64 v[36:37], v[26:27], v[160:161]
	s_waitcnt vmcnt(56)
	v_fmac_f64_e32 v[36:37], v[28:29], v[164:165]
	v_add_f64 v[38:39], v[34:35], v[36:37]
	s_waitcnt lgkmcnt(0)
	v_mul_f64 v[40:41], v[30:31], v[140:141]
	ds_read_b128 v[34:37], v1 offset:1168
	v_fmac_f64_e32 v[40:41], v[32:33], v[142:143]
	v_add_f64 v[42:43], v[38:39], v[40:41]
	ds_read_b128 v[38:41], v1 offset:1184
	v_mul_f64 v[112:113], v[112:113], v[240:241]
	s_waitcnt vmcnt(50) lgkmcnt(1)
	v_mul_f64 v[44:45], v[34:35], v[168:169]
	s_waitcnt vmcnt(48)
	v_fmac_f64_e32 v[44:45], v[36:37], v[172:173]
	v_add_f64 v[46:47], v[42:43], v[44:45]
	s_waitcnt lgkmcnt(0)
	v_mul_f64 v[48:49], v[38:39], v[148:149]
	v_fmac_f64_e32 v[48:49], v[40:41], v[150:151]
	ds_read_b128 v[42:45], v1 offset:1200
	v_add_f64 v[50:51], v[46:47], v[48:49]
	ds_read_b128 v[46:49], v1 offset:1216
	buffer_load_dword v217, off, s[0:3], 0 offset:684
	buffer_load_dword v219, off, s[0:3], 0 offset:668
	;; [unrolled: 1-line block ×12, first 2 shown]
	v_fma_f64 v[252:253], v[110:111], v[242:243], -v[112:113]
	s_waitcnt vmcnt(54) lgkmcnt(1)
	v_mul_f64 v[52:53], v[42:43], v[176:177]
	s_waitcnt vmcnt(52)
	v_fmac_f64_e32 v[52:53], v[44:45], v[180:181]
	v_add_f64 v[54:55], v[50:51], v[52:53]
	ds_read_b128 v[50:53], v1 offset:1232
	s_waitcnt lgkmcnt(1)
	v_mul_f64 v[56:57], v[46:47], v[152:153]
	v_fmac_f64_e32 v[56:57], v[48:49], v[154:155]
	buffer_load_dword v231, off, s[0:3], 0 offset:716
	buffer_load_dword v230, off, s[0:3], 0 offset:712
	;; [unrolled: 1-line block ×12, first 2 shown]
	v_add_f64 v[58:59], v[54:55], v[56:57]
	ds_read_b128 v[54:57], v1 offset:1248
	s_waitcnt vmcnt(58) lgkmcnt(1)
	v_mul_f64 v[60:61], v[50:51], v[184:185]
	s_waitcnt vmcnt(56)
	v_fmac_f64_e32 v[60:61], v[52:53], v[188:189]
	v_add_f64 v[62:63], v[58:59], v[60:61]
	ds_read_b128 v[58:61], v1 offset:1264
	s_waitcnt lgkmcnt(1)
	v_mul_f64 v[64:65], v[54:55], v[156:157]
	v_fmac_f64_e32 v[64:65], v[56:57], v[158:159]
	v_add_f64 v[70:71], v[62:63], v[64:65]
	ds_read_b128 v[62:65], v1 offset:1280
	ds_read_b128 v[66:69], v1 offset:1296
	s_waitcnt vmcnt(50) lgkmcnt(2)
	v_mul_f64 v[72:73], v[58:59], v[192:193]
	s_waitcnt vmcnt(48)
	v_fmac_f64_e32 v[72:73], v[60:61], v[194:195]
	v_add_f64 v[70:71], v[70:71], v[72:73]
	s_waitcnt lgkmcnt(1)
	v_mul_f64 v[72:73], v[62:63], v[162:163]
	v_fmac_f64_e32 v[72:73], v[64:65], v[166:167]
	v_add_f64 v[70:71], v[70:71], v[72:73]
	s_waitcnt vmcnt(42) lgkmcnt(0)
	v_mul_f64 v[72:73], v[66:67], v[196:197]
	s_waitcnt vmcnt(40)
	v_fmac_f64_e32 v[72:73], v[68:69], v[198:199]
	v_add_f64 v[118:119], v[70:71], v[72:73]
	ds_read_b128 v[70:73], v1 offset:1312
	ds_read_b128 v[74:77], v1 offset:1328
	;; [unrolled: 1-line block ×5, first 2 shown]
	s_waitcnt lgkmcnt(4)
	v_mul_f64 v[84:85], v[70:71], v[170:171]
	v_fmac_f64_e32 v[84:85], v[72:73], v[174:175]
	v_add_f64 v[82:83], v[118:119], v[84:85]
	s_waitcnt vmcnt(34) lgkmcnt(3)
	v_mul_f64 v[84:85], v[74:75], v[200:201]
	s_waitcnt vmcnt(32)
	v_fmac_f64_e32 v[84:85], v[76:77], v[202:203]
	v_add_f64 v[82:83], v[82:83], v[84:85]
	v_fma_f64 v[118:119], v[86:87], v[250:251], -v[88:89]
	ds_read_b128 v[86:89], v1 offset:1376
	s_waitcnt lgkmcnt(3)
	v_mul_f64 v[84:85], v[78:79], v[178:179]
	v_fmac_f64_e32 v[84:85], v[80:81], v[182:183]
	v_add_f64 v[96:97], v[82:83], v[84:85]
	ds_read_b128 v[82:85], v1 offset:1360
	v_fma_f64 v[250:251], v[102:103], v[246:247], -v[104:105]
	ds_read_b128 v[110:113], v1 offset:1472
	v_add_f64 v[118:119], v[204:205], v[118:119]
	v_add_f64 v[118:119], v[118:119], v[208:209]
	s_waitcnt vmcnt(26) lgkmcnt(1)
	v_mul_f64 v[94:95], v[82:83], v[212:213]
	s_waitcnt vmcnt(24)
	v_fmac_f64_e32 v[94:95], v[84:85], v[214:215]
	v_add_f64 v[94:95], v[96:97], v[94:95]
	v_mul_f64 v[96:97], v[86:87], v[186:187]
	v_fmac_f64_e32 v[96:97], v[88:89], v[190:191]
	v_add_f64 v[106:107], v[94:95], v[96:97]
	ds_read_b128 v[94:97], v1 offset:1408
	v_add_f64 v[254:255], v[118:119], v[210:211]
	v_add_f64 v[118:119], v[254:255], v[250:251]
	v_mul_f64 v[4:5], v[4:5], v[120:121]
	v_add_f64 v[118:119], v[118:119], v[252:253]
	ds_read_b128 v[102:105], v1 offset:1456
	v_fma_f64 v[2:3], v[2:3], v[126:127], -v[4:5]
	v_mul_f64 v[4:5], v[8:9], v[122:123]
	v_add_f64 v[2:3], v[118:119], v[2:3]
	v_fma_f64 v[4:5], v[6:7], v[124:125], -v[4:5]
	v_add_f64 v[2:3], v[2:3], v[4:5]
	v_mul_f64 v[4:5], v[12:13], v[132:133]
	v_fma_f64 v[4:5], v[10:11], v[134:135], -v[4:5]
	v_add_f64 v[2:3], v[2:3], v[4:5]
	v_mul_f64 v[4:5], v[16:17], v[128:129]
	s_waitcnt vmcnt(21)
	v_mul_f64 v[108:109], v[90:91], v[218:219]
	v_fma_f64 v[4:5], v[14:15], v[130:131], -v[4:5]
	s_waitcnt vmcnt(19)
	v_fmac_f64_e32 v[108:109], v[92:93], v[224:225]
	v_add_f64 v[106:107], v[106:107], v[108:109]
	s_waitcnt vmcnt(18) lgkmcnt(1)
	v_mul_f64 v[108:109], v[94:95], v[216:217]
	s_waitcnt vmcnt(16)
	v_fmac_f64_e32 v[108:109], v[96:97], v[222:223]
	v_add_f64 v[114:115], v[106:107], v[108:109]
	ds_read_b128 v[106:109], v1 offset:1440
	buffer_load_dword v243, off, s[0:3], 0 offset:764
	buffer_load_dword v242, off, s[0:3], 0 offset:760
	;; [unrolled: 1-line block ×4, first 2 shown]
	s_waitcnt vmcnt(18)
	v_mul_f64 v[116:117], v[98:99], v[220:221]
	s_waitcnt vmcnt(16)
	v_fmac_f64_e32 v[116:117], v[100:101], v[226:227]
	v_add_f64 v[114:115], v[114:115], v[116:117]
	s_waitcnt vmcnt(14) lgkmcnt(0)
	v_mul_f64 v[116:117], v[106:107], v[230:231]
	s_waitcnt vmcnt(12)
	v_fmac_f64_e32 v[116:117], v[108:109], v[232:233]
	v_add_f64 v[114:115], v[114:115], v[116:117]
	s_waitcnt vmcnt(9)
	v_mul_f64 v[116:117], v[102:103], v[236:237]
	s_waitcnt vmcnt(7)
	v_fmac_f64_e32 v[116:117], v[104:105], v[238:239]
	v_add_f64 v[114:115], v[114:115], v[116:117]
	s_waitcnt vmcnt(5)
	v_mul_f64 v[116:117], v[110:111], v[228:229]
	s_waitcnt vmcnt(4)
	v_fmac_f64_e32 v[116:117], v[112:113], v[234:235]
	v_add_f64 v[240:241], v[114:115], v[116:117]
	ds_read_b128 v[114:117], v1 offset:1488
	v_add_f64 v[2:3], v[2:3], v[4:5]
	v_mul_f64 v[4:5], v[20:21], v[144:145]
	v_fma_f64 v[4:5], v[18:19], v[146:147], -v[4:5]
	v_add_f64 v[2:3], v[2:3], v[4:5]
	v_mul_f64 v[4:5], v[24:25], v[136:137]
	v_fma_f64 v[4:5], v[22:23], v[138:139], -v[4:5]
	;; [unrolled: 3-line block ×21, first 2 shown]
	v_add_f64 v[2:3], v[2:3], v[4:5]
	s_waitcnt vmcnt(2) lgkmcnt(0)
	v_mul_f64 v[246:247], v[114:115], v[242:243]
	v_mul_f64 v[4:5], v[108:109], v[230:231]
	s_waitcnt vmcnt(0)
	v_fmac_f64_e32 v[246:247], v[116:117], v[244:245]
	v_add_f64 v[240:241], v[240:241], v[246:247]
	buffer_load_dword v248, off, s[0:3], 0 offset:176
	buffer_load_dword v249, off, s[0:3], 0 offset:180
	;; [unrolled: 1-line block ×4, first 2 shown]
	v_fma_f64 v[4:5], v[106:107], v[232:233], -v[4:5]
	v_add_f64 v[2:3], v[2:3], v[4:5]
	v_mul_f64 v[4:5], v[104:105], v[236:237]
	v_fma_f64 v[4:5], v[102:103], v[238:239], -v[4:5]
	v_add_f64 v[2:3], v[2:3], v[4:5]
	v_mul_f64 v[4:5], v[112:113], v[228:229]
	;; [unrolled: 3-line block ×3, first 2 shown]
	v_fma_f64 v[4:5], v[114:115], v[244:245], -v[4:5]
	v_add_f64 v[2:3], v[2:3], v[4:5]
	v_accvgpr_read_b32 v254, a140
	v_cmp_lt_u32_e32 vcc, 9, v254
	s_waitcnt vmcnt(2)
	v_add_f64 v[2:3], v[248:249], -v[2:3]
	s_waitcnt vmcnt(0)
	v_add_f64 v[4:5], v[246:247], -v[240:241]
	buffer_store_dword v3, off, s[0:3], 0 offset:180
	buffer_store_dword v2, off, s[0:3], 0 offset:176
	;; [unrolled: 1-line block ×4, first 2 shown]
	s_and_saveexec_b64 s[4:5], vcc
	s_cbranch_execz .LBB110_277
; %bb.276:
	v_accvgpr_read_b32 v0, a131
	buffer_load_dword v2, v0, s[0:3], 0 offen
	buffer_load_dword v3, v0, s[0:3], 0 offen offset:4
	buffer_load_dword v4, v0, s[0:3], 0 offen offset:8
	;; [unrolled: 1-line block ×3, first 2 shown]
	v_mov_b32_e32 v0, 0
	v_accvgpr_read_b32 v1, a141
	buffer_store_dword v0, off, s[0:3], 0 offset:160
	buffer_store_dword v0, off, s[0:3], 0 offset:164
	;; [unrolled: 1-line block ×4, first 2 shown]
	s_waitcnt vmcnt(4)
	ds_write_b128 v1, v[2:5]
.LBB110_277:
	s_or_b64 exec, exec, s[4:5]
	s_waitcnt lgkmcnt(0)
	; wave barrier
	s_waitcnt lgkmcnt(0)
	buffer_load_dword v66, off, s[0:3], 0 offset:176
	buffer_load_dword v67, off, s[0:3], 0 offset:180
	buffer_load_dword v68, off, s[0:3], 0 offset:184
	buffer_load_dword v69, off, s[0:3], 0 offset:188
	buffer_load_dword v70, off, s[0:3], 0 offset:192
	buffer_load_dword v71, off, s[0:3], 0 offset:196
	buffer_load_dword v72, off, s[0:3], 0 offset:200
	buffer_load_dword v73, off, s[0:3], 0 offset:204
	buffer_load_dword v78, off, s[0:3], 0 offset:216
	buffer_load_dword v79, off, s[0:3], 0 offset:220
	buffer_load_dword v91, off, s[0:3], 0 offset:252
	buffer_load_dword v90, off, s[0:3], 0 offset:248
	buffer_load_dword v93, off, s[0:3], 0 offset:244
	buffer_load_dword v92, off, s[0:3], 0 offset:240
	buffer_load_dword v83, off, s[0:3], 0 offset:236
	buffer_load_dword v82, off, s[0:3], 0 offset:232
	buffer_load_dword v103, off, s[0:3], 0 offset:284
	buffer_load_dword v102, off, s[0:3], 0 offset:280
	buffer_load_dword v104, off, s[0:3], 0 offset:272
	buffer_load_dword v95, off, s[0:3], 0 offset:268
	buffer_load_dword v94, off, s[0:3], 0 offset:264
	buffer_load_dword v107, off, s[0:3], 0 offset:300
	buffer_load_dword v106, off, s[0:3], 0 offset:296
	buffer_load_dword v80, off, s[0:3], 0 offset:208
	buffer_load_dword v81, off, s[0:3], 0 offset:212
	buffer_load_dword v85, off, s[0:3], 0 offset:228
	buffer_load_dword v84, off, s[0:3], 0 offset:224
	buffer_load_dword v97, off, s[0:3], 0 offset:260
	buffer_load_dword v96, off, s[0:3], 0 offset:256
	buffer_load_dword v105, off, s[0:3], 0 offset:276
	buffer_load_dword v120, off, s[0:3], 0 offset:312
	buffer_load_dword v122, off, s[0:3], 0 offset:304
	buffer_load_dword v123, off, s[0:3], 0 offset:308
	buffer_load_dword v121, off, s[0:3], 0 offset:316
	buffer_load_dword v109, off, s[0:3], 0 offset:292
	buffer_load_dword v108, off, s[0:3], 0 offset:288
	buffer_load_dword v125, off, s[0:3], 0 offset:348
	buffer_load_dword v124, off, s[0:3], 0 offset:344
	buffer_load_dword v127, off, s[0:3], 0 offset:340
	buffer_load_dword v126, off, s[0:3], 0 offset:336
	buffer_load_dword v129, off, s[0:3], 0 offset:332
	buffer_load_dword v128, off, s[0:3], 0 offset:328
	buffer_load_dword v131, off, s[0:3], 0 offset:324
	buffer_load_dword v130, off, s[0:3], 0 offset:320
	buffer_load_dword v133, off, s[0:3], 0 offset:380
	buffer_load_dword v132, off, s[0:3], 0 offset:376
	buffer_load_dword v135, off, s[0:3], 0 offset:372
	buffer_load_dword v134, off, s[0:3], 0 offset:368
	buffer_load_dword v141, off, s[0:3], 0 offset:364
	buffer_load_dword v140, off, s[0:3], 0 offset:360
	buffer_load_dword v143, off, s[0:3], 0 offset:356
	buffer_load_dword v142, off, s[0:3], 0 offset:352
	buffer_load_dword v137, off, s[0:3], 0 offset:412
	buffer_load_dword v136, off, s[0:3], 0 offset:408
	buffer_load_dword v139, off, s[0:3], 0 offset:404
	v_mov_b32_e32 v1, 0
	ds_read_b128 v[74:77], v1 offset:912
	ds_read_b128 v[86:89], v1 offset:928
	;; [unrolled: 1-line block ×9, first 2 shown]
	buffer_load_dword v138, off, s[0:3], 0 offset:400
	buffer_load_dword v157, off, s[0:3], 0 offset:396
	;; [unrolled: 1-line block ×61, first 2 shown]
	v_cmp_lt_u32_e32 vcc, 8, v254
	s_waitcnt vmcnt(62) lgkmcnt(8)
	v_mul_f64 v[6:7], v[74:75], v[68:69]
	v_fmac_f64_e32 v[6:7], v[76:77], v[66:67]
	v_add_f64 v[6:7], v[6:7], 0
	v_mul_f64 v[68:69], v[76:77], v[68:69]
	s_waitcnt lgkmcnt(7)
	v_mul_f64 v[8:9], v[86:87], v[72:73]
	v_fmac_f64_e32 v[8:9], v[88:89], v[70:71]
	s_waitcnt lgkmcnt(6)
	v_mul_f64 v[10:11], v[98:99], v[78:79]
	v_add_f64 v[6:7], v[6:7], v[8:9]
	s_waitcnt lgkmcnt(4)
	v_mul_f64 v[14:15], v[114:115], v[90:91]
	v_fma_f64 v[204:205], v[74:75], v[66:67], -v[68:69]
	v_fmac_f64_e32 v[14:15], v[116:117], v[92:93]
	v_mul_f64 v[72:73], v[88:89], v[72:73]
	v_mul_f64 v[12:13], v[110:111], v[82:83]
	v_mul_f64 v[78:79], v[100:101], v[78:79]
	s_waitcnt lgkmcnt(2)
	v_mul_f64 v[18:19], v[244:245], v[102:103]
	v_mul_f64 v[82:83], v[112:113], v[82:83]
	;; [unrolled: 1-line block ×4, first 2 shown]
	v_fma_f64 v[210:211], v[114:115], v[92:93], -v[90:91]
	s_waitcnt lgkmcnt(1)
	v_mul_f64 v[20:21], v[248:249], v[106:107]
	v_fmac_f64_e32 v[20:21], v[250:251], v[108:109]
	v_fmac_f64_e32 v[10:11], v[100:101], v[80:81]
	v_add_f64 v[6:7], v[6:7], v[10:11]
	v_fmac_f64_e32 v[12:13], v[112:113], v[84:85]
	v_add_f64 v[6:7], v[6:7], v[12:13]
	;; [unrolled: 2-line block ×4, first 2 shown]
	v_add_f64 v[6:7], v[6:7], v[18:19]
	v_add_f64 v[10:11], v[6:7], v[20:21]
	ds_read_b128 v[6:9], v1 offset:1056
	s_waitcnt lgkmcnt(1)
	v_mul_f64 v[12:13], v[2:3], v[120:121]
	v_fmac_f64_e32 v[12:13], v[4:5], v[122:123]
	v_add_f64 v[14:15], v[10:11], v[12:13]
	ds_read_b128 v[10:13], v1 offset:1072
	s_waitcnt lgkmcnt(1)
	v_mul_f64 v[16:17], v[6:7], v[128:129]
	v_fmac_f64_e32 v[16:17], v[8:9], v[130:131]
	v_add_f64 v[18:19], v[14:15], v[16:17]
	ds_read_b128 v[14:17], v1 offset:1088
	s_waitcnt lgkmcnt(1)
	v_mul_f64 v[20:21], v[10:11], v[124:125]
	v_fmac_f64_e32 v[20:21], v[12:13], v[126:127]
	v_add_f64 v[22:23], v[18:19], v[20:21]
	ds_read_b128 v[18:21], v1 offset:1104
	s_waitcnt lgkmcnt(1)
	v_mul_f64 v[24:25], v[14:15], v[140:141]
	v_fmac_f64_e32 v[24:25], v[16:17], v[142:143]
	v_add_f64 v[26:27], v[22:23], v[24:25]
	ds_read_b128 v[22:25], v1 offset:1120
	s_waitcnt lgkmcnt(1)
	v_mul_f64 v[28:29], v[18:19], v[132:133]
	v_fmac_f64_e32 v[28:29], v[20:21], v[134:135]
	v_add_f64 v[30:31], v[26:27], v[28:29]
	ds_read_b128 v[26:29], v1 offset:1136
	s_waitcnt vmcnt(58) lgkmcnt(1)
	v_mul_f64 v[32:33], v[22:23], v[156:157]
	s_waitcnt vmcnt(56)
	v_fmac_f64_e32 v[32:33], v[24:25], v[160:161]
	v_add_f64 v[34:35], v[30:31], v[32:33]
	ds_read_b128 v[30:33], v1 offset:1152
	s_waitcnt lgkmcnt(1)
	v_mul_f64 v[36:37], v[26:27], v[136:137]
	v_fmac_f64_e32 v[36:37], v[28:29], v[138:139]
	v_add_f64 v[38:39], v[34:35], v[36:37]
	ds_read_b128 v[34:37], v1 offset:1168
	s_waitcnt vmcnt(50) lgkmcnt(1)
	v_mul_f64 v[40:41], v[30:31], v[164:165]
	s_waitcnt vmcnt(48)
	v_fmac_f64_e32 v[40:41], v[32:33], v[168:169]
	v_add_f64 v[42:43], v[38:39], v[40:41]
	ds_read_b128 v[38:41], v1 offset:1184
	s_waitcnt lgkmcnt(1)
	v_mul_f64 v[44:45], v[34:35], v[144:145]
	v_fmac_f64_e32 v[44:45], v[36:37], v[146:147]
	v_add_f64 v[46:47], v[42:43], v[44:45]
	ds_read_b128 v[42:45], v1 offset:1200
	s_waitcnt vmcnt(42) lgkmcnt(1)
	v_mul_f64 v[48:49], v[38:39], v[172:173]
	s_waitcnt vmcnt(40)
	v_fmac_f64_e32 v[48:49], v[40:41], v[176:177]
	v_add_f64 v[50:51], v[46:47], v[48:49]
	ds_read_b128 v[46:49], v1 offset:1216
	buffer_load_dword v213, off, s[0:3], 0 offset:652
	buffer_load_dword v212, off, s[0:3], 0 offset:648
	;; [unrolled: 1-line block ×4, first 2 shown]
	s_waitcnt lgkmcnt(1)
	v_mul_f64 v[52:53], v[42:43], v[148:149]
	v_fmac_f64_e32 v[52:53], v[44:45], v[150:151]
	v_add_f64 v[54:55], v[50:51], v[52:53]
	ds_read_b128 v[50:53], v1 offset:1232
	buffer_load_dword v217, off, s[0:3], 0 offset:668
	buffer_load_dword v216, off, s[0:3], 0 offset:664
	;; [unrolled: 1-line block ×8, first 2 shown]
	s_waitcnt vmcnt(46) lgkmcnt(1)
	v_mul_f64 v[56:57], v[46:47], v[180:181]
	s_waitcnt vmcnt(44)
	v_fmac_f64_e32 v[56:57], v[48:49], v[184:185]
	v_add_f64 v[58:59], v[54:55], v[56:57]
	ds_read_b128 v[54:57], v1 offset:1248
	buffer_load_dword v227, off, s[0:3], 0 offset:700
	buffer_load_dword v226, off, s[0:3], 0 offset:696
	;; [unrolled: 1-line block ×12, first 2 shown]
	s_waitcnt lgkmcnt(1)
	v_mul_f64 v[60:61], v[50:51], v[152:153]
	v_fmac_f64_e32 v[60:61], v[52:53], v[154:155]
	v_add_f64 v[62:63], v[58:59], v[60:61]
	ds_read_b128 v[58:61], v1 offset:1264
	s_waitcnt vmcnt(50) lgkmcnt(1)
	v_mul_f64 v[64:65], v[54:55], v[188:189]
	s_waitcnt vmcnt(48)
	v_fmac_f64_e32 v[64:65], v[56:57], v[190:191]
	v_add_f64 v[62:63], v[62:63], v[64:65]
	buffer_load_dword v237, off, s[0:3], 0 offset:748
	buffer_load_dword v236, off, s[0:3], 0 offset:744
	;; [unrolled: 1-line block ×4, first 2 shown]
	s_waitcnt lgkmcnt(0)
	v_mul_f64 v[64:65], v[58:59], v[158:159]
	v_fmac_f64_e32 v[64:65], v[60:61], v[162:163]
	v_add_f64 v[118:119], v[62:63], v[64:65]
	ds_read_b128 v[62:65], v1 offset:1280
	ds_read_b128 v[66:69], v1 offset:1296
	v_fma_f64 v[206:207], v[98:99], v[80:81], -v[78:79]
	ds_read_b128 v[78:81], v1 offset:1344
	v_fma_f64 v[208:209], v[110:111], v[84:85], -v[82:83]
	ds_read_b128 v[82:85], v1 offset:1360
	s_waitcnt vmcnt(46) lgkmcnt(3)
	v_mul_f64 v[74:75], v[62:63], v[192:193]
	s_waitcnt vmcnt(44)
	v_fmac_f64_e32 v[74:75], v[64:65], v[194:195]
	v_add_f64 v[74:75], v[118:119], v[74:75]
	v_fma_f64 v[118:119], v[86:87], v[70:71], -v[72:73]
	ds_read_b128 v[70:73], v1 offset:1312
	s_waitcnt lgkmcnt(3)
	v_mul_f64 v[76:77], v[66:67], v[166:167]
	v_fmac_f64_e32 v[76:77], v[68:69], v[170:171]
	v_add_f64 v[86:87], v[74:75], v[76:77]
	ds_read_b128 v[74:77], v1 offset:1328
	s_waitcnt vmcnt(38) lgkmcnt(1)
	v_mul_f64 v[88:89], v[70:71], v[196:197]
	s_waitcnt vmcnt(36)
	v_fmac_f64_e32 v[88:89], v[72:73], v[198:199]
	v_add_f64 v[86:87], v[86:87], v[88:89]
	ds_read_b128 v[90:93], v1 offset:1392
	s_waitcnt lgkmcnt(1)
	v_mul_f64 v[88:89], v[74:75], v[174:175]
	v_fmac_f64_e32 v[88:89], v[76:77], v[178:179]
	v_add_f64 v[86:87], v[86:87], v[88:89]
	s_waitcnt vmcnt(30)
	v_mul_f64 v[88:89], v[78:79], v[200:201]
	s_waitcnt vmcnt(28)
	v_fmac_f64_e32 v[88:89], v[80:81], v[202:203]
	v_add_f64 v[86:87], v[86:87], v[88:89]
	v_mul_f64 v[88:89], v[82:83], v[182:183]
	v_fmac_f64_e32 v[88:89], v[84:85], v[186:187]
	v_add_f64 v[98:99], v[86:87], v[88:89]
	ds_read_b128 v[86:89], v1 offset:1376
	v_mul_f64 v[94:95], v[242:243], v[94:95]
	v_fma_f64 v[252:253], v[240:241], v[96:97], -v[94:95]
	ds_read_b128 v[94:97], v1 offset:1408
	v_mul_f64 v[102:103], v[246:247], v[102:103]
	v_fma_f64 v[246:247], v[244:245], v[104:105], -v[102:103]
	ds_read_b128 v[102:105], v1 offset:1440
	v_mul_f64 v[106:107], v[250:251], v[106:107]
	v_fma_f64 v[250:251], v[248:249], v[108:109], -v[106:107]
	v_add_f64 v[204:205], v[204:205], 0
	v_add_f64 v[118:119], v[204:205], v[118:119]
	v_add_f64 v[118:119], v[118:119], v[206:207]
	v_add_f64 v[118:119], v[118:119], v[208:209]
	v_add_f64 v[118:119], v[118:119], v[210:211]
	v_add_f64 v[118:119], v[118:119], v[252:253]
	v_add_f64 v[252:253], v[118:119], v[246:247]
	v_mul_f64 v[4:5], v[4:5], v[120:121]
	v_add_f64 v[118:119], v[252:253], v[250:251]
	v_fma_f64 v[2:3], v[2:3], v[122:123], -v[4:5]
	v_mul_f64 v[4:5], v[8:9], v[128:129]
	v_add_f64 v[2:3], v[118:119], v[2:3]
	v_fma_f64 v[4:5], v[6:7], v[130:131], -v[4:5]
	v_add_f64 v[2:3], v[2:3], v[4:5]
	ds_read_b128 v[106:109], v1 offset:1456
	v_mul_f64 v[4:5], v[12:13], v[124:125]
	v_fma_f64 v[4:5], v[10:11], v[126:127], -v[4:5]
	v_add_f64 v[2:3], v[2:3], v[4:5]
	s_waitcnt vmcnt(26) lgkmcnt(3)
	v_mul_f64 v[100:101], v[86:87], v[212:213]
	v_mul_f64 v[4:5], v[16:17], v[140:141]
	s_waitcnt vmcnt(24)
	v_fmac_f64_e32 v[100:101], v[88:89], v[214:215]
	v_add_f64 v[98:99], v[98:99], v[100:101]
	s_waitcnt vmcnt(22)
	v_mul_f64 v[100:101], v[90:91], v[216:217]
	s_waitcnt vmcnt(20)
	v_fmac_f64_e32 v[100:101], v[92:93], v[220:221]
	v_add_f64 v[98:99], v[98:99], v[100:101]
	s_waitcnt vmcnt(18) lgkmcnt(2)
	v_mul_f64 v[100:101], v[94:95], v[218:219]
	s_waitcnt vmcnt(16)
	v_fmac_f64_e32 v[100:101], v[96:97], v[222:223]
	v_add_f64 v[110:111], v[98:99], v[100:101]
	ds_read_b128 v[98:101], v1 offset:1424
	v_fma_f64 v[4:5], v[14:15], v[142:143], -v[4:5]
	v_add_f64 v[2:3], v[2:3], v[4:5]
	v_mul_f64 v[4:5], v[20:21], v[132:133]
	v_fma_f64 v[4:5], v[18:19], v[134:135], -v[4:5]
	s_waitcnt vmcnt(14) lgkmcnt(0)
	v_mul_f64 v[112:113], v[98:99], v[226:227]
	s_waitcnt vmcnt(12)
	v_fmac_f64_e32 v[112:113], v[100:101], v[228:229]
	v_add_f64 v[110:111], v[110:111], v[112:113]
	s_waitcnt vmcnt(9)
	v_mul_f64 v[112:113], v[102:103], v[232:233]
	s_waitcnt vmcnt(7)
	v_fmac_f64_e32 v[112:113], v[104:105], v[234:235]
	v_add_f64 v[110:111], v[110:111], v[112:113]
	s_waitcnt vmcnt(5)
	v_mul_f64 v[112:113], v[106:107], v[224:225]
	s_waitcnt vmcnt(4)
	v_fmac_f64_e32 v[112:113], v[108:109], v[230:231]
	v_add_f64 v[114:115], v[110:111], v[112:113]
	ds_read_b128 v[110:113], v1 offset:1472
	buffer_load_dword v242, off, s[0:3], 0 offset:760
	buffer_load_dword v243, off, s[0:3], 0 offset:764
	buffer_load_dword v244, off, s[0:3], 0 offset:752
	buffer_load_dword v245, off, s[0:3], 0 offset:756
	v_add_f64 v[2:3], v[2:3], v[4:5]
	v_mul_f64 v[4:5], v[24:25], v[156:157]
	v_fma_f64 v[4:5], v[22:23], v[160:161], -v[4:5]
	s_waitcnt vmcnt(6) lgkmcnt(0)
	v_mul_f64 v[116:117], v[110:111], v[236:237]
	s_waitcnt vmcnt(4)
	v_fmac_f64_e32 v[116:117], v[112:113], v[238:239]
	v_add_f64 v[240:241], v[114:115], v[116:117]
	ds_read_b128 v[114:117], v1 offset:1488
	v_add_f64 v[2:3], v[2:3], v[4:5]
	v_mul_f64 v[4:5], v[28:29], v[136:137]
	v_fma_f64 v[4:5], v[26:27], v[138:139], -v[4:5]
	v_add_f64 v[2:3], v[2:3], v[4:5]
	v_mul_f64 v[4:5], v[32:33], v[164:165]
	v_fma_f64 v[4:5], v[30:31], v[168:169], -v[4:5]
	;; [unrolled: 3-line block ×22, first 2 shown]
	v_add_f64 v[2:3], v[2:3], v[4:5]
	s_waitcnt vmcnt(2) lgkmcnt(0)
	v_mul_f64 v[248:249], v[114:115], v[242:243]
	v_mul_f64 v[4:5], v[116:117], v[242:243]
	s_waitcnt vmcnt(0)
	v_fmac_f64_e32 v[248:249], v[116:117], v[244:245]
	v_add_f64 v[240:241], v[240:241], v[248:249]
	buffer_load_dword v248, off, s[0:3], 0 offset:160
	buffer_load_dword v249, off, s[0:3], 0 offset:164
	;; [unrolled: 1-line block ×4, first 2 shown]
	v_fma_f64 v[4:5], v[114:115], v[244:245], -v[4:5]
	v_add_f64 v[2:3], v[2:3], v[4:5]
	s_waitcnt vmcnt(2)
	v_add_f64 v[2:3], v[248:249], -v[2:3]
	s_waitcnt vmcnt(0)
	v_add_f64 v[4:5], v[246:247], -v[240:241]
	buffer_store_dword v3, off, s[0:3], 0 offset:164
	buffer_store_dword v2, off, s[0:3], 0 offset:160
	;; [unrolled: 1-line block ×4, first 2 shown]
	s_and_saveexec_b64 s[4:5], vcc
	s_cbranch_execz .LBB110_279
; %bb.278:
	v_accvgpr_read_b32 v0, a132
	buffer_load_dword v2, v0, s[0:3], 0 offen
	buffer_load_dword v3, v0, s[0:3], 0 offen offset:4
	buffer_load_dword v4, v0, s[0:3], 0 offen offset:8
	;; [unrolled: 1-line block ×3, first 2 shown]
	v_accvgpr_read_b32 v0, a141
	buffer_store_dword v1, off, s[0:3], 0 offset:144
	buffer_store_dword v1, off, s[0:3], 0 offset:148
	;; [unrolled: 1-line block ×4, first 2 shown]
	s_waitcnt vmcnt(4)
	ds_write_b128 v0, v[2:5]
.LBB110_279:
	s_or_b64 exec, exec, s[4:5]
	s_waitcnt lgkmcnt(0)
	; wave barrier
	s_waitcnt lgkmcnt(0)
	buffer_load_dword v66, off, s[0:3], 0 offset:160
	buffer_load_dword v67, off, s[0:3], 0 offset:164
	;; [unrolled: 1-line block ×42, first 2 shown]
	ds_read_b128 v[78:81], v1 offset:896
	ds_read_b128 v[90:93], v1 offset:912
	;; [unrolled: 1-line block ×10, first 2 shown]
	buffer_load_dword v131, off, s[0:3], 0 offset:308
	buffer_load_dword v130, off, s[0:3], 0 offset:304
	ds_read_b128 v[6:9], v1 offset:1056
	buffer_load_dword v127, off, s[0:3], 0 offset:364
	buffer_load_dword v126, off, s[0:3], 0 offset:360
	;; [unrolled: 1-line block ×80, first 2 shown]
	s_waitcnt vmcnt(62) lgkmcnt(10)
	v_mul_f64 v[10:11], v[78:79], v[68:69]
	v_fmac_f64_e32 v[10:11], v[80:81], v[66:67]
	v_add_f64 v[10:11], v[10:11], 0
	v_mul_f64 v[68:69], v[80:81], v[68:69]
	s_waitcnt lgkmcnt(9)
	v_mul_f64 v[12:13], v[90:91], v[64:65]
	v_fmac_f64_e32 v[12:13], v[92:93], v[62:63]
	s_waitcnt lgkmcnt(8)
	v_mul_f64 v[14:15], v[102:103], v[70:71]
	v_add_f64 v[10:11], v[10:11], v[12:13]
	s_waitcnt lgkmcnt(6)
	v_mul_f64 v[18:19], v[114:115], v[82:83]
	v_mul_f64 v[64:65], v[92:93], v[64:65]
	v_fmac_f64_e32 v[18:19], v[116:117], v[84:85]
	v_fma_f64 v[206:207], v[90:91], v[62:63], -v[64:65]
	v_mul_f64 v[16:17], v[110:111], v[74:75]
	v_fma_f64 v[204:205], v[78:79], v[66:67], -v[68:69]
	s_waitcnt lgkmcnt(4)
	v_mul_f64 v[22:23], v[244:245], v[94:95]
	v_mul_f64 v[70:71], v[104:105], v[70:71]
	v_fmac_f64_e32 v[22:23], v[246:247], v[96:97]
	v_mul_f64 v[74:75], v[112:113], v[74:75]
	v_mul_f64 v[20:21], v[240:241], v[86:87]
	v_mul_f64 v[82:83], v[116:117], v[82:83]
	s_waitcnt lgkmcnt(2)
	v_mul_f64 v[26:27], v[252:253], v[106:107]
	v_fma_f64 v[210:211], v[114:115], v[84:85], -v[82:83]
	v_mul_f64 v[86:87], v[242:243], v[86:87]
	v_mul_f64 v[24:25], v[248:249], v[98:99]
	;; [unrolled: 1-line block ×3, first 2 shown]
	s_waitcnt lgkmcnt(1)
	v_mul_f64 v[28:29], v[120:121], v[4:5]
	v_fma_f64 v[246:247], v[244:245], v[96:97], -v[94:95]
	v_fmac_f64_e32 v[14:15], v[104:105], v[72:73]
	v_add_f64 v[10:11], v[10:11], v[14:15]
	v_fmac_f64_e32 v[16:17], v[112:113], v[76:77]
	v_add_f64 v[10:11], v[10:11], v[16:17]
	;; [unrolled: 2-line block ×3, first 2 shown]
	v_add_f64 v[10:11], v[10:11], v[20:21]
	v_fmac_f64_e32 v[24:25], v[250:251], v[100:101]
	v_add_f64 v[10:11], v[10:11], v[22:23]
	v_fmac_f64_e32 v[26:27], v[254:255], v[108:109]
	v_add_f64 v[10:11], v[10:11], v[24:25]
	v_add_f64 v[10:11], v[10:11], v[26:27]
	s_waitcnt lgkmcnt(0)
	v_mul_f64 v[16:17], v[6:7], v[2:3]
	v_fmac_f64_e32 v[28:29], v[122:123], v[130:131]
	v_add_f64 v[14:15], v[10:11], v[28:29]
	ds_read_b128 v[10:13], v1 offset:1072
	v_fmac_f64_e32 v[16:17], v[8:9], v[124:125]
	v_add_f64 v[18:19], v[14:15], v[16:17]
	ds_read_b128 v[14:17], v1 offset:1088
	v_fma_f64 v[208:209], v[110:111], v[76:77], -v[74:75]
	s_waitcnt lgkmcnt(1)
	v_mul_f64 v[20:21], v[10:11], v[132:133]
	v_fmac_f64_e32 v[20:21], v[12:13], v[148:149]
	v_add_f64 v[22:23], v[18:19], v[20:21]
	ds_read_b128 v[18:21], v1 offset:1104
	s_waitcnt lgkmcnt(1)
	v_mul_f64 v[24:25], v[14:15], v[126:127]
	v_fmac_f64_e32 v[24:25], v[16:17], v[128:129]
	v_add_f64 v[26:27], v[22:23], v[24:25]
	ds_read_b128 v[22:25], v1 offset:1120
	;; [unrolled: 5-line block ×4, first 2 shown]
	s_waitcnt vmcnt(58) lgkmcnt(1)
	v_mul_f64 v[36:37], v[26:27], v[160:161]
	s_waitcnt vmcnt(56)
	v_fmac_f64_e32 v[36:37], v[28:29], v[164:165]
	v_add_f64 v[38:39], v[34:35], v[36:37]
	ds_read_b128 v[34:37], v1 offset:1168
	s_waitcnt lgkmcnt(1)
	v_mul_f64 v[40:41], v[30:31], v[138:139]
	v_fmac_f64_e32 v[40:41], v[32:33], v[140:141]
	v_add_f64 v[42:43], v[38:39], v[40:41]
	ds_read_b128 v[38:41], v1 offset:1184
	s_waitcnt vmcnt(50) lgkmcnt(1)
	v_mul_f64 v[44:45], v[34:35], v[168:169]
	s_waitcnt vmcnt(48)
	v_fmac_f64_e32 v[44:45], v[36:37], v[172:173]
	v_add_f64 v[46:47], v[42:43], v[44:45]
	ds_read_b128 v[42:45], v1 offset:1200
	s_waitcnt lgkmcnt(1)
	v_mul_f64 v[48:49], v[38:39], v[142:143]
	v_fmac_f64_e32 v[48:49], v[40:41], v[144:145]
	v_add_f64 v[50:51], v[46:47], v[48:49]
	ds_read_b128 v[46:49], v1 offset:1216
	s_waitcnt vmcnt(42) lgkmcnt(1)
	v_mul_f64 v[52:53], v[42:43], v[176:177]
	s_waitcnt vmcnt(40)
	v_fmac_f64_e32 v[52:53], v[44:45], v[180:181]
	v_add_f64 v[54:55], v[50:51], v[52:53]
	ds_read_b128 v[50:53], v1 offset:1232
	s_waitcnt lgkmcnt(1)
	v_mul_f64 v[56:57], v[46:47], v[146:147]
	buffer_load_dword v217, off, s[0:3], 0 offset:668
	buffer_load_dword v216, off, s[0:3], 0 offset:664
	;; [unrolled: 1-line block ×4, first 2 shown]
	v_fmac_f64_e32 v[56:57], v[48:49], v[150:151]
	v_add_f64 v[58:59], v[54:55], v[56:57]
	ds_read_b128 v[54:57], v1 offset:1248
	buffer_load_dword v222, off, s[0:3], 0 offset:680
	buffer_load_dword v224, off, s[0:3], 0 offset:672
	;; [unrolled: 1-line block ×16, first 2 shown]
	s_waitcnt vmcnt(54) lgkmcnt(1)
	v_mul_f64 v[60:61], v[50:51], v[184:185]
	s_waitcnt vmcnt(52)
	v_fmac_f64_e32 v[60:61], v[52:53], v[188:189]
	v_add_f64 v[118:119], v[58:59], v[60:61]
	ds_read_b128 v[58:61], v1 offset:1264
	buffer_load_dword v236, off, s[0:3], 0 offset:744
	buffer_load_dword v238, off, s[0:3], 0 offset:736
	;; [unrolled: 1-line block ×4, first 2 shown]
	ds_read_b128 v[62:65], v1 offset:1280
	s_waitcnt lgkmcnt(2)
	v_mul_f64 v[66:67], v[54:55], v[154:155]
	v_fmac_f64_e32 v[66:67], v[56:57], v[158:159]
	s_waitcnt vmcnt(50) lgkmcnt(1)
	v_mul_f64 v[68:69], v[58:59], v[192:193]
	v_add_f64 v[66:67], v[118:119], v[66:67]
	s_waitcnt vmcnt(48)
	v_fmac_f64_e32 v[68:69], v[60:61], v[194:195]
	v_add_f64 v[66:67], v[66:67], v[68:69]
	v_fma_f64 v[118:119], v[102:103], v[72:73], -v[70:71]
	ds_read_b128 v[70:73], v1 offset:1312
	s_waitcnt lgkmcnt(1)
	v_mul_f64 v[68:69], v[62:63], v[162:163]
	v_fmac_f64_e32 v[68:69], v[64:65], v[166:167]
	v_add_f64 v[78:79], v[66:67], v[68:69]
	ds_read_b128 v[66:69], v1 offset:1296
	ds_read_b128 v[74:77], v1 offset:1328
	;; [unrolled: 1-line block ×3, first 2 shown]
	v_accvgpr_write_b32 a143, v3
	v_accvgpr_write_b32 a142, v2
	s_waitcnt vmcnt(42) lgkmcnt(2)
	v_mul_f64 v[80:81], v[66:67], v[196:197]
	s_waitcnt vmcnt(40)
	v_fmac_f64_e32 v[80:81], v[68:69], v[198:199]
	v_add_f64 v[78:79], v[78:79], v[80:81]
	v_mul_f64 v[80:81], v[70:71], v[170:171]
	v_fmac_f64_e32 v[80:81], v[72:73], v[174:175]
	v_add_f64 v[90:91], v[78:79], v[80:81]
	ds_read_b128 v[78:81], v1 offset:1344
	s_waitcnt vmcnt(34) lgkmcnt(2)
	v_mul_f64 v[92:93], v[74:75], v[200:201]
	s_waitcnt vmcnt(32)
	v_fmac_f64_e32 v[92:93], v[76:77], v[202:203]
	v_fma_f64 v[2:3], v[240:241], v[88:89], -v[86:87]
	ds_read_b128 v[86:89], v1 offset:1376
	ds_read_b128 v[94:97], v1 offset:1408
	v_add_f64 v[90:91], v[90:91], v[92:93]
	s_waitcnt lgkmcnt(2)
	v_mul_f64 v[92:93], v[78:79], v[178:179]
	v_fmac_f64_e32 v[92:93], v[80:81], v[182:183]
	v_add_f64 v[90:91], v[90:91], v[92:93]
	s_waitcnt vmcnt(26)
	v_mul_f64 v[92:93], v[82:83], v[212:213]
	s_waitcnt vmcnt(24)
	v_fmac_f64_e32 v[92:93], v[84:85], v[214:215]
	v_add_f64 v[90:91], v[90:91], v[92:93]
	s_waitcnt lgkmcnt(1)
	v_mul_f64 v[92:93], v[86:87], v[186:187]
	v_fmac_f64_e32 v[92:93], v[88:89], v[190:191]
	v_add_f64 v[102:103], v[90:91], v[92:93]
	ds_read_b128 v[90:93], v1 offset:1392
	v_mul_f64 v[98:99], v[250:251], v[98:99]
	v_fma_f64 v[250:251], v[248:249], v[100:101], -v[98:99]
	ds_read_b128 v[98:101], v1 offset:1424
	v_mul_f64 v[106:107], v[254:255], v[106:107]
	v_fma_f64 v[252:253], v[252:253], v[108:109], -v[106:107]
	v_add_f64 v[204:205], v[204:205], 0
	v_add_f64 v[204:205], v[204:205], v[206:207]
	;; [unrolled: 1-line block ×8, first 2 shown]
	v_mul_f64 v[4:5], v[122:123], v[4:5]
	v_add_f64 v[2:3], v[2:3], v[252:253]
	v_fma_f64 v[4:5], v[120:121], v[130:131], -v[4:5]
	v_add_f64 v[2:3], v[2:3], v[4:5]
	ds_read_b128 v[106:109], v1 offset:1456
	s_waitcnt vmcnt(13) lgkmcnt(1)
	v_mul_f64 v[112:113], v[98:99], v[226:227]
	v_mul_f64 v[104:105], v[90:91], v[216:217]
	s_waitcnt vmcnt(11)
	v_fmac_f64_e32 v[112:113], v[100:101], v[232:233]
	v_fmac_f64_e32 v[104:105], v[92:93], v[218:219]
	v_add_f64 v[102:103], v[102:103], v[104:105]
	v_mul_f64 v[104:105], v[94:95], v[222:223]
	v_fmac_f64_e32 v[104:105], v[96:97], v[224:225]
	v_add_f64 v[110:111], v[102:103], v[104:105]
	ds_read_b128 v[102:105], v1 offset:1440
	v_add_f64 v[110:111], v[110:111], v[112:113]
	s_waitcnt vmcnt(10) lgkmcnt(0)
	v_mul_f64 v[112:113], v[102:103], v[220:221]
	s_waitcnt vmcnt(8)
	v_fmac_f64_e32 v[112:113], v[104:105], v[230:231]
	v_add_f64 v[110:111], v[110:111], v[112:113]
	s_waitcnt vmcnt(6)
	v_mul_f64 v[112:113], v[106:107], v[228:229]
	s_waitcnt vmcnt(4)
	v_fmac_f64_e32 v[112:113], v[108:109], v[234:235]
	v_add_f64 v[114:115], v[110:111], v[112:113]
	ds_read_b128 v[110:113], v1 offset:1472
	buffer_load_dword v243, off, s[0:3], 0 offset:764
	buffer_load_dword v242, off, s[0:3], 0 offset:760
	;; [unrolled: 1-line block ×4, first 2 shown]
	s_waitcnt vmcnt(5) lgkmcnt(0)
	v_mul_f64 v[116:117], v[110:111], v[236:237]
	s_waitcnt vmcnt(4)
	v_fmac_f64_e32 v[116:117], v[112:113], v[238:239]
	v_add_f64 v[240:241], v[114:115], v[116:117]
	ds_read_b128 v[114:117], v1 offset:1488
	v_accvgpr_read_b32 v0, a142
	v_accvgpr_read_b32 v1, a143
	v_mul_f64 v[4:5], v[8:9], v[0:1]
	v_fma_f64 v[4:5], v[6:7], v[124:125], -v[4:5]
	v_add_f64 v[2:3], v[2:3], v[4:5]
	v_mul_f64 v[4:5], v[12:13], v[132:133]
	v_fma_f64 v[4:5], v[10:11], v[148:149], -v[4:5]
	v_add_f64 v[2:3], v[2:3], v[4:5]
	;; [unrolled: 3-line block ×22, first 2 shown]
	v_mul_f64 v[4:5], v[96:97], v[222:223]
	v_fma_f64 v[4:5], v[94:95], v[224:225], -v[4:5]
	s_waitcnt vmcnt(2) lgkmcnt(0)
	v_mul_f64 v[248:249], v[114:115], v[242:243]
	v_add_f64 v[2:3], v[2:3], v[4:5]
	s_waitcnt vmcnt(0)
	v_fmac_f64_e32 v[248:249], v[116:117], v[244:245]
	v_add_f64 v[240:241], v[240:241], v[248:249]
	buffer_load_dword v248, off, s[0:3], 0 offset:144
	buffer_load_dword v249, off, s[0:3], 0 offset:148
	;; [unrolled: 1-line block ×4, first 2 shown]
	v_mul_f64 v[4:5], v[100:101], v[226:227]
	v_fma_f64 v[4:5], v[98:99], v[232:233], -v[4:5]
	v_add_f64 v[2:3], v[2:3], v[4:5]
	v_mul_f64 v[4:5], v[104:105], v[220:221]
	v_fma_f64 v[4:5], v[102:103], v[230:231], -v[4:5]
	v_add_f64 v[2:3], v[2:3], v[4:5]
	;; [unrolled: 3-line block ×5, first 2 shown]
	v_accvgpr_read_b32 v0, a140
	v_cmp_lt_u32_e32 vcc, 7, v0
	s_waitcnt vmcnt(2)
	v_add_f64 v[2:3], v[248:249], -v[2:3]
	s_waitcnt vmcnt(0)
	v_add_f64 v[4:5], v[246:247], -v[240:241]
	buffer_store_dword v3, off, s[0:3], 0 offset:148
	buffer_store_dword v2, off, s[0:3], 0 offset:144
	;; [unrolled: 1-line block ×4, first 2 shown]
	s_and_saveexec_b64 s[4:5], vcc
	s_cbranch_execz .LBB110_281
; %bb.280:
	v_accvgpr_read_b32 v0, a133
	buffer_load_dword v2, v0, s[0:3], 0 offen
	buffer_load_dword v3, v0, s[0:3], 0 offen offset:4
	buffer_load_dword v4, v0, s[0:3], 0 offen offset:8
	;; [unrolled: 1-line block ×3, first 2 shown]
	v_mov_b32_e32 v0, 0
	v_accvgpr_read_b32 v1, a141
	buffer_store_dword v0, off, s[0:3], 0 offset:128
	buffer_store_dword v0, off, s[0:3], 0 offset:132
	;; [unrolled: 1-line block ×4, first 2 shown]
	s_waitcnt vmcnt(4)
	ds_write_b128 v1, v[2:5]
.LBB110_281:
	s_or_b64 exec, exec, s[4:5]
	s_waitcnt lgkmcnt(0)
	; wave barrier
	s_waitcnt lgkmcnt(0)
	buffer_load_dword v54, off, s[0:3], 0 offset:144
	buffer_load_dword v55, off, s[0:3], 0 offset:148
	;; [unrolled: 1-line block ×49, first 2 shown]
	s_waitcnt vmcnt(8)
	v_accvgpr_write_b32 a143, v3
	s_waitcnt vmcnt(7)
	v_pk_mov_b32 v[4:5], v[0:1], v[0:1] op_sel:[0,1]
	v_mov_b32_e32 v1, 0
	ds_read_b128 v[62:65], v1 offset:880
	ds_read_b128 v[74:77], v1 offset:896
	ds_read_b128 v[86:89], v1 offset:912
	ds_read_b128 v[98:101], v1 offset:928
	ds_read_b128 v[110:113], v1 offset:944
	ds_read_b128 v[114:117], v1 offset:960
	ds_read_b128 v[238:241], v1 offset:976
	ds_read_b128 v[242:245], v1 offset:992
	ds_read_b128 v[246:249], v1 offset:1008
	ds_read_b128 v[250:253], v1 offset:1024
	ds_read_b128 v[120:123], v1 offset:1040
	s_waitcnt lgkmcnt(10)
	v_mul_f64 v[6:7], v[62:63], v[56:57]
	s_waitcnt lgkmcnt(9)
	v_mul_f64 v[8:9], v[74:75], v[60:61]
	v_fmac_f64_e32 v[6:7], v[64:65], v[54:55]
	s_waitcnt lgkmcnt(8)
	v_mul_f64 v[10:11], v[86:87], v[66:67]
	v_fmac_f64_e32 v[8:9], v[76:77], v[58:59]
	v_add_f64 v[6:7], v[6:7], 0
	s_waitcnt lgkmcnt(7)
	v_mul_f64 v[12:13], v[98:99], v[70:71]
	v_fmac_f64_e32 v[10:11], v[88:89], v[68:69]
	v_add_f64 v[6:7], v[6:7], v[8:9]
	;; [unrolled: 4-line block ×4, first 2 shown]
	buffer_load_dword v128, off, s[0:3], 0 offset:328
	buffer_load_dword v145, off, s[0:3], 0 offset:324
	;; [unrolled: 1-line block ×75, first 2 shown]
	s_waitcnt lgkmcnt(4)
	v_mul_f64 v[18:19], v[238:239], v[90:91]
	v_fmac_f64_e32 v[16:17], v[116:117], v[84:85]
	v_add_f64 v[6:7], v[6:7], v[14:15]
	s_waitcnt lgkmcnt(3)
	v_mul_f64 v[20:21], v[242:243], v[94:95]
	v_fmac_f64_e32 v[18:19], v[240:241], v[92:93]
	v_add_f64 v[6:7], v[6:7], v[16:17]
	;; [unrolled: 4-line block ×4, first 2 shown]
	v_add_f64 v[6:7], v[6:7], v[22:23]
	s_waitcnt vmcnt(62)
	v_fmac_f64_e32 v[24:25], v[252:253], v[108:109]
	v_add_f64 v[10:11], v[6:7], v[24:25]
	ds_read_b128 v[6:9], v1 offset:1056
	s_waitcnt lgkmcnt(1)
	v_mul_f64 v[12:13], v[120:121], v[4:5]
	v_fmac_f64_e32 v[12:13], v[122:123], v[2:3]
	v_add_f64 v[14:15], v[10:11], v[12:13]
	ds_read_b128 v[10:13], v1 offset:1072
	s_waitcnt lgkmcnt(1)
	v_mul_f64 v[16:17], v[6:7], v[128:129]
	v_fmac_f64_e32 v[16:17], v[8:9], v[144:145]
	v_add_f64 v[18:19], v[14:15], v[16:17]
	ds_read_b128 v[14:17], v1 offset:1088
	s_waitcnt lgkmcnt(1)
	v_mul_f64 v[20:21], v[10:11], v[124:125]
	v_fmac_f64_e32 v[20:21], v[12:13], v[126:127]
	v_add_f64 v[22:23], v[18:19], v[20:21]
	ds_read_b128 v[18:21], v1 offset:1104
	s_waitcnt lgkmcnt(1)
	v_mul_f64 v[24:25], v[14:15], v[148:149]
	v_fmac_f64_e32 v[24:25], v[16:17], v[152:153]
	v_add_f64 v[26:27], v[22:23], v[24:25]
	ds_read_b128 v[22:25], v1 offset:1120
	s_waitcnt lgkmcnt(1)
	v_mul_f64 v[28:29], v[18:19], v[130:131]
	v_fmac_f64_e32 v[28:29], v[20:21], v[132:133]
	v_add_f64 v[30:31], v[26:27], v[28:29]
	ds_read_b128 v[26:29], v1 offset:1136
	s_waitcnt vmcnt(58) lgkmcnt(1)
	v_mul_f64 v[32:33], v[22:23], v[156:157]
	s_waitcnt vmcnt(56)
	v_fmac_f64_e32 v[32:33], v[24:25], v[160:161]
	v_add_f64 v[34:35], v[30:31], v[32:33]
	ds_read_b128 v[30:33], v1 offset:1152
	s_waitcnt lgkmcnt(1)
	v_mul_f64 v[36:37], v[26:27], v[134:135]
	v_fmac_f64_e32 v[36:37], v[28:29], v[136:137]
	v_add_f64 v[38:39], v[34:35], v[36:37]
	ds_read_b128 v[34:37], v1 offset:1168
	s_waitcnt vmcnt(50) lgkmcnt(1)
	v_mul_f64 v[40:41], v[30:31], v[164:165]
	s_waitcnt vmcnt(48)
	v_fmac_f64_e32 v[40:41], v[32:33], v[168:169]
	v_add_f64 v[42:43], v[38:39], v[40:41]
	ds_read_b128 v[38:41], v1 offset:1184
	s_waitcnt lgkmcnt(1)
	v_mul_f64 v[44:45], v[34:35], v[138:139]
	;; [unrolled: 11-line block ×3, first 2 shown]
	buffer_load_dword v215, off, s[0:3], 0 offset:652
	buffer_load_dword v214, off, s[0:3], 0 offset:648
	;; [unrolled: 1-line block ×4, first 2 shown]
	v_fmac_f64_e32 v[52:53], v[44:45], v[146:147]
	v_add_f64 v[118:119], v[50:51], v[52:53]
	ds_read_b128 v[50:53], v1 offset:1232
	buffer_load_dword v218, off, s[0:3], 0 offset:664
	buffer_load_dword v220, off, s[0:3], 0 offset:656
	;; [unrolled: 1-line block ×20, first 2 shown]
	v_mul_f64 v[56:57], v[64:65], v[56:57]
	v_fma_f64 v[204:205], v[62:63], v[54:55], -v[56:57]
	ds_read_b128 v[54:57], v1 offset:1248
	v_mul_f64 v[60:61], v[76:77], v[60:61]
	v_fma_f64 v[206:207], v[74:75], v[58:59], -v[60:61]
	ds_read_b128 v[58:61], v1 offset:1264
	s_waitcnt vmcnt(58) lgkmcnt(3)
	v_mul_f64 v[202:203], v[46:47], v[180:181]
	s_waitcnt vmcnt(56)
	v_fmac_f64_e32 v[202:203], v[48:49], v[184:185]
	s_waitcnt lgkmcnt(2)
	v_mul_f64 v[62:63], v[50:51], v[150:151]
	v_add_f64 v[118:119], v[118:119], v[202:203]
	v_fmac_f64_e32 v[62:63], v[52:53], v[154:155]
	s_waitcnt vmcnt(50) lgkmcnt(1)
	v_mul_f64 v[64:65], v[54:55], v[188:189]
	v_add_f64 v[62:63], v[118:119], v[62:63]
	s_waitcnt vmcnt(48)
	v_fmac_f64_e32 v[64:65], v[56:57], v[190:191]
	v_add_f64 v[62:63], v[62:63], v[64:65]
	s_waitcnt lgkmcnt(0)
	v_mul_f64 v[64:65], v[58:59], v[158:159]
	v_fmac_f64_e32 v[64:65], v[60:61], v[162:163]
	v_add_f64 v[74:75], v[62:63], v[64:65]
	ds_read_b128 v[62:65], v1 offset:1280
	v_mul_f64 v[66:67], v[88:89], v[66:67]
	v_fma_f64 v[118:119], v[86:87], v[68:69], -v[66:67]
	ds_read_b128 v[66:69], v1 offset:1296
	v_mul_f64 v[70:71], v[100:101], v[70:71]
	s_waitcnt vmcnt(42) lgkmcnt(1)
	v_mul_f64 v[76:77], v[62:63], v[192:193]
	s_waitcnt vmcnt(40)
	v_fmac_f64_e32 v[76:77], v[64:65], v[194:195]
	v_add_f64 v[74:75], v[74:75], v[76:77]
	v_fma_f64 v[208:209], v[98:99], v[72:73], -v[70:71]
	ds_read_b128 v[70:73], v1 offset:1312
	s_waitcnt lgkmcnt(1)
	v_mul_f64 v[76:77], v[66:67], v[166:167]
	v_fmac_f64_e32 v[76:77], v[68:69], v[170:171]
	v_add_f64 v[86:87], v[74:75], v[76:77]
	ds_read_b128 v[74:77], v1 offset:1328
	v_mul_f64 v[78:79], v[112:113], v[78:79]
	v_fma_f64 v[210:211], v[110:111], v[80:81], -v[78:79]
	ds_read_b128 v[78:81], v1 offset:1344
	s_waitcnt vmcnt(34) lgkmcnt(2)
	v_mul_f64 v[88:89], v[70:71], v[196:197]
	v_mul_f64 v[82:83], v[116:117], v[82:83]
	s_waitcnt vmcnt(32)
	v_fmac_f64_e32 v[88:89], v[72:73], v[198:199]
	v_fma_f64 v[254:255], v[114:115], v[84:85], -v[82:83]
	ds_read_b128 v[82:85], v1 offset:1360
	v_add_f64 v[86:87], v[86:87], v[88:89]
	s_waitcnt lgkmcnt(2)
	v_mul_f64 v[88:89], v[74:75], v[174:175]
	v_fmac_f64_e32 v[88:89], v[76:77], v[178:179]
	v_add_f64 v[86:87], v[86:87], v[88:89]
	s_waitcnt vmcnt(26) lgkmcnt(1)
	v_mul_f64 v[88:89], v[78:79], v[200:201]
	s_waitcnt vmcnt(24)
	v_fmac_f64_e32 v[88:89], v[80:81], v[212:213]
	v_add_f64 v[86:87], v[86:87], v[88:89]
	s_waitcnt lgkmcnt(0)
	v_mul_f64 v[88:89], v[82:83], v[182:183]
	v_fmac_f64_e32 v[88:89], v[84:85], v[186:187]
	v_add_f64 v[98:99], v[86:87], v[88:89]
	ds_read_b128 v[86:89], v1 offset:1376
	v_accvgpr_write_b32 a145, v5
	v_mul_f64 v[90:91], v[240:241], v[90:91]
	v_accvgpr_write_b32 a144, v4
	v_fma_f64 v[4:5], v[238:239], v[92:93], -v[90:91]
	ds_read_b128 v[90:93], v1 offset:1392
	v_mul_f64 v[94:95], v[244:245], v[94:95]
	v_accvgpr_write_b32 a142, v2
	v_fma_f64 v[2:3], v[242:243], v[96:97], -v[94:95]
	ds_read_b128 v[94:97], v1 offset:1408
	v_mul_f64 v[102:103], v[248:249], v[102:103]
	v_fma_f64 v[246:247], v[246:247], v[104:105], -v[102:103]
	ds_read_b128 v[102:105], v1 offset:1440
	v_mul_f64 v[106:107], v[252:253], v[106:107]
	v_fma_f64 v[250:251], v[250:251], v[108:109], -v[106:107]
	ds_read_b128 v[106:109], v1 offset:1456
	v_add_f64 v[204:205], v[204:205], 0
	v_add_f64 v[204:205], v[204:205], v[206:207]
	;; [unrolled: 1-line block ×5, first 2 shown]
	s_waitcnt vmcnt(22) lgkmcnt(4)
	v_mul_f64 v[100:101], v[86:87], v[214:215]
	v_add_f64 v[118:119], v[118:119], v[254:255]
	s_waitcnt vmcnt(20)
	v_fmac_f64_e32 v[100:101], v[88:89], v[216:217]
	v_add_f64 v[98:99], v[98:99], v[100:101]
	v_add_f64 v[4:5], v[118:119], v[4:5]
	s_waitcnt vmcnt(17) lgkmcnt(3)
	v_mul_f64 v[100:101], v[90:91], v[218:219]
	s_waitcnt vmcnt(16)
	v_fmac_f64_e32 v[100:101], v[92:93], v[220:221]
	v_add_f64 v[110:111], v[98:99], v[100:101]
	ds_read_b128 v[98:101], v1 offset:1424
	s_waitcnt vmcnt(14) lgkmcnt(3)
	v_mul_f64 v[112:113], v[94:95], v[224:225]
	s_waitcnt vmcnt(12)
	v_fmac_f64_e32 v[112:113], v[96:97], v[228:229]
	buffer_load_dword v203, off, s[0:3], 0 offset:748
	buffer_load_dword v202, off, s[0:3], 0 offset:744
	;; [unrolled: 1-line block ×4, first 2 shown]
	v_add_f64 v[110:111], v[110:111], v[112:113]
	s_waitcnt vmcnt(14) lgkmcnt(0)
	v_mul_f64 v[112:113], v[98:99], v[226:227]
	s_waitcnt vmcnt(12)
	v_fmac_f64_e32 v[112:113], v[100:101], v[230:231]
	v_add_f64 v[110:111], v[110:111], v[112:113]
	s_waitcnt vmcnt(9)
	v_mul_f64 v[112:113], v[102:103], v[234:235]
	s_waitcnt vmcnt(7)
	v_fmac_f64_e32 v[112:113], v[104:105], v[236:237]
	v_add_f64 v[110:111], v[110:111], v[112:113]
	s_waitcnt vmcnt(5)
	v_mul_f64 v[112:113], v[106:107], v[222:223]
	s_waitcnt vmcnt(4)
	v_fmac_f64_e32 v[112:113], v[108:109], v[232:233]
	v_add_f64 v[114:115], v[110:111], v[112:113]
	ds_read_b128 v[110:113], v1 offset:1472
	buffer_load_dword v242, off, s[0:3], 0 offset:760
	buffer_load_dword v243, off, s[0:3], 0 offset:764
	;; [unrolled: 1-line block ×4, first 2 shown]
	v_add_f64 v[2:3], v[4:5], v[2:3]
	v_add_f64 v[252:253], v[2:3], v[246:247]
	v_accvgpr_read_b32 v4, a144
	v_accvgpr_read_b32 v5, a145
	;; [unrolled: 1-line block ×3, first 2 shown]
	v_mul_f64 v[4:5], v[122:123], v[4:5]
	v_accvgpr_read_b32 v119, a143
	v_add_f64 v[2:3], v[252:253], v[250:251]
	v_fma_f64 v[4:5], v[120:121], v[118:119], -v[4:5]
	v_add_f64 v[2:3], v[2:3], v[4:5]
	v_mul_f64 v[4:5], v[8:9], v[128:129]
	v_fma_f64 v[4:5], v[6:7], v[144:145], -v[4:5]
	v_add_f64 v[2:3], v[2:3], v[4:5]
	v_mul_f64 v[4:5], v[12:13], v[124:125]
	;; [unrolled: 3-line block ×19, first 2 shown]
	s_waitcnt vmcnt(6) lgkmcnt(0)
	v_mul_f64 v[116:117], v[110:111], v[202:203]
	v_fma_f64 v[4:5], v[78:79], v[212:213], -v[4:5]
	s_waitcnt vmcnt(4)
	v_fmac_f64_e32 v[116:117], v[112:113], v[238:239]
	v_add_f64 v[240:241], v[114:115], v[116:117]
	ds_read_b128 v[114:117], v1 offset:1488
	v_add_f64 v[2:3], v[2:3], v[4:5]
	v_mul_f64 v[4:5], v[84:85], v[182:183]
	v_fma_f64 v[4:5], v[82:83], v[186:187], -v[4:5]
	v_add_f64 v[2:3], v[2:3], v[4:5]
	v_mul_f64 v[4:5], v[88:89], v[214:215]
	v_fma_f64 v[4:5], v[86:87], v[216:217], -v[4:5]
	v_add_f64 v[2:3], v[2:3], v[4:5]
	s_waitcnt vmcnt(2) lgkmcnt(0)
	v_mul_f64 v[248:249], v[114:115], v[242:243]
	v_mul_f64 v[4:5], v[92:93], v[218:219]
	s_waitcnt vmcnt(0)
	v_fmac_f64_e32 v[248:249], v[116:117], v[244:245]
	v_add_f64 v[240:241], v[240:241], v[248:249]
	buffer_load_dword v248, off, s[0:3], 0 offset:128
	buffer_load_dword v249, off, s[0:3], 0 offset:132
	;; [unrolled: 1-line block ×4, first 2 shown]
	v_fma_f64 v[4:5], v[90:91], v[220:221], -v[4:5]
	v_add_f64 v[2:3], v[2:3], v[4:5]
	v_mul_f64 v[4:5], v[96:97], v[224:225]
	v_fma_f64 v[4:5], v[94:95], v[228:229], -v[4:5]
	v_add_f64 v[2:3], v[2:3], v[4:5]
	v_mul_f64 v[4:5], v[100:101], v[226:227]
	;; [unrolled: 3-line block ×6, first 2 shown]
	v_fma_f64 v[4:5], v[114:115], v[244:245], -v[4:5]
	v_add_f64 v[2:3], v[2:3], v[4:5]
	v_accvgpr_read_b32 v0, a140
	v_cmp_lt_u32_e32 vcc, 6, v0
	s_waitcnt vmcnt(2)
	v_add_f64 v[2:3], v[248:249], -v[2:3]
	s_waitcnt vmcnt(0)
	v_add_f64 v[4:5], v[246:247], -v[240:241]
	buffer_store_dword v3, off, s[0:3], 0 offset:132
	buffer_store_dword v2, off, s[0:3], 0 offset:128
	;; [unrolled: 1-line block ×4, first 2 shown]
	s_and_saveexec_b64 s[4:5], vcc
	s_cbranch_execz .LBB110_283
; %bb.282:
	v_accvgpr_read_b32 v0, a134
	buffer_load_dword v2, v0, s[0:3], 0 offen
	buffer_load_dword v3, v0, s[0:3], 0 offen offset:4
	buffer_load_dword v4, v0, s[0:3], 0 offen offset:8
	;; [unrolled: 1-line block ×3, first 2 shown]
	v_accvgpr_read_b32 v0, a141
	buffer_store_dword v1, off, s[0:3], 0 offset:112
	buffer_store_dword v1, off, s[0:3], 0 offset:116
	;; [unrolled: 1-line block ×4, first 2 shown]
	s_waitcnt vmcnt(4)
	ds_write_b128 v0, v[2:5]
.LBB110_283:
	s_or_b64 exec, exec, s[4:5]
	s_waitcnt lgkmcnt(0)
	; wave barrier
	s_waitcnt lgkmcnt(0)
	buffer_load_dword v56, off, s[0:3], 0 offset:128
	buffer_load_dword v57, off, s[0:3], 0 offset:132
	;; [unrolled: 1-line block ×42, first 2 shown]
	ds_read_b128 v[78:81], v1 offset:864
	ds_read_b128 v[90:93], v1 offset:880
	;; [unrolled: 1-line block ×10, first 2 shown]
	buffer_load_dword v105, off, s[0:3], 0 offset:276
	buffer_load_dword v104, off, s[0:3], 0 offset:272
	ds_read_b128 v[106:109], v1 offset:1024
	buffer_load_dword v3, off, s[0:3], 0 offset:332
	buffer_load_dword v2, off, s[0:3], 0 offset:328
	s_waitcnt vmcnt(38) lgkmcnt(9)
	v_mul_f64 v[4:5], v[90:91], v[62:63]
	v_fmac_f64_e32 v[4:5], v[92:93], v[54:55]
	s_waitcnt vmcnt(36) lgkmcnt(8)
	v_mul_f64 v[6:7], v[114:115], v[58:59]
	v_mul_f64 v[58:59], v[116:117], v[58:59]
	s_waitcnt vmcnt(34) lgkmcnt(6)
	v_mul_f64 v[10:11], v[242:243], v[70:71]
	v_mul_f64 v[70:71], v[244:245], v[70:71]
	s_waitcnt vmcnt(32)
	v_fmac_f64_e32 v[10:11], v[244:245], v[72:73]
	s_waitcnt vmcnt(30)
	v_mul_f64 v[8:9], v[238:239], v[64:65]
	s_waitcnt vmcnt(28) lgkmcnt(4)
	v_mul_f64 v[14:15], v[250:251], v[82:83]
	v_mul_f64 v[82:83], v[252:253], v[82:83]
	s_waitcnt vmcnt(26)
	v_fmac_f64_e32 v[14:15], v[252:253], v[84:85]
	s_waitcnt vmcnt(24)
	v_mul_f64 v[12:13], v[246:247], v[74:75]
	v_mul_f64 v[74:75], v[248:249], v[74:75]
	s_waitcnt vmcnt(22) lgkmcnt(2)
	v_mul_f64 v[18:19], v[206:207], v[94:95]
	v_mul_f64 v[94:95], v[208:209], v[94:95]
	s_waitcnt vmcnt(19)
	v_mul_f64 v[16:17], v[202:203], v[86:87]
	v_mul_f64 v[86:87], v[204:205], v[86:87]
	s_waitcnt vmcnt(17) lgkmcnt(1)
	v_mul_f64 v[20:21], v[98:99], v[102:103]
	s_waitcnt vmcnt(15)
	v_fmac_f64_e32 v[6:7], v[116:117], v[68:69]
	s_waitcnt vmcnt(13)
	v_fmac_f64_e32 v[8:9], v[240:241], v[66:67]
	;; [unrolled: 2-line block ×3, first 2 shown]
	v_fma_f64 v[246:247], v[246:247], v[76:77], -v[74:75]
	s_waitcnt vmcnt(9)
	v_fmac_f64_e32 v[16:17], v[204:205], v[88:89]
	s_waitcnt vmcnt(8)
	v_fmac_f64_e32 v[18:19], v[208:209], v[96:97]
	v_fma_f64 v[248:249], v[250:251], v[84:85], -v[82:83]
	v_fma_f64 v[204:205], v[202:203], v[88:89], -v[86:87]
	;; [unrolled: 1-line block ×3, first 2 shown]
	s_waitcnt vmcnt(2)
	v_fmac_f64_e32 v[20:21], v[100:101], v[104:105]
	v_mul_f64 v[100:101], v[100:101], v[102:103]
	s_waitcnt vmcnt(0)
	v_pk_mov_b32 v[22:23], v[2:3], v[2:3] op_sel:[0,1]
	buffer_load_dword v3, off, s[0:3], 0 offset:324
	buffer_load_dword v2, off, s[0:3], 0 offset:320
	;; [unrolled: 1-line block ×78, first 2 shown]
	ds_read_b128 v[120:123], v1 offset:1040
	v_accvgpr_write_b32 a143, v23
	v_accvgpr_write_b32 a142, v22
	v_fma_f64 v[250:251], v[98:99], v[104:105], -v[100:101]
	s_waitcnt vmcnt(62)
	v_pk_mov_b32 v[24:25], v[2:3], v[2:3] op_sel:[0,1]
	v_mul_f64 v[2:3], v[78:79], v[60:61]
	v_fmac_f64_e32 v[2:3], v[80:81], v[56:57]
	v_add_f64 v[2:3], v[2:3], 0
	v_add_f64 v[2:3], v[2:3], v[4:5]
	;; [unrolled: 1-line block ×9, first 2 shown]
	s_waitcnt lgkmcnt(1)
	v_mul_f64 v[8:9], v[106:107], v[110:111]
	v_add_f64 v[6:7], v[2:3], v[20:21]
	v_fmac_f64_e32 v[8:9], v[108:109], v[112:113]
	v_add_f64 v[10:11], v[6:7], v[8:9]
	ds_read_b128 v[6:9], v1 offset:1056
	s_waitcnt lgkmcnt(1)
	v_mul_f64 v[12:13], v[120:121], v[124:125]
	v_fmac_f64_e32 v[12:13], v[122:123], v[140:141]
	v_add_f64 v[14:15], v[10:11], v[12:13]
	ds_read_b128 v[10:13], v1 offset:1072
	s_waitcnt lgkmcnt(1)
	v_mul_f64 v[16:17], v[6:7], v[22:23]
	;; [unrolled: 5-line block ×3, first 2 shown]
	v_fmac_f64_e32 v[20:21], v[12:13], v[148:149]
	v_add_f64 v[22:23], v[18:19], v[20:21]
	ds_read_b128 v[18:21], v1 offset:1104
	v_accvgpr_write_b32 a145, v25
	v_accvgpr_write_b32 a144, v24
	s_waitcnt lgkmcnt(1)
	v_mul_f64 v[24:25], v[14:15], v[126:127]
	v_fmac_f64_e32 v[24:25], v[16:17], v[128:129]
	v_add_f64 v[26:27], v[22:23], v[24:25]
	ds_read_b128 v[22:25], v1 offset:1120
	s_waitcnt vmcnt(58) lgkmcnt(1)
	v_mul_f64 v[28:29], v[18:19], v[152:153]
	s_waitcnt vmcnt(56)
	v_fmac_f64_e32 v[28:29], v[20:21], v[156:157]
	v_add_f64 v[30:31], v[26:27], v[28:29]
	ds_read_b128 v[26:29], v1 offset:1136
	s_waitcnt lgkmcnt(1)
	v_mul_f64 v[32:33], v[22:23], v[130:131]
	v_fmac_f64_e32 v[32:33], v[24:25], v[132:133]
	v_add_f64 v[34:35], v[30:31], v[32:33]
	ds_read_b128 v[30:33], v1 offset:1152
	s_waitcnt vmcnt(50) lgkmcnt(1)
	v_mul_f64 v[36:37], v[26:27], v[160:161]
	s_waitcnt vmcnt(48)
	v_fmac_f64_e32 v[36:37], v[28:29], v[164:165]
	v_add_f64 v[38:39], v[34:35], v[36:37]
	ds_read_b128 v[34:37], v1 offset:1168
	;; [unrolled: 11-line block ×4, first 2 shown]
	buffer_load_dword v200, off, s[0:3], 0 offset:648
	buffer_load_dword v215, off, s[0:3], 0 offset:636
	;; [unrolled: 1-line block ×28, first 2 shown]
	s_waitcnt lgkmcnt(1)
	v_mul_f64 v[210:211], v[46:47], v[146:147]
	v_fmac_f64_e32 v[210:211], v[48:49], v[150:151]
	v_mul_f64 v[60:61], v[80:81], v[60:61]
	v_add_f64 v[118:119], v[118:119], v[210:211]
	s_waitcnt vmcnt(54) lgkmcnt(0)
	v_mul_f64 v[210:211], v[50:51], v[184:185]
	v_fma_f64 v[254:255], v[78:79], v[56:57], -v[60:61]
	v_mul_f64 v[56:57], v[92:93], v[62:63]
	v_fma_f64 v[2:3], v[90:91], v[54:55], -v[56:57]
	s_waitcnt vmcnt(52)
	v_fmac_f64_e32 v[210:211], v[52:53], v[186:187]
	ds_read_b128 v[54:57], v1 offset:1248
	v_add_f64 v[4:5], v[118:119], v[210:211]
	v_fma_f64 v[118:119], v[114:115], v[68:69], -v[58:59]
	ds_read_b128 v[58:61], v1 offset:1264
	v_mul_f64 v[62:63], v[240:241], v[64:65]
	v_fma_f64 v[210:211], v[238:239], v[66:67], -v[62:63]
	ds_read_b128 v[62:65], v1 offset:1280
	s_waitcnt lgkmcnt(2)
	v_mul_f64 v[68:69], v[54:55], v[154:155]
	v_fmac_f64_e32 v[68:69], v[56:57], v[158:159]
	s_waitcnt vmcnt(46) lgkmcnt(1)
	v_mul_f64 v[66:67], v[58:59], v[188:189]
	v_add_f64 v[4:5], v[4:5], v[68:69]
	s_waitcnt vmcnt(44)
	v_fmac_f64_e32 v[66:67], v[60:61], v[190:191]
	v_add_f64 v[4:5], v[4:5], v[66:67]
	v_fma_f64 v[240:241], v[242:243], v[72:73], -v[70:71]
	ds_read_b128 v[70:73], v1 offset:1312
	s_waitcnt lgkmcnt(1)
	v_mul_f64 v[66:67], v[62:63], v[162:163]
	v_fmac_f64_e32 v[66:67], v[64:65], v[166:167]
	v_add_f64 v[4:5], v[4:5], v[66:67]
	ds_read_b128 v[66:69], v1 offset:1296
	ds_read_b128 v[74:77], v1 offset:1328
	;; [unrolled: 1-line block ×5, first 2 shown]
	s_waitcnt vmcnt(38) lgkmcnt(4)
	v_mul_f64 v[78:79], v[66:67], v[192:193]
	s_waitcnt vmcnt(36)
	v_fmac_f64_e32 v[78:79], v[68:69], v[194:195]
	v_add_f64 v[4:5], v[4:5], v[78:79]
	v_mul_f64 v[78:79], v[70:71], v[170:171]
	v_fmac_f64_e32 v[78:79], v[72:73], v[174:175]
	v_add_f64 v[4:5], v[4:5], v[78:79]
	s_waitcnt vmcnt(30) lgkmcnt(3)
	v_mul_f64 v[78:79], v[74:75], v[196:197]
	s_waitcnt vmcnt(28)
	v_fmac_f64_e32 v[78:79], v[76:77], v[198:199]
	v_add_f64 v[4:5], v[4:5], v[78:79]
	ds_read_b128 v[78:81], v1 offset:1344
	v_mul_f64 v[108:109], v[108:109], v[110:111]
	v_fma_f64 v[252:253], v[106:107], v[112:113], -v[108:109]
	ds_read_b128 v[98:101], v1 offset:1424
	ds_read_b128 v[106:109], v1 offset:1456
	s_waitcnt lgkmcnt(2)
	v_mul_f64 v[90:91], v[78:79], v[178:179]
	v_fmac_f64_e32 v[90:91], v[80:81], v[182:183]
	v_add_f64 v[4:5], v[4:5], v[90:91]
	s_waitcnt vmcnt(9) lgkmcnt(1)
	v_mul_f64 v[110:111], v[98:99], v[230:231]
	v_mul_f64 v[90:91], v[82:83], v[214:215]
	s_waitcnt vmcnt(7)
	v_fmac_f64_e32 v[110:111], v[100:101], v[234:235]
	v_fmac_f64_e32 v[90:91], v[84:85], v[216:217]
	v_add_f64 v[4:5], v[4:5], v[90:91]
	v_mul_f64 v[90:91], v[86:87], v[200:201]
	v_fmac_f64_e32 v[90:91], v[88:89], v[212:213]
	v_add_f64 v[4:5], v[4:5], v[90:91]
	ds_read_b128 v[90:93], v1 offset:1392
	v_mul_f64 v[102:103], v[94:95], v[224:225]
	v_fmac_f64_e32 v[102:103], v[96:97], v[226:227]
	s_waitcnt lgkmcnt(0)
	v_mul_f64 v[114:115], v[90:91], v[218:219]
	v_fmac_f64_e32 v[114:115], v[92:93], v[220:221]
	v_add_f64 v[4:5], v[4:5], v[114:115]
	v_add_f64 v[4:5], v[4:5], v[102:103]
	ds_read_b128 v[102:105], v1 offset:1440
	buffer_load_dword v202, off, s[0:3], 0 offset:744
	buffer_load_dword v203, off, s[0:3], 0 offset:748
	;; [unrolled: 1-line block ×4, first 2 shown]
	v_add_f64 v[4:5], v[4:5], v[110:111]
	s_waitcnt vmcnt(9) lgkmcnt(0)
	v_mul_f64 v[110:111], v[102:103], v[222:223]
	s_waitcnt vmcnt(8)
	v_fmac_f64_e32 v[110:111], v[104:105], v[228:229]
	v_add_f64 v[4:5], v[4:5], v[110:111]
	s_waitcnt vmcnt(6)
	v_mul_f64 v[110:111], v[106:107], v[232:233]
	s_waitcnt vmcnt(4)
	v_fmac_f64_e32 v[110:111], v[108:109], v[236:237]
	v_add_f64 v[4:5], v[4:5], v[110:111]
	ds_read_b128 v[110:113], v1 offset:1472
	buffer_load_dword v243, off, s[0:3], 0 offset:764
	buffer_load_dword v242, off, s[0:3], 0 offset:760
	;; [unrolled: 1-line block ×4, first 2 shown]
	s_waitcnt vmcnt(6) lgkmcnt(0)
	v_mul_f64 v[114:115], v[110:111], v[202:203]
	s_waitcnt vmcnt(4)
	v_fmac_f64_e32 v[114:115], v[112:113], v[238:239]
	v_add_f64 v[4:5], v[4:5], v[114:115]
	ds_read_b128 v[114:117], v1 offset:1488
	v_accvgpr_read_b32 v0, a142
	v_accvgpr_read_b32 v1, a143
	v_mul_f64 v[8:9], v[8:9], v[0:1]
	v_accvgpr_read_b32 v0, a144
	v_accvgpr_read_b32 v1, a145
	v_fma_f64 v[6:7], v[6:7], v[0:1], -v[8:9]
	s_waitcnt vmcnt(2) lgkmcnt(0)
	v_mul_f64 v[208:209], v[114:115], v[242:243]
	v_accvgpr_read_b32 v0, a140
	s_waitcnt vmcnt(0)
	v_fmac_f64_e32 v[208:209], v[116:117], v[244:245]
	v_add_f64 v[4:5], v[4:5], v[208:209]
	v_add_f64 v[208:209], v[254:255], 0
	;; [unrolled: 1-line block ×8, first 2 shown]
	buffer_load_dword v248, off, s[0:3], 0 offset:112
	buffer_load_dword v249, off, s[0:3], 0 offset:116
	;; [unrolled: 1-line block ×4, first 2 shown]
	v_add_f64 v[2:3], v[2:3], v[204:205]
	v_add_f64 v[254:255], v[2:3], v[206:207]
	v_add_f64 v[2:3], v[254:255], v[250:251]
	v_mul_f64 v[118:119], v[122:123], v[124:125]
	v_add_f64 v[2:3], v[2:3], v[252:253]
	v_fma_f64 v[118:119], v[120:121], v[140:141], -v[118:119]
	v_add_f64 v[2:3], v[2:3], v[118:119]
	v_add_f64 v[2:3], v[2:3], v[6:7]
	v_mul_f64 v[6:7], v[12:13], v[144:145]
	v_fma_f64 v[6:7], v[10:11], v[148:149], -v[6:7]
	v_add_f64 v[2:3], v[2:3], v[6:7]
	v_mul_f64 v[6:7], v[16:17], v[126:127]
	v_fma_f64 v[6:7], v[14:15], v[128:129], -v[6:7]
	;; [unrolled: 3-line block ×27, first 2 shown]
	v_add_f64 v[2:3], v[2:3], v[6:7]
	s_waitcnt vmcnt(2)
	v_add_f64 v[2:3], v[248:249], -v[2:3]
	v_cmp_lt_u32_e32 vcc, 5, v0
	s_waitcnt vmcnt(0)
	v_add_f64 v[4:5], v[246:247], -v[4:5]
	buffer_store_dword v3, off, s[0:3], 0 offset:116
	buffer_store_dword v2, off, s[0:3], 0 offset:112
	;; [unrolled: 1-line block ×4, first 2 shown]
	s_and_saveexec_b64 s[4:5], vcc
	s_cbranch_execz .LBB110_285
; %bb.284:
	v_accvgpr_read_b32 v0, a135
	buffer_load_dword v2, v0, s[0:3], 0 offen
	buffer_load_dword v3, v0, s[0:3], 0 offen offset:4
	buffer_load_dword v4, v0, s[0:3], 0 offen offset:8
	;; [unrolled: 1-line block ×3, first 2 shown]
	v_mov_b32_e32 v0, 0
	v_accvgpr_read_b32 v1, a141
	buffer_store_dword v0, off, s[0:3], 0 offset:96
	buffer_store_dword v0, off, s[0:3], 0 offset:100
	;; [unrolled: 1-line block ×4, first 2 shown]
	s_waitcnt vmcnt(4)
	ds_write_b128 v1, v[2:5]
.LBB110_285:
	s_or_b64 exec, exec, s[4:5]
	s_waitcnt lgkmcnt(0)
	; wave barrier
	s_waitcnt lgkmcnt(0)
	buffer_load_dword v54, off, s[0:3], 0 offset:112
	buffer_load_dword v55, off, s[0:3], 0 offset:116
	;; [unrolled: 1-line block ×46, first 2 shown]
	v_mov_b32_e32 v1, 0
	v_accvgpr_read_b32 v0, a140
	v_cmp_lt_u32_e32 vcc, 4, v0
	s_waitcnt vmcnt(0)
	v_pk_mov_b32 v[22:23], v[2:3], v[2:3] op_sel:[0,1]
	buffer_load_dword v3, off, s[0:3], 0 offset:308
	buffer_load_dword v2, off, s[0:3], 0 offset:304
	;; [unrolled: 1-line block ×3, first 2 shown]
	ds_read_b128 v[94:97], v1 offset:848
	ds_read_b128 v[108:111], v1 offset:864
	;; [unrolled: 1-line block ×11, first 2 shown]
	buffer_load_dword v106, off, s[0:3], 0 offset:296
	buffer_load_dword v63, off, s[0:3], 0 offset:292
	;; [unrolled: 1-line block ×75, first 2 shown]
	s_waitcnt lgkmcnt(9)
	v_mul_f64 v[4:5], v[108:109], v[224:225]
	s_waitcnt lgkmcnt(8)
	v_mul_f64 v[6:7], v[112:113], v[60:61]
	v_fmac_f64_e32 v[4:5], v[110:111], v[58:59]
	s_waitcnt lgkmcnt(7)
	v_mul_f64 v[8:9], v[200:201], v[68:69]
	v_fmac_f64_e32 v[6:7], v[114:115], v[84:85]
	;; [unrolled: 3-line block ×5, first 2 shown]
	ds_read_b128 v[116:119], v1 offset:1024
	ds_read_b128 v[120:123], v1 offset:1040
	s_waitcnt lgkmcnt(5)
	v_mul_f64 v[16:17], v[248:249], v[78:79]
	v_fmac_f64_e32 v[14:15], v[246:247], v[76:77]
	s_waitcnt lgkmcnt(4)
	v_mul_f64 v[18:19], v[252:253], v[86:87]
	v_fmac_f64_e32 v[16:17], v[250:251], v[80:81]
	;; [unrolled: 3-line block ×3, first 2 shown]
	v_fmac_f64_e32 v[20:21], v[210:211], v[92:93]
	v_accvgpr_write_b32 a143, v23
	v_accvgpr_write_b32 a142, v22
	v_mul_f64 v[64:65], v[206:207], v[64:65]
	v_fma_f64 v[64:65], v[204:205], v[66:67], -v[64:65]
	v_mul_f64 v[66:67], v[242:243], v[70:71]
	v_fma_f64 v[242:243], v[240:241], v[72:73], -v[66:67]
	v_mul_f64 v[74:75], v[246:247], v[74:75]
	v_mul_f64 v[78:79], v[250:251], v[78:79]
	v_fma_f64 v[248:249], v[248:249], v[80:81], -v[78:79]
	v_mul_f64 v[86:87], v[254:255], v[86:87]
	v_fma_f64 v[250:251], v[252:253], v[88:89], -v[86:87]
	;; [unrolled: 2-line block ×3, first 2 shown]
	s_waitcnt vmcnt(62)
	v_pk_mov_b32 v[24:25], v[2:3], v[2:3] op_sel:[0,1]
	v_mul_f64 v[2:3], v[94:95], v[56:57]
	v_fmac_f64_e32 v[2:3], v[96:97], v[54:55]
	v_add_f64 v[2:3], v[2:3], 0
	v_add_f64 v[2:3], v[2:3], v[4:5]
	;; [unrolled: 1-line block ×9, first 2 shown]
	s_waitcnt lgkmcnt(2)
	v_mul_f64 v[4:5], v[98:99], v[102:103]
	v_add_f64 v[2:3], v[2:3], v[20:21]
	v_fmac_f64_e32 v[4:5], v[100:101], v[104:105]
	s_waitcnt lgkmcnt(1)
	v_mul_f64 v[8:9], v[116:117], v[106:107]
	v_add_f64 v[6:7], v[2:3], v[4:5]
	v_fmac_f64_e32 v[8:9], v[118:119], v[62:63]
	s_waitcnt lgkmcnt(0)
	v_mul_f64 v[12:13], v[120:121], v[22:23]
	v_add_f64 v[10:11], v[6:7], v[8:9]
	ds_read_b128 v[6:9], v1 offset:1056
	v_fmac_f64_e32 v[12:13], v[122:123], v[24:25]
	v_add_f64 v[14:15], v[10:11], v[12:13]
	ds_read_b128 v[10:13], v1 offset:1072
	v_accvgpr_write_b32 a145, v25
	s_waitcnt lgkmcnt(1)
	v_mul_f64 v[16:17], v[6:7], v[140:141]
	v_fmac_f64_e32 v[16:17], v[8:9], v[144:145]
	v_add_f64 v[18:19], v[14:15], v[16:17]
	s_waitcnt lgkmcnt(0)
	v_mul_f64 v[20:21], v[10:11], v[124:125]
	ds_read_b128 v[14:17], v1 offset:1088
	v_fmac_f64_e32 v[20:21], v[12:13], v[126:127]
	v_add_f64 v[22:23], v[18:19], v[20:21]
	ds_read_b128 v[18:21], v1 offset:1104
	v_accvgpr_write_b32 a144, v24
	s_waitcnt vmcnt(58) lgkmcnt(1)
	v_mul_f64 v[24:25], v[14:15], v[148:149]
	s_waitcnt vmcnt(56)
	v_fmac_f64_e32 v[24:25], v[16:17], v[152:153]
	v_add_f64 v[26:27], v[22:23], v[24:25]
	s_waitcnt lgkmcnt(0)
	v_mul_f64 v[28:29], v[18:19], v[128:129]
	ds_read_b128 v[22:25], v1 offset:1120
	v_fmac_f64_e32 v[28:29], v[20:21], v[130:131]
	v_add_f64 v[30:31], v[26:27], v[28:29]
	ds_read_b128 v[26:29], v1 offset:1136
	v_mul_f64 v[56:57], v[96:97], v[56:57]
	s_waitcnt vmcnt(50) lgkmcnt(1)
	v_mul_f64 v[32:33], v[22:23], v[156:157]
	s_waitcnt vmcnt(48)
	v_fmac_f64_e32 v[32:33], v[24:25], v[160:161]
	v_add_f64 v[34:35], v[30:31], v[32:33]
	s_waitcnt lgkmcnt(0)
	v_mul_f64 v[36:37], v[26:27], v[132:133]
	ds_read_b128 v[30:33], v1 offset:1152
	v_fmac_f64_e32 v[36:37], v[28:29], v[134:135]
	v_add_f64 v[38:39], v[34:35], v[36:37]
	ds_read_b128 v[34:37], v1 offset:1168
	v_fma_f64 v[2:3], v[94:95], v[54:55], -v[56:57]
	s_waitcnt vmcnt(42) lgkmcnt(1)
	v_mul_f64 v[40:41], v[30:31], v[164:165]
	s_waitcnt vmcnt(40)
	v_fmac_f64_e32 v[40:41], v[32:33], v[168:169]
	v_add_f64 v[42:43], v[38:39], v[40:41]
	s_waitcnt lgkmcnt(0)
	v_mul_f64 v[44:45], v[34:35], v[136:137]
	ds_read_b128 v[38:41], v1 offset:1184
	v_fmac_f64_e32 v[44:45], v[36:37], v[138:139]
	v_add_f64 v[46:47], v[42:43], v[44:45]
	ds_read_b128 v[42:45], v1 offset:1200
	v_mul_f64 v[94:95], v[110:111], v[224:225]
	s_waitcnt vmcnt(34) lgkmcnt(1)
	v_mul_f64 v[48:49], v[38:39], v[172:173]
	s_waitcnt vmcnt(32)
	v_fmac_f64_e32 v[48:49], v[40:41], v[176:177]
	v_add_f64 v[50:51], v[46:47], v[48:49]
	s_waitcnt lgkmcnt(0)
	v_mul_f64 v[52:53], v[42:43], v[142:143]
	v_fmac_f64_e32 v[52:53], v[44:45], v[146:147]
	ds_read_b128 v[46:49], v1 offset:1216
	v_add_f64 v[212:213], v[50:51], v[52:53]
	ds_read_b128 v[50:53], v1 offset:1232
	buffer_load_dword v197, off, s[0:3], 0 offset:620
	buffer_load_dword v196, off, s[0:3], 0 offset:616
	;; [unrolled: 1-line block ×4, first 2 shown]
	v_fma_f64 v[238:239], v[108:109], v[58:59], -v[94:95]
	s_waitcnt vmcnt(30) lgkmcnt(1)
	v_mul_f64 v[214:215], v[46:47], v[180:181]
	s_waitcnt vmcnt(28)
	v_fmac_f64_e32 v[214:215], v[48:49], v[182:183]
	v_add_f64 v[236:237], v[212:213], v[214:215]
	buffer_load_dword v214, off, s[0:3], 0 offset:632
	buffer_load_dword v216, off, s[0:3], 0 offset:624
	;; [unrolled: 1-line block ×12, first 2 shown]
	ds_read_b128 v[54:57], v1 offset:1248
	buffer_load_dword v225, off, s[0:3], 0 offset:684
	buffer_load_dword v224, off, s[0:3], 0 offset:680
	;; [unrolled: 1-line block ×12, first 2 shown]
	s_waitcnt lgkmcnt(1)
	v_mul_f64 v[4:5], v[50:51], v[150:151]
	v_mul_f64 v[58:59], v[114:115], v[60:61]
	v_fmac_f64_e32 v[4:5], v[52:53], v[154:155]
	s_waitcnt vmcnt(46) lgkmcnt(0)
	v_mul_f64 v[60:61], v[54:55], v[184:185]
	v_fma_f64 v[94:95], v[112:113], v[84:85], -v[58:59]
	v_add_f64 v[58:59], v[236:237], v[4:5]
	v_mul_f64 v[4:5], v[202:203], v[68:69]
	s_waitcnt vmcnt(44)
	v_fmac_f64_e32 v[60:61], v[56:57], v[186:187]
	v_fma_f64 v[96:97], v[200:201], v[82:83], -v[4:5]
	buffer_load_dword v236, off, s[0:3], 0 offset:728
	buffer_load_dword v4, off, s[0:3], 0 offset:720
	;; [unrolled: 1-line block ×4, first 2 shown]
	v_add_f64 v[82:83], v[58:59], v[60:61]
	ds_read_b128 v[58:61], v1 offset:1264
	ds_read_b128 v[204:207], v1 offset:1280
	;; [unrolled: 1-line block ×3, first 2 shown]
	v_fma_f64 v[202:203], v[244:245], v[76:77], -v[74:75]
	ds_read_b128 v[74:77], v1 offset:1328
	s_waitcnt lgkmcnt(3)
	v_mul_f64 v[84:85], v[58:59], v[158:159]
	v_fmac_f64_e32 v[84:85], v[60:61], v[162:163]
	s_waitcnt vmcnt(42) lgkmcnt(2)
	v_mul_f64 v[72:73], v[204:205], v[188:189]
	v_add_f64 v[70:71], v[82:83], v[84:85]
	s_waitcnt vmcnt(40)
	v_fmac_f64_e32 v[72:73], v[206:207], v[190:191]
	v_add_f64 v[70:71], v[70:71], v[72:73]
	s_waitcnt lgkmcnt(1)
	v_mul_f64 v[72:73], v[66:67], v[166:167]
	v_fmac_f64_e32 v[72:73], v[68:69], v[170:171]
	v_add_f64 v[82:83], v[70:71], v[72:73]
	ds_read_b128 v[70:73], v1 offset:1312
	ds_read_b128 v[78:81], v1 offset:1344
	;; [unrolled: 1-line block ×4, first 2 shown]
	v_mul_f64 v[100:101], v[100:101], v[102:103]
	s_waitcnt vmcnt(34) lgkmcnt(3)
	v_mul_f64 v[84:85], v[70:71], v[192:193]
	s_waitcnt vmcnt(32)
	v_fmac_f64_e32 v[84:85], v[72:73], v[194:195]
	v_add_f64 v[82:83], v[82:83], v[84:85]
	v_mul_f64 v[84:85], v[74:75], v[174:175]
	v_fmac_f64_e32 v[84:85], v[76:77], v[178:179]
	v_add_f64 v[82:83], v[82:83], v[84:85]
	v_fma_f64 v[254:255], v[98:99], v[104:105], -v[100:101]
	ds_read_b128 v[98:101], v1 offset:1424
	v_mul_f64 v[102:103], v[118:119], v[106:107]
	v_fma_f64 v[62:63], v[116:117], v[62:63], -v[102:103]
	ds_read_b128 v[102:105], v1 offset:1440
	v_accvgpr_write_b32 a147, v63
	v_accvgpr_write_b32 a146, v62
	v_add_f64 v[2:3], v[2:3], 0
	v_add_f64 v[2:3], v[2:3], v[238:239]
	;; [unrolled: 1-line block ×4, first 2 shown]
	ds_read_b128 v[86:89], v1 offset:1376
	v_add_f64 v[2:3], v[2:3], v[64:65]
	v_add_f64 v[2:3], v[2:3], v[242:243]
	v_add_f64 v[2:3], v[2:3], v[202:203]
	v_add_f64 v[2:3], v[2:3], v[248:249]
	v_add_f64 v[2:3], v[2:3], v[250:251]
	v_add_f64 v[2:3], v[2:3], v[252:253]
	v_accvgpr_read_b32 v64, a142
	v_add_f64 v[252:253], v[2:3], v[254:255]
	v_accvgpr_read_b32 v2, a146
	v_accvgpr_read_b32 v65, a143
	;; [unrolled: 1-line block ×4, first 2 shown]
	v_mul_f64 v[64:65], v[122:123], v[64:65]
	v_accvgpr_read_b32 v95, a145
	v_add_f64 v[2:3], v[252:253], v[2:3]
	v_fma_f64 v[64:65], v[120:121], v[94:95], -v[64:65]
	v_mul_f64 v[8:9], v[8:9], v[140:141]
	v_add_f64 v[2:3], v[2:3], v[64:65]
	v_fma_f64 v[6:7], v[6:7], v[144:145], -v[8:9]
	v_add_f64 v[2:3], v[2:3], v[6:7]
	s_waitcnt vmcnt(30) lgkmcnt(5)
	v_mul_f64 v[84:85], v[78:79], v[196:197]
	v_mul_f64 v[6:7], v[12:13], v[124:125]
	s_waitcnt vmcnt(28)
	v_fmac_f64_e32 v[84:85], v[80:81], v[198:199]
	v_add_f64 v[108:109], v[82:83], v[84:85]
	ds_read_b128 v[82:85], v1 offset:1360
	v_fma_f64 v[6:7], v[10:11], v[126:127], -v[6:7]
	s_waitcnt vmcnt(9) lgkmcnt(3)
	v_mul_f64 v[106:107], v[98:99], v[228:229]
	s_waitcnt vmcnt(8)
	v_fmac_f64_e32 v[106:107], v[100:101], v[230:231]
	v_add_f64 v[2:3], v[2:3], v[6:7]
	s_waitcnt lgkmcnt(0)
	v_mul_f64 v[110:111], v[82:83], v[214:215]
	v_fmac_f64_e32 v[110:111], v[84:85], v[216:217]
	v_add_f64 v[108:109], v[108:109], v[110:111]
	v_mul_f64 v[110:111], v[86:87], v[218:219]
	v_fmac_f64_e32 v[110:111], v[88:89], v[222:223]
	v_add_f64 v[108:109], v[108:109], v[110:111]
	;; [unrolled: 3-line block ×4, first 2 shown]
	v_add_f64 v[62:63], v[62:63], v[106:107]
	s_waitcnt vmcnt(6)
	v_mul_f64 v[106:107], v[102:103], v[232:233]
	s_waitcnt vmcnt(4)
	v_fmac_f64_e32 v[106:107], v[104:105], v[234:235]
	v_add_f64 v[62:63], v[62:63], v[106:107]
	ds_read_b128 v[106:109], v1 offset:1456
	buffer_load_dword v201, off, s[0:3], 0 offset:748
	buffer_load_dword v200, off, s[0:3], 0 offset:744
	;; [unrolled: 1-line block ×4, first 2 shown]
	v_mul_f64 v[6:7], v[16:17], v[148:149]
	v_fma_f64 v[6:7], v[14:15], v[152:153], -v[6:7]
	v_add_f64 v[2:3], v[2:3], v[6:7]
	s_waitcnt vmcnt(5) lgkmcnt(0)
	v_mul_f64 v[110:111], v[106:107], v[236:237]
	s_waitcnt vmcnt(4)
	v_fmac_f64_e32 v[110:111], v[108:109], v[4:5]
	v_add_f64 v[62:63], v[62:63], v[110:111]
	ds_read_b128 v[110:113], v1 offset:1472
	buffer_load_dword v244, off, s[0:3], 0 offset:760
	buffer_load_dword v245, off, s[0:3], 0 offset:764
	;; [unrolled: 1-line block ×4, first 2 shown]
	v_mul_f64 v[6:7], v[20:21], v[128:129]
	v_fma_f64 v[6:7], v[18:19], v[130:131], -v[6:7]
	v_add_f64 v[2:3], v[2:3], v[6:7]
	v_mul_f64 v[6:7], v[24:25], v[156:157]
	v_fma_f64 v[6:7], v[22:23], v[160:161], -v[6:7]
	v_add_f64 v[2:3], v[2:3], v[6:7]
	;; [unrolled: 3-line block ×23, first 2 shown]
	s_waitcnt vmcnt(6) lgkmcnt(0)
	v_mul_f64 v[114:115], v[110:111], v[200:201]
	v_mul_f64 v[4:5], v[112:113], v[200:201]
	s_waitcnt vmcnt(4)
	v_fmac_f64_e32 v[114:115], v[112:113], v[240:241]
	v_add_f64 v[62:63], v[62:63], v[114:115]
	ds_read_b128 v[114:117], v1 offset:1488
	buffer_load_dword v250, off, s[0:3], 0 offset:96
	buffer_load_dword v251, off, s[0:3], 0 offset:100
	;; [unrolled: 1-line block ×4, first 2 shown]
	v_fma_f64 v[4:5], v[110:111], v[240:241], -v[4:5]
	v_add_f64 v[2:3], v[2:3], v[4:5]
	s_waitcnt vmcnt(6) lgkmcnt(0)
	v_mul_f64 v[4:5], v[116:117], v[244:245]
	v_mul_f64 v[118:119], v[114:115], v[244:245]
	s_waitcnt vmcnt(4)
	v_fma_f64 v[4:5], v[114:115], v[246:247], -v[4:5]
	v_fmac_f64_e32 v[118:119], v[116:117], v[246:247]
	v_add_f64 v[2:3], v[2:3], v[4:5]
	v_add_f64 v[62:63], v[62:63], v[118:119]
	s_waitcnt vmcnt(2)
	v_add_f64 v[2:3], v[250:251], -v[2:3]
	s_waitcnt vmcnt(0)
	v_add_f64 v[4:5], v[248:249], -v[62:63]
	buffer_store_dword v3, off, s[0:3], 0 offset:100
	buffer_store_dword v2, off, s[0:3], 0 offset:96
	;; [unrolled: 1-line block ×4, first 2 shown]
	s_and_saveexec_b64 s[4:5], vcc
	s_cbranch_execz .LBB110_287
; %bb.286:
	v_accvgpr_read_b32 v0, a136
	buffer_load_dword v2, v0, s[0:3], 0 offen
	buffer_load_dword v3, v0, s[0:3], 0 offen offset:4
	buffer_load_dword v4, v0, s[0:3], 0 offen offset:8
	;; [unrolled: 1-line block ×3, first 2 shown]
	v_accvgpr_read_b32 v0, a141
	buffer_store_dword v1, off, s[0:3], 0 offset:80
	buffer_store_dword v1, off, s[0:3], 0 offset:84
	;; [unrolled: 1-line block ×4, first 2 shown]
	s_waitcnt vmcnt(4)
	ds_write_b128 v0, v[2:5]
.LBB110_287:
	s_or_b64 exec, exec, s[4:5]
	s_waitcnt lgkmcnt(0)
	; wave barrier
	s_waitcnt lgkmcnt(0)
	buffer_load_dword v58, off, s[0:3], 0 offset:96
	buffer_load_dword v59, off, s[0:3], 0 offset:100
	;; [unrolled: 1-line block ×42, first 2 shown]
	ds_read_b128 v[110:113], v1 offset:832
	ds_read_b128 v[114:117], v1 offset:848
	ds_read_b128 v[200:203], v1 offset:864
	ds_read_b128 v[204:207], v1 offset:880
	ds_read_b128 v[208:211], v1 offset:896
	ds_read_b128 v[238:241], v1 offset:912
	ds_read_b128 v[242:245], v1 offset:928
	ds_read_b128 v[246:249], v1 offset:944
	ds_read_b128 v[250:253], v1 offset:960
	ds_read_b128 v[82:85], v1 offset:976
	buffer_load_dword v235, off, s[0:3], 0 offset:244
	buffer_load_dword v234, off, s[0:3], 0 offset:240
	ds_read_b128 v[90:93], v1 offset:992
	buffer_load_dword v105, off, s[0:3], 0 offset:300
	buffer_load_dword v104, off, s[0:3], 0 offset:296
	;; [unrolled: 1-line block ×6, first 2 shown]
	s_waitcnt vmcnt(46) lgkmcnt(10)
	v_mul_f64 v[2:3], v[110:111], v[60:61]
	v_fmac_f64_e32 v[2:3], v[112:113], v[58:59]
	v_add_f64 v[2:3], v[2:3], 0
	v_mul_f64 v[60:61], v[112:113], v[60:61]
	s_waitcnt vmcnt(42) lgkmcnt(9)
	v_mul_f64 v[4:5], v[114:115], v[62:63]
	v_fmac_f64_e32 v[4:5], v[116:117], v[56:57]
	v_add_f64 v[2:3], v[2:3], v[4:5]
	buffer_load_dword v237, off, s[0:3], 0 offset:276
	buffer_load_dword v236, off, s[0:3], 0 offset:272
	;; [unrolled: 1-line block ×4, first 2 shown]
	s_waitcnt vmcnt(44) lgkmcnt(8)
	v_mul_f64 v[6:7], v[200:201], v[54:55]
	s_waitcnt vmcnt(42) lgkmcnt(6)
	v_mul_f64 v[10:11], v[208:209], v[64:65]
	s_waitcnt vmcnt(40)
	v_fmac_f64_e32 v[10:11], v[210:211], v[66:67]
	v_mul_f64 v[54:55], v[202:203], v[54:55]
	s_waitcnt vmcnt(38)
	v_mul_f64 v[8:9], v[204:205], v[68:69]
	s_waitcnt vmcnt(36) lgkmcnt(4)
	v_mul_f64 v[14:15], v[242:243], v[70:71]
	s_waitcnt vmcnt(34)
	v_fmac_f64_e32 v[14:15], v[244:245], v[72:73]
	s_waitcnt vmcnt(32)
	v_mul_f64 v[12:13], v[238:239], v[74:75]
	s_waitcnt vmcnt(30) lgkmcnt(2)
	v_mul_f64 v[18:19], v[250:251], v[78:79]
	v_mul_f64 v[78:79], v[252:253], v[78:79]
	s_waitcnt vmcnt(27)
	v_mul_f64 v[16:17], v[246:247], v[76:77]
	s_waitcnt vmcnt(25) lgkmcnt(1)
	v_mul_f64 v[20:21], v[82:83], v[86:87]
	s_waitcnt vmcnt(23)
	v_fmac_f64_e32 v[6:7], v[202:203], v[100:101]
	v_add_f64 v[2:3], v[2:3], v[6:7]
	s_waitcnt vmcnt(21)
	v_fmac_f64_e32 v[8:9], v[206:207], v[98:99]
	v_add_f64 v[2:3], v[2:3], v[8:9]
	;; [unrolled: 3-line block ×3, first 2 shown]
	v_add_f64 v[2:3], v[2:3], v[12:13]
	s_waitcnt vmcnt(17)
	v_fmac_f64_e32 v[16:17], v[248:249], v[88:89]
	v_add_f64 v[2:3], v[2:3], v[14:15]
	s_waitcnt vmcnt(16)
	v_fmac_f64_e32 v[18:19], v[252:253], v[80:81]
	v_add_f64 v[2:3], v[2:3], v[16:17]
	v_add_f64 v[2:3], v[2:3], v[18:19]
	v_fma_f64 v[54:55], v[200:201], v[100:101], -v[54:55]
	s_waitcnt vmcnt(10)
	v_fmac_f64_e32 v[20:21], v[84:85], v[234:235]
	v_add_f64 v[2:3], v[2:3], v[20:21]
	v_fma_f64 v[250:251], v[250:251], v[80:81], -v[78:79]
	v_mul_f64 v[84:85], v[84:85], v[86:87]
	v_fma_f64 v[252:253], v[82:83], v[234:235], -v[84:85]
	s_waitcnt vmcnt(0)
	v_pk_mov_b32 v[18:19], v[4:5], v[4:5] op_sel:[0,1]
	buffer_load_dword v5, off, s[0:3], 0 offset:324
	buffer_load_dword v4, off, s[0:3], 0 offset:320
	v_accvgpr_write_b32 a143, v19
	v_accvgpr_write_b32 a142, v18
	s_waitcnt vmcnt(0)
	v_pk_mov_b32 v[22:23], v[4:5], v[4:5] op_sel:[0,1]
	buffer_load_dword v137, off, s[0:3], 0 offset:316
	buffer_load_dword v136, off, s[0:3], 0 offset:312
	;; [unrolled: 1-line block ×6, first 2 shown]
	v_accvgpr_write_b32 a145, v23
	v_accvgpr_write_b32 a144, v22
	s_waitcnt vmcnt(0)
	v_pk_mov_b32 v[26:27], v[4:5], v[4:5] op_sel:[0,1]
	buffer_load_dword v5, off, s[0:3], 0 offset:356
	buffer_load_dword v4, off, s[0:3], 0 offset:352
	v_accvgpr_write_b32 a147, v27
	v_accvgpr_write_b32 a146, v26
	s_waitcnt vmcnt(0)
	v_pk_mov_b32 v[28:29], v[4:5], v[4:5] op_sel:[0,1]
	buffer_load_dword v145, off, s[0:3], 0 offset:348
	buffer_load_dword v144, off, s[0:3], 0 offset:344
	;; [unrolled: 1-line block ×60, first 2 shown]
	ds_read_b128 v[118:121], v1 offset:1008
	ds_read_b128 v[224:227], v1 offset:1024
	;; [unrolled: 1-line block ×5, first 2 shown]
	v_accvgpr_write_b32 a149, v29
	s_waitcnt lgkmcnt(3)
	v_mul_f64 v[8:9], v[224:225], v[104:105]
	v_fmac_f64_e32 v[8:9], v[226:227], v[106:107]
	s_waitcnt lgkmcnt(2)
	v_mul_f64 v[12:13], v[126:127], v[136:137]
	v_fmac_f64_e32 v[12:13], v[128:129], v[140:141]
	;; [unrolled: 3-line block ×3, first 2 shown]
	v_accvgpr_write_b32 a148, v28
	s_waitcnt vmcnt(52)
	v_pk_mov_b32 v[34:35], v[4:5], v[4:5] op_sel:[0,1]
	v_mul_f64 v[4:5], v[90:91], v[96:97]
	v_fmac_f64_e32 v[4:5], v[92:93], v[102:103]
	v_add_f64 v[2:3], v[2:3], v[4:5]
	v_mul_f64 v[4:5], v[118:119], v[108:109]
	v_fmac_f64_e32 v[4:5], v[120:121], v[236:237]
	v_add_f64 v[6:7], v[2:3], v[4:5]
	v_add_f64 v[10:11], v[6:7], v[8:9]
	;; [unrolled: 1-line block ×4, first 2 shown]
	ds_read_b128 v[14:17], v1 offset:1088
	s_waitcnt lgkmcnt(1)
	v_mul_f64 v[20:21], v[122:123], v[144:145]
	v_fmac_f64_e32 v[20:21], v[124:125], v[148:149]
	v_add_f64 v[22:23], v[18:19], v[20:21]
	ds_read_b128 v[18:21], v1 offset:1104
	s_waitcnt lgkmcnt(1)
	v_mul_f64 v[24:25], v[14:15], v[26:27]
	v_fmac_f64_e32 v[24:25], v[16:17], v[28:29]
	v_add_f64 v[26:27], v[22:23], v[24:25]
	ds_read_b128 v[22:25], v1 offset:1120
	s_waitcnt vmcnt(50) lgkmcnt(1)
	v_mul_f64 v[28:29], v[18:19], v[152:153]
	s_waitcnt vmcnt(48)
	v_fmac_f64_e32 v[28:29], v[20:21], v[156:157]
	v_add_f64 v[30:31], v[26:27], v[28:29]
	ds_read_b128 v[26:29], v1 offset:1136
	s_waitcnt lgkmcnt(1)
	v_mul_f64 v[32:33], v[22:23], v[254:255]
	v_fmac_f64_e32 v[32:33], v[24:25], v[34:35]
	v_accvgpr_write_b32 a151, v35
	v_accvgpr_write_b32 a150, v34
	v_add_f64 v[34:35], v[30:31], v[32:33]
	ds_read_b128 v[30:33], v1 offset:1152
	s_waitcnt vmcnt(42) lgkmcnt(1)
	v_mul_f64 v[36:37], v[26:27], v[160:161]
	s_waitcnt vmcnt(40)
	v_fmac_f64_e32 v[36:37], v[28:29], v[164:165]
	v_add_f64 v[38:39], v[34:35], v[36:37]
	ds_read_b128 v[34:37], v1 offset:1168
	s_waitcnt lgkmcnt(1)
	v_mul_f64 v[40:41], v[30:31], v[132:133]
	v_fmac_f64_e32 v[40:41], v[32:33], v[134:135]
	v_add_f64 v[42:43], v[38:39], v[40:41]
	ds_read_b128 v[38:41], v1 offset:1184
	s_waitcnt vmcnt(34) lgkmcnt(1)
	v_mul_f64 v[44:45], v[34:35], v[168:169]
	s_waitcnt vmcnt(32)
	v_fmac_f64_e32 v[44:45], v[36:37], v[172:173]
	v_add_f64 v[46:47], v[42:43], v[44:45]
	ds_read_b128 v[42:45], v1 offset:1200
	s_waitcnt lgkmcnt(1)
	v_mul_f64 v[48:49], v[38:39], v[138:139]
	v_fmac_f64_e32 v[48:49], v[40:41], v[142:143]
	v_add_f64 v[50:51], v[46:47], v[48:49]
	ds_read_b128 v[46:49], v1 offset:1216
	s_waitcnt vmcnt(26) lgkmcnt(1)
	v_mul_f64 v[52:53], v[42:43], v[176:177]
	s_waitcnt vmcnt(24)
	v_fmac_f64_e32 v[52:53], v[44:45], v[178:179]
	v_add_f64 v[2:3], v[50:51], v[52:53]
	ds_read_b128 v[50:53], v1 offset:1232
	buffer_load_dword v13, off, s[0:3], 0 offset:604
	buffer_load_dword v12, off, s[0:3], 0 offset:600
	;; [unrolled: 1-line block ×20, first 2 shown]
	v_fma_f64 v[6:7], v[110:111], v[58:59], -v[60:61]
	v_mul_f64 v[58:59], v[116:117], v[62:63]
	v_fma_f64 v[56:57], v[114:115], v[56:57], -v[58:59]
	v_mul_f64 v[58:59], v[206:207], v[68:69]
	v_fma_f64 v[202:203], v[204:205], v[98:99], -v[58:59]
	buffer_load_dword v206, off, s[0:3], 0 offset:680
	buffer_load_dword v228, off, s[0:3], 0 offset:672
	;; [unrolled: 1-line block ×12, first 2 shown]
	s_waitcnt lgkmcnt(1)
	v_mul_f64 v[4:5], v[46:47], v[146:147]
	v_fmac_f64_e32 v[4:5], v[48:49], v[150:151]
	v_add_f64 v[58:59], v[2:3], v[4:5]
	v_mul_f64 v[2:3], v[210:211], v[64:65]
	v_fma_f64 v[2:3], v[208:209], v[66:67], -v[2:3]
	buffer_load_dword v209, off, s[0:3], 0 offset:732
	buffer_load_dword v208, off, s[0:3], 0 offset:728
	;; [unrolled: 1-line block ×4, first 2 shown]
	ds_read_b128 v[8:11], v1 offset:1248
	s_waitcnt vmcnt(54) lgkmcnt(1)
	v_mul_f64 v[4:5], v[50:51], v[180:181]
	s_waitcnt vmcnt(52)
	v_fmac_f64_e32 v[4:5], v[52:53], v[182:183]
	v_add_f64 v[4:5], v[58:59], v[4:5]
	v_mul_f64 v[58:59], v[240:241], v[74:75]
	v_fma_f64 v[94:95], v[238:239], v[94:95], -v[58:59]
	ds_read_b128 v[58:61], v1 offset:1264
	s_waitcnt lgkmcnt(1)
	v_mul_f64 v[62:63], v[8:9], v[154:155]
	v_fmac_f64_e32 v[62:63], v[10:11], v[158:159]
	v_add_f64 v[4:5], v[4:5], v[62:63]
	ds_read_b128 v[62:65], v1 offset:1280
	v_mul_f64 v[66:67], v[244:245], v[70:71]
	s_waitcnt vmcnt(46) lgkmcnt(1)
	v_mul_f64 v[70:71], v[58:59], v[184:185]
	v_fma_f64 v[242:243], v[242:243], v[72:73], -v[66:67]
	ds_read_b128 v[66:69], v1 offset:1296
	s_waitcnt vmcnt(44)
	v_fmac_f64_e32 v[70:71], v[60:61], v[186:187]
	v_add_f64 v[4:5], v[4:5], v[70:71]
	v_mul_f64 v[70:71], v[248:249], v[76:77]
	v_fma_f64 v[248:249], v[246:247], v[88:89], -v[70:71]
	ds_read_b128 v[70:73], v1 offset:1312
	ds_read_b128 v[78:81], v1 offset:1344
	s_waitcnt lgkmcnt(3)
	v_mul_f64 v[74:75], v[62:63], v[162:163]
	v_fmac_f64_e32 v[74:75], v[64:65], v[166:167]
	v_add_f64 v[4:5], v[4:5], v[74:75]
	s_waitcnt vmcnt(38) lgkmcnt(2)
	v_mul_f64 v[74:75], v[66:67], v[188:189]
	s_waitcnt vmcnt(36)
	v_fmac_f64_e32 v[74:75], v[68:69], v[190:191]
	v_add_f64 v[4:5], v[4:5], v[74:75]
	s_waitcnt lgkmcnt(1)
	v_mul_f64 v[74:75], v[70:71], v[170:171]
	v_fmac_f64_e32 v[74:75], v[72:73], v[174:175]
	v_add_f64 v[4:5], v[4:5], v[74:75]
	ds_read_b128 v[74:77], v1 offset:1328
	ds_read_b128 v[82:85], v1 offset:1360
	v_mul_f64 v[92:93], v[92:93], v[96:97]
	v_fma_f64 v[96:97], v[90:91], v[102:103], -v[92:93]
	v_add_f64 v[6:7], v[6:7], 0
	v_add_f64 v[6:7], v[6:7], v[56:57]
	;; [unrolled: 1-line block ×10, first 2 shown]
	v_mul_f64 v[6:7], v[128:129], v[136:137]
	v_fma_f64 v[6:7], v[126:127], v[140:141], -v[6:7]
	ds_read_b128 v[90:93], v1 offset:1392
	s_waitcnt vmcnt(25) lgkmcnt(1)
	v_mul_f64 v[98:99], v[82:83], v[214:215]
	s_waitcnt vmcnt(23)
	v_fmac_f64_e32 v[98:99], v[84:85], v[220:221]
	v_mul_f64 v[88:89], v[74:75], v[12:13]
	v_fmac_f64_e32 v[88:89], v[76:77], v[130:131]
	v_mul_f64 v[86:87], v[78:79], v[198:199]
	v_add_f64 v[4:5], v[4:5], v[88:89]
	v_fmac_f64_e32 v[86:87], v[80:81], v[212:213]
	v_add_f64 v[4:5], v[4:5], v[86:87]
	ds_read_b128 v[86:89], v1 offset:1376
	v_add_f64 v[4:5], v[4:5], v[98:99]
	s_waitcnt vmcnt(18) lgkmcnt(1)
	v_mul_f64 v[102:103], v[90:91], v[216:217]
	s_waitcnt vmcnt(16)
	v_fmac_f64_e32 v[102:103], v[92:93], v[222:223]
	s_waitcnt lgkmcnt(0)
	v_mul_f64 v[98:99], v[86:87], v[196:197]
	v_fmac_f64_e32 v[98:99], v[88:89], v[218:219]
	v_add_f64 v[4:5], v[4:5], v[98:99]
	v_mul_f64 v[98:99], v[120:121], v[108:109]
	v_fma_f64 v[120:121], v[118:119], v[236:237], -v[98:99]
	ds_read_b128 v[98:101], v1 offset:1408
	ds_read_b128 v[234:237], v1 offset:1424
	v_add_f64 v[4:5], v[4:5], v[102:103]
	v_mul_f64 v[102:103], v[226:227], v[104:105]
	v_fma_f64 v[224:225], v[224:225], v[106:107], -v[102:103]
	ds_read_b128 v[102:105], v1 offset:1440
	s_waitcnt vmcnt(13) lgkmcnt(2)
	v_mul_f64 v[106:107], v[98:99], v[206:207]
	s_waitcnt vmcnt(12)
	v_fmac_f64_e32 v[106:107], v[100:101], v[228:229]
	v_add_f64 v[4:5], v[4:5], v[106:107]
	s_waitcnt vmcnt(9) lgkmcnt(1)
	v_mul_f64 v[106:107], v[234:235], v[230:231]
	s_waitcnt vmcnt(7)
	v_fmac_f64_e32 v[106:107], v[236:237], v[232:233]
	v_add_f64 v[4:5], v[4:5], v[106:107]
	;; [unrolled: 5-line block ×3, first 2 shown]
	ds_read_b128 v[106:109], v1 offset:1456
	buffer_load_dword v238, off, s[0:3], 0 offset:744
	buffer_load_dword v239, off, s[0:3], 0 offset:748
	buffer_load_dword v240, off, s[0:3], 0 offset:736
	buffer_load_dword v241, off, s[0:3], 0 offset:740
	s_waitcnt vmcnt(6) lgkmcnt(0)
	v_mul_f64 v[110:111], v[106:107], v[208:209]
	s_waitcnt vmcnt(4)
	v_fmac_f64_e32 v[110:111], v[108:109], v[210:211]
	v_add_f64 v[4:5], v[4:5], v[110:111]
	ds_read_b128 v[110:113], v1 offset:1472
	buffer_load_dword v245, off, s[0:3], 0 offset:764
	buffer_load_dword v244, off, s[0:3], 0 offset:760
	;; [unrolled: 1-line block ×4, first 2 shown]
	s_waitcnt vmcnt(6) lgkmcnt(0)
	v_mul_f64 v[114:115], v[110:111], v[238:239]
	s_waitcnt vmcnt(4)
	v_fmac_f64_e32 v[114:115], v[112:113], v[240:241]
	v_add_f64 v[4:5], v[4:5], v[114:115]
	ds_read_b128 v[114:117], v1 offset:1488
	buffer_load_dword v250, off, s[0:3], 0 offset:80
	buffer_load_dword v251, off, s[0:3], 0 offset:84
	buffer_load_dword v248, off, s[0:3], 0 offset:88
	buffer_load_dword v249, off, s[0:3], 0 offset:92
	v_accvgpr_read_b32 v0, a142
	v_accvgpr_read_b32 v1, a143
	s_waitcnt vmcnt(6) lgkmcnt(0)
	v_mul_f64 v[118:119], v[114:115], v[244:245]
	s_waitcnt vmcnt(4)
	v_fmac_f64_e32 v[118:119], v[116:117], v[246:247]
	v_add_f64 v[4:5], v[4:5], v[118:119]
	v_add_f64 v[118:119], v[2:3], v[96:97]
	;; [unrolled: 1-line block ×5, first 2 shown]
	v_mul_f64 v[6:7], v[194:195], v[0:1]
	v_accvgpr_read_b32 v0, a144
	v_accvgpr_read_b32 v1, a145
	v_fma_f64 v[6:7], v[192:193], v[0:1], -v[6:7]
	v_add_f64 v[2:3], v[2:3], v[6:7]
	v_mul_f64 v[6:7], v[124:125], v[144:145]
	v_accvgpr_read_b32 v0, a146
	v_fma_f64 v[6:7], v[122:123], v[148:149], -v[6:7]
	v_accvgpr_read_b32 v1, a147
	v_add_f64 v[2:3], v[2:3], v[6:7]
	v_mul_f64 v[6:7], v[16:17], v[0:1]
	v_accvgpr_read_b32 v0, a148
	v_accvgpr_read_b32 v1, a149
	v_fma_f64 v[6:7], v[14:15], v[0:1], -v[6:7]
	v_add_f64 v[2:3], v[2:3], v[6:7]
	v_mul_f64 v[6:7], v[20:21], v[152:153]
	v_fma_f64 v[6:7], v[18:19], v[156:157], -v[6:7]
	v_accvgpr_read_b32 v0, a150
	v_add_f64 v[2:3], v[2:3], v[6:7]
	v_mul_f64 v[6:7], v[24:25], v[254:255]
	v_accvgpr_read_b32 v1, a151
	v_fma_f64 v[6:7], v[22:23], v[0:1], -v[6:7]
	v_add_f64 v[2:3], v[2:3], v[6:7]
	v_mul_f64 v[6:7], v[28:29], v[160:161]
	v_fma_f64 v[6:7], v[26:27], v[164:165], -v[6:7]
	v_add_f64 v[2:3], v[2:3], v[6:7]
	v_mul_f64 v[6:7], v[32:33], v[132:133]
	;; [unrolled: 3-line block ×23, first 2 shown]
	v_fma_f64 v[6:7], v[114:115], v[246:247], -v[6:7]
	v_add_f64 v[2:3], v[2:3], v[6:7]
	v_accvgpr_read_b32 v0, a140
	s_waitcnt vmcnt(2)
	v_add_f64 v[2:3], v[250:251], -v[2:3]
	v_cmp_lt_u32_e32 vcc, 3, v0
	s_waitcnt vmcnt(0)
	v_add_f64 v[4:5], v[248:249], -v[4:5]
	buffer_store_dword v3, off, s[0:3], 0 offset:84
	buffer_store_dword v2, off, s[0:3], 0 offset:80
	;; [unrolled: 1-line block ×4, first 2 shown]
	s_and_saveexec_b64 s[4:5], vcc
	s_cbranch_execz .LBB110_289
; %bb.288:
	v_accvgpr_read_b32 v0, a137
	buffer_load_dword v2, v0, s[0:3], 0 offen
	buffer_load_dword v3, v0, s[0:3], 0 offen offset:4
	buffer_load_dword v4, v0, s[0:3], 0 offen offset:8
	;; [unrolled: 1-line block ×3, first 2 shown]
	v_mov_b32_e32 v0, 0
	v_accvgpr_read_b32 v1, a141
	buffer_store_dword v0, off, s[0:3], 0 offset:64
	buffer_store_dword v0, off, s[0:3], 0 offset:68
	;; [unrolled: 1-line block ×4, first 2 shown]
	s_waitcnt vmcnt(4)
	ds_write_b128 v1, v[2:5]
.LBB110_289:
	s_or_b64 exec, exec, s[4:5]
	s_waitcnt lgkmcnt(0)
	; wave barrier
	s_waitcnt lgkmcnt(0)
	buffer_load_dword v50, off, s[0:3], 0 offset:80
	buffer_load_dword v51, off, s[0:3], 0 offset:84
	;; [unrolled: 1-line block ×54, first 2 shown]
	v_mov_b32_e32 v1, 0
	ds_read_b128 v[102:105], v1 offset:816
	ds_read_b128 v[106:109], v1 offset:832
	;; [unrolled: 1-line block ×9, first 2 shown]
	v_accvgpr_read_b32 v0, a140
	v_cmp_lt_u32_e32 vcc, 2, v0
	s_waitcnt vmcnt(46) lgkmcnt(7)
	v_mul_f64 v[4:5], v[106:107], v[58:59]
	v_fmac_f64_e32 v[4:5], v[108:109], v[52:53]
	s_waitcnt vmcnt(44) lgkmcnt(6)
	v_mul_f64 v[6:7], v[110:111], v[216:217]
	s_waitcnt vmcnt(42) lgkmcnt(4)
	v_mul_f64 v[10:11], v[200:201], v[220:221]
	s_waitcnt vmcnt(40)
	v_fmac_f64_e32 v[10:11], v[202:203], v[60:61]
	s_waitcnt vmcnt(38)
	v_mul_f64 v[8:9], v[114:115], v[64:65]
	s_waitcnt vmcnt(36) lgkmcnt(2)
	v_mul_f64 v[14:15], v[208:209], v[66:67]
	v_mul_f64 v[66:67], v[210:211], v[66:67]
	s_waitcnt vmcnt(34)
	v_fmac_f64_e32 v[14:15], v[210:211], v[70:71]
	s_waitcnt vmcnt(32)
	v_mul_f64 v[12:13], v[204:205], v[76:77]
	s_waitcnt vmcnt(30) lgkmcnt(1)
	v_mul_f64 v[16:17], v[236:237], v[68:69]
	s_waitcnt vmcnt(28)
	v_fmac_f64_e32 v[6:7], v[112:113], v[82:83]
	s_waitcnt vmcnt(26)
	v_fmac_f64_e32 v[8:9], v[116:117], v[80:81]
	;; [unrolled: 2-line block ×4, first 2 shown]
	s_waitcnt vmcnt(0)
	v_pk_mov_b32 v[18:19], v[2:3], v[2:3] op_sel:[0,1]
	v_mul_f64 v[2:3], v[102:103], v[212:213]
	v_fmac_f64_e32 v[2:3], v[104:105], v[50:51]
	v_add_f64 v[2:3], v[2:3], 0
	v_add_f64 v[2:3], v[2:3], v[4:5]
	buffer_load_dword v5, off, s[0:3], 0 offset:308
	buffer_load_dword v4, off, s[0:3], 0 offset:304
	v_add_f64 v[2:3], v[2:3], v[6:7]
	v_add_f64 v[2:3], v[2:3], v[8:9]
	;; [unrolled: 1-line block ×6, first 2 shown]
	v_accvgpr_write_b32 a143, v19
	v_accvgpr_write_b32 a142, v18
	s_waitcnt vmcnt(0)
	v_pk_mov_b32 v[14:15], v[4:5], v[4:5] op_sel:[0,1]
	buffer_load_dword v63, off, s[0:3], 0 offset:300
	buffer_load_dword v62, off, s[0:3], 0 offset:296
	;; [unrolled: 1-line block ×6, first 2 shown]
	v_accvgpr_write_b32 a145, v15
	v_accvgpr_write_b32 a144, v14
	s_waitcnt vmcnt(0)
	v_pk_mov_b32 v[22:23], v[4:5], v[4:5] op_sel:[0,1]
	buffer_load_dword v5, off, s[0:3], 0 offset:340
	buffer_load_dword v4, off, s[0:3], 0 offset:336
	v_accvgpr_write_b32 a147, v23
	v_accvgpr_write_b32 a146, v22
	s_waitcnt vmcnt(0)
	v_pk_mov_b32 v[24:25], v[4:5], v[4:5] op_sel:[0,1]
	buffer_load_dword v141, off, s[0:3], 0 offset:332
	buffer_load_dword v140, off, s[0:3], 0 offset:328
	;; [unrolled: 1-line block ×52, first 2 shown]
	ds_read_b128 v[244:247], v1 offset:960
	ds_read_b128 v[248:251], v1 offset:976
	;; [unrolled: 1-line block ×7, first 2 shown]
	v_accvgpr_write_b32 a149, v25
	v_accvgpr_write_b32 a148, v24
	s_waitcnt lgkmcnt(2)
	v_mul_f64 v[8:9], v[54:55], v[62:63]
	v_fmac_f64_e32 v[8:9], v[56:57], v[222:223]
	s_waitcnt lgkmcnt(1)
	v_mul_f64 v[12:13], v[126:127], v[18:19]
	v_fmac_f64_e32 v[12:13], v[128:129], v[14:15]
	v_mul_f64 v[56:57], v[56:57], v[62:63]
	s_waitcnt vmcnt(46)
	v_pk_mov_b32 v[30:31], v[4:5], v[4:5] op_sel:[0,1]
	v_mul_f64 v[4:5], v[240:241], v[74:75]
	v_fmac_f64_e32 v[4:5], v[242:243], v[84:85]
	v_add_f64 v[2:3], v[2:3], v[4:5]
	v_mul_f64 v[4:5], v[244:245], v[90:91]
	v_fmac_f64_e32 v[4:5], v[246:247], v[92:93]
	v_add_f64 v[2:3], v[2:3], v[4:5]
	;; [unrolled: 3-line block ×5, first 2 shown]
	v_add_f64 v[10:11], v[6:7], v[8:9]
	v_add_f64 v[14:15], v[10:11], v[12:13]
	ds_read_b128 v[10:13], v1 offset:1072
	s_waitcnt lgkmcnt(1)
	v_mul_f64 v[16:17], v[122:123], v[140:141]
	v_fmac_f64_e32 v[16:17], v[124:125], v[144:145]
	v_add_f64 v[18:19], v[14:15], v[16:17]
	ds_read_b128 v[14:17], v1 offset:1088
	s_waitcnt lgkmcnt(1)
	v_mul_f64 v[20:21], v[10:11], v[22:23]
	v_fmac_f64_e32 v[20:21], v[12:13], v[24:25]
	v_add_f64 v[22:23], v[18:19], v[20:21]
	ds_read_b128 v[18:21], v1 offset:1104
	s_waitcnt vmcnt(42) lgkmcnt(1)
	v_mul_f64 v[24:25], v[14:15], v[148:149]
	s_waitcnt vmcnt(40)
	v_fmac_f64_e32 v[24:25], v[16:17], v[152:153]
	v_add_f64 v[26:27], v[22:23], v[24:25]
	ds_read_b128 v[22:25], v1 offset:1120
	s_waitcnt lgkmcnt(1)
	v_mul_f64 v[28:29], v[18:19], v[30:31]
	v_accvgpr_write_b32 a151, v31
	v_fmac_f64_e32 v[28:29], v[20:21], v[130:131]
	v_accvgpr_write_b32 a150, v30
	v_add_f64 v[30:31], v[26:27], v[28:29]
	ds_read_b128 v[26:29], v1 offset:1136
	s_waitcnt vmcnt(34) lgkmcnt(1)
	v_mul_f64 v[32:33], v[22:23], v[156:157]
	s_waitcnt vmcnt(32)
	v_fmac_f64_e32 v[32:33], v[24:25], v[160:161]
	v_add_f64 v[34:35], v[30:31], v[32:33]
	ds_read_b128 v[30:33], v1 offset:1152
	s_waitcnt lgkmcnt(1)
	v_mul_f64 v[36:37], v[26:27], v[132:133]
	v_fmac_f64_e32 v[36:37], v[28:29], v[134:135]
	v_add_f64 v[38:39], v[34:35], v[36:37]
	ds_read_b128 v[34:37], v1 offset:1168
	s_waitcnt vmcnt(26) lgkmcnt(1)
	v_mul_f64 v[40:41], v[30:31], v[164:165]
	s_waitcnt vmcnt(24)
	v_fmac_f64_e32 v[40:41], v[32:33], v[166:167]
	v_add_f64 v[42:43], v[38:39], v[40:41]
	ds_read_b128 v[38:41], v1 offset:1184
	s_waitcnt lgkmcnt(1)
	v_mul_f64 v[44:45], v[34:35], v[136:137]
	v_fmac_f64_e32 v[44:45], v[36:37], v[138:139]
	v_add_f64 v[46:47], v[42:43], v[44:45]
	ds_read_b128 v[42:45], v1 offset:1200
	buffer_load_dword v181, off, s[0:3], 0 offset:572
	buffer_load_dword v183, off, s[0:3], 0 offset:556
	;; [unrolled: 1-line block ×8, first 2 shown]
	s_waitcnt vmcnt(26) lgkmcnt(1)
	v_mul_f64 v[48:49], v[38:39], v[168:169]
	s_waitcnt vmcnt(24)
	v_fmac_f64_e32 v[48:49], v[40:41], v[170:171]
	v_add_f64 v[192:193], v[46:47], v[48:49]
	ds_read_b128 v[46:49], v1 offset:1216
	buffer_load_dword v189, off, s[0:3], 0 offset:588
	buffer_load_dword v188, off, s[0:3], 0 offset:584
	;; [unrolled: 1-line block ×4, first 2 shown]
	s_waitcnt lgkmcnt(1)
	v_mul_f64 v[194:195], v[42:43], v[142:143]
	v_fmac_f64_e32 v[194:195], v[44:45], v[146:147]
	v_add_f64 v[2:3], v[192:193], v[194:195]
	buffer_load_dword v193, off, s[0:3], 0 offset:604
	buffer_load_dword v192, off, s[0:3], 0 offset:600
	;; [unrolled: 1-line block ×8, first 2 shown]
	v_mul_f64 v[4:5], v[104:105], v[212:213]
	buffer_load_dword v212, off, s[0:3], 0 offset:632
	buffer_load_dword v214, off, s[0:3], 0 offset:624
	;; [unrolled: 1-line block ×4, first 2 shown]
	v_fma_f64 v[4:5], v[102:103], v[50:51], -v[4:5]
	v_mul_f64 v[50:51], v[108:109], v[58:59]
	v_fma_f64 v[102:103], v[106:107], v[52:53], -v[50:51]
	v_mul_f64 v[50:51], v[112:113], v[216:217]
	buffer_load_dword v217, off, s[0:3], 0 offset:652
	buffer_load_dword v216, off, s[0:3], 0 offset:648
	buffer_load_dword v219, off, s[0:3], 0 offset:644
	buffer_load_dword v218, off, s[0:3], 0 offset:640
	v_fma_f64 v[104:105], v[110:111], v[82:83], -v[50:51]
	v_mul_f64 v[50:51], v[116:117], v[64:65]
	buffer_load_dword v65, off, s[0:3], 0 offset:668
	buffer_load_dword v64, off, s[0:3], 0 offset:664
	buffer_load_dword v225, off, s[0:3], 0 offset:660
	buffer_load_dword v224, off, s[0:3], 0 offset:656
	;; [unrolled: 6-line block ×3, first 2 shown]
	buffer_load_dword v232, off, s[0:3], 0 offset:672
	buffer_load_dword v220, off, s[0:3], 0 offset:696
	;; [unrolled: 1-line block ×8, first 2 shown]
	v_fma_f64 v[108:109], v[200:201], v[60:61], -v[50:51]
	ds_read_b128 v[50:53], v1 offset:1232
	v_mul_f64 v[60:61], v[206:207], v[76:77]
	v_fma_f64 v[202:203], v[204:205], v[78:79], -v[60:61]
	ds_read_b128 v[204:207], v1 offset:1248
	s_waitcnt vmcnt(54) lgkmcnt(2)
	v_mul_f64 v[58:59], v[46:47], v[172:173]
	s_waitcnt vmcnt(52)
	v_fmac_f64_e32 v[58:59], v[48:49], v[174:175]
	v_add_f64 v[2:3], v[2:3], v[58:59]
	s_waitcnt lgkmcnt(1)
	v_mul_f64 v[58:59], v[50:51], v[150:151]
	v_fmac_f64_e32 v[58:59], v[52:53], v[154:155]
	v_add_f64 v[2:3], v[2:3], v[58:59]
	s_waitcnt vmcnt(46) lgkmcnt(0)
	v_mul_f64 v[58:59], v[204:205], v[176:177]
	s_waitcnt vmcnt(44)
	v_fmac_f64_e32 v[58:59], v[206:207], v[178:179]
	v_add_f64 v[2:3], v[2:3], v[58:59]
	ds_read_b128 v[58:61], v1 offset:1264
	v_fma_f64 v[200:201], v[208:209], v[70:71], -v[66:67]
	ds_read_b128 v[208:211], v1 offset:1280
	v_mul_f64 v[66:67], v[238:239], v[68:69]
	v_fma_f64 v[236:237], v[236:237], v[72:73], -v[66:67]
	ds_read_b128 v[66:69], v1 offset:1296
	s_waitcnt lgkmcnt(2)
	v_mul_f64 v[70:71], v[58:59], v[158:159]
	v_fmac_f64_e32 v[70:71], v[60:61], v[162:163]
	v_add_f64 v[2:3], v[2:3], v[70:71]
	v_mul_f64 v[74:75], v[242:243], v[74:75]
	v_fma_f64 v[242:243], v[240:241], v[84:85], -v[74:75]
	ds_read_b128 v[74:77], v1 offset:1328
	v_mul_f64 v[78:79], v[246:247], v[90:91]
	v_fma_f64 v[238:239], v[244:245], v[92:93], -v[78:79]
	v_mul_f64 v[86:87], v[250:251], v[86:87]
	v_fma_f64 v[248:249], v[248:249], v[88:89], -v[86:87]
	v_mul_f64 v[94:95], v[120:121], v[94:95]
	buffer_load_dword v6, off, s[0:3], 0 offset:728
	v_add_f64 v[4:5], v[4:5], 0
	v_add_f64 v[4:5], v[4:5], v[102:103]
	;; [unrolled: 1-line block ×4, first 2 shown]
	ds_read_b128 v[78:81], v1 offset:1344
	v_add_f64 v[4:5], v[4:5], v[108:109]
	v_add_f64 v[4:5], v[4:5], v[202:203]
	v_add_f64 v[4:5], v[4:5], v[200:201]
	v_add_f64 v[4:5], v[4:5], v[236:237]
	v_add_f64 v[4:5], v[4:5], v[242:243]
	v_add_f64 v[4:5], v[4:5], v[238:239]
	v_add_f64 v[4:5], v[4:5], v[248:249]
	ds_read_b128 v[86:89], v1 offset:1376
	s_waitcnt vmcnt(42) lgkmcnt(4)
	v_mul_f64 v[70:71], v[208:209], v[182:183]
	s_waitcnt vmcnt(40)
	v_fmac_f64_e32 v[70:71], v[210:211], v[186:187]
	v_add_f64 v[2:3], v[2:3], v[70:71]
	s_waitcnt vmcnt(39) lgkmcnt(3)
	v_mul_f64 v[70:71], v[66:67], v[180:181]
	s_waitcnt vmcnt(37)
	v_fmac_f64_e32 v[70:71], v[68:69], v[184:185]
	v_add_f64 v[2:3], v[2:3], v[70:71]
	ds_read_b128 v[70:73], v1 offset:1312
	s_waitcnt vmcnt(35) lgkmcnt(0)
	v_mul_f64 v[82:83], v[70:71], v[188:189]
	s_waitcnt vmcnt(33)
	v_fmac_f64_e32 v[82:83], v[72:73], v[190:191]
	v_add_f64 v[2:3], v[2:3], v[82:83]
	s_waitcnt vmcnt(31)
	v_mul_f64 v[82:83], v[74:75], v[192:193]
	s_waitcnt vmcnt(29)
	v_fmac_f64_e32 v[82:83], v[76:77], v[196:197]
	v_add_f64 v[2:3], v[2:3], v[82:83]
	s_waitcnt vmcnt(27)
	v_mul_f64 v[82:83], v[78:79], v[194:195]
	s_waitcnt vmcnt(25)
	v_fmac_f64_e32 v[82:83], v[80:81], v[198:199]
	v_add_f64 v[2:3], v[2:3], v[82:83]
	ds_read_b128 v[82:85], v1 offset:1360
	s_waitcnt vmcnt(22) lgkmcnt(0)
	v_mul_f64 v[90:91], v[82:83], v[212:213]
	s_waitcnt vmcnt(21)
	v_fmac_f64_e32 v[90:91], v[84:85], v[214:215]
	v_add_f64 v[110:111], v[2:3], v[90:91]
	v_mul_f64 v[90:91], v[254:255], v[98:99]
	v_fma_f64 v[250:251], v[252:253], v[100:101], -v[90:91]
	ds_read_b128 v[90:93], v1 offset:1392
	s_waitcnt vmcnt(19)
	v_mul_f64 v[98:99], v[86:87], v[216:217]
	s_waitcnt vmcnt(17)
	v_fmac_f64_e32 v[98:99], v[88:89], v[218:219]
	v_fma_f64 v[2:3], v[118:119], v[96:97], -v[94:95]
	ds_read_b128 v[94:97], v1 offset:1408
	s_waitcnt vmcnt(15) lgkmcnt(1)
	v_mul_f64 v[8:9], v[90:91], v[64:65]
	v_add_f64 v[98:99], v[110:111], v[98:99]
	s_waitcnt vmcnt(13)
	v_fmac_f64_e32 v[8:9], v[92:93], v[224:225]
	v_add_f64 v[8:9], v[98:99], v[8:9]
	ds_read_b128 v[98:101], v1 offset:1424
	v_fma_f64 v[252:253], v[54:55], v[222:223], -v[56:57]
	ds_read_b128 v[54:57], v1 offset:1440
	s_waitcnt vmcnt(10) lgkmcnt(2)
	v_mul_f64 v[62:63], v[94:95], v[226:227]
	s_waitcnt vmcnt(8)
	v_fmac_f64_e32 v[62:63], v[96:97], v[232:233]
	v_add_f64 v[8:9], v[8:9], v[62:63]
	s_waitcnt vmcnt(7) lgkmcnt(1)
	v_mul_f64 v[62:63], v[98:99], v[220:221]
	s_waitcnt vmcnt(5)
	v_fmac_f64_e32 v[62:63], v[100:101], v[230:231]
	v_add_f64 v[8:9], v[8:9], v[62:63]
	;; [unrolled: 5-line block ×3, first 2 shown]
	buffer_load_dword v62, off, s[0:3], 0 offset:720
	buffer_load_dword v7, off, s[0:3], 0 offset:732
	;; [unrolled: 1-line block ×3, first 2 shown]
	ds_read_b128 v[118:121], v1 offset:1456
	buffer_load_dword v255, off, s[0:3], 0 offset:748
	buffer_load_dword v254, off, s[0:3], 0 offset:744
	;; [unrolled: 1-line block ×4, first 2 shown]
	v_add_f64 v[4:5], v[4:5], v[250:251]
	v_add_f64 v[202:203], v[4:5], v[2:3]
	v_accvgpr_read_b32 v4, a142
	v_accvgpr_read_b32 v5, a143
	v_mul_f64 v[4:5], v[128:129], v[4:5]
	v_add_f64 v[2:3], v[202:203], v[252:253]
	s_waitcnt vmcnt(5) lgkmcnt(0)
	v_mul_f64 v[110:111], v[118:119], v[6:7]
	s_waitcnt vmcnt(4)
	v_fmac_f64_e32 v[110:111], v[120:121], v[62:63]
	v_add_f64 v[8:9], v[8:9], v[110:111]
	ds_read_b128 v[110:113], v1 offset:1472
	buffer_load_dword v244, off, s[0:3], 0 offset:760
	buffer_load_dword v245, off, s[0:3], 0 offset:764
	;; [unrolled: 1-line block ×4, first 2 shown]
	s_waitcnt vmcnt(6) lgkmcnt(0)
	v_mul_f64 v[114:115], v[110:111], v[254:255]
	s_waitcnt vmcnt(4)
	v_fmac_f64_e32 v[114:115], v[112:113], v[240:241]
	v_add_f64 v[8:9], v[8:9], v[114:115]
	ds_read_b128 v[114:117], v1 offset:1488
	buffer_load_dword v250, off, s[0:3], 0 offset:64
	buffer_load_dword v251, off, s[0:3], 0 offset:68
	;; [unrolled: 1-line block ×4, first 2 shown]
	s_waitcnt vmcnt(6) lgkmcnt(0)
	v_mul_f64 v[222:223], v[114:115], v[244:245]
	s_waitcnt vmcnt(4)
	v_fmac_f64_e32 v[222:223], v[116:117], v[246:247]
	v_add_f64 v[222:223], v[8:9], v[222:223]
	v_accvgpr_read_b32 v8, a144
	v_accvgpr_read_b32 v9, a145
	v_fma_f64 v[4:5], v[126:127], v[8:9], -v[4:5]
	v_add_f64 v[2:3], v[2:3], v[4:5]
	v_mul_f64 v[4:5], v[124:125], v[140:141]
	v_fma_f64 v[4:5], v[122:123], v[144:145], -v[4:5]
	v_add_f64 v[2:3], v[2:3], v[4:5]
	v_accvgpr_read_b32 v4, a146
	v_accvgpr_read_b32 v5, a147
	v_accvgpr_read_b32 v8, a148
	v_mul_f64 v[4:5], v[12:13], v[4:5]
	v_accvgpr_read_b32 v9, a149
	v_fma_f64 v[4:5], v[10:11], v[8:9], -v[4:5]
	v_add_f64 v[2:3], v[2:3], v[4:5]
	v_mul_f64 v[4:5], v[16:17], v[148:149]
	v_fma_f64 v[4:5], v[14:15], v[152:153], -v[4:5]
	v_add_f64 v[2:3], v[2:3], v[4:5]
	v_accvgpr_read_b32 v4, a150
	v_accvgpr_read_b32 v5, a151
	v_mul_f64 v[4:5], v[20:21], v[4:5]
	v_fma_f64 v[4:5], v[18:19], v[130:131], -v[4:5]
	v_add_f64 v[2:3], v[2:3], v[4:5]
	v_mul_f64 v[4:5], v[24:25], v[156:157]
	v_fma_f64 v[4:5], v[22:23], v[160:161], -v[4:5]
	v_add_f64 v[2:3], v[2:3], v[4:5]
	;; [unrolled: 3-line block ×25, first 2 shown]
	s_waitcnt vmcnt(2)
	v_add_f64 v[2:3], v[250:251], -v[2:3]
	s_waitcnt vmcnt(0)
	v_add_f64 v[4:5], v[248:249], -v[222:223]
	buffer_store_dword v3, off, s[0:3], 0 offset:68
	buffer_store_dword v2, off, s[0:3], 0 offset:64
	;; [unrolled: 1-line block ×4, first 2 shown]
	s_and_saveexec_b64 s[4:5], vcc
	s_cbranch_execz .LBB110_291
; %bb.290:
	v_accvgpr_read_b32 v0, a138
	buffer_load_dword v2, v0, s[0:3], 0 offen
	buffer_load_dword v3, v0, s[0:3], 0 offen offset:4
	buffer_load_dword v4, v0, s[0:3], 0 offen offset:8
	;; [unrolled: 1-line block ×3, first 2 shown]
	v_accvgpr_read_b32 v0, a141
	buffer_store_dword v1, off, s[0:3], 0 offset:48
	buffer_store_dword v1, off, s[0:3], 0 offset:52
	;; [unrolled: 1-line block ×4, first 2 shown]
	s_waitcnt vmcnt(4)
	ds_write_b128 v0, v[2:5]
.LBB110_291:
	s_or_b64 exec, exec, s[4:5]
	s_waitcnt lgkmcnt(0)
	; wave barrier
	s_waitcnt lgkmcnt(0)
	buffer_load_dword v186, off, s[0:3], 0 offset:64
	buffer_load_dword v187, off, s[0:3], 0 offset:68
	;; [unrolled: 1-line block ×36, first 2 shown]
	ds_read_b128 v[82:85], v1 offset:800
	ds_read_b128 v[78:81], v1 offset:816
	;; [unrolled: 1-line block ×9, first 2 shown]
	buffer_load_dword v201, off, s[0:3], 0 offset:236
	buffer_load_dword v200, off, s[0:3], 0 offset:232
	;; [unrolled: 1-line block ×19, first 2 shown]
	s_waitcnt vmcnt(51) lgkmcnt(8)
	v_mul_f64 v[2:3], v[82:83], v[194:195]
	v_fmac_f64_e32 v[2:3], v[84:85], v[186:187]
	v_add_f64 v[2:3], v[2:3], 0
	s_waitcnt vmcnt(47) lgkmcnt(7)
	v_mul_f64 v[4:5], v[78:79], v[214:215]
	v_fmac_f64_e32 v[4:5], v[80:81], v[212:213]
	v_add_f64 v[2:3], v[2:3], v[4:5]
	buffer_load_dword v246, off, s[0:3], 0 offset:288
	buffer_load_dword v99, off, s[0:3], 0 offset:284
	;; [unrolled: 1-line block ×7, first 2 shown]
	s_waitcnt vmcnt(52) lgkmcnt(6)
	v_mul_f64 v[6:7], v[74:75], v[216:217]
	s_waitcnt vmcnt(50) lgkmcnt(4)
	v_mul_f64 v[10:11], v[62:63], v[228:229]
	s_waitcnt vmcnt(48)
	v_fmac_f64_e32 v[10:11], v[64:65], v[230:231]
	v_mul_f64 v[80:81], v[80:81], v[214:215]
	s_waitcnt vmcnt(46)
	v_mul_f64 v[8:9], v[70:71], v[218:219]
	v_fma_f64 v[78:79], v[78:79], v[212:213], -v[80:81]
	s_waitcnt vmcnt(44) lgkmcnt(2)
	v_mul_f64 v[14:15], v[54:55], v[104:105]
	v_mul_f64 v[64:65], v[64:65], v[228:229]
	s_waitcnt vmcnt(42)
	v_fmac_f64_e32 v[14:15], v[56:57], v[108:109]
	v_mul_f64 v[56:57], v[56:57], v[104:105]
	s_waitcnt vmcnt(40)
	v_mul_f64 v[12:13], v[50:51], v[112:113]
	v_fma_f64 v[104:105], v[54:55], v[108:109], -v[56:57]
	s_waitcnt vmcnt(38) lgkmcnt(1)
	v_mul_f64 v[16:17], v[58:59], v[106:107]
	s_waitcnt vmcnt(36)
	v_fmac_f64_e32 v[6:7], v[76:77], v[196:197]
	v_add_f64 v[2:3], v[2:3], v[6:7]
	s_waitcnt vmcnt(34)
	v_fmac_f64_e32 v[8:9], v[72:73], v[116:117]
	v_add_f64 v[2:3], v[2:3], v[8:9]
	;; [unrolled: 3-line block ×3, first 2 shown]
	v_add_f64 v[2:3], v[2:3], v[12:13]
	s_waitcnt vmcnt(30)
	v_fmac_f64_e32 v[16:17], v[60:61], v[110:111]
	v_add_f64 v[2:3], v[2:3], v[14:15]
	v_add_f64 v[2:3], v[2:3], v[16:17]
	v_mul_f64 v[76:77], v[76:77], v[216:217]
	v_mul_f64 v[72:73], v[72:73], v[218:219]
	;; [unrolled: 1-line block ×3, first 2 shown]
	v_fma_f64 v[80:81], v[74:75], v[196:197], -v[76:77]
	v_fma_f64 v[196:197], v[50:51], v[114:115], -v[52:53]
	v_mul_f64 v[60:61], v[60:61], v[106:107]
	s_waitcnt vmcnt(0)
	v_pk_mov_b32 v[18:19], v[4:5], v[4:5] op_sel:[0,1]
	buffer_load_dword v5, off, s[0:3], 0 offset:324
	buffer_load_dword v4, off, s[0:3], 0 offset:320
	v_accvgpr_write_b32 a143, v19
	v_accvgpr_write_b32 a142, v18
	s_waitcnt vmcnt(0)
	v_pk_mov_b32 v[20:21], v[4:5], v[4:5] op_sel:[0,1]
	buffer_load_dword v137, off, s[0:3], 0 offset:316
	buffer_load_dword v136, off, s[0:3], 0 offset:312
	;; [unrolled: 1-line block ×6, first 2 shown]
	v_accvgpr_write_b32 a145, v21
	v_accvgpr_write_b32 a144, v20
	s_waitcnt vmcnt(0)
	v_pk_mov_b32 v[26:27], v[4:5], v[4:5] op_sel:[0,1]
	buffer_load_dword v5, off, s[0:3], 0 offset:356
	buffer_load_dword v4, off, s[0:3], 0 offset:352
	v_accvgpr_write_b32 a147, v27
	v_accvgpr_write_b32 a146, v26
	s_waitcnt vmcnt(0)
	v_pk_mov_b32 v[28:29], v[4:5], v[4:5] op_sel:[0,1]
	buffer_load_dword v145, off, s[0:3], 0 offset:348
	buffer_load_dword v144, off, s[0:3], 0 offset:344
	;; [unrolled: 1-line block ×6, first 2 shown]
	v_accvgpr_write_b32 a149, v29
	v_accvgpr_write_b32 a148, v28
	s_waitcnt vmcnt(0)
	v_pk_mov_b32 v[34:35], v[4:5], v[4:5] op_sel:[0,1]
	buffer_load_dword v5, off, s[0:3], 0 offset:388
	buffer_load_dword v4, off, s[0:3], 0 offset:384
	v_accvgpr_write_b32 a151, v35
	v_accvgpr_write_b32 a150, v34
	s_waitcnt vmcnt(0)
	v_pk_mov_b32 v[36:37], v[4:5], v[4:5] op_sel:[0,1]
	buffer_load_dword v153, off, s[0:3], 0 offset:380
	buffer_load_dword v152, off, s[0:3], 0 offset:376
	;; [unrolled: 1-line block ×36, first 2 shown]
	ds_read_b128 v[204:207], v1 offset:944
	ds_read_b128 v[208:211], v1 offset:960
	;; [unrolled: 1-line block ×9, first 2 shown]
	v_accvgpr_write_b32 a153, v37
	s_waitcnt lgkmcnt(3)
	v_mul_f64 v[8:9], v[94:95], v[244:245]
	v_fmac_f64_e32 v[8:9], v[96:97], v[246:247]
	s_waitcnt lgkmcnt(2)
	v_mul_f64 v[12:13], v[130:131], v[136:137]
	v_fmac_f64_e32 v[12:13], v[132:133], v[140:141]
	;; [unrolled: 3-line block ×3, first 2 shown]
	v_accvgpr_write_b32 a152, v36
	v_mul_f64 v[106:107], v[210:211], v[200:201]
	v_mul_f64 v[96:97], v[96:97], v[244:245]
	s_waitcnt vmcnt(30)
	v_pk_mov_b32 v[42:43], v[4:5], v[4:5] op_sel:[0,1]
	v_mul_f64 v[4:5], v[66:67], v[102:103]
	v_fmac_f64_e32 v[4:5], v[68:69], v[198:199]
	v_add_f64 v[2:3], v[2:3], v[4:5]
	v_mul_f64 v[4:5], v[204:205], v[240:241]
	v_fmac_f64_e32 v[4:5], v[206:207], v[242:243]
	v_add_f64 v[2:3], v[2:3], v[4:5]
	;; [unrolled: 3-line block ×6, first 2 shown]
	v_add_f64 v[10:11], v[6:7], v[8:9]
	v_add_f64 v[14:15], v[10:11], v[12:13]
	v_add_f64 v[18:19], v[14:15], v[16:17]
	ds_read_b128 v[14:17], v1 offset:1088
	s_waitcnt lgkmcnt(1)
	v_mul_f64 v[20:21], v[122:123], v[144:145]
	v_fmac_f64_e32 v[20:21], v[124:125], v[148:149]
	v_add_f64 v[22:23], v[18:19], v[20:21]
	ds_read_b128 v[18:21], v1 offset:1104
	s_waitcnt lgkmcnt(1)
	v_mul_f64 v[24:25], v[14:15], v[26:27]
	v_fmac_f64_e32 v[24:25], v[16:17], v[28:29]
	v_add_f64 v[26:27], v[22:23], v[24:25]
	;; [unrolled: 5-line block ×4, first 2 shown]
	ds_read_b128 v[30:33], v1 offset:1152
	s_waitcnt vmcnt(26) lgkmcnt(1)
	v_mul_f64 v[36:37], v[26:27], v[160:161]
	s_waitcnt vmcnt(24)
	v_fmac_f64_e32 v[36:37], v[28:29], v[162:163]
	v_add_f64 v[38:39], v[34:35], v[36:37]
	ds_read_b128 v[34:37], v1 offset:1168
	s_waitcnt lgkmcnt(1)
	v_mul_f64 v[40:41], v[30:31], v[42:43]
	v_accvgpr_write_b32 a155, v43
	v_fmac_f64_e32 v[40:41], v[32:33], v[134:135]
	v_accvgpr_write_b32 a154, v42
	v_add_f64 v[42:43], v[38:39], v[40:41]
	ds_read_b128 v[38:41], v1 offset:1184
	s_waitcnt vmcnt(18) lgkmcnt(1)
	v_mul_f64 v[44:45], v[34:35], v[164:165]
	s_waitcnt vmcnt(16)
	v_fmac_f64_e32 v[44:45], v[36:37], v[166:167]
	v_add_f64 v[46:47], v[42:43], v[44:45]
	ds_read_b128 v[42:45], v1 offset:1200
	buffer_load_dword v177, off, s[0:3], 0 offset:540
	buffer_load_dword v176, off, s[0:3], 0 offset:536
	buffer_load_dword v179, off, s[0:3], 0 offset:532
	buffer_load_dword v178, off, s[0:3], 0 offset:528
	s_waitcnt lgkmcnt(1)
	v_mul_f64 v[48:49], v[38:39], v[138:139]
	v_fmac_f64_e32 v[48:49], v[40:41], v[142:143]
	v_add_f64 v[180:181], v[46:47], v[48:49]
	ds_read_b128 v[46:49], v1 offset:1216
	buffer_load_dword v183, off, s[0:3], 0 offset:556
	buffer_load_dword v182, off, s[0:3], 0 offset:552
	buffer_load_dword v185, off, s[0:3], 0 offset:548
	buffer_load_dword v184, off, s[0:3], 0 offset:544
	s_waitcnt vmcnt(18) lgkmcnt(1)
	v_mul_f64 v[188:189], v[42:43], v[168:169]
	s_waitcnt vmcnt(16)
	v_fmac_f64_e32 v[188:189], v[44:45], v[170:171]
	v_add_f64 v[2:3], v[180:181], v[188:189]
	buffer_load_dword v181, off, s[0:3], 0 offset:588
	buffer_load_dword v189, off, s[0:3], 0 offset:572
	;; [unrolled: 1-line block ×8, first 2 shown]
	v_mul_f64 v[4:5], v[84:85], v[194:195]
	v_fma_f64 v[10:11], v[82:83], v[186:187], -v[4:5]
	buffer_load_dword v186, off, s[0:3], 0 offset:616
	buffer_load_dword v195, off, s[0:3], 0 offset:604
	;; [unrolled: 1-line block ×20, first 2 shown]
	v_fma_f64 v[84:85], v[62:63], v[230:231], -v[64:65]
	buffer_load_dword v231, off, s[0:3], 0 offset:684
	buffer_load_dword v230, off, s[0:3], 0 offset:680
	;; [unrolled: 1-line block ×12, first 2 shown]
	s_waitcnt lgkmcnt(0)
	v_mul_f64 v[50:51], v[46:47], v[146:147]
	v_fmac_f64_e32 v[50:51], v[48:49], v[150:151]
	v_add_f64 v[2:3], v[2:3], v[50:51]
	ds_read_b128 v[50:53], v1 offset:1232
	ds_read_b128 v[54:57], v1 offset:1248
	v_fma_f64 v[6:7], v[58:59], v[110:111], -v[60:61]
	ds_read_b128 v[58:61], v1 offset:1264
	v_fma_f64 v[82:83], v[70:71], v[116:117], -v[72:73]
	s_waitcnt vmcnt(50) lgkmcnt(2)
	v_mul_f64 v[62:63], v[50:51], v[172:173]
	s_waitcnt vmcnt(48)
	v_fmac_f64_e32 v[62:63], v[52:53], v[174:175]
	s_waitcnt lgkmcnt(1)
	v_mul_f64 v[8:9], v[54:55], v[154:155]
	v_add_f64 v[2:3], v[2:3], v[62:63]
	ds_read_b128 v[62:65], v1 offset:1280
	v_fmac_f64_e32 v[8:9], v[56:57], v[158:159]
	v_add_f64 v[2:3], v[2:3], v[8:9]
	v_mul_f64 v[70:71], v[206:207], v[240:241]
	v_fma_f64 v[202:203], v[208:209], v[202:203], -v[106:107]
	ds_read_b128 v[208:211], v1 offset:1360
	v_mul_f64 v[92:93], v[92:93], v[98:99]
	v_add_f64 v[10:11], v[10:11], 0
	v_add_f64 v[10:11], v[10:11], v[78:79]
	v_add_f64 v[10:11], v[10:11], v[80:81]
	v_add_f64 v[10:11], v[10:11], v[82:83]
	v_add_f64 v[10:11], v[10:11], v[84:85]
	v_add_f64 v[10:11], v[10:11], v[196:197]
	v_add_f64 v[10:11], v[10:11], v[104:105]
	v_add_f64 v[6:7], v[10:11], v[6:7]
	s_waitcnt vmcnt(46) lgkmcnt(2)
	v_mul_f64 v[8:9], v[58:59], v[176:177]
	s_waitcnt vmcnt(44)
	v_fmac_f64_e32 v[8:9], v[60:61], v[178:179]
	v_add_f64 v[2:3], v[2:3], v[8:9]
	v_mul_f64 v[8:9], v[68:69], v[102:103]
	v_fma_f64 v[8:9], v[66:67], v[198:199], -v[8:9]
	ds_read_b128 v[66:69], v1 offset:1296
	v_fma_f64 v[102:103], v[204:205], v[242:243], -v[70:71]
	ds_read_b128 v[70:73], v1 offset:1312
	s_waitcnt vmcnt(42) lgkmcnt(3)
	v_mul_f64 v[74:75], v[62:63], v[182:183]
	s_waitcnt vmcnt(40)
	v_fmac_f64_e32 v[74:75], v[64:65], v[184:185]
	v_add_f64 v[2:3], v[2:3], v[74:75]
	s_waitcnt vmcnt(37) lgkmcnt(1)
	v_mul_f64 v[74:75], v[66:67], v[188:189]
	s_waitcnt vmcnt(35)
	v_fmac_f64_e32 v[74:75], v[68:69], v[192:193]
	v_add_f64 v[2:3], v[2:3], v[74:75]
	;; [unrolled: 5-line block ×3, first 2 shown]
	ds_read_b128 v[74:77], v1 offset:1328
	ds_read_b128 v[204:207], v1 offset:1344
	v_add_f64 v[6:7], v[6:7], v[8:9]
	v_add_f64 v[6:7], v[6:7], v[102:103]
	;; [unrolled: 1-line block ×3, first 2 shown]
	s_waitcnt vmcnt(29) lgkmcnt(1)
	v_mul_f64 v[106:107], v[74:75], v[194:195]
	s_waitcnt vmcnt(27)
	v_fmac_f64_e32 v[106:107], v[76:77], v[214:215]
	v_add_f64 v[2:3], v[2:3], v[106:107]
	v_mul_f64 v[106:107], v[120:121], v[252:253]
	s_waitcnt vmcnt(25) lgkmcnt(0)
	v_mul_f64 v[12:13], v[204:205], v[186:187]
	v_fma_f64 v[4:5], v[118:119], v[254:255], -v[106:107]
	s_waitcnt vmcnt(24)
	v_fmac_f64_e32 v[12:13], v[206:207], v[212:213]
	ds_read_b128 v[118:121], v1 offset:1376
	v_add_f64 v[2:3], v[2:3], v[12:13]
	v_mul_f64 v[12:13], v[88:89], v[248:249]
	v_fma_f64 v[12:13], v[86:87], v[250:251], -v[12:13]
	ds_read_b128 v[86:89], v1 offset:1392
	s_waitcnt vmcnt(21)
	v_mul_f64 v[106:107], v[208:209], v[218:219]
	s_waitcnt vmcnt(19)
	v_fmac_f64_e32 v[106:107], v[210:211], v[224:225]
	v_fma_f64 v[252:253], v[90:91], v[100:101], -v[92:93]
	ds_read_b128 v[98:101], v1 offset:1408
	v_add_f64 v[2:3], v[2:3], v[106:107]
	s_waitcnt vmcnt(18) lgkmcnt(2)
	v_mul_f64 v[106:107], v[118:119], v[216:217]
	s_waitcnt vmcnt(16)
	v_fmac_f64_e32 v[106:107], v[120:121], v[222:223]
	ds_read_b128 v[90:93], v1 offset:1424
	v_add_f64 v[2:3], v[2:3], v[106:107]
	s_waitcnt vmcnt(14) lgkmcnt(2)
	v_mul_f64 v[106:107], v[86:87], v[220:221]
	s_waitcnt vmcnt(12)
	v_fmac_f64_e32 v[106:107], v[88:89], v[226:227]
	v_fma_f64 v[254:255], v[94:95], v[246:247], -v[96:97]
	ds_read_b128 v[94:97], v1 offset:1440
	v_add_f64 v[2:3], v[2:3], v[106:107]
	s_waitcnt vmcnt(10) lgkmcnt(2)
	v_mul_f64 v[106:107], v[98:99], v[230:231]
	s_waitcnt vmcnt(8)
	v_fmac_f64_e32 v[106:107], v[100:101], v[232:233]
	v_add_f64 v[2:3], v[2:3], v[106:107]
	s_waitcnt vmcnt(5) lgkmcnt(1)
	v_mul_f64 v[106:107], v[90:91], v[236:237]
	s_waitcnt vmcnt(3)
	v_fmac_f64_e32 v[106:107], v[92:93], v[238:239]
	;; [unrolled: 5-line block ×3, first 2 shown]
	v_add_f64 v[110:111], v[2:3], v[106:107]
	buffer_load_dword v3, off, s[0:3], 0 offset:732
	buffer_load_dword v2, off, s[0:3], 0 offset:728
	;; [unrolled: 1-line block ×4, first 2 shown]
	ds_read_b128 v[106:109], v1 offset:1456
	buffer_load_dword v200, off, s[0:3], 0 offset:744
	buffer_load_dword v201, off, s[0:3], 0 offset:748
	;; [unrolled: 1-line block ×4, first 2 shown]
	v_add_f64 v[4:5], v[6:7], v[4:5]
	v_add_f64 v[202:203], v[4:5], v[12:13]
	;; [unrolled: 1-line block ×3, first 2 shown]
	v_mul_f64 v[6:7], v[132:133], v[136:137]
	v_add_f64 v[4:5], v[4:5], v[254:255]
	v_fma_f64 v[6:7], v[130:131], v[140:141], -v[6:7]
	v_add_f64 v[4:5], v[4:5], v[6:7]
	v_accvgpr_read_b32 v255, a140
	v_cmp_lt_u32_e32 vcc, 1, v255
	s_waitcnt vmcnt(6) lgkmcnt(0)
	v_mul_f64 v[112:113], v[106:107], v[2:3]
	v_mul_f64 v[2:3], v[108:109], v[2:3]
	s_waitcnt vmcnt(4)
	v_fmac_f64_e32 v[112:113], v[108:109], v[198:199]
	v_add_f64 v[114:115], v[110:111], v[112:113]
	ds_read_b128 v[110:113], v1 offset:1472
	buffer_load_dword v245, off, s[0:3], 0 offset:764
	buffer_load_dword v244, off, s[0:3], 0 offset:760
	;; [unrolled: 1-line block ×4, first 2 shown]
	v_fma_f64 v[2:3], v[106:107], v[198:199], -v[2:3]
	s_waitcnt vmcnt(6) lgkmcnt(0)
	v_mul_f64 v[116:117], v[110:111], v[200:201]
	s_waitcnt vmcnt(4)
	v_fmac_f64_e32 v[116:117], v[112:113], v[240:241]
	v_add_f64 v[242:243], v[114:115], v[116:117]
	ds_read_b128 v[114:117], v1 offset:1488
	v_accvgpr_read_b32 v0, a142
	v_accvgpr_read_b32 v1, a143
	v_mul_f64 v[6:7], v[128:129], v[0:1]
	v_accvgpr_read_b32 v0, a144
	v_accvgpr_read_b32 v1, a145
	v_fma_f64 v[6:7], v[126:127], v[0:1], -v[6:7]
	v_add_f64 v[4:5], v[4:5], v[6:7]
	v_mul_f64 v[6:7], v[124:125], v[144:145]
	v_accvgpr_read_b32 v0, a146
	v_fma_f64 v[6:7], v[122:123], v[148:149], -v[6:7]
	v_accvgpr_read_b32 v1, a147
	v_add_f64 v[4:5], v[4:5], v[6:7]
	v_mul_f64 v[6:7], v[16:17], v[0:1]
	v_accvgpr_read_b32 v0, a148
	v_accvgpr_read_b32 v1, a149
	v_fma_f64 v[6:7], v[14:15], v[0:1], -v[6:7]
	v_add_f64 v[4:5], v[4:5], v[6:7]
	v_mul_f64 v[6:7], v[20:21], v[152:153]
	v_accvgpr_read_b32 v0, a150
	v_fma_f64 v[6:7], v[18:19], v[156:157], -v[6:7]
	v_accvgpr_read_b32 v1, a151
	v_add_f64 v[4:5], v[4:5], v[6:7]
	;; [unrolled: 10-line block ×3, first 2 shown]
	v_mul_f64 v[6:7], v[32:33], v[0:1]
	v_fma_f64 v[6:7], v[30:31], v[134:135], -v[6:7]
	v_add_f64 v[4:5], v[4:5], v[6:7]
	v_mul_f64 v[6:7], v[36:37], v[164:165]
	v_fma_f64 v[6:7], v[34:35], v[166:167], -v[6:7]
	v_add_f64 v[4:5], v[4:5], v[6:7]
	;; [unrolled: 3-line block ×12, first 2 shown]
	v_mul_f64 v[6:7], v[206:207], v[186:187]
	v_fma_f64 v[6:7], v[204:205], v[212:213], -v[6:7]
	s_waitcnt vmcnt(2) lgkmcnt(0)
	v_mul_f64 v[248:249], v[114:115], v[244:245]
	v_add_f64 v[4:5], v[4:5], v[6:7]
	s_waitcnt vmcnt(0)
	v_fmac_f64_e32 v[248:249], v[116:117], v[246:247]
	v_add_f64 v[242:243], v[242:243], v[248:249]
	buffer_load_dword v250, off, s[0:3], 0 offset:48
	buffer_load_dword v251, off, s[0:3], 0 offset:52
	;; [unrolled: 1-line block ×4, first 2 shown]
	v_mul_f64 v[6:7], v[210:211], v[218:219]
	v_fma_f64 v[6:7], v[208:209], v[224:225], -v[6:7]
	v_add_f64 v[4:5], v[4:5], v[6:7]
	v_mul_f64 v[6:7], v[120:121], v[216:217]
	v_fma_f64 v[6:7], v[118:119], v[222:223], -v[6:7]
	v_add_f64 v[4:5], v[4:5], v[6:7]
	;; [unrolled: 3-line block ×6, first 2 shown]
	v_add_f64 v[2:3], v[4:5], v[2:3]
	v_mul_f64 v[4:5], v[112:113], v[200:201]
	v_fma_f64 v[4:5], v[110:111], v[240:241], -v[4:5]
	v_add_f64 v[2:3], v[2:3], v[4:5]
	v_mul_f64 v[4:5], v[116:117], v[244:245]
	v_fma_f64 v[4:5], v[114:115], v[246:247], -v[4:5]
	v_add_f64 v[2:3], v[2:3], v[4:5]
	s_waitcnt vmcnt(2)
	v_add_f64 v[2:3], v[250:251], -v[2:3]
	s_waitcnt vmcnt(0)
	v_add_f64 v[4:5], v[248:249], -v[242:243]
	buffer_store_dword v3, off, s[0:3], 0 offset:52
	buffer_store_dword v2, off, s[0:3], 0 offset:48
	;; [unrolled: 1-line block ×4, first 2 shown]
	s_and_saveexec_b64 s[4:5], vcc
	s_cbranch_execz .LBB110_293
; %bb.292:
	v_accvgpr_read_b32 v0, a139
	buffer_load_dword v2, v0, s[0:3], 0 offen
	buffer_load_dword v3, v0, s[0:3], 0 offen offset:4
	buffer_load_dword v4, v0, s[0:3], 0 offen offset:8
	;; [unrolled: 1-line block ×3, first 2 shown]
	v_mov_b32_e32 v0, 0
	v_accvgpr_read_b32 v1, a141
	buffer_store_dword v0, off, s[0:3], 0 offset:32
	buffer_store_dword v0, off, s[0:3], 0 offset:36
	;; [unrolled: 1-line block ×4, first 2 shown]
	s_waitcnt vmcnt(4)
	ds_write_b128 v1, v[2:5]
.LBB110_293:
	s_or_b64 exec, exec, s[4:5]
	v_mov_b32_e32 v254, 0
	s_waitcnt lgkmcnt(0)
	; wave barrier
	s_waitcnt lgkmcnt(0)
	buffer_load_dword v56, off, s[0:3], 0 offset:48
	buffer_load_dword v57, off, s[0:3], 0 offset:52
	;; [unrolled: 1-line block ×54, first 2 shown]
	ds_read_b128 v[110:113], v254 offset:784
	ds_read_b128 v[114:117], v254 offset:800
	;; [unrolled: 1-line block ×9, first 2 shown]
	buffer_load_dword v105, off, s[0:3], 0 offset:276
	buffer_load_dword v104, off, s[0:3], 0 offset:272
	;; [unrolled: 1-line block ×8, first 2 shown]
	v_cmp_ne_u32_e32 vcc, 0, v255
	s_waitcnt vmcnt(58) lgkmcnt(8)
	v_mul_f64 v[2:3], v[110:111], v[58:59]
	v_fmac_f64_e32 v[2:3], v[112:113], v[56:57]
	v_add_f64 v[2:3], v[2:3], 0
	v_mul_f64 v[58:59], v[112:113], v[58:59]
	s_waitcnt vmcnt(54) lgkmcnt(7)
	v_mul_f64 v[4:5], v[114:115], v[156:157]
	v_fmac_f64_e32 v[4:5], v[116:117], v[52:53]
	s_waitcnt vmcnt(52) lgkmcnt(6)
	v_mul_f64 v[6:7], v[162:163], v[50:51]
	v_add_f64 v[2:3], v[2:3], v[4:5]
	s_waitcnt vmcnt(50) lgkmcnt(4)
	v_mul_f64 v[10:11], v[170:171], v[60:61]
	v_fma_f64 v[110:111], v[110:111], v[56:57], -v[58:59]
	s_waitcnt vmcnt(48)
	v_fmac_f64_e32 v[10:11], v[172:173], v[62:63]
	v_mul_f64 v[56:57], v[116:117], v[156:157]
	s_waitcnt vmcnt(46)
	v_mul_f64 v[8:9], v[166:167], v[64:65]
	v_mul_f64 v[50:51], v[164:165], v[50:51]
	s_waitcnt vmcnt(44) lgkmcnt(2)
	v_mul_f64 v[14:15], v[178:179], v[74:75]
	v_fma_f64 v[112:113], v[114:115], v[52:53], -v[56:57]
	s_waitcnt vmcnt(42)
	v_fmac_f64_e32 v[14:15], v[180:181], v[72:73]
	v_add_f64 v[110:111], v[110:111], 0
	s_waitcnt vmcnt(40)
	v_mul_f64 v[12:13], v[174:175], v[76:77]
	v_mul_f64 v[56:57], v[176:177], v[76:77]
	s_waitcnt vmcnt(38) lgkmcnt(1)
	v_mul_f64 v[16:17], v[182:183], v[68:69]
	v_mul_f64 v[58:59], v[184:185], v[68:69]
	s_waitcnt vmcnt(36)
	v_fmac_f64_e32 v[6:7], v[164:165], v[246:247]
	v_add_f64 v[2:3], v[2:3], v[6:7]
	s_waitcnt vmcnt(34)
	v_fmac_f64_e32 v[8:9], v[168:169], v[80:81]
	v_add_f64 v[2:3], v[2:3], v[8:9]
	;; [unrolled: 3-line block ×3, first 2 shown]
	v_add_f64 v[2:3], v[2:3], v[12:13]
	v_add_f64 v[2:3], v[2:3], v[14:15]
	s_waitcnt vmcnt(30)
	v_fmac_f64_e32 v[16:17], v[184:185], v[70:71]
	v_add_f64 v[2:3], v[2:3], v[16:17]
	s_waitcnt vmcnt(26) lgkmcnt(0)
	v_mul_f64 v[4:5], v[186:187], v[66:67]
	v_fmac_f64_e32 v[4:5], v[188:189], v[84:85]
	v_add_f64 v[2:3], v[2:3], v[4:5]
	s_waitcnt vmcnt(0)
	v_pk_mov_b32 v[14:15], v[0:1], v[0:1] op_sel:[0,1]
	buffer_load_dword v1, off, s[0:3], 0 offset:308
	buffer_load_dword v0, off, s[0:3], 0 offset:304
	v_accvgpr_write_b32 a143, v15
	v_accvgpr_write_b32 a142, v14
	v_fma_f64 v[114:115], v[162:163], v[246:247], -v[50:51]
	v_mul_f64 v[50:51], v[168:169], v[64:65]
	v_fma_f64 v[116:117], v[166:167], v[80:81], -v[50:51]
	v_mul_f64 v[50:51], v[172:173], v[60:61]
	v_add_f64 v[110:111], v[110:111], v[112:113]
	v_add_f64 v[110:111], v[110:111], v[114:115]
	;; [unrolled: 1-line block ×3, first 2 shown]
	s_waitcnt vmcnt(0)
	v_pk_mov_b32 v[18:19], v[0:1], v[0:1] op_sel:[0,1]
	buffer_load_dword v107, off, s[0:3], 0 offset:300
	buffer_load_dword v106, off, s[0:3], 0 offset:296
	buffer_load_dword v109, off, s[0:3], 0 offset:292
	buffer_load_dword v108, off, s[0:3], 0 offset:288
	buffer_load_dword v1, off, s[0:3], 0 offset:348
	buffer_load_dword v0, off, s[0:3], 0 offset:344
	v_accvgpr_write_b32 a145, v19
	v_accvgpr_write_b32 a144, v18
	s_waitcnt vmcnt(0)
	v_pk_mov_b32 v[22:23], v[0:1], v[0:1] op_sel:[0,1]
	buffer_load_dword v1, off, s[0:3], 0 offset:340
	buffer_load_dword v0, off, s[0:3], 0 offset:336
	v_accvgpr_write_b32 a147, v23
	v_accvgpr_write_b32 a146, v22
	s_waitcnt vmcnt(0)
	v_pk_mov_b32 v[24:25], v[0:1], v[0:1] op_sel:[0,1]
	buffer_load_dword v223, off, s[0:3], 0 offset:332
	buffer_load_dword v222, off, s[0:3], 0 offset:328
	buffer_load_dword v225, off, s[0:3], 0 offset:324
	buffer_load_dword v224, off, s[0:3], 0 offset:320
	buffer_load_dword v1, off, s[0:3], 0 offset:380
	buffer_load_dword v0, off, s[0:3], 0 offset:376
	v_accvgpr_write_b32 a149, v25
	v_accvgpr_write_b32 a148, v24
	s_waitcnt vmcnt(0)
	v_pk_mov_b32 v[30:31], v[0:1], v[0:1] op_sel:[0,1]
	buffer_load_dword v1, off, s[0:3], 0 offset:372
	buffer_load_dword v0, off, s[0:3], 0 offset:368
	v_accvgpr_write_b32 a151, v31
	v_accvgpr_write_b32 a150, v30
	;; [unrolled: 16-line block ×3, first 2 shown]
	s_waitcnt vmcnt(0)
	v_pk_mov_b32 v[40:41], v[0:1], v[0:1] op_sel:[0,1]
	buffer_load_dword v237, off, s[0:3], 0 offset:396
	buffer_load_dword v236, off, s[0:3], 0 offset:392
	;; [unrolled: 1-line block ×28, first 2 shown]
	ds_read_b128 v[190:193], v254 offset:928
	ds_read_b128 v[194:197], v254 offset:944
	;; [unrolled: 1-line block ×6, first 2 shown]
	s_waitcnt lgkmcnt(5)
	v_mul_f64 v[4:5], v[190:191], v[90:91]
	v_fmac_f64_e32 v[4:5], v[192:193], v[92:93]
	v_add_f64 v[2:3], v[2:3], v[4:5]
	s_waitcnt lgkmcnt(4)
	v_mul_f64 v[4:5], v[194:195], v[86:87]
	v_fmac_f64_e32 v[4:5], v[196:197], v[88:89]
	v_add_f64 v[2:3], v[2:3], v[4:5]
	;; [unrolled: 4-line block ×3, first 2 shown]
	s_waitcnt lgkmcnt(2)
	v_mul_f64 v[4:5], v[204:205], v[96:97]
	ds_read_b128 v[118:121], v254 offset:1024
	ds_read_b128 v[134:137], v254 offset:1040
	v_fmac_f64_e32 v[4:5], v[206:207], v[98:99]
	v_add_f64 v[2:3], v[2:3], v[4:5]
	s_waitcnt lgkmcnt(3)
	v_mul_f64 v[4:5], v[208:209], v[82:83]
	ds_read_b128 v[130:133], v254 offset:1056
	ds_read_b128 v[126:129], v254 offset:1072
	v_fmac_f64_e32 v[4:5], v[210:211], v[202:203]
	v_add_f64 v[2:3], v[2:3], v[4:5]
	s_waitcnt lgkmcnt(4)
	v_mul_f64 v[4:5], v[250:251], v[94:95]
	v_fmac_f64_e32 v[4:5], v[252:253], v[104:105]
	s_waitcnt lgkmcnt(3)
	v_mul_f64 v[8:9], v[118:119], v[106:107]
	ds_read_b128 v[122:125], v254 offset:1088
	v_add_f64 v[6:7], v[2:3], v[4:5]
	v_fmac_f64_e32 v[8:9], v[120:121], v[108:109]
	s_waitcnt lgkmcnt(3)
	v_mul_f64 v[12:13], v[134:135], v[14:15]
	v_add_f64 v[10:11], v[6:7], v[8:9]
	v_fmac_f64_e32 v[12:13], v[136:137], v[18:19]
	s_waitcnt lgkmcnt(2)
	v_mul_f64 v[16:17], v[130:131], v[222:223]
	;; [unrolled: 4-line block ×3, first 2 shown]
	v_add_f64 v[18:19], v[14:15], v[16:17]
	v_fmac_f64_e32 v[20:21], v[128:129], v[24:25]
	v_add_f64 v[22:23], v[18:19], v[20:21]
	ds_read_b128 v[18:21], v254 offset:1104
	s_waitcnt lgkmcnt(1)
	v_mul_f64 v[24:25], v[122:123], v[228:229]
	v_fmac_f64_e32 v[24:25], v[124:125], v[232:233]
	v_add_f64 v[26:27], v[22:23], v[24:25]
	ds_read_b128 v[22:25], v254 offset:1120
	s_waitcnt lgkmcnt(1)
	v_mul_f64 v[28:29], v[18:19], v[30:31]
	v_fmac_f64_e32 v[28:29], v[20:21], v[32:33]
	v_add_f64 v[30:31], v[26:27], v[28:29]
	ds_read_b128 v[26:29], v254 offset:1136
	v_accvgpr_write_b32 a157, v41
	v_accvgpr_write_b32 a156, v40
	v_fma_f64 v[14:15], v[170:171], v[62:63], -v[50:51]
	s_waitcnt vmcnt(26) lgkmcnt(1)
	v_mul_f64 v[32:33], v[22:23], v[236:237]
	s_waitcnt lgkmcnt(0)
	v_mul_f64 v[36:37], v[26:27], v[38:39]
	s_waitcnt vmcnt(24)
	v_fmac_f64_e32 v[32:33], v[24:25], v[238:239]
	v_add_f64 v[34:35], v[30:31], v[32:33]
	ds_read_b128 v[30:33], v254 offset:1152
	v_fmac_f64_e32 v[36:37], v[28:29], v[40:41]
	v_add_f64 v[38:39], v[34:35], v[36:37]
	ds_read_b128 v[34:37], v254 offset:1168
	v_mul_f64 v[4:5], v[180:181], v[74:75]
	s_waitcnt vmcnt(18) lgkmcnt(1)
	v_mul_f64 v[40:41], v[30:31], v[240:241]
	s_waitcnt vmcnt(16)
	v_fmac_f64_e32 v[40:41], v[32:33], v[218:219]
	v_add_f64 v[42:43], v[38:39], v[40:41]
	ds_read_b128 v[38:41], v254 offset:1184
	s_waitcnt lgkmcnt(1)
	v_mul_f64 v[44:45], v[34:35], v[0:1]
	v_fmac_f64_e32 v[44:45], v[36:37], v[220:221]
	v_add_f64 v[46:47], v[42:43], v[44:45]
	ds_read_b128 v[42:45], v254 offset:1200
	s_waitcnt vmcnt(10) lgkmcnt(1)
	v_mul_f64 v[48:49], v[38:39], v[212:213]
	s_waitcnt vmcnt(8)
	v_fmac_f64_e32 v[48:49], v[40:41], v[214:215]
	v_add_f64 v[140:141], v[46:47], v[48:49]
	ds_read_b128 v[46:49], v254 offset:1216
	buffer_load_dword v139, off, s[0:3], 0 offset:524
	buffer_load_dword v138, off, s[0:3], 0 offset:520
	;; [unrolled: 1-line block ×4, first 2 shown]
	s_waitcnt lgkmcnt(1)
	v_mul_f64 v[144:145], v[42:43], v[216:217]
	v_fmac_f64_e32 v[144:145], v[44:45], v[226:227]
	v_add_f64 v[54:55], v[140:141], v[144:145]
	buffer_load_dword v145, off, s[0:3], 0 offset:540
	buffer_load_dword v144, off, s[0:3], 0 offset:536
	buffer_load_dword v147, off, s[0:3], 0 offset:532
	buffer_load_dword v146, off, s[0:3], 0 offset:528
	buffer_load_dword v141, off, s[0:3], 0 offset:572
	buffer_load_dword v151, off, s[0:3], 0 offset:556
	buffer_load_dword v150, off, s[0:3], 0 offset:552
	buffer_load_dword v155, off, s[0:3], 0 offset:548
	buffer_load_dword v154, off, s[0:3], 0 offset:544
	buffer_load_dword v140, off, s[0:3], 0 offset:568
	buffer_load_dword v153, off, s[0:3], 0 offset:564
	buffer_load_dword v152, off, s[0:3], 0 offset:560
	buffer_load_dword v148, off, s[0:3], 0 offset:600
	buffer_load_dword v159, off, s[0:3], 0 offset:588
	buffer_load_dword v158, off, s[0:3], 0 offset:584
	buffer_load_dword v161, off, s[0:3], 0 offset:580
	buffer_load_dword v160, off, s[0:3], 0 offset:576
	buffer_load_dword v156, off, s[0:3], 0 offset:592
	buffer_load_dword v149, off, s[0:3], 0 offset:604
	buffer_load_dword v157, off, s[0:3], 0 offset:596
	buffer_load_dword v163, off, s[0:3], 0 offset:620
	buffer_load_dword v162, off, s[0:3], 0 offset:616
	buffer_load_dword v165, off, s[0:3], 0 offset:612
	buffer_load_dword v164, off, s[0:3], 0 offset:608
	buffer_load_dword v167, off, s[0:3], 0 offset:636
	buffer_load_dword v166, off, s[0:3], 0 offset:632
	buffer_load_dword v171, off, s[0:3], 0 offset:628
	buffer_load_dword v170, off, s[0:3], 0 offset:624
	buffer_load_dword v169, off, s[0:3], 0 offset:652
	buffer_load_dword v168, off, s[0:3], 0 offset:648
	buffer_load_dword v173, off, s[0:3], 0 offset:644
	buffer_load_dword v172, off, s[0:3], 0 offset:640
	ds_read_b128 v[50:53], v254 offset:1232
	buffer_load_dword v177, off, s[0:3], 0 offset:668
	buffer_load_dword v176, off, s[0:3], 0 offset:664
	;; [unrolled: 1-line block ×4, first 2 shown]
	v_fma_f64 v[10:11], v[174:175], v[78:79], -v[56:57]
	v_fma_f64 v[6:7], v[178:179], v[72:73], -v[4:5]
	buffer_load_dword v174, off, s[0:3], 0 offset:696
	buffer_load_dword v181, off, s[0:3], 0 offset:684
	;; [unrolled: 1-line block ×8, first 2 shown]
	v_fma_f64 v[4:5], v[182:183], v[70:71], -v[58:59]
	buffer_load_dword v183, off, s[0:3], 0 offset:716
	buffer_load_dword v182, off, s[0:3], 0 offset:712
	buffer_load_dword v185, off, s[0:3], 0 offset:708
	buffer_load_dword v184, off, s[0:3], 0 offset:704
	s_waitcnt vmcnt(54) lgkmcnt(1)
	v_mul_f64 v[56:57], v[46:47], v[242:243]
	s_waitcnt vmcnt(52)
	v_fmac_f64_e32 v[56:57], v[48:49], v[244:245]
	v_add_f64 v[8:9], v[54:55], v[56:57]
	s_waitcnt lgkmcnt(0)
	v_mul_f64 v[54:55], v[50:51], v[230:231]
	v_fmac_f64_e32 v[54:55], v[52:53], v[234:235]
	v_add_f64 v[8:9], v[8:9], v[54:55]
	ds_read_b128 v[54:57], v254 offset:1248
	v_mul_f64 v[58:59], v[188:189], v[66:67]
	v_fma_f64 v[186:187], v[186:187], v[84:85], -v[58:59]
	ds_read_b128 v[58:61], v254 offset:1264
	v_mul_f64 v[70:71], v[196:197], v[86:87]
	v_fma_f64 v[194:195], v[194:195], v[88:89], -v[70:71]
	ds_read_b128 v[70:73], v254 offset:1312
	ds_read_b128 v[86:89], v254 offset:1376
	v_accvgpr_write_b32 a159, v1
	v_mul_f64 v[82:83], v[210:211], v[82:83]
	v_accvgpr_write_b32 a158, v0
	v_fma_f64 v[0:1], v[208:209], v[202:203], -v[82:83]
	v_add_f64 v[14:15], v[110:111], v[14:15]
	v_add_f64 v[10:11], v[14:15], v[10:11]
	;; [unrolled: 1-line block ×5, first 2 shown]
	s_waitcnt vmcnt(50) lgkmcnt(3)
	v_mul_f64 v[62:63], v[54:55], v[138:139]
	s_waitcnt vmcnt(48)
	v_fmac_f64_e32 v[62:63], v[56:57], v[142:143]
	v_add_f64 v[8:9], v[8:9], v[62:63]
	v_mul_f64 v[62:63], v[192:193], v[90:91]
	v_fma_f64 v[188:189], v[190:191], v[92:93], -v[62:63]
	ds_read_b128 v[90:93], v254 offset:1392
	ds_read_b128 v[62:65], v254 offset:1280
	s_waitcnt vmcnt(46) lgkmcnt(4)
	v_mul_f64 v[66:67], v[58:59], v[144:145]
	s_waitcnt vmcnt(44)
	v_fmac_f64_e32 v[66:67], v[60:61], v[146:147]
	v_add_f64 v[8:9], v[8:9], v[66:67]
	ds_read_b128 v[66:69], v254 offset:1296
	s_waitcnt vmcnt(41) lgkmcnt(1)
	v_mul_f64 v[74:75], v[62:63], v[150:151]
	s_waitcnt vmcnt(39)
	v_fmac_f64_e32 v[74:75], v[64:65], v[154:155]
	v_add_f64 v[8:9], v[8:9], v[74:75]
	v_mul_f64 v[74:75], v[200:201], v[100:101]
	v_fma_f64 v[2:3], v[198:199], v[102:103], -v[74:75]
	ds_read_b128 v[74:77], v254 offset:1328
	s_waitcnt vmcnt(38) lgkmcnt(1)
	v_mul_f64 v[78:79], v[66:67], v[140:141]
	s_waitcnt vmcnt(36)
	v_fmac_f64_e32 v[78:79], v[68:69], v[152:153]
	s_waitcnt vmcnt(33)
	v_mul_f64 v[12:13], v[70:71], v[158:159]
	v_add_f64 v[8:9], v[8:9], v[78:79]
	s_waitcnt vmcnt(31)
	v_fmac_f64_e32 v[12:13], v[72:73], v[160:161]
	v_add_f64 v[8:9], v[8:9], v[12:13]
	s_waitcnt vmcnt(29) lgkmcnt(0)
	v_mul_f64 v[12:13], v[74:75], v[148:149]
	s_waitcnt vmcnt(28)
	v_fmac_f64_e32 v[12:13], v[76:77], v[156:157]
	v_add_f64 v[8:9], v[8:9], v[12:13]
	ds_read_b128 v[78:81], v254 offset:1344
	v_mul_f64 v[12:13], v[206:207], v[96:97]
	v_fma_f64 v[12:13], v[204:205], v[98:99], -v[12:13]
	ds_read_b128 v[204:207], v254 offset:1360
	ds_read_b128 v[98:101], v254 offset:1424
	s_waitcnt vmcnt(26) lgkmcnt(2)
	v_mul_f64 v[84:85], v[78:79], v[162:163]
	s_waitcnt vmcnt(24)
	v_fmac_f64_e32 v[84:85], v[80:81], v[164:165]
	v_add_f64 v[8:9], v[8:9], v[84:85]
	s_waitcnt vmcnt(22) lgkmcnt(1)
	v_mul_f64 v[16:17], v[204:205], v[166:167]
	s_waitcnt vmcnt(20)
	v_fmac_f64_e32 v[16:17], v[206:207], v[170:171]
	v_add_f64 v[8:9], v[8:9], v[16:17]
	s_waitcnt vmcnt(18)
	v_mul_f64 v[16:17], v[86:87], v[168:169]
	s_waitcnt vmcnt(16)
	v_fmac_f64_e32 v[16:17], v[88:89], v[172:173]
	v_add_f64 v[8:9], v[8:9], v[16:17]
	v_mul_f64 v[16:17], v[252:253], v[94:95]
	ds_read_b128 v[94:97], v254 offset:1408
	s_waitcnt vmcnt(14)
	v_mul_f64 v[82:83], v[90:91], v[176:177]
	v_fma_f64 v[16:17], v[250:251], v[104:105], -v[16:17]
	s_waitcnt vmcnt(12)
	v_fmac_f64_e32 v[82:83], v[92:93], v[246:247]
	ds_read_b128 v[102:105], v254 offset:1440
	v_add_f64 v[8:9], v[8:9], v[82:83]
	s_waitcnt vmcnt(9) lgkmcnt(1)
	v_mul_f64 v[82:83], v[94:95], v[180:181]
	s_waitcnt vmcnt(7)
	v_fmac_f64_e32 v[82:83], v[96:97], v[248:249]
	v_add_f64 v[8:9], v[8:9], v[82:83]
	s_waitcnt vmcnt(5)
	v_mul_f64 v[82:83], v[98:99], v[174:175]
	s_waitcnt vmcnt(4)
	v_fmac_f64_e32 v[82:83], v[100:101], v[178:179]
	v_add_f64 v[8:9], v[8:9], v[82:83]
	s_waitcnt vmcnt(2) lgkmcnt(0)
	v_mul_f64 v[82:83], v[102:103], v[182:183]
	s_waitcnt vmcnt(0)
	v_fmac_f64_e32 v[82:83], v[104:105], v[184:185]
	v_mul_f64 v[84:85], v[120:121], v[106:107]
	v_add_f64 v[82:83], v[8:9], v[82:83]
	buffer_load_dword v8, off, s[0:3], 0 offset:728
	buffer_load_dword v9, off, s[0:3], 0 offset:732
	;; [unrolled: 1-line block ×4, first 2 shown]
	v_fma_f64 v[200:201], v[118:119], v[108:109], -v[84:85]
	ds_read_b128 v[106:109], v254 offset:1456
	buffer_load_dword v191, off, s[0:3], 0 offset:748
	buffer_load_dword v190, off, s[0:3], 0 offset:744
	;; [unrolled: 1-line block ×4, first 2 shown]
	v_add_f64 v[4:5], v[4:5], v[188:189]
	v_add_f64 v[4:5], v[4:5], v[194:195]
	v_add_f64 v[2:3], v[4:5], v[2:3]
	v_add_f64 v[2:3], v[2:3], v[12:13]
	v_add_f64 v[0:1], v[2:3], v[0:1]
	v_accvgpr_read_b32 v2, a142
	v_accvgpr_read_b32 v3, a143
	;; [unrolled: 1-line block ×3, first 2 shown]
	v_mul_f64 v[2:3], v[136:137], v[2:3]
	v_accvgpr_read_b32 v5, a145
	v_fma_f64 v[2:3], v[134:135], v[4:5], -v[2:3]
	v_accvgpr_read_b32 v4, a148
	v_accvgpr_read_b32 v5, a149
	s_waitcnt vmcnt(6) lgkmcnt(0)
	v_mul_f64 v[84:85], v[106:107], v[8:9]
	s_waitcnt vmcnt(4)
	v_fmac_f64_e32 v[84:85], v[108:109], v[120:121]
	v_add_f64 v[118:119], v[82:83], v[84:85]
	ds_read_b128 v[82:85], v254 offset:1472
	s_waitcnt vmcnt(2) lgkmcnt(0)
	v_mul_f64 v[196:197], v[82:83], v[190:191]
	s_waitcnt vmcnt(0)
	v_fmac_f64_e32 v[196:197], v[84:85], v[192:193]
	v_add_f64 v[118:119], v[118:119], v[196:197]
	buffer_load_dword v196, off, s[0:3], 0 offset:760
	buffer_load_dword v197, off, s[0:3], 0 offset:764
	;; [unrolled: 1-line block ×4, first 2 shown]
	ds_read_b128 v[208:211], v254 offset:1488
	buffer_load_dword v252, off, s[0:3], 0 offset:32
	buffer_load_dword v253, off, s[0:3], 0 offset:36
	;; [unrolled: 1-line block ×4, first 2 shown]
	s_waitcnt vmcnt(6) lgkmcnt(0)
	v_mul_f64 v[202:203], v[208:209], v[196:197]
	s_waitcnt vmcnt(4)
	v_fmac_f64_e32 v[202:203], v[210:211], v[198:199]
	v_add_f64 v[202:203], v[118:119], v[202:203]
	v_add_f64 v[118:119], v[0:1], v[16:17]
	;; [unrolled: 1-line block ×4, first 2 shown]
	v_mul_f64 v[2:3], v[132:133], v[222:223]
	v_fma_f64 v[2:3], v[130:131], v[224:225], -v[2:3]
	v_add_f64 v[0:1], v[0:1], v[2:3]
	v_accvgpr_read_b32 v2, a146
	v_accvgpr_read_b32 v3, a147
	v_mul_f64 v[2:3], v[128:129], v[2:3]
	v_fma_f64 v[2:3], v[126:127], v[4:5], -v[2:3]
	v_add_f64 v[0:1], v[0:1], v[2:3]
	v_mul_f64 v[2:3], v[124:125], v[228:229]
	v_fma_f64 v[2:3], v[122:123], v[232:233], -v[2:3]
	v_add_f64 v[0:1], v[0:1], v[2:3]
	v_accvgpr_read_b32 v2, a150
	v_accvgpr_read_b32 v3, a151
	v_accvgpr_read_b32 v4, a152
	v_mul_f64 v[2:3], v[20:21], v[2:3]
	v_accvgpr_read_b32 v5, a153
	v_fma_f64 v[2:3], v[18:19], v[4:5], -v[2:3]
	v_add_f64 v[0:1], v[0:1], v[2:3]
	v_mul_f64 v[2:3], v[24:25], v[236:237]
	v_fma_f64 v[2:3], v[22:23], v[238:239], -v[2:3]
	v_add_f64 v[0:1], v[0:1], v[2:3]
	v_accvgpr_read_b32 v2, a154
	v_accvgpr_read_b32 v3, a155
	;; [unrolled: 1-line block ×3, first 2 shown]
	v_mul_f64 v[2:3], v[28:29], v[2:3]
	v_accvgpr_read_b32 v5, a157
	v_fma_f64 v[2:3], v[26:27], v[4:5], -v[2:3]
	v_add_f64 v[0:1], v[0:1], v[2:3]
	v_mul_f64 v[2:3], v[32:33], v[240:241]
	v_fma_f64 v[2:3], v[30:31], v[218:219], -v[2:3]
	v_add_f64 v[0:1], v[0:1], v[2:3]
	v_accvgpr_read_b32 v2, a158
	v_accvgpr_read_b32 v3, a159
	v_mul_f64 v[2:3], v[36:37], v[2:3]
	v_fma_f64 v[2:3], v[34:35], v[220:221], -v[2:3]
	v_add_f64 v[0:1], v[0:1], v[2:3]
	v_mul_f64 v[2:3], v[40:41], v[212:213]
	v_fma_f64 v[2:3], v[38:39], v[214:215], -v[2:3]
	v_add_f64 v[0:1], v[0:1], v[2:3]
	;; [unrolled: 3-line block ×21, first 2 shown]
	s_waitcnt vmcnt(2)
	v_add_f64 v[0:1], v[252:253], -v[0:1]
	s_waitcnt vmcnt(0)
	v_add_f64 v[2:3], v[250:251], -v[202:203]
	buffer_store_dword v1, off, s[0:3], 0 offset:36
	buffer_store_dword v0, off, s[0:3], 0 offset:32
	buffer_store_dword v3, off, s[0:3], 0 offset:44
	buffer_store_dword v2, off, s[0:3], 0 offset:40
	s_and_saveexec_b64 s[4:5], vcc
	s_cbranch_execz .LBB110_295
; %bb.294:
	buffer_load_dword v0, off, s[0:3], 0 offset:16
	buffer_load_dword v1, off, s[0:3], 0 offset:20
	;; [unrolled: 1-line block ×4, first 2 shown]
	v_accvgpr_read_b32 v4, a141
	buffer_store_dword v254, off, s[0:3], 0 offset:16
	buffer_store_dword v254, off, s[0:3], 0 offset:20
	;; [unrolled: 1-line block ×4, first 2 shown]
	s_waitcnt vmcnt(4)
	ds_write_b128 v4, v[0:3]
.LBB110_295:
	s_or_b64 exec, exec, s[4:5]
	s_waitcnt lgkmcnt(0)
	; wave barrier
	s_waitcnt lgkmcnt(0)
	buffer_load_dword v50, off, s[0:3], 0 offset:32
	buffer_load_dword v51, off, s[0:3], 0 offset:36
	;; [unrolled: 1-line block ×42, first 2 shown]
	ds_read_b128 v[112:115], v254 offset:768
	ds_read_b128 v[132:135], v254 offset:784
	;; [unrolled: 1-line block ×10, first 2 shown]
	buffer_load_dword v109, off, s[0:3], 0 offset:180
	buffer_load_dword v108, off, s[0:3], 0 offset:176
	ds_read_b128 v[60:63], v254 offset:928
	buffer_load_dword v99, off, s[0:3], 0 offset:236
	buffer_load_dword v98, off, s[0:3], 0 offset:232
	;; [unrolled: 1-line block ×6, first 2 shown]
	s_and_b64 vcc, exec, s[16:17]
	s_waitcnt vmcnt(46) lgkmcnt(10)
	v_mul_f64 v[0:1], v[112:113], v[54:55]
	v_fmac_f64_e32 v[0:1], v[114:115], v[50:51]
	v_add_f64 v[0:1], v[0:1], 0
	v_mul_f64 v[54:55], v[114:115], v[54:55]
	s_waitcnt vmcnt(42) lgkmcnt(9)
	v_mul_f64 v[2:3], v[132:133], v[64:65]
	v_fmac_f64_e32 v[2:3], v[134:135], v[52:53]
	s_waitcnt vmcnt(40) lgkmcnt(8)
	v_mul_f64 v[4:5], v[138:139], v[48:49]
	v_add_f64 v[0:1], v[0:1], v[2:3]
	s_waitcnt vmcnt(38) lgkmcnt(6)
	v_mul_f64 v[8:9], v[150:151], v[66:67]
	v_mul_f64 v[48:49], v[140:141], v[48:49]
	s_waitcnt vmcnt(36)
	v_fmac_f64_e32 v[8:9], v[152:153], v[68:69]
	s_waitcnt vmcnt(34)
	v_mul_f64 v[6:7], v[142:143], v[70:71]
	s_waitcnt vmcnt(32) lgkmcnt(4)
	v_mul_f64 v[12:13], v[162:163], v[72:73]
	s_waitcnt vmcnt(30)
	v_fmac_f64_e32 v[12:13], v[164:165], v[74:75]
	s_waitcnt vmcnt(28)
	v_mul_f64 v[10:11], v[156:157], v[76:77]
	s_waitcnt vmcnt(26) lgkmcnt(2)
	v_mul_f64 v[16:17], v[174:175], v[80:81]
	s_waitcnt vmcnt(23)
	v_mul_f64 v[14:15], v[166:167], v[84:85]
	s_waitcnt vmcnt(21) lgkmcnt(1)
	v_mul_f64 v[18:19], v[56:57], v[78:79]
	s_waitcnt vmcnt(19)
	v_fmac_f64_e32 v[4:5], v[140:141], v[94:95]
	v_add_f64 v[0:1], v[0:1], v[4:5]
	s_waitcnt vmcnt(17)
	v_fmac_f64_e32 v[6:7], v[144:145], v[90:91]
	v_add_f64 v[0:1], v[0:1], v[6:7]
	;; [unrolled: 3-line block ×3, first 2 shown]
	v_add_f64 v[0:1], v[0:1], v[10:11]
	s_waitcnt vmcnt(13)
	v_fmac_f64_e32 v[14:15], v[168:169], v[86:87]
	v_add_f64 v[0:1], v[0:1], v[12:13]
	s_waitcnt vmcnt(12)
	v_fmac_f64_e32 v[16:17], v[176:177], v[82:83]
	v_add_f64 v[0:1], v[0:1], v[14:15]
	v_add_f64 v[4:5], v[0:1], v[16:17]
	buffer_load_dword v203, off, s[0:3], 0 offset:212
	buffer_load_dword v202, off, s[0:3], 0 offset:208
	;; [unrolled: 1-line block ×20, first 2 shown]
	s_waitcnt vmcnt(26)
	v_fmac_f64_e32 v[18:19], v[58:59], v[108:109]
	s_waitcnt lgkmcnt(0)
	v_mul_f64 v[6:7], v[60:61], v[92:93]
	v_add_f64 v[4:5], v[4:5], v[18:19]
	v_fmac_f64_e32 v[6:7], v[62:63], v[96:97]
	v_add_f64 v[4:5], v[4:5], v[6:7]
	v_fma_f64 v[114:115], v[138:139], v[94:95], -v[48:49]
	v_mul_f64 v[48:49], v[144:145], v[70:71]
	v_fma_f64 v[90:91], v[142:143], v[90:91], -v[48:49]
	v_mul_f64 v[62:63], v[62:63], v[92:93]
	s_waitcnt vmcnt(0)
	v_pk_mov_b32 v[16:17], v[2:3], v[2:3] op_sel:[0,1]
	buffer_load_dword v3, off, s[0:3], 0 offset:324
	buffer_load_dword v2, off, s[0:3], 0 offset:320
	v_accvgpr_write_b32 a143, v17
	v_accvgpr_write_b32 a142, v16
	s_waitcnt vmcnt(0)
	v_pk_mov_b32 v[20:21], v[2:3], v[2:3] op_sel:[0,1]
	buffer_load_dword v3, off, s[0:3], 0 offset:316
	buffer_load_dword v2, off, s[0:3], 0 offset:312
	v_accvgpr_write_b32 a145, v21
	v_accvgpr_write_b32 a144, v20
	s_waitcnt vmcnt(0)
	v_pk_mov_b32 v[12:13], v[2:3], v[2:3] op_sel:[0,1]
	buffer_load_dword v231, off, s[0:3], 0 offset:308
	buffer_load_dword v230, off, s[0:3], 0 offset:304
	buffer_load_dword v3, off, s[0:3], 0 offset:364
	buffer_load_dword v2, off, s[0:3], 0 offset:360
	v_accvgpr_write_b32 a141, v13
	v_accvgpr_write_b32 a140, v12
	s_waitcnt vmcnt(0)
	v_pk_mov_b32 v[24:25], v[2:3], v[2:3] op_sel:[0,1]
	buffer_load_dword v3, off, s[0:3], 0 offset:356
	buffer_load_dword v2, off, s[0:3], 0 offset:352
	v_accvgpr_write_b32 a147, v25
	v_accvgpr_write_b32 a146, v24
	s_waitcnt vmcnt(0)
	v_pk_mov_b32 v[26:27], v[2:3], v[2:3] op_sel:[0,1]
	buffer_load_dword v235, off, s[0:3], 0 offset:348
	buffer_load_dword v234, off, s[0:3], 0 offset:344
	buffer_load_dword v239, off, s[0:3], 0 offset:340
	buffer_load_dword v238, off, s[0:3], 0 offset:336
	buffer_load_dword v3, off, s[0:3], 0 offset:396
	buffer_load_dword v2, off, s[0:3], 0 offset:392
	v_accvgpr_write_b32 a149, v27
	v_accvgpr_write_b32 a148, v26
	s_waitcnt vmcnt(0)
	v_pk_mov_b32 v[32:33], v[2:3], v[2:3] op_sel:[0,1]
	buffer_load_dword v3, off, s[0:3], 0 offset:388
	buffer_load_dword v2, off, s[0:3], 0 offset:384
	v_accvgpr_write_b32 a151, v33
	v_accvgpr_write_b32 a150, v32
	s_waitcnt vmcnt(0)
	v_pk_mov_b32 v[34:35], v[2:3], v[2:3] op_sel:[0,1]
	buffer_load_dword v243, off, s[0:3], 0 offset:380
	buffer_load_dword v242, off, s[0:3], 0 offset:376
	;; [unrolled: 16-line block ×3, first 2 shown]
	buffer_load_dword v253, off, s[0:3], 0 offset:404
	buffer_load_dword v252, off, s[0:3], 0 offset:400
	buffer_load_dword v3, off, s[0:3], 0 offset:460
	buffer_load_dword v2, off, s[0:3], 0 offset:456
	buffer_load_dword v233, off, s[0:3], 0 offset:452
	buffer_load_dword v232, off, s[0:3], 0 offset:448
	buffer_load_dword v227, off, s[0:3], 0 offset:444
	buffer_load_dword v226, off, s[0:3], 0 offset:440
	buffer_load_dword v223, off, s[0:3], 0 offset:436
	buffer_load_dword v222, off, s[0:3], 0 offset:432
	buffer_load_dword v237, off, s[0:3], 0 offset:492
	buffer_load_dword v236, off, s[0:3], 0 offset:488
	buffer_load_dword v241, off, s[0:3], 0 offset:484
	buffer_load_dword v240, off, s[0:3], 0 offset:480
	buffer_load_dword v229, off, s[0:3], 0 offset:476
	buffer_load_dword v228, off, s[0:3], 0 offset:472
	buffer_load_dword v225, off, s[0:3], 0 offset:468
	buffer_load_dword v224, off, s[0:3], 0 offset:464
	buffer_load_dword v245, off, s[0:3], 0 offset:524
	buffer_load_dword v244, off, s[0:3], 0 offset:520
	buffer_load_dword v249, off, s[0:3], 0 offset:516
	buffer_load_dword v248, off, s[0:3], 0 offset:512
	buffer_load_dword v221, off, s[0:3], 0 offset:508
	buffer_load_dword v220, off, s[0:3], 0 offset:504
	buffer_load_dword v129, off, s[0:3], 0 offset:500
	buffer_load_dword v128, off, s[0:3], 0 offset:496
	ds_read_b128 v[178:181], v254 offset:944
	ds_read_b128 v[182:185], v254 offset:960
	;; [unrolled: 1-line block ×6, first 2 shown]
	s_waitcnt lgkmcnt(5)
	v_mul_f64 v[6:7], v[178:179], v[102:103]
	v_fmac_f64_e32 v[6:7], v[180:181], v[202:203]
	v_add_f64 v[4:5], v[4:5], v[6:7]
	s_waitcnt lgkmcnt(4)
	v_mul_f64 v[6:7], v[182:183], v[98:99]
	v_fmac_f64_e32 v[6:7], v[184:185], v[100:101]
	v_add_f64 v[4:5], v[4:5], v[6:7]
	;; [unrolled: 4-line block ×3, first 2 shown]
	s_waitcnt lgkmcnt(2)
	v_mul_f64 v[6:7], v[190:191], v[110:111]
	ds_read_b128 v[216:219], v254 offset:1040
	ds_read_b128 v[212:215], v254 offset:1056
	v_fmac_f64_e32 v[6:7], v[192:193], v[204:205]
	v_add_f64 v[4:5], v[4:5], v[6:7]
	s_waitcnt lgkmcnt(3)
	v_mul_f64 v[6:7], v[194:195], v[210:211]
	ds_read_b128 v[124:127], v254 offset:1072
	ds_read_b128 v[120:123], v254 offset:1088
	v_fmac_f64_e32 v[6:7], v[196:197], v[0:1]
	v_add_f64 v[4:5], v[4:5], v[6:7]
	s_waitcnt lgkmcnt(4)
	v_mul_f64 v[6:7], v[198:199], v[104:105]
	v_fmac_f64_e32 v[6:7], v[200:201], v[106:107]
	s_waitcnt lgkmcnt(3)
	v_mul_f64 v[10:11], v[216:217], v[12:13]
	v_add_f64 v[8:9], v[4:5], v[6:7]
	v_fmac_f64_e32 v[10:11], v[218:219], v[230:231]
	s_waitcnt lgkmcnt(2)
	v_mul_f64 v[14:15], v[212:213], v[16:17]
	v_add_f64 v[12:13], v[8:9], v[10:11]
	;; [unrolled: 4-line block ×4, first 2 shown]
	ds_read_b128 v[116:119], v254 offset:1104
	v_fmac_f64_e32 v[22:23], v[122:123], v[26:27]
	v_add_f64 v[24:25], v[20:21], v[22:23]
	ds_read_b128 v[20:23], v254 offset:1120
	v_accvgpr_write_b32 a157, v43
	s_waitcnt lgkmcnt(1)
	v_mul_f64 v[26:27], v[116:117], v[242:243]
	v_fmac_f64_e32 v[26:27], v[118:119], v[246:247]
	v_add_f64 v[28:29], v[24:25], v[26:27]
	s_waitcnt lgkmcnt(0)
	v_mul_f64 v[30:31], v[20:21], v[32:33]
	ds_read_b128 v[24:27], v254 offset:1136
	v_fmac_f64_e32 v[30:31], v[22:23], v[34:35]
	v_add_f64 v[32:33], v[28:29], v[30:31]
	ds_read_b128 v[28:31], v254 offset:1152
	v_accvgpr_write_b32 a156, v42
	v_fma_f64 v[16:17], v[112:113], v[50:51], -v[54:55]
	s_waitcnt vmcnt(26) lgkmcnt(1)
	v_mul_f64 v[34:35], v[24:25], v[250:251]
	buffer_load_dword v130, off, s[0:3], 0 offset:552
	s_waitcnt vmcnt(25)
	v_fmac_f64_e32 v[34:35], v[26:27], v[252:253]
	s_waitcnt lgkmcnt(0)
	v_mul_f64 v[38:39], v[28:29], v[40:41]
	v_add_f64 v[36:37], v[32:33], v[34:35]
	ds_read_b128 v[32:35], v254 offset:1168
	v_fmac_f64_e32 v[38:39], v[30:31], v[42:43]
	v_add_f64 v[40:41], v[36:37], v[38:39]
	ds_read_b128 v[36:39], v254 offset:1184
	v_mul_f64 v[50:51], v[134:135], v[64:65]
	s_waitcnt vmcnt(19) lgkmcnt(1)
	v_mul_f64 v[42:43], v[32:33], v[226:227]
	s_waitcnt vmcnt(17)
	v_fmac_f64_e32 v[42:43], v[34:35], v[222:223]
	v_add_f64 v[44:45], v[40:41], v[42:43]
	s_waitcnt lgkmcnt(0)
	v_mul_f64 v[46:47], v[36:37], v[2:3]
	v_fmac_f64_e32 v[46:47], v[38:39], v[232:233]
	ds_read_b128 v[40:43], v254 offset:1200
	v_add_f64 v[170:171], v[44:45], v[46:47]
	ds_read_b128 v[44:47], v254 offset:1216
	v_fma_f64 v[112:113], v[132:133], v[52:53], -v[50:51]
	buffer_load_dword v135, off, s[0:3], 0 offset:540
	buffer_load_dword v134, off, s[0:3], 0 offset:536
	;; [unrolled: 1-line block ×19, first 2 shown]
	v_mul_f64 v[54:55], v[152:153], v[66:67]
	buffer_load_dword v152, off, s[0:3], 0 offset:616
	ds_read_b128 v[48:51], v254 offset:1232
	buffer_load_dword v154, off, s[0:3], 0 offset:608
	buffer_load_dword v153, off, s[0:3], 0 offset:620
	buffer_load_dword v155, off, s[0:3], 0 offset:612
	v_fma_f64 v[150:151], v[150:151], v[68:69], -v[54:55]
	v_mul_f64 v[54:55], v[158:159], v[76:77]
	v_fma_f64 v[12:13], v[156:157], v[88:89], -v[54:55]
	buffer_load_dword v88, off, s[0:3], 0 offset:648
	buffer_load_dword v159, off, s[0:3], 0 offset:636
	;; [unrolled: 1-line block ×8, first 2 shown]
	v_mul_f64 v[54:55], v[164:165], v[72:73]
	v_fma_f64 v[8:9], v[162:163], v[74:75], -v[54:55]
	buffer_load_dword v163, off, s[0:3], 0 offset:668
	buffer_load_dword v162, off, s[0:3], 0 offset:664
	;; [unrolled: 1-line block ×4, first 2 shown]
	s_waitcnt vmcnt(46) lgkmcnt(2)
	v_mul_f64 v[52:53], v[40:41], v[228:229]
	s_waitcnt vmcnt(44)
	v_fmac_f64_e32 v[52:53], v[42:43], v[224:225]
	v_add_f64 v[6:7], v[170:171], v[52:53]
	s_waitcnt lgkmcnt(1)
	v_mul_f64 v[52:53], v[44:45], v[236:237]
	v_mul_f64 v[10:11], v[168:169], v[84:85]
	v_fma_f64 v[10:11], v[166:167], v[86:87], -v[10:11]
	buffer_load_dword v167, off, s[0:3], 0 offset:684
	buffer_load_dword v166, off, s[0:3], 0 offset:680
	;; [unrolled: 1-line block ×8, first 2 shown]
	v_fmac_f64_e32 v[52:53], v[46:47], v[240:241]
	v_add_f64 v[6:7], v[6:7], v[52:53]
	v_mul_f64 v[52:53], v[176:177], v[80:81]
	v_fma_f64 v[4:5], v[174:175], v[82:83], -v[52:53]
	buffer_load_dword v174, off, s[0:3], 0 offset:712
	buffer_load_dword v176, off, s[0:3], 0 offset:704
	;; [unrolled: 1-line block ×4, first 2 shown]
	s_waitcnt vmcnt(50) lgkmcnt(0)
	v_mul_f64 v[14:15], v[48:49], v[220:221]
	s_waitcnt vmcnt(48)
	v_fmac_f64_e32 v[14:15], v[50:51], v[128:129]
	v_add_f64 v[6:7], v[6:7], v[14:15]
	ds_read_b128 v[52:55], v254 offset:1248
	v_mul_f64 v[14:15], v[58:59], v[78:79]
	v_fma_f64 v[14:15], v[56:57], v[108:109], -v[14:15]
	ds_read_b128 v[56:59], v254 offset:1264
	v_accvgpr_write_b32 a159, v3
	v_accvgpr_write_b32 a158, v2
	v_fma_f64 v[2:3], v[60:61], v[96:97], -v[62:63]
	ds_read_b128 v[60:63], v254 offset:1280
	s_waitcnt lgkmcnt(2)
	v_mul_f64 v[64:65], v[52:53], v[244:245]
	v_fmac_f64_e32 v[64:65], v[54:55], v[248:249]
	v_add_f64 v[6:7], v[6:7], v[64:65]
	ds_read_b128 v[64:67], v254 offset:1296
	ds_read_b128 v[68:71], v254 offset:1312
	v_mul_f64 v[72:73], v[184:185], v[98:99]
	v_mul_f64 v[80:81], v[188:189], v[206:207]
	v_fma_f64 v[186:187], v[186:187], v[208:209], -v[80:81]
	v_mul_f64 v[84:85], v[192:193], v[110:111]
	v_fma_f64 v[192:193], v[190:191], v[204:205], -v[84:85]
	ds_read_b128 v[84:87], v254 offset:1376
	ds_read_b128 v[206:209], v254 offset:1392
	v_mul_f64 v[96:97], v[200:201], v[104:105]
	v_fma_f64 v[198:199], v[198:199], v[106:107], -v[96:97]
	v_add_f64 v[16:17], v[16:17], 0
	v_add_f64 v[16:17], v[16:17], v[112:113]
	;; [unrolled: 1-line block ×11, first 2 shown]
	v_accvgpr_read_b32 v4, a140
	v_accvgpr_read_b32 v5, a141
	v_mul_f64 v[4:5], v[218:219], v[4:5]
	v_fma_f64 v[4:5], v[216:217], v[230:231], -v[4:5]
	v_accvgpr_read_b32 v8, a144
	ds_read_b128 v[80:83], v254 offset:1360
	v_accvgpr_read_b32 v9, a145
	ds_read_b128 v[96:99], v254 offset:1424
	s_waitcnt vmcnt(45) lgkmcnt(7)
	v_mul_f64 v[18:19], v[56:57], v[134:135]
	s_waitcnt vmcnt(43)
	v_fmac_f64_e32 v[18:19], v[58:59], v[136:137]
	v_add_f64 v[6:7], v[6:7], v[18:19]
	s_waitcnt vmcnt(41) lgkmcnt(6)
	v_mul_f64 v[18:19], v[60:61], v[130:131]
	s_waitcnt vmcnt(40)
	v_fmac_f64_e32 v[18:19], v[62:63], v[132:133]
	v_add_f64 v[6:7], v[6:7], v[18:19]
	v_mul_f64 v[18:19], v[180:181], v[102:103]
	v_fma_f64 v[18:19], v[178:179], v[202:203], -v[18:19]
	v_fma_f64 v[178:179], v[182:183], v[100:101], -v[72:73]
	ds_read_b128 v[72:75], v254 offset:1328
	s_waitcnt vmcnt(38) lgkmcnt(6)
	v_mul_f64 v[76:77], v[64:65], v[138:139]
	s_waitcnt vmcnt(36)
	v_fmac_f64_e32 v[76:77], v[66:67], v[140:141]
	v_add_f64 v[6:7], v[6:7], v[76:77]
	s_waitcnt vmcnt(34) lgkmcnt(5)
	v_mul_f64 v[76:77], v[68:69], v[142:143]
	s_waitcnt vmcnt(32)
	v_fmac_f64_e32 v[76:77], v[70:71], v[146:147]
	v_add_f64 v[6:7], v[6:7], v[76:77]
	;; [unrolled: 5-line block ×3, first 2 shown]
	ds_read_b128 v[76:79], v254 offset:1344
	ds_read_b128 v[100:103], v254 offset:1440
	v_add_f64 v[2:3], v[2:3], v[18:19]
	v_add_f64 v[2:3], v[2:3], v[178:179]
	;; [unrolled: 1-line block ×3, first 2 shown]
	s_waitcnt vmcnt(25) lgkmcnt(1)
	v_mul_f64 v[92:93], v[76:77], v[152:153]
	s_waitcnt vmcnt(24)
	v_fmac_f64_e32 v[92:93], v[78:79], v[154:155]
	v_add_f64 v[6:7], v[6:7], v[92:93]
	s_waitcnt vmcnt(21)
	v_mul_f64 v[92:93], v[80:81], v[158:159]
	s_waitcnt vmcnt(19)
	v_fmac_f64_e32 v[92:93], v[82:83], v[160:161]
	v_add_f64 v[6:7], v[6:7], v[92:93]
	s_waitcnt vmcnt(17)
	v_mul_f64 v[92:93], v[84:85], v[88:89]
	s_waitcnt vmcnt(16)
	v_fmac_f64_e32 v[92:93], v[86:87], v[156:157]
	v_add_f64 v[6:7], v[6:7], v[92:93]
	v_mul_f64 v[92:93], v[196:197], v[210:211]
	v_fma_f64 v[196:197], v[194:195], v[0:1], -v[92:93]
	ds_read_b128 v[92:95], v254 offset:1408
	s_waitcnt vmcnt(14)
	v_mul_f64 v[0:1], v[206:207], v[162:163]
	s_waitcnt vmcnt(12)
	v_fmac_f64_e32 v[0:1], v[208:209], v[164:165]
	v_add_f64 v[0:1], v[6:7], v[0:1]
	v_add_f64 v[200:201], v[2:3], v[192:193]
	s_waitcnt vmcnt(10) lgkmcnt(0)
	v_mul_f64 v[6:7], v[92:93], v[166:167]
	s_waitcnt vmcnt(8)
	v_fmac_f64_e32 v[6:7], v[94:95], v[170:171]
	v_add_f64 v[0:1], v[0:1], v[6:7]
	s_waitcnt vmcnt(6)
	v_mul_f64 v[6:7], v[96:97], v[168:169]
	s_waitcnt vmcnt(4)
	v_fmac_f64_e32 v[6:7], v[98:99], v[172:173]
	v_add_f64 v[0:1], v[0:1], v[6:7]
	s_waitcnt vmcnt(1)
	v_mul_f64 v[6:7], v[100:101], v[174:175]
	s_waitcnt vmcnt(0)
	v_fmac_f64_e32 v[6:7], v[102:103], v[176:177]
	v_add_f64 v[6:7], v[0:1], v[6:7]
	buffer_load_dword v1, off, s[0:3], 0 offset:732
	buffer_load_dword v0, off, s[0:3], 0 offset:728
	;; [unrolled: 1-line block ×4, first 2 shown]
	ds_read_b128 v[104:107], v254 offset:1456
	buffer_load_dword v182, off, s[0:3], 0 offset:744
	buffer_load_dword v183, off, s[0:3], 0 offset:748
	;; [unrolled: 1-line block ×4, first 2 shown]
	v_add_f64 v[2:3], v[200:201], v[196:197]
	v_add_f64 v[2:3], v[2:3], v[198:199]
	v_add_f64 v[2:3], v[2:3], v[4:5]
	v_accvgpr_read_b32 v4, a142
	v_accvgpr_read_b32 v5, a143
	v_mul_f64 v[4:5], v[214:215], v[4:5]
	v_fma_f64 v[4:5], v[212:213], v[8:9], -v[4:5]
	v_add_f64 v[2:3], v[2:3], v[4:5]
	v_mul_f64 v[4:5], v[126:127], v[234:235]
	v_fma_f64 v[4:5], v[124:125], v[238:239], -v[4:5]
	v_add_f64 v[2:3], v[2:3], v[4:5]
	v_accvgpr_read_b32 v4, a146
	v_accvgpr_read_b32 v5, a147
	v_accvgpr_read_b32 v8, a148
	v_mul_f64 v[4:5], v[122:123], v[4:5]
	v_accvgpr_read_b32 v9, a149
	v_fma_f64 v[4:5], v[120:121], v[8:9], -v[4:5]
	v_add_f64 v[2:3], v[2:3], v[4:5]
	v_mul_f64 v[4:5], v[118:119], v[242:243]
	v_fma_f64 v[4:5], v[116:117], v[246:247], -v[4:5]
	v_add_f64 v[2:3], v[2:3], v[4:5]
	v_accvgpr_read_b32 v4, a150
	v_accvgpr_read_b32 v5, a151
	v_accvgpr_read_b32 v8, a152
	v_mul_f64 v[4:5], v[22:23], v[4:5]
	v_accvgpr_read_b32 v9, a153
	;; [unrolled: 10-line block ×3, first 2 shown]
	v_fma_f64 v[4:5], v[28:29], v[8:9], -v[4:5]
	v_add_f64 v[2:3], v[2:3], v[4:5]
	v_mul_f64 v[4:5], v[34:35], v[226:227]
	v_fma_f64 v[4:5], v[32:33], v[222:223], -v[4:5]
	v_add_f64 v[2:3], v[2:3], v[4:5]
	v_accvgpr_read_b32 v4, a158
	v_accvgpr_read_b32 v5, a159
	v_mul_f64 v[4:5], v[38:39], v[4:5]
	v_fma_f64 v[4:5], v[36:37], v[232:233], -v[4:5]
	v_add_f64 v[2:3], v[2:3], v[4:5]
	v_mul_f64 v[4:5], v[42:43], v[228:229]
	v_fma_f64 v[4:5], v[40:41], v[224:225], -v[4:5]
	v_add_f64 v[2:3], v[2:3], v[4:5]
	;; [unrolled: 3-line block ×10, first 2 shown]
	v_mul_f64 v[4:5], v[78:79], v[152:153]
	v_fma_f64 v[4:5], v[76:77], v[154:155], -v[4:5]
	s_waitcnt vmcnt(6) lgkmcnt(0)
	v_mul_f64 v[108:109], v[104:105], v[0:1]
	v_add_f64 v[2:3], v[2:3], v[4:5]
	s_waitcnt vmcnt(4)
	v_fmac_f64_e32 v[108:109], v[106:107], v[180:181]
	v_add_f64 v[6:7], v[6:7], v[108:109]
	ds_read_b128 v[108:111], v254 offset:1472
	v_mul_f64 v[4:5], v[82:83], v[158:159]
	v_fma_f64 v[4:5], v[80:81], v[160:161], -v[4:5]
	v_add_f64 v[2:3], v[2:3], v[4:5]
	v_mul_f64 v[4:5], v[86:87], v[88:89]
	s_waitcnt vmcnt(2) lgkmcnt(0)
	v_mul_f64 v[188:189], v[108:109], v[182:183]
	s_waitcnt vmcnt(0)
	v_fmac_f64_e32 v[188:189], v[110:111], v[184:185]
	v_add_f64 v[6:7], v[6:7], v[188:189]
	buffer_load_dword v189, off, s[0:3], 0 offset:764
	buffer_load_dword v188, off, s[0:3], 0 offset:760
	;; [unrolled: 1-line block ×4, first 2 shown]
	ds_read_b128 v[202:205], v254 offset:1488
	v_fma_f64 v[4:5], v[84:85], v[156:157], -v[4:5]
	v_add_f64 v[2:3], v[2:3], v[4:5]
	v_mul_f64 v[4:5], v[208:209], v[162:163]
	v_fma_f64 v[4:5], v[206:207], v[164:165], -v[4:5]
	v_add_f64 v[2:3], v[2:3], v[4:5]
	v_mul_f64 v[4:5], v[94:95], v[166:167]
	v_fma_f64 v[4:5], v[92:93], v[170:171], -v[4:5]
	v_add_f64 v[2:3], v[2:3], v[4:5]
	v_mul_f64 v[4:5], v[98:99], v[168:169]
	v_fma_f64 v[4:5], v[96:97], v[172:173], -v[4:5]
	v_add_f64 v[2:3], v[2:3], v[4:5]
	v_mul_f64 v[4:5], v[102:103], v[174:175]
	v_fma_f64 v[4:5], v[100:101], v[176:177], -v[4:5]
	v_mul_f64 v[0:1], v[106:107], v[0:1]
	v_add_f64 v[2:3], v[2:3], v[4:5]
	v_fma_f64 v[0:1], v[104:105], v[180:181], -v[0:1]
	v_add_f64 v[0:1], v[2:3], v[0:1]
	v_mul_f64 v[2:3], v[110:111], v[182:183]
	v_fma_f64 v[2:3], v[108:109], v[184:185], -v[2:3]
	v_add_f64 v[0:1], v[0:1], v[2:3]
	s_waitcnt vmcnt(2) lgkmcnt(0)
	v_mul_f64 v[194:195], v[202:203], v[188:189]
	v_mul_f64 v[2:3], v[204:205], v[188:189]
	s_waitcnt vmcnt(0)
	v_fmac_f64_e32 v[194:195], v[204:205], v[190:191]
	v_add_f64 v[6:7], v[6:7], v[194:195]
	buffer_load_dword v194, off, s[0:3], 0 offset:16
	buffer_load_dword v195, off, s[0:3], 0 offset:20
	;; [unrolled: 1-line block ×4, first 2 shown]
	v_fma_f64 v[2:3], v[202:203], v[190:191], -v[2:3]
	v_add_f64 v[0:1], v[0:1], v[2:3]
	s_waitcnt vmcnt(2)
	v_add_f64 v[0:1], v[194:195], -v[0:1]
	s_waitcnt vmcnt(0)
	v_add_f64 v[2:3], v[192:193], -v[6:7]
	buffer_store_dword v1, off, s[0:3], 0 offset:20
	buffer_store_dword v0, off, s[0:3], 0 offset:16
	;; [unrolled: 1-line block ×4, first 2 shown]
	s_cbranch_vccz .LBB110_389
; %bb.296:
	v_pk_mov_b32 v[0:1], s[10:11], s[10:11] op_sel:[0,1]
	flat_load_dword v0, v[0:1] offset:180
	s_waitcnt vmcnt(0) lgkmcnt(0)
	v_add_u32_e32 v0, -1, v0
	v_cmp_ne_u32_e32 vcc, 45, v0
	s_and_saveexec_b64 s[4:5], vcc
	s_cbranch_execz .LBB110_298
; %bb.297:
	v_mov_b32_e32 v1, 16
	v_accvgpr_read_b32 v9, a95
	v_lshl_add_u32 v0, v0, 4, v1
	buffer_load_dword v1, v9, s[0:3], 0 offen offset:4
	buffer_load_dword v2, v9, s[0:3], 0 offen offset:8
	buffer_load_dword v3, v9, s[0:3], 0 offen offset:12
	buffer_load_dword v4, v0, s[0:3], 0 offen
	buffer_load_dword v5, v0, s[0:3], 0 offen offset:4
	buffer_load_dword v6, v0, s[0:3], 0 offen offset:8
	buffer_load_dword v7, v0, s[0:3], 0 offen offset:12
	buffer_load_dword v8, v9, s[0:3], 0 offen
	s_waitcnt vmcnt(4)
	buffer_store_dword v4, v9, s[0:3], 0 offen
	s_waitcnt vmcnt(4)
	buffer_store_dword v5, v9, s[0:3], 0 offen offset:4
	s_waitcnt vmcnt(4)
	buffer_store_dword v6, v9, s[0:3], 0 offen offset:8
	s_waitcnt vmcnt(4)
	buffer_store_dword v7, v9, s[0:3], 0 offen offset:12
	buffer_store_dword v3, v0, s[0:3], 0 offen offset:12
	buffer_store_dword v2, v0, s[0:3], 0 offen offset:8
	buffer_store_dword v1, v0, s[0:3], 0 offen offset:4
	s_waitcnt vmcnt(7)
	buffer_store_dword v8, v0, s[0:3], 0 offen
.LBB110_298:
	s_or_b64 exec, exec, s[4:5]
	v_pk_mov_b32 v[0:1], s[10:11], s[10:11] op_sel:[0,1]
	flat_load_dword v0, v[0:1] offset:176
	s_waitcnt vmcnt(0) lgkmcnt(0)
	v_add_u32_e32 v0, -1, v0
	v_cmp_ne_u32_e32 vcc, 44, v0
	s_and_saveexec_b64 s[4:5], vcc
	s_cbranch_execz .LBB110_300
; %bb.299:
	v_mov_b32_e32 v1, 16
	v_accvgpr_read_b32 v9, a96
	v_lshl_add_u32 v0, v0, 4, v1
	buffer_load_dword v1, v9, s[0:3], 0 offen offset:4
	buffer_load_dword v2, v9, s[0:3], 0 offen offset:8
	buffer_load_dword v3, v9, s[0:3], 0 offen offset:12
	buffer_load_dword v4, v0, s[0:3], 0 offen
	buffer_load_dword v5, v0, s[0:3], 0 offen offset:4
	buffer_load_dword v6, v0, s[0:3], 0 offen offset:8
	buffer_load_dword v7, v0, s[0:3], 0 offen offset:12
	buffer_load_dword v8, v9, s[0:3], 0 offen
	s_waitcnt vmcnt(4)
	buffer_store_dword v4, v9, s[0:3], 0 offen
	s_waitcnt vmcnt(4)
	buffer_store_dword v5, v9, s[0:3], 0 offen offset:4
	s_waitcnt vmcnt(4)
	buffer_store_dword v6, v9, s[0:3], 0 offen offset:8
	s_waitcnt vmcnt(4)
	buffer_store_dword v7, v9, s[0:3], 0 offen offset:12
	buffer_store_dword v3, v0, s[0:3], 0 offen offset:12
	buffer_store_dword v2, v0, s[0:3], 0 offen offset:8
	buffer_store_dword v1, v0, s[0:3], 0 offen offset:4
	s_waitcnt vmcnt(7)
	buffer_store_dword v8, v0, s[0:3], 0 offen
.LBB110_300:
	s_or_b64 exec, exec, s[4:5]
	;; [unrolled: 34-line block ×45, first 2 shown]
	v_pk_mov_b32 v[0:1], s[10:11], s[10:11] op_sel:[0,1]
	flat_load_dword v0, v[0:1]
	s_waitcnt vmcnt(0) lgkmcnt(0)
	v_add_u32_e32 v0, -1, v0
	v_cmp_ne_u32_e32 vcc, 0, v0
	s_and_saveexec_b64 s[4:5], vcc
	s_cbranch_execz .LBB110_388
; %bb.387:
	v_mov_b32_e32 v1, 16
	v_lshl_add_u32 v0, v0, 4, v1
	buffer_load_dword v1, v0, s[0:3], 0 offen
	buffer_load_dword v2, v0, s[0:3], 0 offen offset:4
	buffer_load_dword v3, v0, s[0:3], 0 offen offset:8
	;; [unrolled: 1-line block ×3, first 2 shown]
	buffer_load_dword v5, off, s[0:3], 0 offset:28
	buffer_load_dword v6, off, s[0:3], 0 offset:24
	;; [unrolled: 1-line block ×4, first 2 shown]
	s_waitcnt vmcnt(7)
	buffer_store_dword v1, off, s[0:3], 0 offset:16
	s_waitcnt vmcnt(7)
	buffer_store_dword v2, off, s[0:3], 0 offset:20
	;; [unrolled: 2-line block ×4, first 2 shown]
	s_waitcnt vmcnt(7)
	buffer_store_dword v5, v0, s[0:3], 0 offen offset:12
	s_waitcnt vmcnt(7)
	buffer_store_dword v6, v0, s[0:3], 0 offen offset:8
	;; [unrolled: 2-line block ×3, first 2 shown]
	s_waitcnt vmcnt(7)
	buffer_store_dword v8, v0, s[0:3], 0 offen
.LBB110_388:
	s_or_b64 exec, exec, s[4:5]
.LBB110_389:
	buffer_load_dword v0, off, s[0:3], 0 offset:16
	buffer_load_dword v1, off, s[0:3], 0 offset:20
	;; [unrolled: 1-line block ×4, first 2 shown]
	v_accvgpr_read_b32 v5, a1
	v_accvgpr_read_b32 v4, a0
	s_waitcnt vmcnt(0)
	global_store_dwordx4 v[4:5], v[0:3], off
	s_nop 0
	v_accvgpr_read_b32 v3, a139
	buffer_load_dword v0, v3, s[0:3], 0 offen
	buffer_load_dword v1, v3, s[0:3], 0 offen offset:4
	buffer_load_dword v2, v3, s[0:3], 0 offen offset:8
	s_nop 0
	buffer_load_dword v3, v3, s[0:3], 0 offen offset:12
	v_accvgpr_read_b32 v5, a3
	v_accvgpr_read_b32 v4, a2
	s_waitcnt vmcnt(0)
	global_store_dwordx4 v[4:5], v[0:3], off
	s_nop 0
	v_accvgpr_read_b32 v3, a138
	buffer_load_dword v0, v3, s[0:3], 0 offen
	buffer_load_dword v1, v3, s[0:3], 0 offen offset:4
	buffer_load_dword v2, v3, s[0:3], 0 offen offset:8
	s_nop 0
	buffer_load_dword v3, v3, s[0:3], 0 offen offset:12
	;; [unrolled: 11-line block ×5, first 2 shown]
	v_accvgpr_read_b32 v4, a8
	v_accvgpr_read_b32 v5, a9
	s_waitcnt vmcnt(0)
	global_store_dwordx4 v[4:5], v[0:3], off
	v_accvgpr_read_b32 v4, a134
	buffer_load_dword v0, v4, s[0:3], 0 offen
	buffer_load_dword v1, v4, s[0:3], 0 offen offset:4
	buffer_load_dword v2, v4, s[0:3], 0 offen offset:8
	buffer_load_dword v3, v4, s[0:3], 0 offen offset:12
	v_accvgpr_read_b32 v4, a14
	v_accvgpr_read_b32 v5, a15
	s_waitcnt vmcnt(0)
	global_store_dwordx4 v[4:5], v[0:3], off
	v_accvgpr_read_b32 v4, a133
	buffer_load_dword v0, v4, s[0:3], 0 offen
	buffer_load_dword v1, v4, s[0:3], 0 offen offset:4
	buffer_load_dword v2, v4, s[0:3], 0 offen offset:8
	buffer_load_dword v3, v4, s[0:3], 0 offen offset:12
	v_accvgpr_read_b32 v4, a10
	v_accvgpr_read_b32 v5, a11
	s_waitcnt vmcnt(0)
	global_store_dwordx4 v[4:5], v[0:3], off
	v_accvgpr_read_b32 v4, a132
	buffer_load_dword v0, v4, s[0:3], 0 offen
	buffer_load_dword v1, v4, s[0:3], 0 offen offset:4
	buffer_load_dword v2, v4, s[0:3], 0 offen offset:8
	buffer_load_dword v3, v4, s[0:3], 0 offen offset:12
	v_accvgpr_read_b32 v4, a16
	v_accvgpr_read_b32 v5, a17
	s_waitcnt vmcnt(0)
	global_store_dwordx4 v[4:5], v[0:3], off
	v_accvgpr_read_b32 v4, a131
	buffer_load_dword v0, v4, s[0:3], 0 offen
	buffer_load_dword v1, v4, s[0:3], 0 offen offset:4
	buffer_load_dword v2, v4, s[0:3], 0 offen offset:8
	buffer_load_dword v3, v4, s[0:3], 0 offen offset:12
	v_accvgpr_read_b32 v4, a18
	v_accvgpr_read_b32 v5, a19
	s_waitcnt vmcnt(0)
	global_store_dwordx4 v[4:5], v[0:3], off
	v_accvgpr_read_b32 v4, a130
	buffer_load_dword v0, v4, s[0:3], 0 offen
	buffer_load_dword v1, v4, s[0:3], 0 offen offset:4
	buffer_load_dword v2, v4, s[0:3], 0 offen offset:8
	buffer_load_dword v3, v4, s[0:3], 0 offen offset:12
	v_accvgpr_read_b32 v4, a20
	v_accvgpr_read_b32 v5, a21
	s_waitcnt vmcnt(0)
	global_store_dwordx4 v[4:5], v[0:3], off
	v_accvgpr_read_b32 v4, a129
	buffer_load_dword v0, v4, s[0:3], 0 offen
	buffer_load_dword v1, v4, s[0:3], 0 offen offset:4
	buffer_load_dword v2, v4, s[0:3], 0 offen offset:8
	buffer_load_dword v3, v4, s[0:3], 0 offen offset:12
	v_accvgpr_read_b32 v4, a22
	v_accvgpr_read_b32 v5, a23
	s_waitcnt vmcnt(0)
	global_store_dwordx4 v[4:5], v[0:3], off
	v_accvgpr_read_b32 v4, a128
	buffer_load_dword v0, v4, s[0:3], 0 offen
	buffer_load_dword v1, v4, s[0:3], 0 offen offset:4
	buffer_load_dword v2, v4, s[0:3], 0 offen offset:8
	buffer_load_dword v3, v4, s[0:3], 0 offen offset:12
	v_accvgpr_read_b32 v4, a24
	v_accvgpr_read_b32 v5, a25
	s_waitcnt vmcnt(0)
	global_store_dwordx4 v[4:5], v[0:3], off
	v_accvgpr_read_b32 v4, a127
	buffer_load_dword v0, v4, s[0:3], 0 offen
	buffer_load_dword v1, v4, s[0:3], 0 offen offset:4
	buffer_load_dword v2, v4, s[0:3], 0 offen offset:8
	buffer_load_dword v3, v4, s[0:3], 0 offen offset:12
	v_accvgpr_read_b32 v4, a26
	v_accvgpr_read_b32 v5, a27
	s_waitcnt vmcnt(0)
	global_store_dwordx4 v[4:5], v[0:3], off
	v_accvgpr_read_b32 v4, a126
	buffer_load_dword v0, v4, s[0:3], 0 offen
	buffer_load_dword v1, v4, s[0:3], 0 offen offset:4
	buffer_load_dword v2, v4, s[0:3], 0 offen offset:8
	buffer_load_dword v3, v4, s[0:3], 0 offen offset:12
	v_accvgpr_read_b32 v4, a28
	v_accvgpr_read_b32 v5, a29
	s_waitcnt vmcnt(0)
	global_store_dwordx4 v[4:5], v[0:3], off
	v_accvgpr_read_b32 v4, a125
	buffer_load_dword v0, v4, s[0:3], 0 offen
	buffer_load_dword v1, v4, s[0:3], 0 offen offset:4
	buffer_load_dword v2, v4, s[0:3], 0 offen offset:8
	buffer_load_dword v3, v4, s[0:3], 0 offen offset:12
	v_accvgpr_read_b32 v4, a30
	v_accvgpr_read_b32 v5, a31
	s_waitcnt vmcnt(0)
	global_store_dwordx4 v[4:5], v[0:3], off
	v_accvgpr_read_b32 v4, a124
	buffer_load_dword v0, v4, s[0:3], 0 offen
	buffer_load_dword v1, v4, s[0:3], 0 offen offset:4
	buffer_load_dword v2, v4, s[0:3], 0 offen offset:8
	buffer_load_dword v3, v4, s[0:3], 0 offen offset:12
	v_accvgpr_read_b32 v4, a32
	v_accvgpr_read_b32 v5, a33
	s_waitcnt vmcnt(0)
	global_store_dwordx4 v[4:5], v[0:3], off
	v_accvgpr_read_b32 v4, a123
	buffer_load_dword v0, v4, s[0:3], 0 offen
	buffer_load_dword v1, v4, s[0:3], 0 offen offset:4
	buffer_load_dword v2, v4, s[0:3], 0 offen offset:8
	buffer_load_dword v3, v4, s[0:3], 0 offen offset:12
	v_accvgpr_read_b32 v4, a34
	v_accvgpr_read_b32 v5, a35
	s_waitcnt vmcnt(0)
	global_store_dwordx4 v[4:5], v[0:3], off
	v_accvgpr_read_b32 v4, a122
	buffer_load_dword v0, v4, s[0:3], 0 offen
	buffer_load_dword v1, v4, s[0:3], 0 offen offset:4
	buffer_load_dword v2, v4, s[0:3], 0 offen offset:8
	buffer_load_dword v3, v4, s[0:3], 0 offen offset:12
	v_accvgpr_read_b32 v4, a36
	v_accvgpr_read_b32 v5, a37
	s_waitcnt vmcnt(0)
	global_store_dwordx4 v[4:5], v[0:3], off
	v_accvgpr_read_b32 v4, a121
	buffer_load_dword v0, v4, s[0:3], 0 offen
	buffer_load_dword v1, v4, s[0:3], 0 offen offset:4
	buffer_load_dword v2, v4, s[0:3], 0 offen offset:8
	buffer_load_dword v3, v4, s[0:3], 0 offen offset:12
	v_accvgpr_read_b32 v4, a38
	v_accvgpr_read_b32 v5, a39
	s_waitcnt vmcnt(0)
	global_store_dwordx4 v[4:5], v[0:3], off
	v_accvgpr_read_b32 v4, a120
	buffer_load_dword v0, v4, s[0:3], 0 offen
	buffer_load_dword v1, v4, s[0:3], 0 offen offset:4
	buffer_load_dword v2, v4, s[0:3], 0 offen offset:8
	buffer_load_dword v3, v4, s[0:3], 0 offen offset:12
	v_accvgpr_read_b32 v4, a40
	v_accvgpr_read_b32 v5, a41
	s_waitcnt vmcnt(0)
	global_store_dwordx4 v[4:5], v[0:3], off
	v_accvgpr_read_b32 v4, a119
	buffer_load_dword v0, v4, s[0:3], 0 offen
	buffer_load_dword v1, v4, s[0:3], 0 offen offset:4
	buffer_load_dword v2, v4, s[0:3], 0 offen offset:8
	buffer_load_dword v3, v4, s[0:3], 0 offen offset:12
	v_accvgpr_read_b32 v4, a42
	v_accvgpr_read_b32 v5, a43
	s_waitcnt vmcnt(0)
	global_store_dwordx4 v[4:5], v[0:3], off
	v_accvgpr_read_b32 v4, a118
	buffer_load_dword v0, v4, s[0:3], 0 offen
	buffer_load_dword v1, v4, s[0:3], 0 offen offset:4
	buffer_load_dword v2, v4, s[0:3], 0 offen offset:8
	buffer_load_dword v3, v4, s[0:3], 0 offen offset:12
	v_accvgpr_read_b32 v4, a44
	v_accvgpr_read_b32 v5, a45
	s_waitcnt vmcnt(0)
	global_store_dwordx4 v[4:5], v[0:3], off
	v_accvgpr_read_b32 v4, a117
	buffer_load_dword v0, v4, s[0:3], 0 offen
	buffer_load_dword v1, v4, s[0:3], 0 offen offset:4
	buffer_load_dword v2, v4, s[0:3], 0 offen offset:8
	buffer_load_dword v3, v4, s[0:3], 0 offen offset:12
	v_accvgpr_read_b32 v4, a46
	v_accvgpr_read_b32 v5, a47
	s_waitcnt vmcnt(0)
	global_store_dwordx4 v[4:5], v[0:3], off
	v_accvgpr_read_b32 v4, a116
	buffer_load_dword v0, v4, s[0:3], 0 offen
	buffer_load_dword v1, v4, s[0:3], 0 offen offset:4
	buffer_load_dword v2, v4, s[0:3], 0 offen offset:8
	buffer_load_dword v3, v4, s[0:3], 0 offen offset:12
	v_accvgpr_read_b32 v4, a48
	v_accvgpr_read_b32 v5, a49
	s_waitcnt vmcnt(0)
	global_store_dwordx4 v[4:5], v[0:3], off
	v_accvgpr_read_b32 v4, a115
	buffer_load_dword v0, v4, s[0:3], 0 offen
	buffer_load_dword v1, v4, s[0:3], 0 offen offset:4
	buffer_load_dword v2, v4, s[0:3], 0 offen offset:8
	buffer_load_dword v3, v4, s[0:3], 0 offen offset:12
	v_accvgpr_read_b32 v4, a50
	v_accvgpr_read_b32 v5, a51
	s_waitcnt vmcnt(0)
	global_store_dwordx4 v[4:5], v[0:3], off
	v_accvgpr_read_b32 v4, a114
	buffer_load_dword v0, v4, s[0:3], 0 offen
	buffer_load_dword v1, v4, s[0:3], 0 offen offset:4
	buffer_load_dword v2, v4, s[0:3], 0 offen offset:8
	buffer_load_dword v3, v4, s[0:3], 0 offen offset:12
	v_accvgpr_read_b32 v4, a52
	v_accvgpr_read_b32 v5, a53
	s_waitcnt vmcnt(0)
	global_store_dwordx4 v[4:5], v[0:3], off
	v_accvgpr_read_b32 v4, a113
	buffer_load_dword v0, v4, s[0:3], 0 offen
	buffer_load_dword v1, v4, s[0:3], 0 offen offset:4
	buffer_load_dword v2, v4, s[0:3], 0 offen offset:8
	buffer_load_dword v3, v4, s[0:3], 0 offen offset:12
	v_accvgpr_read_b32 v4, a56
	v_accvgpr_read_b32 v5, a57
	s_waitcnt vmcnt(0)
	global_store_dwordx4 v[4:5], v[0:3], off
	v_accvgpr_read_b32 v4, a112
	buffer_load_dword v0, v4, s[0:3], 0 offen
	buffer_load_dword v1, v4, s[0:3], 0 offen offset:4
	buffer_load_dword v2, v4, s[0:3], 0 offen offset:8
	buffer_load_dword v3, v4, s[0:3], 0 offen offset:12
	v_accvgpr_read_b32 v4, a58
	v_accvgpr_read_b32 v5, a59
	s_waitcnt vmcnt(0)
	global_store_dwordx4 v[4:5], v[0:3], off
	v_accvgpr_read_b32 v4, a111
	buffer_load_dword v0, v4, s[0:3], 0 offen
	buffer_load_dword v1, v4, s[0:3], 0 offen offset:4
	buffer_load_dword v2, v4, s[0:3], 0 offen offset:8
	buffer_load_dword v3, v4, s[0:3], 0 offen offset:12
	v_accvgpr_read_b32 v4, a60
	v_accvgpr_read_b32 v5, a61
	s_waitcnt vmcnt(0)
	global_store_dwordx4 v[4:5], v[0:3], off
	v_accvgpr_read_b32 v4, a110
	buffer_load_dword v0, v4, s[0:3], 0 offen
	buffer_load_dword v1, v4, s[0:3], 0 offen offset:4
	buffer_load_dword v2, v4, s[0:3], 0 offen offset:8
	buffer_load_dword v3, v4, s[0:3], 0 offen offset:12
	v_accvgpr_read_b32 v4, a62
	v_accvgpr_read_b32 v5, a63
	s_waitcnt vmcnt(0)
	global_store_dwordx4 v[4:5], v[0:3], off
	v_accvgpr_read_b32 v4, a109
	buffer_load_dword v0, v4, s[0:3], 0 offen
	buffer_load_dword v1, v4, s[0:3], 0 offen offset:4
	buffer_load_dword v2, v4, s[0:3], 0 offen offset:8
	buffer_load_dword v3, v4, s[0:3], 0 offen offset:12
	v_accvgpr_read_b32 v4, a64
	v_accvgpr_read_b32 v5, a65
	s_waitcnt vmcnt(0)
	global_store_dwordx4 v[4:5], v[0:3], off
	v_accvgpr_read_b32 v4, a108
	buffer_load_dword v0, v4, s[0:3], 0 offen
	buffer_load_dword v1, v4, s[0:3], 0 offen offset:4
	buffer_load_dword v2, v4, s[0:3], 0 offen offset:8
	buffer_load_dword v3, v4, s[0:3], 0 offen offset:12
	v_accvgpr_read_b32 v4, a66
	v_accvgpr_read_b32 v5, a67
	s_waitcnt vmcnt(0)
	global_store_dwordx4 v[4:5], v[0:3], off
	v_accvgpr_read_b32 v4, a107
	buffer_load_dword v0, v4, s[0:3], 0 offen
	buffer_load_dword v1, v4, s[0:3], 0 offen offset:4
	buffer_load_dword v2, v4, s[0:3], 0 offen offset:8
	buffer_load_dword v3, v4, s[0:3], 0 offen offset:12
	v_accvgpr_read_b32 v4, a68
	v_accvgpr_read_b32 v5, a69
	s_waitcnt vmcnt(0)
	global_store_dwordx4 v[4:5], v[0:3], off
	v_accvgpr_read_b32 v4, a106
	buffer_load_dword v0, v4, s[0:3], 0 offen
	buffer_load_dword v1, v4, s[0:3], 0 offen offset:4
	buffer_load_dword v2, v4, s[0:3], 0 offen offset:8
	buffer_load_dword v3, v4, s[0:3], 0 offen offset:12
	v_accvgpr_read_b32 v4, a70
	v_accvgpr_read_b32 v5, a71
	s_waitcnt vmcnt(0)
	global_store_dwordx4 v[4:5], v[0:3], off
	v_accvgpr_read_b32 v4, a105
	buffer_load_dword v0, v4, s[0:3], 0 offen
	buffer_load_dword v1, v4, s[0:3], 0 offen offset:4
	buffer_load_dword v2, v4, s[0:3], 0 offen offset:8
	buffer_load_dword v3, v4, s[0:3], 0 offen offset:12
	v_accvgpr_read_b32 v4, a72
	v_accvgpr_read_b32 v5, a73
	s_waitcnt vmcnt(0)
	global_store_dwordx4 v[4:5], v[0:3], off
	v_accvgpr_read_b32 v4, a104
	buffer_load_dword v0, v4, s[0:3], 0 offen
	buffer_load_dword v1, v4, s[0:3], 0 offen offset:4
	buffer_load_dword v2, v4, s[0:3], 0 offen offset:8
	buffer_load_dword v3, v4, s[0:3], 0 offen offset:12
	v_accvgpr_read_b32 v4, a74
	v_accvgpr_read_b32 v5, a75
	s_waitcnt vmcnt(0)
	global_store_dwordx4 v[4:5], v[0:3], off
	v_accvgpr_read_b32 v4, a103
	buffer_load_dword v0, v4, s[0:3], 0 offen
	buffer_load_dword v1, v4, s[0:3], 0 offen offset:4
	buffer_load_dword v2, v4, s[0:3], 0 offen offset:8
	buffer_load_dword v3, v4, s[0:3], 0 offen offset:12
	v_accvgpr_read_b32 v4, a76
	v_accvgpr_read_b32 v5, a77
	s_waitcnt vmcnt(0)
	global_store_dwordx4 v[4:5], v[0:3], off
	v_accvgpr_read_b32 v4, a102
	buffer_load_dword v0, v4, s[0:3], 0 offen
	buffer_load_dword v1, v4, s[0:3], 0 offen offset:4
	buffer_load_dword v2, v4, s[0:3], 0 offen offset:8
	buffer_load_dword v3, v4, s[0:3], 0 offen offset:12
	v_accvgpr_read_b32 v4, a78
	v_accvgpr_read_b32 v5, a79
	s_waitcnt vmcnt(0)
	global_store_dwordx4 v[4:5], v[0:3], off
	v_accvgpr_read_b32 v4, a101
	buffer_load_dword v0, v4, s[0:3], 0 offen
	buffer_load_dword v1, v4, s[0:3], 0 offen offset:4
	buffer_load_dword v2, v4, s[0:3], 0 offen offset:8
	buffer_load_dword v3, v4, s[0:3], 0 offen offset:12
	v_accvgpr_read_b32 v4, a80
	v_accvgpr_read_b32 v5, a81
	s_waitcnt vmcnt(0)
	global_store_dwordx4 v[4:5], v[0:3], off
	v_accvgpr_read_b32 v4, a100
	buffer_load_dword v0, v4, s[0:3], 0 offen
	buffer_load_dword v1, v4, s[0:3], 0 offen offset:4
	buffer_load_dword v2, v4, s[0:3], 0 offen offset:8
	buffer_load_dword v3, v4, s[0:3], 0 offen offset:12
	v_accvgpr_read_b32 v4, a82
	v_accvgpr_read_b32 v5, a83
	s_waitcnt vmcnt(0)
	global_store_dwordx4 v[4:5], v[0:3], off
	v_accvgpr_read_b32 v4, a99
	buffer_load_dword v0, v4, s[0:3], 0 offen
	buffer_load_dword v1, v4, s[0:3], 0 offen offset:4
	buffer_load_dword v2, v4, s[0:3], 0 offen offset:8
	buffer_load_dword v3, v4, s[0:3], 0 offen offset:12
	v_accvgpr_read_b32 v4, a84
	v_accvgpr_read_b32 v5, a85
	s_waitcnt vmcnt(0)
	global_store_dwordx4 v[4:5], v[0:3], off
	v_accvgpr_read_b32 v4, a98
	buffer_load_dword v0, v4, s[0:3], 0 offen
	buffer_load_dword v1, v4, s[0:3], 0 offen offset:4
	buffer_load_dword v2, v4, s[0:3], 0 offen offset:8
	buffer_load_dword v3, v4, s[0:3], 0 offen offset:12
	v_accvgpr_read_b32 v4, a86
	v_accvgpr_read_b32 v5, a87
	s_waitcnt vmcnt(0)
	global_store_dwordx4 v[4:5], v[0:3], off
	v_accvgpr_read_b32 v4, a97
	buffer_load_dword v0, v4, s[0:3], 0 offen
	buffer_load_dword v1, v4, s[0:3], 0 offen offset:4
	buffer_load_dword v2, v4, s[0:3], 0 offen offset:8
	buffer_load_dword v3, v4, s[0:3], 0 offen offset:12
	v_accvgpr_read_b32 v4, a88
	v_accvgpr_read_b32 v5, a89
	s_waitcnt vmcnt(0)
	global_store_dwordx4 v[4:5], v[0:3], off
	v_accvgpr_read_b32 v4, a96
	buffer_load_dword v0, v4, s[0:3], 0 offen
	buffer_load_dword v1, v4, s[0:3], 0 offen offset:4
	buffer_load_dword v2, v4, s[0:3], 0 offen offset:8
	buffer_load_dword v3, v4, s[0:3], 0 offen offset:12
	v_accvgpr_read_b32 v4, a90
	v_accvgpr_read_b32 v5, a91
	s_waitcnt vmcnt(0)
	global_store_dwordx4 v[4:5], v[0:3], off
	v_accvgpr_read_b32 v4, a95
	buffer_load_dword v0, v4, s[0:3], 0 offen
	buffer_load_dword v1, v4, s[0:3], 0 offen offset:4
	buffer_load_dword v2, v4, s[0:3], 0 offen offset:8
	buffer_load_dword v3, v4, s[0:3], 0 offen offset:12
	v_accvgpr_read_b32 v4, a92
	v_accvgpr_read_b32 v5, a93
	s_waitcnt vmcnt(0)
	global_store_dwordx4 v[4:5], v[0:3], off
	v_accvgpr_read_b32 v4, a94
	buffer_load_dword v0, v4, s[0:3], 0 offen
	buffer_load_dword v1, v4, s[0:3], 0 offen offset:4
	buffer_load_dword v2, v4, s[0:3], 0 offen offset:8
	buffer_load_dword v3, v4, s[0:3], 0 offen offset:12
	v_accvgpr_read_b32 v4, a54
	v_accvgpr_read_b32 v5, a55
	s_waitcnt vmcnt(0)
	global_store_dwordx4 v[4:5], v[0:3], off
	s_endpgm
	.section	.rodata,"a",@progbits
	.p2align	6, 0x0
	.amdhsa_kernel _ZN9rocsolver6v33100L18getri_kernel_smallILi47E19rocblas_complex_numIdEPKPS3_EEvT1_iilPiilS8_bb
		.amdhsa_group_segment_fixed_size 1512
		.amdhsa_private_segment_fixed_size 784
		.amdhsa_kernarg_size 60
		.amdhsa_user_sgpr_count 8
		.amdhsa_user_sgpr_private_segment_buffer 1
		.amdhsa_user_sgpr_dispatch_ptr 0
		.amdhsa_user_sgpr_queue_ptr 0
		.amdhsa_user_sgpr_kernarg_segment_ptr 1
		.amdhsa_user_sgpr_dispatch_id 0
		.amdhsa_user_sgpr_flat_scratch_init 1
		.amdhsa_user_sgpr_kernarg_preload_length 0
		.amdhsa_user_sgpr_kernarg_preload_offset 0
		.amdhsa_user_sgpr_private_segment_size 0
		.amdhsa_uses_dynamic_stack 0
		.amdhsa_system_sgpr_private_segment_wavefront_offset 1
		.amdhsa_system_sgpr_workgroup_id_x 1
		.amdhsa_system_sgpr_workgroup_id_y 0
		.amdhsa_system_sgpr_workgroup_id_z 0
		.amdhsa_system_sgpr_workgroup_info 0
		.amdhsa_system_vgpr_workitem_id 0
		.amdhsa_next_free_vgpr 416
		.amdhsa_next_free_sgpr 22
		.amdhsa_accum_offset 256
		.amdhsa_reserve_vcc 1
		.amdhsa_reserve_flat_scratch 1
		.amdhsa_float_round_mode_32 0
		.amdhsa_float_round_mode_16_64 0
		.amdhsa_float_denorm_mode_32 3
		.amdhsa_float_denorm_mode_16_64 3
		.amdhsa_dx10_clamp 1
		.amdhsa_ieee_mode 1
		.amdhsa_fp16_overflow 0
		.amdhsa_tg_split 0
		.amdhsa_exception_fp_ieee_invalid_op 0
		.amdhsa_exception_fp_denorm_src 0
		.amdhsa_exception_fp_ieee_div_zero 0
		.amdhsa_exception_fp_ieee_overflow 0
		.amdhsa_exception_fp_ieee_underflow 0
		.amdhsa_exception_fp_ieee_inexact 0
		.amdhsa_exception_int_div_zero 0
	.end_amdhsa_kernel
	.section	.text._ZN9rocsolver6v33100L18getri_kernel_smallILi47E19rocblas_complex_numIdEPKPS3_EEvT1_iilPiilS8_bb,"axG",@progbits,_ZN9rocsolver6v33100L18getri_kernel_smallILi47E19rocblas_complex_numIdEPKPS3_EEvT1_iilPiilS8_bb,comdat
.Lfunc_end110:
	.size	_ZN9rocsolver6v33100L18getri_kernel_smallILi47E19rocblas_complex_numIdEPKPS3_EEvT1_iilPiilS8_bb, .Lfunc_end110-_ZN9rocsolver6v33100L18getri_kernel_smallILi47E19rocblas_complex_numIdEPKPS3_EEvT1_iilPiilS8_bb
                                        ; -- End function
	.section	.AMDGPU.csdata,"",@progbits
; Kernel info:
; codeLenInByte = 141608
; NumSgprs: 28
; NumVgprs: 256
; NumAgprs: 160
; TotalNumVgprs: 416
; ScratchSize: 784
; MemoryBound: 0
; FloatMode: 240
; IeeeMode: 1
; LDSByteSize: 1512 bytes/workgroup (compile time only)
; SGPRBlocks: 3
; VGPRBlocks: 51
; NumSGPRsForWavesPerEU: 28
; NumVGPRsForWavesPerEU: 416
; AccumOffset: 256
; Occupancy: 1
; WaveLimiterHint : 1
; COMPUTE_PGM_RSRC2:SCRATCH_EN: 1
; COMPUTE_PGM_RSRC2:USER_SGPR: 8
; COMPUTE_PGM_RSRC2:TRAP_HANDLER: 0
; COMPUTE_PGM_RSRC2:TGID_X_EN: 1
; COMPUTE_PGM_RSRC2:TGID_Y_EN: 0
; COMPUTE_PGM_RSRC2:TGID_Z_EN: 0
; COMPUTE_PGM_RSRC2:TIDIG_COMP_CNT: 0
; COMPUTE_PGM_RSRC3_GFX90A:ACCUM_OFFSET: 63
; COMPUTE_PGM_RSRC3_GFX90A:TG_SPLIT: 0
	.section	.text._ZN9rocsolver6v33100L18getri_kernel_smallILi48E19rocblas_complex_numIdEPKPS3_EEvT1_iilPiilS8_bb,"axG",@progbits,_ZN9rocsolver6v33100L18getri_kernel_smallILi48E19rocblas_complex_numIdEPKPS3_EEvT1_iilPiilS8_bb,comdat
	.globl	_ZN9rocsolver6v33100L18getri_kernel_smallILi48E19rocblas_complex_numIdEPKPS3_EEvT1_iilPiilS8_bb ; -- Begin function _ZN9rocsolver6v33100L18getri_kernel_smallILi48E19rocblas_complex_numIdEPKPS3_EEvT1_iilPiilS8_bb
	.p2align	8
	.type	_ZN9rocsolver6v33100L18getri_kernel_smallILi48E19rocblas_complex_numIdEPKPS3_EEvT1_iilPiilS8_bb,@function
_ZN9rocsolver6v33100L18getri_kernel_smallILi48E19rocblas_complex_numIdEPKPS3_EEvT1_iilPiilS8_bb: ; @_ZN9rocsolver6v33100L18getri_kernel_smallILi48E19rocblas_complex_numIdEPKPS3_EEvT1_iilPiilS8_bb
; %bb.0:
	s_add_u32 flat_scratch_lo, s6, s9
	s_addc_u32 flat_scratch_hi, s7, 0
	s_add_u32 s0, s0, s9
	v_mov_b32_e32 v254, v0
	s_addc_u32 s1, s1, 0
	v_cmp_gt_u32_e32 vcc, 48, v254
	s_and_saveexec_b64 s[6:7], vcc
	s_cbranch_execz .LBB111_206
; %bb.1:
	s_load_dword s18, s[4:5], 0x38
	s_load_dwordx2 s[6:7], s[4:5], 0x0
	s_load_dwordx4 s[12:15], s[4:5], 0x28
	s_waitcnt lgkmcnt(0)
	s_bitcmp1_b32 s18, 8
	s_cselect_b64 s[16:17], -1, 0
	s_ashr_i32 s9, s8, 31
	s_lshl_b64 s[10:11], s[8:9], 3
	s_add_u32 s6, s6, s10
	s_addc_u32 s7, s7, s11
	s_load_dwordx2 s[6:7], s[6:7], 0x0
	s_bfe_u32 s10, s18, 0x10008
	s_cmp_eq_u32 s10, 0
                                        ; implicit-def: $sgpr10_sgpr11
	s_cbranch_scc1 .LBB111_3
; %bb.2:
	s_load_dword s10, s[4:5], 0x20
	s_load_dwordx2 s[20:21], s[4:5], 0x18
	s_mul_i32 s11, s8, s13
	s_mul_hi_u32 s13, s8, s12
	s_add_i32 s13, s13, s11
	s_mul_i32 s19, s9, s12
	s_add_i32 s13, s13, s19
	s_mul_i32 s12, s8, s12
	s_waitcnt lgkmcnt(0)
	s_ashr_i32 s11, s10, 31
	s_lshl_b64 s[12:13], s[12:13], 2
	s_add_u32 s12, s20, s12
	s_addc_u32 s13, s21, s13
	s_lshl_b64 s[10:11], s[10:11], 2
	s_add_u32 s10, s12, s10
	s_addc_u32 s11, s13, s11
.LBB111_3:
	s_load_dwordx2 s[4:5], s[4:5], 0x8
	v_lshlrev_b32_e32 v1, 4, v254
	s_waitcnt lgkmcnt(0)
	s_ashr_i32 s13, s4, 31
	s_mov_b32 s12, s4
	s_lshl_b64 s[12:13], s[12:13], 4
	s_add_u32 s6, s6, s12
	s_addc_u32 s7, s7, s13
	s_add_i32 s4, s5, s5
	v_add_u32_e32 v2, s4, v254
	v_ashrrev_i32_e32 v3, 31, v2
	v_add_u32_e32 v4, s5, v2
	v_lshlrev_b64 v[2:3], 4, v[2:3]
	v_mov_b32_e32 v0, s7
	v_add_co_u32_e32 v2, vcc, s6, v2
	v_addc_co_u32_e32 v3, vcc, v0, v3, vcc
	global_load_dwordx4 v[6:9], v1, s[6:7]
	global_load_dwordx4 v[58:61], v[2:3], off
	v_add_co_u32_e32 v18, vcc, s6, v1
	s_mov_b32 s12, s5
	s_ashr_i32 s13, s5, 31
	v_addc_co_u32_e32 v19, vcc, 0, v0, vcc
	s_lshl_b64 s[12:13], s[12:13], 4
	v_mov_b32_e32 v0, s13
	v_add_co_u32_e32 v16, vcc, s12, v18
	v_addc_co_u32_e32 v17, vcc, v19, v0, vcc
	global_load_dwordx4 v[54:57], v[16:17], off
	v_accvgpr_write_b32 a45, v3
	v_ashrrev_i32_e32 v5, 31, v4
	v_accvgpr_write_b32 a44, v2
	v_lshlrev_b64 v[2:3], 4, v[4:5]
	v_add_u32_e32 v10, s5, v4
	v_mov_b32_e32 v0, s7
	v_add_co_u32_e32 v4, vcc, s6, v2
	v_addc_co_u32_e32 v5, vcc, v0, v3, vcc
	v_ashrrev_i32_e32 v11, 31, v10
	global_load_dwordx4 v[62:65], v[4:5], off
	v_lshlrev_b64 v[2:3], 4, v[10:11]
	v_add_co_u32_e32 v2, vcc, s6, v2
	v_add_u32_e32 v12, s5, v10
	v_addc_co_u32_e32 v3, vcc, v0, v3, vcc
	global_load_dwordx4 v[66:69], v[2:3], off
	v_accvgpr_write_b32 a47, v3
	v_ashrrev_i32_e32 v13, 31, v12
	v_accvgpr_write_b32 a59, v5
	v_accvgpr_write_b32 a46, v2
	v_lshlrev_b64 v[2:3], 4, v[12:13]
	v_accvgpr_write_b32 a58, v4
	v_add_co_u32_e32 v4, vcc, s6, v2
	v_add_u32_e32 v14, s5, v12
	v_addc_co_u32_e32 v5, vcc, v0, v3, vcc
	v_ashrrev_i32_e32 v15, 31, v14
	global_load_dwordx4 v[70:73], v[4:5], off
	v_lshlrev_b64 v[2:3], 4, v[14:15]
	v_add_co_u32_e32 v2, vcc, s6, v2
	v_addc_co_u32_e32 v3, vcc, v0, v3, vcc
	global_load_dwordx4 v[10:13], v[2:3], off
	v_add_u32_e32 v74, s5, v14
	v_add_u32_e32 v76, s5, v74
	;; [unrolled: 1-line block ×36, first 2 shown]
	v_accvgpr_write_b32 a79, v19
	v_add_u32_e32 v20, s5, v22
	v_accvgpr_write_b32 a78, v18
	v_accvgpr_write_b32 a73, v17
	v_add_u32_e32 v18, s5, v20
	v_accvgpr_write_b32 a72, v16
	v_add_u32_e32 v16, s5, v18
	;; [unrolled: 2-line block ×4, first 2 shown]
	v_ashrrev_i32_e32 v3, 31, v2
	v_lshlrev_b64 v[2:3], 4, v[2:3]
	v_add_co_u32_e32 v2, vcc, s6, v2
	v_accvgpr_write_b32 a49, v5
	v_addc_co_u32_e32 v3, vcc, v0, v3, vcc
	v_accvgpr_write_b32 a0, v2
	v_ashrrev_i32_e32 v75, 31, v74
	v_accvgpr_write_b32 a48, v4
	v_accvgpr_write_b32 a1, v3
	global_load_dwordx4 v[2:5], v[2:3], off
	s_waitcnt vmcnt(7)
	buffer_store_dword v9, off, s[0:3], 0 offset:28
	buffer_store_dword v8, off, s[0:3], 0 offset:24
	buffer_store_dword v7, off, s[0:3], 0 offset:20
	buffer_store_dword v6, off, s[0:3], 0 offset:16
	s_waitcnt vmcnt(9)
	buffer_store_dword v57, off, s[0:3], 0 offset:44
	buffer_store_dword v56, off, s[0:3], 0 offset:40
	;; [unrolled: 1-line block ×8, first 2 shown]
	s_waitcnt vmcnt(16)
	buffer_store_dword v65, off, s[0:3], 0 offset:76
	buffer_store_dword v64, off, s[0:3], 0 offset:72
	buffer_store_dword v63, off, s[0:3], 0 offset:68
	buffer_store_dword v62, off, s[0:3], 0 offset:64
	s_waitcnt vmcnt(19)
	buffer_store_dword v69, off, s[0:3], 0 offset:92
	buffer_store_dword v68, off, s[0:3], 0 offset:88
	buffer_store_dword v67, off, s[0:3], 0 offset:84
	buffer_store_dword v66, off, s[0:3], 0 offset:80
	;; [unrolled: 5-line block ×3, first 2 shown]
	s_waitcnt vmcnt(25)
	buffer_store_dword v13, off, s[0:3], 0 offset:124
	v_lshlrev_b64 v[6:7], 4, v[74:75]
	v_add_co_u32_e32 v8, vcc, s6, v6
	v_addc_co_u32_e32 v9, vcc, v0, v7, vcc
	v_ashrrev_i32_e32 v77, 31, v76
	global_load_dwordx4 v[54:57], v[8:9], off
	v_lshlrev_b64 v[6:7], 4, v[76:77]
	v_add_co_u32_e32 v6, vcc, s6, v6
	v_addc_co_u32_e32 v7, vcc, v0, v7, vcc
	global_load_dwordx4 v[58:61], v[6:7], off
	v_accvgpr_write_b32 a91, v7
	v_ashrrev_i32_e32 v79, 31, v78
	v_accvgpr_write_b32 a95, v9
	v_accvgpr_write_b32 a90, v6
	v_lshlrev_b64 v[6:7], 4, v[78:79]
	v_accvgpr_write_b32 a94, v8
	v_add_co_u32_e32 v8, vcc, s6, v6
	v_addc_co_u32_e32 v9, vcc, v0, v7, vcc
	v_ashrrev_i32_e32 v81, 31, v80
	global_load_dwordx4 v[62:65], v[8:9], off
	v_lshlrev_b64 v[6:7], 4, v[80:81]
	v_add_co_u32_e32 v6, vcc, s6, v6
	v_addc_co_u32_e32 v7, vcc, v0, v7, vcc
	global_load_dwordx4 v[66:69], v[6:7], off
	v_accvgpr_write_b32 a87, v7
	v_ashrrev_i32_e32 v83, 31, v82
	v_accvgpr_write_b32 a93, v9
	v_accvgpr_write_b32 a86, v6
	v_lshlrev_b64 v[6:7], 4, v[82:83]
	v_accvgpr_write_b32 a92, v8
	;; [unrolled: 14-line block ×5, first 2 shown]
	v_add_co_u32_e32 v8, vcc, s6, v6
	v_addc_co_u32_e32 v9, vcc, v0, v7, vcc
	v_ashrrev_i32_e32 v97, 31, v96
	v_lshlrev_b64 v[6:7], 4, v[96:97]
	global_load_dwordx4 v[94:97], v[8:9], off
	v_add_co_u32_e32 v6, vcc, s6, v6
	v_addc_co_u32_e32 v7, vcc, v0, v7, vcc
	global_load_dwordx4 v[98:101], v[6:7], off
	v_accvgpr_write_b32 a51, v7
	v_ashrrev_i32_e32 v103, 31, v102
	v_accvgpr_write_b32 a63, v9
	v_accvgpr_write_b32 a50, v6
	v_lshlrev_b64 v[6:7], 4, v[102:103]
	v_accvgpr_write_b32 a62, v8
	v_add_co_u32_e32 v8, vcc, s6, v6
	v_addc_co_u32_e32 v9, vcc, v0, v7, vcc
	v_ashrrev_i32_e32 v105, 31, v104
	v_lshlrev_b64 v[6:7], 4, v[104:105]
	global_load_dwordx4 v[102:105], v[8:9], off
	v_add_co_u32_e32 v6, vcc, s6, v6
	v_addc_co_u32_e32 v7, vcc, v0, v7, vcc
	global_load_dwordx4 v[106:109], v[6:7], off
	v_accvgpr_write_b32 a35, v7
	v_ashrrev_i32_e32 v111, 31, v110
	v_accvgpr_write_b32 a53, v9
	v_accvgpr_write_b32 a34, v6
	v_lshlrev_b64 v[6:7], 4, v[110:111]
	v_accvgpr_write_b32 a52, v8
	v_add_co_u32_e32 v8, vcc, s6, v6
	v_addc_co_u32_e32 v9, vcc, v0, v7, vcc
	v_ashrrev_i32_e32 v113, 31, v112
	v_lshlrev_b64 v[6:7], 4, v[112:113]
	global_load_dwordx4 v[110:113], v[8:9], off
	v_add_co_u32_e32 v6, vcc, s6, v6
	v_addc_co_u32_e32 v7, vcc, v0, v7, vcc
	global_load_dwordx4 v[114:117], v[6:7], off
	v_accvgpr_write_b32 a27, v7
	v_ashrrev_i32_e32 v119, 31, v118
	v_accvgpr_write_b32 a37, v9
	v_accvgpr_write_b32 a26, v6
	v_lshlrev_b64 v[6:7], 4, v[118:119]
	v_accvgpr_write_b32 a36, v8
	v_add_co_u32_e32 v8, vcc, s6, v6
	v_addc_co_u32_e32 v9, vcc, v0, v7, vcc
	v_ashrrev_i32_e32 v121, 31, v120
	v_lshlrev_b64 v[6:7], 4, v[120:121]
	global_load_dwordx4 v[118:121], v[8:9], off
	v_add_co_u32_e32 v6, vcc, s6, v6
	v_addc_co_u32_e32 v7, vcc, v0, v7, vcc
	global_load_dwordx4 v[122:125], v[6:7], off
	v_accvgpr_write_b32 a19, v7
	v_ashrrev_i32_e32 v127, 31, v126
	v_accvgpr_write_b32 a29, v9
	v_accvgpr_write_b32 a18, v6
	v_lshlrev_b64 v[6:7], 4, v[126:127]
	v_accvgpr_write_b32 a28, v8
	v_add_co_u32_e32 v8, vcc, s6, v6
	v_addc_co_u32_e32 v9, vcc, v0, v7, vcc
	v_ashrrev_i32_e32 v129, 31, v128
	v_lshlrev_b64 v[6:7], 4, v[128:129]
	global_load_dwordx4 v[126:129], v[8:9], off
	v_add_co_u32_e32 v6, vcc, s6, v6
	v_addc_co_u32_e32 v7, vcc, v0, v7, vcc
	v_accvgpr_write_b32 a21, v9
	v_accvgpr_write_b32 a13, v7
	;; [unrolled: 1-line block ×4, first 2 shown]
	global_load_dwordx4 v[6:9], v[6:7], off
	v_ashrrev_i32_e32 v53, 31, v52
	buffer_store_dword v12, off, s[0:3], 0 offset:120
	buffer_store_dword v11, off, s[0:3], 0 offset:116
	buffer_store_dword v10, off, s[0:3], 0 offset:112
	s_waitcnt vmcnt(22)
	buffer_store_dword v57, off, s[0:3], 0 offset:140
	buffer_store_dword v56, off, s[0:3], 0 offset:136
	buffer_store_dword v55, off, s[0:3], 0 offset:132
	buffer_store_dword v54, off, s[0:3], 0 offset:128
	s_waitcnt vmcnt(25)
	buffer_store_dword v61, off, s[0:3], 0 offset:156
	;; [unrolled: 5-line block ×15, first 2 shown]
	buffer_store_dword v112, off, s[0:3], 0 offset:360
	buffer_store_dword v111, off, s[0:3], 0 offset:356
	;; [unrolled: 1-line block ×11, first 2 shown]
	s_waitcnt vmcnt(62)
	buffer_store_dword v125, off, s[0:3], 0 offset:412
	buffer_store_dword v124, off, s[0:3], 0 offset:408
	buffer_store_dword v123, off, s[0:3], 0 offset:404
	buffer_store_dword v122, off, s[0:3], 0 offset:400
	buffer_store_dword v129, off, s[0:3], 0 offset:428
	buffer_store_dword v128, off, s[0:3], 0 offset:424
	buffer_store_dword v127, off, s[0:3], 0 offset:420
	buffer_store_dword v126, off, s[0:3], 0 offset:416
	buffer_store_dword v9, off, s[0:3], 0 offset:444
	v_lshlrev_b64 v[10:11], 4, v[52:53]
	v_add_co_u32_e32 v12, vcc, s6, v10
	v_ashrrev_i32_e32 v51, 31, v50
	v_addc_co_u32_e32 v13, vcc, v0, v11, vcc
	v_lshlrev_b64 v[10:11], 4, v[50:51]
	v_add_co_u32_e32 v50, vcc, s6, v10
	v_accvgpr_write_b32 a85, v13
	v_addc_co_u32_e32 v51, vcc, v0, v11, vcc
	v_accvgpr_write_b32 a84, v12
	global_load_dwordx4 v[10:13], v[12:13], off
	v_accvgpr_write_b32 a75, v51
	v_ashrrev_i32_e32 v49, 31, v48
	v_accvgpr_write_b32 a74, v50
	global_load_dwordx4 v[50:53], v[50:51], off
	v_lshlrev_b64 v[48:49], 4, v[48:49]
	v_add_co_u32_e32 v48, vcc, s6, v48
	v_ashrrev_i32_e32 v47, 31, v46
	v_addc_co_u32_e32 v49, vcc, v0, v49, vcc
	v_lshlrev_b64 v[46:47], 4, v[46:47]
	v_add_co_u32_e32 v54, vcc, s6, v46
	v_accvgpr_write_b32 a77, v49
	v_addc_co_u32_e32 v55, vcc, v0, v47, vcc
	v_accvgpr_write_b32 a76, v48
	global_load_dwordx4 v[46:49], v[48:49], off
	v_accvgpr_write_b32 a65, v55
	v_ashrrev_i32_e32 v45, 31, v44
	v_accvgpr_write_b32 a64, v54
	global_load_dwordx4 v[54:57], v[54:55], off
	;; [unrolled: 14-line block ×8, first 2 shown]
	v_lshlrev_b64 v[20:21], 4, v[20:21]
	v_add_co_u32_e32 v20, vcc, s6, v20
	v_ashrrev_i32_e32 v19, 31, v18
	v_addc_co_u32_e32 v21, vcc, v0, v21, vcc
	v_lshlrev_b64 v[18:19], 4, v[18:19]
	v_add_co_u32_e32 v82, vcc, s6, v18
	v_accvgpr_write_b32 a10, v20
	v_addc_co_u32_e32 v83, vcc, v0, v19, vcc
	v_accvgpr_write_b32 a11, v21
	global_load_dwordx4 v[18:21], v[20:21], off
	v_accvgpr_write_b32 a4, v82
	v_accvgpr_write_b32 a5, v83
	global_load_dwordx4 v[82:85], v[82:83], off
	v_ashrrev_i32_e32 v17, 31, v16
	v_lshlrev_b64 v[16:17], 4, v[16:17]
	v_add_co_u32_e32 v16, vcc, s6, v16
	v_addc_co_u32_e32 v17, vcc, v0, v17, vcc
	v_ashrrev_i32_e32 v15, 31, v14
	v_accvgpr_write_b32 a6, v16
	v_lshlrev_b64 v[86:87], 4, v[14:15]
	v_accvgpr_write_b32 a7, v17
	global_load_dwordx4 v[14:17], v[16:17], off
	v_add_co_u32_e32 v86, vcc, s6, v86
	v_addc_co_u32_e32 v87, vcc, v0, v87, vcc
	v_accvgpr_write_b32 a2, v86
	v_accvgpr_write_b32 a3, v87
	global_load_dwordx4 v[86:89], v[86:87], off
	v_mov_b32_e32 v0, 16
	buffer_store_dword v8, off, s[0:3], 0 offset:440
	buffer_store_dword v7, off, s[0:3], 0 offset:436
	buffer_store_dword v6, off, s[0:3], 0 offset:432
	s_waitcnt vmcnt(22)
	buffer_store_dword v13, off, s[0:3], 0 offset:460
	buffer_store_dword v12, off, s[0:3], 0 offset:456
	buffer_store_dword v11, off, s[0:3], 0 offset:452
	buffer_store_dword v10, off, s[0:3], 0 offset:448
	s_waitcnt vmcnt(25)
	buffer_store_dword v53, off, s[0:3], 0 offset:476
	;; [unrolled: 5-line block ×15, first 2 shown]
	buffer_store_dword v24, off, s[0:3], 0 offset:680
	buffer_store_dword v23, off, s[0:3], 0 offset:676
	;; [unrolled: 1-line block ×11, first 2 shown]
	s_waitcnt vmcnt(62)
	buffer_store_dword v85, off, s[0:3], 0 offset:732
	buffer_store_dword v84, off, s[0:3], 0 offset:728
	;; [unrolled: 1-line block ×16, first 2 shown]
	v_add_u32_e32 v2, 16, v0
	v_accvgpr_write_b32 a142, v2
	v_add_u32_e32 v2, 32, v0
	v_accvgpr_write_b32 a141, v2
	;; [unrolled: 2-line block ×45, first 2 shown]
	v_add_u32_e32 v2, 0x2e0, v0
	v_add_u32_e32 v0, 0x2f0, v0
	v_accvgpr_write_b32 a97, v2
	v_accvgpr_write_b32 a96, v0
	s_bitcmp0_b32 s18, 0
	s_mov_b64 s[6:7], -1
	s_cbranch_scc1 .LBB111_204
; %bb.4:
	v_cmp_eq_u32_e64 s[4:5], 0, v254
	s_and_saveexec_b64 s[6:7], s[4:5]
	s_cbranch_execz .LBB111_6
; %bb.5:
	v_mov_b32_e32 v0, 0
	ds_write_b32 v0, v0 offset:1536
.LBB111_6:
	s_or_b64 exec, exec, s[6:7]
	v_mov_b32_e32 v0, 16
	v_lshl_add_u32 v12, v254, 4, v0
	s_waitcnt lgkmcnt(0)
	; wave barrier
	s_waitcnt lgkmcnt(0)
	buffer_load_dword v2, v12, s[0:3], 0 offen
	buffer_load_dword v3, v12, s[0:3], 0 offen offset:4
	buffer_load_dword v4, v12, s[0:3], 0 offen offset:8
	;; [unrolled: 1-line block ×3, first 2 shown]
	s_waitcnt vmcnt(2)
	v_cmp_eq_f64_e32 vcc, 0, v[2:3]
	s_waitcnt vmcnt(0)
	v_cmp_eq_f64_e64 s[6:7], 0, v[4:5]
	s_and_b64 s[6:7], vcc, s[6:7]
	s_and_saveexec_b64 s[12:13], s[6:7]
	s_cbranch_execz .LBB111_10
; %bb.7:
	v_mov_b32_e32 v2, 0
	ds_read_b32 v0, v2 offset:1536
	v_add_u32_e32 v3, 1, v254
	s_waitcnt lgkmcnt(0)
	v_readfirstlane_b32 s6, v0
	s_cmp_eq_u32 s6, 0
	s_cselect_b64 s[18:19], -1, 0
	v_cmp_gt_i32_e32 vcc, s6, v3
	s_or_b64 s[18:19], s[18:19], vcc
	s_and_b64 exec, exec, s[18:19]
	s_cbranch_execz .LBB111_10
; %bb.8:
	s_mov_b64 s[18:19], 0
	v_mov_b32_e32 v4, s6
.LBB111_9:                              ; =>This Inner Loop Header: Depth=1
	ds_cmpst_rtn_b32 v4, v2, v4, v3 offset:1536
	s_waitcnt lgkmcnt(0)
	v_cmp_ne_u32_e32 vcc, 0, v4
	v_cmp_le_i32_e64 s[6:7], v4, v3
	s_and_b64 s[6:7], vcc, s[6:7]
	s_and_b64 s[6:7], exec, s[6:7]
	s_or_b64 s[18:19], s[6:7], s[18:19]
	s_andn2_b64 exec, exec, s[18:19]
	s_cbranch_execnz .LBB111_9
.LBB111_10:
	s_or_b64 exec, exec, s[12:13]
	v_mov_b32_e32 v3, 0
	s_waitcnt lgkmcnt(0)
	; wave barrier
	ds_read_b32 v2, v3 offset:1536
	s_and_saveexec_b64 s[6:7], s[4:5]
	s_cbranch_execz .LBB111_12
; %bb.11:
	s_lshl_b64 s[12:13], s[8:9], 2
	s_add_u32 s12, s14, s12
	s_addc_u32 s13, s15, s13
	s_waitcnt lgkmcnt(0)
	global_store_dword v3, v2, s[12:13]
.LBB111_12:
	s_or_b64 exec, exec, s[6:7]
	s_waitcnt lgkmcnt(0)
	v_cmp_ne_u32_e32 vcc, 0, v2
	s_mov_b64 s[6:7], 0
	s_cbranch_vccnz .LBB111_204
; %bb.13:
	buffer_load_dword v7, v12, s[0:3], 0 offen offset:4
	buffer_load_dword v6, v12, s[0:3], 0 offen
	buffer_load_dword v9, v12, s[0:3], 0 offen offset:12
	buffer_load_dword v8, v12, s[0:3], 0 offen offset:8
                                        ; implicit-def: $vgpr10_vgpr11
	s_waitcnt vmcnt(3)
	v_xor_b32_e32 v0, 0x80000000, v7
	s_waitcnt vmcnt(2)
	v_cmp_gt_f64_e32 vcc, 0, v[6:7]
	s_waitcnt vmcnt(1)
	v_xor_b32_e32 v4, 0x80000000, v9
	v_cndmask_b32_e32 v3, v7, v0, vcc
	s_waitcnt vmcnt(0)
	v_cmp_gt_f64_e32 vcc, 0, v[8:9]
	v_mov_b32_e32 v2, v6
	v_cndmask_b32_e32 v5, v9, v4, vcc
	v_mov_b32_e32 v4, v8
	v_cmp_ngt_f64_e32 vcc, v[2:3], v[4:5]
                                        ; implicit-def: $vgpr4_vgpr5
	s_and_saveexec_b64 s[6:7], vcc
	s_xor_b64 s[6:7], exec, s[6:7]
	s_cbranch_execz .LBB111_15
; %bb.14:
	v_div_scale_f64 v[2:3], s[12:13], v[8:9], v[8:9], v[6:7]
	v_rcp_f64_e32 v[4:5], v[2:3]
	v_div_scale_f64 v[10:11], vcc, v[6:7], v[8:9], v[6:7]
	v_fma_f64 v[14:15], -v[2:3], v[4:5], 1.0
	v_fmac_f64_e32 v[4:5], v[4:5], v[14:15]
	v_fma_f64 v[14:15], -v[2:3], v[4:5], 1.0
	v_fmac_f64_e32 v[4:5], v[4:5], v[14:15]
	v_mul_f64 v[14:15], v[10:11], v[4:5]
	v_fma_f64 v[2:3], -v[2:3], v[14:15], v[10:11]
	v_div_fmas_f64 v[2:3], v[2:3], v[4:5], v[14:15]
	v_div_fixup_f64 v[2:3], v[2:3], v[8:9], v[6:7]
	v_fmac_f64_e32 v[8:9], v[6:7], v[2:3]
	v_div_scale_f64 v[4:5], s[12:13], v[8:9], v[8:9], 1.0
	v_rcp_f64_e32 v[6:7], v[4:5]
	v_fma_f64 v[10:11], -v[4:5], v[6:7], 1.0
	v_fmac_f64_e32 v[6:7], v[6:7], v[10:11]
	v_fma_f64 v[10:11], -v[4:5], v[6:7], 1.0
	v_fmac_f64_e32 v[6:7], v[6:7], v[10:11]
	v_div_scale_f64 v[10:11], vcc, 1.0, v[8:9], 1.0
	v_mul_f64 v[14:15], v[10:11], v[6:7]
	v_fma_f64 v[4:5], -v[4:5], v[14:15], v[10:11]
	s_nop 1
	v_div_fmas_f64 v[4:5], v[4:5], v[6:7], v[14:15]
	v_div_fixup_f64 v[4:5], v[4:5], v[8:9], 1.0
	v_mul_f64 v[10:11], v[2:3], v[4:5]
	v_xor_b32_e32 v5, 0x80000000, v5
	v_xor_b32_e32 v3, 0x80000000, v11
	v_mov_b32_e32 v2, v10
                                        ; implicit-def: $vgpr6_vgpr7
                                        ; implicit-def: $vgpr8_vgpr9
.LBB111_15:
	s_andn2_saveexec_b64 s[6:7], s[6:7]
	s_cbranch_execz .LBB111_17
; %bb.16:
	v_div_scale_f64 v[2:3], s[12:13], v[6:7], v[6:7], v[8:9]
	v_rcp_f64_e32 v[4:5], v[2:3]
	v_div_scale_f64 v[10:11], vcc, v[8:9], v[6:7], v[8:9]
	v_fma_f64 v[14:15], -v[2:3], v[4:5], 1.0
	v_fmac_f64_e32 v[4:5], v[4:5], v[14:15]
	v_fma_f64 v[14:15], -v[2:3], v[4:5], 1.0
	v_fmac_f64_e32 v[4:5], v[4:5], v[14:15]
	v_mul_f64 v[14:15], v[10:11], v[4:5]
	v_fma_f64 v[2:3], -v[2:3], v[14:15], v[10:11]
	v_div_fmas_f64 v[2:3], v[2:3], v[4:5], v[14:15]
	v_div_fixup_f64 v[4:5], v[2:3], v[6:7], v[8:9]
	v_fmac_f64_e32 v[6:7], v[8:9], v[4:5]
	v_div_scale_f64 v[2:3], s[12:13], v[6:7], v[6:7], 1.0
	v_rcp_f64_e32 v[8:9], v[2:3]
	v_fma_f64 v[10:11], -v[2:3], v[8:9], 1.0
	v_fmac_f64_e32 v[8:9], v[8:9], v[10:11]
	v_fma_f64 v[10:11], -v[2:3], v[8:9], 1.0
	v_fmac_f64_e32 v[8:9], v[8:9], v[10:11]
	v_div_scale_f64 v[10:11], vcc, 1.0, v[6:7], 1.0
	v_mul_f64 v[14:15], v[10:11], v[8:9]
	v_fma_f64 v[2:3], -v[2:3], v[14:15], v[10:11]
	s_nop 1
	v_div_fmas_f64 v[2:3], v[2:3], v[8:9], v[14:15]
	v_div_fixup_f64 v[10:11], v[2:3], v[6:7], 1.0
	v_xor_b32_e32 v3, 0x80000000, v11
	v_mov_b32_e32 v2, v10
	v_mul_f64 v[4:5], v[4:5], -v[10:11]
.LBB111_17:
	s_or_b64 exec, exec, s[6:7]
	buffer_store_dword v11, v12, s[0:3], 0 offen offset:4
	buffer_store_dword v10, v12, s[0:3], 0 offen
	buffer_store_dword v5, v12, s[0:3], 0 offen offset:12
	buffer_store_dword v4, v12, s[0:3], 0 offen offset:8
	v_accvgpr_read_b32 v0, a142
	buffer_load_dword v11, v0, s[0:3], 0 offen offset:12
	buffer_load_dword v10, v0, s[0:3], 0 offen offset:8
	buffer_load_dword v9, v0, s[0:3], 0 offen offset:4
	buffer_load_dword v8, v0, s[0:3], 0 offen
	v_xor_b32_e32 v5, 0x80000000, v5
	v_add_u32_e32 v6, 0x300, v1
	ds_write_b128 v1, v[2:5]
	s_waitcnt vmcnt(0)
	ds_write_b128 v1, v[8:11] offset:768
	s_waitcnt lgkmcnt(0)
	; wave barrier
	s_waitcnt lgkmcnt(0)
	s_and_saveexec_b64 s[6:7], s[4:5]
	s_cbranch_execz .LBB111_19
; %bb.18:
	buffer_load_dword v14, v12, s[0:3], 0 offen offset:8
	buffer_load_dword v15, v12, s[0:3], 0 offen offset:12
	buffer_load_dword v16, v12, s[0:3], 0 offen
	buffer_load_dword v17, v12, s[0:3], 0 offen offset:4
	ds_read_b128 v[2:5], v6
	v_mov_b32_e32 v0, 0
	ds_read_b128 v[8:11], v0 offset:16
	s_waitcnt vmcnt(2) lgkmcnt(1)
	v_mul_f64 v[18:19], v[4:5], v[14:15]
	v_mul_f64 v[14:15], v[2:3], v[14:15]
	s_waitcnt vmcnt(0)
	v_fmac_f64_e32 v[14:15], v[4:5], v[16:17]
	v_fma_f64 v[2:3], v[2:3], v[16:17], -v[18:19]
	v_add_f64 v[4:5], v[14:15], 0
	v_add_f64 v[2:3], v[2:3], 0
	s_waitcnt lgkmcnt(0)
	v_mul_f64 v[14:15], v[4:5], v[10:11]
	v_mul_f64 v[10:11], v[2:3], v[10:11]
	v_fma_f64 v[2:3], v[2:3], v[8:9], -v[14:15]
	v_fmac_f64_e32 v[10:11], v[4:5], v[8:9]
	buffer_store_dword v2, off, s[0:3], 0 offset:32
	buffer_store_dword v3, off, s[0:3], 0 offset:36
	;; [unrolled: 1-line block ×4, first 2 shown]
.LBB111_19:
	s_or_b64 exec, exec, s[6:7]
	v_accvgpr_read_b32 v0, a141
	s_waitcnt lgkmcnt(0)
	; wave barrier
	buffer_load_dword v2, v0, s[0:3], 0 offen
	buffer_load_dword v3, v0, s[0:3], 0 offen offset:4
	buffer_load_dword v4, v0, s[0:3], 0 offen offset:8
	;; [unrolled: 1-line block ×3, first 2 shown]
	v_cmp_gt_u32_e32 vcc, 2, v254
	s_waitcnt vmcnt(0)
	ds_write_b128 v6, v[2:5]
	s_waitcnt lgkmcnt(0)
	; wave barrier
	s_waitcnt lgkmcnt(0)
	s_and_saveexec_b64 s[6:7], vcc
	s_cbranch_execz .LBB111_23
; %bb.20:
	buffer_load_dword v8, v12, s[0:3], 0 offen offset:8
	buffer_load_dword v9, v12, s[0:3], 0 offen offset:12
	buffer_load_dword v10, v12, s[0:3], 0 offen
	buffer_load_dword v11, v12, s[0:3], 0 offen offset:4
	ds_read_b128 v[2:5], v6
	s_waitcnt vmcnt(2) lgkmcnt(0)
	v_mul_f64 v[12:13], v[4:5], v[8:9]
	v_mul_f64 v[8:9], v[2:3], v[8:9]
	s_waitcnt vmcnt(0)
	v_fma_f64 v[2:3], v[2:3], v[10:11], -v[12:13]
	v_fmac_f64_e32 v[8:9], v[4:5], v[10:11]
	v_add_f64 v[4:5], v[2:3], 0
	v_add_f64 v[2:3], v[8:9], 0
	s_and_saveexec_b64 s[12:13], s[4:5]
	s_cbranch_execz .LBB111_22
; %bb.21:
	buffer_load_dword v12, off, s[0:3], 0 offset:40
	buffer_load_dword v13, off, s[0:3], 0 offset:44
	;; [unrolled: 1-line block ×4, first 2 shown]
	v_mov_b32_e32 v0, 0
	ds_read_b128 v[8:11], v0 offset:784
	s_waitcnt vmcnt(2) lgkmcnt(0)
	v_mul_f64 v[16:17], v[8:9], v[12:13]
	v_mul_f64 v[12:13], v[10:11], v[12:13]
	s_waitcnt vmcnt(0)
	v_fmac_f64_e32 v[16:17], v[10:11], v[14:15]
	v_fma_f64 v[8:9], v[8:9], v[14:15], -v[12:13]
	v_add_f64 v[2:3], v[2:3], v[16:17]
	v_add_f64 v[4:5], v[4:5], v[8:9]
.LBB111_22:
	s_or_b64 exec, exec, s[12:13]
	v_mov_b32_e32 v0, 0
	ds_read_b128 v[8:11], v0 offset:32
	s_waitcnt lgkmcnt(0)
	v_mul_f64 v[12:13], v[2:3], v[10:11]
	v_mul_f64 v[10:11], v[4:5], v[10:11]
	v_fma_f64 v[4:5], v[4:5], v[8:9], -v[12:13]
	v_fmac_f64_e32 v[10:11], v[2:3], v[8:9]
	buffer_store_dword v5, off, s[0:3], 0 offset:52
	buffer_store_dword v4, off, s[0:3], 0 offset:48
	;; [unrolled: 1-line block ×4, first 2 shown]
.LBB111_23:
	s_or_b64 exec, exec, s[6:7]
	v_accvgpr_read_b32 v0, a140
	s_waitcnt lgkmcnt(0)
	; wave barrier
	buffer_load_dword v2, v0, s[0:3], 0 offen
	buffer_load_dword v3, v0, s[0:3], 0 offen offset:4
	buffer_load_dword v4, v0, s[0:3], 0 offen offset:8
	;; [unrolled: 1-line block ×3, first 2 shown]
	v_cmp_gt_u32_e32 vcc, 3, v254
	v_add_u32_e32 v7, -1, v254
	s_waitcnt vmcnt(0)
	ds_write_b128 v6, v[2:5]
	s_waitcnt lgkmcnt(0)
	; wave barrier
	s_waitcnt lgkmcnt(0)
	s_and_saveexec_b64 s[4:5], vcc
	s_cbranch_execz .LBB111_27
; %bb.24:
	v_pk_mov_b32 v[2:3], 0, 0
	v_add_u32_e32 v8, -1, v254
	v_add_u32_e32 v9, 0x300, v1
	v_add_u32_e32 v10, 16, v1
	s_mov_b64 s[6:7], 0
	v_pk_mov_b32 v[4:5], v[2:3], v[2:3] op_sel:[0,1]
.LBB111_25:                             ; =>This Inner Loop Header: Depth=1
	buffer_load_dword v16, v10, s[0:3], 0 offen offset:8
	buffer_load_dword v17, v10, s[0:3], 0 offen offset:12
	buffer_load_dword v18, v10, s[0:3], 0 offen
	buffer_load_dword v19, v10, s[0:3], 0 offen offset:4
	ds_read_b128 v[12:15], v9
	v_add_u32_e32 v8, 1, v8
	v_cmp_lt_u32_e32 vcc, 1, v8
	v_add_u32_e32 v9, 16, v9
	v_add_u32_e32 v10, 16, v10
	s_or_b64 s[6:7], vcc, s[6:7]
	s_waitcnt vmcnt(2) lgkmcnt(0)
	v_mul_f64 v[20:21], v[14:15], v[16:17]
	v_mul_f64 v[16:17], v[12:13], v[16:17]
	s_waitcnt vmcnt(0)
	v_fma_f64 v[12:13], v[12:13], v[18:19], -v[20:21]
	v_fmac_f64_e32 v[16:17], v[14:15], v[18:19]
	v_add_f64 v[4:5], v[4:5], v[12:13]
	v_add_f64 v[2:3], v[2:3], v[16:17]
	s_andn2_b64 exec, exec, s[6:7]
	s_cbranch_execnz .LBB111_25
; %bb.26:
	s_or_b64 exec, exec, s[6:7]
	v_mov_b32_e32 v0, 0
	ds_read_b128 v[8:11], v0 offset:48
	s_waitcnt lgkmcnt(0)
	v_mul_f64 v[12:13], v[2:3], v[10:11]
	v_mul_f64 v[10:11], v[4:5], v[10:11]
	v_fma_f64 v[4:5], v[4:5], v[8:9], -v[12:13]
	v_fmac_f64_e32 v[10:11], v[2:3], v[8:9]
	buffer_store_dword v5, off, s[0:3], 0 offset:68
	buffer_store_dword v4, off, s[0:3], 0 offset:64
	buffer_store_dword v11, off, s[0:3], 0 offset:76
	buffer_store_dword v10, off, s[0:3], 0 offset:72
.LBB111_27:
	s_or_b64 exec, exec, s[4:5]
	v_accvgpr_read_b32 v0, a139
	s_waitcnt lgkmcnt(0)
	; wave barrier
	buffer_load_dword v2, v0, s[0:3], 0 offen
	buffer_load_dword v3, v0, s[0:3], 0 offen offset:4
	buffer_load_dword v4, v0, s[0:3], 0 offen offset:8
	buffer_load_dword v5, v0, s[0:3], 0 offen offset:12
	v_cmp_gt_u32_e32 vcc, 4, v254
	s_waitcnt vmcnt(0)
	ds_write_b128 v6, v[2:5]
	s_waitcnt lgkmcnt(0)
	; wave barrier
	s_waitcnt lgkmcnt(0)
	s_and_saveexec_b64 s[4:5], vcc
	s_cbranch_execz .LBB111_31
; %bb.28:
	v_pk_mov_b32 v[2:3], 0, 0
	v_add_u32_e32 v8, -1, v254
	v_add_u32_e32 v9, 0x300, v1
	v_add_u32_e32 v10, 16, v1
	s_mov_b64 s[6:7], 0
	v_pk_mov_b32 v[4:5], v[2:3], v[2:3] op_sel:[0,1]
.LBB111_29:                             ; =>This Inner Loop Header: Depth=1
	buffer_load_dword v16, v10, s[0:3], 0 offen offset:8
	buffer_load_dword v17, v10, s[0:3], 0 offen offset:12
	buffer_load_dword v18, v10, s[0:3], 0 offen
	buffer_load_dword v19, v10, s[0:3], 0 offen offset:4
	ds_read_b128 v[12:15], v9
	v_add_u32_e32 v8, 1, v8
	v_cmp_lt_u32_e32 vcc, 2, v8
	v_add_u32_e32 v9, 16, v9
	v_add_u32_e32 v10, 16, v10
	s_or_b64 s[6:7], vcc, s[6:7]
	s_waitcnt vmcnt(2) lgkmcnt(0)
	v_mul_f64 v[20:21], v[14:15], v[16:17]
	v_mul_f64 v[16:17], v[12:13], v[16:17]
	s_waitcnt vmcnt(0)
	v_fma_f64 v[12:13], v[12:13], v[18:19], -v[20:21]
	v_fmac_f64_e32 v[16:17], v[14:15], v[18:19]
	v_add_f64 v[4:5], v[4:5], v[12:13]
	v_add_f64 v[2:3], v[2:3], v[16:17]
	s_andn2_b64 exec, exec, s[6:7]
	s_cbranch_execnz .LBB111_29
; %bb.30:
	s_or_b64 exec, exec, s[6:7]
	v_mov_b32_e32 v0, 0
	ds_read_b128 v[8:11], v0 offset:64
	s_waitcnt lgkmcnt(0)
	v_mul_f64 v[12:13], v[2:3], v[10:11]
	v_mul_f64 v[10:11], v[4:5], v[10:11]
	v_fma_f64 v[4:5], v[4:5], v[8:9], -v[12:13]
	v_fmac_f64_e32 v[10:11], v[2:3], v[8:9]
	buffer_store_dword v5, off, s[0:3], 0 offset:84
	buffer_store_dword v4, off, s[0:3], 0 offset:80
	buffer_store_dword v11, off, s[0:3], 0 offset:92
	buffer_store_dword v10, off, s[0:3], 0 offset:88
.LBB111_31:
	s_or_b64 exec, exec, s[4:5]
	v_accvgpr_read_b32 v0, a138
	s_waitcnt lgkmcnt(0)
	; wave barrier
	buffer_load_dword v2, v0, s[0:3], 0 offen
	buffer_load_dword v3, v0, s[0:3], 0 offen offset:4
	buffer_load_dword v4, v0, s[0:3], 0 offen offset:8
	buffer_load_dword v5, v0, s[0:3], 0 offen offset:12
	v_cmp_gt_u32_e32 vcc, 5, v254
	;; [unrolled: 58-line block ×19, first 2 shown]
	s_waitcnt vmcnt(0)
	ds_write_b128 v6, v[2:5]
	s_waitcnt lgkmcnt(0)
	; wave barrier
	s_waitcnt lgkmcnt(0)
	s_and_saveexec_b64 s[4:5], vcc
	s_cbranch_execz .LBB111_103
; %bb.100:
	v_pk_mov_b32 v[2:3], 0, 0
	v_add_u32_e32 v8, -1, v254
	v_add_u32_e32 v9, 0x300, v1
	v_add_u32_e32 v10, 16, v1
	s_mov_b64 s[6:7], 0
	v_pk_mov_b32 v[4:5], v[2:3], v[2:3] op_sel:[0,1]
.LBB111_101:                            ; =>This Inner Loop Header: Depth=1
	buffer_load_dword v16, v10, s[0:3], 0 offen offset:8
	buffer_load_dword v17, v10, s[0:3], 0 offen offset:12
	buffer_load_dword v18, v10, s[0:3], 0 offen
	buffer_load_dword v19, v10, s[0:3], 0 offen offset:4
	ds_read_b128 v[12:15], v9
	v_add_u32_e32 v8, 1, v8
	v_cmp_lt_u32_e32 vcc, 20, v8
	v_add_u32_e32 v9, 16, v9
	v_add_u32_e32 v10, 16, v10
	s_or_b64 s[6:7], vcc, s[6:7]
	s_waitcnt vmcnt(2) lgkmcnt(0)
	v_mul_f64 v[20:21], v[14:15], v[16:17]
	v_mul_f64 v[16:17], v[12:13], v[16:17]
	s_waitcnt vmcnt(0)
	v_fma_f64 v[12:13], v[12:13], v[18:19], -v[20:21]
	v_fmac_f64_e32 v[16:17], v[14:15], v[18:19]
	v_add_f64 v[4:5], v[4:5], v[12:13]
	v_add_f64 v[2:3], v[2:3], v[16:17]
	s_andn2_b64 exec, exec, s[6:7]
	s_cbranch_execnz .LBB111_101
; %bb.102:
	s_or_b64 exec, exec, s[6:7]
	v_mov_b32_e32 v0, 0
	ds_read_b128 v[8:11], v0 offset:352
	s_waitcnt lgkmcnt(0)
	v_mul_f64 v[12:13], v[2:3], v[10:11]
	v_mul_f64 v[10:11], v[4:5], v[10:11]
	v_fma_f64 v[4:5], v[4:5], v[8:9], -v[12:13]
	v_fmac_f64_e32 v[10:11], v[2:3], v[8:9]
	buffer_store_dword v5, off, s[0:3], 0 offset:372
	buffer_store_dword v4, off, s[0:3], 0 offset:368
	buffer_store_dword v11, off, s[0:3], 0 offset:380
	buffer_store_dword v10, off, s[0:3], 0 offset:376
.LBB111_103:
	s_or_b64 exec, exec, s[4:5]
	v_accvgpr_read_b32 v0, a120
	s_waitcnt lgkmcnt(0)
	; wave barrier
	buffer_load_dword v2, v0, s[0:3], 0 offen
	buffer_load_dword v3, v0, s[0:3], 0 offen offset:4
	buffer_load_dword v4, v0, s[0:3], 0 offen offset:8
	buffer_load_dword v5, v0, s[0:3], 0 offen offset:12
	v_cmp_gt_u32_e32 vcc, 23, v254
	s_waitcnt vmcnt(0)
	ds_write_b128 v6, v[2:5]
	s_waitcnt lgkmcnt(0)
	; wave barrier
	s_waitcnt lgkmcnt(0)
	s_and_saveexec_b64 s[4:5], vcc
	s_cbranch_execz .LBB111_107
; %bb.104:
	v_pk_mov_b32 v[2:3], 0, 0
	v_add_u32_e32 v8, -1, v254
	v_add_u32_e32 v9, 0x300, v1
	v_add_u32_e32 v10, 16, v1
	s_mov_b64 s[6:7], 0
	v_pk_mov_b32 v[4:5], v[2:3], v[2:3] op_sel:[0,1]
.LBB111_105:                            ; =>This Inner Loop Header: Depth=1
	buffer_load_dword v16, v10, s[0:3], 0 offen offset:8
	buffer_load_dword v17, v10, s[0:3], 0 offen offset:12
	buffer_load_dword v18, v10, s[0:3], 0 offen
	buffer_load_dword v19, v10, s[0:3], 0 offen offset:4
	ds_read_b128 v[12:15], v9
	v_add_u32_e32 v8, 1, v8
	v_cmp_lt_u32_e32 vcc, 21, v8
	v_add_u32_e32 v9, 16, v9
	v_add_u32_e32 v10, 16, v10
	s_or_b64 s[6:7], vcc, s[6:7]
	s_waitcnt vmcnt(2) lgkmcnt(0)
	v_mul_f64 v[20:21], v[14:15], v[16:17]
	v_mul_f64 v[16:17], v[12:13], v[16:17]
	s_waitcnt vmcnt(0)
	v_fma_f64 v[12:13], v[12:13], v[18:19], -v[20:21]
	v_fmac_f64_e32 v[16:17], v[14:15], v[18:19]
	v_add_f64 v[4:5], v[4:5], v[12:13]
	v_add_f64 v[2:3], v[2:3], v[16:17]
	s_andn2_b64 exec, exec, s[6:7]
	s_cbranch_execnz .LBB111_105
; %bb.106:
	s_or_b64 exec, exec, s[6:7]
	v_mov_b32_e32 v0, 0
	ds_read_b128 v[8:11], v0 offset:368
	s_waitcnt lgkmcnt(0)
	v_mul_f64 v[12:13], v[2:3], v[10:11]
	v_mul_f64 v[10:11], v[4:5], v[10:11]
	v_fma_f64 v[4:5], v[4:5], v[8:9], -v[12:13]
	v_fmac_f64_e32 v[10:11], v[2:3], v[8:9]
	buffer_store_dword v5, off, s[0:3], 0 offset:388
	buffer_store_dword v4, off, s[0:3], 0 offset:384
	buffer_store_dword v11, off, s[0:3], 0 offset:396
	buffer_store_dword v10, off, s[0:3], 0 offset:392
.LBB111_107:
	s_or_b64 exec, exec, s[4:5]
	v_accvgpr_read_b32 v0, a119
	s_waitcnt lgkmcnt(0)
	; wave barrier
	buffer_load_dword v2, v0, s[0:3], 0 offen
	buffer_load_dword v3, v0, s[0:3], 0 offen offset:4
	buffer_load_dword v4, v0, s[0:3], 0 offen offset:8
	buffer_load_dword v5, v0, s[0:3], 0 offen offset:12
	v_cmp_gt_u32_e32 vcc, 24, v254
	;; [unrolled: 58-line block ×24, first 2 shown]
	s_waitcnt vmcnt(0)
	ds_write_b128 v6, v[2:5]
	s_waitcnt lgkmcnt(0)
	; wave barrier
	s_waitcnt lgkmcnt(0)
	s_and_saveexec_b64 s[4:5], vcc
	s_cbranch_execz .LBB111_199
; %bb.196:
	v_pk_mov_b32 v[2:3], 0, 0
	v_add_u32_e32 v8, -1, v254
	v_add_u32_e32 v9, 0x300, v1
	v_add_u32_e32 v10, 16, v1
	s_mov_b64 s[6:7], 0
	v_pk_mov_b32 v[4:5], v[2:3], v[2:3] op_sel:[0,1]
.LBB111_197:                            ; =>This Inner Loop Header: Depth=1
	buffer_load_dword v16, v10, s[0:3], 0 offen offset:8
	buffer_load_dword v17, v10, s[0:3], 0 offen offset:12
	buffer_load_dword v18, v10, s[0:3], 0 offen
	buffer_load_dword v19, v10, s[0:3], 0 offen offset:4
	ds_read_b128 v[12:15], v9
	v_add_u32_e32 v8, 1, v8
	v_cmp_lt_u32_e32 vcc, 44, v8
	v_add_u32_e32 v9, 16, v9
	v_add_u32_e32 v10, 16, v10
	s_or_b64 s[6:7], vcc, s[6:7]
	s_waitcnt vmcnt(2) lgkmcnt(0)
	v_mul_f64 v[20:21], v[14:15], v[16:17]
	v_mul_f64 v[16:17], v[12:13], v[16:17]
	s_waitcnt vmcnt(0)
	v_fma_f64 v[12:13], v[12:13], v[18:19], -v[20:21]
	v_fmac_f64_e32 v[16:17], v[14:15], v[18:19]
	v_add_f64 v[4:5], v[4:5], v[12:13]
	v_add_f64 v[2:3], v[2:3], v[16:17]
	s_andn2_b64 exec, exec, s[6:7]
	s_cbranch_execnz .LBB111_197
; %bb.198:
	s_or_b64 exec, exec, s[6:7]
	v_mov_b32_e32 v0, 0
	ds_read_b128 v[8:11], v0 offset:736
	s_waitcnt lgkmcnt(0)
	v_mul_f64 v[12:13], v[2:3], v[10:11]
	v_mul_f64 v[10:11], v[4:5], v[10:11]
	v_fma_f64 v[4:5], v[4:5], v[8:9], -v[12:13]
	v_fmac_f64_e32 v[10:11], v[2:3], v[8:9]
	buffer_store_dword v5, off, s[0:3], 0 offset:756
	buffer_store_dword v4, off, s[0:3], 0 offset:752
	;; [unrolled: 1-line block ×4, first 2 shown]
.LBB111_199:
	s_or_b64 exec, exec, s[4:5]
	v_accvgpr_read_b32 v0, a96
	s_waitcnt lgkmcnt(0)
	; wave barrier
	buffer_load_dword v2, v0, s[0:3], 0 offen
	buffer_load_dword v3, v0, s[0:3], 0 offen offset:4
	buffer_load_dword v4, v0, s[0:3], 0 offen offset:8
	;; [unrolled: 1-line block ×3, first 2 shown]
	v_cmp_ne_u32_e32 vcc, 47, v254
	s_waitcnt vmcnt(0)
	ds_write_b128 v6, v[2:5]
	s_waitcnt lgkmcnt(0)
	; wave barrier
	s_waitcnt lgkmcnt(0)
	s_and_saveexec_b64 s[4:5], vcc
	s_cbranch_execz .LBB111_203
; %bb.200:
	v_pk_mov_b32 v[2:3], 0, 0
	v_add_u32_e32 v6, 0x300, v1
	v_add_u32_e32 v1, 16, v1
	s_mov_b64 s[6:7], 0
	v_pk_mov_b32 v[4:5], v[2:3], v[2:3] op_sel:[0,1]
.LBB111_201:                            ; =>This Inner Loop Header: Depth=1
	buffer_load_dword v12, v1, s[0:3], 0 offen offset:8
	buffer_load_dword v13, v1, s[0:3], 0 offen offset:12
	buffer_load_dword v14, v1, s[0:3], 0 offen
	buffer_load_dword v15, v1, s[0:3], 0 offen offset:4
	ds_read_b128 v[8:11], v6
	v_add_u32_e32 v7, 1, v7
	v_cmp_lt_u32_e32 vcc, 45, v7
	v_add_u32_e32 v6, 16, v6
	v_add_u32_e32 v1, 16, v1
	s_or_b64 s[6:7], vcc, s[6:7]
	s_waitcnt vmcnt(2) lgkmcnt(0)
	v_mul_f64 v[16:17], v[10:11], v[12:13]
	v_mul_f64 v[12:13], v[8:9], v[12:13]
	s_waitcnt vmcnt(0)
	v_fma_f64 v[8:9], v[8:9], v[14:15], -v[16:17]
	v_fmac_f64_e32 v[12:13], v[10:11], v[14:15]
	v_add_f64 v[4:5], v[4:5], v[8:9]
	v_add_f64 v[2:3], v[2:3], v[12:13]
	s_andn2_b64 exec, exec, s[6:7]
	s_cbranch_execnz .LBB111_201
; %bb.202:
	s_or_b64 exec, exec, s[6:7]
	v_mov_b32_e32 v0, 0
	ds_read_b128 v[6:9], v0 offset:752
	s_waitcnt lgkmcnt(0)
	v_mul_f64 v[10:11], v[2:3], v[8:9]
	v_mul_f64 v[8:9], v[4:5], v[8:9]
	v_fma_f64 v[4:5], v[4:5], v[6:7], -v[10:11]
	v_fmac_f64_e32 v[8:9], v[2:3], v[6:7]
	buffer_store_dword v5, off, s[0:3], 0 offset:772
	buffer_store_dword v4, off, s[0:3], 0 offset:768
	buffer_store_dword v9, off, s[0:3], 0 offset:780
	buffer_store_dword v8, off, s[0:3], 0 offset:776
.LBB111_203:
	s_or_b64 exec, exec, s[4:5]
	s_mov_b64 s[6:7], -1
	s_waitcnt lgkmcnt(0)
	; wave barrier
.LBB111_204:
	s_and_b64 vcc, exec, s[6:7]
	s_cbranch_vccz .LBB111_206
; %bb.205:
	s_lshl_b64 s[4:5], s[8:9], 2
	s_add_u32 s4, s14, s4
	s_addc_u32 s5, s15, s5
	v_mov_b32_e32 v0, 0
	global_load_dword v0, v0, s[4:5]
	s_waitcnt vmcnt(0)
	v_cmp_ne_u32_e32 vcc, 0, v0
	s_cbranch_vccz .LBB111_207
.LBB111_206:
	s_endpgm
.LBB111_207:
	v_mov_b32_e32 v0, 0x300
	v_lshl_add_u32 v0, v254, 4, v0
	v_accvgpr_write_b32 a144, v0
	v_cmp_eq_u32_e32 vcc, 47, v254
	s_and_saveexec_b64 s[4:5], vcc
	s_cbranch_execz .LBB111_209
; %bb.208:
	v_accvgpr_read_b32 v0, a97
	buffer_load_dword v2, v0, s[0:3], 0 offen
	buffer_load_dword v3, v0, s[0:3], 0 offen offset:4
	buffer_load_dword v4, v0, s[0:3], 0 offen offset:8
	;; [unrolled: 1-line block ×3, first 2 shown]
	v_mov_b32_e32 v0, 0
	v_accvgpr_read_b32 v1, a144
	buffer_store_dword v0, off, s[0:3], 0 offset:752
	buffer_store_dword v0, off, s[0:3], 0 offset:756
	;; [unrolled: 1-line block ×4, first 2 shown]
	s_waitcnt vmcnt(4)
	ds_write_b128 v1, v[2:5]
.LBB111_209:
	s_or_b64 exec, exec, s[4:5]
	s_waitcnt lgkmcnt(0)
	; wave barrier
	s_waitcnt lgkmcnt(0)
	buffer_load_dword v6, off, s[0:3], 0 offset:776
	buffer_load_dword v7, off, s[0:3], 0 offset:780
	;; [unrolled: 1-line block ×8, first 2 shown]
	v_mov_b32_e32 v1, 0
	ds_read_b128 v[2:5], v1 offset:1520
	v_cmp_lt_u32_e32 vcc, 45, v254
	s_waitcnt vmcnt(6) lgkmcnt(0)
	v_mul_f64 v[14:15], v[2:3], v[6:7]
	v_mul_f64 v[6:7], v[4:5], v[6:7]
	s_waitcnt vmcnt(4)
	v_fma_f64 v[2:3], v[2:3], v[8:9], -v[6:7]
	v_fmac_f64_e32 v[14:15], v[4:5], v[8:9]
	v_add_f64 v[2:3], v[2:3], 0
	v_add_f64 v[4:5], v[14:15], 0
	s_waitcnt vmcnt(2)
	v_add_f64 v[2:3], v[10:11], -v[2:3]
	s_waitcnt vmcnt(0)
	v_add_f64 v[4:5], v[12:13], -v[4:5]
	buffer_store_dword v2, off, s[0:3], 0 offset:752
	buffer_store_dword v3, off, s[0:3], 0 offset:756
	;; [unrolled: 1-line block ×4, first 2 shown]
	s_and_saveexec_b64 s[4:5], vcc
	s_cbranch_execz .LBB111_211
; %bb.210:
	v_accvgpr_read_b32 v0, a98
	buffer_load_dword v2, v0, s[0:3], 0 offen
	buffer_load_dword v3, v0, s[0:3], 0 offen offset:4
	buffer_load_dword v4, v0, s[0:3], 0 offen offset:8
	;; [unrolled: 1-line block ×3, first 2 shown]
	v_accvgpr_read_b32 v0, a144
	buffer_store_dword v1, off, s[0:3], 0 offset:736
	buffer_store_dword v1, off, s[0:3], 0 offset:740
	buffer_store_dword v1, off, s[0:3], 0 offset:744
	buffer_store_dword v1, off, s[0:3], 0 offset:748
	s_waitcnt vmcnt(4)
	ds_write_b128 v0, v[2:5]
.LBB111_211:
	s_or_b64 exec, exec, s[4:5]
	s_waitcnt lgkmcnt(0)
	; wave barrier
	s_waitcnt lgkmcnt(0)
	buffer_load_dword v10, off, s[0:3], 0 offset:760
	buffer_load_dword v11, off, s[0:3], 0 offset:764
	buffer_load_dword v12, off, s[0:3], 0 offset:776
	buffer_load_dword v13, off, s[0:3], 0 offset:780
	buffer_load_dword v14, off, s[0:3], 0 offset:752
	buffer_load_dword v15, off, s[0:3], 0 offset:756
	buffer_load_dword v16, off, s[0:3], 0 offset:768
	buffer_load_dword v17, off, s[0:3], 0 offset:772
	buffer_load_dword v18, off, s[0:3], 0 offset:736
	buffer_load_dword v19, off, s[0:3], 0 offset:740
	buffer_load_dword v20, off, s[0:3], 0 offset:744
	buffer_load_dword v21, off, s[0:3], 0 offset:748
	ds_read_b128 v[2:5], v1 offset:1504
	ds_read_b128 v[6:9], v1 offset:1520
	v_cmp_lt_u32_e32 vcc, 44, v254
	s_waitcnt vmcnt(10) lgkmcnt(1)
	v_mul_f64 v[22:23], v[2:3], v[10:11]
	v_mul_f64 v[10:11], v[4:5], v[10:11]
	s_waitcnt vmcnt(8) lgkmcnt(0)
	v_mul_f64 v[24:25], v[6:7], v[12:13]
	v_mul_f64 v[12:13], v[8:9], v[12:13]
	s_waitcnt vmcnt(6)
	v_fma_f64 v[2:3], v[2:3], v[14:15], -v[10:11]
	v_fmac_f64_e32 v[22:23], v[4:5], v[14:15]
	s_waitcnt vmcnt(4)
	v_fma_f64 v[4:5], v[6:7], v[16:17], -v[12:13]
	v_add_f64 v[2:3], v[2:3], 0
	v_fmac_f64_e32 v[24:25], v[8:9], v[16:17]
	v_add_f64 v[6:7], v[22:23], 0
	v_add_f64 v[2:3], v[2:3], v[4:5]
	;; [unrolled: 1-line block ×3, first 2 shown]
	s_waitcnt vmcnt(2)
	v_add_f64 v[2:3], v[18:19], -v[2:3]
	s_waitcnt vmcnt(0)
	v_add_f64 v[4:5], v[20:21], -v[6:7]
	buffer_store_dword v2, off, s[0:3], 0 offset:736
	buffer_store_dword v3, off, s[0:3], 0 offset:740
	;; [unrolled: 1-line block ×4, first 2 shown]
	s_and_saveexec_b64 s[4:5], vcc
	s_cbranch_execz .LBB111_213
; %bb.212:
	v_accvgpr_read_b32 v0, a99
	buffer_load_dword v2, v0, s[0:3], 0 offen
	buffer_load_dword v3, v0, s[0:3], 0 offen offset:4
	buffer_load_dword v4, v0, s[0:3], 0 offen offset:8
	;; [unrolled: 1-line block ×3, first 2 shown]
	v_mov_b32_e32 v0, 0
	v_accvgpr_read_b32 v1, a144
	buffer_store_dword v0, off, s[0:3], 0 offset:720
	buffer_store_dword v0, off, s[0:3], 0 offset:724
	;; [unrolled: 1-line block ×4, first 2 shown]
	s_waitcnt vmcnt(4)
	ds_write_b128 v1, v[2:5]
.LBB111_213:
	s_or_b64 exec, exec, s[4:5]
	s_waitcnt lgkmcnt(0)
	; wave barrier
	s_waitcnt lgkmcnt(0)
	buffer_load_dword v14, off, s[0:3], 0 offset:744
	buffer_load_dword v15, off, s[0:3], 0 offset:748
	;; [unrolled: 1-line block ×16, first 2 shown]
	v_mov_b32_e32 v1, 0
	ds_read_b128 v[2:5], v1 offset:1488
	ds_read_b128 v[6:9], v1 offset:1504
	;; [unrolled: 1-line block ×3, first 2 shown]
	v_cmp_lt_u32_e32 vcc, 43, v254
	s_waitcnt vmcnt(14) lgkmcnt(2)
	v_mul_f64 v[30:31], v[2:3], v[14:15]
	v_mul_f64 v[14:15], v[4:5], v[14:15]
	s_waitcnt vmcnt(12) lgkmcnt(1)
	v_mul_f64 v[32:33], v[6:7], v[16:17]
	v_mul_f64 v[16:17], v[8:9], v[16:17]
	;; [unrolled: 3-line block ×3, first 2 shown]
	s_waitcnt vmcnt(8)
	v_fma_f64 v[2:3], v[2:3], v[20:21], -v[14:15]
	v_fmac_f64_e32 v[30:31], v[4:5], v[20:21]
	s_waitcnt vmcnt(6)
	v_fma_f64 v[4:5], v[6:7], v[22:23], -v[16:17]
	v_add_f64 v[2:3], v[2:3], 0
	v_fmac_f64_e32 v[32:33], v[8:9], v[22:23]
	s_waitcnt vmcnt(4)
	v_fma_f64 v[6:7], v[10:11], v[24:25], -v[18:19]
	v_add_f64 v[8:9], v[30:31], 0
	v_add_f64 v[2:3], v[2:3], v[4:5]
	v_fmac_f64_e32 v[34:35], v[12:13], v[24:25]
	v_add_f64 v[8:9], v[8:9], v[32:33]
	v_add_f64 v[2:3], v[2:3], v[6:7]
	;; [unrolled: 1-line block ×3, first 2 shown]
	s_waitcnt vmcnt(2)
	v_add_f64 v[2:3], v[26:27], -v[2:3]
	s_waitcnt vmcnt(0)
	v_add_f64 v[4:5], v[28:29], -v[4:5]
	buffer_store_dword v2, off, s[0:3], 0 offset:720
	buffer_store_dword v3, off, s[0:3], 0 offset:724
	;; [unrolled: 1-line block ×4, first 2 shown]
	s_and_saveexec_b64 s[4:5], vcc
	s_cbranch_execz .LBB111_215
; %bb.214:
	v_accvgpr_read_b32 v0, a100
	buffer_load_dword v2, v0, s[0:3], 0 offen
	buffer_load_dword v3, v0, s[0:3], 0 offen offset:4
	buffer_load_dword v4, v0, s[0:3], 0 offen offset:8
	;; [unrolled: 1-line block ×3, first 2 shown]
	v_accvgpr_read_b32 v0, a144
	buffer_store_dword v1, off, s[0:3], 0 offset:704
	buffer_store_dword v1, off, s[0:3], 0 offset:708
	;; [unrolled: 1-line block ×4, first 2 shown]
	s_waitcnt vmcnt(4)
	ds_write_b128 v0, v[2:5]
.LBB111_215:
	s_or_b64 exec, exec, s[4:5]
	s_waitcnt lgkmcnt(0)
	; wave barrier
	s_waitcnt lgkmcnt(0)
	buffer_load_dword v18, off, s[0:3], 0 offset:728
	buffer_load_dword v19, off, s[0:3], 0 offset:732
	;; [unrolled: 1-line block ×20, first 2 shown]
	ds_read_b128 v[2:5], v1 offset:1472
	ds_read_b128 v[6:9], v1 offset:1488
	;; [unrolled: 1-line block ×4, first 2 shown]
	v_cmp_lt_u32_e32 vcc, 42, v254
	s_waitcnt vmcnt(18) lgkmcnt(3)
	v_mul_f64 v[38:39], v[2:3], v[18:19]
	v_mul_f64 v[18:19], v[4:5], v[18:19]
	s_waitcnt vmcnt(16) lgkmcnt(2)
	v_mul_f64 v[40:41], v[6:7], v[20:21]
	v_mul_f64 v[20:21], v[8:9], v[20:21]
	;; [unrolled: 3-line block ×4, first 2 shown]
	s_waitcnt vmcnt(10)
	v_fma_f64 v[2:3], v[2:3], v[26:27], -v[18:19]
	v_fmac_f64_e32 v[38:39], v[4:5], v[26:27]
	s_waitcnt vmcnt(8)
	v_fma_f64 v[4:5], v[6:7], v[28:29], -v[20:21]
	v_add_f64 v[2:3], v[2:3], 0
	v_fmac_f64_e32 v[40:41], v[8:9], v[28:29]
	s_waitcnt vmcnt(6)
	v_fma_f64 v[6:7], v[10:11], v[30:31], -v[22:23]
	v_add_f64 v[10:11], v[38:39], 0
	v_add_f64 v[2:3], v[2:3], v[4:5]
	v_fmac_f64_e32 v[42:43], v[12:13], v[30:31]
	s_waitcnt vmcnt(4)
	v_fma_f64 v[8:9], v[14:15], v[32:33], -v[24:25]
	v_add_f64 v[10:11], v[10:11], v[40:41]
	v_add_f64 v[2:3], v[2:3], v[6:7]
	v_fmac_f64_e32 v[44:45], v[16:17], v[32:33]
	v_add_f64 v[4:5], v[10:11], v[42:43]
	v_add_f64 v[2:3], v[2:3], v[8:9]
	;; [unrolled: 1-line block ×3, first 2 shown]
	s_waitcnt vmcnt(2)
	v_add_f64 v[2:3], v[34:35], -v[2:3]
	s_waitcnt vmcnt(0)
	v_add_f64 v[4:5], v[36:37], -v[4:5]
	buffer_store_dword v2, off, s[0:3], 0 offset:704
	buffer_store_dword v3, off, s[0:3], 0 offset:708
	buffer_store_dword v4, off, s[0:3], 0 offset:712
	buffer_store_dword v5, off, s[0:3], 0 offset:716
	s_and_saveexec_b64 s[4:5], vcc
	s_cbranch_execz .LBB111_217
; %bb.216:
	v_accvgpr_read_b32 v0, a101
	buffer_load_dword v2, v0, s[0:3], 0 offen
	buffer_load_dword v3, v0, s[0:3], 0 offen offset:4
	buffer_load_dword v4, v0, s[0:3], 0 offen offset:8
	;; [unrolled: 1-line block ×3, first 2 shown]
	v_mov_b32_e32 v0, 0
	v_accvgpr_read_b32 v1, a144
	buffer_store_dword v0, off, s[0:3], 0 offset:688
	buffer_store_dword v0, off, s[0:3], 0 offset:692
	;; [unrolled: 1-line block ×4, first 2 shown]
	s_waitcnt vmcnt(4)
	ds_write_b128 v1, v[2:5]
.LBB111_217:
	s_or_b64 exec, exec, s[4:5]
	s_waitcnt lgkmcnt(0)
	; wave barrier
	s_waitcnt lgkmcnt(0)
	buffer_load_dword v22, off, s[0:3], 0 offset:712
	buffer_load_dword v23, off, s[0:3], 0 offset:716
	;; [unrolled: 1-line block ×24, first 2 shown]
	v_mov_b32_e32 v1, 0
	ds_read_b128 v[2:5], v1 offset:1456
	ds_read_b128 v[6:9], v1 offset:1472
	ds_read_b128 v[10:13], v1 offset:1488
	ds_read_b128 v[14:17], v1 offset:1504
	ds_read_b128 v[18:21], v1 offset:1520
	v_cmp_lt_u32_e32 vcc, 41, v254
	s_waitcnt vmcnt(22) lgkmcnt(4)
	v_mul_f64 v[46:47], v[2:3], v[22:23]
	v_mul_f64 v[22:23], v[4:5], v[22:23]
	s_waitcnt vmcnt(20) lgkmcnt(3)
	v_mul_f64 v[48:49], v[6:7], v[24:25]
	v_mul_f64 v[24:25], v[8:9], v[24:25]
	;; [unrolled: 3-line block ×4, first 2 shown]
	s_waitcnt vmcnt(13) lgkmcnt(0)
	v_mul_f64 v[54:55], v[18:19], v[28:29]
	s_waitcnt vmcnt(11)
	v_fma_f64 v[2:3], v[2:3], v[34:35], -v[22:23]
	v_fmac_f64_e32 v[46:47], v[4:5], v[34:35]
	s_waitcnt vmcnt(9)
	v_fma_f64 v[4:5], v[6:7], v[36:37], -v[24:25]
	v_add_f64 v[2:3], v[2:3], 0
	v_fmac_f64_e32 v[48:49], v[8:9], v[36:37]
	s_waitcnt vmcnt(7)
	v_fmac_f64_e32 v[50:51], v[12:13], v[38:39]
	v_fma_f64 v[6:7], v[10:11], v[38:39], -v[26:27]
	v_add_f64 v[12:13], v[46:47], 0
	v_add_f64 v[2:3], v[2:3], v[4:5]
	v_mul_f64 v[28:29], v[20:21], v[28:29]
	s_waitcnt vmcnt(5)
	v_fma_f64 v[8:9], v[14:15], v[40:41], -v[32:33]
	v_add_f64 v[12:13], v[12:13], v[48:49]
	v_add_f64 v[2:3], v[2:3], v[6:7]
	v_fmac_f64_e32 v[52:53], v[16:17], v[40:41]
	s_waitcnt vmcnt(4)
	v_fma_f64 v[10:11], v[18:19], v[30:31], -v[28:29]
	v_add_f64 v[4:5], v[12:13], v[50:51]
	v_add_f64 v[2:3], v[2:3], v[8:9]
	v_fmac_f64_e32 v[54:55], v[20:21], v[30:31]
	v_add_f64 v[4:5], v[4:5], v[52:53]
	v_add_f64 v[2:3], v[2:3], v[10:11]
	;; [unrolled: 1-line block ×3, first 2 shown]
	s_waitcnt vmcnt(2)
	v_add_f64 v[2:3], v[42:43], -v[2:3]
	s_waitcnt vmcnt(0)
	v_add_f64 v[4:5], v[44:45], -v[4:5]
	buffer_store_dword v3, off, s[0:3], 0 offset:692
	buffer_store_dword v2, off, s[0:3], 0 offset:688
	;; [unrolled: 1-line block ×4, first 2 shown]
	s_and_saveexec_b64 s[4:5], vcc
	s_cbranch_execz .LBB111_219
; %bb.218:
	v_accvgpr_read_b32 v0, a102
	buffer_load_dword v2, v0, s[0:3], 0 offen
	buffer_load_dword v3, v0, s[0:3], 0 offen offset:4
	buffer_load_dword v4, v0, s[0:3], 0 offen offset:8
	;; [unrolled: 1-line block ×3, first 2 shown]
	v_accvgpr_read_b32 v0, a144
	buffer_store_dword v1, off, s[0:3], 0 offset:672
	buffer_store_dword v1, off, s[0:3], 0 offset:676
	;; [unrolled: 1-line block ×4, first 2 shown]
	s_waitcnt vmcnt(4)
	ds_write_b128 v0, v[2:5]
.LBB111_219:
	s_or_b64 exec, exec, s[4:5]
	s_waitcnt lgkmcnt(0)
	; wave barrier
	s_waitcnt lgkmcnt(0)
	buffer_load_dword v26, off, s[0:3], 0 offset:696
	buffer_load_dword v27, off, s[0:3], 0 offset:700
	;; [unrolled: 1-line block ×28, first 2 shown]
	ds_read_b128 v[2:5], v1 offset:1440
	ds_read_b128 v[6:9], v1 offset:1456
	;; [unrolled: 1-line block ×6, first 2 shown]
	v_cmp_lt_u32_e32 vcc, 40, v254
	s_waitcnt vmcnt(26) lgkmcnt(5)
	v_mul_f64 v[54:55], v[2:3], v[26:27]
	v_mul_f64 v[26:27], v[4:5], v[26:27]
	s_waitcnt vmcnt(24) lgkmcnt(4)
	v_mul_f64 v[56:57], v[6:7], v[28:29]
	v_mul_f64 v[28:29], v[8:9], v[28:29]
	;; [unrolled: 3-line block ×4, first 2 shown]
	s_waitcnt vmcnt(17)
	v_mul_f64 v[60:61], v[14:15], v[36:37]
	v_mul_f64 v[36:37], v[16:17], v[36:37]
	s_waitcnt vmcnt(15) lgkmcnt(0)
	v_mul_f64 v[64:65], v[22:23], v[38:39]
	v_mul_f64 v[38:39], v[24:25], v[38:39]
	s_waitcnt vmcnt(14)
	v_fmac_f64_e32 v[62:63], v[20:21], v[34:35]
	s_waitcnt vmcnt(12)
	v_fma_f64 v[2:3], v[2:3], v[40:41], -v[26:27]
	v_fmac_f64_e32 v[54:55], v[4:5], v[40:41]
	s_waitcnt vmcnt(10)
	v_fma_f64 v[4:5], v[6:7], v[42:43], -v[28:29]
	v_add_f64 v[2:3], v[2:3], 0
	v_fmac_f64_e32 v[56:57], v[8:9], v[42:43]
	s_waitcnt vmcnt(8)
	v_fma_f64 v[6:7], v[10:11], v[44:45], -v[30:31]
	s_waitcnt vmcnt(6)
	v_fma_f64 v[8:9], v[14:15], v[46:47], -v[36:37]
	v_add_f64 v[14:15], v[54:55], 0
	v_add_f64 v[2:3], v[2:3], v[4:5]
	v_fmac_f64_e32 v[58:59], v[12:13], v[44:45]
	v_add_f64 v[14:15], v[14:15], v[56:57]
	v_add_f64 v[2:3], v[2:3], v[6:7]
	v_fmac_f64_e32 v[60:61], v[16:17], v[46:47]
	v_fma_f64 v[10:11], v[18:19], v[34:35], -v[32:33]
	v_add_f64 v[4:5], v[14:15], v[58:59]
	v_add_f64 v[2:3], v[2:3], v[8:9]
	s_waitcnt vmcnt(4)
	v_fma_f64 v[12:13], v[22:23], v[48:49], -v[38:39]
	v_add_f64 v[4:5], v[4:5], v[60:61]
	v_add_f64 v[2:3], v[2:3], v[10:11]
	v_fmac_f64_e32 v[64:65], v[24:25], v[48:49]
	v_add_f64 v[4:5], v[4:5], v[62:63]
	v_add_f64 v[2:3], v[2:3], v[12:13]
	;; [unrolled: 1-line block ×3, first 2 shown]
	s_waitcnt vmcnt(2)
	v_add_f64 v[2:3], v[50:51], -v[2:3]
	s_waitcnt vmcnt(0)
	v_add_f64 v[4:5], v[52:53], -v[4:5]
	buffer_store_dword v3, off, s[0:3], 0 offset:676
	buffer_store_dword v2, off, s[0:3], 0 offset:672
	buffer_store_dword v5, off, s[0:3], 0 offset:684
	buffer_store_dword v4, off, s[0:3], 0 offset:680
	s_and_saveexec_b64 s[4:5], vcc
	s_cbranch_execz .LBB111_221
; %bb.220:
	v_accvgpr_read_b32 v0, a103
	buffer_load_dword v2, v0, s[0:3], 0 offen
	buffer_load_dword v3, v0, s[0:3], 0 offen offset:4
	buffer_load_dword v4, v0, s[0:3], 0 offen offset:8
	buffer_load_dword v5, v0, s[0:3], 0 offen offset:12
	v_mov_b32_e32 v0, 0
	v_accvgpr_read_b32 v1, a144
	buffer_store_dword v0, off, s[0:3], 0 offset:656
	buffer_store_dword v0, off, s[0:3], 0 offset:660
	;; [unrolled: 1-line block ×4, first 2 shown]
	s_waitcnt vmcnt(4)
	ds_write_b128 v1, v[2:5]
.LBB111_221:
	s_or_b64 exec, exec, s[4:5]
	s_waitcnt lgkmcnt(0)
	; wave barrier
	s_waitcnt lgkmcnt(0)
	buffer_load_dword v30, off, s[0:3], 0 offset:680
	buffer_load_dword v31, off, s[0:3], 0 offset:684
	;; [unrolled: 1-line block ×32, first 2 shown]
	v_mov_b32_e32 v1, 0
	ds_read_b128 v[2:5], v1 offset:1424
	ds_read_b128 v[6:9], v1 offset:1440
	;; [unrolled: 1-line block ×7, first 2 shown]
	v_cmp_lt_u32_e32 vcc, 39, v254
	s_waitcnt vmcnt(30) lgkmcnt(6)
	v_mul_f64 v[62:63], v[2:3], v[30:31]
	v_mul_f64 v[30:31], v[4:5], v[30:31]
	s_waitcnt vmcnt(28) lgkmcnt(5)
	v_mul_f64 v[64:65], v[6:7], v[32:33]
	v_mul_f64 v[32:33], v[8:9], v[32:33]
	;; [unrolled: 3-line block ×4, first 2 shown]
	s_waitcnt vmcnt(21)
	v_mul_f64 v[68:69], v[14:15], v[40:41]
	v_mul_f64 v[40:41], v[16:17], v[40:41]
	s_waitcnt vmcnt(17) lgkmcnt(1)
	v_mul_f64 v[72:73], v[22:23], v[46:47]
	v_mul_f64 v[46:47], v[24:25], v[46:47]
	s_waitcnt vmcnt(16) lgkmcnt(0)
	v_mul_f64 v[74:75], v[26:27], v[42:43]
	v_mul_f64 v[42:43], v[28:29], v[42:43]
	s_waitcnt vmcnt(13)
	v_fma_f64 v[2:3], v[2:3], v[48:49], -v[30:31]
	v_fmac_f64_e32 v[62:63], v[4:5], v[48:49]
	s_waitcnt vmcnt(11)
	v_fma_f64 v[4:5], v[6:7], v[50:51], -v[32:33]
	v_add_f64 v[2:3], v[2:3], 0
	v_fmac_f64_e32 v[64:65], v[8:9], v[50:51]
	s_waitcnt vmcnt(9)
	v_fma_f64 v[6:7], v[10:11], v[52:53], -v[34:35]
	s_waitcnt vmcnt(7)
	v_fmac_f64_e32 v[68:69], v[16:17], v[54:55]
	v_add_f64 v[16:17], v[62:63], 0
	v_add_f64 v[2:3], v[2:3], v[4:5]
	v_fmac_f64_e32 v[66:67], v[12:13], v[52:53]
	v_fma_f64 v[8:9], v[14:15], v[54:55], -v[40:41]
	v_add_f64 v[16:17], v[16:17], v[64:65]
	v_add_f64 v[2:3], v[2:3], v[6:7]
	v_fma_f64 v[10:11], v[18:19], v[38:39], -v[36:37]
	v_add_f64 v[4:5], v[16:17], v[66:67]
	v_add_f64 v[2:3], v[2:3], v[8:9]
	v_fmac_f64_e32 v[70:71], v[20:21], v[38:39]
	s_waitcnt vmcnt(5)
	v_fma_f64 v[12:13], v[22:23], v[56:57], -v[46:47]
	v_add_f64 v[4:5], v[4:5], v[68:69]
	v_add_f64 v[2:3], v[2:3], v[10:11]
	v_fmac_f64_e32 v[72:73], v[24:25], v[56:57]
	s_waitcnt vmcnt(4)
	v_fma_f64 v[14:15], v[26:27], v[44:45], -v[42:43]
	v_add_f64 v[4:5], v[4:5], v[70:71]
	v_add_f64 v[2:3], v[2:3], v[12:13]
	v_fmac_f64_e32 v[74:75], v[28:29], v[44:45]
	v_add_f64 v[4:5], v[4:5], v[72:73]
	v_add_f64 v[2:3], v[2:3], v[14:15]
	;; [unrolled: 1-line block ×3, first 2 shown]
	s_waitcnt vmcnt(2)
	v_add_f64 v[2:3], v[58:59], -v[2:3]
	s_waitcnt vmcnt(0)
	v_add_f64 v[4:5], v[60:61], -v[4:5]
	buffer_store_dword v3, off, s[0:3], 0 offset:660
	buffer_store_dword v2, off, s[0:3], 0 offset:656
	;; [unrolled: 1-line block ×4, first 2 shown]
	s_and_saveexec_b64 s[4:5], vcc
	s_cbranch_execz .LBB111_223
; %bb.222:
	v_accvgpr_read_b32 v0, a104
	buffer_load_dword v2, v0, s[0:3], 0 offen
	buffer_load_dword v3, v0, s[0:3], 0 offen offset:4
	buffer_load_dword v4, v0, s[0:3], 0 offen offset:8
	;; [unrolled: 1-line block ×3, first 2 shown]
	v_accvgpr_read_b32 v0, a144
	buffer_store_dword v1, off, s[0:3], 0 offset:640
	buffer_store_dword v1, off, s[0:3], 0 offset:644
	;; [unrolled: 1-line block ×4, first 2 shown]
	s_waitcnt vmcnt(4)
	ds_write_b128 v0, v[2:5]
.LBB111_223:
	s_or_b64 exec, exec, s[4:5]
	s_waitcnt lgkmcnt(0)
	; wave barrier
	s_waitcnt lgkmcnt(0)
	buffer_load_dword v34, off, s[0:3], 0 offset:664
	buffer_load_dword v35, off, s[0:3], 0 offset:668
	;; [unrolled: 1-line block ×36, first 2 shown]
	ds_read_b128 v[2:5], v1 offset:1408
	ds_read_b128 v[6:9], v1 offset:1424
	;; [unrolled: 1-line block ×8, first 2 shown]
	v_cmp_lt_u32_e32 vcc, 38, v254
	s_waitcnt vmcnt(34) lgkmcnt(7)
	v_mul_f64 v[70:71], v[2:3], v[34:35]
	v_mul_f64 v[34:35], v[4:5], v[34:35]
	s_waitcnt vmcnt(32) lgkmcnt(6)
	v_mul_f64 v[72:73], v[6:7], v[36:37]
	v_mul_f64 v[36:37], v[8:9], v[36:37]
	;; [unrolled: 3-line block ×4, first 2 shown]
	s_waitcnt vmcnt(25)
	v_mul_f64 v[76:77], v[14:15], v[44:45]
	v_mul_f64 v[44:45], v[16:17], v[44:45]
	s_waitcnt vmcnt(23) lgkmcnt(1)
	v_mul_f64 v[82:83], v[26:27], v[46:47]
	v_mul_f64 v[46:47], v[28:29], v[46:47]
	s_waitcnt vmcnt(20)
	v_mul_f64 v[80:81], v[22:23], v[50:51]
	v_mul_f64 v[50:51], v[24:25], v[50:51]
	s_waitcnt vmcnt(18) lgkmcnt(0)
	v_mul_f64 v[84:85], v[30:31], v[52:53]
	s_waitcnt vmcnt(17)
	v_fmac_f64_e32 v[78:79], v[20:21], v[42:43]
	s_waitcnt vmcnt(16)
	v_fmac_f64_e32 v[82:83], v[28:29], v[48:49]
	s_waitcnt vmcnt(14)
	v_fma_f64 v[2:3], v[2:3], v[54:55], -v[34:35]
	v_fmac_f64_e32 v[70:71], v[4:5], v[54:55]
	s_waitcnt vmcnt(12)
	v_fma_f64 v[4:5], v[6:7], v[56:57], -v[36:37]
	v_add_f64 v[2:3], v[2:3], 0
	v_fmac_f64_e32 v[72:73], v[8:9], v[56:57]
	s_waitcnt vmcnt(10)
	v_fma_f64 v[6:7], v[10:11], v[58:59], -v[38:39]
	s_waitcnt vmcnt(8)
	v_fmac_f64_e32 v[76:77], v[16:17], v[60:61]
	v_add_f64 v[16:17], v[70:71], 0
	v_add_f64 v[2:3], v[2:3], v[4:5]
	v_fmac_f64_e32 v[74:75], v[12:13], v[58:59]
	v_fma_f64 v[8:9], v[14:15], v[60:61], -v[44:45]
	v_add_f64 v[16:17], v[16:17], v[72:73]
	v_add_f64 v[2:3], v[2:3], v[6:7]
	v_fma_f64 v[10:11], v[18:19], v[42:43], -v[40:41]
	v_add_f64 v[4:5], v[16:17], v[74:75]
	v_add_f64 v[2:3], v[2:3], v[8:9]
	s_waitcnt vmcnt(6)
	v_fma_f64 v[12:13], v[22:23], v[62:63], -v[50:51]
	v_add_f64 v[4:5], v[4:5], v[76:77]
	v_add_f64 v[2:3], v[2:3], v[10:11]
	v_fmac_f64_e32 v[80:81], v[24:25], v[62:63]
	v_fma_f64 v[14:15], v[26:27], v[48:49], -v[46:47]
	v_add_f64 v[4:5], v[4:5], v[78:79]
	v_add_f64 v[2:3], v[2:3], v[12:13]
	v_mul_f64 v[6:7], v[32:33], v[52:53]
	v_add_f64 v[4:5], v[4:5], v[80:81]
	v_add_f64 v[2:3], v[2:3], v[14:15]
	s_waitcnt vmcnt(4)
	v_fma_f64 v[6:7], v[30:31], v[64:65], -v[6:7]
	v_fmac_f64_e32 v[84:85], v[32:33], v[64:65]
	v_add_f64 v[4:5], v[4:5], v[82:83]
	v_add_f64 v[2:3], v[2:3], v[6:7]
	;; [unrolled: 1-line block ×3, first 2 shown]
	s_waitcnt vmcnt(2)
	v_add_f64 v[2:3], v[66:67], -v[2:3]
	s_waitcnt vmcnt(0)
	v_add_f64 v[4:5], v[68:69], -v[4:5]
	buffer_store_dword v3, off, s[0:3], 0 offset:644
	buffer_store_dword v2, off, s[0:3], 0 offset:640
	;; [unrolled: 1-line block ×4, first 2 shown]
	s_and_saveexec_b64 s[4:5], vcc
	s_cbranch_execz .LBB111_225
; %bb.224:
	v_accvgpr_read_b32 v0, a105
	buffer_load_dword v2, v0, s[0:3], 0 offen
	buffer_load_dword v3, v0, s[0:3], 0 offen offset:4
	buffer_load_dword v4, v0, s[0:3], 0 offen offset:8
	;; [unrolled: 1-line block ×3, first 2 shown]
	v_mov_b32_e32 v0, 0
	v_accvgpr_read_b32 v1, a144
	buffer_store_dword v0, off, s[0:3], 0 offset:624
	buffer_store_dword v0, off, s[0:3], 0 offset:628
	;; [unrolled: 1-line block ×4, first 2 shown]
	s_waitcnt vmcnt(4)
	ds_write_b128 v1, v[2:5]
.LBB111_225:
	s_or_b64 exec, exec, s[4:5]
	s_waitcnt lgkmcnt(0)
	; wave barrier
	s_waitcnt lgkmcnt(0)
	buffer_load_dword v38, off, s[0:3], 0 offset:648
	buffer_load_dword v39, off, s[0:3], 0 offset:652
	;; [unrolled: 1-line block ×40, first 2 shown]
	v_mov_b32_e32 v1, 0
	ds_read_b128 v[2:5], v1 offset:1392
	ds_read_b128 v[6:9], v1 offset:1408
	;; [unrolled: 1-line block ×9, first 2 shown]
	v_cmp_lt_u32_e32 vcc, 37, v254
	s_waitcnt vmcnt(38) lgkmcnt(8)
	v_mul_f64 v[78:79], v[2:3], v[38:39]
	v_mul_f64 v[38:39], v[4:5], v[38:39]
	s_waitcnt vmcnt(36) lgkmcnt(7)
	v_mul_f64 v[80:81], v[6:7], v[40:41]
	v_mul_f64 v[40:41], v[8:9], v[40:41]
	;; [unrolled: 3-line block ×3, first 2 shown]
	s_waitcnt vmcnt(32) lgkmcnt(4)
	v_mul_f64 v[86:87], v[18:19], v[44:45]
	s_waitcnt vmcnt(30)
	v_fmac_f64_e32 v[86:87], v[20:21], v[46:47]
	s_waitcnt vmcnt(28)
	v_mul_f64 v[84:85], v[14:15], v[48:49]
	v_mul_f64 v[48:49], v[16:17], v[48:49]
	s_waitcnt vmcnt(26) lgkmcnt(2)
	v_mul_f64 v[90:91], v[26:27], v[50:51]
	s_waitcnt vmcnt(24)
	v_fmac_f64_e32 v[90:91], v[28:29], v[52:53]
	s_waitcnt vmcnt(22)
	v_mul_f64 v[88:89], v[22:23], v[54:55]
	s_waitcnt vmcnt(18) lgkmcnt(1)
	v_mul_f64 v[92:93], v[30:31], v[60:61]
	s_waitcnt vmcnt(17) lgkmcnt(0)
	v_mul_f64 v[94:95], v[34:35], v[56:57]
	s_waitcnt vmcnt(15)
	v_fma_f64 v[2:3], v[2:3], v[62:63], -v[38:39]
	v_fmac_f64_e32 v[78:79], v[4:5], v[62:63]
	s_waitcnt vmcnt(13)
	v_fma_f64 v[4:5], v[6:7], v[64:65], -v[40:41]
	v_add_f64 v[2:3], v[2:3], 0
	s_waitcnt vmcnt(11)
	v_fma_f64 v[6:7], v[10:11], v[66:67], -v[42:43]
	v_add_f64 v[2:3], v[2:3], v[4:5]
	v_fmac_f64_e32 v[80:81], v[8:9], v[64:65]
	s_waitcnt vmcnt(9)
	v_fma_f64 v[8:9], v[14:15], v[68:69], -v[48:49]
	v_add_f64 v[2:3], v[2:3], v[6:7]
	v_mul_f64 v[6:7], v[20:21], v[44:45]
	v_add_f64 v[2:3], v[2:3], v[8:9]
	v_fma_f64 v[6:7], v[18:19], v[46:47], -v[6:7]
	v_add_f64 v[2:3], v[2:3], v[6:7]
	v_mul_f64 v[6:7], v[24:25], v[54:55]
	v_add_f64 v[10:11], v[78:79], 0
	s_waitcnt vmcnt(7)
	v_fma_f64 v[6:7], v[22:23], v[70:71], -v[6:7]
	v_fmac_f64_e32 v[82:83], v[12:13], v[66:67]
	v_add_f64 v[10:11], v[10:11], v[80:81]
	v_add_f64 v[2:3], v[2:3], v[6:7]
	v_mul_f64 v[6:7], v[28:29], v[50:51]
	v_fmac_f64_e32 v[84:85], v[16:17], v[68:69]
	v_add_f64 v[4:5], v[10:11], v[82:83]
	v_fma_f64 v[6:7], v[26:27], v[52:53], -v[6:7]
	v_add_f64 v[4:5], v[4:5], v[84:85]
	v_add_f64 v[2:3], v[2:3], v[6:7]
	v_mul_f64 v[6:7], v[32:33], v[60:61]
	v_fmac_f64_e32 v[88:89], v[24:25], v[70:71]
	v_add_f64 v[4:5], v[4:5], v[86:87]
	s_waitcnt vmcnt(5)
	v_fma_f64 v[6:7], v[30:31], v[72:73], -v[6:7]
	v_add_f64 v[4:5], v[4:5], v[88:89]
	v_add_f64 v[2:3], v[2:3], v[6:7]
	v_mul_f64 v[6:7], v[36:37], v[56:57]
	v_fmac_f64_e32 v[92:93], v[32:33], v[72:73]
	v_add_f64 v[4:5], v[4:5], v[90:91]
	s_waitcnt vmcnt(4)
	v_fma_f64 v[6:7], v[34:35], v[58:59], -v[6:7]
	v_fmac_f64_e32 v[94:95], v[36:37], v[58:59]
	v_add_f64 v[4:5], v[4:5], v[92:93]
	v_add_f64 v[2:3], v[2:3], v[6:7]
	;; [unrolled: 1-line block ×3, first 2 shown]
	s_waitcnt vmcnt(2)
	v_add_f64 v[2:3], v[74:75], -v[2:3]
	s_waitcnt vmcnt(0)
	v_add_f64 v[4:5], v[76:77], -v[4:5]
	buffer_store_dword v3, off, s[0:3], 0 offset:628
	buffer_store_dword v2, off, s[0:3], 0 offset:624
	;; [unrolled: 1-line block ×4, first 2 shown]
	s_and_saveexec_b64 s[4:5], vcc
	s_cbranch_execz .LBB111_227
; %bb.226:
	v_accvgpr_read_b32 v0, a106
	buffer_load_dword v2, v0, s[0:3], 0 offen
	buffer_load_dword v3, v0, s[0:3], 0 offen offset:4
	buffer_load_dword v4, v0, s[0:3], 0 offen offset:8
	;; [unrolled: 1-line block ×3, first 2 shown]
	v_accvgpr_read_b32 v0, a144
	buffer_store_dword v1, off, s[0:3], 0 offset:608
	buffer_store_dword v1, off, s[0:3], 0 offset:612
	;; [unrolled: 1-line block ×4, first 2 shown]
	s_waitcnt vmcnt(4)
	ds_write_b128 v0, v[2:5]
.LBB111_227:
	s_or_b64 exec, exec, s[4:5]
	s_waitcnt lgkmcnt(0)
	; wave barrier
	s_waitcnt lgkmcnt(0)
	buffer_load_dword v4, off, s[0:3], 0 offset:624
	buffer_load_dword v5, off, s[0:3], 0 offset:628
	;; [unrolled: 1-line block ×44, first 2 shown]
	ds_read_b128 v[6:9], v1 offset:1376
	ds_read_b128 v[10:13], v1 offset:1392
	;; [unrolled: 1-line block ×10, first 2 shown]
	v_cmp_lt_u32_e32 vcc, 36, v254
	s_waitcnt vmcnt(40) lgkmcnt(9)
	v_mul_f64 v[86:87], v[6:7], v[46:47]
	v_mul_f64 v[46:47], v[8:9], v[46:47]
	s_waitcnt vmcnt(38) lgkmcnt(8)
	v_mul_f64 v[88:89], v[10:11], v[48:49]
	v_mul_f64 v[48:49], v[12:13], v[48:49]
	v_fmac_f64_e32 v[86:87], v[8:9], v[4:5]
	v_fma_f64 v[4:5], v[6:7], v[4:5], -v[46:47]
	s_waitcnt vmcnt(36) lgkmcnt(7)
	v_mul_f64 v[90:91], v[14:15], v[2:3]
	v_add_f64 v[4:5], v[4:5], 0
	v_mul_f64 v[2:3], v[16:17], v[2:3]
	v_add_f64 v[8:9], v[86:87], 0
	s_waitcnt vmcnt(30) lgkmcnt(6)
	v_mul_f64 v[92:93], v[18:19], v[54:55]
	s_waitcnt lgkmcnt(5)
	v_mul_f64 v[94:95], v[22:23], v[50:51]
	v_fmac_f64_e32 v[94:95], v[24:25], v[52:53]
	s_waitcnt vmcnt(28) lgkmcnt(3)
	v_mul_f64 v[98:99], v[30:31], v[56:57]
	s_waitcnt vmcnt(26)
	v_fmac_f64_e32 v[98:99], v[32:33], v[58:59]
	s_waitcnt vmcnt(24)
	v_mul_f64 v[96:97], v[26:27], v[60:61]
	s_waitcnt vmcnt(22) lgkmcnt(1)
	v_mul_f64 v[102:103], v[38:39], v[62:63]
	s_waitcnt vmcnt(20)
	v_fmac_f64_e32 v[102:103], v[40:41], v[64:65]
	s_waitcnt vmcnt(18)
	v_mul_f64 v[100:101], v[34:35], v[66:67]
	s_waitcnt vmcnt(16) lgkmcnt(0)
	v_mul_f64 v[104:105], v[42:43], v[68:69]
	s_waitcnt vmcnt(14)
	v_fma_f64 v[6:7], v[10:11], v[70:71], -v[48:49]
	v_add_f64 v[4:5], v[4:5], v[6:7]
	s_waitcnt vmcnt(12)
	v_fma_f64 v[2:3], v[14:15], v[72:73], -v[2:3]
	v_add_f64 v[2:3], v[4:5], v[2:3]
	v_mul_f64 v[4:5], v[20:21], v[54:55]
	s_waitcnt vmcnt(10)
	v_fma_f64 v[4:5], v[18:19], v[74:75], -v[4:5]
	v_add_f64 v[2:3], v[2:3], v[4:5]
	v_mul_f64 v[4:5], v[24:25], v[50:51]
	v_fma_f64 v[4:5], v[22:23], v[52:53], -v[4:5]
	v_add_f64 v[2:3], v[2:3], v[4:5]
	v_mul_f64 v[4:5], v[28:29], v[60:61]
	s_waitcnt vmcnt(8)
	v_fma_f64 v[4:5], v[26:27], v[76:77], -v[4:5]
	v_fmac_f64_e32 v[88:89], v[12:13], v[70:71]
	v_add_f64 v[2:3], v[2:3], v[4:5]
	v_mul_f64 v[4:5], v[32:33], v[56:57]
	v_fmac_f64_e32 v[90:91], v[16:17], v[72:73]
	v_add_f64 v[8:9], v[8:9], v[88:89]
	v_fma_f64 v[4:5], v[30:31], v[58:59], -v[4:5]
	v_fmac_f64_e32 v[92:93], v[20:21], v[74:75]
	v_add_f64 v[6:7], v[8:9], v[90:91]
	v_add_f64 v[2:3], v[2:3], v[4:5]
	v_mul_f64 v[4:5], v[36:37], v[66:67]
	v_add_f64 v[6:7], v[6:7], v[92:93]
	s_waitcnt vmcnt(6)
	v_fma_f64 v[4:5], v[34:35], v[78:79], -v[4:5]
	v_fmac_f64_e32 v[96:97], v[28:29], v[76:77]
	v_add_f64 v[6:7], v[6:7], v[94:95]
	v_add_f64 v[2:3], v[2:3], v[4:5]
	v_mul_f64 v[4:5], v[40:41], v[62:63]
	v_add_f64 v[6:7], v[6:7], v[96:97]
	v_fma_f64 v[4:5], v[38:39], v[64:65], -v[4:5]
	v_fmac_f64_e32 v[100:101], v[36:37], v[78:79]
	v_add_f64 v[6:7], v[6:7], v[98:99]
	v_add_f64 v[2:3], v[2:3], v[4:5]
	v_mul_f64 v[4:5], v[44:45], v[68:69]
	v_add_f64 v[6:7], v[6:7], v[100:101]
	s_waitcnt vmcnt(4)
	v_fma_f64 v[4:5], v[42:43], v[80:81], -v[4:5]
	v_fmac_f64_e32 v[104:105], v[44:45], v[80:81]
	v_add_f64 v[6:7], v[6:7], v[102:103]
	v_add_f64 v[2:3], v[2:3], v[4:5]
	;; [unrolled: 1-line block ×3, first 2 shown]
	s_waitcnt vmcnt(2)
	v_add_f64 v[2:3], v[82:83], -v[2:3]
	s_waitcnt vmcnt(0)
	v_add_f64 v[4:5], v[84:85], -v[6:7]
	buffer_store_dword v3, off, s[0:3], 0 offset:612
	buffer_store_dword v2, off, s[0:3], 0 offset:608
	buffer_store_dword v5, off, s[0:3], 0 offset:620
	buffer_store_dword v4, off, s[0:3], 0 offset:616
	s_and_saveexec_b64 s[4:5], vcc
	s_cbranch_execz .LBB111_229
; %bb.228:
	v_accvgpr_read_b32 v0, a107
	buffer_load_dword v2, v0, s[0:3], 0 offen
	buffer_load_dword v3, v0, s[0:3], 0 offen offset:4
	buffer_load_dword v4, v0, s[0:3], 0 offen offset:8
	;; [unrolled: 1-line block ×3, first 2 shown]
	v_mov_b32_e32 v0, 0
	v_accvgpr_read_b32 v1, a144
	buffer_store_dword v0, off, s[0:3], 0 offset:592
	buffer_store_dword v0, off, s[0:3], 0 offset:596
	;; [unrolled: 1-line block ×4, first 2 shown]
	s_waitcnt vmcnt(4)
	ds_write_b128 v1, v[2:5]
.LBB111_229:
	s_or_b64 exec, exec, s[4:5]
	v_mov_b32_e32 v1, 0
	s_waitcnt lgkmcnt(0)
	; wave barrier
	s_waitcnt lgkmcnt(0)
	ds_read_b128 v[14:17], v1 offset:1360
	ds_read_b128 v[10:13], v1 offset:1376
	ds_read_b128 v[6:9], v1 offset:1392
	ds_read_b128 v[2:5], v1 offset:1408
	buffer_load_dword v48, off, s[0:3], 0 offset:592
	buffer_load_dword v49, off, s[0:3], 0 offset:596
	;; [unrolled: 1-line block ×20, first 2 shown]
	v_cmp_lt_u32_e32 vcc, 35, v254
	s_waitcnt vmcnt(12) lgkmcnt(3)
	v_mul_f64 v[18:19], v[14:15], v[56:57]
	v_fmac_f64_e32 v[18:19], v[16:17], v[50:51]
	v_add_f64 v[18:19], v[18:19], 0
	v_mul_f64 v[16:17], v[16:17], v[56:57]
	s_waitcnt vmcnt(8) lgkmcnt(2)
	v_mul_f64 v[20:21], v[10:11], v[58:59]
	v_fmac_f64_e32 v[20:21], v[12:13], v[52:53]
	v_add_f64 v[18:19], v[18:19], v[20:21]
	v_fma_f64 v[14:15], v[14:15], v[50:51], -v[16:17]
	s_waitcnt vmcnt(4) lgkmcnt(1)
	v_mul_f64 v[20:21], v[6:7], v[60:61]
	v_fmac_f64_e32 v[20:21], v[8:9], v[54:55]
	v_add_f64 v[18:19], v[18:19], v[20:21]
	s_waitcnt vmcnt(0) lgkmcnt(0)
	v_mul_f64 v[20:21], v[2:3], v[64:65]
	v_fmac_f64_e32 v[20:21], v[4:5], v[62:63]
	v_add_f64 v[22:23], v[18:19], v[20:21]
	ds_read_b128 v[18:21], v1 offset:1424
	buffer_load_dword v67, off, s[0:3], 0 offset:676
	buffer_load_dword v66, off, s[0:3], 0 offset:672
	;; [unrolled: 1-line block ×4, first 2 shown]
	v_mul_f64 v[12:13], v[12:13], v[58:59]
	v_add_f64 v[14:15], v[14:15], 0
	v_fma_f64 v[10:11], v[10:11], v[52:53], -v[12:13]
	v_mul_f64 v[8:9], v[8:9], v[60:61]
	v_add_f64 v[10:11], v[14:15], v[10:11]
	v_fma_f64 v[6:7], v[6:7], v[54:55], -v[8:9]
	;; [unrolled: 3-line block ×3, first 2 shown]
	v_add_f64 v[2:3], v[6:7], v[2:3]
	s_waitcnt vmcnt(0) lgkmcnt(0)
	v_mul_f64 v[24:25], v[18:19], v[68:69]
	v_fmac_f64_e32 v[24:25], v[20:21], v[66:67]
	v_add_f64 v[26:27], v[22:23], v[24:25]
	ds_read_b128 v[22:25], v1 offset:1440
	buffer_load_dword v71, off, s[0:3], 0 offset:692
	buffer_load_dword v70, off, s[0:3], 0 offset:688
	buffer_load_dword v73, off, s[0:3], 0 offset:700
	buffer_load_dword v72, off, s[0:3], 0 offset:696
	v_mul_f64 v[4:5], v[20:21], v[68:69]
	v_fma_f64 v[4:5], v[18:19], v[66:67], -v[4:5]
	v_add_f64 v[2:3], v[2:3], v[4:5]
	s_waitcnt vmcnt(0) lgkmcnt(0)
	v_mul_f64 v[28:29], v[22:23], v[72:73]
	v_fmac_f64_e32 v[28:29], v[24:25], v[70:71]
	v_add_f64 v[30:31], v[26:27], v[28:29]
	ds_read_b128 v[26:29], v1 offset:1456
	buffer_load_dword v75, off, s[0:3], 0 offset:708
	buffer_load_dword v74, off, s[0:3], 0 offset:704
	buffer_load_dword v77, off, s[0:3], 0 offset:716
	buffer_load_dword v76, off, s[0:3], 0 offset:712
	v_mul_f64 v[4:5], v[24:25], v[72:73]
	v_fma_f64 v[4:5], v[22:23], v[70:71], -v[4:5]
	;; [unrolled: 12-line block ×6, first 2 shown]
	v_add_f64 v[2:3], v[2:3], v[4:5]
	s_waitcnt vmcnt(0) lgkmcnt(0)
	v_mul_f64 v[4:5], v[44:45], v[92:93]
	v_mul_f64 v[96:97], v[42:43], v[92:93]
	v_fma_f64 v[4:5], v[42:43], v[90:91], -v[4:5]
	v_fmac_f64_e32 v[96:97], v[44:45], v[90:91]
	v_add_f64 v[2:3], v[2:3], v[4:5]
	v_add_f64 v[94:95], v[94:95], v[96:97]
	v_add_f64 v[2:3], v[48:49], -v[2:3]
	v_add_f64 v[4:5], v[46:47], -v[94:95]
	buffer_store_dword v3, off, s[0:3], 0 offset:596
	buffer_store_dword v2, off, s[0:3], 0 offset:592
	;; [unrolled: 1-line block ×4, first 2 shown]
	s_and_saveexec_b64 s[4:5], vcc
	s_cbranch_execz .LBB111_231
; %bb.230:
	v_accvgpr_read_b32 v0, a108
	buffer_load_dword v2, v0, s[0:3], 0 offen
	buffer_load_dword v3, v0, s[0:3], 0 offen offset:4
	buffer_load_dword v4, v0, s[0:3], 0 offen offset:8
	;; [unrolled: 1-line block ×3, first 2 shown]
	v_accvgpr_read_b32 v0, a144
	buffer_store_dword v1, off, s[0:3], 0 offset:576
	buffer_store_dword v1, off, s[0:3], 0 offset:580
	;; [unrolled: 1-line block ×4, first 2 shown]
	s_waitcnt vmcnt(4)
	ds_write_b128 v0, v[2:5]
.LBB111_231:
	s_or_b64 exec, exec, s[4:5]
	s_waitcnt lgkmcnt(0)
	; wave barrier
	s_waitcnt lgkmcnt(0)
	ds_read_b128 v[14:17], v1 offset:1344
	ds_read_b128 v[10:13], v1 offset:1360
	;; [unrolled: 1-line block ×4, first 2 shown]
	buffer_load_dword v48, off, s[0:3], 0 offset:576
	buffer_load_dword v49, off, s[0:3], 0 offset:580
	;; [unrolled: 1-line block ×20, first 2 shown]
	v_cmp_lt_u32_e32 vcc, 34, v254
	s_waitcnt vmcnt(12) lgkmcnt(3)
	v_mul_f64 v[18:19], v[14:15], v[56:57]
	v_fmac_f64_e32 v[18:19], v[16:17], v[50:51]
	v_add_f64 v[18:19], v[18:19], 0
	v_mul_f64 v[16:17], v[16:17], v[56:57]
	s_waitcnt vmcnt(8) lgkmcnt(2)
	v_mul_f64 v[20:21], v[10:11], v[58:59]
	v_fmac_f64_e32 v[20:21], v[12:13], v[52:53]
	v_add_f64 v[18:19], v[18:19], v[20:21]
	v_fma_f64 v[14:15], v[14:15], v[50:51], -v[16:17]
	s_waitcnt vmcnt(4) lgkmcnt(1)
	v_mul_f64 v[20:21], v[6:7], v[60:61]
	v_fmac_f64_e32 v[20:21], v[8:9], v[54:55]
	v_add_f64 v[18:19], v[18:19], v[20:21]
	s_waitcnt vmcnt(0) lgkmcnt(0)
	v_mul_f64 v[20:21], v[2:3], v[64:65]
	v_fmac_f64_e32 v[20:21], v[4:5], v[62:63]
	v_add_f64 v[22:23], v[18:19], v[20:21]
	ds_read_b128 v[18:21], v1 offset:1408
	buffer_load_dword v67, off, s[0:3], 0 offset:660
	buffer_load_dword v66, off, s[0:3], 0 offset:656
	;; [unrolled: 1-line block ×4, first 2 shown]
	v_mul_f64 v[12:13], v[12:13], v[58:59]
	v_add_f64 v[14:15], v[14:15], 0
	v_fma_f64 v[10:11], v[10:11], v[52:53], -v[12:13]
	v_mul_f64 v[8:9], v[8:9], v[60:61]
	v_add_f64 v[10:11], v[14:15], v[10:11]
	v_fma_f64 v[6:7], v[6:7], v[54:55], -v[8:9]
	;; [unrolled: 3-line block ×3, first 2 shown]
	v_add_f64 v[2:3], v[6:7], v[2:3]
	s_waitcnt vmcnt(0) lgkmcnt(0)
	v_mul_f64 v[24:25], v[18:19], v[68:69]
	v_fmac_f64_e32 v[24:25], v[20:21], v[66:67]
	v_add_f64 v[26:27], v[22:23], v[24:25]
	ds_read_b128 v[22:25], v1 offset:1424
	buffer_load_dword v71, off, s[0:3], 0 offset:676
	buffer_load_dword v70, off, s[0:3], 0 offset:672
	buffer_load_dword v73, off, s[0:3], 0 offset:684
	buffer_load_dword v72, off, s[0:3], 0 offset:680
	v_mul_f64 v[4:5], v[20:21], v[68:69]
	v_fma_f64 v[4:5], v[18:19], v[66:67], -v[4:5]
	v_add_f64 v[2:3], v[2:3], v[4:5]
	s_waitcnt vmcnt(0) lgkmcnt(0)
	v_mul_f64 v[28:29], v[22:23], v[72:73]
	v_fmac_f64_e32 v[28:29], v[24:25], v[70:71]
	v_add_f64 v[30:31], v[26:27], v[28:29]
	ds_read_b128 v[26:29], v1 offset:1440
	buffer_load_dword v75, off, s[0:3], 0 offset:692
	buffer_load_dword v74, off, s[0:3], 0 offset:688
	buffer_load_dword v77, off, s[0:3], 0 offset:700
	buffer_load_dword v76, off, s[0:3], 0 offset:696
	v_mul_f64 v[4:5], v[24:25], v[72:73]
	v_fma_f64 v[4:5], v[22:23], v[70:71], -v[4:5]
	;; [unrolled: 12-line block ×7, first 2 shown]
	v_add_f64 v[2:3], v[2:3], v[4:5]
	s_waitcnt vmcnt(0) lgkmcnt(0)
	v_mul_f64 v[4:5], v[96:97], v[102:103]
	v_mul_f64 v[104:105], v[94:95], v[102:103]
	v_fma_f64 v[4:5], v[94:95], v[100:101], -v[4:5]
	v_fmac_f64_e32 v[104:105], v[96:97], v[100:101]
	v_add_f64 v[2:3], v[2:3], v[4:5]
	v_add_f64 v[98:99], v[98:99], v[104:105]
	v_add_f64 v[2:3], v[48:49], -v[2:3]
	v_add_f64 v[4:5], v[46:47], -v[98:99]
	buffer_store_dword v3, off, s[0:3], 0 offset:580
	buffer_store_dword v2, off, s[0:3], 0 offset:576
	;; [unrolled: 1-line block ×4, first 2 shown]
	s_and_saveexec_b64 s[4:5], vcc
	s_cbranch_execz .LBB111_233
; %bb.232:
	v_accvgpr_read_b32 v0, a109
	buffer_load_dword v2, v0, s[0:3], 0 offen
	buffer_load_dword v3, v0, s[0:3], 0 offen offset:4
	buffer_load_dword v4, v0, s[0:3], 0 offen offset:8
	;; [unrolled: 1-line block ×3, first 2 shown]
	v_mov_b32_e32 v0, 0
	v_accvgpr_read_b32 v1, a144
	buffer_store_dword v0, off, s[0:3], 0 offset:560
	buffer_store_dword v0, off, s[0:3], 0 offset:564
	;; [unrolled: 1-line block ×4, first 2 shown]
	s_waitcnt vmcnt(4)
	ds_write_b128 v1, v[2:5]
.LBB111_233:
	s_or_b64 exec, exec, s[4:5]
	s_waitcnt lgkmcnt(0)
	; wave barrier
	s_waitcnt lgkmcnt(0)
	buffer_load_dword v2, off, s[0:3], 0 offset:576
	buffer_load_dword v3, off, s[0:3], 0 offset:580
	;; [unrolled: 1-line block ×56, first 2 shown]
	v_mov_b32_e32 v1, 0
	ds_read_b128 v[30:33], v1 offset:1328
	ds_read_b128 v[34:37], v1 offset:1344
	ds_read_b128 v[38:41], v1 offset:1360
	ds_read_b128 v[42:45], v1 offset:1376
	ds_read_b128 v[46:49], v1 offset:1392
	ds_read_b128 v[50:53], v1 offset:1408
	ds_read_b128 v[54:57], v1 offset:1424
	ds_read_b128 v[58:61], v1 offset:1440
	ds_read_b128 v[78:81], v1 offset:1520
	v_cmp_lt_u32_e32 vcc, 33, v254
	s_waitcnt vmcnt(52) lgkmcnt(8)
	v_mul_f64 v[62:63], v[30:31], v[6:7]
	v_fmac_f64_e32 v[62:63], v[32:33], v[2:3]
	v_mul_f64 v[6:7], v[32:33], v[6:7]
	v_add_f64 v[62:63], v[62:63], 0
	s_waitcnt vmcnt(48) lgkmcnt(7)
	v_mul_f64 v[64:65], v[34:35], v[8:9]
	v_fmac_f64_e32 v[64:65], v[36:37], v[4:5]
	s_waitcnt vmcnt(46) lgkmcnt(6)
	v_mul_f64 v[66:67], v[38:39], v[10:11]
	v_fma_f64 v[2:3], v[30:31], v[2:3], -v[6:7]
	v_mul_f64 v[6:7], v[36:37], v[8:9]
	s_waitcnt vmcnt(44) lgkmcnt(5)
	v_mul_f64 v[68:69], v[42:43], v[12:13]
	v_add_f64 v[62:63], v[62:63], v[64:65]
	v_add_f64 v[2:3], v[2:3], 0
	v_fma_f64 v[4:5], v[34:35], v[4:5], -v[6:7]
	v_add_f64 v[2:3], v[2:3], v[4:5]
	v_mul_f64 v[4:5], v[40:41], v[10:11]
	s_waitcnt vmcnt(37) lgkmcnt(4)
	v_mul_f64 v[70:71], v[46:47], v[20:21]
	s_waitcnt lgkmcnt(3)
	v_mul_f64 v[72:73], v[50:51], v[18:19]
	s_waitcnt vmcnt(35)
	v_fmac_f64_e32 v[70:71], v[48:49], v[22:23]
	s_waitcnt lgkmcnt(2)
	v_mul_f64 v[74:75], v[54:55], v[14:15]
	s_waitcnt vmcnt(33)
	v_fmac_f64_e32 v[66:67], v[40:41], v[28:29]
	v_add_f64 v[62:63], v[62:63], v[66:67]
	s_waitcnt vmcnt(31)
	v_fmac_f64_e32 v[68:69], v[44:45], v[26:27]
	v_add_f64 v[62:63], v[62:63], v[68:69]
	v_fma_f64 v[4:5], v[38:39], v[28:29], -v[4:5]
	s_waitcnt vmcnt(29)
	v_fmac_f64_e32 v[72:73], v[52:53], v[24:25]
	v_add_f64 v[62:63], v[62:63], v[70:71]
	v_add_f64 v[2:3], v[2:3], v[4:5]
	v_mul_f64 v[4:5], v[44:45], v[12:13]
	s_waitcnt vmcnt(28)
	v_fmac_f64_e32 v[74:75], v[56:57], v[16:17]
	v_add_f64 v[62:63], v[62:63], v[72:73]
	v_fma_f64 v[4:5], v[42:43], v[26:27], -v[4:5]
	v_add_f64 v[66:67], v[62:63], v[74:75]
	ds_read_b128 v[62:65], v1 offset:1456
	s_waitcnt vmcnt(24) lgkmcnt(2)
	v_mul_f64 v[68:69], v[58:59], v[86:87]
	v_add_f64 v[2:3], v[2:3], v[4:5]
	v_mul_f64 v[4:5], v[48:49], v[20:21]
	s_waitcnt vmcnt(22)
	v_fmac_f64_e32 v[68:69], v[60:61], v[88:89]
	v_fma_f64 v[4:5], v[46:47], v[22:23], -v[4:5]
	v_add_f64 v[70:71], v[66:67], v[68:69]
	ds_read_b128 v[66:69], v1 offset:1472
	v_add_f64 v[2:3], v[2:3], v[4:5]
	v_mul_f64 v[4:5], v[52:53], v[18:19]
	v_fma_f64 v[4:5], v[50:51], v[24:25], -v[4:5]
	v_add_f64 v[2:3], v[2:3], v[4:5]
	v_mul_f64 v[4:5], v[56:57], v[14:15]
	s_waitcnt vmcnt(21) lgkmcnt(1)
	v_mul_f64 v[72:73], v[62:63], v[82:83]
	v_fma_f64 v[4:5], v[54:55], v[16:17], -v[4:5]
	s_waitcnt vmcnt(20)
	v_fmac_f64_e32 v[72:73], v[64:65], v[84:85]
	v_add_f64 v[2:3], v[2:3], v[4:5]
	v_mul_f64 v[4:5], v[60:61], v[86:87]
	v_add_f64 v[74:75], v[70:71], v[72:73]
	ds_read_b128 v[70:73], v1 offset:1488
	s_waitcnt vmcnt(16) lgkmcnt(1)
	v_mul_f64 v[76:77], v[66:67], v[94:95]
	v_fma_f64 v[4:5], v[58:59], v[88:89], -v[4:5]
	s_waitcnt vmcnt(14)
	v_fmac_f64_e32 v[76:77], v[68:69], v[96:97]
	v_add_f64 v[2:3], v[2:3], v[4:5]
	v_mul_f64 v[4:5], v[64:65], v[82:83]
	v_add_f64 v[110:111], v[74:75], v[76:77]
	ds_read_b128 v[74:77], v1 offset:1504
	v_fma_f64 v[4:5], v[62:63], v[84:85], -v[4:5]
	v_add_f64 v[2:3], v[2:3], v[4:5]
	v_mul_f64 v[4:5], v[68:69], v[94:95]
	v_fma_f64 v[4:5], v[66:67], v[96:97], -v[4:5]
	v_add_f64 v[2:3], v[2:3], v[4:5]
	s_waitcnt vmcnt(13) lgkmcnt(1)
	v_mul_f64 v[4:5], v[72:73], v[90:91]
	v_mul_f64 v[112:113], v[70:71], v[90:91]
	s_waitcnt vmcnt(12)
	v_fma_f64 v[4:5], v[70:71], v[92:93], -v[4:5]
	v_fmac_f64_e32 v[112:113], v[72:73], v[92:93]
	v_add_f64 v[2:3], v[2:3], v[4:5]
	s_waitcnt vmcnt(8) lgkmcnt(0)
	v_mul_f64 v[4:5], v[76:77], v[102:103]
	v_add_f64 v[110:111], v[110:111], v[112:113]
	v_mul_f64 v[112:113], v[74:75], v[102:103]
	s_waitcnt vmcnt(6)
	v_fma_f64 v[4:5], v[74:75], v[104:105], -v[4:5]
	v_fmac_f64_e32 v[112:113], v[76:77], v[104:105]
	v_add_f64 v[2:3], v[2:3], v[4:5]
	s_waitcnt vmcnt(5)
	v_mul_f64 v[4:5], v[80:81], v[98:99]
	v_add_f64 v[110:111], v[110:111], v[112:113]
	v_mul_f64 v[112:113], v[78:79], v[98:99]
	s_waitcnt vmcnt(4)
	v_fma_f64 v[4:5], v[78:79], v[100:101], -v[4:5]
	v_fmac_f64_e32 v[112:113], v[80:81], v[100:101]
	v_add_f64 v[2:3], v[2:3], v[4:5]
	v_add_f64 v[110:111], v[110:111], v[112:113]
	s_waitcnt vmcnt(2)
	v_add_f64 v[2:3], v[106:107], -v[2:3]
	s_waitcnt vmcnt(0)
	v_add_f64 v[4:5], v[108:109], -v[110:111]
	buffer_store_dword v3, off, s[0:3], 0 offset:564
	buffer_store_dword v2, off, s[0:3], 0 offset:560
	buffer_store_dword v5, off, s[0:3], 0 offset:572
	buffer_store_dword v4, off, s[0:3], 0 offset:568
	s_and_saveexec_b64 s[4:5], vcc
	s_cbranch_execz .LBB111_235
; %bb.234:
	v_accvgpr_read_b32 v0, a110
	buffer_load_dword v2, v0, s[0:3], 0 offen
	buffer_load_dword v3, v0, s[0:3], 0 offen offset:4
	buffer_load_dword v4, v0, s[0:3], 0 offen offset:8
	;; [unrolled: 1-line block ×3, first 2 shown]
	v_accvgpr_read_b32 v0, a144
	buffer_store_dword v1, off, s[0:3], 0 offset:544
	buffer_store_dword v1, off, s[0:3], 0 offset:548
	;; [unrolled: 1-line block ×4, first 2 shown]
	s_waitcnt vmcnt(4)
	ds_write_b128 v0, v[2:5]
.LBB111_235:
	s_or_b64 exec, exec, s[4:5]
	s_waitcnt lgkmcnt(0)
	; wave barrier
	s_waitcnt lgkmcnt(0)
	buffer_load_dword v2, off, s[0:3], 0 offset:560
	buffer_load_dword v3, off, s[0:3], 0 offset:564
	;; [unrolled: 1-line block ×60, first 2 shown]
	ds_read_b128 v[30:33], v1 offset:1312
	ds_read_b128 v[34:37], v1 offset:1328
	;; [unrolled: 1-line block ×8, first 2 shown]
	v_cmp_lt_u32_e32 vcc, 32, v254
	ds_read_b128 v[82:85], v1 offset:1520
	s_waitcnt vmcnt(56) lgkmcnt(8)
	v_mul_f64 v[62:63], v[30:31], v[6:7]
	v_fmac_f64_e32 v[62:63], v[32:33], v[2:3]
	v_add_f64 v[62:63], v[62:63], 0
	v_mul_f64 v[6:7], v[32:33], v[6:7]
	s_waitcnt vmcnt(52) lgkmcnt(7)
	v_mul_f64 v[64:65], v[34:35], v[8:9]
	v_fmac_f64_e32 v[64:65], v[36:37], v[4:5]
	s_waitcnt vmcnt(50) lgkmcnt(6)
	v_mul_f64 v[66:67], v[38:39], v[10:11]
	v_add_f64 v[62:63], v[62:63], v[64:65]
	s_waitcnt vmcnt(48) lgkmcnt(4)
	v_mul_f64 v[70:71], v[46:47], v[12:13]
	v_fma_f64 v[2:3], v[30:31], v[2:3], -v[6:7]
	s_waitcnt vmcnt(46)
	v_fmac_f64_e32 v[70:71], v[48:49], v[14:15]
	v_mul_f64 v[6:7], v[36:37], v[8:9]
	s_waitcnt vmcnt(44)
	v_mul_f64 v[68:69], v[42:43], v[16:17]
	v_add_f64 v[2:3], v[2:3], 0
	v_fma_f64 v[4:5], v[34:35], v[4:5], -v[6:7]
	v_add_f64 v[2:3], v[2:3], v[4:5]
	s_waitcnt vmcnt(40) lgkmcnt(3)
	v_mul_f64 v[72:73], v[50:51], v[22:23]
	v_mul_f64 v[4:5], v[40:41], v[10:11]
	s_waitcnt vmcnt(38)
	v_fmac_f64_e32 v[66:67], v[40:41], v[28:29]
	v_add_f64 v[62:63], v[62:63], v[66:67]
	s_waitcnt vmcnt(36)
	v_fmac_f64_e32 v[68:69], v[44:45], v[26:27]
	v_add_f64 v[62:63], v[62:63], v[68:69]
	;; [unrolled: 3-line block ×3, first 2 shown]
	s_waitcnt vmcnt(33) lgkmcnt(2)
	v_mul_f64 v[64:65], v[54:55], v[18:19]
	v_add_f64 v[62:63], v[62:63], v[72:73]
	s_waitcnt vmcnt(32)
	v_fmac_f64_e32 v[64:65], v[56:57], v[20:21]
	v_add_f64 v[66:67], v[62:63], v[64:65]
	ds_read_b128 v[62:65], v1 offset:1440
	v_fma_f64 v[4:5], v[38:39], v[28:29], -v[4:5]
	v_add_f64 v[2:3], v[2:3], v[4:5]
	v_mul_f64 v[4:5], v[44:45], v[16:17]
	v_fma_f64 v[4:5], v[42:43], v[26:27], -v[4:5]
	s_waitcnt vmcnt(28) lgkmcnt(2)
	v_mul_f64 v[68:69], v[58:59], v[90:91]
	v_add_f64 v[2:3], v[2:3], v[4:5]
	v_mul_f64 v[4:5], v[48:49], v[12:13]
	s_waitcnt vmcnt(26)
	v_fmac_f64_e32 v[68:69], v[60:61], v[92:93]
	v_fma_f64 v[4:5], v[46:47], v[14:15], -v[4:5]
	v_add_f64 v[70:71], v[66:67], v[68:69]
	ds_read_b128 v[66:69], v1 offset:1456
	s_waitcnt vmcnt(25) lgkmcnt(1)
	v_mul_f64 v[72:73], v[62:63], v[86:87]
	v_add_f64 v[2:3], v[2:3], v[4:5]
	v_mul_f64 v[4:5], v[52:53], v[22:23]
	s_waitcnt vmcnt(24)
	v_fmac_f64_e32 v[72:73], v[64:65], v[88:89]
	v_fma_f64 v[4:5], v[50:51], v[24:25], -v[4:5]
	v_add_f64 v[74:75], v[70:71], v[72:73]
	ds_read_b128 v[70:73], v1 offset:1472
	v_add_f64 v[2:3], v[2:3], v[4:5]
	v_mul_f64 v[4:5], v[56:57], v[18:19]
	v_fma_f64 v[4:5], v[54:55], v[20:21], -v[4:5]
	v_add_f64 v[2:3], v[2:3], v[4:5]
	v_mul_f64 v[4:5], v[60:61], v[90:91]
	s_waitcnt vmcnt(20) lgkmcnt(1)
	v_mul_f64 v[76:77], v[66:67], v[98:99]
	v_fma_f64 v[4:5], v[58:59], v[92:93], -v[4:5]
	s_waitcnt vmcnt(18)
	v_fmac_f64_e32 v[76:77], v[68:69], v[100:101]
	v_add_f64 v[2:3], v[2:3], v[4:5]
	v_mul_f64 v[4:5], v[64:65], v[86:87]
	v_add_f64 v[78:79], v[74:75], v[76:77]
	ds_read_b128 v[74:77], v1 offset:1488
	s_waitcnt vmcnt(17) lgkmcnt(1)
	v_mul_f64 v[80:81], v[70:71], v[94:95]
	v_fma_f64 v[4:5], v[62:63], v[88:89], -v[4:5]
	s_waitcnt vmcnt(16)
	v_fmac_f64_e32 v[80:81], v[72:73], v[96:97]
	v_add_f64 v[2:3], v[2:3], v[4:5]
	v_mul_f64 v[4:5], v[68:69], v[98:99]
	v_add_f64 v[118:119], v[78:79], v[80:81]
	ds_read_b128 v[78:81], v1 offset:1504
	v_fma_f64 v[4:5], v[66:67], v[100:101], -v[4:5]
	v_add_f64 v[2:3], v[2:3], v[4:5]
	v_mul_f64 v[4:5], v[72:73], v[94:95]
	v_fma_f64 v[4:5], v[70:71], v[96:97], -v[4:5]
	v_add_f64 v[2:3], v[2:3], v[4:5]
	s_waitcnt vmcnt(12) lgkmcnt(1)
	v_mul_f64 v[4:5], v[76:77], v[106:107]
	v_mul_f64 v[120:121], v[74:75], v[106:107]
	s_waitcnt vmcnt(10)
	v_fma_f64 v[4:5], v[74:75], v[108:109], -v[4:5]
	v_fmac_f64_e32 v[120:121], v[76:77], v[108:109]
	v_add_f64 v[2:3], v[2:3], v[4:5]
	s_waitcnt vmcnt(9) lgkmcnt(0)
	v_mul_f64 v[4:5], v[80:81], v[102:103]
	v_add_f64 v[118:119], v[118:119], v[120:121]
	v_mul_f64 v[120:121], v[78:79], v[102:103]
	s_waitcnt vmcnt(8)
	v_fma_f64 v[4:5], v[78:79], v[104:105], -v[4:5]
	v_fmac_f64_e32 v[120:121], v[80:81], v[104:105]
	v_add_f64 v[2:3], v[2:3], v[4:5]
	s_waitcnt vmcnt(6)
	v_mul_f64 v[4:5], v[84:85], v[110:111]
	v_add_f64 v[118:119], v[118:119], v[120:121]
	v_mul_f64 v[120:121], v[82:83], v[110:111]
	s_waitcnt vmcnt(4)
	v_fma_f64 v[4:5], v[82:83], v[112:113], -v[4:5]
	v_fmac_f64_e32 v[120:121], v[84:85], v[112:113]
	v_add_f64 v[2:3], v[2:3], v[4:5]
	v_add_f64 v[118:119], v[118:119], v[120:121]
	s_waitcnt vmcnt(2)
	v_add_f64 v[2:3], v[114:115], -v[2:3]
	s_waitcnt vmcnt(0)
	v_add_f64 v[4:5], v[116:117], -v[118:119]
	buffer_store_dword v3, off, s[0:3], 0 offset:548
	buffer_store_dword v2, off, s[0:3], 0 offset:544
	;; [unrolled: 1-line block ×4, first 2 shown]
	s_and_saveexec_b64 s[4:5], vcc
	s_cbranch_execz .LBB111_237
; %bb.236:
	v_accvgpr_read_b32 v0, a111
	buffer_load_dword v2, v0, s[0:3], 0 offen
	buffer_load_dword v3, v0, s[0:3], 0 offen offset:4
	buffer_load_dword v4, v0, s[0:3], 0 offen offset:8
	;; [unrolled: 1-line block ×3, first 2 shown]
	v_mov_b32_e32 v0, 0
	v_accvgpr_read_b32 v1, a144
	buffer_store_dword v0, off, s[0:3], 0 offset:528
	buffer_store_dword v0, off, s[0:3], 0 offset:532
	;; [unrolled: 1-line block ×4, first 2 shown]
	s_waitcnt vmcnt(4)
	ds_write_b128 v1, v[2:5]
.LBB111_237:
	s_or_b64 exec, exec, s[4:5]
	s_waitcnt lgkmcnt(0)
	; wave barrier
	s_waitcnt lgkmcnt(0)
	buffer_load_dword v2, off, s[0:3], 0 offset:544
	buffer_load_dword v3, off, s[0:3], 0 offset:548
	;; [unrolled: 1-line block ×64, first 2 shown]
	v_mov_b32_e32 v1, 0
	ds_read_b128 v[38:41], v1 offset:1296
	ds_read_b128 v[42:45], v1 offset:1312
	ds_read_b128 v[46:49], v1 offset:1328
	ds_read_b128 v[50:53], v1 offset:1344
	ds_read_b128 v[54:57], v1 offset:1360
	ds_read_b128 v[58:61], v1 offset:1376
	ds_read_b128 v[94:97], v1 offset:1520
	v_cmp_lt_u32_e32 vcc, 31, v254
	s_waitcnt vmcnt(60) lgkmcnt(6)
	v_mul_f64 v[62:63], v[38:39], v[4:5]
	v_fmac_f64_e32 v[62:63], v[40:41], v[2:3]
	s_waitcnt vmcnt(58) lgkmcnt(5)
	v_mul_f64 v[64:65], v[42:43], v[6:7]
	v_add_f64 v[62:63], v[62:63], 0
	s_waitcnt vmcnt(56) lgkmcnt(4)
	v_mul_f64 v[66:67], v[46:47], v[8:9]
	v_mul_f64 v[4:5], v[40:41], v[4:5]
	s_waitcnt vmcnt(54) lgkmcnt(2)
	v_mul_f64 v[70:71], v[54:55], v[10:11]
	v_fma_f64 v[2:3], v[38:39], v[2:3], -v[4:5]
	v_mul_f64 v[4:5], v[44:45], v[6:7]
	s_waitcnt vmcnt(51)
	v_mul_f64 v[68:69], v[50:51], v[14:15]
	v_add_f64 v[2:3], v[2:3], 0
	s_waitcnt vmcnt(49)
	v_fmac_f64_e32 v[64:65], v[44:45], v[20:21]
	v_add_f64 v[62:63], v[62:63], v[64:65]
	s_waitcnt vmcnt(47)
	v_fmac_f64_e32 v[66:67], v[48:49], v[18:19]
	;; [unrolled: 3-line block ×4, first 2 shown]
	v_add_f64 v[66:67], v[62:63], v[70:71]
	ds_read_b128 v[62:65], v1 offset:1392
	s_waitcnt vmcnt(40) lgkmcnt(2)
	v_mul_f64 v[68:69], v[58:59], v[26:27]
	v_fma_f64 v[4:5], v[42:43], v[20:21], -v[4:5]
	s_waitcnt vmcnt(38)
	v_fmac_f64_e32 v[68:69], v[60:61], v[28:29]
	v_add_f64 v[70:71], v[66:67], v[68:69]
	ds_read_b128 v[66:69], v1 offset:1408
	s_waitcnt vmcnt(37) lgkmcnt(1)
	v_mul_f64 v[72:73], v[62:63], v[22:23]
	s_waitcnt vmcnt(36)
	v_fmac_f64_e32 v[72:73], v[64:65], v[24:25]
	v_add_f64 v[2:3], v[2:3], v[4:5]
	v_mul_f64 v[4:5], v[48:49], v[8:9]
	v_add_f64 v[74:75], v[70:71], v[72:73]
	ds_read_b128 v[70:73], v1 offset:1424
	s_waitcnt vmcnt(32) lgkmcnt(1)
	v_mul_f64 v[76:77], v[66:67], v[34:35]
	v_fma_f64 v[4:5], v[46:47], v[18:19], -v[4:5]
	s_waitcnt vmcnt(30)
	v_fmac_f64_e32 v[76:77], v[68:69], v[36:37]
	v_add_f64 v[2:3], v[2:3], v[4:5]
	v_mul_f64 v[4:5], v[52:53], v[14:15]
	v_add_f64 v[78:79], v[74:75], v[76:77]
	ds_read_b128 v[74:77], v1 offset:1440
	v_fma_f64 v[4:5], v[50:51], v[16:17], -v[4:5]
	v_add_f64 v[2:3], v[2:3], v[4:5]
	v_mul_f64 v[4:5], v[56:57], v[10:11]
	v_fma_f64 v[4:5], v[54:55], v[12:13], -v[4:5]
	s_waitcnt vmcnt(29) lgkmcnt(1)
	v_mul_f64 v[80:81], v[70:71], v[30:31]
	v_add_f64 v[2:3], v[2:3], v[4:5]
	v_mul_f64 v[4:5], v[60:61], v[26:27]
	s_waitcnt vmcnt(28)
	v_fmac_f64_e32 v[80:81], v[72:73], v[32:33]
	v_fma_f64 v[4:5], v[58:59], v[28:29], -v[4:5]
	v_add_f64 v[82:83], v[78:79], v[80:81]
	ds_read_b128 v[78:81], v1 offset:1456
	s_waitcnt vmcnt(24) lgkmcnt(1)
	v_mul_f64 v[84:85], v[74:75], v[102:103]
	v_add_f64 v[2:3], v[2:3], v[4:5]
	v_mul_f64 v[4:5], v[64:65], v[22:23]
	s_waitcnt vmcnt(22)
	v_fmac_f64_e32 v[84:85], v[76:77], v[104:105]
	v_fma_f64 v[4:5], v[62:63], v[24:25], -v[4:5]
	v_add_f64 v[86:87], v[82:83], v[84:85]
	ds_read_b128 v[82:85], v1 offset:1472
	v_add_f64 v[2:3], v[2:3], v[4:5]
	v_mul_f64 v[4:5], v[68:69], v[34:35]
	v_fma_f64 v[4:5], v[66:67], v[36:37], -v[4:5]
	v_add_f64 v[2:3], v[2:3], v[4:5]
	v_mul_f64 v[4:5], v[72:73], v[30:31]
	s_waitcnt vmcnt(21) lgkmcnt(1)
	v_mul_f64 v[88:89], v[78:79], v[98:99]
	v_fma_f64 v[4:5], v[70:71], v[32:33], -v[4:5]
	s_waitcnt vmcnt(20)
	v_fmac_f64_e32 v[88:89], v[80:81], v[100:101]
	v_add_f64 v[2:3], v[2:3], v[4:5]
	v_mul_f64 v[4:5], v[76:77], v[102:103]
	v_add_f64 v[90:91], v[86:87], v[88:89]
	ds_read_b128 v[86:89], v1 offset:1488
	s_waitcnt vmcnt(16) lgkmcnt(1)
	v_mul_f64 v[92:93], v[82:83], v[110:111]
	v_fma_f64 v[4:5], v[74:75], v[104:105], -v[4:5]
	s_waitcnt vmcnt(14)
	v_fmac_f64_e32 v[92:93], v[84:85], v[112:113]
	v_add_f64 v[2:3], v[2:3], v[4:5]
	v_mul_f64 v[4:5], v[80:81], v[98:99]
	v_add_f64 v[126:127], v[90:91], v[92:93]
	ds_read_b128 v[90:93], v1 offset:1504
	v_fma_f64 v[4:5], v[78:79], v[100:101], -v[4:5]
	v_add_f64 v[2:3], v[2:3], v[4:5]
	v_mul_f64 v[4:5], v[84:85], v[110:111]
	v_fma_f64 v[4:5], v[82:83], v[112:113], -v[4:5]
	v_add_f64 v[2:3], v[2:3], v[4:5]
	s_waitcnt vmcnt(13) lgkmcnt(1)
	v_mul_f64 v[4:5], v[88:89], v[106:107]
	v_mul_f64 v[128:129], v[86:87], v[106:107]
	s_waitcnt vmcnt(12)
	v_fma_f64 v[4:5], v[86:87], v[108:109], -v[4:5]
	v_fmac_f64_e32 v[128:129], v[88:89], v[108:109]
	v_add_f64 v[2:3], v[2:3], v[4:5]
	s_waitcnt vmcnt(8) lgkmcnt(0)
	v_mul_f64 v[4:5], v[92:93], v[118:119]
	v_add_f64 v[126:127], v[126:127], v[128:129]
	v_mul_f64 v[128:129], v[90:91], v[118:119]
	s_waitcnt vmcnt(6)
	v_fma_f64 v[4:5], v[90:91], v[120:121], -v[4:5]
	v_fmac_f64_e32 v[128:129], v[92:93], v[120:121]
	v_add_f64 v[2:3], v[2:3], v[4:5]
	s_waitcnt vmcnt(5)
	v_mul_f64 v[4:5], v[96:97], v[114:115]
	v_add_f64 v[126:127], v[126:127], v[128:129]
	v_mul_f64 v[128:129], v[94:95], v[114:115]
	s_waitcnt vmcnt(4)
	v_fma_f64 v[4:5], v[94:95], v[116:117], -v[4:5]
	v_fmac_f64_e32 v[128:129], v[96:97], v[116:117]
	v_add_f64 v[2:3], v[2:3], v[4:5]
	v_add_f64 v[126:127], v[126:127], v[128:129]
	s_waitcnt vmcnt(2)
	v_add_f64 v[2:3], v[122:123], -v[2:3]
	s_waitcnt vmcnt(0)
	v_add_f64 v[4:5], v[124:125], -v[126:127]
	buffer_store_dword v3, off, s[0:3], 0 offset:532
	buffer_store_dword v2, off, s[0:3], 0 offset:528
	;; [unrolled: 1-line block ×4, first 2 shown]
	s_and_saveexec_b64 s[4:5], vcc
	s_cbranch_execz .LBB111_239
; %bb.238:
	v_accvgpr_read_b32 v0, a112
	buffer_load_dword v2, v0, s[0:3], 0 offen
	buffer_load_dword v3, v0, s[0:3], 0 offen offset:4
	buffer_load_dword v4, v0, s[0:3], 0 offen offset:8
	;; [unrolled: 1-line block ×3, first 2 shown]
	v_accvgpr_read_b32 v0, a144
	buffer_store_dword v1, off, s[0:3], 0 offset:512
	buffer_store_dword v1, off, s[0:3], 0 offset:516
	;; [unrolled: 1-line block ×4, first 2 shown]
	s_waitcnt vmcnt(4)
	ds_write_b128 v0, v[2:5]
.LBB111_239:
	s_or_b64 exec, exec, s[4:5]
	s_waitcnt lgkmcnt(0)
	; wave barrier
	s_waitcnt lgkmcnt(0)
	buffer_load_dword v2, off, s[0:3], 0 offset:528
	buffer_load_dword v3, off, s[0:3], 0 offset:532
	;; [unrolled: 1-line block ×64, first 2 shown]
	ds_read_b128 v[46:49], v1 offset:1280
	ds_read_b128 v[50:53], v1 offset:1296
	;; [unrolled: 1-line block ×4, first 2 shown]
	buffer_load_dword v130, off, s[0:3], 0 offset:512
	buffer_load_dword v131, off, s[0:3], 0 offset:516
	;; [unrolled: 1-line block ×4, first 2 shown]
	v_cmp_lt_u32_e32 vcc, 30, v254
	ds_read_b128 v[106:109], v1 offset:1520
	s_waitcnt vmcnt(62) lgkmcnt(4)
	v_mul_f64 v[62:63], v[46:47], v[4:5]
	v_fmac_f64_e32 v[62:63], v[48:49], v[2:3]
	v_add_f64 v[62:63], v[62:63], 0
	s_waitcnt lgkmcnt(2)
	v_mul_f64 v[66:67], v[54:55], v[6:7]
	v_mul_f64 v[4:5], v[48:49], v[4:5]
	v_fma_f64 v[2:3], v[46:47], v[2:3], -v[4:5]
	s_waitcnt vmcnt(58) lgkmcnt(1)
	v_mul_f64 v[68:69], v[58:59], v[12:13]
	v_add_f64 v[2:3], v[2:3], 0
	s_waitcnt vmcnt(56)
	v_mul_f64 v[64:65], v[50:51], v[18:19]
	v_mul_f64 v[4:5], v[52:53], v[18:19]
	s_waitcnt vmcnt(53)
	v_fmac_f64_e32 v[66:67], v[56:57], v[16:17]
	s_waitcnt vmcnt(52)
	v_fmac_f64_e32 v[64:65], v[52:53], v[20:21]
	v_add_f64 v[70:71], v[62:63], v[64:65]
	ds_read_b128 v[62:65], v1 offset:1344
	v_add_f64 v[66:67], v[70:71], v[66:67]
	s_waitcnt vmcnt(50)
	v_fmac_f64_e32 v[68:69], v[60:61], v[14:15]
	v_add_f64 v[70:71], v[66:67], v[68:69]
	ds_read_b128 v[66:69], v1 offset:1360
	s_waitcnt vmcnt(49) lgkmcnt(1)
	v_mul_f64 v[72:73], v[62:63], v[8:9]
	s_waitcnt vmcnt(48)
	v_fmac_f64_e32 v[72:73], v[64:65], v[10:11]
	v_add_f64 v[74:75], v[70:71], v[72:73]
	ds_read_b128 v[70:73], v1 offset:1376
	s_waitcnt vmcnt(44) lgkmcnt(1)
	v_mul_f64 v[76:77], v[66:67], v[26:27]
	;; [unrolled: 6-line block ×3, first 2 shown]
	s_waitcnt vmcnt(40)
	v_fmac_f64_e32 v[80:81], v[72:73], v[24:25]
	v_add_f64 v[82:83], v[78:79], v[80:81]
	ds_read_b128 v[78:81], v1 offset:1408
	v_fma_f64 v[4:5], v[50:51], v[20:21], -v[4:5]
	v_add_f64 v[2:3], v[2:3], v[4:5]
	v_mul_f64 v[4:5], v[56:57], v[6:7]
	s_waitcnt vmcnt(36) lgkmcnt(1)
	v_mul_f64 v[84:85], v[74:75], v[34:35]
	v_fma_f64 v[4:5], v[54:55], v[16:17], -v[4:5]
	s_waitcnt vmcnt(34)
	v_fmac_f64_e32 v[84:85], v[76:77], v[36:37]
	v_add_f64 v[2:3], v[2:3], v[4:5]
	v_mul_f64 v[4:5], v[60:61], v[12:13]
	v_add_f64 v[86:87], v[82:83], v[84:85]
	ds_read_b128 v[82:85], v1 offset:1424
	s_waitcnt vmcnt(33) lgkmcnt(1)
	v_mul_f64 v[88:89], v[78:79], v[30:31]
	v_fma_f64 v[4:5], v[58:59], v[14:15], -v[4:5]
	s_waitcnt vmcnt(32)
	v_fmac_f64_e32 v[88:89], v[80:81], v[32:33]
	v_add_f64 v[2:3], v[2:3], v[4:5]
	v_mul_f64 v[4:5], v[64:65], v[8:9]
	v_add_f64 v[90:91], v[86:87], v[88:89]
	ds_read_b128 v[86:89], v1 offset:1440
	v_fma_f64 v[4:5], v[62:63], v[10:11], -v[4:5]
	v_add_f64 v[2:3], v[2:3], v[4:5]
	v_mul_f64 v[4:5], v[68:69], v[26:27]
	v_fma_f64 v[4:5], v[66:67], v[28:29], -v[4:5]
	s_waitcnt vmcnt(28) lgkmcnt(1)
	v_mul_f64 v[92:93], v[82:83], v[42:43]
	v_add_f64 v[2:3], v[2:3], v[4:5]
	v_mul_f64 v[4:5], v[72:73], v[22:23]
	s_waitcnt vmcnt(26)
	v_fmac_f64_e32 v[92:93], v[84:85], v[44:45]
	v_fma_f64 v[4:5], v[70:71], v[24:25], -v[4:5]
	v_add_f64 v[94:95], v[90:91], v[92:93]
	ds_read_b128 v[90:93], v1 offset:1456
	s_waitcnt vmcnt(25) lgkmcnt(1)
	v_mul_f64 v[96:97], v[86:87], v[38:39]
	v_add_f64 v[2:3], v[2:3], v[4:5]
	v_mul_f64 v[4:5], v[76:77], v[34:35]
	s_waitcnt vmcnt(24)
	v_fmac_f64_e32 v[96:97], v[88:89], v[40:41]
	v_fma_f64 v[4:5], v[74:75], v[36:37], -v[4:5]
	v_add_f64 v[98:99], v[94:95], v[96:97]
	ds_read_b128 v[94:97], v1 offset:1472
	v_add_f64 v[2:3], v[2:3], v[4:5]
	v_mul_f64 v[4:5], v[80:81], v[30:31]
	v_fma_f64 v[4:5], v[78:79], v[32:33], -v[4:5]
	v_add_f64 v[2:3], v[2:3], v[4:5]
	v_mul_f64 v[4:5], v[84:85], v[42:43]
	s_waitcnt vmcnt(20) lgkmcnt(1)
	v_mul_f64 v[100:101], v[90:91], v[114:115]
	v_fma_f64 v[4:5], v[82:83], v[44:45], -v[4:5]
	s_waitcnt vmcnt(18)
	v_fmac_f64_e32 v[100:101], v[92:93], v[116:117]
	v_add_f64 v[2:3], v[2:3], v[4:5]
	v_mul_f64 v[4:5], v[88:89], v[38:39]
	v_add_f64 v[102:103], v[98:99], v[100:101]
	ds_read_b128 v[98:101], v1 offset:1488
	s_waitcnt vmcnt(17) lgkmcnt(1)
	v_mul_f64 v[104:105], v[94:95], v[110:111]
	v_fma_f64 v[4:5], v[86:87], v[40:41], -v[4:5]
	s_waitcnt vmcnt(16)
	v_fmac_f64_e32 v[104:105], v[96:97], v[112:113]
	v_add_f64 v[2:3], v[2:3], v[4:5]
	v_mul_f64 v[4:5], v[92:93], v[114:115]
	v_add_f64 v[134:135], v[102:103], v[104:105]
	ds_read_b128 v[102:105], v1 offset:1504
	v_fma_f64 v[4:5], v[90:91], v[116:117], -v[4:5]
	v_add_f64 v[2:3], v[2:3], v[4:5]
	v_mul_f64 v[4:5], v[96:97], v[110:111]
	v_fma_f64 v[4:5], v[94:95], v[112:113], -v[4:5]
	v_add_f64 v[2:3], v[2:3], v[4:5]
	s_waitcnt vmcnt(12) lgkmcnt(1)
	v_mul_f64 v[4:5], v[100:101], v[122:123]
	v_mul_f64 v[136:137], v[98:99], v[122:123]
	s_waitcnt vmcnt(10)
	v_fma_f64 v[4:5], v[98:99], v[124:125], -v[4:5]
	v_fmac_f64_e32 v[136:137], v[100:101], v[124:125]
	v_add_f64 v[2:3], v[2:3], v[4:5]
	s_waitcnt vmcnt(9) lgkmcnt(0)
	v_mul_f64 v[4:5], v[104:105], v[118:119]
	v_add_f64 v[134:135], v[134:135], v[136:137]
	v_mul_f64 v[136:137], v[102:103], v[118:119]
	s_waitcnt vmcnt(8)
	v_fma_f64 v[4:5], v[102:103], v[120:121], -v[4:5]
	v_fmac_f64_e32 v[136:137], v[104:105], v[120:121]
	v_add_f64 v[2:3], v[2:3], v[4:5]
	s_waitcnt vmcnt(6)
	v_mul_f64 v[4:5], v[108:109], v[126:127]
	v_add_f64 v[134:135], v[134:135], v[136:137]
	v_mul_f64 v[136:137], v[106:107], v[126:127]
	s_waitcnt vmcnt(4)
	v_fma_f64 v[4:5], v[106:107], v[128:129], -v[4:5]
	v_fmac_f64_e32 v[136:137], v[108:109], v[128:129]
	v_add_f64 v[2:3], v[2:3], v[4:5]
	v_add_f64 v[134:135], v[134:135], v[136:137]
	s_waitcnt vmcnt(2)
	v_add_f64 v[2:3], v[130:131], -v[2:3]
	s_waitcnt vmcnt(0)
	v_add_f64 v[4:5], v[132:133], -v[134:135]
	buffer_store_dword v3, off, s[0:3], 0 offset:516
	buffer_store_dword v2, off, s[0:3], 0 offset:512
	;; [unrolled: 1-line block ×4, first 2 shown]
	s_and_saveexec_b64 s[4:5], vcc
	s_cbranch_execz .LBB111_241
; %bb.240:
	v_accvgpr_read_b32 v0, a113
	buffer_load_dword v2, v0, s[0:3], 0 offen
	buffer_load_dword v3, v0, s[0:3], 0 offen offset:4
	buffer_load_dword v4, v0, s[0:3], 0 offen offset:8
	;; [unrolled: 1-line block ×3, first 2 shown]
	v_mov_b32_e32 v0, 0
	v_accvgpr_read_b32 v1, a144
	buffer_store_dword v0, off, s[0:3], 0 offset:496
	buffer_store_dword v0, off, s[0:3], 0 offset:500
	;; [unrolled: 1-line block ×4, first 2 shown]
	s_waitcnt vmcnt(4)
	ds_write_b128 v1, v[2:5]
.LBB111_241:
	s_or_b64 exec, exec, s[4:5]
	s_waitcnt lgkmcnt(0)
	; wave barrier
	s_waitcnt lgkmcnt(0)
	buffer_load_dword v2, off, s[0:3], 0 offset:512
	buffer_load_dword v3, off, s[0:3], 0 offset:516
	buffer_load_dword v6, off, s[0:3], 0 offset:520
	buffer_load_dword v7, off, s[0:3], 0 offset:524
	buffer_load_dword v4, off, s[0:3], 0 offset:528
	buffer_load_dword v5, off, s[0:3], 0 offset:532
	buffer_load_dword v10, off, s[0:3], 0 offset:536
	buffer_load_dword v11, off, s[0:3], 0 offset:540
	buffer_load_dword v8, off, s[0:3], 0 offset:544
	buffer_load_dword v9, off, s[0:3], 0 offset:548
	buffer_load_dword v12, off, s[0:3], 0 offset:552
	buffer_load_dword v13, off, s[0:3], 0 offset:556
	buffer_load_dword v15, off, s[0:3], 0 offset:588
	buffer_load_dword v17, off, s[0:3], 0 offset:580
	buffer_load_dword v19, off, s[0:3], 0 offset:572
	buffer_load_dword v18, off, s[0:3], 0 offset:568
	buffer_load_dword v21, off, s[0:3], 0 offset:564
	buffer_load_dword v20, off, s[0:3], 0 offset:560
	buffer_load_dword v14, off, s[0:3], 0 offset:584
	buffer_load_dword v16, off, s[0:3], 0 offset:576
	buffer_load_dword v23, off, s[0:3], 0 offset:620
	buffer_load_dword v25, off, s[0:3], 0 offset:612
	buffer_load_dword v27, off, s[0:3], 0 offset:604
	buffer_load_dword v26, off, s[0:3], 0 offset:600
	buffer_load_dword v29, off, s[0:3], 0 offset:596
	buffer_load_dword v28, off, s[0:3], 0 offset:592
	buffer_load_dword v22, off, s[0:3], 0 offset:616
	buffer_load_dword v24, off, s[0:3], 0 offset:608
	buffer_load_dword v31, off, s[0:3], 0 offset:652
	buffer_load_dword v33, off, s[0:3], 0 offset:644
	buffer_load_dword v35, off, s[0:3], 0 offset:636
	buffer_load_dword v34, off, s[0:3], 0 offset:632
	buffer_load_dword v37, off, s[0:3], 0 offset:628
	buffer_load_dword v36, off, s[0:3], 0 offset:624
	buffer_load_dword v30, off, s[0:3], 0 offset:648
	buffer_load_dword v32, off, s[0:3], 0 offset:640
	buffer_load_dword v39, off, s[0:3], 0 offset:684
	buffer_load_dword v41, off, s[0:3], 0 offset:676
	buffer_load_dword v43, off, s[0:3], 0 offset:668
	buffer_load_dword v42, off, s[0:3], 0 offset:664
	buffer_load_dword v45, off, s[0:3], 0 offset:660
	buffer_load_dword v44, off, s[0:3], 0 offset:656
	buffer_load_dword v38, off, s[0:3], 0 offset:680
	buffer_load_dword v40, off, s[0:3], 0 offset:672
	buffer_load_dword v115, off, s[0:3], 0 offset:716
	buffer_load_dword v117, off, s[0:3], 0 offset:708
	buffer_load_dword v119, off, s[0:3], 0 offset:700
	buffer_load_dword v118, off, s[0:3], 0 offset:696
	buffer_load_dword v121, off, s[0:3], 0 offset:692
	buffer_load_dword v120, off, s[0:3], 0 offset:688
	buffer_load_dword v114, off, s[0:3], 0 offset:712
	buffer_load_dword v116, off, s[0:3], 0 offset:704
	buffer_load_dword v123, off, s[0:3], 0 offset:748
	buffer_load_dword v125, off, s[0:3], 0 offset:740
	buffer_load_dword v127, off, s[0:3], 0 offset:732
	buffer_load_dword v126, off, s[0:3], 0 offset:728
	buffer_load_dword v129, off, s[0:3], 0 offset:724
	buffer_load_dword v128, off, s[0:3], 0 offset:720
	buffer_load_dword v122, off, s[0:3], 0 offset:744
	buffer_load_dword v124, off, s[0:3], 0 offset:736
	buffer_load_dword v131, off, s[0:3], 0 offset:780
	buffer_load_dword v133, off, s[0:3], 0 offset:772
	buffer_load_dword v135, off, s[0:3], 0 offset:764
	buffer_load_dword v134, off, s[0:3], 0 offset:760
	buffer_load_dword v137, off, s[0:3], 0 offset:756
	buffer_load_dword v136, off, s[0:3], 0 offset:752
	buffer_load_dword v130, off, s[0:3], 0 offset:776
	buffer_load_dword v132, off, s[0:3], 0 offset:768
	v_mov_b32_e32 v1, 0
	buffer_load_dword v138, off, s[0:3], 0 offset:496
	buffer_load_dword v139, off, s[0:3], 0 offset:500
	;; [unrolled: 1-line block ×3, first 2 shown]
	ds_read_b128 v[46:49], v1 offset:1264
	ds_read_b128 v[50:53], v1 offset:1280
	buffer_load_dword v141, off, s[0:3], 0 offset:508
	ds_read_b128 v[54:57], v1 offset:1296
	ds_read_b128 v[58:61], v1 offset:1312
	;; [unrolled: 1-line block ×3, first 2 shown]
	v_cmp_lt_u32_e32 vcc, 29, v254
	s_waitcnt vmcnt(62) lgkmcnt(4)
	v_mul_f64 v[62:63], v[46:47], v[6:7]
	v_fmac_f64_e32 v[62:63], v[48:49], v[2:3]
	v_add_f64 v[62:63], v[62:63], 0
	v_mul_f64 v[6:7], v[48:49], v[6:7]
	s_waitcnt lgkmcnt(3)
	v_mul_f64 v[64:65], v[50:51], v[10:11]
	v_fmac_f64_e32 v[64:65], v[52:53], v[4:5]
	v_add_f64 v[62:63], v[62:63], v[64:65]
	v_fma_f64 v[2:3], v[46:47], v[2:3], -v[6:7]
	s_waitcnt vmcnt(60) lgkmcnt(2)
	v_mul_f64 v[64:65], v[54:55], v[12:13]
	v_fmac_f64_e32 v[64:65], v[56:57], v[8:9]
	v_add_f64 v[66:67], v[62:63], v[64:65]
	ds_read_b128 v[62:65], v1 offset:1328
	s_waitcnt vmcnt(56) lgkmcnt(2)
	v_mul_f64 v[68:69], v[58:59], v[18:19]
	v_mul_f64 v[6:7], v[52:53], v[10:11]
	s_waitcnt vmcnt(54)
	v_fmac_f64_e32 v[68:69], v[60:61], v[20:21]
	v_add_f64 v[70:71], v[66:67], v[68:69]
	ds_read_b128 v[66:69], v1 offset:1344
	s_waitcnt vmcnt(53) lgkmcnt(1)
	v_mul_f64 v[72:73], v[62:63], v[14:15]
	s_waitcnt vmcnt(52)
	v_fmac_f64_e32 v[72:73], v[64:65], v[16:17]
	v_add_f64 v[74:75], v[70:71], v[72:73]
	ds_read_b128 v[70:73], v1 offset:1360
	s_waitcnt vmcnt(48) lgkmcnt(1)
	;; [unrolled: 6-line block ×4, first 2 shown]
	v_mul_f64 v[84:85], v[74:75], v[34:35]
	s_waitcnt vmcnt(38)
	v_fmac_f64_e32 v[84:85], v[76:77], v[36:37]
	v_add_f64 v[2:3], v[2:3], 0
	v_fma_f64 v[4:5], v[50:51], v[4:5], -v[6:7]
	v_add_f64 v[86:87], v[82:83], v[84:85]
	ds_read_b128 v[82:85], v1 offset:1408
	v_add_f64 v[2:3], v[2:3], v[4:5]
	v_mul_f64 v[4:5], v[56:57], v[12:13]
	v_fma_f64 v[4:5], v[54:55], v[8:9], -v[4:5]
	v_add_f64 v[2:3], v[2:3], v[4:5]
	v_mul_f64 v[4:5], v[60:61], v[18:19]
	s_waitcnt vmcnt(37) lgkmcnt(1)
	v_mul_f64 v[88:89], v[78:79], v[30:31]
	v_fma_f64 v[4:5], v[58:59], v[20:21], -v[4:5]
	s_waitcnt vmcnt(36)
	v_fmac_f64_e32 v[88:89], v[80:81], v[32:33]
	v_add_f64 v[2:3], v[2:3], v[4:5]
	v_mul_f64 v[4:5], v[64:65], v[14:15]
	v_add_f64 v[90:91], v[86:87], v[88:89]
	ds_read_b128 v[86:89], v1 offset:1424
	s_waitcnt vmcnt(32) lgkmcnt(1)
	v_mul_f64 v[92:93], v[82:83], v[42:43]
	v_fma_f64 v[4:5], v[62:63], v[16:17], -v[4:5]
	s_waitcnt vmcnt(30)
	v_fmac_f64_e32 v[92:93], v[84:85], v[44:45]
	v_add_f64 v[2:3], v[2:3], v[4:5]
	v_mul_f64 v[4:5], v[68:69], v[26:27]
	v_add_f64 v[94:95], v[90:91], v[92:93]
	ds_read_b128 v[90:93], v1 offset:1440
	v_fma_f64 v[4:5], v[66:67], v[28:29], -v[4:5]
	v_add_f64 v[2:3], v[2:3], v[4:5]
	v_mul_f64 v[4:5], v[72:73], v[22:23]
	v_fma_f64 v[4:5], v[70:71], v[24:25], -v[4:5]
	s_waitcnt vmcnt(29) lgkmcnt(1)
	v_mul_f64 v[96:97], v[86:87], v[38:39]
	v_add_f64 v[2:3], v[2:3], v[4:5]
	v_mul_f64 v[4:5], v[76:77], v[34:35]
	s_waitcnt vmcnt(28)
	v_fmac_f64_e32 v[96:97], v[88:89], v[40:41]
	v_fma_f64 v[4:5], v[74:75], v[36:37], -v[4:5]
	v_add_f64 v[98:99], v[94:95], v[96:97]
	ds_read_b128 v[94:97], v1 offset:1456
	s_waitcnt vmcnt(24) lgkmcnt(1)
	v_mul_f64 v[100:101], v[90:91], v[118:119]
	v_add_f64 v[2:3], v[2:3], v[4:5]
	v_mul_f64 v[4:5], v[80:81], v[30:31]
	s_waitcnt vmcnt(22)
	v_fmac_f64_e32 v[100:101], v[92:93], v[120:121]
	v_fma_f64 v[4:5], v[78:79], v[32:33], -v[4:5]
	v_add_f64 v[102:103], v[98:99], v[100:101]
	ds_read_b128 v[98:101], v1 offset:1472
	v_add_f64 v[2:3], v[2:3], v[4:5]
	v_mul_f64 v[4:5], v[84:85], v[42:43]
	v_fma_f64 v[4:5], v[82:83], v[44:45], -v[4:5]
	v_add_f64 v[2:3], v[2:3], v[4:5]
	v_mul_f64 v[4:5], v[88:89], v[38:39]
	s_waitcnt vmcnt(21) lgkmcnt(1)
	v_mul_f64 v[104:105], v[94:95], v[114:115]
	v_fma_f64 v[4:5], v[86:87], v[40:41], -v[4:5]
	s_waitcnt vmcnt(20)
	v_fmac_f64_e32 v[104:105], v[96:97], v[116:117]
	v_add_f64 v[2:3], v[2:3], v[4:5]
	v_mul_f64 v[4:5], v[92:93], v[118:119]
	v_add_f64 v[106:107], v[102:103], v[104:105]
	ds_read_b128 v[102:105], v1 offset:1488
	s_waitcnt vmcnt(16) lgkmcnt(1)
	v_mul_f64 v[108:109], v[98:99], v[126:127]
	v_fma_f64 v[4:5], v[90:91], v[120:121], -v[4:5]
	s_waitcnt vmcnt(14)
	v_fmac_f64_e32 v[108:109], v[100:101], v[128:129]
	v_add_f64 v[2:3], v[2:3], v[4:5]
	v_mul_f64 v[4:5], v[96:97], v[114:115]
	v_add_f64 v[142:143], v[106:107], v[108:109]
	ds_read_b128 v[106:109], v1 offset:1504
	v_fma_f64 v[4:5], v[94:95], v[116:117], -v[4:5]
	v_add_f64 v[2:3], v[2:3], v[4:5]
	v_mul_f64 v[4:5], v[100:101], v[126:127]
	v_fma_f64 v[4:5], v[98:99], v[128:129], -v[4:5]
	v_add_f64 v[2:3], v[2:3], v[4:5]
	s_waitcnt vmcnt(13) lgkmcnt(1)
	v_mul_f64 v[4:5], v[104:105], v[122:123]
	v_mul_f64 v[144:145], v[102:103], v[122:123]
	s_waitcnt vmcnt(12)
	v_fma_f64 v[4:5], v[102:103], v[124:125], -v[4:5]
	v_fmac_f64_e32 v[144:145], v[104:105], v[124:125]
	v_add_f64 v[2:3], v[2:3], v[4:5]
	s_waitcnt vmcnt(8) lgkmcnt(0)
	v_mul_f64 v[4:5], v[108:109], v[134:135]
	v_add_f64 v[142:143], v[142:143], v[144:145]
	v_mul_f64 v[144:145], v[106:107], v[134:135]
	s_waitcnt vmcnt(6)
	v_fma_f64 v[4:5], v[106:107], v[136:137], -v[4:5]
	v_fmac_f64_e32 v[144:145], v[108:109], v[136:137]
	v_add_f64 v[2:3], v[2:3], v[4:5]
	s_waitcnt vmcnt(5)
	v_mul_f64 v[4:5], v[112:113], v[130:131]
	v_add_f64 v[142:143], v[142:143], v[144:145]
	v_mul_f64 v[144:145], v[110:111], v[130:131]
	s_waitcnt vmcnt(4)
	v_fma_f64 v[4:5], v[110:111], v[132:133], -v[4:5]
	v_fmac_f64_e32 v[144:145], v[112:113], v[132:133]
	v_add_f64 v[2:3], v[2:3], v[4:5]
	v_add_f64 v[142:143], v[142:143], v[144:145]
	s_waitcnt vmcnt(2)
	v_add_f64 v[2:3], v[138:139], -v[2:3]
	s_waitcnt vmcnt(0)
	v_add_f64 v[4:5], v[140:141], -v[142:143]
	buffer_store_dword v3, off, s[0:3], 0 offset:500
	buffer_store_dword v2, off, s[0:3], 0 offset:496
	;; [unrolled: 1-line block ×4, first 2 shown]
	s_and_saveexec_b64 s[4:5], vcc
	s_cbranch_execz .LBB111_243
; %bb.242:
	v_accvgpr_read_b32 v0, a114
	buffer_load_dword v2, v0, s[0:3], 0 offen
	buffer_load_dword v3, v0, s[0:3], 0 offen offset:4
	buffer_load_dword v4, v0, s[0:3], 0 offen offset:8
	;; [unrolled: 1-line block ×3, first 2 shown]
	v_accvgpr_read_b32 v0, a144
	buffer_store_dword v1, off, s[0:3], 0 offset:480
	buffer_store_dword v1, off, s[0:3], 0 offset:484
	;; [unrolled: 1-line block ×4, first 2 shown]
	s_waitcnt vmcnt(4)
	ds_write_b128 v0, v[2:5]
.LBB111_243:
	s_or_b64 exec, exec, s[4:5]
	s_waitcnt lgkmcnt(0)
	; wave barrier
	s_waitcnt lgkmcnt(0)
	buffer_load_dword v2, off, s[0:3], 0 offset:496
	buffer_load_dword v3, off, s[0:3], 0 offset:500
	;; [unrolled: 1-line block ×72, first 2 shown]
	ds_read_b128 v[52:55], v1 offset:1248
	buffer_load_dword v146, off, s[0:3], 0 offset:480
	buffer_load_dword v147, off, s[0:3], 0 offset:484
	;; [unrolled: 1-line block ×4, first 2 shown]
	ds_read_b128 v[56:59], v1 offset:1264
	ds_read_b128 v[60:63], v1 offset:1280
	;; [unrolled: 1-line block ×3, first 2 shown]
	v_cmp_lt_u32_e32 vcc, 28, v254
	ds_read_b128 v[120:123], v1 offset:1520
	s_waitcnt vmcnt(62) lgkmcnt(4)
	v_mul_f64 v[68:69], v[52:53], v[8:9]
	v_fmac_f64_e32 v[68:69], v[54:55], v[2:3]
	v_add_f64 v[68:69], v[68:69], 0
	v_mul_f64 v[8:9], v[54:55], v[8:9]
	s_waitcnt lgkmcnt(3)
	v_mul_f64 v[70:71], v[56:57], v[10:11]
	v_fmac_f64_e32 v[70:71], v[58:59], v[4:5]
	v_add_f64 v[68:69], v[68:69], v[70:71]
	v_fma_f64 v[2:3], v[52:53], v[2:3], -v[8:9]
	s_waitcnt lgkmcnt(2)
	v_mul_f64 v[70:71], v[60:61], v[12:13]
	v_fmac_f64_e32 v[70:71], v[62:63], v[6:7]
	v_add_f64 v[72:73], v[68:69], v[70:71]
	ds_read_b128 v[68:71], v1 offset:1312
	s_waitcnt vmcnt(60) lgkmcnt(2)
	v_mul_f64 v[74:75], v[64:65], v[18:19]
	v_mul_f64 v[8:9], v[58:59], v[10:11]
	s_waitcnt vmcnt(58)
	v_fmac_f64_e32 v[74:75], v[66:67], v[20:21]
	v_add_f64 v[76:77], v[72:73], v[74:75]
	ds_read_b128 v[72:75], v1 offset:1328
	s_waitcnt vmcnt(57) lgkmcnt(1)
	v_mul_f64 v[78:79], v[68:69], v[14:15]
	s_waitcnt vmcnt(56)
	v_fmac_f64_e32 v[78:79], v[70:71], v[16:17]
	v_add_f64 v[80:81], v[76:77], v[78:79]
	ds_read_b128 v[76:79], v1 offset:1344
	s_waitcnt vmcnt(52) lgkmcnt(1)
	v_mul_f64 v[82:83], v[72:73], v[26:27]
	s_waitcnt vmcnt(50)
	v_fmac_f64_e32 v[82:83], v[74:75], v[28:29]
	v_add_f64 v[84:85], v[80:81], v[82:83]
	ds_read_b128 v[80:83], v1 offset:1360
	s_waitcnt vmcnt(49) lgkmcnt(1)
	v_mul_f64 v[86:87], v[76:77], v[22:23]
	s_waitcnt vmcnt(48)
	v_fmac_f64_e32 v[86:87], v[78:79], v[24:25]
	v_add_f64 v[88:89], v[84:85], v[86:87]
	ds_read_b128 v[84:87], v1 offset:1376
	s_waitcnt vmcnt(44) lgkmcnt(1)
	v_mul_f64 v[90:91], v[80:81], v[34:35]
	s_waitcnt vmcnt(42)
	v_fmac_f64_e32 v[90:91], v[82:83], v[36:37]
	v_add_f64 v[2:3], v[2:3], 0
	v_fma_f64 v[4:5], v[56:57], v[4:5], -v[8:9]
	v_add_f64 v[92:93], v[88:89], v[90:91]
	ds_read_b128 v[88:91], v1 offset:1392
	s_waitcnt vmcnt(41) lgkmcnt(1)
	v_mul_f64 v[94:95], v[84:85], v[30:31]
	v_add_f64 v[2:3], v[2:3], v[4:5]
	v_mul_f64 v[4:5], v[62:63], v[12:13]
	s_waitcnt vmcnt(40)
	v_fmac_f64_e32 v[94:95], v[86:87], v[32:33]
	v_fma_f64 v[4:5], v[60:61], v[6:7], -v[4:5]
	v_add_f64 v[96:97], v[92:93], v[94:95]
	ds_read_b128 v[92:95], v1 offset:1408
	v_add_f64 v[2:3], v[2:3], v[4:5]
	v_mul_f64 v[4:5], v[66:67], v[18:19]
	v_fma_f64 v[4:5], v[64:65], v[20:21], -v[4:5]
	v_add_f64 v[2:3], v[2:3], v[4:5]
	v_mul_f64 v[4:5], v[70:71], v[14:15]
	s_waitcnt vmcnt(36) lgkmcnt(1)
	v_mul_f64 v[98:99], v[88:89], v[42:43]
	v_fma_f64 v[4:5], v[68:69], v[16:17], -v[4:5]
	s_waitcnt vmcnt(34)
	v_fmac_f64_e32 v[98:99], v[90:91], v[44:45]
	v_add_f64 v[2:3], v[2:3], v[4:5]
	v_mul_f64 v[4:5], v[74:75], v[26:27]
	v_add_f64 v[100:101], v[96:97], v[98:99]
	ds_read_b128 v[96:99], v1 offset:1424
	s_waitcnt vmcnt(33) lgkmcnt(1)
	v_mul_f64 v[102:103], v[92:93], v[38:39]
	v_fma_f64 v[4:5], v[72:73], v[28:29], -v[4:5]
	s_waitcnt vmcnt(32)
	v_fmac_f64_e32 v[102:103], v[94:95], v[40:41]
	v_add_f64 v[2:3], v[2:3], v[4:5]
	v_mul_f64 v[4:5], v[78:79], v[22:23]
	v_add_f64 v[104:105], v[100:101], v[102:103]
	ds_read_b128 v[100:103], v1 offset:1440
	v_fma_f64 v[4:5], v[76:77], v[24:25], -v[4:5]
	v_add_f64 v[2:3], v[2:3], v[4:5]
	v_mul_f64 v[4:5], v[82:83], v[34:35]
	v_fma_f64 v[4:5], v[80:81], v[36:37], -v[4:5]
	s_waitcnt vmcnt(28) lgkmcnt(1)
	v_mul_f64 v[106:107], v[96:97], v[50:51]
	v_add_f64 v[2:3], v[2:3], v[4:5]
	v_mul_f64 v[4:5], v[86:87], v[30:31]
	s_waitcnt vmcnt(26)
	v_fmac_f64_e32 v[106:107], v[98:99], v[124:125]
	v_fma_f64 v[4:5], v[84:85], v[32:33], -v[4:5]
	v_add_f64 v[108:109], v[104:105], v[106:107]
	ds_read_b128 v[104:107], v1 offset:1456
	s_waitcnt vmcnt(25) lgkmcnt(1)
	v_mul_f64 v[110:111], v[100:101], v[46:47]
	v_add_f64 v[2:3], v[2:3], v[4:5]
	v_mul_f64 v[4:5], v[90:91], v[42:43]
	s_waitcnt vmcnt(24)
	v_fmac_f64_e32 v[110:111], v[102:103], v[48:49]
	v_fma_f64 v[4:5], v[88:89], v[44:45], -v[4:5]
	v_add_f64 v[112:113], v[108:109], v[110:111]
	ds_read_b128 v[108:111], v1 offset:1472
	v_add_f64 v[2:3], v[2:3], v[4:5]
	v_mul_f64 v[4:5], v[94:95], v[38:39]
	v_fma_f64 v[4:5], v[92:93], v[40:41], -v[4:5]
	v_add_f64 v[2:3], v[2:3], v[4:5]
	v_mul_f64 v[4:5], v[98:99], v[50:51]
	s_waitcnt vmcnt(20) lgkmcnt(1)
	v_mul_f64 v[114:115], v[104:105], v[130:131]
	v_fma_f64 v[4:5], v[96:97], v[124:125], -v[4:5]
	s_waitcnt vmcnt(18)
	v_fmac_f64_e32 v[114:115], v[106:107], v[132:133]
	v_add_f64 v[2:3], v[2:3], v[4:5]
	v_mul_f64 v[4:5], v[102:103], v[46:47]
	v_add_f64 v[116:117], v[112:113], v[114:115]
	ds_read_b128 v[112:115], v1 offset:1488
	s_waitcnt vmcnt(17) lgkmcnt(1)
	v_mul_f64 v[118:119], v[108:109], v[126:127]
	v_fma_f64 v[4:5], v[100:101], v[48:49], -v[4:5]
	s_waitcnt vmcnt(16)
	v_fmac_f64_e32 v[118:119], v[110:111], v[128:129]
	v_add_f64 v[2:3], v[2:3], v[4:5]
	v_mul_f64 v[4:5], v[106:107], v[130:131]
	v_add_f64 v[150:151], v[116:117], v[118:119]
	ds_read_b128 v[116:119], v1 offset:1504
	v_fma_f64 v[4:5], v[104:105], v[132:133], -v[4:5]
	v_add_f64 v[2:3], v[2:3], v[4:5]
	v_mul_f64 v[4:5], v[110:111], v[126:127]
	v_fma_f64 v[4:5], v[108:109], v[128:129], -v[4:5]
	v_add_f64 v[2:3], v[2:3], v[4:5]
	s_waitcnt vmcnt(12) lgkmcnt(1)
	v_mul_f64 v[4:5], v[114:115], v[138:139]
	v_mul_f64 v[152:153], v[112:113], v[138:139]
	s_waitcnt vmcnt(10)
	v_fma_f64 v[4:5], v[112:113], v[140:141], -v[4:5]
	v_fmac_f64_e32 v[152:153], v[114:115], v[140:141]
	v_add_f64 v[2:3], v[2:3], v[4:5]
	s_waitcnt vmcnt(9) lgkmcnt(0)
	v_mul_f64 v[4:5], v[118:119], v[134:135]
	v_add_f64 v[150:151], v[150:151], v[152:153]
	v_mul_f64 v[152:153], v[116:117], v[134:135]
	s_waitcnt vmcnt(8)
	v_fma_f64 v[4:5], v[116:117], v[136:137], -v[4:5]
	v_fmac_f64_e32 v[152:153], v[118:119], v[136:137]
	v_add_f64 v[2:3], v[2:3], v[4:5]
	s_waitcnt vmcnt(6)
	v_mul_f64 v[4:5], v[122:123], v[142:143]
	v_add_f64 v[150:151], v[150:151], v[152:153]
	v_mul_f64 v[152:153], v[120:121], v[142:143]
	s_waitcnt vmcnt(4)
	v_fma_f64 v[4:5], v[120:121], v[144:145], -v[4:5]
	v_fmac_f64_e32 v[152:153], v[122:123], v[144:145]
	v_add_f64 v[2:3], v[2:3], v[4:5]
	v_add_f64 v[150:151], v[150:151], v[152:153]
	s_waitcnt vmcnt(2)
	v_add_f64 v[2:3], v[146:147], -v[2:3]
	s_waitcnt vmcnt(0)
	v_add_f64 v[4:5], v[148:149], -v[150:151]
	buffer_store_dword v3, off, s[0:3], 0 offset:484
	buffer_store_dword v2, off, s[0:3], 0 offset:480
	buffer_store_dword v5, off, s[0:3], 0 offset:492
	buffer_store_dword v4, off, s[0:3], 0 offset:488
	s_and_saveexec_b64 s[4:5], vcc
	s_cbranch_execz .LBB111_245
; %bb.244:
	v_accvgpr_read_b32 v0, a115
	buffer_load_dword v2, v0, s[0:3], 0 offen
	buffer_load_dword v3, v0, s[0:3], 0 offen offset:4
	buffer_load_dword v4, v0, s[0:3], 0 offen offset:8
	;; [unrolled: 1-line block ×3, first 2 shown]
	v_mov_b32_e32 v0, 0
	v_accvgpr_read_b32 v1, a144
	buffer_store_dword v0, off, s[0:3], 0 offset:464
	buffer_store_dword v0, off, s[0:3], 0 offset:468
	;; [unrolled: 1-line block ×4, first 2 shown]
	s_waitcnt vmcnt(4)
	ds_write_b128 v1, v[2:5]
.LBB111_245:
	s_or_b64 exec, exec, s[4:5]
	s_waitcnt lgkmcnt(0)
	; wave barrier
	s_waitcnt lgkmcnt(0)
	buffer_load_dword v2, off, s[0:3], 0 offset:480
	buffer_load_dword v3, off, s[0:3], 0 offset:484
	;; [unrolled: 1-line block ×76, first 2 shown]
	v_mov_b32_e32 v1, 0
	ds_read_b128 v[54:57], v1 offset:1232
	buffer_load_dword v154, off, s[0:3], 0 offset:464
	buffer_load_dword v155, off, s[0:3], 0 offset:468
	;; [unrolled: 1-line block ×4, first 2 shown]
	ds_read_b128 v[58:61], v1 offset:1248
	ds_read_b128 v[62:65], v1 offset:1264
	;; [unrolled: 1-line block ×4, first 2 shown]
	v_cmp_lt_u32_e32 vcc, 27, v254
	s_waitcnt vmcnt(62) lgkmcnt(4)
	v_mul_f64 v[70:71], v[54:55], v[8:9]
	v_fmac_f64_e32 v[70:71], v[56:57], v[2:3]
	v_add_f64 v[70:71], v[70:71], 0
	v_mul_f64 v[8:9], v[56:57], v[8:9]
	s_waitcnt lgkmcnt(3)
	v_mul_f64 v[72:73], v[58:59], v[10:11]
	v_fmac_f64_e32 v[72:73], v[60:61], v[4:5]
	v_add_f64 v[70:71], v[70:71], v[72:73]
	v_fma_f64 v[2:3], v[54:55], v[2:3], -v[8:9]
	s_waitcnt lgkmcnt(2)
	v_mul_f64 v[72:73], v[62:63], v[12:13]
	v_fmac_f64_e32 v[72:73], v[64:65], v[6:7]
	v_add_f64 v[74:75], v[70:71], v[72:73]
	ds_read_b128 v[70:73], v1 offset:1296
	s_waitcnt lgkmcnt(2)
	v_mul_f64 v[76:77], v[66:67], v[18:19]
	v_mul_f64 v[8:9], v[60:61], v[10:11]
	v_fmac_f64_e32 v[76:77], v[68:69], v[20:21]
	v_add_f64 v[78:79], v[74:75], v[76:77]
	ds_read_b128 v[74:77], v1 offset:1312
	s_waitcnt vmcnt(61) lgkmcnt(1)
	v_mul_f64 v[80:81], v[70:71], v[14:15]
	s_waitcnt vmcnt(60)
	v_fmac_f64_e32 v[80:81], v[72:73], v[16:17]
	v_add_f64 v[82:83], v[78:79], v[80:81]
	ds_read_b128 v[78:81], v1 offset:1328
	s_waitcnt vmcnt(56) lgkmcnt(1)
	v_mul_f64 v[84:85], v[74:75], v[26:27]
	s_waitcnt vmcnt(54)
	;; [unrolled: 6-line block ×4, first 2 shown]
	v_fmac_f64_e32 v[92:93], v[84:85], v[36:37]
	v_add_f64 v[94:95], v[90:91], v[92:93]
	ds_read_b128 v[90:93], v1 offset:1376
	v_add_f64 v[2:3], v[2:3], 0
	v_fma_f64 v[4:5], v[58:59], v[4:5], -v[8:9]
	s_waitcnt vmcnt(45) lgkmcnt(1)
	v_mul_f64 v[96:97], v[86:87], v[30:31]
	v_add_f64 v[2:3], v[2:3], v[4:5]
	v_mul_f64 v[4:5], v[64:65], v[12:13]
	s_waitcnt vmcnt(44)
	v_fmac_f64_e32 v[96:97], v[88:89], v[32:33]
	v_fma_f64 v[4:5], v[62:63], v[6:7], -v[4:5]
	v_add_f64 v[98:99], v[94:95], v[96:97]
	ds_read_b128 v[94:97], v1 offset:1392
	s_waitcnt vmcnt(40) lgkmcnt(1)
	v_mul_f64 v[100:101], v[90:91], v[42:43]
	v_add_f64 v[2:3], v[2:3], v[4:5]
	v_mul_f64 v[4:5], v[68:69], v[18:19]
	s_waitcnt vmcnt(38)
	v_fmac_f64_e32 v[100:101], v[92:93], v[44:45]
	v_fma_f64 v[4:5], v[66:67], v[20:21], -v[4:5]
	v_add_f64 v[102:103], v[98:99], v[100:101]
	ds_read_b128 v[98:101], v1 offset:1408
	v_add_f64 v[2:3], v[2:3], v[4:5]
	v_mul_f64 v[4:5], v[72:73], v[14:15]
	v_fma_f64 v[4:5], v[70:71], v[16:17], -v[4:5]
	v_add_f64 v[2:3], v[2:3], v[4:5]
	v_mul_f64 v[4:5], v[76:77], v[26:27]
	s_waitcnt vmcnt(37) lgkmcnt(1)
	v_mul_f64 v[104:105], v[94:95], v[38:39]
	v_fma_f64 v[4:5], v[74:75], v[28:29], -v[4:5]
	s_waitcnt vmcnt(36)
	v_fmac_f64_e32 v[104:105], v[96:97], v[40:41]
	v_add_f64 v[2:3], v[2:3], v[4:5]
	v_mul_f64 v[4:5], v[80:81], v[22:23]
	v_add_f64 v[106:107], v[102:103], v[104:105]
	ds_read_b128 v[102:105], v1 offset:1424
	s_waitcnt vmcnt(32) lgkmcnt(1)
	v_mul_f64 v[108:109], v[98:99], v[50:51]
	v_fma_f64 v[4:5], v[78:79], v[24:25], -v[4:5]
	s_waitcnt vmcnt(30)
	v_fmac_f64_e32 v[108:109], v[100:101], v[52:53]
	v_add_f64 v[2:3], v[2:3], v[4:5]
	v_mul_f64 v[4:5], v[84:85], v[34:35]
	v_add_f64 v[110:111], v[106:107], v[108:109]
	ds_read_b128 v[106:109], v1 offset:1440
	v_fma_f64 v[4:5], v[82:83], v[36:37], -v[4:5]
	v_add_f64 v[2:3], v[2:3], v[4:5]
	v_mul_f64 v[4:5], v[88:89], v[30:31]
	v_fma_f64 v[4:5], v[86:87], v[32:33], -v[4:5]
	s_waitcnt vmcnt(29) lgkmcnt(1)
	v_mul_f64 v[112:113], v[102:103], v[46:47]
	v_add_f64 v[2:3], v[2:3], v[4:5]
	v_mul_f64 v[4:5], v[92:93], v[42:43]
	s_waitcnt vmcnt(28)
	v_fmac_f64_e32 v[112:113], v[104:105], v[48:49]
	v_fma_f64 v[4:5], v[90:91], v[44:45], -v[4:5]
	v_add_f64 v[114:115], v[110:111], v[112:113]
	ds_read_b128 v[110:113], v1 offset:1456
	s_waitcnt vmcnt(24) lgkmcnt(1)
	v_mul_f64 v[116:117], v[106:107], v[134:135]
	v_add_f64 v[2:3], v[2:3], v[4:5]
	v_mul_f64 v[4:5], v[96:97], v[38:39]
	s_waitcnt vmcnt(22)
	v_fmac_f64_e32 v[116:117], v[108:109], v[136:137]
	v_fma_f64 v[4:5], v[94:95], v[40:41], -v[4:5]
	v_add_f64 v[118:119], v[114:115], v[116:117]
	ds_read_b128 v[114:117], v1 offset:1472
	v_add_f64 v[2:3], v[2:3], v[4:5]
	v_mul_f64 v[4:5], v[100:101], v[50:51]
	v_fma_f64 v[4:5], v[98:99], v[52:53], -v[4:5]
	v_add_f64 v[2:3], v[2:3], v[4:5]
	v_mul_f64 v[4:5], v[104:105], v[46:47]
	s_waitcnt vmcnt(21) lgkmcnt(1)
	v_mul_f64 v[120:121], v[110:111], v[130:131]
	v_fma_f64 v[4:5], v[102:103], v[48:49], -v[4:5]
	s_waitcnt vmcnt(20)
	v_fmac_f64_e32 v[120:121], v[112:113], v[132:133]
	v_add_f64 v[2:3], v[2:3], v[4:5]
	v_mul_f64 v[4:5], v[108:109], v[134:135]
	v_add_f64 v[122:123], v[118:119], v[120:121]
	ds_read_b128 v[118:121], v1 offset:1488
	s_waitcnt vmcnt(16) lgkmcnt(1)
	v_mul_f64 v[124:125], v[114:115], v[142:143]
	v_fma_f64 v[4:5], v[106:107], v[136:137], -v[4:5]
	s_waitcnt vmcnt(14)
	v_fmac_f64_e32 v[124:125], v[116:117], v[144:145]
	v_add_f64 v[2:3], v[2:3], v[4:5]
	v_mul_f64 v[4:5], v[112:113], v[130:131]
	v_add_f64 v[158:159], v[122:123], v[124:125]
	ds_read_b128 v[122:125], v1 offset:1504
	v_fma_f64 v[4:5], v[110:111], v[132:133], -v[4:5]
	v_add_f64 v[2:3], v[2:3], v[4:5]
	v_mul_f64 v[4:5], v[116:117], v[142:143]
	v_fma_f64 v[4:5], v[114:115], v[144:145], -v[4:5]
	v_add_f64 v[2:3], v[2:3], v[4:5]
	s_waitcnt vmcnt(13) lgkmcnt(1)
	v_mul_f64 v[4:5], v[120:121], v[138:139]
	v_mul_f64 v[160:161], v[118:119], v[138:139]
	s_waitcnt vmcnt(12)
	v_fma_f64 v[4:5], v[118:119], v[140:141], -v[4:5]
	v_fmac_f64_e32 v[160:161], v[120:121], v[140:141]
	v_add_f64 v[2:3], v[2:3], v[4:5]
	s_waitcnt vmcnt(8) lgkmcnt(0)
	v_mul_f64 v[4:5], v[124:125], v[150:151]
	v_add_f64 v[158:159], v[158:159], v[160:161]
	v_mul_f64 v[160:161], v[122:123], v[150:151]
	s_waitcnt vmcnt(6)
	v_fma_f64 v[4:5], v[122:123], v[152:153], -v[4:5]
	v_fmac_f64_e32 v[160:161], v[124:125], v[152:153]
	v_add_f64 v[2:3], v[2:3], v[4:5]
	s_waitcnt vmcnt(5)
	v_mul_f64 v[4:5], v[128:129], v[146:147]
	v_add_f64 v[158:159], v[158:159], v[160:161]
	v_mul_f64 v[160:161], v[126:127], v[146:147]
	s_waitcnt vmcnt(4)
	v_fma_f64 v[4:5], v[126:127], v[148:149], -v[4:5]
	v_fmac_f64_e32 v[160:161], v[128:129], v[148:149]
	v_add_f64 v[2:3], v[2:3], v[4:5]
	v_add_f64 v[158:159], v[158:159], v[160:161]
	s_waitcnt vmcnt(2)
	v_add_f64 v[2:3], v[154:155], -v[2:3]
	s_waitcnt vmcnt(0)
	v_add_f64 v[4:5], v[156:157], -v[158:159]
	buffer_store_dword v3, off, s[0:3], 0 offset:468
	buffer_store_dword v2, off, s[0:3], 0 offset:464
	;; [unrolled: 1-line block ×4, first 2 shown]
	s_and_saveexec_b64 s[4:5], vcc
	s_cbranch_execz .LBB111_247
; %bb.246:
	v_accvgpr_read_b32 v0, a116
	buffer_load_dword v2, v0, s[0:3], 0 offen
	buffer_load_dword v3, v0, s[0:3], 0 offen offset:4
	buffer_load_dword v4, v0, s[0:3], 0 offen offset:8
	;; [unrolled: 1-line block ×3, first 2 shown]
	v_accvgpr_read_b32 v0, a144
	buffer_store_dword v1, off, s[0:3], 0 offset:448
	buffer_store_dword v1, off, s[0:3], 0 offset:452
	;; [unrolled: 1-line block ×4, first 2 shown]
	s_waitcnt vmcnt(4)
	ds_write_b128 v0, v[2:5]
.LBB111_247:
	s_or_b64 exec, exec, s[4:5]
	s_waitcnt lgkmcnt(0)
	; wave barrier
	s_waitcnt lgkmcnt(0)
	buffer_load_dword v2, off, s[0:3], 0 offset:464
	buffer_load_dword v3, off, s[0:3], 0 offset:468
	buffer_load_dword v8, off, s[0:3], 0 offset:472
	buffer_load_dword v9, off, s[0:3], 0 offset:476
	buffer_load_dword v4, off, s[0:3], 0 offset:480
	buffer_load_dword v5, off, s[0:3], 0 offset:484
	buffer_load_dword v10, off, s[0:3], 0 offset:488
	buffer_load_dword v11, off, s[0:3], 0 offset:492
	buffer_load_dword v6, off, s[0:3], 0 offset:496
	buffer_load_dword v7, off, s[0:3], 0 offset:500
	buffer_load_dword v12, off, s[0:3], 0 offset:504
	buffer_load_dword v13, off, s[0:3], 0 offset:508
	buffer_load_dword v15, off, s[0:3], 0 offset:540
	buffer_load_dword v14, off, s[0:3], 0 offset:536
	buffer_load_dword v17, off, s[0:3], 0 offset:532
	buffer_load_dword v16, off, s[0:3], 0 offset:528
	buffer_load_dword v19, off, s[0:3], 0 offset:524
	buffer_load_dword v18, off, s[0:3], 0 offset:520
	buffer_load_dword v21, off, s[0:3], 0 offset:516
	buffer_load_dword v20, off, s[0:3], 0 offset:512
	buffer_load_dword v23, off, s[0:3], 0 offset:572
	buffer_load_dword v22, off, s[0:3], 0 offset:568
	buffer_load_dword v25, off, s[0:3], 0 offset:564
	buffer_load_dword v24, off, s[0:3], 0 offset:560
	buffer_load_dword v27, off, s[0:3], 0 offset:556
	buffer_load_dword v26, off, s[0:3], 0 offset:552
	buffer_load_dword v29, off, s[0:3], 0 offset:548
	buffer_load_dword v28, off, s[0:3], 0 offset:544
	buffer_load_dword v31, off, s[0:3], 0 offset:604
	buffer_load_dword v30, off, s[0:3], 0 offset:600
	buffer_load_dword v33, off, s[0:3], 0 offset:596
	buffer_load_dword v32, off, s[0:3], 0 offset:592
	buffer_load_dword v35, off, s[0:3], 0 offset:588
	buffer_load_dword v34, off, s[0:3], 0 offset:584
	buffer_load_dword v37, off, s[0:3], 0 offset:580
	buffer_load_dword v36, off, s[0:3], 0 offset:576
	buffer_load_dword v39, off, s[0:3], 0 offset:636
	buffer_load_dword v38, off, s[0:3], 0 offset:632
	buffer_load_dword v41, off, s[0:3], 0 offset:628
	buffer_load_dword v40, off, s[0:3], 0 offset:624
	buffer_load_dword v43, off, s[0:3], 0 offset:620
	buffer_load_dword v42, off, s[0:3], 0 offset:616
	buffer_load_dword v45, off, s[0:3], 0 offset:612
	buffer_load_dword v44, off, s[0:3], 0 offset:608
	buffer_load_dword v47, off, s[0:3], 0 offset:668
	buffer_load_dword v46, off, s[0:3], 0 offset:664
	buffer_load_dword v49, off, s[0:3], 0 offset:660
	buffer_load_dword v48, off, s[0:3], 0 offset:656
	buffer_load_dword v51, off, s[0:3], 0 offset:652
	buffer_load_dword v50, off, s[0:3], 0 offset:648
	buffer_load_dword v53, off, s[0:3], 0 offset:644
	buffer_load_dword v52, off, s[0:3], 0 offset:640
	buffer_load_dword v135, off, s[0:3], 0 offset:700
	buffer_load_dword v134, off, s[0:3], 0 offset:696
	buffer_load_dword v137, off, s[0:3], 0 offset:692
	buffer_load_dword v136, off, s[0:3], 0 offset:688
	buffer_load_dword v139, off, s[0:3], 0 offset:684
	buffer_load_dword v138, off, s[0:3], 0 offset:680
	buffer_load_dword v141, off, s[0:3], 0 offset:676
	buffer_load_dword v140, off, s[0:3], 0 offset:672
	buffer_load_dword v143, off, s[0:3], 0 offset:732
	buffer_load_dword v142, off, s[0:3], 0 offset:728
	buffer_load_dword v145, off, s[0:3], 0 offset:724
	buffer_load_dword v144, off, s[0:3], 0 offset:720
	buffer_load_dword v147, off, s[0:3], 0 offset:716
	buffer_load_dword v146, off, s[0:3], 0 offset:712
	buffer_load_dword v149, off, s[0:3], 0 offset:708
	buffer_load_dword v148, off, s[0:3], 0 offset:704
	buffer_load_dword v151, off, s[0:3], 0 offset:764
	buffer_load_dword v150, off, s[0:3], 0 offset:760
	buffer_load_dword v153, off, s[0:3], 0 offset:756
	buffer_load_dword v152, off, s[0:3], 0 offset:752
	buffer_load_dword v155, off, s[0:3], 0 offset:748
	buffer_load_dword v154, off, s[0:3], 0 offset:744
	buffer_load_dword v157, off, s[0:3], 0 offset:740
	buffer_load_dword v156, off, s[0:3], 0 offset:736
	ds_read_b128 v[54:57], v1 offset:1216
	buffer_load_dword v159, off, s[0:3], 0 offset:780
	buffer_load_dword v158, off, s[0:3], 0 offset:776
	;; [unrolled: 1-line block ×8, first 2 shown]
	ds_read_b128 v[58:61], v1 offset:1232
	ds_read_b128 v[62:65], v1 offset:1248
	;; [unrolled: 1-line block ×3, first 2 shown]
	v_cmp_lt_u32_e32 vcc, 26, v254
	ds_read_b128 v[130:133], v1 offset:1520
	s_waitcnt vmcnt(62) lgkmcnt(4)
	v_mul_f64 v[70:71], v[54:55], v[8:9]
	v_fmac_f64_e32 v[70:71], v[56:57], v[2:3]
	v_add_f64 v[70:71], v[70:71], 0
	v_mul_f64 v[8:9], v[56:57], v[8:9]
	s_waitcnt lgkmcnt(3)
	v_mul_f64 v[72:73], v[58:59], v[10:11]
	v_fmac_f64_e32 v[72:73], v[60:61], v[4:5]
	v_add_f64 v[70:71], v[70:71], v[72:73]
	v_fma_f64 v[2:3], v[54:55], v[2:3], -v[8:9]
	s_waitcnt lgkmcnt(2)
	v_mul_f64 v[72:73], v[62:63], v[12:13]
	v_fmac_f64_e32 v[72:73], v[64:65], v[6:7]
	v_add_f64 v[74:75], v[70:71], v[72:73]
	ds_read_b128 v[70:73], v1 offset:1280
	v_mul_f64 v[8:9], v[60:61], v[10:11]
	v_add_f64 v[2:3], v[2:3], 0
	s_waitcnt lgkmcnt(2)
	v_mul_f64 v[76:77], v[66:67], v[18:19]
	v_fma_f64 v[4:5], v[58:59], v[4:5], -v[8:9]
	v_fmac_f64_e32 v[76:77], v[68:69], v[20:21]
	v_add_f64 v[78:79], v[74:75], v[76:77]
	ds_read_b128 v[74:77], v1 offset:1296
	s_waitcnt lgkmcnt(1)
	v_mul_f64 v[80:81], v[70:71], v[14:15]
	v_fmac_f64_e32 v[80:81], v[72:73], v[16:17]
	v_add_f64 v[82:83], v[78:79], v[80:81]
	ds_read_b128 v[78:81], v1 offset:1312
	s_waitcnt vmcnt(58) lgkmcnt(1)
	v_mul_f64 v[84:85], v[74:75], v[26:27]
	s_waitcnt vmcnt(56)
	v_fmac_f64_e32 v[84:85], v[76:77], v[28:29]
	v_add_f64 v[86:87], v[82:83], v[84:85]
	ds_read_b128 v[82:85], v1 offset:1328
	s_waitcnt lgkmcnt(1)
	v_mul_f64 v[88:89], v[78:79], v[22:23]
	v_fmac_f64_e32 v[88:89], v[80:81], v[24:25]
	v_add_f64 v[90:91], v[86:87], v[88:89]
	ds_read_b128 v[86:89], v1 offset:1344
	s_waitcnt vmcnt(50) lgkmcnt(1)
	v_mul_f64 v[92:93], v[82:83], v[34:35]
	s_waitcnt vmcnt(48)
	v_fmac_f64_e32 v[92:93], v[84:85], v[36:37]
	v_add_f64 v[94:95], v[90:91], v[92:93]
	ds_read_b128 v[90:93], v1 offset:1360
	s_waitcnt lgkmcnt(1)
	v_mul_f64 v[96:97], v[86:87], v[30:31]
	v_fmac_f64_e32 v[96:97], v[88:89], v[32:33]
	v_add_f64 v[98:99], v[94:95], v[96:97]
	ds_read_b128 v[94:97], v1 offset:1376
	v_add_f64 v[2:3], v[2:3], v[4:5]
	v_mul_f64 v[4:5], v[64:65], v[12:13]
	v_fma_f64 v[4:5], v[62:63], v[6:7], -v[4:5]
	s_waitcnt vmcnt(42) lgkmcnt(1)
	v_mul_f64 v[100:101], v[90:91], v[42:43]
	v_add_f64 v[2:3], v[2:3], v[4:5]
	v_mul_f64 v[4:5], v[68:69], v[18:19]
	s_waitcnt vmcnt(40)
	v_fmac_f64_e32 v[100:101], v[92:93], v[44:45]
	v_fma_f64 v[4:5], v[66:67], v[20:21], -v[4:5]
	v_add_f64 v[102:103], v[98:99], v[100:101]
	ds_read_b128 v[98:101], v1 offset:1392
	s_waitcnt lgkmcnt(1)
	v_mul_f64 v[104:105], v[94:95], v[38:39]
	v_add_f64 v[2:3], v[2:3], v[4:5]
	v_mul_f64 v[4:5], v[72:73], v[14:15]
	v_fmac_f64_e32 v[104:105], v[96:97], v[40:41]
	v_fma_f64 v[4:5], v[70:71], v[16:17], -v[4:5]
	v_add_f64 v[106:107], v[102:103], v[104:105]
	ds_read_b128 v[102:105], v1 offset:1408
	v_add_f64 v[2:3], v[2:3], v[4:5]
	v_mul_f64 v[4:5], v[76:77], v[26:27]
	v_fma_f64 v[4:5], v[74:75], v[28:29], -v[4:5]
	v_add_f64 v[2:3], v[2:3], v[4:5]
	v_mul_f64 v[4:5], v[80:81], v[22:23]
	s_waitcnt vmcnt(34) lgkmcnt(1)
	v_mul_f64 v[108:109], v[98:99], v[50:51]
	v_fma_f64 v[4:5], v[78:79], v[24:25], -v[4:5]
	s_waitcnt vmcnt(32)
	v_fmac_f64_e32 v[108:109], v[100:101], v[52:53]
	v_add_f64 v[2:3], v[2:3], v[4:5]
	v_mul_f64 v[4:5], v[84:85], v[34:35]
	v_add_f64 v[110:111], v[106:107], v[108:109]
	ds_read_b128 v[106:109], v1 offset:1424
	s_waitcnt lgkmcnt(1)
	v_mul_f64 v[112:113], v[102:103], v[46:47]
	v_fma_f64 v[4:5], v[82:83], v[36:37], -v[4:5]
	v_fmac_f64_e32 v[112:113], v[104:105], v[48:49]
	v_add_f64 v[2:3], v[2:3], v[4:5]
	v_mul_f64 v[4:5], v[88:89], v[30:31]
	v_add_f64 v[114:115], v[110:111], v[112:113]
	ds_read_b128 v[110:113], v1 offset:1440
	v_fma_f64 v[4:5], v[86:87], v[32:33], -v[4:5]
	v_add_f64 v[2:3], v[2:3], v[4:5]
	v_mul_f64 v[4:5], v[92:93], v[42:43]
	v_fma_f64 v[4:5], v[90:91], v[44:45], -v[4:5]
	s_waitcnt vmcnt(26) lgkmcnt(1)
	v_mul_f64 v[116:117], v[106:107], v[138:139]
	v_add_f64 v[2:3], v[2:3], v[4:5]
	v_mul_f64 v[4:5], v[96:97], v[38:39]
	s_waitcnt vmcnt(24)
	v_fmac_f64_e32 v[116:117], v[108:109], v[140:141]
	v_fma_f64 v[4:5], v[94:95], v[40:41], -v[4:5]
	v_add_f64 v[118:119], v[114:115], v[116:117]
	ds_read_b128 v[114:117], v1 offset:1456
	s_waitcnt lgkmcnt(1)
	v_mul_f64 v[120:121], v[110:111], v[134:135]
	v_add_f64 v[2:3], v[2:3], v[4:5]
	v_mul_f64 v[4:5], v[100:101], v[50:51]
	v_fmac_f64_e32 v[120:121], v[112:113], v[136:137]
	v_fma_f64 v[4:5], v[98:99], v[52:53], -v[4:5]
	v_add_f64 v[122:123], v[118:119], v[120:121]
	ds_read_b128 v[118:121], v1 offset:1472
	v_add_f64 v[2:3], v[2:3], v[4:5]
	v_mul_f64 v[4:5], v[104:105], v[46:47]
	v_fma_f64 v[4:5], v[102:103], v[48:49], -v[4:5]
	v_add_f64 v[2:3], v[2:3], v[4:5]
	v_mul_f64 v[4:5], v[108:109], v[138:139]
	s_waitcnt vmcnt(18) lgkmcnt(1)
	v_mul_f64 v[124:125], v[114:115], v[146:147]
	v_fma_f64 v[4:5], v[106:107], v[140:141], -v[4:5]
	s_waitcnt vmcnt(16)
	v_fmac_f64_e32 v[124:125], v[116:117], v[148:149]
	v_add_f64 v[2:3], v[2:3], v[4:5]
	v_mul_f64 v[4:5], v[112:113], v[134:135]
	v_add_f64 v[126:127], v[122:123], v[124:125]
	ds_read_b128 v[122:125], v1 offset:1488
	s_waitcnt lgkmcnt(1)
	v_mul_f64 v[128:129], v[118:119], v[142:143]
	v_fma_f64 v[4:5], v[110:111], v[136:137], -v[4:5]
	v_fmac_f64_e32 v[128:129], v[120:121], v[144:145]
	v_add_f64 v[2:3], v[2:3], v[4:5]
	v_mul_f64 v[4:5], v[116:117], v[146:147]
	v_add_f64 v[166:167], v[126:127], v[128:129]
	ds_read_b128 v[126:129], v1 offset:1504
	v_fma_f64 v[4:5], v[114:115], v[148:149], -v[4:5]
	v_add_f64 v[2:3], v[2:3], v[4:5]
	v_mul_f64 v[4:5], v[120:121], v[142:143]
	v_fma_f64 v[4:5], v[118:119], v[144:145], -v[4:5]
	v_add_f64 v[2:3], v[2:3], v[4:5]
	s_waitcnt vmcnt(10) lgkmcnt(1)
	v_mul_f64 v[4:5], v[124:125], v[154:155]
	v_mul_f64 v[168:169], v[122:123], v[154:155]
	s_waitcnt vmcnt(8)
	v_fma_f64 v[4:5], v[122:123], v[156:157], -v[4:5]
	v_fmac_f64_e32 v[168:169], v[124:125], v[156:157]
	v_add_f64 v[2:3], v[2:3], v[4:5]
	s_waitcnt lgkmcnt(0)
	v_mul_f64 v[4:5], v[128:129], v[150:151]
	v_add_f64 v[166:167], v[166:167], v[168:169]
	v_mul_f64 v[168:169], v[126:127], v[150:151]
	v_fma_f64 v[4:5], v[126:127], v[152:153], -v[4:5]
	v_fmac_f64_e32 v[168:169], v[128:129], v[152:153]
	v_add_f64 v[2:3], v[2:3], v[4:5]
	s_waitcnt vmcnt(6)
	v_mul_f64 v[4:5], v[132:133], v[158:159]
	v_add_f64 v[166:167], v[166:167], v[168:169]
	v_mul_f64 v[168:169], v[130:131], v[158:159]
	s_waitcnt vmcnt(4)
	v_fma_f64 v[4:5], v[130:131], v[160:161], -v[4:5]
	v_fmac_f64_e32 v[168:169], v[132:133], v[160:161]
	v_add_f64 v[2:3], v[2:3], v[4:5]
	v_add_f64 v[166:167], v[166:167], v[168:169]
	s_waitcnt vmcnt(2)
	v_add_f64 v[2:3], v[162:163], -v[2:3]
	s_waitcnt vmcnt(0)
	v_add_f64 v[4:5], v[164:165], -v[166:167]
	buffer_store_dword v3, off, s[0:3], 0 offset:452
	buffer_store_dword v2, off, s[0:3], 0 offset:448
	;; [unrolled: 1-line block ×4, first 2 shown]
	s_and_saveexec_b64 s[4:5], vcc
	s_cbranch_execz .LBB111_249
; %bb.248:
	v_accvgpr_read_b32 v0, a117
	buffer_load_dword v2, v0, s[0:3], 0 offen
	buffer_load_dword v3, v0, s[0:3], 0 offen offset:4
	buffer_load_dword v4, v0, s[0:3], 0 offen offset:8
	;; [unrolled: 1-line block ×3, first 2 shown]
	v_mov_b32_e32 v0, 0
	v_accvgpr_read_b32 v1, a144
	buffer_store_dword v0, off, s[0:3], 0 offset:432
	buffer_store_dword v0, off, s[0:3], 0 offset:436
	;; [unrolled: 1-line block ×4, first 2 shown]
	s_waitcnt vmcnt(4)
	ds_write_b128 v1, v[2:5]
.LBB111_249:
	s_or_b64 exec, exec, s[4:5]
	s_waitcnt lgkmcnt(0)
	; wave barrier
	s_waitcnt lgkmcnt(0)
	buffer_load_dword v4, off, s[0:3], 0 offset:432
	buffer_load_dword v5, off, s[0:3], 0 offset:436
	;; [unrolled: 1-line block ×84, first 2 shown]
	v_mov_b32_e32 v1, 0
	ds_read_b128 v[66:69], v1 offset:1200
	buffer_load_dword v171, off, s[0:3], 0 offset:780
	buffer_load_dword v170, off, s[0:3], 0 offset:776
	;; [unrolled: 1-line block ×4, first 2 shown]
	ds_read_b128 v[70:73], v1 offset:1216
	ds_read_b128 v[74:77], v1 offset:1232
	ds_read_b128 v[78:81], v1 offset:1248
	ds_read_b128 v[146:149], v1 offset:1520
	v_cmp_lt_u32_e32 vcc, 25, v254
	s_waitcnt vmcnt(62) lgkmcnt(4)
	v_mul_f64 v[82:83], v[66:67], v[12:13]
	v_fmac_f64_e32 v[82:83], v[68:69], v[6:7]
	s_waitcnt lgkmcnt(3)
	v_mul_f64 v[84:85], v[70:71], v[14:15]
	v_add_f64 v[82:83], v[82:83], 0
	v_fmac_f64_e32 v[84:85], v[72:73], v[8:9]
	v_add_f64 v[82:83], v[82:83], v[84:85]
	s_waitcnt lgkmcnt(2)
	v_mul_f64 v[84:85], v[74:75], v[16:17]
	v_fmac_f64_e32 v[84:85], v[76:77], v[10:11]
	v_add_f64 v[86:87], v[82:83], v[84:85]
	ds_read_b128 v[82:85], v1 offset:1264
	v_mul_f64 v[12:13], v[68:69], v[12:13]
	s_waitcnt lgkmcnt(2)
	v_mul_f64 v[88:89], v[78:79], v[22:23]
	v_fma_f64 v[6:7], v[66:67], v[6:7], -v[12:13]
	v_fmac_f64_e32 v[88:89], v[80:81], v[24:25]
	v_add_f64 v[90:91], v[86:87], v[88:89]
	ds_read_b128 v[86:89], v1 offset:1280
	s_waitcnt lgkmcnt(1)
	v_mul_f64 v[92:93], v[82:83], v[18:19]
	v_fmac_f64_e32 v[92:93], v[84:85], v[20:21]
	v_add_f64 v[94:95], v[90:91], v[92:93]
	ds_read_b128 v[90:93], v1 offset:1296
	s_waitcnt vmcnt(58) lgkmcnt(1)
	v_mul_f64 v[96:97], v[86:87], v[30:31]
	s_waitcnt vmcnt(56)
	v_fmac_f64_e32 v[96:97], v[88:89], v[32:33]
	v_add_f64 v[98:99], v[94:95], v[96:97]
	ds_read_b128 v[94:97], v1 offset:1312
	s_waitcnt lgkmcnt(1)
	v_mul_f64 v[100:101], v[90:91], v[26:27]
	v_fmac_f64_e32 v[100:101], v[92:93], v[28:29]
	v_add_f64 v[102:103], v[98:99], v[100:101]
	ds_read_b128 v[98:101], v1 offset:1328
	s_waitcnt vmcnt(50) lgkmcnt(1)
	v_mul_f64 v[104:105], v[94:95], v[38:39]
	s_waitcnt vmcnt(48)
	v_fmac_f64_e32 v[104:105], v[96:97], v[40:41]
	v_add_f64 v[106:107], v[102:103], v[104:105]
	ds_read_b128 v[102:105], v1 offset:1344
	s_waitcnt lgkmcnt(1)
	v_mul_f64 v[108:109], v[98:99], v[34:35]
	v_fmac_f64_e32 v[108:109], v[100:101], v[36:37]
	v_mul_f64 v[12:13], v[72:73], v[14:15]
	v_add_f64 v[110:111], v[106:107], v[108:109]
	ds_read_b128 v[106:109], v1 offset:1360
	s_waitcnt vmcnt(42) lgkmcnt(1)
	v_mul_f64 v[112:113], v[102:103], v[46:47]
	v_add_f64 v[6:7], v[6:7], 0
	v_fma_f64 v[8:9], v[70:71], v[8:9], -v[12:13]
	s_waitcnt vmcnt(40)
	v_fmac_f64_e32 v[112:113], v[104:105], v[48:49]
	v_add_f64 v[6:7], v[6:7], v[8:9]
	v_mul_f64 v[8:9], v[76:77], v[16:17]
	v_add_f64 v[114:115], v[110:111], v[112:113]
	ds_read_b128 v[110:113], v1 offset:1376
	v_fma_f64 v[8:9], v[74:75], v[10:11], -v[8:9]
	v_add_f64 v[6:7], v[6:7], v[8:9]
	v_mul_f64 v[8:9], v[80:81], v[22:23]
	v_fma_f64 v[8:9], v[78:79], v[24:25], -v[8:9]
	s_waitcnt lgkmcnt(1)
	v_mul_f64 v[116:117], v[106:107], v[42:43]
	v_add_f64 v[6:7], v[6:7], v[8:9]
	v_mul_f64 v[8:9], v[84:85], v[18:19]
	v_fmac_f64_e32 v[116:117], v[108:109], v[44:45]
	v_fma_f64 v[8:9], v[82:83], v[20:21], -v[8:9]
	v_add_f64 v[118:119], v[114:115], v[116:117]
	ds_read_b128 v[114:117], v1 offset:1392
	s_waitcnt vmcnt(34) lgkmcnt(1)
	v_mul_f64 v[120:121], v[110:111], v[54:55]
	v_add_f64 v[6:7], v[6:7], v[8:9]
	v_mul_f64 v[8:9], v[88:89], v[30:31]
	s_waitcnt vmcnt(32)
	v_fmac_f64_e32 v[120:121], v[112:113], v[56:57]
	v_fma_f64 v[8:9], v[86:87], v[32:33], -v[8:9]
	v_add_f64 v[122:123], v[118:119], v[120:121]
	ds_read_b128 v[118:121], v1 offset:1408
	v_add_f64 v[6:7], v[6:7], v[8:9]
	v_mul_f64 v[8:9], v[92:93], v[26:27]
	v_fma_f64 v[8:9], v[90:91], v[28:29], -v[8:9]
	v_add_f64 v[6:7], v[6:7], v[8:9]
	v_mul_f64 v[8:9], v[96:97], v[38:39]
	s_waitcnt lgkmcnt(1)
	v_mul_f64 v[124:125], v[114:115], v[50:51]
	v_fma_f64 v[8:9], v[94:95], v[40:41], -v[8:9]
	v_fmac_f64_e32 v[124:125], v[116:117], v[52:53]
	v_add_f64 v[6:7], v[6:7], v[8:9]
	v_mul_f64 v[8:9], v[100:101], v[34:35]
	v_add_f64 v[126:127], v[122:123], v[124:125]
	ds_read_b128 v[122:125], v1 offset:1424
	s_waitcnt vmcnt(26) lgkmcnt(1)
	v_mul_f64 v[128:129], v[118:119], v[62:63]
	v_fma_f64 v[8:9], v[98:99], v[36:37], -v[8:9]
	s_waitcnt vmcnt(24)
	v_fmac_f64_e32 v[128:129], v[120:121], v[64:65]
	v_add_f64 v[6:7], v[6:7], v[8:9]
	v_mul_f64 v[8:9], v[104:105], v[46:47]
	v_add_f64 v[130:131], v[126:127], v[128:129]
	ds_read_b128 v[126:129], v1 offset:1440
	v_fma_f64 v[8:9], v[102:103], v[48:49], -v[8:9]
	v_add_f64 v[6:7], v[6:7], v[8:9]
	v_mul_f64 v[8:9], v[108:109], v[42:43]
	v_fma_f64 v[8:9], v[106:107], v[44:45], -v[8:9]
	s_waitcnt lgkmcnt(1)
	v_mul_f64 v[132:133], v[122:123], v[58:59]
	v_add_f64 v[6:7], v[6:7], v[8:9]
	v_mul_f64 v[8:9], v[112:113], v[54:55]
	v_fmac_f64_e32 v[132:133], v[124:125], v[60:61]
	v_fma_f64 v[8:9], v[110:111], v[56:57], -v[8:9]
	v_add_f64 v[134:135], v[130:131], v[132:133]
	ds_read_b128 v[130:133], v1 offset:1456
	s_waitcnt vmcnt(18) lgkmcnt(1)
	v_mul_f64 v[136:137], v[126:127], v[154:155]
	v_add_f64 v[6:7], v[6:7], v[8:9]
	v_mul_f64 v[8:9], v[116:117], v[50:51]
	s_waitcnt vmcnt(16)
	v_fmac_f64_e32 v[136:137], v[128:129], v[156:157]
	v_fma_f64 v[8:9], v[114:115], v[52:53], -v[8:9]
	v_add_f64 v[138:139], v[134:135], v[136:137]
	ds_read_b128 v[134:137], v1 offset:1472
	v_add_f64 v[6:7], v[6:7], v[8:9]
	v_mul_f64 v[8:9], v[120:121], v[62:63]
	v_fma_f64 v[8:9], v[118:119], v[64:65], -v[8:9]
	v_add_f64 v[6:7], v[6:7], v[8:9]
	v_mul_f64 v[8:9], v[124:125], v[58:59]
	s_waitcnt lgkmcnt(1)
	v_mul_f64 v[140:141], v[130:131], v[150:151]
	v_fma_f64 v[8:9], v[122:123], v[60:61], -v[8:9]
	v_fmac_f64_e32 v[140:141], v[132:133], v[152:153]
	v_add_f64 v[6:7], v[6:7], v[8:9]
	v_mul_f64 v[8:9], v[128:129], v[154:155]
	v_add_f64 v[142:143], v[138:139], v[140:141]
	ds_read_b128 v[138:141], v1 offset:1488
	s_waitcnt vmcnt(10) lgkmcnt(1)
	v_mul_f64 v[144:145], v[134:135], v[162:163]
	v_fma_f64 v[8:9], v[126:127], v[156:157], -v[8:9]
	s_waitcnt vmcnt(8)
	v_fmac_f64_e32 v[144:145], v[136:137], v[164:165]
	v_add_f64 v[6:7], v[6:7], v[8:9]
	v_mul_f64 v[8:9], v[132:133], v[150:151]
	v_add_f64 v[174:175], v[142:143], v[144:145]
	ds_read_b128 v[142:145], v1 offset:1504
	v_fma_f64 v[8:9], v[130:131], v[152:153], -v[8:9]
	v_add_f64 v[6:7], v[6:7], v[8:9]
	v_mul_f64 v[8:9], v[136:137], v[162:163]
	v_fma_f64 v[8:9], v[134:135], v[164:165], -v[8:9]
	v_add_f64 v[6:7], v[6:7], v[8:9]
	s_waitcnt lgkmcnt(1)
	v_mul_f64 v[8:9], v[140:141], v[158:159]
	v_mul_f64 v[176:177], v[138:139], v[158:159]
	v_fma_f64 v[8:9], v[138:139], v[160:161], -v[8:9]
	v_fmac_f64_e32 v[176:177], v[140:141], v[160:161]
	v_add_f64 v[6:7], v[6:7], v[8:9]
	s_waitcnt vmcnt(6) lgkmcnt(0)
	v_mul_f64 v[8:9], v[144:145], v[166:167]
	v_add_f64 v[174:175], v[174:175], v[176:177]
	v_mul_f64 v[176:177], v[142:143], v[166:167]
	s_waitcnt vmcnt(4)
	v_fma_f64 v[8:9], v[142:143], v[168:169], -v[8:9]
	v_fmac_f64_e32 v[176:177], v[144:145], v[168:169]
	v_add_f64 v[6:7], v[6:7], v[8:9]
	s_waitcnt vmcnt(2)
	v_mul_f64 v[8:9], v[148:149], v[170:171]
	v_add_f64 v[174:175], v[174:175], v[176:177]
	v_mul_f64 v[176:177], v[146:147], v[170:171]
	s_waitcnt vmcnt(0)
	v_fma_f64 v[8:9], v[146:147], v[172:173], -v[8:9]
	v_fmac_f64_e32 v[176:177], v[148:149], v[172:173]
	v_add_f64 v[6:7], v[6:7], v[8:9]
	v_add_f64 v[174:175], v[174:175], v[176:177]
	v_add_f64 v[4:5], v[4:5], -v[6:7]
	v_add_f64 v[2:3], v[2:3], -v[174:175]
	buffer_store_dword v5, off, s[0:3], 0 offset:436
	buffer_store_dword v4, off, s[0:3], 0 offset:432
	;; [unrolled: 1-line block ×4, first 2 shown]
	s_and_saveexec_b64 s[4:5], vcc
	s_cbranch_execz .LBB111_251
; %bb.250:
	v_accvgpr_read_b32 v0, a118
	buffer_load_dword v2, v0, s[0:3], 0 offen
	buffer_load_dword v3, v0, s[0:3], 0 offen offset:4
	buffer_load_dword v4, v0, s[0:3], 0 offen offset:8
	;; [unrolled: 1-line block ×3, first 2 shown]
	v_accvgpr_read_b32 v0, a144
	buffer_store_dword v1, off, s[0:3], 0 offset:416
	buffer_store_dword v1, off, s[0:3], 0 offset:420
	;; [unrolled: 1-line block ×4, first 2 shown]
	s_waitcnt vmcnt(4)
	ds_write_b128 v0, v[2:5]
.LBB111_251:
	s_or_b64 exec, exec, s[4:5]
	s_waitcnt lgkmcnt(0)
	; wave barrier
	s_waitcnt lgkmcnt(0)
	ds_read_b128 v[14:17], v1 offset:1184
	ds_read_b128 v[10:13], v1 offset:1200
	;; [unrolled: 1-line block ×4, first 2 shown]
	buffer_load_dword v20, off, s[0:3], 0 offset:416
	buffer_load_dword v21, off, s[0:3], 0 offset:420
	;; [unrolled: 1-line block ×92, first 2 shown]
	s_waitcnt vmcnt(62) lgkmcnt(3)
	v_mul_f64 v[86:87], v[14:15], v[28:29]
	v_fmac_f64_e32 v[86:87], v[16:17], v[22:23]
	s_waitcnt lgkmcnt(2)
	v_mul_f64 v[88:89], v[10:11], v[30:31]
	v_add_f64 v[86:87], v[86:87], 0
	v_fmac_f64_e32 v[88:89], v[12:13], v[24:25]
	v_add_f64 v[86:87], v[86:87], v[88:89]
	s_waitcnt lgkmcnt(1)
	v_mul_f64 v[88:89], v[6:7], v[32:33]
	v_fmac_f64_e32 v[88:89], v[8:9], v[26:27]
	v_add_f64 v[90:91], v[86:87], v[88:89]
	ds_read_b128 v[86:89], v1 offset:1248
	v_mul_f64 v[16:17], v[16:17], v[28:29]
	v_fma_f64 v[14:15], v[14:15], v[22:23], -v[16:17]
	s_waitcnt lgkmcnt(1)
	v_mul_f64 v[92:93], v[2:3], v[38:39]
	v_mul_f64 v[12:13], v[12:13], v[30:31]
	v_fmac_f64_e32 v[92:93], v[4:5], v[40:41]
	v_add_f64 v[94:95], v[90:91], v[92:93]
	ds_read_b128 v[90:93], v1 offset:1264
	s_waitcnt lgkmcnt(1)
	v_mul_f64 v[96:97], v[86:87], v[34:35]
	v_fmac_f64_e32 v[96:97], v[88:89], v[36:37]
	v_add_f64 v[98:99], v[94:95], v[96:97]
	ds_read_b128 v[94:97], v1 offset:1280
	s_waitcnt lgkmcnt(1)
	v_mul_f64 v[100:101], v[90:91], v[46:47]
	s_waitcnt vmcnt(60)
	v_fmac_f64_e32 v[100:101], v[92:93], v[48:49]
	v_add_f64 v[102:103], v[98:99], v[100:101]
	ds_read_b128 v[98:101], v1 offset:1296
	s_waitcnt lgkmcnt(1)
	v_mul_f64 v[104:105], v[94:95], v[42:43]
	v_fmac_f64_e32 v[104:105], v[96:97], v[44:45]
	v_add_f64 v[106:107], v[102:103], v[104:105]
	ds_read_b128 v[102:105], v1 offset:1312
	s_waitcnt vmcnt(54) lgkmcnt(1)
	v_mul_f64 v[108:109], v[98:99], v[54:55]
	s_waitcnt vmcnt(52)
	v_fmac_f64_e32 v[108:109], v[100:101], v[56:57]
	v_add_f64 v[110:111], v[106:107], v[108:109]
	ds_read_b128 v[106:109], v1 offset:1328
	s_waitcnt lgkmcnt(1)
	v_mul_f64 v[112:113], v[102:103], v[50:51]
	v_fmac_f64_e32 v[112:113], v[104:105], v[52:53]
	v_add_f64 v[114:115], v[110:111], v[112:113]
	ds_read_b128 v[110:113], v1 offset:1344
	s_waitcnt vmcnt(46) lgkmcnt(1)
	v_mul_f64 v[116:117], v[106:107], v[62:63]
	s_waitcnt vmcnt(44)
	v_fmac_f64_e32 v[116:117], v[108:109], v[64:65]
	v_add_f64 v[118:119], v[114:115], v[116:117]
	ds_read_b128 v[114:117], v1 offset:1360
	s_waitcnt lgkmcnt(1)
	v_mul_f64 v[120:121], v[110:111], v[58:59]
	v_fmac_f64_e32 v[120:121], v[112:113], v[60:61]
	v_add_f64 v[14:15], v[14:15], 0
	v_fma_f64 v[10:11], v[10:11], v[24:25], -v[12:13]
	v_mul_f64 v[8:9], v[8:9], v[32:33]
	v_add_f64 v[122:123], v[118:119], v[120:121]
	ds_read_b128 v[118:121], v1 offset:1376
	v_add_f64 v[10:11], v[14:15], v[10:11]
	v_fma_f64 v[6:7], v[6:7], v[26:27], -v[8:9]
	v_mul_f64 v[4:5], v[4:5], v[38:39]
	v_add_f64 v[6:7], v[10:11], v[6:7]
	v_fma_f64 v[2:3], v[2:3], v[40:41], -v[4:5]
	v_mul_f64 v[4:5], v[88:89], v[34:35]
	v_add_f64 v[2:3], v[6:7], v[2:3]
	v_fma_f64 v[4:5], v[86:87], v[36:37], -v[4:5]
	s_waitcnt vmcnt(38) lgkmcnt(1)
	v_mul_f64 v[124:125], v[114:115], v[70:71]
	v_add_f64 v[2:3], v[2:3], v[4:5]
	v_mul_f64 v[4:5], v[92:93], v[46:47]
	s_waitcnt vmcnt(36)
	v_fmac_f64_e32 v[124:125], v[116:117], v[72:73]
	v_fma_f64 v[4:5], v[90:91], v[48:49], -v[4:5]
	v_add_f64 v[126:127], v[122:123], v[124:125]
	ds_read_b128 v[122:125], v1 offset:1392
	s_waitcnt lgkmcnt(1)
	v_mul_f64 v[128:129], v[118:119], v[66:67]
	v_add_f64 v[2:3], v[2:3], v[4:5]
	v_mul_f64 v[4:5], v[96:97], v[42:43]
	v_fmac_f64_e32 v[128:129], v[120:121], v[68:69]
	v_fma_f64 v[4:5], v[94:95], v[44:45], -v[4:5]
	v_add_f64 v[130:131], v[126:127], v[128:129]
	ds_read_b128 v[126:129], v1 offset:1408
	v_add_f64 v[2:3], v[2:3], v[4:5]
	v_mul_f64 v[4:5], v[100:101], v[54:55]
	v_fma_f64 v[4:5], v[98:99], v[56:57], -v[4:5]
	v_add_f64 v[2:3], v[2:3], v[4:5]
	v_mul_f64 v[4:5], v[104:105], v[50:51]
	s_waitcnt vmcnt(30) lgkmcnt(1)
	v_mul_f64 v[132:133], v[122:123], v[78:79]
	v_fma_f64 v[4:5], v[102:103], v[52:53], -v[4:5]
	s_waitcnt vmcnt(28)
	v_fmac_f64_e32 v[132:133], v[124:125], v[80:81]
	v_add_f64 v[2:3], v[2:3], v[4:5]
	v_mul_f64 v[4:5], v[108:109], v[62:63]
	v_add_f64 v[134:135], v[130:131], v[132:133]
	ds_read_b128 v[130:133], v1 offset:1424
	s_waitcnt lgkmcnt(1)
	v_mul_f64 v[136:137], v[126:127], v[74:75]
	v_fma_f64 v[4:5], v[106:107], v[64:65], -v[4:5]
	v_fmac_f64_e32 v[136:137], v[128:129], v[76:77]
	v_add_f64 v[2:3], v[2:3], v[4:5]
	v_mul_f64 v[4:5], v[112:113], v[58:59]
	v_add_f64 v[138:139], v[134:135], v[136:137]
	ds_read_b128 v[134:137], v1 offset:1440
	v_fma_f64 v[4:5], v[110:111], v[60:61], -v[4:5]
	v_add_f64 v[2:3], v[2:3], v[4:5]
	v_mul_f64 v[4:5], v[116:117], v[70:71]
	v_fma_f64 v[4:5], v[114:115], v[72:73], -v[4:5]
	s_waitcnt vmcnt(22) lgkmcnt(1)
	v_mul_f64 v[140:141], v[130:131], v[158:159]
	v_add_f64 v[2:3], v[2:3], v[4:5]
	v_mul_f64 v[4:5], v[120:121], v[66:67]
	s_waitcnt vmcnt(20)
	v_fmac_f64_e32 v[140:141], v[132:133], v[160:161]
	v_fma_f64 v[4:5], v[118:119], v[68:69], -v[4:5]
	v_add_f64 v[142:143], v[138:139], v[140:141]
	ds_read_b128 v[138:141], v1 offset:1456
	s_waitcnt lgkmcnt(1)
	v_mul_f64 v[144:145], v[134:135], v[82:83]
	v_add_f64 v[2:3], v[2:3], v[4:5]
	v_mul_f64 v[4:5], v[124:125], v[78:79]
	v_fmac_f64_e32 v[144:145], v[136:137], v[84:85]
	v_fma_f64 v[4:5], v[122:123], v[80:81], -v[4:5]
	v_add_f64 v[146:147], v[142:143], v[144:145]
	ds_read_b128 v[142:145], v1 offset:1472
	v_add_f64 v[2:3], v[2:3], v[4:5]
	v_mul_f64 v[4:5], v[128:129], v[74:75]
	v_fma_f64 v[4:5], v[126:127], v[76:77], -v[4:5]
	v_add_f64 v[2:3], v[2:3], v[4:5]
	v_mul_f64 v[4:5], v[132:133], v[158:159]
	s_waitcnt vmcnt(14) lgkmcnt(1)
	v_mul_f64 v[148:149], v[138:139], v[166:167]
	v_fma_f64 v[4:5], v[130:131], v[160:161], -v[4:5]
	s_waitcnt vmcnt(12)
	v_fmac_f64_e32 v[148:149], v[140:141], v[168:169]
	v_add_f64 v[2:3], v[2:3], v[4:5]
	v_mul_f64 v[4:5], v[136:137], v[82:83]
	v_add_f64 v[150:151], v[146:147], v[148:149]
	ds_read_b128 v[146:149], v1 offset:1488
	s_waitcnt lgkmcnt(1)
	v_mul_f64 v[152:153], v[142:143], v[162:163]
	v_fma_f64 v[4:5], v[134:135], v[84:85], -v[4:5]
	v_fmac_f64_e32 v[152:153], v[144:145], v[164:165]
	v_add_f64 v[2:3], v[2:3], v[4:5]
	v_mul_f64 v[4:5], v[140:141], v[166:167]
	v_add_f64 v[182:183], v[150:151], v[152:153]
	ds_read_b128 v[150:153], v1 offset:1504
	ds_read_b128 v[154:157], v1 offset:1520
	v_fma_f64 v[4:5], v[138:139], v[168:169], -v[4:5]
	v_add_f64 v[2:3], v[2:3], v[4:5]
	v_mul_f64 v[4:5], v[144:145], v[162:163]
	v_fma_f64 v[4:5], v[142:143], v[164:165], -v[4:5]
	v_add_f64 v[2:3], v[2:3], v[4:5]
	s_waitcnt vmcnt(6) lgkmcnt(2)
	v_mul_f64 v[4:5], v[148:149], v[174:175]
	v_mul_f64 v[184:185], v[146:147], v[174:175]
	s_waitcnt vmcnt(4)
	v_fma_f64 v[4:5], v[146:147], v[176:177], -v[4:5]
	v_fmac_f64_e32 v[184:185], v[148:149], v[176:177]
	v_add_f64 v[2:3], v[2:3], v[4:5]
	s_waitcnt lgkmcnt(1)
	v_mul_f64 v[4:5], v[152:153], v[170:171]
	v_add_f64 v[182:183], v[182:183], v[184:185]
	v_mul_f64 v[184:185], v[150:151], v[170:171]
	v_fma_f64 v[4:5], v[150:151], v[172:173], -v[4:5]
	v_fmac_f64_e32 v[184:185], v[152:153], v[172:173]
	v_add_f64 v[2:3], v[2:3], v[4:5]
	s_waitcnt vmcnt(2) lgkmcnt(0)
	v_mul_f64 v[4:5], v[156:157], v[178:179]
	v_add_f64 v[182:183], v[182:183], v[184:185]
	v_mul_f64 v[184:185], v[154:155], v[178:179]
	s_waitcnt vmcnt(0)
	v_fma_f64 v[4:5], v[154:155], v[180:181], -v[4:5]
	v_fmac_f64_e32 v[184:185], v[156:157], v[180:181]
	v_add_f64 v[2:3], v[2:3], v[4:5]
	v_add_f64 v[182:183], v[182:183], v[184:185]
	v_add_f64 v[2:3], v[20:21], -v[2:3]
	v_cmp_lt_u32_e32 vcc, 24, v254
	v_add_f64 v[4:5], v[18:19], -v[182:183]
	buffer_store_dword v3, off, s[0:3], 0 offset:420
	buffer_store_dword v2, off, s[0:3], 0 offset:416
	buffer_store_dword v5, off, s[0:3], 0 offset:428
	buffer_store_dword v4, off, s[0:3], 0 offset:424
	s_and_saveexec_b64 s[4:5], vcc
	s_cbranch_execz .LBB111_253
; %bb.252:
	v_accvgpr_read_b32 v0, a119
	buffer_load_dword v2, v0, s[0:3], 0 offen
	buffer_load_dword v3, v0, s[0:3], 0 offen offset:4
	buffer_load_dword v4, v0, s[0:3], 0 offen offset:8
	;; [unrolled: 1-line block ×3, first 2 shown]
	v_mov_b32_e32 v0, 0
	v_accvgpr_read_b32 v1, a144
	buffer_store_dword v0, off, s[0:3], 0 offset:400
	buffer_store_dword v0, off, s[0:3], 0 offset:404
	;; [unrolled: 1-line block ×4, first 2 shown]
	s_waitcnt vmcnt(4)
	ds_write_b128 v1, v[2:5]
.LBB111_253:
	s_or_b64 exec, exec, s[4:5]
	s_waitcnt lgkmcnt(0)
	; wave barrier
	s_waitcnt lgkmcnt(0)
	buffer_load_dword v9, off, s[0:3], 0 offset:428
	buffer_load_dword v6, off, s[0:3], 0 offset:440
	;; [unrolled: 1-line block ×64, first 2 shown]
	v_mov_b32_e32 v1, 0
	ds_read_b128 v[74:77], v1 offset:1168
	ds_read_b128 v[78:81], v1 offset:1184
	buffer_load_dword v67, off, s[0:3], 0 offset:684
	buffer_load_dword v66, off, s[0:3], 0 offset:680
	buffer_load_dword v69, off, s[0:3], 0 offset:676
	buffer_load_dword v68, off, s[0:3], 0 offset:672
	buffer_load_dword v71, off, s[0:3], 0 offset:668
	buffer_load_dword v70, off, s[0:3], 0 offset:664
	buffer_load_dword v73, off, s[0:3], 0 offset:660
	buffer_load_dword v72, off, s[0:3], 0 offset:656
	ds_read_b128 v[82:85], v1 offset:1200
	ds_read_b128 v[86:89], v1 offset:1216
	buffer_load_dword v167, off, s[0:3], 0 offset:716
	buffer_load_dword v166, off, s[0:3], 0 offset:712
	;; [unrolled: 1-line block ×24, first 2 shown]
	ds_read_b128 v[162:165], v1 offset:1520
	v_cmp_lt_u32_e32 vcc, 23, v254
	s_waitcnt vmcnt(62) lgkmcnt(1)
	v_mul_f64 v[96:97], v[86:87], v[22:23]
	v_fmac_f64_e32 v[96:97], v[88:89], v[24:25]
	v_mul_f64 v[92:93], v[78:79], v[6:7]
	v_mul_f64 v[90:91], v[74:75], v[8:9]
	v_mul_f64 v[8:9], v[76:77], v[8:9]
	v_fmac_f64_e32 v[90:91], v[76:77], v[10:11]
	v_add_f64 v[90:91], v[90:91], 0
	v_fma_f64 v[8:9], v[74:75], v[10:11], -v[8:9]
	v_mul_f64 v[6:7], v[80:81], v[6:7]
	v_add_f64 v[8:9], v[8:9], 0
	v_fmac_f64_e32 v[92:93], v[80:81], v[14:15]
	v_add_f64 v[90:91], v[90:91], v[92:93]
	v_mul_f64 v[92:93], v[82:83], v[16:17]
	v_fmac_f64_e32 v[92:93], v[84:85], v[12:13]
	v_add_f64 v[94:95], v[90:91], v[92:93]
	ds_read_b128 v[90:93], v1 offset:1232
	v_add_f64 v[98:99], v[94:95], v[96:97]
	ds_read_b128 v[94:97], v1 offset:1248
	v_fma_f64 v[6:7], v[78:79], v[14:15], -v[6:7]
	v_add_f64 v[6:7], v[8:9], v[6:7]
	s_waitcnt lgkmcnt(1)
	v_mul_f64 v[100:101], v[90:91], v[18:19]
	v_fmac_f64_e32 v[100:101], v[92:93], v[20:21]
	v_add_f64 v[102:103], v[98:99], v[100:101]
	ds_read_b128 v[98:101], v1 offset:1264
	s_waitcnt lgkmcnt(1)
	v_mul_f64 v[104:105], v[94:95], v[30:31]
	v_fmac_f64_e32 v[104:105], v[96:97], v[32:33]
	v_add_f64 v[106:107], v[102:103], v[104:105]
	ds_read_b128 v[102:105], v1 offset:1280
	;; [unrolled: 5-line block ×3, first 2 shown]
	s_waitcnt vmcnt(58) lgkmcnt(1)
	v_mul_f64 v[112:113], v[102:103], v[38:39]
	s_waitcnt vmcnt(56)
	v_fmac_f64_e32 v[112:113], v[104:105], v[40:41]
	v_add_f64 v[114:115], v[110:111], v[112:113]
	ds_read_b128 v[110:113], v1 offset:1312
	s_waitcnt lgkmcnt(1)
	v_mul_f64 v[116:117], v[106:107], v[34:35]
	v_fmac_f64_e32 v[116:117], v[108:109], v[36:37]
	v_add_f64 v[118:119], v[114:115], v[116:117]
	ds_read_b128 v[114:117], v1 offset:1328
	s_waitcnt vmcnt(50) lgkmcnt(1)
	v_mul_f64 v[120:121], v[110:111], v[46:47]
	s_waitcnt vmcnt(48)
	v_fmac_f64_e32 v[120:121], v[112:113], v[48:49]
	v_add_f64 v[122:123], v[118:119], v[120:121]
	ds_read_b128 v[118:121], v1 offset:1344
	v_mul_f64 v[8:9], v[84:85], v[16:17]
	s_waitcnt lgkmcnt(1)
	v_mul_f64 v[124:125], v[114:115], v[42:43]
	v_fma_f64 v[8:9], v[82:83], v[12:13], -v[8:9]
	v_fmac_f64_e32 v[124:125], v[116:117], v[44:45]
	v_add_f64 v[6:7], v[6:7], v[8:9]
	v_mul_f64 v[8:9], v[88:89], v[22:23]
	v_add_f64 v[126:127], v[122:123], v[124:125]
	ds_read_b128 v[122:125], v1 offset:1360
	s_waitcnt vmcnt(42) lgkmcnt(1)
	v_mul_f64 v[128:129], v[118:119], v[54:55]
	v_fma_f64 v[8:9], v[86:87], v[24:25], -v[8:9]
	s_waitcnt vmcnt(40)
	v_fmac_f64_e32 v[128:129], v[120:121], v[56:57]
	v_add_f64 v[6:7], v[6:7], v[8:9]
	v_mul_f64 v[8:9], v[92:93], v[18:19]
	v_add_f64 v[130:131], v[126:127], v[128:129]
	ds_read_b128 v[126:129], v1 offset:1376
	v_fma_f64 v[8:9], v[90:91], v[20:21], -v[8:9]
	v_add_f64 v[6:7], v[6:7], v[8:9]
	v_mul_f64 v[8:9], v[96:97], v[30:31]
	v_fma_f64 v[8:9], v[94:95], v[32:33], -v[8:9]
	s_waitcnt lgkmcnt(1)
	v_mul_f64 v[132:133], v[122:123], v[50:51]
	v_add_f64 v[6:7], v[6:7], v[8:9]
	v_mul_f64 v[8:9], v[100:101], v[26:27]
	v_fmac_f64_e32 v[132:133], v[124:125], v[52:53]
	v_fma_f64 v[8:9], v[98:99], v[28:29], -v[8:9]
	v_add_f64 v[134:135], v[130:131], v[132:133]
	ds_read_b128 v[130:133], v1 offset:1392
	s_waitcnt vmcnt(34) lgkmcnt(1)
	v_mul_f64 v[136:137], v[126:127], v[62:63]
	v_add_f64 v[6:7], v[6:7], v[8:9]
	v_mul_f64 v[8:9], v[104:105], v[38:39]
	s_waitcnt vmcnt(32)
	v_fmac_f64_e32 v[136:137], v[128:129], v[64:65]
	v_fma_f64 v[8:9], v[102:103], v[40:41], -v[8:9]
	v_add_f64 v[138:139], v[134:135], v[136:137]
	ds_read_b128 v[134:137], v1 offset:1408
	v_add_f64 v[6:7], v[6:7], v[8:9]
	v_mul_f64 v[8:9], v[108:109], v[34:35]
	v_fma_f64 v[8:9], v[106:107], v[36:37], -v[8:9]
	v_add_f64 v[6:7], v[6:7], v[8:9]
	v_mul_f64 v[8:9], v[112:113], v[46:47]
	s_waitcnt lgkmcnt(1)
	v_mul_f64 v[140:141], v[130:131], v[58:59]
	v_fma_f64 v[8:9], v[110:111], v[48:49], -v[8:9]
	v_fmac_f64_e32 v[140:141], v[132:133], v[60:61]
	v_add_f64 v[6:7], v[6:7], v[8:9]
	v_mul_f64 v[8:9], v[116:117], v[42:43]
	v_add_f64 v[142:143], v[138:139], v[140:141]
	ds_read_b128 v[138:141], v1 offset:1424
	s_waitcnt vmcnt(26) lgkmcnt(1)
	v_mul_f64 v[144:145], v[134:135], v[70:71]
	v_fma_f64 v[8:9], v[114:115], v[44:45], -v[8:9]
	s_waitcnt vmcnt(24)
	v_fmac_f64_e32 v[144:145], v[136:137], v[72:73]
	v_add_f64 v[6:7], v[6:7], v[8:9]
	v_mul_f64 v[8:9], v[120:121], v[54:55]
	v_add_f64 v[146:147], v[142:143], v[144:145]
	ds_read_b128 v[142:145], v1 offset:1440
	v_fma_f64 v[8:9], v[118:119], v[56:57], -v[8:9]
	v_add_f64 v[6:7], v[6:7], v[8:9]
	v_mul_f64 v[8:9], v[124:125], v[50:51]
	v_fma_f64 v[8:9], v[122:123], v[52:53], -v[8:9]
	s_waitcnt lgkmcnt(1)
	v_mul_f64 v[148:149], v[138:139], v[66:67]
	v_add_f64 v[6:7], v[6:7], v[8:9]
	v_mul_f64 v[8:9], v[128:129], v[62:63]
	v_fmac_f64_e32 v[148:149], v[140:141], v[68:69]
	v_fma_f64 v[8:9], v[126:127], v[64:65], -v[8:9]
	v_add_f64 v[150:151], v[146:147], v[148:149]
	ds_read_b128 v[146:149], v1 offset:1456
	s_waitcnt vmcnt(18) lgkmcnt(1)
	v_mul_f64 v[152:153], v[142:143], v[170:171]
	v_add_f64 v[6:7], v[6:7], v[8:9]
	v_mul_f64 v[8:9], v[132:133], v[58:59]
	s_waitcnt vmcnt(16)
	v_fmac_f64_e32 v[152:153], v[144:145], v[172:173]
	v_fma_f64 v[8:9], v[130:131], v[60:61], -v[8:9]
	v_add_f64 v[154:155], v[150:151], v[152:153]
	ds_read_b128 v[150:153], v1 offset:1472
	v_add_f64 v[6:7], v[6:7], v[8:9]
	v_mul_f64 v[8:9], v[136:137], v[70:71]
	v_fma_f64 v[8:9], v[134:135], v[72:73], -v[8:9]
	v_add_f64 v[6:7], v[6:7], v[8:9]
	v_mul_f64 v[8:9], v[140:141], v[66:67]
	s_waitcnt lgkmcnt(1)
	v_mul_f64 v[156:157], v[146:147], v[166:167]
	v_fma_f64 v[8:9], v[138:139], v[68:69], -v[8:9]
	v_fmac_f64_e32 v[156:157], v[148:149], v[168:169]
	v_add_f64 v[6:7], v[6:7], v[8:9]
	v_mul_f64 v[8:9], v[144:145], v[170:171]
	v_add_f64 v[158:159], v[154:155], v[156:157]
	ds_read_b128 v[154:157], v1 offset:1488
	s_waitcnt vmcnt(10) lgkmcnt(1)
	v_mul_f64 v[160:161], v[150:151], v[178:179]
	v_fma_f64 v[8:9], v[142:143], v[172:173], -v[8:9]
	s_waitcnt vmcnt(8)
	v_fmac_f64_e32 v[160:161], v[152:153], v[180:181]
	v_add_f64 v[6:7], v[6:7], v[8:9]
	v_mul_f64 v[8:9], v[148:149], v[166:167]
	v_add_f64 v[190:191], v[158:159], v[160:161]
	ds_read_b128 v[158:161], v1 offset:1504
	v_fma_f64 v[8:9], v[146:147], v[168:169], -v[8:9]
	v_add_f64 v[6:7], v[6:7], v[8:9]
	v_mul_f64 v[8:9], v[152:153], v[178:179]
	v_fma_f64 v[8:9], v[150:151], v[180:181], -v[8:9]
	v_add_f64 v[6:7], v[6:7], v[8:9]
	s_waitcnt lgkmcnt(1)
	v_mul_f64 v[8:9], v[156:157], v[174:175]
	v_mul_f64 v[192:193], v[154:155], v[174:175]
	v_fma_f64 v[8:9], v[154:155], v[176:177], -v[8:9]
	v_fmac_f64_e32 v[192:193], v[156:157], v[176:177]
	v_add_f64 v[6:7], v[6:7], v[8:9]
	s_waitcnt vmcnt(2) lgkmcnt(0)
	v_mul_f64 v[8:9], v[160:161], v[186:187]
	v_add_f64 v[190:191], v[190:191], v[192:193]
	v_mul_f64 v[192:193], v[158:159], v[186:187]
	s_waitcnt vmcnt(0)
	v_fma_f64 v[8:9], v[158:159], v[188:189], -v[8:9]
	v_fmac_f64_e32 v[192:193], v[160:161], v[188:189]
	v_add_f64 v[6:7], v[6:7], v[8:9]
	v_mul_f64 v[8:9], v[164:165], v[182:183]
	v_add_f64 v[190:191], v[190:191], v[192:193]
	v_mul_f64 v[192:193], v[162:163], v[182:183]
	v_fma_f64 v[8:9], v[162:163], v[184:185], -v[8:9]
	v_fmac_f64_e32 v[192:193], v[164:165], v[184:185]
	v_add_f64 v[6:7], v[6:7], v[8:9]
	v_add_f64 v[190:191], v[190:191], v[192:193]
	v_add_f64 v[4:5], v[4:5], -v[6:7]
	v_add_f64 v[2:3], v[2:3], -v[190:191]
	buffer_store_dword v5, off, s[0:3], 0 offset:404
	buffer_store_dword v4, off, s[0:3], 0 offset:400
	;; [unrolled: 1-line block ×4, first 2 shown]
	s_and_saveexec_b64 s[4:5], vcc
	s_cbranch_execz .LBB111_255
; %bb.254:
	v_accvgpr_read_b32 v0, a120
	buffer_load_dword v2, v0, s[0:3], 0 offen
	buffer_load_dword v3, v0, s[0:3], 0 offen offset:4
	buffer_load_dword v4, v0, s[0:3], 0 offen offset:8
	;; [unrolled: 1-line block ×3, first 2 shown]
	v_accvgpr_read_b32 v0, a144
	buffer_store_dword v1, off, s[0:3], 0 offset:384
	buffer_store_dword v1, off, s[0:3], 0 offset:388
	;; [unrolled: 1-line block ×4, first 2 shown]
	s_waitcnt vmcnt(4)
	ds_write_b128 v0, v[2:5]
.LBB111_255:
	s_or_b64 exec, exec, s[4:5]
	s_waitcnt lgkmcnt(0)
	; wave barrier
	s_waitcnt lgkmcnt(0)
	buffer_load_dword v22, off, s[0:3], 0 offset:400
	buffer_load_dword v23, off, s[0:3], 0 offset:404
	;; [unrolled: 1-line block ×16, first 2 shown]
	ds_read_b128 v[2:5], v1 offset:1152
	ds_read_b128 v[6:9], v1 offset:1168
	;; [unrolled: 1-line block ×4, first 2 shown]
	buffer_load_dword v35, off, s[0:3], 0 offset:476
	buffer_load_dword v34, off, s[0:3], 0 offset:472
	;; [unrolled: 1-line block ×48, first 2 shown]
	v_cmp_lt_u32_e32 vcc, 22, v254
	s_waitcnt vmcnt(42) lgkmcnt(0)
	v_mul_f64 v[104:105], v[14:15], v[38:39]
	s_waitcnt vmcnt(40)
	v_fmac_f64_e32 v[104:105], v[16:17], v[40:41]
	v_mul_f64 v[82:83], v[2:3], v[24:25]
	v_fmac_f64_e32 v[82:83], v[4:5], v[22:23]
	v_add_f64 v[82:83], v[82:83], 0
	v_mul_f64 v[4:5], v[4:5], v[24:25]
	v_mul_f64 v[84:85], v[6:7], v[32:33]
	v_fma_f64 v[2:3], v[2:3], v[22:23], -v[4:5]
	v_mul_f64 v[98:99], v[10:11], v[26:27]
	v_fmac_f64_e32 v[98:99], v[12:13], v[30:31]
	v_fmac_f64_e32 v[84:85], v[8:9], v[28:29]
	v_add_f64 v[100:101], v[82:83], v[84:85]
	buffer_load_dword v83, off, s[0:3], 0 offset:668
	buffer_load_dword v82, off, s[0:3], 0 offset:664
	buffer_load_dword v85, off, s[0:3], 0 offset:660
	buffer_load_dword v84, off, s[0:3], 0 offset:656
	buffer_load_dword v87, off, s[0:3], 0 offset:652
	buffer_load_dword v86, off, s[0:3], 0 offset:648
	buffer_load_dword v89, off, s[0:3], 0 offset:644
	buffer_load_dword v88, off, s[0:3], 0 offset:640
	buffer_load_dword v91, off, s[0:3], 0 offset:700
	buffer_load_dword v90, off, s[0:3], 0 offset:696
	buffer_load_dword v93, off, s[0:3], 0 offset:692
	buffer_load_dword v92, off, s[0:3], 0 offset:688
	buffer_load_dword v95, off, s[0:3], 0 offset:684
	buffer_load_dword v94, off, s[0:3], 0 offset:680
	buffer_load_dword v97, off, s[0:3], 0 offset:676
	buffer_load_dword v96, off, s[0:3], 0 offset:672
	buffer_load_dword v179, off, s[0:3], 0 offset:732
	buffer_load_dword v178, off, s[0:3], 0 offset:728
	buffer_load_dword v181, off, s[0:3], 0 offset:724
	buffer_load_dword v180, off, s[0:3], 0 offset:720
	buffer_load_dword v183, off, s[0:3], 0 offset:716
	buffer_load_dword v182, off, s[0:3], 0 offset:712
	buffer_load_dword v185, off, s[0:3], 0 offset:708
	buffer_load_dword v184, off, s[0:3], 0 offset:704
	buffer_load_dword v187, off, s[0:3], 0 offset:764
	buffer_load_dword v186, off, s[0:3], 0 offset:760
	buffer_load_dword v189, off, s[0:3], 0 offset:756
	buffer_load_dword v188, off, s[0:3], 0 offset:752
	buffer_load_dword v191, off, s[0:3], 0 offset:748
	buffer_load_dword v190, off, s[0:3], 0 offset:744
	buffer_load_dword v193, off, s[0:3], 0 offset:740
	buffer_load_dword v192, off, s[0:3], 0 offset:736
	v_add_f64 v[102:103], v[100:101], v[98:99]
	ds_read_b128 v[98:101], v1 offset:1216
	buffer_load_dword v195, off, s[0:3], 0 offset:780
	buffer_load_dword v194, off, s[0:3], 0 offset:776
	;; [unrolled: 1-line block ×4, first 2 shown]
	v_add_f64 v[106:107], v[102:103], v[104:105]
	ds_read_b128 v[102:105], v1 offset:1232
	v_mul_f64 v[4:5], v[8:9], v[32:33]
	s_waitcnt lgkmcnt(1)
	v_mul_f64 v[108:109], v[98:99], v[34:35]
	v_fmac_f64_e32 v[108:109], v[100:101], v[36:37]
	v_add_f64 v[110:111], v[106:107], v[108:109]
	ds_read_b128 v[106:109], v1 offset:1248
	s_waitcnt vmcnt(62) lgkmcnt(1)
	v_mul_f64 v[112:113], v[102:103], v[46:47]
	v_fmac_f64_e32 v[112:113], v[104:105], v[48:49]
	v_add_f64 v[114:115], v[110:111], v[112:113]
	ds_read_b128 v[110:113], v1 offset:1264
	s_waitcnt lgkmcnt(1)
	v_mul_f64 v[116:117], v[106:107], v[42:43]
	v_fmac_f64_e32 v[116:117], v[108:109], v[44:45]
	v_add_f64 v[118:119], v[114:115], v[116:117]
	ds_read_b128 v[114:117], v1 offset:1280
	s_waitcnt lgkmcnt(1)
	v_mul_f64 v[120:121], v[110:111], v[54:55]
	s_waitcnt vmcnt(60)
	v_fmac_f64_e32 v[120:121], v[112:113], v[56:57]
	v_add_f64 v[122:123], v[118:119], v[120:121]
	ds_read_b128 v[118:121], v1 offset:1296
	s_waitcnt lgkmcnt(1)
	v_mul_f64 v[124:125], v[114:115], v[50:51]
	v_fmac_f64_e32 v[124:125], v[116:117], v[52:53]
	v_add_f64 v[126:127], v[122:123], v[124:125]
	ds_read_b128 v[122:125], v1 offset:1312
	s_waitcnt vmcnt(54) lgkmcnt(1)
	v_mul_f64 v[128:129], v[118:119], v[62:63]
	s_waitcnt vmcnt(52)
	v_fmac_f64_e32 v[128:129], v[120:121], v[64:65]
	v_add_f64 v[130:131], v[126:127], v[128:129]
	ds_read_b128 v[126:129], v1 offset:1328
	s_waitcnt lgkmcnt(1)
	v_mul_f64 v[132:133], v[122:123], v[58:59]
	v_fmac_f64_e32 v[132:133], v[124:125], v[60:61]
	v_add_f64 v[2:3], v[2:3], 0
	v_fma_f64 v[4:5], v[6:7], v[28:29], -v[4:5]
	v_add_f64 v[134:135], v[130:131], v[132:133]
	ds_read_b128 v[130:133], v1 offset:1344
	v_add_f64 v[2:3], v[2:3], v[4:5]
	v_mul_f64 v[4:5], v[12:13], v[26:27]
	v_fma_f64 v[4:5], v[10:11], v[30:31], -v[4:5]
	v_add_f64 v[2:3], v[2:3], v[4:5]
	v_mul_f64 v[4:5], v[16:17], v[38:39]
	s_waitcnt vmcnt(46) lgkmcnt(1)
	v_mul_f64 v[136:137], v[126:127], v[70:71]
	v_fma_f64 v[4:5], v[14:15], v[40:41], -v[4:5]
	s_waitcnt vmcnt(44)
	v_fmac_f64_e32 v[136:137], v[128:129], v[72:73]
	v_add_f64 v[2:3], v[2:3], v[4:5]
	v_mul_f64 v[4:5], v[100:101], v[34:35]
	v_add_f64 v[138:139], v[134:135], v[136:137]
	ds_read_b128 v[134:137], v1 offset:1360
	s_waitcnt lgkmcnt(1)
	v_mul_f64 v[140:141], v[130:131], v[66:67]
	v_fma_f64 v[4:5], v[98:99], v[36:37], -v[4:5]
	v_fmac_f64_e32 v[140:141], v[132:133], v[68:69]
	v_add_f64 v[2:3], v[2:3], v[4:5]
	v_mul_f64 v[4:5], v[104:105], v[46:47]
	v_add_f64 v[142:143], v[138:139], v[140:141]
	ds_read_b128 v[138:141], v1 offset:1376
	v_fma_f64 v[4:5], v[102:103], v[48:49], -v[4:5]
	v_add_f64 v[2:3], v[2:3], v[4:5]
	v_mul_f64 v[4:5], v[108:109], v[42:43]
	v_fma_f64 v[4:5], v[106:107], v[44:45], -v[4:5]
	s_waitcnt vmcnt(38) lgkmcnt(1)
	v_mul_f64 v[144:145], v[134:135], v[78:79]
	v_add_f64 v[2:3], v[2:3], v[4:5]
	v_mul_f64 v[4:5], v[112:113], v[54:55]
	s_waitcnt vmcnt(36)
	v_fmac_f64_e32 v[144:145], v[136:137], v[80:81]
	v_fma_f64 v[4:5], v[110:111], v[56:57], -v[4:5]
	v_add_f64 v[146:147], v[142:143], v[144:145]
	ds_read_b128 v[142:145], v1 offset:1392
	s_waitcnt lgkmcnt(1)
	v_mul_f64 v[148:149], v[138:139], v[74:75]
	v_add_f64 v[2:3], v[2:3], v[4:5]
	v_mul_f64 v[4:5], v[116:117], v[50:51]
	v_fmac_f64_e32 v[148:149], v[140:141], v[76:77]
	v_fma_f64 v[4:5], v[114:115], v[52:53], -v[4:5]
	v_add_f64 v[150:151], v[146:147], v[148:149]
	ds_read_b128 v[146:149], v1 offset:1408
	v_add_f64 v[2:3], v[2:3], v[4:5]
	v_mul_f64 v[4:5], v[120:121], v[62:63]
	v_fma_f64 v[4:5], v[118:119], v[64:65], -v[4:5]
	v_add_f64 v[2:3], v[2:3], v[4:5]
	v_mul_f64 v[4:5], v[124:125], v[58:59]
	s_waitcnt vmcnt(30) lgkmcnt(1)
	v_mul_f64 v[152:153], v[142:143], v[86:87]
	v_fma_f64 v[4:5], v[122:123], v[60:61], -v[4:5]
	s_waitcnt vmcnt(28)
	v_fmac_f64_e32 v[152:153], v[144:145], v[88:89]
	v_add_f64 v[2:3], v[2:3], v[4:5]
	v_mul_f64 v[4:5], v[128:129], v[70:71]
	v_add_f64 v[154:155], v[150:151], v[152:153]
	ds_read_b128 v[150:153], v1 offset:1424
	s_waitcnt lgkmcnt(1)
	v_mul_f64 v[156:157], v[146:147], v[82:83]
	v_fma_f64 v[4:5], v[126:127], v[72:73], -v[4:5]
	v_fmac_f64_e32 v[156:157], v[148:149], v[84:85]
	v_add_f64 v[2:3], v[2:3], v[4:5]
	v_mul_f64 v[4:5], v[132:133], v[66:67]
	v_add_f64 v[158:159], v[154:155], v[156:157]
	ds_read_b128 v[154:157], v1 offset:1440
	v_fma_f64 v[4:5], v[130:131], v[68:69], -v[4:5]
	v_add_f64 v[2:3], v[2:3], v[4:5]
	v_mul_f64 v[4:5], v[136:137], v[78:79]
	v_fma_f64 v[4:5], v[134:135], v[80:81], -v[4:5]
	s_waitcnt vmcnt(22) lgkmcnt(1)
	v_mul_f64 v[160:161], v[150:151], v[94:95]
	v_add_f64 v[2:3], v[2:3], v[4:5]
	v_mul_f64 v[4:5], v[140:141], v[74:75]
	s_waitcnt vmcnt(20)
	v_fmac_f64_e32 v[160:161], v[152:153], v[96:97]
	v_fma_f64 v[4:5], v[138:139], v[76:77], -v[4:5]
	v_add_f64 v[162:163], v[158:159], v[160:161]
	ds_read_b128 v[158:161], v1 offset:1456
	s_waitcnt lgkmcnt(1)
	v_mul_f64 v[164:165], v[154:155], v[90:91]
	v_add_f64 v[2:3], v[2:3], v[4:5]
	v_mul_f64 v[4:5], v[144:145], v[86:87]
	v_fmac_f64_e32 v[164:165], v[156:157], v[92:93]
	v_fma_f64 v[4:5], v[142:143], v[88:89], -v[4:5]
	v_add_f64 v[166:167], v[162:163], v[164:165]
	ds_read_b128 v[162:165], v1 offset:1472
	v_add_f64 v[2:3], v[2:3], v[4:5]
	v_mul_f64 v[4:5], v[148:149], v[82:83]
	v_fma_f64 v[4:5], v[146:147], v[84:85], -v[4:5]
	v_add_f64 v[2:3], v[2:3], v[4:5]
	v_mul_f64 v[4:5], v[152:153], v[94:95]
	s_waitcnt vmcnt(14) lgkmcnt(1)
	v_mul_f64 v[168:169], v[158:159], v[182:183]
	v_fma_f64 v[4:5], v[150:151], v[96:97], -v[4:5]
	s_waitcnt vmcnt(12)
	v_fmac_f64_e32 v[168:169], v[160:161], v[184:185]
	v_add_f64 v[2:3], v[2:3], v[4:5]
	v_mul_f64 v[4:5], v[156:157], v[90:91]
	v_add_f64 v[170:171], v[166:167], v[168:169]
	ds_read_b128 v[166:169], v1 offset:1488
	s_waitcnt lgkmcnt(1)
	v_mul_f64 v[172:173], v[162:163], v[178:179]
	v_fma_f64 v[4:5], v[154:155], v[92:93], -v[4:5]
	v_fmac_f64_e32 v[172:173], v[164:165], v[180:181]
	v_add_f64 v[2:3], v[2:3], v[4:5]
	v_mul_f64 v[4:5], v[160:161], v[182:183]
	v_add_f64 v[198:199], v[170:171], v[172:173]
	ds_read_b128 v[170:173], v1 offset:1504
	v_fma_f64 v[4:5], v[158:159], v[184:185], -v[4:5]
	v_add_f64 v[2:3], v[2:3], v[4:5]
	v_mul_f64 v[4:5], v[164:165], v[178:179]
	ds_read_b128 v[174:177], v1 offset:1520
	v_fma_f64 v[4:5], v[162:163], v[180:181], -v[4:5]
	v_add_f64 v[2:3], v[2:3], v[4:5]
	s_waitcnt vmcnt(6) lgkmcnt(2)
	v_mul_f64 v[4:5], v[168:169], v[190:191]
	v_mul_f64 v[200:201], v[166:167], v[190:191]
	s_waitcnt vmcnt(4)
	v_fma_f64 v[4:5], v[166:167], v[192:193], -v[4:5]
	v_fmac_f64_e32 v[200:201], v[168:169], v[192:193]
	v_add_f64 v[2:3], v[2:3], v[4:5]
	s_waitcnt lgkmcnt(1)
	v_mul_f64 v[4:5], v[172:173], v[186:187]
	v_add_f64 v[198:199], v[198:199], v[200:201]
	v_mul_f64 v[200:201], v[170:171], v[186:187]
	v_fma_f64 v[4:5], v[170:171], v[188:189], -v[4:5]
	v_fmac_f64_e32 v[200:201], v[172:173], v[188:189]
	v_add_f64 v[2:3], v[2:3], v[4:5]
	s_waitcnt vmcnt(2) lgkmcnt(0)
	v_mul_f64 v[4:5], v[176:177], v[194:195]
	v_add_f64 v[198:199], v[198:199], v[200:201]
	v_mul_f64 v[200:201], v[174:175], v[194:195]
	s_waitcnt vmcnt(0)
	v_fma_f64 v[4:5], v[174:175], v[196:197], -v[4:5]
	v_fmac_f64_e32 v[200:201], v[176:177], v[196:197]
	v_add_f64 v[2:3], v[2:3], v[4:5]
	v_add_f64 v[198:199], v[198:199], v[200:201]
	v_add_f64 v[2:3], v[20:21], -v[2:3]
	v_add_f64 v[4:5], v[18:19], -v[198:199]
	buffer_store_dword v3, off, s[0:3], 0 offset:388
	buffer_store_dword v2, off, s[0:3], 0 offset:384
	buffer_store_dword v5, off, s[0:3], 0 offset:396
	buffer_store_dword v4, off, s[0:3], 0 offset:392
	s_and_saveexec_b64 s[4:5], vcc
	s_cbranch_execz .LBB111_257
; %bb.256:
	v_accvgpr_read_b32 v0, a121
	buffer_load_dword v2, v0, s[0:3], 0 offen
	buffer_load_dword v3, v0, s[0:3], 0 offen offset:4
	buffer_load_dword v4, v0, s[0:3], 0 offen offset:8
	;; [unrolled: 1-line block ×3, first 2 shown]
	v_mov_b32_e32 v0, 0
	v_accvgpr_read_b32 v1, a144
	buffer_store_dword v0, off, s[0:3], 0 offset:368
	buffer_store_dword v0, off, s[0:3], 0 offset:372
	;; [unrolled: 1-line block ×4, first 2 shown]
	s_waitcnt vmcnt(4)
	ds_write_b128 v1, v[2:5]
.LBB111_257:
	s_or_b64 exec, exec, s[4:5]
	s_waitcnt lgkmcnt(0)
	; wave barrier
	s_waitcnt lgkmcnt(0)
	buffer_load_dword v22, off, s[0:3], 0 offset:384
	buffer_load_dword v23, off, s[0:3], 0 offset:388
	;; [unrolled: 1-line block ×64, first 2 shown]
	v_mov_b32_e32 v1, 0
	ds_read_b128 v[18:21], v1 offset:1136
	ds_read_b128 v[14:17], v1 offset:1152
	;; [unrolled: 1-line block ×5, first 2 shown]
	v_cmp_lt_u32_e32 vcc, 21, v254
	s_waitcnt vmcnt(60) lgkmcnt(4)
	v_mul_f64 v[86:87], v[18:19], v[26:27]
	v_fmac_f64_e32 v[86:87], v[20:21], v[22:23]
	v_add_f64 v[86:87], v[86:87], 0
	v_mul_f64 v[20:21], v[20:21], v[26:27]
	s_waitcnt vmcnt(56) lgkmcnt(3)
	v_mul_f64 v[88:89], v[14:15], v[28:29]
	v_fmac_f64_e32 v[88:89], v[16:17], v[24:25]
	s_waitcnt vmcnt(54) lgkmcnt(2)
	v_mul_f64 v[90:91], v[10:11], v[30:31]
	v_add_f64 v[86:87], v[86:87], v[88:89]
	v_fma_f64 v[18:19], v[18:19], v[22:23], -v[20:21]
	v_mul_f64 v[16:17], v[16:17], v[28:29]
	s_waitcnt vmcnt(50) lgkmcnt(1)
	v_mul_f64 v[102:103], v[6:7], v[40:41]
	v_add_f64 v[18:19], v[18:19], 0
	s_waitcnt vmcnt(48)
	v_fmac_f64_e32 v[90:91], v[12:13], v[44:45]
	v_add_f64 v[104:105], v[86:87], v[90:91]
	buffer_load_dword v87, off, s[0:3], 0 offset:652
	buffer_load_dword v86, off, s[0:3], 0 offset:648
	;; [unrolled: 1-line block ×40, first 2 shown]
	s_waitcnt vmcnt(62)
	v_fmac_f64_e32 v[102:103], v[8:9], v[42:43]
	v_add_f64 v[106:107], v[104:105], v[102:103]
	ds_read_b128 v[102:105], v1 offset:1216
	s_waitcnt lgkmcnt(1)
	v_mul_f64 v[108:109], v[2:3], v[36:37]
	v_fmac_f64_e32 v[108:109], v[4:5], v[38:39]
	v_add_f64 v[110:111], v[106:107], v[108:109]
	ds_read_b128 v[106:109], v1 offset:1232
	s_waitcnt lgkmcnt(1)
	v_mul_f64 v[112:113], v[102:103], v[50:51]
	;; [unrolled: 5-line block ×5, first 2 shown]
	v_fmac_f64_e32 v[124:125], v[116:117], v[56:57]
	v_add_f64 v[126:127], v[122:123], v[124:125]
	ds_read_b128 v[122:125], v1 offset:1296
	s_waitcnt vmcnt(58) lgkmcnt(1)
	v_mul_f64 v[128:129], v[118:119], v[66:67]
	s_waitcnt vmcnt(56)
	v_fmac_f64_e32 v[128:129], v[120:121], v[68:69]
	v_add_f64 v[130:131], v[126:127], v[128:129]
	ds_read_b128 v[126:129], v1 offset:1312
	s_waitcnt lgkmcnt(1)
	v_mul_f64 v[132:133], v[122:123], v[62:63]
	v_fmac_f64_e32 v[132:133], v[124:125], v[64:65]
	v_add_f64 v[134:135], v[130:131], v[132:133]
	ds_read_b128 v[130:133], v1 offset:1328
	s_waitcnt vmcnt(50) lgkmcnt(1)
	v_mul_f64 v[136:137], v[126:127], v[74:75]
	s_waitcnt vmcnt(48)
	v_fmac_f64_e32 v[136:137], v[128:129], v[76:77]
	v_add_f64 v[138:139], v[134:135], v[136:137]
	ds_read_b128 v[134:137], v1 offset:1344
	v_fma_f64 v[14:15], v[14:15], v[24:25], -v[16:17]
	v_mul_f64 v[12:13], v[12:13], v[30:31]
	v_add_f64 v[14:15], v[18:19], v[14:15]
	v_fma_f64 v[10:11], v[10:11], v[44:45], -v[12:13]
	v_mul_f64 v[8:9], v[8:9], v[40:41]
	s_waitcnt lgkmcnt(1)
	v_mul_f64 v[140:141], v[130:131], v[70:71]
	v_add_f64 v[10:11], v[14:15], v[10:11]
	v_fma_f64 v[6:7], v[6:7], v[42:43], -v[8:9]
	v_mul_f64 v[4:5], v[4:5], v[36:37]
	v_fmac_f64_e32 v[140:141], v[132:133], v[72:73]
	v_add_f64 v[6:7], v[10:11], v[6:7]
	v_fma_f64 v[2:3], v[2:3], v[38:39], -v[4:5]
	v_mul_f64 v[4:5], v[104:105], v[50:51]
	v_add_f64 v[142:143], v[138:139], v[140:141]
	ds_read_b128 v[138:141], v1 offset:1360
	s_waitcnt vmcnt(42) lgkmcnt(1)
	v_mul_f64 v[144:145], v[134:135], v[82:83]
	v_add_f64 v[2:3], v[6:7], v[2:3]
	v_fma_f64 v[4:5], v[102:103], v[52:53], -v[4:5]
	s_waitcnt vmcnt(40)
	v_fmac_f64_e32 v[144:145], v[136:137], v[84:85]
	v_add_f64 v[2:3], v[2:3], v[4:5]
	v_mul_f64 v[4:5], v[108:109], v[46:47]
	v_add_f64 v[146:147], v[142:143], v[144:145]
	ds_read_b128 v[142:145], v1 offset:1376
	v_fma_f64 v[4:5], v[106:107], v[48:49], -v[4:5]
	v_add_f64 v[2:3], v[2:3], v[4:5]
	v_mul_f64 v[4:5], v[112:113], v[58:59]
	v_fma_f64 v[4:5], v[110:111], v[60:61], -v[4:5]
	s_waitcnt lgkmcnt(1)
	v_mul_f64 v[148:149], v[138:139], v[78:79]
	v_add_f64 v[2:3], v[2:3], v[4:5]
	v_mul_f64 v[4:5], v[116:117], v[54:55]
	v_fmac_f64_e32 v[148:149], v[140:141], v[80:81]
	v_fma_f64 v[4:5], v[114:115], v[56:57], -v[4:5]
	v_add_f64 v[150:151], v[146:147], v[148:149]
	ds_read_b128 v[146:149], v1 offset:1392
	s_waitcnt vmcnt(34) lgkmcnt(1)
	v_mul_f64 v[152:153], v[142:143], v[90:91]
	v_add_f64 v[2:3], v[2:3], v[4:5]
	v_mul_f64 v[4:5], v[120:121], v[66:67]
	s_waitcnt vmcnt(32)
	v_fmac_f64_e32 v[152:153], v[144:145], v[92:93]
	v_fma_f64 v[4:5], v[118:119], v[68:69], -v[4:5]
	v_add_f64 v[154:155], v[150:151], v[152:153]
	ds_read_b128 v[150:153], v1 offset:1408
	v_add_f64 v[2:3], v[2:3], v[4:5]
	v_mul_f64 v[4:5], v[124:125], v[62:63]
	v_fma_f64 v[4:5], v[122:123], v[64:65], -v[4:5]
	v_add_f64 v[2:3], v[2:3], v[4:5]
	v_mul_f64 v[4:5], v[128:129], v[74:75]
	s_waitcnt lgkmcnt(1)
	v_mul_f64 v[156:157], v[146:147], v[86:87]
	v_fma_f64 v[4:5], v[126:127], v[76:77], -v[4:5]
	v_fmac_f64_e32 v[156:157], v[148:149], v[88:89]
	v_add_f64 v[2:3], v[2:3], v[4:5]
	v_mul_f64 v[4:5], v[132:133], v[70:71]
	v_add_f64 v[158:159], v[154:155], v[156:157]
	ds_read_b128 v[154:157], v1 offset:1424
	s_waitcnt vmcnt(26) lgkmcnt(1)
	v_mul_f64 v[160:161], v[150:151], v[98:99]
	v_fma_f64 v[4:5], v[130:131], v[72:73], -v[4:5]
	s_waitcnt vmcnt(24)
	v_fmac_f64_e32 v[160:161], v[152:153], v[100:101]
	v_add_f64 v[2:3], v[2:3], v[4:5]
	v_mul_f64 v[4:5], v[136:137], v[82:83]
	v_add_f64 v[162:163], v[158:159], v[160:161]
	ds_read_b128 v[158:161], v1 offset:1440
	v_fma_f64 v[4:5], v[134:135], v[84:85], -v[4:5]
	v_add_f64 v[2:3], v[2:3], v[4:5]
	v_mul_f64 v[4:5], v[140:141], v[78:79]
	v_fma_f64 v[4:5], v[138:139], v[80:81], -v[4:5]
	s_waitcnt lgkmcnt(1)
	v_mul_f64 v[164:165], v[154:155], v[94:95]
	v_add_f64 v[2:3], v[2:3], v[4:5]
	v_mul_f64 v[4:5], v[144:145], v[90:91]
	v_fmac_f64_e32 v[164:165], v[156:157], v[96:97]
	v_fma_f64 v[4:5], v[142:143], v[92:93], -v[4:5]
	v_add_f64 v[166:167], v[162:163], v[164:165]
	ds_read_b128 v[162:165], v1 offset:1456
	s_waitcnt vmcnt(18) lgkmcnt(1)
	v_mul_f64 v[168:169], v[158:159], v[186:187]
	v_add_f64 v[2:3], v[2:3], v[4:5]
	v_mul_f64 v[4:5], v[148:149], v[86:87]
	s_waitcnt vmcnt(16)
	v_fmac_f64_e32 v[168:169], v[160:161], v[188:189]
	v_fma_f64 v[4:5], v[146:147], v[88:89], -v[4:5]
	v_add_f64 v[170:171], v[166:167], v[168:169]
	ds_read_b128 v[166:169], v1 offset:1472
	v_add_f64 v[2:3], v[2:3], v[4:5]
	v_mul_f64 v[4:5], v[152:153], v[98:99]
	v_fma_f64 v[4:5], v[150:151], v[100:101], -v[4:5]
	v_add_f64 v[2:3], v[2:3], v[4:5]
	v_mul_f64 v[4:5], v[156:157], v[94:95]
	s_waitcnt lgkmcnt(1)
	v_mul_f64 v[172:173], v[162:163], v[182:183]
	v_fma_f64 v[4:5], v[154:155], v[96:97], -v[4:5]
	v_fmac_f64_e32 v[172:173], v[164:165], v[184:185]
	v_add_f64 v[2:3], v[2:3], v[4:5]
	v_mul_f64 v[4:5], v[160:161], v[186:187]
	v_add_f64 v[174:175], v[170:171], v[172:173]
	ds_read_b128 v[170:173], v1 offset:1488
	s_waitcnt vmcnt(10) lgkmcnt(1)
	v_mul_f64 v[176:177], v[166:167], v[194:195]
	v_fma_f64 v[4:5], v[158:159], v[188:189], -v[4:5]
	s_waitcnt vmcnt(8)
	v_fmac_f64_e32 v[176:177], v[168:169], v[196:197]
	v_add_f64 v[2:3], v[2:3], v[4:5]
	v_mul_f64 v[4:5], v[164:165], v[182:183]
	v_add_f64 v[206:207], v[174:175], v[176:177]
	ds_read_b128 v[174:177], v1 offset:1504
	ds_read_b128 v[178:181], v1 offset:1520
	v_fma_f64 v[4:5], v[162:163], v[184:185], -v[4:5]
	v_add_f64 v[2:3], v[2:3], v[4:5]
	v_mul_f64 v[4:5], v[168:169], v[194:195]
	v_fma_f64 v[4:5], v[166:167], v[196:197], -v[4:5]
	v_add_f64 v[2:3], v[2:3], v[4:5]
	s_waitcnt lgkmcnt(2)
	v_mul_f64 v[4:5], v[172:173], v[190:191]
	v_mul_f64 v[208:209], v[170:171], v[190:191]
	v_fma_f64 v[4:5], v[170:171], v[192:193], -v[4:5]
	v_fmac_f64_e32 v[208:209], v[172:173], v[192:193]
	v_add_f64 v[2:3], v[2:3], v[4:5]
	s_waitcnt vmcnt(2) lgkmcnt(1)
	v_mul_f64 v[4:5], v[176:177], v[202:203]
	v_add_f64 v[206:207], v[206:207], v[208:209]
	v_mul_f64 v[208:209], v[174:175], v[202:203]
	s_waitcnt vmcnt(0)
	v_fma_f64 v[4:5], v[174:175], v[204:205], -v[4:5]
	v_fmac_f64_e32 v[208:209], v[176:177], v[204:205]
	v_add_f64 v[2:3], v[2:3], v[4:5]
	s_waitcnt lgkmcnt(0)
	v_mul_f64 v[4:5], v[180:181], v[198:199]
	v_add_f64 v[206:207], v[206:207], v[208:209]
	v_mul_f64 v[208:209], v[178:179], v[198:199]
	v_fma_f64 v[4:5], v[178:179], v[200:201], -v[4:5]
	v_fmac_f64_e32 v[208:209], v[180:181], v[200:201]
	v_add_f64 v[2:3], v[2:3], v[4:5]
	v_add_f64 v[206:207], v[206:207], v[208:209]
	v_add_f64 v[2:3], v[34:35], -v[2:3]
	v_add_f64 v[4:5], v[32:33], -v[206:207]
	buffer_store_dword v3, off, s[0:3], 0 offset:372
	buffer_store_dword v2, off, s[0:3], 0 offset:368
	;; [unrolled: 1-line block ×4, first 2 shown]
	s_and_saveexec_b64 s[4:5], vcc
	s_cbranch_execz .LBB111_259
; %bb.258:
	v_accvgpr_read_b32 v0, a122
	buffer_load_dword v2, v0, s[0:3], 0 offen
	buffer_load_dword v3, v0, s[0:3], 0 offen offset:4
	buffer_load_dword v4, v0, s[0:3], 0 offen offset:8
	;; [unrolled: 1-line block ×3, first 2 shown]
	v_accvgpr_read_b32 v0, a144
	buffer_store_dword v1, off, s[0:3], 0 offset:352
	buffer_store_dword v1, off, s[0:3], 0 offset:356
	;; [unrolled: 1-line block ×4, first 2 shown]
	s_waitcnt vmcnt(4)
	ds_write_b128 v0, v[2:5]
.LBB111_259:
	s_or_b64 exec, exec, s[4:5]
	s_waitcnt lgkmcnt(0)
	; wave barrier
	s_waitcnt lgkmcnt(0)
	buffer_load_dword v26, off, s[0:3], 0 offset:368
	buffer_load_dword v27, off, s[0:3], 0 offset:372
	;; [unrolled: 1-line block ×24, first 2 shown]
	ds_read_b128 v[22:25], v1 offset:1120
	ds_read_b128 v[18:21], v1 offset:1136
	;; [unrolled: 1-line block ×6, first 2 shown]
	buffer_load_dword v51, off, s[0:3], 0 offset:476
	buffer_load_dword v50, off, s[0:3], 0 offset:472
	;; [unrolled: 1-line block ×40, first 2 shown]
	v_cmp_lt_u32_e32 vcc, 20, v254
	s_waitcnt vmcnt(34) lgkmcnt(0)
	v_mul_f64 v[120:121], v[14:15], v[54:55]
	s_waitcnt vmcnt(32)
	v_fmac_f64_e32 v[120:121], v[16:17], v[56:57]
	v_mul_f64 v[90:91], v[22:23], v[28:29]
	v_fmac_f64_e32 v[90:91], v[24:25], v[26:27]
	v_mul_f64 v[92:93], v[18:19], v[30:31]
	v_add_f64 v[90:91], v[90:91], 0
	v_mul_f64 v[94:95], v[10:11], v[32:33]
	v_mul_f64 v[24:25], v[24:25], v[28:29]
	;; [unrolled: 1-line block ×3, first 2 shown]
	v_fma_f64 v[22:23], v[22:23], v[26:27], -v[24:25]
	v_add_f64 v[22:23], v[22:23], 0
	v_mul_f64 v[96:97], v[6:7], v[42:43]
	v_fmac_f64_e32 v[92:93], v[20:21], v[48:49]
	v_add_f64 v[90:91], v[90:91], v[92:93]
	v_fmac_f64_e32 v[94:95], v[12:13], v[46:47]
	v_add_f64 v[90:91], v[90:91], v[94:95]
	;; [unrolled: 2-line block ×3, first 2 shown]
	buffer_load_dword v91, off, s[0:3], 0 offset:636
	buffer_load_dword v90, off, s[0:3], 0 offset:632
	;; [unrolled: 1-line block ×40, first 2 shown]
	v_fmac_f64_e32 v[114:115], v[4:5], v[40:41]
	v_add_f64 v[118:119], v[116:117], v[114:115]
	ds_read_b128 v[114:117], v1 offset:1216
	buffer_load_dword v211, off, s[0:3], 0 offset:780
	buffer_load_dword v210, off, s[0:3], 0 offset:776
	;; [unrolled: 1-line block ×4, first 2 shown]
	v_add_f64 v[122:123], v[118:119], v[120:121]
	ds_read_b128 v[118:121], v1 offset:1232
	v_mul_f64 v[20:21], v[20:21], v[30:31]
	s_waitcnt lgkmcnt(1)
	v_mul_f64 v[124:125], v[114:115], v[50:51]
	v_fmac_f64_e32 v[124:125], v[116:117], v[52:53]
	v_add_f64 v[126:127], v[122:123], v[124:125]
	ds_read_b128 v[122:125], v1 offset:1248
	s_waitcnt vmcnt(62) lgkmcnt(1)
	v_mul_f64 v[128:129], v[118:119], v[62:63]
	v_fmac_f64_e32 v[128:129], v[120:121], v[64:65]
	v_add_f64 v[130:131], v[126:127], v[128:129]
	ds_read_b128 v[126:129], v1 offset:1264
	s_waitcnt lgkmcnt(1)
	v_mul_f64 v[132:133], v[122:123], v[58:59]
	v_fmac_f64_e32 v[132:133], v[124:125], v[60:61]
	v_add_f64 v[134:135], v[130:131], v[132:133]
	ds_read_b128 v[130:133], v1 offset:1280
	s_waitcnt lgkmcnt(1)
	v_mul_f64 v[136:137], v[126:127], v[70:71]
	s_waitcnt vmcnt(60)
	v_fmac_f64_e32 v[136:137], v[128:129], v[72:73]
	v_add_f64 v[138:139], v[134:135], v[136:137]
	ds_read_b128 v[134:137], v1 offset:1296
	s_waitcnt lgkmcnt(1)
	v_mul_f64 v[140:141], v[130:131], v[66:67]
	v_fmac_f64_e32 v[140:141], v[132:133], v[68:69]
	v_add_f64 v[142:143], v[138:139], v[140:141]
	ds_read_b128 v[138:141], v1 offset:1312
	s_waitcnt vmcnt(54) lgkmcnt(1)
	v_mul_f64 v[144:145], v[134:135], v[78:79]
	s_waitcnt vmcnt(52)
	v_fmac_f64_e32 v[144:145], v[136:137], v[80:81]
	v_add_f64 v[146:147], v[142:143], v[144:145]
	ds_read_b128 v[142:145], v1 offset:1328
	s_waitcnt lgkmcnt(1)
	v_mul_f64 v[148:149], v[138:139], v[74:75]
	v_fmac_f64_e32 v[148:149], v[140:141], v[76:77]
	v_fma_f64 v[18:19], v[18:19], v[48:49], -v[20:21]
	v_mul_f64 v[12:13], v[12:13], v[32:33]
	v_add_f64 v[150:151], v[146:147], v[148:149]
	ds_read_b128 v[146:149], v1 offset:1344
	v_add_f64 v[18:19], v[22:23], v[18:19]
	v_fma_f64 v[10:11], v[10:11], v[46:47], -v[12:13]
	v_mul_f64 v[8:9], v[8:9], v[42:43]
	v_add_f64 v[10:11], v[18:19], v[10:11]
	v_fma_f64 v[6:7], v[6:7], v[44:45], -v[8:9]
	v_mul_f64 v[4:5], v[4:5], v[38:39]
	;; [unrolled: 3-line block ×3, first 2 shown]
	s_waitcnt vmcnt(46) lgkmcnt(1)
	v_mul_f64 v[152:153], v[142:143], v[86:87]
	v_add_f64 v[2:3], v[6:7], v[2:3]
	v_fma_f64 v[4:5], v[14:15], v[56:57], -v[4:5]
	s_waitcnt vmcnt(44)
	v_fmac_f64_e32 v[152:153], v[144:145], v[88:89]
	v_add_f64 v[2:3], v[2:3], v[4:5]
	v_mul_f64 v[4:5], v[116:117], v[50:51]
	v_add_f64 v[154:155], v[150:151], v[152:153]
	ds_read_b128 v[150:153], v1 offset:1360
	s_waitcnt lgkmcnt(1)
	v_mul_f64 v[156:157], v[146:147], v[82:83]
	v_fma_f64 v[4:5], v[114:115], v[52:53], -v[4:5]
	v_fmac_f64_e32 v[156:157], v[148:149], v[84:85]
	v_add_f64 v[2:3], v[2:3], v[4:5]
	v_mul_f64 v[4:5], v[120:121], v[62:63]
	v_add_f64 v[158:159], v[154:155], v[156:157]
	ds_read_b128 v[154:157], v1 offset:1376
	v_fma_f64 v[4:5], v[118:119], v[64:65], -v[4:5]
	v_add_f64 v[2:3], v[2:3], v[4:5]
	v_mul_f64 v[4:5], v[124:125], v[58:59]
	v_fma_f64 v[4:5], v[122:123], v[60:61], -v[4:5]
	s_waitcnt vmcnt(38) lgkmcnt(1)
	v_mul_f64 v[160:161], v[150:151], v[94:95]
	v_add_f64 v[2:3], v[2:3], v[4:5]
	v_mul_f64 v[4:5], v[128:129], v[70:71]
	s_waitcnt vmcnt(36)
	v_fmac_f64_e32 v[160:161], v[152:153], v[96:97]
	v_fma_f64 v[4:5], v[126:127], v[72:73], -v[4:5]
	v_add_f64 v[162:163], v[158:159], v[160:161]
	ds_read_b128 v[158:161], v1 offset:1392
	s_waitcnt lgkmcnt(1)
	v_mul_f64 v[164:165], v[154:155], v[90:91]
	v_add_f64 v[2:3], v[2:3], v[4:5]
	v_mul_f64 v[4:5], v[132:133], v[66:67]
	v_fmac_f64_e32 v[164:165], v[156:157], v[92:93]
	v_fma_f64 v[4:5], v[130:131], v[68:69], -v[4:5]
	v_add_f64 v[166:167], v[162:163], v[164:165]
	ds_read_b128 v[162:165], v1 offset:1408
	v_add_f64 v[2:3], v[2:3], v[4:5]
	v_mul_f64 v[4:5], v[136:137], v[78:79]
	v_fma_f64 v[4:5], v[134:135], v[80:81], -v[4:5]
	v_add_f64 v[2:3], v[2:3], v[4:5]
	v_mul_f64 v[4:5], v[140:141], v[74:75]
	s_waitcnt vmcnt(30) lgkmcnt(1)
	v_mul_f64 v[168:169], v[158:159], v[102:103]
	v_fma_f64 v[4:5], v[138:139], v[76:77], -v[4:5]
	s_waitcnt vmcnt(28)
	v_fmac_f64_e32 v[168:169], v[160:161], v[104:105]
	v_add_f64 v[2:3], v[2:3], v[4:5]
	v_mul_f64 v[4:5], v[144:145], v[86:87]
	v_add_f64 v[170:171], v[166:167], v[168:169]
	ds_read_b128 v[166:169], v1 offset:1424
	s_waitcnt lgkmcnt(1)
	v_mul_f64 v[172:173], v[162:163], v[98:99]
	v_fma_f64 v[4:5], v[142:143], v[88:89], -v[4:5]
	v_fmac_f64_e32 v[172:173], v[164:165], v[100:101]
	v_add_f64 v[2:3], v[2:3], v[4:5]
	v_mul_f64 v[4:5], v[148:149], v[82:83]
	v_add_f64 v[174:175], v[170:171], v[172:173]
	ds_read_b128 v[170:173], v1 offset:1440
	v_fma_f64 v[4:5], v[146:147], v[84:85], -v[4:5]
	v_add_f64 v[2:3], v[2:3], v[4:5]
	v_mul_f64 v[4:5], v[152:153], v[94:95]
	v_fma_f64 v[4:5], v[150:151], v[96:97], -v[4:5]
	s_waitcnt vmcnt(22) lgkmcnt(1)
	v_mul_f64 v[176:177], v[166:167], v[110:111]
	v_add_f64 v[2:3], v[2:3], v[4:5]
	v_mul_f64 v[4:5], v[156:157], v[90:91]
	s_waitcnt vmcnt(20)
	v_fmac_f64_e32 v[176:177], v[168:169], v[112:113]
	v_fma_f64 v[4:5], v[154:155], v[92:93], -v[4:5]
	v_add_f64 v[178:179], v[174:175], v[176:177]
	ds_read_b128 v[174:177], v1 offset:1456
	s_waitcnt lgkmcnt(1)
	v_mul_f64 v[180:181], v[170:171], v[106:107]
	v_add_f64 v[2:3], v[2:3], v[4:5]
	v_mul_f64 v[4:5], v[160:161], v[102:103]
	v_fmac_f64_e32 v[180:181], v[172:173], v[108:109]
	v_fma_f64 v[4:5], v[158:159], v[104:105], -v[4:5]
	v_add_f64 v[182:183], v[178:179], v[180:181]
	ds_read_b128 v[178:181], v1 offset:1472
	v_add_f64 v[2:3], v[2:3], v[4:5]
	v_mul_f64 v[4:5], v[164:165], v[98:99]
	v_fma_f64 v[4:5], v[162:163], v[100:101], -v[4:5]
	v_add_f64 v[2:3], v[2:3], v[4:5]
	v_mul_f64 v[4:5], v[168:169], v[110:111]
	s_waitcnt vmcnt(14) lgkmcnt(1)
	v_mul_f64 v[184:185], v[174:175], v[198:199]
	v_fma_f64 v[4:5], v[166:167], v[112:113], -v[4:5]
	s_waitcnt vmcnt(12)
	v_fmac_f64_e32 v[184:185], v[176:177], v[200:201]
	v_add_f64 v[2:3], v[2:3], v[4:5]
	v_mul_f64 v[4:5], v[172:173], v[106:107]
	v_add_f64 v[186:187], v[182:183], v[184:185]
	ds_read_b128 v[182:185], v1 offset:1488
	s_waitcnt lgkmcnt(1)
	v_mul_f64 v[188:189], v[178:179], v[194:195]
	v_fma_f64 v[4:5], v[170:171], v[108:109], -v[4:5]
	v_fmac_f64_e32 v[188:189], v[180:181], v[196:197]
	v_add_f64 v[2:3], v[2:3], v[4:5]
	v_mul_f64 v[4:5], v[176:177], v[198:199]
	v_add_f64 v[214:215], v[186:187], v[188:189]
	ds_read_b128 v[186:189], v1 offset:1504
	v_fma_f64 v[4:5], v[174:175], v[200:201], -v[4:5]
	v_add_f64 v[2:3], v[2:3], v[4:5]
	v_mul_f64 v[4:5], v[180:181], v[194:195]
	ds_read_b128 v[190:193], v1 offset:1520
	v_fma_f64 v[4:5], v[178:179], v[196:197], -v[4:5]
	v_add_f64 v[2:3], v[2:3], v[4:5]
	s_waitcnt vmcnt(6) lgkmcnt(2)
	v_mul_f64 v[4:5], v[184:185], v[206:207]
	v_mul_f64 v[216:217], v[182:183], v[206:207]
	s_waitcnt vmcnt(4)
	v_fma_f64 v[4:5], v[182:183], v[208:209], -v[4:5]
	v_fmac_f64_e32 v[216:217], v[184:185], v[208:209]
	v_add_f64 v[2:3], v[2:3], v[4:5]
	s_waitcnt lgkmcnt(1)
	v_mul_f64 v[4:5], v[188:189], v[202:203]
	v_add_f64 v[214:215], v[214:215], v[216:217]
	v_mul_f64 v[216:217], v[186:187], v[202:203]
	v_fma_f64 v[4:5], v[186:187], v[204:205], -v[4:5]
	v_fmac_f64_e32 v[216:217], v[188:189], v[204:205]
	v_add_f64 v[2:3], v[2:3], v[4:5]
	s_waitcnt vmcnt(2) lgkmcnt(0)
	v_mul_f64 v[4:5], v[192:193], v[210:211]
	v_add_f64 v[214:215], v[214:215], v[216:217]
	v_mul_f64 v[216:217], v[190:191], v[210:211]
	s_waitcnt vmcnt(0)
	v_fma_f64 v[4:5], v[190:191], v[212:213], -v[4:5]
	v_fmac_f64_e32 v[216:217], v[192:193], v[212:213]
	v_add_f64 v[2:3], v[2:3], v[4:5]
	v_add_f64 v[214:215], v[214:215], v[216:217]
	v_add_f64 v[2:3], v[36:37], -v[2:3]
	v_add_f64 v[4:5], v[34:35], -v[214:215]
	buffer_store_dword v3, off, s[0:3], 0 offset:356
	buffer_store_dword v2, off, s[0:3], 0 offset:352
	;; [unrolled: 1-line block ×4, first 2 shown]
	s_and_saveexec_b64 s[4:5], vcc
	s_cbranch_execz .LBB111_261
; %bb.260:
	v_accvgpr_read_b32 v0, a123
	buffer_load_dword v2, v0, s[0:3], 0 offen
	buffer_load_dword v3, v0, s[0:3], 0 offen offset:4
	buffer_load_dword v4, v0, s[0:3], 0 offen offset:8
	;; [unrolled: 1-line block ×3, first 2 shown]
	v_mov_b32_e32 v0, 0
	v_accvgpr_read_b32 v1, a144
	buffer_store_dword v0, off, s[0:3], 0 offset:336
	buffer_store_dword v0, off, s[0:3], 0 offset:340
	;; [unrolled: 1-line block ×4, first 2 shown]
	s_waitcnt vmcnt(4)
	ds_write_b128 v1, v[2:5]
.LBB111_261:
	s_or_b64 exec, exec, s[4:5]
	s_waitcnt lgkmcnt(0)
	; wave barrier
	s_waitcnt lgkmcnt(0)
	buffer_load_dword v30, off, s[0:3], 0 offset:352
	buffer_load_dword v31, off, s[0:3], 0 offset:356
	;; [unrolled: 1-line block ×56, first 2 shown]
	v_mov_b32_e32 v1, 0
	ds_read_b128 v[26:29], v1 offset:1104
	ds_read_b128 v[22:25], v1 offset:1120
	;; [unrolled: 1-line block ×7, first 2 shown]
	v_cmp_lt_u32_e32 vcc, 19, v254
	s_waitcnt vmcnt(52) lgkmcnt(6)
	v_mul_f64 v[86:87], v[26:27], v[34:35]
	v_fmac_f64_e32 v[86:87], v[28:29], v[30:31]
	v_add_f64 v[86:87], v[86:87], 0
	v_mul_f64 v[28:29], v[28:29], v[34:35]
	s_waitcnt vmcnt(48) lgkmcnt(5)
	v_mul_f64 v[88:89], v[22:23], v[36:37]
	v_fmac_f64_e32 v[88:89], v[24:25], v[32:33]
	s_waitcnt vmcnt(46) lgkmcnt(4)
	v_mul_f64 v[90:91], v[18:19], v[38:39]
	v_add_f64 v[86:87], v[86:87], v[88:89]
	s_waitcnt vmcnt(44) lgkmcnt(2)
	v_mul_f64 v[94:95], v[10:11], v[40:41]
	v_fma_f64 v[26:27], v[26:27], v[30:31], -v[28:29]
	s_waitcnt vmcnt(42)
	v_fmac_f64_e32 v[94:95], v[12:13], v[42:43]
	v_mul_f64 v[24:25], v[24:25], v[36:37]
	s_waitcnt vmcnt(40)
	v_mul_f64 v[92:93], v[14:15], v[48:49]
	v_add_f64 v[26:27], v[26:27], 0
	v_fma_f64 v[22:23], v[22:23], v[32:33], -v[24:25]
	v_add_f64 v[22:23], v[26:27], v[22:23]
	s_waitcnt vmcnt(36) lgkmcnt(1)
	v_mul_f64 v[110:111], v[6:7], v[54:55]
	v_mul_f64 v[12:13], v[12:13], v[40:41]
	s_waitcnt vmcnt(34)
	v_fmac_f64_e32 v[90:91], v[20:21], v[60:61]
	v_add_f64 v[86:87], v[86:87], v[90:91]
	s_waitcnt vmcnt(32)
	v_fmac_f64_e32 v[92:93], v[16:17], v[58:59]
	v_add_f64 v[86:87], v[86:87], v[92:93]
	v_add_f64 v[116:117], v[86:87], v[94:95]
	buffer_load_dword v87, off, s[0:3], 0 offset:588
	buffer_load_dword v86, off, s[0:3], 0 offset:584
	;; [unrolled: 1-line block ×56, first 2 shown]
	ds_read_b128 v[124:127], v1 offset:1216
	ds_read_b128 v[128:131], v1 offset:1232
	v_mul_f64 v[20:21], v[20:21], v[38:39]
	v_fma_f64 v[18:19], v[18:19], v[60:61], -v[20:21]
	v_mul_f64 v[16:17], v[16:17], v[48:49]
	s_waitcnt vmcnt(62)
	v_fmac_f64_e32 v[110:111], v[8:9], v[56:57]
	v_add_f64 v[18:19], v[22:23], v[18:19]
	v_fma_f64 v[14:15], v[14:15], v[58:59], -v[16:17]
	v_add_f64 v[110:111], v[116:117], v[110:111]
	s_waitcnt lgkmcnt(2)
	v_mul_f64 v[116:117], v[2:3], v[50:51]
	v_add_f64 v[14:15], v[18:19], v[14:15]
	v_fma_f64 v[10:11], v[10:11], v[42:43], -v[12:13]
	v_mul_f64 v[8:9], v[8:9], v[54:55]
	v_fmac_f64_e32 v[116:117], v[4:5], v[52:53]
	ds_read_b128 v[132:135], v1 offset:1248
	ds_read_b128 v[136:139], v1 offset:1264
	v_add_f64 v[10:11], v[14:15], v[10:11]
	v_fma_f64 v[6:7], v[6:7], v[56:57], -v[8:9]
	v_mul_f64 v[4:5], v[4:5], v[50:51]
	v_add_f64 v[6:7], v[10:11], v[6:7]
	v_fma_f64 v[2:3], v[2:3], v[52:53], -v[4:5]
	s_waitcnt lgkmcnt(3)
	v_mul_f64 v[4:5], v[126:127], v[66:67]
	v_add_f64 v[110:111], v[110:111], v[116:117]
	v_mul_f64 v[116:117], v[124:125], v[66:67]
	v_add_f64 v[2:3], v[6:7], v[2:3]
	v_fma_f64 v[4:5], v[124:125], v[68:69], -v[4:5]
	v_fmac_f64_e32 v[116:117], v[126:127], v[68:69]
	v_add_f64 v[2:3], v[2:3], v[4:5]
	s_waitcnt lgkmcnt(2)
	v_mul_f64 v[4:5], v[130:131], v[62:63]
	v_add_f64 v[110:111], v[110:111], v[116:117]
	v_mul_f64 v[116:117], v[128:129], v[62:63]
	ds_read_b128 v[140:143], v1 offset:1280
	ds_read_b128 v[144:147], v1 offset:1296
	v_fma_f64 v[4:5], v[128:129], v[64:65], -v[4:5]
	v_fmac_f64_e32 v[116:117], v[130:131], v[64:65]
	v_add_f64 v[2:3], v[2:3], v[4:5]
	s_waitcnt lgkmcnt(3)
	v_mul_f64 v[4:5], v[134:135], v[74:75]
	v_add_f64 v[110:111], v[110:111], v[116:117]
	v_mul_f64 v[116:117], v[132:133], v[74:75]
	v_fma_f64 v[4:5], v[132:133], v[76:77], -v[4:5]
	v_fmac_f64_e32 v[116:117], v[134:135], v[76:77]
	v_add_f64 v[2:3], v[2:3], v[4:5]
	s_waitcnt lgkmcnt(2)
	v_mul_f64 v[4:5], v[138:139], v[70:71]
	v_add_f64 v[110:111], v[110:111], v[116:117]
	v_mul_f64 v[116:117], v[136:137], v[70:71]
	ds_read_b128 v[148:151], v1 offset:1312
	ds_read_b128 v[152:155], v1 offset:1328
	v_fma_f64 v[4:5], v[136:137], v[72:73], -v[4:5]
	v_fmac_f64_e32 v[116:117], v[138:139], v[72:73]
	v_add_f64 v[2:3], v[2:3], v[4:5]
	s_waitcnt vmcnt(58) lgkmcnt(3)
	v_mul_f64 v[4:5], v[142:143], v[82:83]
	v_add_f64 v[110:111], v[110:111], v[116:117]
	v_mul_f64 v[116:117], v[140:141], v[82:83]
	s_waitcnt vmcnt(56)
	v_fma_f64 v[4:5], v[140:141], v[84:85], -v[4:5]
	v_fmac_f64_e32 v[116:117], v[142:143], v[84:85]
	v_add_f64 v[2:3], v[2:3], v[4:5]
	s_waitcnt lgkmcnt(2)
	v_mul_f64 v[4:5], v[146:147], v[78:79]
	v_add_f64 v[110:111], v[110:111], v[116:117]
	v_mul_f64 v[116:117], v[144:145], v[78:79]
	ds_read_b128 v[156:159], v1 offset:1344
	ds_read_b128 v[160:163], v1 offset:1360
	v_fma_f64 v[4:5], v[144:145], v[80:81], -v[4:5]
	v_fmac_f64_e32 v[116:117], v[146:147], v[80:81]
	v_add_f64 v[2:3], v[2:3], v[4:5]
	s_waitcnt vmcnt(50) lgkmcnt(3)
	v_mul_f64 v[4:5], v[150:151], v[90:91]
	v_add_f64 v[110:111], v[110:111], v[116:117]
	v_mul_f64 v[116:117], v[148:149], v[90:91]
	s_waitcnt vmcnt(48)
	;; [unrolled: 17-line block ×7, first 2 shown]
	v_fma_f64 v[4:5], v[188:189], v[216:217], -v[4:5]
	v_fmac_f64_e32 v[116:117], v[190:191], v[216:217]
	v_add_f64 v[2:3], v[2:3], v[4:5]
	s_waitcnt lgkmcnt(2)
	v_mul_f64 v[4:5], v[194:195], v[210:211]
	v_add_f64 v[110:111], v[110:111], v[116:117]
	v_mul_f64 v[116:117], v[192:193], v[210:211]
	v_fma_f64 v[4:5], v[192:193], v[212:213], -v[4:5]
	v_fmac_f64_e32 v[116:117], v[194:195], v[212:213]
	v_add_f64 v[2:3], v[2:3], v[4:5]
	s_waitcnt vmcnt(2) lgkmcnt(1)
	v_mul_f64 v[4:5], v[200:201], v[222:223]
	v_add_f64 v[110:111], v[110:111], v[116:117]
	v_mul_f64 v[116:117], v[198:199], v[222:223]
	s_waitcnt vmcnt(0)
	v_fma_f64 v[4:5], v[198:199], v[224:225], -v[4:5]
	v_fmac_f64_e32 v[116:117], v[200:201], v[224:225]
	v_add_f64 v[2:3], v[2:3], v[4:5]
	s_waitcnt lgkmcnt(0)
	v_mul_f64 v[4:5], v[204:205], v[218:219]
	v_add_f64 v[110:111], v[110:111], v[116:117]
	v_mul_f64 v[116:117], v[202:203], v[218:219]
	v_fma_f64 v[4:5], v[202:203], v[220:221], -v[4:5]
	v_fmac_f64_e32 v[116:117], v[204:205], v[220:221]
	v_add_f64 v[2:3], v[2:3], v[4:5]
	v_add_f64 v[110:111], v[110:111], v[116:117]
	v_add_f64 v[2:3], v[46:47], -v[2:3]
	v_add_f64 v[4:5], v[44:45], -v[110:111]
	buffer_store_dword v3, off, s[0:3], 0 offset:340
	buffer_store_dword v2, off, s[0:3], 0 offset:336
	;; [unrolled: 1-line block ×4, first 2 shown]
	s_and_saveexec_b64 s[4:5], vcc
	s_cbranch_execz .LBB111_263
; %bb.262:
	v_accvgpr_read_b32 v0, a124
	buffer_load_dword v2, v0, s[0:3], 0 offen
	buffer_load_dword v3, v0, s[0:3], 0 offen offset:4
	buffer_load_dword v4, v0, s[0:3], 0 offen offset:8
	;; [unrolled: 1-line block ×3, first 2 shown]
	v_accvgpr_read_b32 v0, a144
	buffer_store_dword v1, off, s[0:3], 0 offset:320
	buffer_store_dword v1, off, s[0:3], 0 offset:324
	;; [unrolled: 1-line block ×4, first 2 shown]
	s_waitcnt vmcnt(4)
	ds_write_b128 v0, v[2:5]
.LBB111_263:
	s_or_b64 exec, exec, s[4:5]
	s_waitcnt lgkmcnt(0)
	; wave barrier
	s_waitcnt lgkmcnt(0)
	buffer_load_dword v34, off, s[0:3], 0 offset:336
	buffer_load_dword v35, off, s[0:3], 0 offset:340
	;; [unrolled: 1-line block ×32, first 2 shown]
	ds_read_b128 v[30:33], v1 offset:1088
	ds_read_b128 v[26:29], v1 offset:1104
	;; [unrolled: 1-line block ×8, first 2 shown]
	buffer_load_dword v67, off, s[0:3], 0 offset:476
	buffer_load_dword v66, off, s[0:3], 0 offset:472
	;; [unrolled: 1-line block ×24, first 2 shown]
	v_cmp_lt_u32_e32 vcc, 18, v254
	s_waitcnt vmcnt(52) lgkmcnt(7)
	v_mul_f64 v[90:91], v[30:31], v[38:39]
	v_fmac_f64_e32 v[90:91], v[32:33], v[34:35]
	v_add_f64 v[90:91], v[90:91], 0
	v_mul_f64 v[32:33], v[32:33], v[38:39]
	s_waitcnt vmcnt(48) lgkmcnt(6)
	v_mul_f64 v[92:93], v[26:27], v[40:41]
	v_fmac_f64_e32 v[92:93], v[28:29], v[36:37]
	s_waitcnt vmcnt(46) lgkmcnt(5)
	v_mul_f64 v[94:95], v[22:23], v[42:43]
	v_add_f64 v[90:91], v[90:91], v[92:93]
	s_waitcnt vmcnt(44) lgkmcnt(4)
	v_mul_f64 v[96:97], v[18:19], v[48:49]
	v_fma_f64 v[30:31], v[30:31], v[34:35], -v[32:33]
	s_waitcnt vmcnt(42) lgkmcnt(1)
	v_mul_f64 v[122:123], v[2:3], v[50:51]
	v_mul_f64 v[28:29], v[28:29], v[40:41]
	s_waitcnt vmcnt(18) lgkmcnt(0)
	v_mul_f64 v[136:137], v[14:15], v[70:71]
	v_mul_f64 v[100:101], v[6:7], v[54:55]
	s_waitcnt vmcnt(16)
	v_fmac_f64_e32 v[136:137], v[16:17], v[72:73]
	v_mul_f64 v[98:99], v[10:11], v[56:57]
	v_add_f64 v[30:31], v[30:31], 0
	v_fmac_f64_e32 v[98:99], v[12:13], v[58:59]
	v_fma_f64 v[26:27], v[26:27], v[36:37], -v[28:29]
	v_fmac_f64_e32 v[94:95], v[24:25], v[64:65]
	v_add_f64 v[90:91], v[90:91], v[94:95]
	v_fmac_f64_e32 v[96:97], v[20:21], v[62:63]
	v_add_f64 v[90:91], v[90:91], v[96:97]
	;; [unrolled: 2-line block ×3, first 2 shown]
	v_add_f64 v[124:125], v[90:91], v[100:101]
	buffer_load_dword v91, off, s[0:3], 0 offset:572
	buffer_load_dword v90, off, s[0:3], 0 offset:568
	;; [unrolled: 1-line block ×56, first 2 shown]
	v_fmac_f64_e32 v[122:123], v[4:5], v[52:53]
	v_add_f64 v[134:135], v[124:125], v[122:123]
	ds_read_b128 v[122:125], v1 offset:1216
	buffer_load_dword v227, off, s[0:3], 0 offset:780
	buffer_load_dword v226, off, s[0:3], 0 offset:776
	;; [unrolled: 1-line block ×4, first 2 shown]
	v_add_f64 v[138:139], v[134:135], v[136:137]
	ds_read_b128 v[134:137], v1 offset:1232
	v_mul_f64 v[24:25], v[24:25], v[42:43]
	s_waitcnt lgkmcnt(1)
	v_mul_f64 v[140:141], v[122:123], v[66:67]
	v_fmac_f64_e32 v[140:141], v[124:125], v[68:69]
	v_add_f64 v[142:143], v[138:139], v[140:141]
	ds_read_b128 v[138:141], v1 offset:1248
	s_waitcnt vmcnt(62) lgkmcnt(1)
	v_mul_f64 v[144:145], v[134:135], v[78:79]
	v_fmac_f64_e32 v[144:145], v[136:137], v[80:81]
	v_add_f64 v[146:147], v[142:143], v[144:145]
	ds_read_b128 v[142:145], v1 offset:1264
	s_waitcnt lgkmcnt(1)
	v_mul_f64 v[148:149], v[138:139], v[74:75]
	v_fmac_f64_e32 v[148:149], v[140:141], v[76:77]
	v_add_f64 v[150:151], v[146:147], v[148:149]
	ds_read_b128 v[146:149], v1 offset:1280
	s_waitcnt lgkmcnt(1)
	v_mul_f64 v[152:153], v[142:143], v[86:87]
	s_waitcnt vmcnt(60)
	v_fmac_f64_e32 v[152:153], v[144:145], v[88:89]
	v_add_f64 v[154:155], v[150:151], v[152:153]
	ds_read_b128 v[150:153], v1 offset:1296
	s_waitcnt lgkmcnt(1)
	v_mul_f64 v[156:157], v[146:147], v[82:83]
	v_fmac_f64_e32 v[156:157], v[148:149], v[84:85]
	v_add_f64 v[158:159], v[154:155], v[156:157]
	ds_read_b128 v[154:157], v1 offset:1312
	v_add_f64 v[26:27], v[30:31], v[26:27]
	v_fma_f64 v[22:23], v[22:23], v[64:65], -v[24:25]
	s_waitcnt vmcnt(54) lgkmcnt(1)
	v_mul_f64 v[160:161], v[150:151], v[94:95]
	v_mul_f64 v[20:21], v[20:21], v[48:49]
	s_waitcnt vmcnt(52)
	v_fmac_f64_e32 v[160:161], v[152:153], v[96:97]
	v_add_f64 v[162:163], v[158:159], v[160:161]
	ds_read_b128 v[158:161], v1 offset:1328
	s_waitcnt lgkmcnt(1)
	v_mul_f64 v[164:165], v[154:155], v[90:91]
	v_fmac_f64_e32 v[164:165], v[156:157], v[92:93]
	v_add_f64 v[22:23], v[26:27], v[22:23]
	v_fma_f64 v[18:19], v[18:19], v[62:63], -v[20:21]
	v_mul_f64 v[12:13], v[12:13], v[56:57]
	v_add_f64 v[166:167], v[162:163], v[164:165]
	ds_read_b128 v[162:165], v1 offset:1344
	v_add_f64 v[18:19], v[22:23], v[18:19]
	v_fma_f64 v[10:11], v[10:11], v[58:59], -v[12:13]
	v_mul_f64 v[8:9], v[8:9], v[54:55]
	v_add_f64 v[10:11], v[18:19], v[10:11]
	v_fma_f64 v[6:7], v[6:7], v[60:61], -v[8:9]
	v_mul_f64 v[4:5], v[4:5], v[50:51]
	;; [unrolled: 3-line block ×3, first 2 shown]
	s_waitcnt vmcnt(46) lgkmcnt(1)
	v_mul_f64 v[168:169], v[158:159], v[102:103]
	v_add_f64 v[2:3], v[6:7], v[2:3]
	v_fma_f64 v[4:5], v[14:15], v[72:73], -v[4:5]
	s_waitcnt vmcnt(44)
	v_fmac_f64_e32 v[168:169], v[160:161], v[104:105]
	v_add_f64 v[2:3], v[2:3], v[4:5]
	v_mul_f64 v[4:5], v[124:125], v[66:67]
	v_add_f64 v[170:171], v[166:167], v[168:169]
	ds_read_b128 v[166:169], v1 offset:1360
	s_waitcnt lgkmcnt(1)
	v_mul_f64 v[172:173], v[162:163], v[98:99]
	v_fma_f64 v[4:5], v[122:123], v[68:69], -v[4:5]
	v_fmac_f64_e32 v[172:173], v[164:165], v[100:101]
	v_add_f64 v[2:3], v[2:3], v[4:5]
	v_mul_f64 v[4:5], v[136:137], v[78:79]
	v_add_f64 v[174:175], v[170:171], v[172:173]
	ds_read_b128 v[170:173], v1 offset:1376
	v_fma_f64 v[4:5], v[134:135], v[80:81], -v[4:5]
	v_add_f64 v[2:3], v[2:3], v[4:5]
	v_mul_f64 v[4:5], v[140:141], v[74:75]
	v_fma_f64 v[4:5], v[138:139], v[76:77], -v[4:5]
	s_waitcnt vmcnt(38) lgkmcnt(1)
	v_mul_f64 v[176:177], v[166:167], v[110:111]
	v_add_f64 v[2:3], v[2:3], v[4:5]
	v_mul_f64 v[4:5], v[144:145], v[86:87]
	s_waitcnt vmcnt(36)
	v_fmac_f64_e32 v[176:177], v[168:169], v[112:113]
	v_fma_f64 v[4:5], v[142:143], v[88:89], -v[4:5]
	v_add_f64 v[178:179], v[174:175], v[176:177]
	ds_read_b128 v[174:177], v1 offset:1392
	s_waitcnt lgkmcnt(1)
	v_mul_f64 v[180:181], v[170:171], v[106:107]
	v_add_f64 v[2:3], v[2:3], v[4:5]
	v_mul_f64 v[4:5], v[148:149], v[82:83]
	v_fmac_f64_e32 v[180:181], v[172:173], v[108:109]
	v_fma_f64 v[4:5], v[146:147], v[84:85], -v[4:5]
	v_add_f64 v[182:183], v[178:179], v[180:181]
	ds_read_b128 v[178:181], v1 offset:1408
	v_add_f64 v[2:3], v[2:3], v[4:5]
	v_mul_f64 v[4:5], v[152:153], v[94:95]
	v_fma_f64 v[4:5], v[150:151], v[96:97], -v[4:5]
	v_add_f64 v[2:3], v[2:3], v[4:5]
	v_mul_f64 v[4:5], v[156:157], v[90:91]
	s_waitcnt vmcnt(30) lgkmcnt(1)
	v_mul_f64 v[184:185], v[174:175], v[118:119]
	v_fma_f64 v[4:5], v[154:155], v[92:93], -v[4:5]
	s_waitcnt vmcnt(28)
	v_fmac_f64_e32 v[184:185], v[176:177], v[120:121]
	v_add_f64 v[2:3], v[2:3], v[4:5]
	v_mul_f64 v[4:5], v[160:161], v[102:103]
	v_add_f64 v[186:187], v[182:183], v[184:185]
	ds_read_b128 v[182:185], v1 offset:1424
	s_waitcnt lgkmcnt(1)
	v_mul_f64 v[188:189], v[178:179], v[114:115]
	v_fma_f64 v[4:5], v[158:159], v[104:105], -v[4:5]
	v_fmac_f64_e32 v[188:189], v[180:181], v[116:117]
	v_add_f64 v[2:3], v[2:3], v[4:5]
	v_mul_f64 v[4:5], v[164:165], v[98:99]
	v_add_f64 v[190:191], v[186:187], v[188:189]
	ds_read_b128 v[186:189], v1 offset:1440
	v_fma_f64 v[4:5], v[162:163], v[100:101], -v[4:5]
	v_add_f64 v[2:3], v[2:3], v[4:5]
	v_mul_f64 v[4:5], v[168:169], v[110:111]
	v_fma_f64 v[4:5], v[166:167], v[112:113], -v[4:5]
	s_waitcnt vmcnt(22) lgkmcnt(1)
	v_mul_f64 v[192:193], v[182:183], v[130:131]
	v_add_f64 v[2:3], v[2:3], v[4:5]
	v_mul_f64 v[4:5], v[172:173], v[106:107]
	s_waitcnt vmcnt(20)
	v_fmac_f64_e32 v[192:193], v[184:185], v[132:133]
	v_fma_f64 v[4:5], v[170:171], v[108:109], -v[4:5]
	v_add_f64 v[198:199], v[190:191], v[192:193]
	ds_read_b128 v[190:193], v1 offset:1456
	s_waitcnt lgkmcnt(1)
	v_mul_f64 v[200:201], v[186:187], v[126:127]
	v_add_f64 v[2:3], v[2:3], v[4:5]
	v_mul_f64 v[4:5], v[176:177], v[118:119]
	v_fmac_f64_e32 v[200:201], v[188:189], v[128:129]
	v_fma_f64 v[4:5], v[174:175], v[120:121], -v[4:5]
	v_add_f64 v[202:203], v[198:199], v[200:201]
	ds_read_b128 v[198:201], v1 offset:1472
	v_add_f64 v[2:3], v[2:3], v[4:5]
	v_mul_f64 v[4:5], v[180:181], v[114:115]
	v_fma_f64 v[4:5], v[178:179], v[116:117], -v[4:5]
	v_add_f64 v[2:3], v[2:3], v[4:5]
	v_mul_f64 v[4:5], v[184:185], v[130:131]
	s_waitcnt vmcnt(14) lgkmcnt(1)
	v_mul_f64 v[204:205], v[190:191], v[206:207]
	v_fma_f64 v[4:5], v[182:183], v[132:133], -v[4:5]
	s_waitcnt vmcnt(12)
	v_fmac_f64_e32 v[204:205], v[192:193], v[208:209]
	v_add_f64 v[2:3], v[2:3], v[4:5]
	v_mul_f64 v[4:5], v[188:189], v[126:127]
	v_add_f64 v[214:215], v[202:203], v[204:205]
	ds_read_b128 v[202:205], v1 offset:1488
	s_waitcnt lgkmcnt(1)
	v_mul_f64 v[216:217], v[198:199], v[194:195]
	v_fma_f64 v[4:5], v[186:187], v[128:129], -v[4:5]
	v_fmac_f64_e32 v[216:217], v[200:201], v[196:197]
	v_add_f64 v[2:3], v[2:3], v[4:5]
	v_mul_f64 v[4:5], v[192:193], v[206:207]
	v_add_f64 v[230:231], v[214:215], v[216:217]
	ds_read_b128 v[214:217], v1 offset:1504
	v_fma_f64 v[4:5], v[190:191], v[208:209], -v[4:5]
	v_add_f64 v[2:3], v[2:3], v[4:5]
	v_mul_f64 v[4:5], v[200:201], v[194:195]
	ds_read_b128 v[218:221], v1 offset:1520
	v_fma_f64 v[4:5], v[198:199], v[196:197], -v[4:5]
	v_add_f64 v[2:3], v[2:3], v[4:5]
	s_waitcnt vmcnt(6) lgkmcnt(2)
	v_mul_f64 v[4:5], v[204:205], v[222:223]
	v_mul_f64 v[232:233], v[202:203], v[222:223]
	s_waitcnt vmcnt(4)
	v_fma_f64 v[4:5], v[202:203], v[224:225], -v[4:5]
	v_fmac_f64_e32 v[232:233], v[204:205], v[224:225]
	v_add_f64 v[2:3], v[2:3], v[4:5]
	s_waitcnt lgkmcnt(1)
	v_mul_f64 v[4:5], v[216:217], v[210:211]
	v_add_f64 v[230:231], v[230:231], v[232:233]
	v_mul_f64 v[232:233], v[214:215], v[210:211]
	v_fma_f64 v[4:5], v[214:215], v[212:213], -v[4:5]
	v_fmac_f64_e32 v[232:233], v[216:217], v[212:213]
	v_add_f64 v[2:3], v[2:3], v[4:5]
	s_waitcnt vmcnt(2) lgkmcnt(0)
	v_mul_f64 v[4:5], v[220:221], v[226:227]
	v_add_f64 v[230:231], v[230:231], v[232:233]
	v_mul_f64 v[232:233], v[218:219], v[226:227]
	s_waitcnt vmcnt(0)
	v_fma_f64 v[4:5], v[218:219], v[228:229], -v[4:5]
	v_fmac_f64_e32 v[232:233], v[220:221], v[228:229]
	v_add_f64 v[2:3], v[2:3], v[4:5]
	v_add_f64 v[230:231], v[230:231], v[232:233]
	v_add_f64 v[2:3], v[46:47], -v[2:3]
	v_add_f64 v[4:5], v[44:45], -v[230:231]
	buffer_store_dword v3, off, s[0:3], 0 offset:324
	buffer_store_dword v2, off, s[0:3], 0 offset:320
	;; [unrolled: 1-line block ×4, first 2 shown]
	s_and_saveexec_b64 s[4:5], vcc
	s_cbranch_execz .LBB111_265
; %bb.264:
	v_accvgpr_read_b32 v0, a125
	buffer_load_dword v2, v0, s[0:3], 0 offen
	buffer_load_dword v3, v0, s[0:3], 0 offen offset:4
	buffer_load_dword v4, v0, s[0:3], 0 offen offset:8
	;; [unrolled: 1-line block ×3, first 2 shown]
	v_mov_b32_e32 v0, 0
	v_accvgpr_read_b32 v1, a144
	buffer_store_dword v0, off, s[0:3], 0 offset:304
	buffer_store_dword v0, off, s[0:3], 0 offset:308
	;; [unrolled: 1-line block ×4, first 2 shown]
	s_waitcnt vmcnt(4)
	ds_write_b128 v1, v[2:5]
.LBB111_265:
	s_or_b64 exec, exec, s[4:5]
	s_waitcnt lgkmcnt(0)
	; wave barrier
	s_waitcnt lgkmcnt(0)
	buffer_load_dword v38, off, s[0:3], 0 offset:320
	buffer_load_dword v39, off, s[0:3], 0 offset:324
	;; [unrolled: 1-line block ×48, first 2 shown]
	v_mov_b32_e32 v1, 0
	ds_read_b128 v[34:37], v1 offset:1072
	ds_read_b128 v[30:33], v1 offset:1088
	;; [unrolled: 1-line block ×9, first 2 shown]
	v_cmp_lt_u32_e32 vcc, 17, v254
	s_waitcnt vmcnt(44) lgkmcnt(8)
	v_mul_f64 v[86:87], v[34:35], v[42:43]
	v_fmac_f64_e32 v[86:87], v[36:37], v[38:39]
	v_add_f64 v[86:87], v[86:87], 0
	v_mul_f64 v[36:37], v[36:37], v[42:43]
	s_waitcnt vmcnt(40) lgkmcnt(7)
	v_mul_f64 v[88:89], v[30:31], v[44:45]
	v_fmac_f64_e32 v[88:89], v[32:33], v[40:41]
	s_waitcnt vmcnt(38) lgkmcnt(6)
	v_mul_f64 v[90:91], v[26:27], v[46:47]
	v_add_f64 v[86:87], v[86:87], v[88:89]
	s_waitcnt vmcnt(36) lgkmcnt(4)
	v_mul_f64 v[94:95], v[18:19], v[48:49]
	v_fma_f64 v[34:35], v[34:35], v[38:39], -v[36:37]
	s_waitcnt vmcnt(34)
	v_fmac_f64_e32 v[94:95], v[20:21], v[50:51]
	v_mul_f64 v[32:33], v[32:33], v[44:45]
	s_waitcnt vmcnt(32)
	v_mul_f64 v[92:93], v[22:23], v[52:53]
	v_add_f64 v[34:35], v[34:35], 0
	s_waitcnt vmcnt(30) lgkmcnt(2)
	v_mul_f64 v[98:99], v[10:11], v[54:55]
	v_fma_f64 v[30:31], v[30:31], v[40:41], -v[32:33]
	s_waitcnt vmcnt(28)
	v_fmac_f64_e32 v[98:99], v[12:13], v[56:57]
	v_add_f64 v[30:31], v[34:35], v[30:31]
	s_waitcnt vmcnt(26)
	v_mul_f64 v[96:97], v[14:15], v[58:59]
	v_mul_f64 v[20:21], v[20:21], v[48:49]
	v_fma_f64 v[18:19], v[18:19], v[50:51], -v[20:21]
	v_mul_f64 v[12:13], v[12:13], v[54:55]
	s_waitcnt vmcnt(22) lgkmcnt(1)
	v_mul_f64 v[110:111], v[6:7], v[68:69]
	v_fma_f64 v[10:11], v[10:11], v[56:57], -v[12:13]
	s_waitcnt vmcnt(20)
	v_fmac_f64_e32 v[90:91], v[28:29], v[76:77]
	v_add_f64 v[86:87], v[86:87], v[90:91]
	s_waitcnt vmcnt(18)
	v_fmac_f64_e32 v[92:93], v[24:25], v[74:75]
	v_add_f64 v[86:87], v[86:87], v[92:93]
	;; [unrolled: 3-line block ×3, first 2 shown]
	v_add_f64 v[86:87], v[86:87], v[96:97]
	v_add_f64 v[112:113], v[86:87], v[98:99]
	buffer_load_dword v87, off, s[0:3], 0 offset:524
	buffer_load_dword v86, off, s[0:3], 0 offset:520
	buffer_load_dword v89, off, s[0:3], 0 offset:516
	buffer_load_dword v88, off, s[0:3], 0 offset:512
	buffer_load_dword v91, off, s[0:3], 0 offset:508
	buffer_load_dword v90, off, s[0:3], 0 offset:504
	buffer_load_dword v93, off, s[0:3], 0 offset:500
	buffer_load_dword v92, off, s[0:3], 0 offset:496
	buffer_load_dword v95, off, s[0:3], 0 offset:556
	buffer_load_dword v94, off, s[0:3], 0 offset:552
	buffer_load_dword v97, off, s[0:3], 0 offset:548
	buffer_load_dword v96, off, s[0:3], 0 offset:544
	buffer_load_dword v99, off, s[0:3], 0 offset:540
	buffer_load_dword v98, off, s[0:3], 0 offset:536
	buffer_load_dword v101, off, s[0:3], 0 offset:532
	buffer_load_dword v100, off, s[0:3], 0 offset:528
	buffer_load_dword v103, off, s[0:3], 0 offset:588
	buffer_load_dword v102, off, s[0:3], 0 offset:584
	buffer_load_dword v105, off, s[0:3], 0 offset:580
	buffer_load_dword v104, off, s[0:3], 0 offset:576
	buffer_load_dword v107, off, s[0:3], 0 offset:572
	buffer_load_dword v106, off, s[0:3], 0 offset:568
	buffer_load_dword v109, off, s[0:3], 0 offset:564
	buffer_load_dword v108, off, s[0:3], 0 offset:560
	buffer_load_dword v115, off, s[0:3], 0 offset:620
	buffer_load_dword v114, off, s[0:3], 0 offset:616
	buffer_load_dword v117, off, s[0:3], 0 offset:612
	buffer_load_dword v116, off, s[0:3], 0 offset:608
	buffer_load_dword v119, off, s[0:3], 0 offset:604
	buffer_load_dword v118, off, s[0:3], 0 offset:600
	buffer_load_dword v121, off, s[0:3], 0 offset:596
	buffer_load_dword v120, off, s[0:3], 0 offset:592
	buffer_load_dword v123, off, s[0:3], 0 offset:652
	buffer_load_dword v122, off, s[0:3], 0 offset:648
	buffer_load_dword v125, off, s[0:3], 0 offset:644
	buffer_load_dword v124, off, s[0:3], 0 offset:640
	buffer_load_dword v127, off, s[0:3], 0 offset:636
	buffer_load_dword v126, off, s[0:3], 0 offset:632
	buffer_load_dword v129, off, s[0:3], 0 offset:628
	buffer_load_dword v128, off, s[0:3], 0 offset:624
	buffer_load_dword v131, off, s[0:3], 0 offset:684
	buffer_load_dword v130, off, s[0:3], 0 offset:680
	buffer_load_dword v133, off, s[0:3], 0 offset:676
	buffer_load_dword v132, off, s[0:3], 0 offset:672
	buffer_load_dword v135, off, s[0:3], 0 offset:668
	buffer_load_dword v134, off, s[0:3], 0 offset:664
	buffer_load_dword v137, off, s[0:3], 0 offset:660
	buffer_load_dword v136, off, s[0:3], 0 offset:656
	buffer_load_dword v139, off, s[0:3], 0 offset:716
	buffer_load_dword v138, off, s[0:3], 0 offset:712
	buffer_load_dword v141, off, s[0:3], 0 offset:708
	buffer_load_dword v140, off, s[0:3], 0 offset:704
	buffer_load_dword v195, off, s[0:3], 0 offset:700
	buffer_load_dword v194, off, s[0:3], 0 offset:696
	buffer_load_dword v197, off, s[0:3], 0 offset:692
	buffer_load_dword v196, off, s[0:3], 0 offset:688
	buffer_load_dword v207, off, s[0:3], 0 offset:748
	buffer_load_dword v206, off, s[0:3], 0 offset:744
	buffer_load_dword v209, off, s[0:3], 0 offset:740
	buffer_load_dword v208, off, s[0:3], 0 offset:736
	buffer_load_dword v211, off, s[0:3], 0 offset:732
	buffer_load_dword v210, off, s[0:3], 0 offset:728
	buffer_load_dword v213, off, s[0:3], 0 offset:724
	buffer_load_dword v212, off, s[0:3], 0 offset:720
	buffer_load_dword v231, off, s[0:3], 0 offset:780
	buffer_load_dword v230, off, s[0:3], 0 offset:776
	buffer_load_dword v233, off, s[0:3], 0 offset:772
	buffer_load_dword v232, off, s[0:3], 0 offset:768
	buffer_load_dword v235, off, s[0:3], 0 offset:764
	buffer_load_dword v234, off, s[0:3], 0 offset:760
	buffer_load_dword v237, off, s[0:3], 0 offset:756
	buffer_load_dword v236, off, s[0:3], 0 offset:752
	s_waitcnt vmcnt(62)
	v_fmac_f64_e32 v[110:111], v[8:9], v[70:71]
	v_add_f64 v[142:143], v[112:113], v[110:111]
	ds_read_b128 v[110:113], v1 offset:1216
	s_waitcnt lgkmcnt(1)
	v_mul_f64 v[144:145], v[2:3], v[64:65]
	v_fmac_f64_e32 v[144:145], v[4:5], v[66:67]
	v_add_f64 v[146:147], v[142:143], v[144:145]
	ds_read_b128 v[142:145], v1 offset:1232
	s_waitcnt lgkmcnt(1)
	v_mul_f64 v[148:149], v[110:111], v[82:83]
	;; [unrolled: 5-line block ×5, first 2 shown]
	v_fmac_f64_e32 v[160:161], v[152:153], v[88:89]
	v_add_f64 v[162:163], v[158:159], v[160:161]
	ds_read_b128 v[158:161], v1 offset:1296
	s_waitcnt vmcnt(58) lgkmcnt(1)
	v_mul_f64 v[164:165], v[154:155], v[98:99]
	s_waitcnt vmcnt(56)
	v_fmac_f64_e32 v[164:165], v[156:157], v[100:101]
	v_add_f64 v[166:167], v[162:163], v[164:165]
	ds_read_b128 v[162:165], v1 offset:1312
	s_waitcnt lgkmcnt(1)
	v_mul_f64 v[168:169], v[158:159], v[94:95]
	v_fmac_f64_e32 v[168:169], v[160:161], v[96:97]
	v_mul_f64 v[28:29], v[28:29], v[46:47]
	v_add_f64 v[170:171], v[166:167], v[168:169]
	ds_read_b128 v[166:169], v1 offset:1328
	s_waitcnt vmcnt(50) lgkmcnt(1)
	v_mul_f64 v[172:173], v[162:163], v[106:107]
	v_fma_f64 v[26:27], v[26:27], v[76:77], -v[28:29]
	v_mul_f64 v[24:25], v[24:25], v[52:53]
	s_waitcnt vmcnt(48)
	v_fmac_f64_e32 v[172:173], v[164:165], v[108:109]
	v_add_f64 v[26:27], v[30:31], v[26:27]
	v_fma_f64 v[22:23], v[22:23], v[74:75], -v[24:25]
	v_add_f64 v[174:175], v[170:171], v[172:173]
	ds_read_b128 v[170:173], v1 offset:1344
	v_add_f64 v[22:23], v[26:27], v[22:23]
	v_mul_f64 v[16:17], v[16:17], v[58:59]
	v_add_f64 v[18:19], v[22:23], v[18:19]
	v_fma_f64 v[14:15], v[14:15], v[72:73], -v[16:17]
	v_add_f64 v[14:15], v[18:19], v[14:15]
	v_mul_f64 v[8:9], v[8:9], v[68:69]
	s_waitcnt lgkmcnt(1)
	v_mul_f64 v[176:177], v[166:167], v[102:103]
	v_add_f64 v[10:11], v[14:15], v[10:11]
	v_fma_f64 v[6:7], v[6:7], v[70:71], -v[8:9]
	v_mul_f64 v[4:5], v[4:5], v[64:65]
	v_fmac_f64_e32 v[176:177], v[168:169], v[104:105]
	v_add_f64 v[6:7], v[10:11], v[6:7]
	v_fma_f64 v[2:3], v[2:3], v[66:67], -v[4:5]
	v_mul_f64 v[4:5], v[112:113], v[82:83]
	v_add_f64 v[178:179], v[174:175], v[176:177]
	ds_read_b128 v[174:177], v1 offset:1360
	s_waitcnt vmcnt(42) lgkmcnt(1)
	v_mul_f64 v[180:181], v[170:171], v[118:119]
	v_add_f64 v[2:3], v[6:7], v[2:3]
	v_fma_f64 v[4:5], v[110:111], v[84:85], -v[4:5]
	s_waitcnt vmcnt(40)
	v_fmac_f64_e32 v[180:181], v[172:173], v[120:121]
	v_add_f64 v[2:3], v[2:3], v[4:5]
	v_mul_f64 v[4:5], v[144:145], v[78:79]
	v_add_f64 v[182:183], v[178:179], v[180:181]
	ds_read_b128 v[178:181], v1 offset:1376
	v_fma_f64 v[4:5], v[142:143], v[80:81], -v[4:5]
	v_add_f64 v[2:3], v[2:3], v[4:5]
	v_mul_f64 v[4:5], v[148:149], v[90:91]
	v_fma_f64 v[4:5], v[146:147], v[92:93], -v[4:5]
	s_waitcnt lgkmcnt(1)
	v_mul_f64 v[184:185], v[174:175], v[114:115]
	v_add_f64 v[2:3], v[2:3], v[4:5]
	v_mul_f64 v[4:5], v[152:153], v[86:87]
	v_fmac_f64_e32 v[184:185], v[176:177], v[116:117]
	v_fma_f64 v[4:5], v[150:151], v[88:89], -v[4:5]
	v_add_f64 v[186:187], v[182:183], v[184:185]
	ds_read_b128 v[182:185], v1 offset:1392
	s_waitcnt vmcnt(34) lgkmcnt(1)
	v_mul_f64 v[188:189], v[178:179], v[126:127]
	v_add_f64 v[2:3], v[2:3], v[4:5]
	v_mul_f64 v[4:5], v[156:157], v[98:99]
	s_waitcnt vmcnt(32)
	v_fmac_f64_e32 v[188:189], v[180:181], v[128:129]
	v_fma_f64 v[4:5], v[154:155], v[100:101], -v[4:5]
	v_add_f64 v[190:191], v[186:187], v[188:189]
	ds_read_b128 v[186:189], v1 offset:1408
	v_add_f64 v[2:3], v[2:3], v[4:5]
	v_mul_f64 v[4:5], v[160:161], v[94:95]
	v_fma_f64 v[4:5], v[158:159], v[96:97], -v[4:5]
	v_add_f64 v[2:3], v[2:3], v[4:5]
	v_mul_f64 v[4:5], v[164:165], v[106:107]
	s_waitcnt lgkmcnt(1)
	v_mul_f64 v[192:193], v[182:183], v[122:123]
	v_fma_f64 v[4:5], v[162:163], v[108:109], -v[4:5]
	v_fmac_f64_e32 v[192:193], v[184:185], v[124:125]
	v_add_f64 v[2:3], v[2:3], v[4:5]
	v_mul_f64 v[4:5], v[168:169], v[102:103]
	v_add_f64 v[198:199], v[190:191], v[192:193]
	ds_read_b128 v[190:193], v1 offset:1424
	s_waitcnt vmcnt(26) lgkmcnt(1)
	v_mul_f64 v[200:201], v[186:187], v[134:135]
	v_fma_f64 v[4:5], v[166:167], v[104:105], -v[4:5]
	s_waitcnt vmcnt(24)
	v_fmac_f64_e32 v[200:201], v[188:189], v[136:137]
	v_add_f64 v[2:3], v[2:3], v[4:5]
	v_mul_f64 v[4:5], v[172:173], v[118:119]
	v_add_f64 v[202:203], v[198:199], v[200:201]
	ds_read_b128 v[198:201], v1 offset:1440
	v_fma_f64 v[4:5], v[170:171], v[120:121], -v[4:5]
	v_add_f64 v[2:3], v[2:3], v[4:5]
	v_mul_f64 v[4:5], v[176:177], v[114:115]
	v_fma_f64 v[4:5], v[174:175], v[116:117], -v[4:5]
	s_waitcnt lgkmcnt(1)
	v_mul_f64 v[204:205], v[190:191], v[130:131]
	v_add_f64 v[2:3], v[2:3], v[4:5]
	v_mul_f64 v[4:5], v[180:181], v[126:127]
	v_fmac_f64_e32 v[204:205], v[192:193], v[132:133]
	v_fma_f64 v[4:5], v[178:179], v[128:129], -v[4:5]
	v_add_f64 v[214:215], v[202:203], v[204:205]
	ds_read_b128 v[202:205], v1 offset:1456
	s_waitcnt vmcnt(18) lgkmcnt(1)
	v_mul_f64 v[216:217], v[198:199], v[194:195]
	v_add_f64 v[2:3], v[2:3], v[4:5]
	v_mul_f64 v[4:5], v[184:185], v[122:123]
	s_waitcnt vmcnt(16)
	v_fmac_f64_e32 v[216:217], v[200:201], v[196:197]
	v_fma_f64 v[4:5], v[182:183], v[124:125], -v[4:5]
	v_add_f64 v[218:219], v[214:215], v[216:217]
	ds_read_b128 v[214:217], v1 offset:1472
	v_add_f64 v[2:3], v[2:3], v[4:5]
	v_mul_f64 v[4:5], v[188:189], v[134:135]
	v_fma_f64 v[4:5], v[186:187], v[136:137], -v[4:5]
	v_add_f64 v[2:3], v[2:3], v[4:5]
	v_mul_f64 v[4:5], v[192:193], v[130:131]
	s_waitcnt lgkmcnt(1)
	v_mul_f64 v[220:221], v[202:203], v[138:139]
	v_fma_f64 v[4:5], v[190:191], v[132:133], -v[4:5]
	v_fmac_f64_e32 v[220:221], v[204:205], v[140:141]
	v_add_f64 v[2:3], v[2:3], v[4:5]
	v_mul_f64 v[4:5], v[200:201], v[194:195]
	v_add_f64 v[222:223], v[218:219], v[220:221]
	ds_read_b128 v[218:221], v1 offset:1488
	s_waitcnt vmcnt(10) lgkmcnt(1)
	v_mul_f64 v[224:225], v[214:215], v[210:211]
	v_fma_f64 v[4:5], v[198:199], v[196:197], -v[4:5]
	s_waitcnt vmcnt(8)
	v_fmac_f64_e32 v[224:225], v[216:217], v[212:213]
	v_add_f64 v[2:3], v[2:3], v[4:5]
	v_mul_f64 v[4:5], v[204:205], v[138:139]
	v_add_f64 v[238:239], v[222:223], v[224:225]
	ds_read_b128 v[222:225], v1 offset:1504
	ds_read_b128 v[226:229], v1 offset:1520
	v_fma_f64 v[4:5], v[202:203], v[140:141], -v[4:5]
	v_add_f64 v[2:3], v[2:3], v[4:5]
	v_mul_f64 v[4:5], v[216:217], v[210:211]
	v_fma_f64 v[4:5], v[214:215], v[212:213], -v[4:5]
	v_add_f64 v[2:3], v[2:3], v[4:5]
	s_waitcnt lgkmcnt(2)
	v_mul_f64 v[4:5], v[220:221], v[206:207]
	v_mul_f64 v[240:241], v[218:219], v[206:207]
	v_fma_f64 v[4:5], v[218:219], v[208:209], -v[4:5]
	v_fmac_f64_e32 v[240:241], v[220:221], v[208:209]
	v_add_f64 v[2:3], v[2:3], v[4:5]
	s_waitcnt vmcnt(2) lgkmcnt(1)
	v_mul_f64 v[4:5], v[224:225], v[234:235]
	v_add_f64 v[238:239], v[238:239], v[240:241]
	v_mul_f64 v[240:241], v[222:223], v[234:235]
	s_waitcnt vmcnt(0)
	v_fma_f64 v[4:5], v[222:223], v[236:237], -v[4:5]
	v_fmac_f64_e32 v[240:241], v[224:225], v[236:237]
	v_add_f64 v[2:3], v[2:3], v[4:5]
	s_waitcnt lgkmcnt(0)
	v_mul_f64 v[4:5], v[228:229], v[230:231]
	v_add_f64 v[238:239], v[238:239], v[240:241]
	v_mul_f64 v[240:241], v[226:227], v[230:231]
	v_fma_f64 v[4:5], v[226:227], v[232:233], -v[4:5]
	v_fmac_f64_e32 v[240:241], v[228:229], v[232:233]
	v_add_f64 v[2:3], v[2:3], v[4:5]
	v_add_f64 v[238:239], v[238:239], v[240:241]
	v_add_f64 v[2:3], v[62:63], -v[2:3]
	v_add_f64 v[4:5], v[60:61], -v[238:239]
	buffer_store_dword v3, off, s[0:3], 0 offset:308
	buffer_store_dword v2, off, s[0:3], 0 offset:304
	;; [unrolled: 1-line block ×4, first 2 shown]
	s_and_saveexec_b64 s[4:5], vcc
	s_cbranch_execz .LBB111_267
; %bb.266:
	v_accvgpr_read_b32 v0, a126
	buffer_load_dword v2, v0, s[0:3], 0 offen
	buffer_load_dword v3, v0, s[0:3], 0 offen offset:4
	buffer_load_dword v4, v0, s[0:3], 0 offen offset:8
	;; [unrolled: 1-line block ×3, first 2 shown]
	v_accvgpr_read_b32 v0, a144
	buffer_store_dword v1, off, s[0:3], 0 offset:288
	buffer_store_dword v1, off, s[0:3], 0 offset:292
	;; [unrolled: 1-line block ×4, first 2 shown]
	s_waitcnt vmcnt(4)
	ds_write_b128 v0, v[2:5]
.LBB111_267:
	s_or_b64 exec, exec, s[4:5]
	s_waitcnt lgkmcnt(0)
	; wave barrier
	s_waitcnt lgkmcnt(0)
	buffer_load_dword v48, off, s[0:3], 0 offset:304
	buffer_load_dword v49, off, s[0:3], 0 offset:308
	;; [unrolled: 1-line block ×40, first 2 shown]
	ds_read_b128 v[38:41], v1 offset:1056
	ds_read_b128 v[34:37], v1 offset:1072
	;; [unrolled: 1-line block ×10, first 2 shown]
	buffer_load_dword v83, off, s[0:3], 0 offset:476
	buffer_load_dword v82, off, s[0:3], 0 offset:472
	buffer_load_dword v85, off, s[0:3], 0 offset:468
	buffer_load_dword v84, off, s[0:3], 0 offset:464
	buffer_load_dword v87, off, s[0:3], 0 offset:460
	buffer_load_dword v86, off, s[0:3], 0 offset:456
	buffer_load_dword v89, off, s[0:3], 0 offset:452
	buffer_load_dword v88, off, s[0:3], 0 offset:448
	v_cmp_lt_u32_e32 vcc, 16, v254
	s_waitcnt vmcnt(44) lgkmcnt(9)
	v_mul_f64 v[90:91], v[38:39], v[50:51]
	v_fmac_f64_e32 v[90:91], v[40:41], v[48:49]
	v_add_f64 v[90:91], v[90:91], 0
	v_mul_f64 v[40:41], v[40:41], v[50:51]
	s_waitcnt vmcnt(40) lgkmcnt(8)
	v_mul_f64 v[92:93], v[34:35], v[44:45]
	v_fmac_f64_e32 v[92:93], v[36:37], v[42:43]
	s_waitcnt vmcnt(38) lgkmcnt(7)
	v_mul_f64 v[94:95], v[30:31], v[46:47]
	v_add_f64 v[90:91], v[90:91], v[92:93]
	s_waitcnt vmcnt(36) lgkmcnt(5)
	v_mul_f64 v[98:99], v[22:23], v[52:53]
	v_mul_f64 v[36:37], v[36:37], v[44:45]
	s_waitcnt vmcnt(34)
	v_fmac_f64_e32 v[98:99], v[24:25], v[54:55]
	v_fma_f64 v[34:35], v[34:35], v[42:43], -v[36:37]
	s_waitcnt vmcnt(32)
	v_mul_f64 v[96:97], v[26:27], v[56:57]
	v_mul_f64 v[24:25], v[24:25], v[52:53]
	s_waitcnt vmcnt(30) lgkmcnt(4)
	v_mul_f64 v[100:101], v[18:19], v[62:63]
	v_fma_f64 v[22:23], v[22:23], v[54:55], -v[24:25]
	s_waitcnt vmcnt(28) lgkmcnt(1)
	v_mul_f64 v[122:123], v[2:3], v[64:65]
	s_waitcnt vmcnt(25)
	v_mul_f64 v[104:105], v[6:7], v[68:69]
	s_waitcnt vmcnt(23)
	v_mul_f64 v[102:103], v[10:11], v[70:71]
	s_waitcnt vmcnt(21)
	v_fmac_f64_e32 v[102:103], v[12:13], v[72:73]
	v_mul_f64 v[12:13], v[12:13], v[70:71]
	s_waitcnt vmcnt(19)
	v_fmac_f64_e32 v[94:95], v[32:33], v[80:81]
	v_add_f64 v[90:91], v[90:91], v[94:95]
	s_waitcnt vmcnt(17)
	v_fmac_f64_e32 v[96:97], v[28:29], v[78:79]
	v_add_f64 v[90:91], v[90:91], v[96:97]
	;; [unrolled: 3-line block ×3, first 2 shown]
	v_add_f64 v[90:91], v[90:91], v[100:101]
	s_waitcnt vmcnt(13)
	v_fmac_f64_e32 v[104:105], v[8:9], v[74:75]
	v_add_f64 v[90:91], v[90:91], v[102:103]
	v_add_f64 v[124:125], v[90:91], v[104:105]
	buffer_load_dword v91, off, s[0:3], 0 offset:508
	buffer_load_dword v90, off, s[0:3], 0 offset:504
	;; [unrolled: 1-line block ×72, first 2 shown]
	s_waitcnt vmcnt(62)
	v_fmac_f64_e32 v[122:123], v[4:5], v[66:67]
	v_add_f64 v[150:151], v[124:125], v[122:123]
	ds_read_b128 v[122:125], v1 offset:1216
	s_waitcnt lgkmcnt(1)
	v_mul_f64 v[152:153], v[14:15], v[86:87]
	v_fmac_f64_e32 v[152:153], v[16:17], v[88:89]
	buffer_load_dword v235, off, s[0:3], 0 offset:780
	buffer_load_dword v234, off, s[0:3], 0 offset:776
	;; [unrolled: 1-line block ×4, first 2 shown]
	v_add_f64 v[154:155], v[150:151], v[152:153]
	s_waitcnt lgkmcnt(0)
	v_mul_f64 v[156:157], v[122:123], v[82:83]
	ds_read_b128 v[150:153], v1 offset:1232
	v_fmac_f64_e32 v[156:157], v[124:125], v[84:85]
	v_add_f64 v[158:159], v[154:155], v[156:157]
	ds_read_b128 v[154:157], v1 offset:1248
	v_mul_f64 v[32:33], v[32:33], v[46:47]
	s_waitcnt lgkmcnt(1)
	v_mul_f64 v[160:161], v[150:151], v[94:95]
	v_fma_f64 v[30:31], v[30:31], v[80:81], -v[32:33]
	v_fmac_f64_e32 v[160:161], v[152:153], v[96:97]
	s_waitcnt lgkmcnt(0)
	v_mul_f64 v[164:165], v[154:155], v[90:91]
	v_add_f64 v[162:163], v[158:159], v[160:161]
	ds_read_b128 v[158:161], v1 offset:1264
	v_fmac_f64_e32 v[164:165], v[156:157], v[92:93]
	v_add_f64 v[166:167], v[162:163], v[164:165]
	ds_read_b128 v[162:165], v1 offset:1280
	v_mul_f64 v[28:29], v[28:29], v[56:57]
	s_waitcnt vmcnt(62) lgkmcnt(1)
	v_mul_f64 v[168:169], v[158:159], v[102:103]
	s_waitcnt vmcnt(60)
	v_fmac_f64_e32 v[168:169], v[160:161], v[104:105]
	v_add_f64 v[170:171], v[166:167], v[168:169]
	s_waitcnt lgkmcnt(0)
	v_mul_f64 v[172:173], v[162:163], v[98:99]
	ds_read_b128 v[166:169], v1 offset:1296
	v_fmac_f64_e32 v[172:173], v[164:165], v[100:101]
	v_add_f64 v[174:175], v[170:171], v[172:173]
	ds_read_b128 v[170:173], v1 offset:1312
	v_fma_f64 v[26:27], v[26:27], v[78:79], -v[28:29]
	s_waitcnt vmcnt(54) lgkmcnt(1)
	v_mul_f64 v[176:177], v[166:167], v[110:111]
	s_waitcnt vmcnt(52)
	v_fmac_f64_e32 v[176:177], v[168:169], v[112:113]
	v_add_f64 v[178:179], v[174:175], v[176:177]
	s_waitcnt lgkmcnt(0)
	v_mul_f64 v[180:181], v[170:171], v[106:107]
	ds_read_b128 v[174:177], v1 offset:1328
	v_fmac_f64_e32 v[180:181], v[172:173], v[108:109]
	v_add_f64 v[182:183], v[178:179], v[180:181]
	ds_read_b128 v[178:181], v1 offset:1344
	v_mul_f64 v[20:21], v[20:21], v[62:63]
	s_waitcnt vmcnt(46) lgkmcnt(1)
	v_mul_f64 v[184:185], v[174:175], v[118:119]
	s_waitcnt vmcnt(44)
	v_fmac_f64_e32 v[184:185], v[176:177], v[120:121]
	v_add_f64 v[186:187], v[182:183], v[184:185]
	s_waitcnt lgkmcnt(0)
	v_mul_f64 v[188:189], v[178:179], v[114:115]
	ds_read_b128 v[182:185], v1 offset:1360
	v_fmac_f64_e32 v[188:189], v[180:181], v[116:117]
	v_add_f64 v[190:191], v[186:187], v[188:189]
	ds_read_b128 v[186:189], v1 offset:1376
	v_fma_f64 v[18:19], v[18:19], v[76:77], -v[20:21]
	s_waitcnt vmcnt(38) lgkmcnt(1)
	v_mul_f64 v[192:193], v[182:183], v[130:131]
	s_waitcnt vmcnt(36)
	v_fmac_f64_e32 v[192:193], v[184:185], v[132:133]
	v_add_f64 v[198:199], v[190:191], v[192:193]
	s_waitcnt lgkmcnt(0)
	v_mul_f64 v[200:201], v[186:187], v[126:127]
	ds_read_b128 v[190:193], v1 offset:1392
	v_fmac_f64_e32 v[200:201], v[188:189], v[128:129]
	v_add_f64 v[202:203], v[198:199], v[200:201]
	ds_read_b128 v[198:201], v1 offset:1408
	v_fma_f64 v[10:11], v[10:11], v[72:73], -v[12:13]
	s_waitcnt vmcnt(30) lgkmcnt(1)
	v_mul_f64 v[204:205], v[190:191], v[138:139]
	s_waitcnt vmcnt(28)
	v_fmac_f64_e32 v[204:205], v[192:193], v[140:141]
	v_add_f64 v[214:215], v[202:203], v[204:205]
	s_waitcnt lgkmcnt(0)
	v_mul_f64 v[216:217], v[198:199], v[134:135]
	ds_read_b128 v[202:205], v1 offset:1424
	v_fmac_f64_e32 v[216:217], v[200:201], v[136:137]
	v_add_f64 v[218:219], v[214:215], v[216:217]
	ds_read_b128 v[214:217], v1 offset:1440
	v_mul_f64 v[8:9], v[8:9], v[68:69]
	s_waitcnt vmcnt(22) lgkmcnt(1)
	v_mul_f64 v[220:221], v[202:203], v[146:147]
	s_waitcnt vmcnt(20)
	v_fmac_f64_e32 v[220:221], v[204:205], v[148:149]
	v_add_f64 v[222:223], v[218:219], v[220:221]
	s_waitcnt lgkmcnt(0)
	v_mul_f64 v[224:225], v[214:215], v[142:143]
	ds_read_b128 v[218:221], v1 offset:1456
	v_fmac_f64_e32 v[224:225], v[216:217], v[144:145]
	v_add_f64 v[226:227], v[222:223], v[224:225]
	ds_read_b128 v[222:225], v1 offset:1472
	v_fma_f64 v[6:7], v[6:7], v[74:75], -v[8:9]
	s_waitcnt vmcnt(14) lgkmcnt(1)
	v_mul_f64 v[228:229], v[218:219], v[206:207]
	s_waitcnt vmcnt(12)
	v_fmac_f64_e32 v[228:229], v[220:221], v[208:209]
	v_add_f64 v[238:239], v[226:227], v[228:229]
	s_waitcnt lgkmcnt(0)
	v_mul_f64 v[240:241], v[222:223], v[194:195]
	v_fmac_f64_e32 v[240:241], v[224:225], v[196:197]
	v_add_f64 v[238:239], v[238:239], v[240:241]
	v_fma_f64 v[240:241], v[38:39], v[48:49], -v[40:41]
	v_add_f64 v[240:241], v[240:241], 0
	v_add_f64 v[34:35], v[240:241], v[34:35]
	;; [unrolled: 1-line block ×7, first 2 shown]
	v_mul_f64 v[4:5], v[4:5], v[64:65]
	v_add_f64 v[6:7], v[10:11], v[6:7]
	v_fma_f64 v[2:3], v[2:3], v[66:67], -v[4:5]
	v_mul_f64 v[4:5], v[16:17], v[86:87]
	v_add_f64 v[2:3], v[6:7], v[2:3]
	v_fma_f64 v[4:5], v[14:15], v[88:89], -v[4:5]
	v_add_f64 v[2:3], v[2:3], v[4:5]
	v_mul_f64 v[4:5], v[124:125], v[82:83]
	v_fma_f64 v[4:5], v[122:123], v[84:85], -v[4:5]
	v_add_f64 v[2:3], v[2:3], v[4:5]
	v_mul_f64 v[4:5], v[152:153], v[94:95]
	;; [unrolled: 3-line block ×15, first 2 shown]
	ds_read_b128 v[226:229], v1 offset:1488
	ds_read_b128 v[38:41], v1 offset:1504
	v_fma_f64 v[4:5], v[214:215], v[144:145], -v[4:5]
	v_add_f64 v[2:3], v[2:3], v[4:5]
	v_mul_f64 v[4:5], v[220:221], v[206:207]
	v_fma_f64 v[4:5], v[218:219], v[208:209], -v[4:5]
	v_add_f64 v[2:3], v[2:3], v[4:5]
	v_mul_f64 v[4:5], v[224:225], v[194:195]
	ds_read_b128 v[48:51], v1 offset:1520
	v_fma_f64 v[4:5], v[222:223], v[196:197], -v[4:5]
	v_add_f64 v[2:3], v[2:3], v[4:5]
	s_waitcnt vmcnt(6) lgkmcnt(2)
	v_mul_f64 v[4:5], v[228:229], v[230:231]
	v_mul_f64 v[242:243], v[226:227], v[230:231]
	s_waitcnt vmcnt(4)
	v_fma_f64 v[4:5], v[226:227], v[232:233], -v[4:5]
	v_fmac_f64_e32 v[242:243], v[228:229], v[232:233]
	v_add_f64 v[2:3], v[2:3], v[4:5]
	s_waitcnt lgkmcnt(1)
	v_mul_f64 v[4:5], v[40:41], v[210:211]
	v_add_f64 v[238:239], v[238:239], v[242:243]
	v_mul_f64 v[242:243], v[38:39], v[210:211]
	v_fma_f64 v[4:5], v[38:39], v[212:213], -v[4:5]
	v_fmac_f64_e32 v[242:243], v[40:41], v[212:213]
	v_add_f64 v[2:3], v[2:3], v[4:5]
	s_waitcnt vmcnt(2) lgkmcnt(0)
	v_mul_f64 v[4:5], v[50:51], v[234:235]
	v_add_f64 v[238:239], v[238:239], v[242:243]
	v_mul_f64 v[242:243], v[48:49], v[234:235]
	s_waitcnt vmcnt(0)
	v_fma_f64 v[4:5], v[48:49], v[236:237], -v[4:5]
	v_fmac_f64_e32 v[242:243], v[50:51], v[236:237]
	v_add_f64 v[2:3], v[2:3], v[4:5]
	v_add_f64 v[238:239], v[238:239], v[242:243]
	v_add_f64 v[2:3], v[60:61], -v[2:3]
	v_add_f64 v[4:5], v[58:59], -v[238:239]
	buffer_store_dword v3, off, s[0:3], 0 offset:292
	buffer_store_dword v2, off, s[0:3], 0 offset:288
	;; [unrolled: 1-line block ×4, first 2 shown]
	s_and_saveexec_b64 s[4:5], vcc
	s_cbranch_execz .LBB111_269
; %bb.268:
	v_accvgpr_read_b32 v0, a127
	buffer_load_dword v2, v0, s[0:3], 0 offen
	buffer_load_dword v3, v0, s[0:3], 0 offen offset:4
	buffer_load_dword v4, v0, s[0:3], 0 offen offset:8
	;; [unrolled: 1-line block ×3, first 2 shown]
	v_mov_b32_e32 v0, 0
	v_accvgpr_read_b32 v1, a144
	buffer_store_dword v0, off, s[0:3], 0 offset:272
	buffer_store_dword v0, off, s[0:3], 0 offset:276
	;; [unrolled: 1-line block ×4, first 2 shown]
	s_waitcnt vmcnt(4)
	ds_write_b128 v1, v[2:5]
.LBB111_269:
	s_or_b64 exec, exec, s[4:5]
	s_waitcnt lgkmcnt(0)
	; wave barrier
	s_waitcnt lgkmcnt(0)
	buffer_load_dword v106, off, s[0:3], 0 offset:288
	buffer_load_dword v107, off, s[0:3], 0 offset:292
	;; [unrolled: 1-line block ×49, first 2 shown]
	v_mov_b32_e32 v1, 0
	ds_read_b128 v[110:113], v1 offset:1040
	ds_read_b128 v[250:253], v1 offset:1056
	;; [unrolled: 1-line block ×10, first 2 shown]
	buffer_load_dword v158, off, s[0:3], 0 offset:480
	buffer_load_dword v173, off, s[0:3], 0 offset:476
	;; [unrolled: 1-line block ×69, first 2 shown]
	v_accvgpr_write_b32 a143, v254
	v_cmp_lt_u32_e32 vcc, 15, v254
	s_waitcnt vmcnt(62) lgkmcnt(9)
	v_mul_f64 v[34:35], v[110:111], v[108:109]
	v_fmac_f64_e32 v[34:35], v[112:113], v[106:107]
	v_add_f64 v[34:35], v[34:35], 0
	v_mul_f64 v[108:109], v[112:113], v[108:109]
	s_waitcnt lgkmcnt(8)
	v_mul_f64 v[36:37], v[250:251], v[116:117]
	v_fmac_f64_e32 v[36:37], v[252:253], v[114:115]
	s_waitcnt lgkmcnt(7)
	v_mul_f64 v[38:39], v[30:31], v[118:119]
	v_add_f64 v[34:35], v[34:35], v[36:37]
	s_waitcnt lgkmcnt(5)
	v_mul_f64 v[42:43], v[22:23], v[120:121]
	v_mul_f64 v[116:117], v[252:253], v[116:117]
	v_fmac_f64_e32 v[42:43], v[24:25], v[122:123]
	v_fma_f64 v[248:249], v[110:111], v[106:107], -v[108:109]
	v_mul_f64 v[40:41], v[26:27], v[124:125]
	v_fma_f64 v[250:251], v[250:251], v[114:115], -v[116:117]
	s_waitcnt lgkmcnt(3)
	v_mul_f64 v[46:47], v[14:15], v[126:127]
	v_mul_f64 v[24:25], v[24:25], v[120:121]
	v_fmac_f64_e32 v[46:47], v[16:17], v[128:129]
	v_fma_f64 v[22:23], v[22:23], v[122:123], -v[24:25]
	v_mul_f64 v[44:45], v[18:19], v[130:131]
	v_mul_f64 v[16:17], v[16:17], v[126:127]
	s_waitcnt lgkmcnt(1)
	v_mul_f64 v[50:51], v[6:7], v[132:133]
	v_fma_f64 v[14:15], v[14:15], v[128:129], -v[16:17]
	v_fmac_f64_e32 v[50:51], v[8:9], v[134:135]
	v_mul_f64 v[8:9], v[8:9], v[132:133]
	v_mul_f64 v[48:49], v[10:11], v[140:141]
	v_fma_f64 v[6:7], v[6:7], v[134:135], -v[8:9]
	s_waitcnt lgkmcnt(0)
	v_mul_f64 v[52:53], v[2:3], v[136:137]
	v_fmac_f64_e32 v[38:39], v[32:33], v[152:153]
	v_add_f64 v[34:35], v[34:35], v[38:39]
	v_fmac_f64_e32 v[40:41], v[28:29], v[150:151]
	v_add_f64 v[34:35], v[34:35], v[40:41]
	;; [unrolled: 2-line block ×3, first 2 shown]
	v_add_f64 v[34:35], v[34:35], v[44:45]
	v_fmac_f64_e32 v[48:49], v[12:13], v[146:147]
	v_add_f64 v[34:35], v[34:35], v[46:47]
	v_add_f64 v[34:35], v[34:35], v[48:49]
	v_fmac_f64_e32 v[52:53], v[4:5], v[144:145]
	v_add_f64 v[34:35], v[34:35], v[50:51]
	v_add_f64 v[42:43], v[34:35], v[52:53]
	ds_read_b128 v[38:41], v1 offset:1200
	ds_read_b128 v[34:37], v1 offset:1216
	buffer_load_dword v231, off, s[0:3], 0 offset:780
	buffer_load_dword v230, off, s[0:3], 0 offset:776
	;; [unrolled: 1-line block ×8, first 2 shown]
	ds_read_b128 v[110:113], v1 offset:1488
	ds_read_b128 v[106:109], v1 offset:1504
	s_waitcnt lgkmcnt(3)
	v_mul_f64 v[44:45], v[38:39], v[142:143]
	v_fmac_f64_e32 v[44:45], v[40:41], v[154:155]
	v_add_f64 v[46:47], v[42:43], v[44:45]
	ds_read_b128 v[42:45], v1 offset:1232
	s_waitcnt lgkmcnt(3)
	v_mul_f64 v[48:49], v[34:35], v[172:173]
	v_fmac_f64_e32 v[48:49], v[36:37], v[176:177]
	v_add_f64 v[50:51], v[46:47], v[48:49]
	;; [unrolled: 5-line block ×3, first 2 shown]
	ds_read_b128 v[50:53], v1 offset:1264
	s_waitcnt vmcnt(62) lgkmcnt(1)
	v_mul_f64 v[56:57], v[46:47], v[180:181]
	v_fmac_f64_e32 v[56:57], v[48:49], v[184:185]
	v_add_f64 v[58:59], v[54:55], v[56:57]
	ds_read_b128 v[54:57], v1 offset:1280
	s_waitcnt lgkmcnt(1)
	v_mul_f64 v[60:61], v[50:51], v[160:161]
	v_fmac_f64_e32 v[60:61], v[52:53], v[162:163]
	v_add_f64 v[62:63], v[58:59], v[60:61]
	ds_read_b128 v[58:61], v1 offset:1296
	s_waitcnt vmcnt(58) lgkmcnt(1)
	v_mul_f64 v[64:65], v[54:55], v[188:189]
	s_waitcnt vmcnt(56)
	v_fmac_f64_e32 v[64:65], v[56:57], v[192:193]
	v_add_f64 v[66:67], v[62:63], v[64:65]
	ds_read_b128 v[62:65], v1 offset:1312
	s_waitcnt lgkmcnt(1)
	v_mul_f64 v[68:69], v[58:59], v[164:165]
	v_fmac_f64_e32 v[68:69], v[60:61], v[166:167]
	v_add_f64 v[70:71], v[66:67], v[68:69]
	ds_read_b128 v[66:69], v1 offset:1328
	s_waitcnt vmcnt(50) lgkmcnt(1)
	v_mul_f64 v[72:73], v[62:63], v[198:199]
	s_waitcnt vmcnt(48)
	;; [unrolled: 11-line block ×5, first 2 shown]
	v_fmac_f64_e32 v[96:97], v[88:89], v[228:229]
	v_add_f64 v[98:99], v[94:95], v[96:97]
	ds_read_b128 v[94:97], v1 offset:1440
	s_waitcnt lgkmcnt(1)
	v_mul_f64 v[100:101], v[90:91], v[190:191]
	v_fmac_f64_e32 v[100:101], v[92:93], v[194:195]
	v_add_f64 v[196:197], v[98:99], v[100:101]
	ds_read_b128 v[98:101], v1 offset:1456
	ds_read_b128 v[102:105], v1 offset:1472
	;; [unrolled: 1-line block ×3, first 2 shown]
	buffer_load_dword v252, off, s[0:3], 0 offset:280
	buffer_load_dword v253, off, s[0:3], 0 offset:284
	s_waitcnt vmcnt(20) lgkmcnt(3)
	v_mul_f64 v[206:207], v[94:95], v[232:233]
	s_waitcnt vmcnt(18)
	v_fmac_f64_e32 v[206:207], v[96:97], v[236:237]
	v_add_f64 v[196:197], v[196:197], v[206:207]
	s_waitcnt lgkmcnt(2)
	v_mul_f64 v[206:207], v[98:99], v[200:201]
	v_fmac_f64_e32 v[206:207], v[100:101], v[204:205]
	v_add_f64 v[196:197], v[196:197], v[206:207]
	s_waitcnt vmcnt(12) lgkmcnt(1)
	v_mul_f64 v[206:207], v[102:103], v[238:239]
	s_waitcnt vmcnt(10)
	v_fmac_f64_e32 v[206:207], v[104:105], v[240:241]
	v_add_f64 v[196:197], v[196:197], v[206:207]
	v_mul_f64 v[206:207], v[110:111], v[216:217]
	v_fmac_f64_e32 v[206:207], v[112:113], v[220:221]
	v_add_f64 v[196:197], v[196:197], v[206:207]
	s_waitcnt vmcnt(4)
	v_mul_f64 v[206:207], v[106:107], v[242:243]
	v_mul_f64 v[32:33], v[32:33], v[118:119]
	s_waitcnt vmcnt(2)
	v_fmac_f64_e32 v[206:207], v[108:109], v[244:245]
	v_add_f64 v[196:197], v[196:197], v[206:207]
	s_waitcnt lgkmcnt(0)
	v_mul_f64 v[206:207], v[114:115], v[230:231]
	v_fmac_f64_e32 v[206:207], v[116:117], v[234:235]
	v_add_f64 v[246:247], v[196:197], v[206:207]
	v_add_f64 v[196:197], v[248:249], 0
	;; [unrolled: 1-line block ×3, first 2 shown]
	v_fma_f64 v[30:31], v[30:31], v[152:153], -v[32:33]
	v_mul_f64 v[28:29], v[28:29], v[124:125]
	v_add_f64 v[30:31], v[196:197], v[30:31]
	v_fma_f64 v[26:27], v[26:27], v[150:151], -v[28:29]
	v_add_f64 v[26:27], v[30:31], v[26:27]
	v_mul_f64 v[20:21], v[20:21], v[130:131]
	v_add_f64 v[22:23], v[26:27], v[22:23]
	v_fma_f64 v[18:19], v[18:19], v[148:149], -v[20:21]
	v_add_f64 v[18:19], v[22:23], v[18:19]
	v_mul_f64 v[12:13], v[12:13], v[140:141]
	v_add_f64 v[14:15], v[18:19], v[14:15]
	v_fma_f64 v[10:11], v[10:11], v[146:147], -v[12:13]
	v_add_f64 v[10:11], v[14:15], v[10:11]
	v_mul_f64 v[4:5], v[4:5], v[136:137]
	v_add_f64 v[6:7], v[10:11], v[6:7]
	v_fma_f64 v[2:3], v[2:3], v[144:145], -v[4:5]
	v_mul_f64 v[4:5], v[40:41], v[142:143]
	v_add_f64 v[2:3], v[6:7], v[2:3]
	v_fma_f64 v[4:5], v[38:39], v[154:155], -v[4:5]
	v_add_f64 v[2:3], v[2:3], v[4:5]
	v_mul_f64 v[4:5], v[36:37], v[172:173]
	v_fma_f64 v[4:5], v[34:35], v[176:177], -v[4:5]
	v_add_f64 v[2:3], v[2:3], v[4:5]
	v_mul_f64 v[4:5], v[44:45], v[156:157]
	v_fma_f64 v[4:5], v[42:43], v[158:159], -v[4:5]
	v_add_f64 v[2:3], v[2:3], v[4:5]
	v_mul_f64 v[4:5], v[48:49], v[180:181]
	v_fma_f64 v[4:5], v[46:47], v[184:185], -v[4:5]
	v_add_f64 v[2:3], v[2:3], v[4:5]
	v_mul_f64 v[4:5], v[52:53], v[160:161]
	v_fma_f64 v[4:5], v[50:51], v[162:163], -v[4:5]
	v_add_f64 v[2:3], v[2:3], v[4:5]
	v_mul_f64 v[4:5], v[56:57], v[188:189]
	v_fma_f64 v[4:5], v[54:55], v[192:193], -v[4:5]
	v_add_f64 v[2:3], v[2:3], v[4:5]
	v_mul_f64 v[4:5], v[60:61], v[164:165]
	v_fma_f64 v[4:5], v[58:59], v[166:167], -v[4:5]
	v_add_f64 v[2:3], v[2:3], v[4:5]
	v_mul_f64 v[4:5], v[64:65], v[198:199]
	v_fma_f64 v[4:5], v[62:63], v[202:203], -v[4:5]
	v_add_f64 v[2:3], v[2:3], v[4:5]
	v_mul_f64 v[4:5], v[68:69], v[168:169]
	v_fma_f64 v[4:5], v[66:67], v[170:171], -v[4:5]
	v_add_f64 v[2:3], v[2:3], v[4:5]
	v_mul_f64 v[4:5], v[72:73], v[214:215]
	v_fma_f64 v[4:5], v[70:71], v[218:219], -v[4:5]
	v_add_f64 v[2:3], v[2:3], v[4:5]
	v_mul_f64 v[4:5], v[76:77], v[174:175]
	v_fma_f64 v[4:5], v[74:75], v[178:179], -v[4:5]
	v_add_f64 v[2:3], v[2:3], v[4:5]
	v_mul_f64 v[4:5], v[80:81], v[222:223]
	v_fma_f64 v[4:5], v[78:79], v[224:225], -v[4:5]
	v_add_f64 v[2:3], v[2:3], v[4:5]
	v_mul_f64 v[4:5], v[84:85], v[182:183]
	v_fma_f64 v[4:5], v[82:83], v[186:187], -v[4:5]
	v_add_f64 v[2:3], v[2:3], v[4:5]
	v_mul_f64 v[4:5], v[88:89], v[226:227]
	v_fma_f64 v[4:5], v[86:87], v[228:229], -v[4:5]
	v_add_f64 v[2:3], v[2:3], v[4:5]
	v_mul_f64 v[4:5], v[92:93], v[190:191]
	v_fma_f64 v[4:5], v[90:91], v[194:195], -v[4:5]
	v_add_f64 v[2:3], v[2:3], v[4:5]
	v_mul_f64 v[4:5], v[96:97], v[232:233]
	v_fma_f64 v[4:5], v[94:95], v[236:237], -v[4:5]
	v_add_f64 v[2:3], v[2:3], v[4:5]
	v_mul_f64 v[4:5], v[100:101], v[200:201]
	v_fma_f64 v[4:5], v[98:99], v[204:205], -v[4:5]
	v_add_f64 v[2:3], v[2:3], v[4:5]
	v_mul_f64 v[4:5], v[104:105], v[238:239]
	v_fma_f64 v[4:5], v[102:103], v[240:241], -v[4:5]
	v_add_f64 v[2:3], v[2:3], v[4:5]
	v_mul_f64 v[4:5], v[112:113], v[216:217]
	v_fma_f64 v[4:5], v[110:111], v[220:221], -v[4:5]
	v_add_f64 v[2:3], v[2:3], v[4:5]
	v_mul_f64 v[4:5], v[108:109], v[242:243]
	v_fma_f64 v[4:5], v[106:107], v[244:245], -v[4:5]
	v_add_f64 v[2:3], v[2:3], v[4:5]
	v_mul_f64 v[4:5], v[116:117], v[230:231]
	v_fma_f64 v[4:5], v[114:115], v[234:235], -v[4:5]
	v_add_f64 v[2:3], v[2:3], v[4:5]
	v_add_f64 v[2:3], v[138:139], -v[2:3]
	s_waitcnt vmcnt(0)
	v_add_f64 v[4:5], v[252:253], -v[246:247]
	buffer_store_dword v3, off, s[0:3], 0 offset:276
	buffer_store_dword v2, off, s[0:3], 0 offset:272
	;; [unrolled: 1-line block ×4, first 2 shown]
	s_and_saveexec_b64 s[4:5], vcc
	s_cbranch_execz .LBB111_271
; %bb.270:
	v_accvgpr_read_b32 v0, a128
	buffer_load_dword v2, v0, s[0:3], 0 offen
	buffer_load_dword v3, v0, s[0:3], 0 offen offset:4
	buffer_load_dword v4, v0, s[0:3], 0 offen offset:8
	;; [unrolled: 1-line block ×3, first 2 shown]
	v_accvgpr_read_b32 v0, a144
	buffer_store_dword v1, off, s[0:3], 0 offset:256
	buffer_store_dword v1, off, s[0:3], 0 offset:260
	;; [unrolled: 1-line block ×4, first 2 shown]
	s_waitcnt vmcnt(4)
	ds_write_b128 v0, v[2:5]
.LBB111_271:
	s_or_b64 exec, exec, s[4:5]
	s_waitcnt lgkmcnt(0)
	; wave barrier
	s_waitcnt lgkmcnt(0)
	buffer_load_dword v112, off, s[0:3], 0 offset:272
	buffer_load_dword v113, off, s[0:3], 0 offset:276
	;; [unrolled: 1-line block ×36, first 2 shown]
	ds_read_b128 v[102:105], v1 offset:1024
	ds_read_b128 v[106:109], v1 offset:1040
	;; [unrolled: 1-line block ×9, first 2 shown]
	buffer_load_dword v143, off, s[0:3], 0 offset:444
	buffer_load_dword v142, off, s[0:3], 0 offset:440
	;; [unrolled: 1-line block ×78, first 2 shown]
	v_accvgpr_read_b32 v212, a143
	v_cmp_lt_u32_e32 vcc, 14, v212
	s_waitcnt vmcnt(62) lgkmcnt(8)
	v_mul_f64 v[26:27], v[102:103], v[246:247]
	v_fmac_f64_e32 v[26:27], v[104:105], v[112:113]
	v_add_f64 v[26:27], v[26:27], 0
	v_mul_f64 v[104:105], v[104:105], v[246:247]
	s_waitcnt lgkmcnt(7)
	v_mul_f64 v[28:29], v[106:107], v[248:249]
	v_fmac_f64_e32 v[28:29], v[108:109], v[110:111]
	s_waitcnt lgkmcnt(6)
	v_mul_f64 v[30:31], v[114:115], v[244:245]
	v_add_f64 v[26:27], v[26:27], v[28:29]
	s_waitcnt lgkmcnt(4)
	v_mul_f64 v[34:35], v[18:19], v[118:119]
	v_fma_f64 v[246:247], v[102:103], v[112:113], -v[104:105]
	v_fmac_f64_e32 v[34:35], v[20:21], v[120:121]
	v_mul_f64 v[108:109], v[108:109], v[248:249]
	v_mul_f64 v[32:33], v[22:23], v[122:123]
	v_fma_f64 v[248:249], v[106:107], v[110:111], -v[108:109]
	s_waitcnt lgkmcnt(2)
	v_mul_f64 v[38:39], v[10:11], v[124:125]
	v_mul_f64 v[20:21], v[20:21], v[118:119]
	v_fmac_f64_e32 v[38:39], v[12:13], v[126:127]
	v_fma_f64 v[18:19], v[18:19], v[120:121], -v[20:21]
	v_mul_f64 v[36:37], v[14:15], v[130:131]
	v_mul_f64 v[12:13], v[12:13], v[124:125]
	s_waitcnt lgkmcnt(1)
	v_mul_f64 v[40:41], v[6:7], v[128:129]
	v_fma_f64 v[10:11], v[10:11], v[126:127], -v[12:13]
	v_fmac_f64_e32 v[30:31], v[116:117], v[250:251]
	v_add_f64 v[26:27], v[26:27], v[30:31]
	v_fmac_f64_e32 v[32:33], v[24:25], v[138:139]
	v_add_f64 v[26:27], v[26:27], v[32:33]
	;; [unrolled: 2-line block ×3, first 2 shown]
	v_add_f64 v[26:27], v[26:27], v[36:37]
	v_fmac_f64_e32 v[40:41], v[8:9], v[134:135]
	v_add_f64 v[30:31], v[26:27], v[38:39]
	v_add_f64 v[30:31], v[30:31], v[40:41]
	s_waitcnt lgkmcnt(0)
	v_mul_f64 v[32:33], v[2:3], v[132:133]
	v_fmac_f64_e32 v[32:33], v[4:5], v[140:141]
	ds_read_b128 v[26:29], v1 offset:1168
	v_add_f64 v[34:35], v[30:31], v[32:33]
	ds_read_b128 v[30:33], v1 offset:1184
	buffer_load_dword v231, off, s[0:3], 0 offset:708
	buffer_load_dword v230, off, s[0:3], 0 offset:704
	v_mul_f64 v[116:117], v[116:117], v[244:245]
	s_waitcnt lgkmcnt(1)
	v_mul_f64 v[36:37], v[26:27], v[146:147]
	v_fmac_f64_e32 v[36:37], v[28:29], v[148:149]
	v_add_f64 v[38:39], v[34:35], v[36:37]
	ds_read_b128 v[34:37], v1 offset:1200
	s_waitcnt lgkmcnt(1)
	v_mul_f64 v[40:41], v[30:31], v[142:143]
	v_fmac_f64_e32 v[40:41], v[32:33], v[144:145]
	v_add_f64 v[42:43], v[38:39], v[40:41]
	ds_read_b128 v[38:41], v1 offset:1216
	;; [unrolled: 5-line block ×4, first 2 shown]
	buffer_load_dword v233, off, s[0:3], 0 offset:764
	buffer_load_dword v235, off, s[0:3], 0 offset:748
	buffer_load_dword v234, off, s[0:3], 0 offset:744
	buffer_load_dword v241, off, s[0:3], 0 offset:740
	buffer_load_dword v240, off, s[0:3], 0 offset:736
	buffer_load_dword v232, off, s[0:3], 0 offset:760
	buffer_load_dword v239, off, s[0:3], 0 offset:756
	buffer_load_dword v238, off, s[0:3], 0 offset:752
	buffer_load_dword v237, off, s[0:3], 0 offset:780
	buffer_load_dword v236, off, s[0:3], 0 offset:776
	buffer_load_dword v243, off, s[0:3], 0 offset:772
	buffer_load_dword v242, off, s[0:3], 0 offset:768
	s_waitcnt vmcnt(62) lgkmcnt(1)
	v_mul_f64 v[52:53], v[42:43], v[174:175]
	v_fmac_f64_e32 v[52:53], v[44:45], v[178:179]
	v_add_f64 v[54:55], v[50:51], v[52:53]
	ds_read_b128 v[50:53], v1 offset:1264
	s_waitcnt lgkmcnt(1)
	v_mul_f64 v[56:57], v[46:47], v[154:155]
	v_fmac_f64_e32 v[56:57], v[48:49], v[156:157]
	v_add_f64 v[58:59], v[54:55], v[56:57]
	ds_read_b128 v[54:57], v1 offset:1280
	s_waitcnt lgkmcnt(1)
	v_mul_f64 v[60:61], v[50:51], v[182:183]
	s_waitcnt vmcnt(60)
	v_fmac_f64_e32 v[60:61], v[52:53], v[186:187]
	v_add_f64 v[62:63], v[58:59], v[60:61]
	ds_read_b128 v[58:61], v1 offset:1296
	s_waitcnt lgkmcnt(1)
	v_mul_f64 v[64:65], v[54:55], v[162:163]
	v_fmac_f64_e32 v[64:65], v[56:57], v[164:165]
	v_add_f64 v[66:67], v[62:63], v[64:65]
	ds_read_b128 v[62:65], v1 offset:1312
	s_waitcnt vmcnt(54) lgkmcnt(1)
	v_mul_f64 v[68:69], v[58:59], v[190:191]
	s_waitcnt vmcnt(52)
	v_fmac_f64_e32 v[68:69], v[60:61], v[194:195]
	v_add_f64 v[70:71], v[66:67], v[68:69]
	ds_read_b128 v[66:69], v1 offset:1328
	s_waitcnt lgkmcnt(1)
	v_mul_f64 v[72:73], v[62:63], v[166:167]
	v_fmac_f64_e32 v[72:73], v[64:65], v[168:169]
	v_add_f64 v[74:75], v[70:71], v[72:73]
	ds_read_b128 v[70:73], v1 offset:1344
	s_waitcnt vmcnt(46) lgkmcnt(1)
	;; [unrolled: 11-line block ×4, first 2 shown]
	v_mul_f64 v[92:93], v[82:83], v[220:221]
	s_waitcnt vmcnt(28)
	v_fmac_f64_e32 v[92:93], v[84:85], v[222:223]
	v_add_f64 v[98:99], v[90:91], v[92:93]
	ds_read_b128 v[90:93], v1 offset:1424
	ds_read_b128 v[94:97], v1 offset:1440
	s_waitcnt lgkmcnt(2)
	v_mul_f64 v[100:101], v[86:87], v[184:185]
	v_fmac_f64_e32 v[100:101], v[88:89], v[188:189]
	v_add_f64 v[98:99], v[98:99], v[100:101]
	s_waitcnt vmcnt(22) lgkmcnt(1)
	v_mul_f64 v[100:101], v[90:91], v[224:225]
	s_waitcnt vmcnt(20)
	v_fmac_f64_e32 v[100:101], v[92:93], v[226:227]
	v_add_f64 v[98:99], v[98:99], v[100:101]
	s_waitcnt lgkmcnt(0)
	v_mul_f64 v[100:101], v[94:95], v[192:193]
	v_fmac_f64_e32 v[100:101], v[96:97], v[198:199]
	v_add_f64 v[196:197], v[98:99], v[100:101]
	ds_read_b128 v[98:101], v1 offset:1456
	ds_read_b128 v[102:105], v1 offset:1472
	;; [unrolled: 1-line block ×3, first 2 shown]
	v_fma_f64 v[250:251], v[114:115], v[250:251], -v[116:117]
	ds_read_b128 v[114:117], v1 offset:1520
	s_waitcnt vmcnt(14) lgkmcnt(3)
	v_mul_f64 v[112:113], v[98:99], v[228:229]
	s_waitcnt lgkmcnt(2)
	v_mul_f64 v[110:111], v[102:103], v[202:203]
	s_waitcnt vmcnt(12)
	v_fmac_f64_e32 v[112:113], v[100:101], v[230:231]
	v_add_f64 v[112:113], v[196:197], v[112:113]
	v_fmac_f64_e32 v[110:111], v[104:105], v[214:215]
	v_add_f64 v[196:197], v[112:113], v[110:111]
	ds_read_b128 v[110:113], v1 offset:1504
	buffer_load_dword v254, off, s[0:3], 0 offset:256
	buffer_load_dword v255, off, s[0:3], 0 offset:260
	;; [unrolled: 1-line block ×4, first 2 shown]
	v_mul_f64 v[24:25], v[24:25], v[122:123]
	v_fma_f64 v[22:23], v[22:23], v[138:139], -v[24:25]
	v_mul_f64 v[16:17], v[16:17], v[130:131]
	s_waitcnt vmcnt(13) lgkmcnt(2)
	v_mul_f64 v[206:207], v[106:107], v[234:235]
	v_fma_f64 v[14:15], v[14:15], v[136:137], -v[16:17]
	s_waitcnt vmcnt(11)
	v_fmac_f64_e32 v[206:207], v[108:109], v[240:241]
	v_add_f64 v[196:197], v[196:197], v[206:207]
	s_waitcnt vmcnt(10) lgkmcnt(0)
	v_mul_f64 v[206:207], v[110:111], v[232:233]
	s_waitcnt vmcnt(8)
	v_fmac_f64_e32 v[206:207], v[112:113], v[238:239]
	v_add_f64 v[196:197], v[196:197], v[206:207]
	s_waitcnt vmcnt(6)
	v_mul_f64 v[206:207], v[114:115], v[236:237]
	v_mul_f64 v[8:9], v[8:9], v[128:129]
	s_waitcnt vmcnt(4)
	v_fmac_f64_e32 v[206:207], v[116:117], v[242:243]
	v_add_f64 v[244:245], v[196:197], v[206:207]
	v_add_f64 v[196:197], v[246:247], 0
	;; [unrolled: 1-line block ×8, first 2 shown]
	v_fma_f64 v[6:7], v[6:7], v[134:135], -v[8:9]
	v_mul_f64 v[4:5], v[4:5], v[132:133]
	v_add_f64 v[6:7], v[10:11], v[6:7]
	v_fma_f64 v[2:3], v[2:3], v[140:141], -v[4:5]
	v_mul_f64 v[4:5], v[28:29], v[146:147]
	v_add_f64 v[2:3], v[6:7], v[2:3]
	v_fma_f64 v[4:5], v[26:27], v[148:149], -v[4:5]
	v_add_f64 v[2:3], v[2:3], v[4:5]
	v_mul_f64 v[4:5], v[32:33], v[142:143]
	v_fma_f64 v[4:5], v[30:31], v[144:145], -v[4:5]
	v_add_f64 v[2:3], v[2:3], v[4:5]
	v_mul_f64 v[4:5], v[36:37], v[158:159]
	;; [unrolled: 3-line block ×22, first 2 shown]
	v_fma_f64 v[4:5], v[114:115], v[242:243], -v[4:5]
	v_add_f64 v[2:3], v[2:3], v[4:5]
	s_waitcnt vmcnt(2)
	v_add_f64 v[2:3], v[254:255], -v[2:3]
	s_waitcnt vmcnt(0)
	v_add_f64 v[4:5], v[252:253], -v[244:245]
	buffer_store_dword v3, off, s[0:3], 0 offset:260
	buffer_store_dword v2, off, s[0:3], 0 offset:256
	;; [unrolled: 1-line block ×4, first 2 shown]
	s_and_saveexec_b64 s[4:5], vcc
	s_cbranch_execz .LBB111_273
; %bb.272:
	v_accvgpr_read_b32 v0, a129
	buffer_load_dword v2, v0, s[0:3], 0 offen
	buffer_load_dword v3, v0, s[0:3], 0 offen offset:4
	buffer_load_dword v4, v0, s[0:3], 0 offen offset:8
	;; [unrolled: 1-line block ×3, first 2 shown]
	v_mov_b32_e32 v0, 0
	v_accvgpr_read_b32 v1, a144
	buffer_store_dword v0, off, s[0:3], 0 offset:240
	buffer_store_dword v0, off, s[0:3], 0 offset:244
	;; [unrolled: 1-line block ×4, first 2 shown]
	s_waitcnt vmcnt(4)
	ds_write_b128 v1, v[2:5]
.LBB111_273:
	s_or_b64 exec, exec, s[4:5]
	s_waitcnt lgkmcnt(0)
	; wave barrier
	s_waitcnt lgkmcnt(0)
	buffer_load_dword v94, off, s[0:3], 0 offset:256
	buffer_load_dword v95, off, s[0:3], 0 offset:260
	;; [unrolled: 1-line block ×52, first 2 shown]
	v_mov_b32_e32 v1, 0
	ds_read_b128 v[102:105], v1 offset:1008
	ds_read_b128 v[114:117], v1 offset:1024
	;; [unrolled: 1-line block ×10, first 2 shown]
	v_cmp_lt_u32_e32 vcc, 13, v212
	s_waitcnt vmcnt(48) lgkmcnt(9)
	v_mul_f64 v[26:27], v[102:103], v[96:97]
	v_fmac_f64_e32 v[26:27], v[104:105], v[94:95]
	v_add_f64 v[26:27], v[26:27], 0
	v_mul_f64 v[96:97], v[104:105], v[96:97]
	s_waitcnt vmcnt(44) lgkmcnt(8)
	v_mul_f64 v[28:29], v[114:115], v[100:101]
	v_fmac_f64_e32 v[28:29], v[116:117], v[98:99]
	s_waitcnt vmcnt(42) lgkmcnt(7)
	v_mul_f64 v[30:31], v[244:245], v[106:107]
	v_add_f64 v[26:27], v[26:27], v[28:29]
	s_waitcnt vmcnt(40) lgkmcnt(5)
	v_mul_f64 v[34:35], v[22:23], v[120:121]
	v_fma_f64 v[206:207], v[102:103], v[94:95], -v[96:97]
	s_waitcnt vmcnt(38)
	v_fmac_f64_e32 v[34:35], v[24:25], v[124:125]
	v_mul_f64 v[100:101], v[116:117], v[100:101]
	s_waitcnt vmcnt(36)
	v_mul_f64 v[32:33], v[250:251], v[110:111]
	v_fma_f64 v[208:209], v[114:115], v[98:99], -v[100:101]
	s_waitcnt vmcnt(34) lgkmcnt(3)
	v_mul_f64 v[38:39], v[14:15], v[118:119]
	v_mul_f64 v[106:107], v[246:247], v[106:107]
	s_waitcnt vmcnt(32)
	v_fmac_f64_e32 v[38:39], v[16:17], v[122:123]
	v_mul_f64 v[110:111], v[252:253], v[110:111]
	s_waitcnt vmcnt(30)
	v_mul_f64 v[36:37], v[18:19], v[130:131]
	v_mul_f64 v[24:25], v[24:25], v[120:121]
	v_fma_f64 v[22:23], v[22:23], v[124:125], -v[24:25]
	s_waitcnt vmcnt(27) lgkmcnt(2)
	v_mul_f64 v[40:41], v[10:11], v[128:129]
	s_waitcnt vmcnt(26) lgkmcnt(1)
	v_mul_f64 v[42:43], v[6:7], v[126:127]
	v_mul_f64 v[16:17], v[16:17], v[118:119]
	s_waitcnt vmcnt(24)
	v_fmac_f64_e32 v[30:31], v[246:247], v[108:109]
	v_add_f64 v[26:27], v[26:27], v[30:31]
	s_waitcnt vmcnt(22)
	v_fmac_f64_e32 v[32:33], v[252:253], v[112:113]
	v_add_f64 v[26:27], v[26:27], v[32:33]
	;; [unrolled: 3-line block ×3, first 2 shown]
	v_add_f64 v[26:27], v[26:27], v[36:37]
	s_waitcnt vmcnt(18)
	v_fmac_f64_e32 v[40:41], v[12:13], v[132:133]
	v_add_f64 v[26:27], v[26:27], v[38:39]
	v_add_f64 v[26:27], v[26:27], v[40:41]
	s_waitcnt vmcnt(16)
	v_fmac_f64_e32 v[42:43], v[8:9], v[138:139]
	v_add_f64 v[34:35], v[26:27], v[42:43]
	ds_read_b128 v[26:29], v1 offset:1168
	ds_read_b128 v[30:33], v1 offset:1184
	buffer_load_dword v155, off, s[0:3], 0 offset:492
	buffer_load_dword v154, off, s[0:3], 0 offset:488
	;; [unrolled: 1-line block ×56, first 2 shown]
	s_waitcnt vmcnt(62) lgkmcnt(2)
	v_mul_f64 v[36:37], v[2:3], v[142:143]
	v_fmac_f64_e32 v[36:37], v[4:5], v[144:145]
	v_add_f64 v[34:35], v[34:35], v[36:37]
	s_waitcnt lgkmcnt(1)
	v_mul_f64 v[36:37], v[26:27], v[136:137]
	v_fmac_f64_e32 v[36:37], v[28:29], v[140:141]
	v_add_f64 v[34:35], v[34:35], v[36:37]
	s_waitcnt lgkmcnt(0)
	v_mul_f64 v[36:37], v[30:31], v[146:147]
	s_waitcnt vmcnt(60)
	v_fmac_f64_e32 v[36:37], v[32:33], v[150:151]
	v_add_f64 v[42:43], v[34:35], v[36:37]
	ds_read_b128 v[34:37], v1 offset:1200
	buffer_load_dword v201, off, s[0:3], 0 offset:716
	buffer_load_dword v200, off, s[0:3], 0 offset:712
	;; [unrolled: 1-line block ×16, first 2 shown]
	ds_read_b128 v[38:41], v1 offset:1216
	buffer_load_dword v231, off, s[0:3], 0 offset:780
	buffer_load_dword v230, off, s[0:3], 0 offset:776
	;; [unrolled: 1-line block ×8, first 2 shown]
	ds_read_b128 v[98:101], v1 offset:1456
	s_waitcnt vmcnt(62) lgkmcnt(2)
	v_mul_f64 v[44:45], v[34:35], v[148:149]
	v_fmac_f64_e32 v[44:45], v[36:37], v[152:153]
	v_add_f64 v[46:47], v[42:43], v[44:45]
	ds_read_b128 v[42:45], v1 offset:1232
	v_fma_f64 v[248:249], v[244:245], v[108:109], -v[106:107]
	ds_read_b128 v[106:109], v1 offset:1488
	v_fma_f64 v[246:247], v[250:251], v[112:113], -v[110:111]
	v_mul_f64 v[20:21], v[20:21], v[130:131]
	v_fma_f64 v[18:19], v[18:19], v[134:135], -v[20:21]
	v_fma_f64 v[14:15], v[14:15], v[122:123], -v[16:17]
	v_mul_f64 v[12:13], v[12:13], v[128:129]
	v_fma_f64 v[10:11], v[10:11], v[132:133], -v[12:13]
	v_mul_f64 v[8:9], v[8:9], v[126:127]
	;; [unrolled: 2-line block ×3, first 2 shown]
	s_waitcnt lgkmcnt(3)
	v_mul_f64 v[48:49], v[38:39], v[170:171]
	v_fma_f64 v[2:3], v[2:3], v[144:145], -v[4:5]
	v_fmac_f64_e32 v[48:49], v[40:41], v[174:175]
	v_add_f64 v[50:51], v[46:47], v[48:49]
	ds_read_b128 v[46:49], v1 offset:1248
	s_waitcnt lgkmcnt(2)
	v_mul_f64 v[52:53], v[42:43], v[154:155]
	v_fmac_f64_e32 v[52:53], v[44:45], v[156:157]
	v_add_f64 v[54:55], v[50:51], v[52:53]
	ds_read_b128 v[50:53], v1 offset:1264
	s_waitcnt lgkmcnt(1)
	v_mul_f64 v[56:57], v[46:47], v[178:179]
	;; [unrolled: 5-line block ×3, first 2 shown]
	v_fmac_f64_e32 v[60:61], v[52:53], v[160:161]
	v_add_f64 v[62:63], v[58:59], v[60:61]
	ds_read_b128 v[58:61], v1 offset:1296
	s_waitcnt vmcnt(58) lgkmcnt(1)
	v_mul_f64 v[64:65], v[54:55], v[186:187]
	s_waitcnt vmcnt(56)
	v_fmac_f64_e32 v[64:65], v[56:57], v[190:191]
	v_add_f64 v[66:67], v[62:63], v[64:65]
	ds_read_b128 v[62:65], v1 offset:1312
	s_waitcnt lgkmcnt(1)
	v_mul_f64 v[68:69], v[58:59], v[162:163]
	v_fmac_f64_e32 v[68:69], v[60:61], v[164:165]
	v_add_f64 v[70:71], v[66:67], v[68:69]
	ds_read_b128 v[66:69], v1 offset:1328
	s_waitcnt vmcnt(50) lgkmcnt(1)
	v_mul_f64 v[72:73], v[62:63], v[194:195]
	s_waitcnt vmcnt(48)
	v_fmac_f64_e32 v[72:73], v[64:65], v[198:199]
	v_add_f64 v[74:75], v[70:71], v[72:73]
	ds_read_b128 v[70:73], v1 offset:1344
	s_waitcnt lgkmcnt(1)
	v_mul_f64 v[76:77], v[66:67], v[166:167]
	v_fmac_f64_e32 v[76:77], v[68:69], v[168:169]
	v_add_f64 v[78:79], v[74:75], v[76:77]
	ds_read_b128 v[74:77], v1 offset:1360
	s_waitcnt vmcnt(42) lgkmcnt(1)
	v_mul_f64 v[80:81], v[70:71], v[202:203]
	s_waitcnt vmcnt(40)
	v_fmac_f64_e32 v[80:81], v[72:73], v[214:215]
	v_add_f64 v[82:83], v[78:79], v[80:81]
	ds_read_b128 v[78:81], v1 offset:1376
	s_waitcnt lgkmcnt(1)
	v_mul_f64 v[84:85], v[74:75], v[172:173]
	v_fmac_f64_e32 v[84:85], v[76:77], v[176:177]
	v_add_f64 v[90:91], v[82:83], v[84:85]
	ds_read_b128 v[82:85], v1 offset:1392
	ds_read_b128 v[86:89], v1 offset:1408
	s_waitcnt vmcnt(34) lgkmcnt(2)
	v_mul_f64 v[92:93], v[78:79], v[218:219]
	s_waitcnt vmcnt(32)
	v_fmac_f64_e32 v[92:93], v[80:81], v[224:225]
	v_add_f64 v[90:91], v[90:91], v[92:93]
	s_waitcnt lgkmcnt(1)
	v_mul_f64 v[92:93], v[82:83], v[180:181]
	v_fmac_f64_e32 v[92:93], v[84:85], v[184:185]
	v_add_f64 v[90:91], v[90:91], v[92:93]
	s_waitcnt vmcnt(27) lgkmcnt(0)
	v_mul_f64 v[92:93], v[86:87], v[222:223]
	s_waitcnt vmcnt(25)
	v_fmac_f64_e32 v[92:93], v[88:89], v[226:227]
	v_add_f64 v[196:197], v[90:91], v[92:93]
	ds_read_b128 v[90:93], v1 offset:1424
	ds_read_b128 v[94:97], v1 offset:1440
	ds_read_b128 v[110:113], v1 offset:1504
	v_mul_f64 v[4:5], v[28:29], v[136:137]
	v_fma_f64 v[4:5], v[26:27], v[140:141], -v[4:5]
	s_waitcnt lgkmcnt(2)
	v_mul_f64 v[102:103], v[90:91], v[188:189]
	s_waitcnt vmcnt(24)
	v_fmac_f64_e32 v[102:103], v[92:93], v[192:193]
	s_waitcnt vmcnt(18) lgkmcnt(1)
	v_mul_f64 v[104:105], v[94:95], v[228:229]
	v_add_f64 v[102:103], v[196:197], v[102:103]
	s_waitcnt vmcnt(16)
	v_fmac_f64_e32 v[104:105], v[96:97], v[232:233]
	v_add_f64 v[102:103], v[102:103], v[104:105]
	v_mul_f64 v[104:105], v[98:99], v[200:201]
	v_fmac_f64_e32 v[104:105], v[100:101], v[204:205]
	v_add_f64 v[114:115], v[102:103], v[104:105]
	ds_read_b128 v[102:105], v1 offset:1472
	s_waitcnt vmcnt(10) lgkmcnt(0)
	v_mul_f64 v[116:117], v[102:103], v[236:237]
	s_waitcnt vmcnt(8)
	v_fmac_f64_e32 v[116:117], v[104:105], v[238:239]
	v_add_f64 v[114:115], v[114:115], v[116:117]
	v_mul_f64 v[116:117], v[106:107], v[216:217]
	v_fmac_f64_e32 v[116:117], v[108:109], v[220:221]
	v_add_f64 v[114:115], v[114:115], v[116:117]
	s_waitcnt vmcnt(2)
	v_mul_f64 v[116:117], v[110:111], v[240:241]
	s_waitcnt vmcnt(0)
	v_fmac_f64_e32 v[116:117], v[112:113], v[242:243]
	v_add_f64 v[196:197], v[114:115], v[116:117]
	ds_read_b128 v[114:117], v1 offset:1520
	buffer_load_dword v252, off, s[0:3], 0 offset:240
	buffer_load_dword v253, off, s[0:3], 0 offset:244
	s_waitcnt lgkmcnt(0)
	v_mul_f64 v[210:211], v[114:115], v[230:231]
	v_fmac_f64_e32 v[210:211], v[116:117], v[234:235]
	v_add_f64 v[244:245], v[196:197], v[210:211]
	v_add_f64 v[196:197], v[206:207], 0
	;; [unrolled: 1-line block ×4, first 2 shown]
	buffer_load_dword v248, off, s[0:3], 0 offset:248
	buffer_load_dword v249, off, s[0:3], 0 offset:252
	v_add_f64 v[196:197], v[196:197], v[246:247]
	v_add_f64 v[22:23], v[196:197], v[22:23]
	;; [unrolled: 1-line block ×8, first 2 shown]
	v_mul_f64 v[4:5], v[32:33], v[146:147]
	v_fma_f64 v[4:5], v[30:31], v[150:151], -v[4:5]
	v_add_f64 v[2:3], v[2:3], v[4:5]
	v_mul_f64 v[4:5], v[36:37], v[148:149]
	v_fma_f64 v[4:5], v[34:35], v[152:153], -v[4:5]
	v_add_f64 v[2:3], v[2:3], v[4:5]
	;; [unrolled: 3-line block ×22, first 2 shown]
	s_waitcnt vmcnt(2)
	v_add_f64 v[2:3], v[252:253], -v[2:3]
	s_waitcnt vmcnt(0)
	v_add_f64 v[4:5], v[248:249], -v[244:245]
	buffer_store_dword v3, off, s[0:3], 0 offset:244
	buffer_store_dword v2, off, s[0:3], 0 offset:240
	;; [unrolled: 1-line block ×4, first 2 shown]
	s_and_saveexec_b64 s[4:5], vcc
	s_cbranch_execz .LBB111_275
; %bb.274:
	v_accvgpr_read_b32 v0, a130
	buffer_load_dword v2, v0, s[0:3], 0 offen
	buffer_load_dword v3, v0, s[0:3], 0 offen offset:4
	buffer_load_dword v4, v0, s[0:3], 0 offen offset:8
	buffer_load_dword v5, v0, s[0:3], 0 offen offset:12
	v_accvgpr_read_b32 v0, a144
	buffer_store_dword v1, off, s[0:3], 0 offset:224
	buffer_store_dword v1, off, s[0:3], 0 offset:228
	;; [unrolled: 1-line block ×4, first 2 shown]
	s_waitcnt vmcnt(4)
	ds_write_b128 v0, v[2:5]
.LBB111_275:
	s_or_b64 exec, exec, s[4:5]
	s_waitcnt lgkmcnt(0)
	; wave barrier
	s_waitcnt lgkmcnt(0)
	buffer_load_dword v86, off, s[0:3], 0 offset:240
	buffer_load_dword v87, off, s[0:3], 0 offset:244
	;; [unrolled: 1-line block ×42, first 2 shown]
	ds_read_b128 v[94:97], v1 offset:992
	ds_read_b128 v[106:109], v1 offset:1008
	;; [unrolled: 1-line block ×10, first 2 shown]
	buffer_load_dword v145, off, s[0:3], 0 offset:388
	buffer_load_dword v144, off, s[0:3], 0 offset:384
	ds_read_b128 v[6:9], v1 offset:1152
	buffer_load_dword v141, off, s[0:3], 0 offset:444
	buffer_load_dword v140, off, s[0:3], 0 offset:440
	;; [unrolled: 1-line block ×80, first 2 shown]
	s_waitcnt vmcnt(62) lgkmcnt(10)
	v_mul_f64 v[26:27], v[94:95], v[88:89]
	v_fmac_f64_e32 v[26:27], v[96:97], v[86:87]
	v_add_f64 v[26:27], v[26:27], 0
	v_mul_f64 v[88:89], v[96:97], v[88:89]
	s_waitcnt lgkmcnt(9)
	v_mul_f64 v[28:29], v[106:107], v[92:93]
	v_fmac_f64_e32 v[28:29], v[108:109], v[90:91]
	s_waitcnt lgkmcnt(8)
	v_mul_f64 v[30:31], v[114:115], v[98:99]
	v_add_f64 v[26:27], v[26:27], v[28:29]
	s_waitcnt lgkmcnt(6)
	v_mul_f64 v[34:35], v[248:249], v[110:111]
	v_fma_f64 v[206:207], v[94:95], v[86:87], -v[88:89]
	v_fmac_f64_e32 v[34:35], v[250:251], v[112:113]
	v_mul_f64 v[92:93], v[108:109], v[92:93]
	v_mul_f64 v[32:33], v[244:245], v[102:103]
	;; [unrolled: 1-line block ×3, first 2 shown]
	s_waitcnt lgkmcnt(4)
	v_mul_f64 v[38:39], v[18:19], v[118:119]
	v_mul_f64 v[102:103], v[246:247], v[102:103]
	v_fmac_f64_e32 v[38:39], v[20:21], v[120:121]
	v_mul_f64 v[110:111], v[250:251], v[110:111]
	v_mul_f64 v[36:37], v[22:23], v[122:123]
	v_fma_f64 v[248:249], v[248:249], v[112:113], -v[110:111]
	s_waitcnt lgkmcnt(2)
	v_mul_f64 v[42:43], v[10:11], v[124:125]
	v_add_f64 v[206:207], v[206:207], 0
	v_mul_f64 v[20:21], v[20:21], v[118:119]
	v_mul_f64 v[40:41], v[14:15], v[130:131]
	v_fma_f64 v[18:19], v[18:19], v[120:121], -v[20:21]
	s_waitcnt lgkmcnt(1)
	v_mul_f64 v[44:45], v[2:3], v[128:129]
	v_fmac_f64_e32 v[30:31], v[116:117], v[100:101]
	v_add_f64 v[26:27], v[26:27], v[30:31]
	v_fmac_f64_e32 v[32:33], v[246:247], v[104:105]
	v_add_f64 v[26:27], v[26:27], v[32:33]
	;; [unrolled: 2-line block ×3, first 2 shown]
	v_add_f64 v[26:27], v[26:27], v[36:37]
	v_fmac_f64_e32 v[40:41], v[16:17], v[132:133]
	v_add_f64 v[26:27], v[26:27], v[38:39]
	v_fmac_f64_e32 v[42:43], v[12:13], v[126:127]
	v_add_f64 v[26:27], v[26:27], v[40:41]
	v_add_f64 v[26:27], v[26:27], v[42:43]
	s_waitcnt lgkmcnt(0)
	v_mul_f64 v[32:33], v[6:7], v[136:137]
	v_fmac_f64_e32 v[44:45], v[4:5], v[144:145]
	v_add_f64 v[30:31], v[26:27], v[44:45]
	ds_read_b128 v[26:29], v1 offset:1168
	v_fmac_f64_e32 v[32:33], v[8:9], v[138:139]
	v_add_f64 v[34:35], v[30:31], v[32:33]
	ds_read_b128 v[30:33], v1 offset:1184
	v_fma_f64 v[208:209], v[114:115], v[100:101], -v[98:99]
	s_waitcnt lgkmcnt(1)
	v_mul_f64 v[36:37], v[26:27], v[146:147]
	v_fmac_f64_e32 v[36:37], v[28:29], v[162:163]
	v_add_f64 v[38:39], v[34:35], v[36:37]
	ds_read_b128 v[34:37], v1 offset:1200
	s_waitcnt lgkmcnt(1)
	v_mul_f64 v[40:41], v[30:31], v[140:141]
	v_fmac_f64_e32 v[40:41], v[32:33], v[142:143]
	v_add_f64 v[42:43], v[38:39], v[40:41]
	ds_read_b128 v[38:41], v1 offset:1216
	s_waitcnt lgkmcnt(1)
	v_mul_f64 v[44:45], v[34:35], v[166:167]
	v_fmac_f64_e32 v[44:45], v[36:37], v[170:171]
	v_add_f64 v[46:47], v[42:43], v[44:45]
	ds_read_b128 v[42:45], v1 offset:1232
	s_waitcnt lgkmcnt(1)
	v_mul_f64 v[48:49], v[38:39], v[148:149]
	v_fmac_f64_e32 v[48:49], v[40:41], v[150:151]
	v_add_f64 v[50:51], v[46:47], v[48:49]
	ds_read_b128 v[46:49], v1 offset:1248
	s_waitcnt vmcnt(58) lgkmcnt(1)
	v_mul_f64 v[52:53], v[42:43], v[174:175]
	s_waitcnt vmcnt(56)
	v_fmac_f64_e32 v[52:53], v[44:45], v[178:179]
	v_add_f64 v[54:55], v[50:51], v[52:53]
	ds_read_b128 v[50:53], v1 offset:1264
	buffer_load_dword v232, off, s[0:3], 0 offset:760
	buffer_load_dword v237, off, s[0:3], 0 offset:748
	;; [unrolled: 1-line block ×8, first 2 shown]
	s_waitcnt lgkmcnt(1)
	v_mul_f64 v[56:57], v[46:47], v[152:153]
	v_fmac_f64_e32 v[56:57], v[48:49], v[154:155]
	v_add_f64 v[58:59], v[54:55], v[56:57]
	ds_read_b128 v[54:57], v1 offset:1280
	s_waitcnt vmcnt(58) lgkmcnt(1)
	v_mul_f64 v[60:61], v[50:51], v[182:183]
	s_waitcnt vmcnt(56)
	v_fmac_f64_e32 v[60:61], v[52:53], v[186:187]
	buffer_load_dword v241, off, s[0:3], 0 offset:780
	buffer_load_dword v240, off, s[0:3], 0 offset:776
	buffer_load_dword v243, off, s[0:3], 0 offset:772
	buffer_load_dword v242, off, s[0:3], 0 offset:768
	v_add_f64 v[62:63], v[58:59], v[60:61]
	ds_read_b128 v[58:61], v1 offset:1296
	s_waitcnt lgkmcnt(1)
	v_mul_f64 v[64:65], v[54:55], v[156:157]
	v_fmac_f64_e32 v[64:65], v[56:57], v[158:159]
	v_add_f64 v[66:67], v[62:63], v[64:65]
	ds_read_b128 v[62:65], v1 offset:1312
	s_waitcnt vmcnt(54) lgkmcnt(1)
	v_mul_f64 v[68:69], v[58:59], v[190:191]
	s_waitcnt vmcnt(52)
	v_fmac_f64_e32 v[68:69], v[60:61], v[194:195]
	v_add_f64 v[70:71], v[66:67], v[68:69]
	ds_read_b128 v[66:69], v1 offset:1328
	s_waitcnt lgkmcnt(1)
	v_mul_f64 v[72:73], v[62:63], v[160:161]
	v_fmac_f64_e32 v[72:73], v[64:65], v[164:165]
	v_add_f64 v[74:75], v[70:71], v[72:73]
	ds_read_b128 v[70:73], v1 offset:1344
	s_waitcnt vmcnt(46) lgkmcnt(1)
	v_mul_f64 v[76:77], v[66:67], v[200:201]
	s_waitcnt vmcnt(44)
	v_fmac_f64_e32 v[76:77], v[68:69], v[204:205]
	v_add_f64 v[82:83], v[74:75], v[76:77]
	ds_read_b128 v[74:77], v1 offset:1360
	ds_read_b128 v[78:81], v1 offset:1376
	s_waitcnt lgkmcnt(2)
	v_mul_f64 v[84:85], v[70:71], v[168:169]
	v_fmac_f64_e32 v[84:85], v[72:73], v[172:173]
	v_add_f64 v[82:83], v[82:83], v[84:85]
	s_waitcnt vmcnt(38) lgkmcnt(1)
	v_mul_f64 v[84:85], v[74:75], v[216:217]
	s_waitcnt vmcnt(36)
	v_fmac_f64_e32 v[84:85], v[76:77], v[218:219]
	v_add_f64 v[82:83], v[82:83], v[84:85]
	s_waitcnt lgkmcnt(0)
	v_mul_f64 v[84:85], v[78:79], v[176:177]
	v_fmac_f64_e32 v[84:85], v[80:81], v[180:181]
	v_add_f64 v[196:197], v[82:83], v[84:85]
	ds_read_b128 v[82:85], v1 offset:1392
	ds_read_b128 v[86:89], v1 offset:1408
	;; [unrolled: 1-line block ×3, first 2 shown]
	v_fma_f64 v[246:247], v[244:245], v[104:105], -v[102:103]
	ds_read_b128 v[102:105], v1 offset:1488
	ds_read_b128 v[110:113], v1 offset:1504
	s_waitcnt vmcnt(30) lgkmcnt(4)
	v_mul_f64 v[94:95], v[82:83], v[220:221]
	s_waitcnt vmcnt(28)
	v_fmac_f64_e32 v[94:95], v[84:85], v[222:223]
	v_add_f64 v[94:95], v[196:197], v[94:95]
	v_fma_f64 v[196:197], v[106:107], v[90:91], -v[92:93]
	ds_read_b128 v[90:93], v1 offset:1424
	s_waitcnt lgkmcnt(4)
	v_mul_f64 v[96:97], v[86:87], v[184:185]
	v_fmac_f64_e32 v[96:97], v[88:89], v[188:189]
	v_add_f64 v[106:107], v[94:95], v[96:97]
	ds_read_b128 v[94:97], v1 offset:1440
	s_waitcnt vmcnt(22) lgkmcnt(1)
	v_mul_f64 v[108:109], v[90:91], v[224:225]
	s_waitcnt vmcnt(20)
	v_fmac_f64_e32 v[108:109], v[92:93], v[226:227]
	v_add_f64 v[106:107], v[106:107], v[108:109]
	v_add_f64 v[196:197], v[206:207], v[196:197]
	s_waitcnt lgkmcnt(0)
	v_mul_f64 v[108:109], v[94:95], v[192:193]
	v_fmac_f64_e32 v[108:109], v[96:97], v[198:199]
	v_add_f64 v[114:115], v[106:107], v[108:109]
	ds_read_b128 v[106:109], v1 offset:1472
	s_waitcnt vmcnt(14)
	v_mul_f64 v[116:117], v[98:99], v[228:229]
	s_waitcnt vmcnt(12)
	v_fmac_f64_e32 v[116:117], v[100:101], v[230:231]
	v_add_f64 v[114:115], v[114:115], v[116:117]
	v_add_f64 v[250:251], v[196:197], v[208:209]
	s_waitcnt lgkmcnt(0)
	v_mul_f64 v[116:117], v[106:107], v[202:203]
	v_fmac_f64_e32 v[116:117], v[108:109], v[214:215]
	v_add_f64 v[114:115], v[114:115], v[116:117]
	v_add_f64 v[196:197], v[250:251], v[246:247]
	v_mul_f64 v[24:25], v[24:25], v[122:123]
	v_add_f64 v[196:197], v[196:197], v[248:249]
	v_fma_f64 v[22:23], v[22:23], v[134:135], -v[24:25]
	v_add_f64 v[22:23], v[196:197], v[22:23]
	v_mul_f64 v[16:17], v[16:17], v[130:131]
	v_add_f64 v[18:19], v[22:23], v[18:19]
	v_fma_f64 v[14:15], v[14:15], v[132:133], -v[16:17]
	v_mul_f64 v[12:13], v[12:13], v[124:125]
	s_waitcnt vmcnt(9)
	v_mul_f64 v[116:117], v[102:103], v[236:237]
	v_add_f64 v[14:15], v[18:19], v[14:15]
	s_waitcnt vmcnt(7)
	v_fmac_f64_e32 v[116:117], v[104:105], v[238:239]
	v_add_f64 v[114:115], v[114:115], v[116:117]
	s_waitcnt vmcnt(5)
	v_mul_f64 v[116:117], v[110:111], v[232:233]
	s_waitcnt vmcnt(4)
	v_fmac_f64_e32 v[116:117], v[112:113], v[234:235]
	v_add_f64 v[210:211], v[114:115], v[116:117]
	ds_read_b128 v[114:117], v1 offset:1520
	buffer_load_dword v254, off, s[0:3], 0 offset:224
	buffer_load_dword v255, off, s[0:3], 0 offset:228
	;; [unrolled: 1-line block ×4, first 2 shown]
	v_fma_f64 v[10:11], v[10:11], v[126:127], -v[12:13]
	v_mul_f64 v[4:5], v[4:5], v[128:129]
	v_add_f64 v[10:11], v[14:15], v[10:11]
	v_fma_f64 v[2:3], v[2:3], v[144:145], -v[4:5]
	v_mul_f64 v[4:5], v[8:9], v[136:137]
	v_add_f64 v[2:3], v[10:11], v[2:3]
	v_fma_f64 v[4:5], v[6:7], v[138:139], -v[4:5]
	v_add_f64 v[2:3], v[2:3], v[4:5]
	v_mul_f64 v[4:5], v[28:29], v[146:147]
	v_fma_f64 v[4:5], v[26:27], v[162:163], -v[4:5]
	v_add_f64 v[2:3], v[2:3], v[4:5]
	v_mul_f64 v[4:5], v[32:33], v[140:141]
	;; [unrolled: 3-line block ×22, first 2 shown]
	v_fma_f64 v[4:5], v[110:111], v[234:235], -v[4:5]
	v_add_f64 v[2:3], v[2:3], v[4:5]
	s_waitcnt vmcnt(6) lgkmcnt(0)
	v_mul_f64 v[4:5], v[116:117], v[240:241]
	s_waitcnt vmcnt(4)
	v_fma_f64 v[4:5], v[114:115], v[242:243], -v[4:5]
	v_mul_f64 v[212:213], v[114:115], v[240:241]
	v_add_f64 v[2:3], v[2:3], v[4:5]
	v_fmac_f64_e32 v[212:213], v[116:117], v[242:243]
	s_waitcnt vmcnt(2)
	v_add_f64 v[2:3], v[254:255], -v[2:3]
	v_accvgpr_read_b32 v254, a143
	v_add_f64 v[244:245], v[210:211], v[212:213]
	v_cmp_lt_u32_e32 vcc, 12, v254
	s_waitcnt vmcnt(0)
	v_add_f64 v[4:5], v[252:253], -v[244:245]
	buffer_store_dword v3, off, s[0:3], 0 offset:228
	buffer_store_dword v2, off, s[0:3], 0 offset:224
	;; [unrolled: 1-line block ×4, first 2 shown]
	s_and_saveexec_b64 s[4:5], vcc
	s_cbranch_execz .LBB111_277
; %bb.276:
	v_accvgpr_read_b32 v0, a131
	buffer_load_dword v2, v0, s[0:3], 0 offen
	buffer_load_dword v3, v0, s[0:3], 0 offen offset:4
	buffer_load_dword v4, v0, s[0:3], 0 offen offset:8
	;; [unrolled: 1-line block ×3, first 2 shown]
	v_mov_b32_e32 v0, 0
	v_accvgpr_read_b32 v1, a144
	buffer_store_dword v0, off, s[0:3], 0 offset:208
	buffer_store_dword v0, off, s[0:3], 0 offset:212
	;; [unrolled: 1-line block ×4, first 2 shown]
	s_waitcnt vmcnt(4)
	ds_write_b128 v1, v[2:5]
.LBB111_277:
	s_or_b64 exec, exec, s[4:5]
	s_waitcnt lgkmcnt(0)
	; wave barrier
	s_waitcnt lgkmcnt(0)
	buffer_load_dword v82, off, s[0:3], 0 offset:224
	buffer_load_dword v83, off, s[0:3], 0 offset:228
	buffer_load_dword v84, off, s[0:3], 0 offset:232
	buffer_load_dword v85, off, s[0:3], 0 offset:236
	buffer_load_dword v86, off, s[0:3], 0 offset:240
	buffer_load_dword v87, off, s[0:3], 0 offset:244
	buffer_load_dword v88, off, s[0:3], 0 offset:248
	buffer_load_dword v89, off, s[0:3], 0 offset:252
	buffer_load_dword v94, off, s[0:3], 0 offset:264
	buffer_load_dword v95, off, s[0:3], 0 offset:268
	buffer_load_dword v103, off, s[0:3], 0 offset:300
	buffer_load_dword v102, off, s[0:3], 0 offset:296
	buffer_load_dword v105, off, s[0:3], 0 offset:292
	buffer_load_dword v104, off, s[0:3], 0 offset:288
	buffer_load_dword v99, off, s[0:3], 0 offset:284
	buffer_load_dword v98, off, s[0:3], 0 offset:280
	buffer_load_dword v119, off, s[0:3], 0 offset:332
	buffer_load_dword v118, off, s[0:3], 0 offset:328
	buffer_load_dword v121, off, s[0:3], 0 offset:324
	buffer_load_dword v120, off, s[0:3], 0 offset:320
	buffer_load_dword v111, off, s[0:3], 0 offset:316
	buffer_load_dword v110, off, s[0:3], 0 offset:312
	buffer_load_dword v123, off, s[0:3], 0 offset:348
	buffer_load_dword v122, off, s[0:3], 0 offset:344
	buffer_load_dword v96, off, s[0:3], 0 offset:256
	buffer_load_dword v97, off, s[0:3], 0 offset:260
	buffer_load_dword v101, off, s[0:3], 0 offset:276
	buffer_load_dword v100, off, s[0:3], 0 offset:272
	buffer_load_dword v113, off, s[0:3], 0 offset:308
	buffer_load_dword v112, off, s[0:3], 0 offset:304
	buffer_load_dword v127, off, s[0:3], 0 offset:340
	buffer_load_dword v126, off, s[0:3], 0 offset:336
	buffer_load_dword v124, off, s[0:3], 0 offset:360
	buffer_load_dword v128, off, s[0:3], 0 offset:352
	buffer_load_dword v129, off, s[0:3], 0 offset:356
	buffer_load_dword v125, off, s[0:3], 0 offset:364
	buffer_load_dword v131, off, s[0:3], 0 offset:396
	buffer_load_dword v130, off, s[0:3], 0 offset:392
	buffer_load_dword v133, off, s[0:3], 0 offset:388
	buffer_load_dword v132, off, s[0:3], 0 offset:384
	buffer_load_dword v135, off, s[0:3], 0 offset:380
	buffer_load_dword v134, off, s[0:3], 0 offset:376
	buffer_load_dword v137, off, s[0:3], 0 offset:372
	buffer_load_dword v136, off, s[0:3], 0 offset:368
	buffer_load_dword v139, off, s[0:3], 0 offset:428
	buffer_load_dword v138, off, s[0:3], 0 offset:424
	buffer_load_dword v141, off, s[0:3], 0 offset:420
	buffer_load_dword v140, off, s[0:3], 0 offset:416
	buffer_load_dword v145, off, s[0:3], 0 offset:412
	buffer_load_dword v144, off, s[0:3], 0 offset:408
	buffer_load_dword v147, off, s[0:3], 0 offset:404
	buffer_load_dword v146, off, s[0:3], 0 offset:400
	buffer_load_dword v143, off, s[0:3], 0 offset:460
	buffer_load_dword v142, off, s[0:3], 0 offset:456
	v_mov_b32_e32 v1, 0
	ds_read_b128 v[90:93], v1 offset:976
	ds_read_b128 v[106:109], v1 offset:992
	;; [unrolled: 1-line block ×9, first 2 shown]
	buffer_load_dword v149, off, s[0:3], 0 offset:452
	buffer_load_dword v148, off, s[0:3], 0 offset:448
	;; [unrolled: 1-line block ×62, first 2 shown]
	v_cmp_lt_u32_e32 vcc, 11, v254
	s_waitcnt vmcnt(62) lgkmcnt(8)
	v_mul_f64 v[14:15], v[90:91], v[84:85]
	v_fmac_f64_e32 v[14:15], v[92:93], v[82:83]
	v_add_f64 v[14:15], v[14:15], 0
	v_mul_f64 v[84:85], v[92:93], v[84:85]
	s_waitcnt lgkmcnt(7)
	v_mul_f64 v[16:17], v[106:107], v[88:89]
	v_fmac_f64_e32 v[16:17], v[108:109], v[86:87]
	s_waitcnt lgkmcnt(6)
	v_mul_f64 v[18:19], v[114:115], v[94:95]
	v_add_f64 v[14:15], v[14:15], v[16:17]
	s_waitcnt lgkmcnt(4)
	v_mul_f64 v[22:23], v[246:247], v[102:103]
	v_fma_f64 v[206:207], v[90:91], v[82:83], -v[84:85]
	v_fmac_f64_e32 v[22:23], v[248:249], v[104:105]
	v_mul_f64 v[88:89], v[108:109], v[88:89]
	v_mul_f64 v[20:21], v[242:243], v[98:99]
	v_fma_f64 v[208:209], v[106:107], v[86:87], -v[88:89]
	s_waitcnt lgkmcnt(2)
	v_mul_f64 v[26:27], v[10:11], v[118:119]
	v_mul_f64 v[94:95], v[116:117], v[94:95]
	v_fmac_f64_e32 v[26:27], v[12:13], v[120:121]
	v_mul_f64 v[98:99], v[244:245], v[98:99]
	v_mul_f64 v[24:25], v[250:251], v[110:111]
	;; [unrolled: 1-line block ×3, first 2 shown]
	s_waitcnt lgkmcnt(1)
	v_mul_f64 v[28:29], v[6:7], v[122:123]
	v_mul_f64 v[110:111], v[252:253], v[110:111]
	v_fmac_f64_e32 v[18:19], v[116:117], v[96:97]
	v_add_f64 v[14:15], v[14:15], v[18:19]
	v_fmac_f64_e32 v[20:21], v[244:245], v[100:101]
	v_add_f64 v[14:15], v[14:15], v[20:21]
	;; [unrolled: 2-line block ×3, first 2 shown]
	v_add_f64 v[14:15], v[14:15], v[24:25]
	v_fmac_f64_e32 v[28:29], v[8:9], v[126:127]
	v_add_f64 v[14:15], v[14:15], v[26:27]
	v_add_f64 v[18:19], v[14:15], v[28:29]
	ds_read_b128 v[14:17], v1 offset:1120
	s_waitcnt lgkmcnt(1)
	v_mul_f64 v[20:21], v[2:3], v[124:125]
	v_fmac_f64_e32 v[20:21], v[4:5], v[128:129]
	v_add_f64 v[22:23], v[18:19], v[20:21]
	ds_read_b128 v[18:21], v1 offset:1136
	s_waitcnt lgkmcnt(1)
	v_mul_f64 v[24:25], v[14:15], v[134:135]
	v_fmac_f64_e32 v[24:25], v[16:17], v[136:137]
	;; [unrolled: 5-line block ×5, first 2 shown]
	v_add_f64 v[38:39], v[34:35], v[36:37]
	ds_read_b128 v[34:37], v1 offset:1200
	s_waitcnt vmcnt(58) lgkmcnt(1)
	v_mul_f64 v[40:41], v[30:31], v[162:163]
	s_waitcnt vmcnt(56)
	v_fmac_f64_e32 v[40:41], v[32:33], v[166:167]
	v_add_f64 v[42:43], v[38:39], v[40:41]
	ds_read_b128 v[38:41], v1 offset:1216
	s_waitcnt lgkmcnt(1)
	v_mul_f64 v[44:45], v[34:35], v[142:143]
	v_fmac_f64_e32 v[44:45], v[36:37], v[148:149]
	v_add_f64 v[46:47], v[42:43], v[44:45]
	ds_read_b128 v[42:45], v1 offset:1232
	s_waitcnt vmcnt(50) lgkmcnt(1)
	v_mul_f64 v[48:49], v[38:39], v[170:171]
	s_waitcnt vmcnt(48)
	v_fmac_f64_e32 v[48:49], v[40:41], v[174:175]
	v_add_f64 v[50:51], v[46:47], v[48:49]
	ds_read_b128 v[46:49], v1 offset:1248
	buffer_load_dword v221, off, s[0:3], 0 offset:700
	buffer_load_dword v220, off, s[0:3], 0 offset:696
	;; [unrolled: 1-line block ×8, first 2 shown]
	s_waitcnt lgkmcnt(1)
	v_mul_f64 v[52:53], v[42:43], v[150:151]
	v_fmac_f64_e32 v[52:53], v[44:45], v[152:153]
	v_add_f64 v[54:55], v[50:51], v[52:53]
	ds_read_b128 v[50:53], v1 offset:1264
	s_waitcnt vmcnt(50) lgkmcnt(1)
	v_mul_f64 v[56:57], v[46:47], v[178:179]
	s_waitcnt vmcnt(48)
	v_fmac_f64_e32 v[56:57], v[48:49], v[182:183]
	buffer_load_dword v225, off, s[0:3], 0 offset:748
	buffer_load_dword v231, off, s[0:3], 0 offset:732
	buffer_load_dword v230, off, s[0:3], 0 offset:728
	buffer_load_dword v237, off, s[0:3], 0 offset:724
	buffer_load_dword v236, off, s[0:3], 0 offset:720
	buffer_load_dword v224, off, s[0:3], 0 offset:744
	buffer_load_dword v235, off, s[0:3], 0 offset:740
	buffer_load_dword v234, off, s[0:3], 0 offset:736
	buffer_load_dword v233, off, s[0:3], 0 offset:764
	buffer_load_dword v232, off, s[0:3], 0 offset:760
	buffer_load_dword v239, off, s[0:3], 0 offset:756
	buffer_load_dword v238, off, s[0:3], 0 offset:752
	v_add_f64 v[58:59], v[54:55], v[56:57]
	ds_read_b128 v[54:57], v1 offset:1280
	s_waitcnt lgkmcnt(1)
	v_mul_f64 v[60:61], v[50:51], v[154:155]
	v_fmac_f64_e32 v[60:61], v[52:53], v[156:157]
	v_add_f64 v[62:63], v[58:59], v[60:61]
	ds_read_b128 v[58:61], v1 offset:1296
	s_waitcnt vmcnt(54) lgkmcnt(1)
	v_mul_f64 v[64:65], v[54:55], v[186:187]
	s_waitcnt vmcnt(52)
	v_fmac_f64_e32 v[64:65], v[56:57], v[190:191]
	v_add_f64 v[66:67], v[62:63], v[64:65]
	ds_read_b128 v[62:65], v1 offset:1312
	s_waitcnt lgkmcnt(1)
	v_mul_f64 v[68:69], v[58:59], v[158:159]
	v_fmac_f64_e32 v[68:69], v[60:61], v[160:161]
	v_add_f64 v[70:71], v[66:67], v[68:69]
	ds_read_b128 v[66:69], v1 offset:1328
	s_waitcnt vmcnt(46) lgkmcnt(1)
	v_mul_f64 v[72:73], v[62:63], v[194:195]
	s_waitcnt vmcnt(44)
	v_fmac_f64_e32 v[72:73], v[64:65], v[198:199]
	v_add_f64 v[78:79], v[70:71], v[72:73]
	ds_read_b128 v[70:73], v1 offset:1344
	ds_read_b128 v[74:77], v1 offset:1360
	s_waitcnt lgkmcnt(2)
	v_mul_f64 v[80:81], v[66:67], v[164:165]
	v_fmac_f64_e32 v[80:81], v[68:69], v[168:169]
	v_add_f64 v[78:79], v[78:79], v[80:81]
	s_waitcnt vmcnt(38) lgkmcnt(1)
	v_mul_f64 v[80:81], v[70:71], v[200:201]
	s_waitcnt vmcnt(36)
	v_fmac_f64_e32 v[80:81], v[72:73], v[202:203]
	v_add_f64 v[78:79], v[78:79], v[80:81]
	s_waitcnt lgkmcnt(0)
	v_mul_f64 v[80:81], v[74:75], v[172:173]
	v_fmac_f64_e32 v[80:81], v[76:77], v[176:177]
	v_add_f64 v[196:197], v[78:79], v[80:81]
	ds_read_b128 v[78:81], v1 offset:1376
	ds_read_b128 v[82:85], v1 offset:1392
	;; [unrolled: 1-line block ×3, first 2 shown]
	v_fma_f64 v[210:211], v[242:243], v[100:101], -v[98:99]
	ds_read_b128 v[98:101], v1 offset:1456
	s_waitcnt vmcnt(30) lgkmcnt(3)
	v_mul_f64 v[90:91], v[78:79], v[204:205]
	s_waitcnt vmcnt(28)
	v_fmac_f64_e32 v[90:91], v[80:81], v[214:215]
	s_waitcnt lgkmcnt(2)
	v_mul_f64 v[92:93], v[82:83], v[180:181]
	v_add_f64 v[90:91], v[196:197], v[90:91]
	v_fmac_f64_e32 v[92:93], v[84:85], v[184:185]
	v_add_f64 v[90:91], v[90:91], v[92:93]
	v_fma_f64 v[196:197], v[114:115], v[96:97], -v[94:95]
	ds_read_b128 v[94:97], v1 offset:1440
	s_waitcnt vmcnt(22) lgkmcnt(2)
	v_mul_f64 v[92:93], v[86:87], v[216:217]
	s_waitcnt vmcnt(20)
	v_fmac_f64_e32 v[92:93], v[88:89], v[218:219]
	v_add_f64 v[106:107], v[90:91], v[92:93]
	ds_read_b128 v[90:93], v1 offset:1424
	buffer_load_dword v240, off, s[0:3], 0 offset:776
	v_fma_f64 v[212:213], v[246:247], v[104:105], -v[102:103]
	ds_read_b128 v[102:105], v1 offset:1472
	v_fma_f64 v[250:251], v[250:251], v[112:113], -v[110:111]
	s_waitcnt lgkmcnt(1)
	v_mul_f64 v[108:109], v[90:91], v[188:189]
	v_fmac_f64_e32 v[108:109], v[92:93], v[192:193]
	v_add_f64 v[106:107], v[106:107], v[108:109]
	ds_read_b128 v[110:113], v1 offset:1504
	v_add_f64 v[206:207], v[206:207], 0
	v_add_f64 v[206:207], v[206:207], v[208:209]
	;; [unrolled: 1-line block ×5, first 2 shown]
	v_mul_f64 v[12:13], v[12:13], v[118:119]
	v_add_f64 v[196:197], v[252:253], v[250:251]
	v_fma_f64 v[10:11], v[10:11], v[120:121], -v[12:13]
	v_mul_f64 v[8:9], v[8:9], v[122:123]
	v_add_f64 v[10:11], v[196:197], v[10:11]
	v_fma_f64 v[6:7], v[6:7], v[126:127], -v[8:9]
	;; [unrolled: 3-line block ×3, first 2 shown]
	v_mul_f64 v[4:5], v[16:17], v[134:135]
	v_add_f64 v[2:3], v[6:7], v[2:3]
	s_waitcnt vmcnt(19)
	v_mul_f64 v[108:109], v[94:95], v[220:221]
	v_fma_f64 v[4:5], v[14:15], v[136:137], -v[4:5]
	s_waitcnt vmcnt(17)
	v_fmac_f64_e32 v[108:109], v[96:97], v[222:223]
	v_add_f64 v[106:107], v[106:107], v[108:109]
	s_waitcnt vmcnt(15)
	v_mul_f64 v[108:109], v[98:99], v[226:227]
	s_waitcnt vmcnt(13)
	v_fmac_f64_e32 v[108:109], v[100:101], v[228:229]
	v_add_f64 v[114:115], v[106:107], v[108:109]
	ds_read_b128 v[106:109], v1 offset:1488
	buffer_load_dword v244, off, s[0:3], 0 offset:768
	buffer_load_dword v241, off, s[0:3], 0 offset:780
	;; [unrolled: 1-line block ×3, first 2 shown]
	s_waitcnt vmcnt(13) lgkmcnt(2)
	v_mul_f64 v[116:117], v[102:103], v[230:231]
	s_waitcnt vmcnt(11)
	v_fmac_f64_e32 v[116:117], v[104:105], v[236:237]
	v_add_f64 v[114:115], v[114:115], v[116:117]
	s_waitcnt vmcnt(10) lgkmcnt(0)
	v_mul_f64 v[116:117], v[106:107], v[224:225]
	s_waitcnt vmcnt(8)
	v_fmac_f64_e32 v[116:117], v[108:109], v[234:235]
	v_add_f64 v[114:115], v[114:115], v[116:117]
	s_waitcnt vmcnt(6)
	v_mul_f64 v[116:117], v[110:111], v[232:233]
	s_waitcnt vmcnt(4)
	v_fmac_f64_e32 v[116:117], v[112:113], v[238:239]
	v_add_f64 v[242:243], v[114:115], v[116:117]
	ds_read_b128 v[114:117], v1 offset:1520
	buffer_load_dword v248, off, s[0:3], 0 offset:208
	buffer_load_dword v249, off, s[0:3], 0 offset:212
	v_add_f64 v[2:3], v[2:3], v[4:5]
	v_mul_f64 v[4:5], v[20:21], v[130:131]
	v_fma_f64 v[4:5], v[18:19], v[132:133], -v[4:5]
	v_add_f64 v[2:3], v[2:3], v[4:5]
	v_mul_f64 v[4:5], v[24:25], v[144:145]
	v_fma_f64 v[4:5], v[22:23], v[146:147], -v[4:5]
	;; [unrolled: 3-line block ×22, first 2 shown]
	v_add_f64 v[2:3], v[2:3], v[4:5]
	s_waitcnt vmcnt(3) lgkmcnt(0)
	v_mul_f64 v[246:247], v[114:115], v[240:241]
	s_waitcnt vmcnt(2)
	v_fmac_f64_e32 v[246:247], v[116:117], v[244:245]
	v_add_f64 v[242:243], v[242:243], v[246:247]
	buffer_load_dword v246, off, s[0:3], 0 offset:216
	buffer_load_dword v247, off, s[0:3], 0 offset:220
	v_mul_f64 v[4:5], v[108:109], v[224:225]
	v_fma_f64 v[4:5], v[106:107], v[234:235], -v[4:5]
	v_add_f64 v[2:3], v[2:3], v[4:5]
	v_mul_f64 v[4:5], v[112:113], v[232:233]
	v_fma_f64 v[4:5], v[110:111], v[238:239], -v[4:5]
	v_add_f64 v[2:3], v[2:3], v[4:5]
	;; [unrolled: 3-line block ×3, first 2 shown]
	s_waitcnt vmcnt(2)
	v_add_f64 v[2:3], v[248:249], -v[2:3]
	s_waitcnt vmcnt(0)
	v_add_f64 v[4:5], v[246:247], -v[242:243]
	buffer_store_dword v3, off, s[0:3], 0 offset:212
	buffer_store_dword v2, off, s[0:3], 0 offset:208
	;; [unrolled: 1-line block ×4, first 2 shown]
	s_and_saveexec_b64 s[4:5], vcc
	s_cbranch_execz .LBB111_279
; %bb.278:
	v_accvgpr_read_b32 v0, a132
	buffer_load_dword v2, v0, s[0:3], 0 offen
	buffer_load_dword v3, v0, s[0:3], 0 offen offset:4
	buffer_load_dword v4, v0, s[0:3], 0 offen offset:8
	;; [unrolled: 1-line block ×3, first 2 shown]
	v_accvgpr_read_b32 v0, a144
	buffer_store_dword v1, off, s[0:3], 0 offset:192
	buffer_store_dword v1, off, s[0:3], 0 offset:196
	;; [unrolled: 1-line block ×4, first 2 shown]
	s_waitcnt vmcnt(4)
	ds_write_b128 v0, v[2:5]
.LBB111_279:
	s_or_b64 exec, exec, s[4:5]
	s_waitcnt lgkmcnt(0)
	; wave barrier
	s_waitcnt lgkmcnt(0)
	buffer_load_dword v84, off, s[0:3], 0 offset:208
	buffer_load_dword v85, off, s[0:3], 0 offset:212
	;; [unrolled: 1-line block ×34, first 2 shown]
	ds_read_b128 v[74:77], v1 offset:960
	ds_read_b128 v[78:81], v1 offset:976
	ds_read_b128 v[86:89], v1 offset:992
	ds_read_b128 v[90:93], v1 offset:1008
	ds_read_b128 v[98:101], v1 offset:1024
	ds_read_b128 v[102:105], v1 offset:1040
	ds_read_b128 v[110:113], v1 offset:1056
	ds_read_b128 v[2:5], v1 offset:1072
	buffer_load_dword v125, off, s[0:3], 0 offset:324
	buffer_load_dword v124, off, s[0:3], 0 offset:320
	ds_read_b128 v[6:9], v1 offset:1088
	buffer_load_dword v127, off, s[0:3], 0 offset:380
	buffer_load_dword v126, off, s[0:3], 0 offset:376
	;; [unrolled: 1-line block ×80, first 2 shown]
	s_waitcnt vmcnt(62) lgkmcnt(8)
	v_mul_f64 v[10:11], v[74:75], v[106:107]
	v_fmac_f64_e32 v[10:11], v[76:77], v[84:85]
	v_add_f64 v[10:11], v[10:11], 0
	v_mul_f64 v[76:77], v[76:77], v[106:107]
	s_waitcnt lgkmcnt(7)
	v_mul_f64 v[12:13], v[78:79], v[96:97]
	v_fmac_f64_e32 v[12:13], v[80:81], v[82:83]
	s_waitcnt lgkmcnt(6)
	v_mul_f64 v[14:15], v[86:87], v[94:95]
	v_add_f64 v[10:11], v[10:11], v[12:13]
	s_waitcnt lgkmcnt(4)
	v_mul_f64 v[18:19], v[98:99], v[108:109]
	v_fma_f64 v[206:207], v[74:75], v[84:85], -v[76:77]
	v_fmac_f64_e32 v[18:19], v[100:101], v[114:115]
	v_mul_f64 v[80:81], v[80:81], v[96:97]
	v_mul_f64 v[16:17], v[90:91], v[116:117]
	v_fma_f64 v[208:209], v[78:79], v[82:83], -v[80:81]
	s_waitcnt lgkmcnt(2)
	v_mul_f64 v[22:23], v[110:111], v[240:241]
	v_mul_f64 v[100:101], v[100:101], v[108:109]
	v_fma_f64 v[212:213], v[98:99], v[114:115], -v[100:101]
	v_mul_f64 v[20:21], v[102:103], v[244:245]
	v_add_f64 v[206:207], v[206:207], 0
	s_waitcnt lgkmcnt(1)
	v_mul_f64 v[24:25], v[2:3], v[118:119]
	v_add_f64 v[206:207], v[206:207], v[208:209]
	v_fmac_f64_e32 v[14:15], v[88:89], v[250:251]
	v_add_f64 v[10:11], v[10:11], v[14:15]
	v_fmac_f64_e32 v[16:17], v[92:93], v[248:249]
	;; [unrolled: 2-line block ×4, first 2 shown]
	v_add_f64 v[10:11], v[10:11], v[20:21]
	v_add_f64 v[10:11], v[10:11], v[22:23]
	s_waitcnt lgkmcnt(0)
	v_mul_f64 v[16:17], v[6:7], v[120:121]
	v_fmac_f64_e32 v[16:17], v[8:9], v[122:123]
	v_fmac_f64_e32 v[24:25], v[4:5], v[124:125]
	v_add_f64 v[14:15], v[10:11], v[24:25]
	ds_read_b128 v[10:13], v1 offset:1104
	v_add_f64 v[18:19], v[14:15], v[16:17]
	ds_read_b128 v[14:17], v1 offset:1120
	v_mul_f64 v[88:89], v[88:89], v[94:95]
	v_mul_f64 v[92:93], v[92:93], v[116:117]
	s_waitcnt lgkmcnt(1)
	v_mul_f64 v[20:21], v[10:11], v[130:131]
	v_fmac_f64_e32 v[20:21], v[12:13], v[132:133]
	s_waitcnt lgkmcnt(0)
	v_mul_f64 v[24:25], v[14:15], v[126:127]
	v_add_f64 v[22:23], v[18:19], v[20:21]
	ds_read_b128 v[18:21], v1 offset:1136
	v_fmac_f64_e32 v[24:25], v[16:17], v[128:129]
	v_add_f64 v[26:27], v[22:23], v[24:25]
	ds_read_b128 v[22:25], v1 offset:1152
	v_fma_f64 v[210:211], v[90:91], v[248:249], -v[92:93]
	s_waitcnt lgkmcnt(1)
	v_mul_f64 v[28:29], v[18:19], v[142:143]
	v_fmac_f64_e32 v[28:29], v[20:21], v[144:145]
	v_add_f64 v[30:31], v[26:27], v[28:29]
	s_waitcnt lgkmcnt(0)
	v_mul_f64 v[32:33], v[22:23], v[134:135]
	ds_read_b128 v[26:29], v1 offset:1168
	v_fmac_f64_e32 v[32:33], v[24:25], v[136:137]
	v_add_f64 v[34:35], v[30:31], v[32:33]
	ds_read_b128 v[30:33], v1 offset:1184
	v_mul_f64 v[104:105], v[104:105], v[244:245]
	s_waitcnt vmcnt(58) lgkmcnt(1)
	v_mul_f64 v[36:37], v[26:27], v[158:159]
	s_waitcnt vmcnt(56)
	v_fmac_f64_e32 v[36:37], v[28:29], v[162:163]
	v_add_f64 v[38:39], v[34:35], v[36:37]
	s_waitcnt lgkmcnt(0)
	v_mul_f64 v[40:41], v[30:31], v[138:139]
	ds_read_b128 v[34:37], v1 offset:1200
	v_fmac_f64_e32 v[40:41], v[32:33], v[140:141]
	v_add_f64 v[42:43], v[38:39], v[40:41]
	ds_read_b128 v[38:41], v1 offset:1216
	v_mul_f64 v[112:113], v[112:113], v[240:241]
	s_waitcnt vmcnt(50) lgkmcnt(1)
	v_mul_f64 v[44:45], v[34:35], v[166:167]
	s_waitcnt vmcnt(48)
	v_fmac_f64_e32 v[44:45], v[36:37], v[170:171]
	v_add_f64 v[46:47], v[42:43], v[44:45]
	s_waitcnt lgkmcnt(0)
	v_mul_f64 v[48:49], v[38:39], v[146:147]
	v_fmac_f64_e32 v[48:49], v[40:41], v[148:149]
	ds_read_b128 v[42:45], v1 offset:1232
	v_add_f64 v[50:51], v[46:47], v[48:49]
	ds_read_b128 v[46:49], v1 offset:1248
	buffer_load_dword v217, off, s[0:3], 0 offset:700
	buffer_load_dword v219, off, s[0:3], 0 offset:684
	;; [unrolled: 1-line block ×12, first 2 shown]
	v_fma_f64 v[252:253], v[110:111], v[242:243], -v[112:113]
	s_waitcnt vmcnt(54) lgkmcnt(1)
	v_mul_f64 v[52:53], v[42:43], v[174:175]
	s_waitcnt vmcnt(52)
	v_fmac_f64_e32 v[52:53], v[44:45], v[178:179]
	v_add_f64 v[54:55], v[50:51], v[52:53]
	ds_read_b128 v[50:53], v1 offset:1264
	s_waitcnt lgkmcnt(1)
	v_mul_f64 v[56:57], v[46:47], v[150:151]
	v_fmac_f64_e32 v[56:57], v[48:49], v[152:153]
	buffer_load_dword v231, off, s[0:3], 0 offset:732
	buffer_load_dword v230, off, s[0:3], 0 offset:728
	;; [unrolled: 1-line block ×12, first 2 shown]
	v_add_f64 v[58:59], v[54:55], v[56:57]
	ds_read_b128 v[54:57], v1 offset:1280
	s_waitcnt vmcnt(58) lgkmcnt(1)
	v_mul_f64 v[60:61], v[50:51], v[182:183]
	s_waitcnt vmcnt(56)
	v_fmac_f64_e32 v[60:61], v[52:53], v[186:187]
	v_add_f64 v[62:63], v[58:59], v[60:61]
	ds_read_b128 v[58:61], v1 offset:1296
	s_waitcnt lgkmcnt(1)
	v_mul_f64 v[64:65], v[54:55], v[154:155]
	v_fmac_f64_e32 v[64:65], v[56:57], v[156:157]
	v_add_f64 v[70:71], v[62:63], v[64:65]
	ds_read_b128 v[62:65], v1 offset:1312
	ds_read_b128 v[66:69], v1 offset:1328
	s_waitcnt vmcnt(50) lgkmcnt(2)
	v_mul_f64 v[72:73], v[58:59], v[190:191]
	s_waitcnt vmcnt(48)
	v_fmac_f64_e32 v[72:73], v[60:61], v[192:193]
	v_add_f64 v[70:71], v[70:71], v[72:73]
	s_waitcnt lgkmcnt(1)
	v_mul_f64 v[72:73], v[62:63], v[160:161]
	v_fmac_f64_e32 v[72:73], v[64:65], v[164:165]
	v_add_f64 v[70:71], v[70:71], v[72:73]
	s_waitcnt vmcnt(42) lgkmcnt(0)
	v_mul_f64 v[72:73], v[66:67], v[194:195]
	s_waitcnt vmcnt(40)
	v_fmac_f64_e32 v[72:73], v[68:69], v[198:199]
	v_add_f64 v[196:197], v[70:71], v[72:73]
	ds_read_b128 v[70:73], v1 offset:1344
	ds_read_b128 v[74:77], v1 offset:1360
	;; [unrolled: 1-line block ×5, first 2 shown]
	s_waitcnt lgkmcnt(4)
	v_mul_f64 v[84:85], v[70:71], v[168:169]
	v_fmac_f64_e32 v[84:85], v[72:73], v[172:173]
	v_add_f64 v[82:83], v[196:197], v[84:85]
	s_waitcnt vmcnt(34) lgkmcnt(3)
	v_mul_f64 v[84:85], v[74:75], v[200:201]
	s_waitcnt vmcnt(32)
	v_fmac_f64_e32 v[84:85], v[76:77], v[202:203]
	v_add_f64 v[82:83], v[82:83], v[84:85]
	v_fma_f64 v[196:197], v[86:87], v[250:251], -v[88:89]
	ds_read_b128 v[86:89], v1 offset:1408
	s_waitcnt lgkmcnt(3)
	v_mul_f64 v[84:85], v[78:79], v[176:177]
	v_fmac_f64_e32 v[84:85], v[80:81], v[180:181]
	v_add_f64 v[96:97], v[82:83], v[84:85]
	ds_read_b128 v[82:85], v1 offset:1392
	v_fma_f64 v[250:251], v[102:103], v[246:247], -v[104:105]
	ds_read_b128 v[110:113], v1 offset:1504
	v_add_f64 v[196:197], v[206:207], v[196:197]
	v_add_f64 v[196:197], v[196:197], v[210:211]
	s_waitcnt vmcnt(26) lgkmcnt(1)
	v_mul_f64 v[94:95], v[82:83], v[204:205]
	s_waitcnt vmcnt(24)
	v_fmac_f64_e32 v[94:95], v[84:85], v[214:215]
	v_add_f64 v[94:95], v[96:97], v[94:95]
	v_mul_f64 v[96:97], v[86:87], v[184:185]
	v_fmac_f64_e32 v[96:97], v[88:89], v[188:189]
	v_add_f64 v[106:107], v[94:95], v[96:97]
	ds_read_b128 v[94:97], v1 offset:1440
	v_add_f64 v[254:255], v[196:197], v[212:213]
	v_add_f64 v[196:197], v[254:255], v[250:251]
	v_mul_f64 v[4:5], v[4:5], v[118:119]
	v_add_f64 v[196:197], v[196:197], v[252:253]
	ds_read_b128 v[102:105], v1 offset:1488
	v_fma_f64 v[2:3], v[2:3], v[124:125], -v[4:5]
	v_mul_f64 v[4:5], v[8:9], v[120:121]
	v_add_f64 v[2:3], v[196:197], v[2:3]
	v_fma_f64 v[4:5], v[6:7], v[122:123], -v[4:5]
	v_add_f64 v[2:3], v[2:3], v[4:5]
	v_mul_f64 v[4:5], v[12:13], v[130:131]
	v_fma_f64 v[4:5], v[10:11], v[132:133], -v[4:5]
	v_add_f64 v[2:3], v[2:3], v[4:5]
	v_mul_f64 v[4:5], v[16:17], v[126:127]
	s_waitcnt vmcnt(21)
	v_mul_f64 v[108:109], v[90:91], v[218:219]
	v_fma_f64 v[4:5], v[14:15], v[128:129], -v[4:5]
	s_waitcnt vmcnt(19)
	v_fmac_f64_e32 v[108:109], v[92:93], v[224:225]
	v_add_f64 v[106:107], v[106:107], v[108:109]
	s_waitcnt vmcnt(18) lgkmcnt(1)
	v_mul_f64 v[108:109], v[94:95], v[216:217]
	s_waitcnt vmcnt(16)
	v_fmac_f64_e32 v[108:109], v[96:97], v[222:223]
	v_add_f64 v[114:115], v[106:107], v[108:109]
	ds_read_b128 v[106:109], v1 offset:1472
	buffer_load_dword v243, off, s[0:3], 0 offset:780
	buffer_load_dword v242, off, s[0:3], 0 offset:776
	;; [unrolled: 1-line block ×4, first 2 shown]
	s_waitcnt vmcnt(18)
	v_mul_f64 v[116:117], v[98:99], v[220:221]
	s_waitcnt vmcnt(16)
	v_fmac_f64_e32 v[116:117], v[100:101], v[226:227]
	v_add_f64 v[114:115], v[114:115], v[116:117]
	s_waitcnt vmcnt(14) lgkmcnt(0)
	v_mul_f64 v[116:117], v[106:107], v[230:231]
	s_waitcnt vmcnt(12)
	v_fmac_f64_e32 v[116:117], v[108:109], v[232:233]
	v_add_f64 v[114:115], v[114:115], v[116:117]
	s_waitcnt vmcnt(9)
	v_mul_f64 v[116:117], v[102:103], v[236:237]
	s_waitcnt vmcnt(7)
	v_fmac_f64_e32 v[116:117], v[104:105], v[238:239]
	v_add_f64 v[114:115], v[114:115], v[116:117]
	s_waitcnt vmcnt(5)
	v_mul_f64 v[116:117], v[110:111], v[228:229]
	s_waitcnt vmcnt(4)
	v_fmac_f64_e32 v[116:117], v[112:113], v[234:235]
	v_add_f64 v[240:241], v[114:115], v[116:117]
	ds_read_b128 v[114:117], v1 offset:1520
	v_add_f64 v[2:3], v[2:3], v[4:5]
	v_mul_f64 v[4:5], v[20:21], v[142:143]
	v_fma_f64 v[4:5], v[18:19], v[144:145], -v[4:5]
	v_add_f64 v[2:3], v[2:3], v[4:5]
	v_mul_f64 v[4:5], v[24:25], v[134:135]
	v_fma_f64 v[4:5], v[22:23], v[136:137], -v[4:5]
	;; [unrolled: 3-line block ×21, first 2 shown]
	v_add_f64 v[2:3], v[2:3], v[4:5]
	s_waitcnt vmcnt(2) lgkmcnt(0)
	v_mul_f64 v[246:247], v[114:115], v[242:243]
	v_mul_f64 v[4:5], v[108:109], v[230:231]
	s_waitcnt vmcnt(0)
	v_fmac_f64_e32 v[246:247], v[116:117], v[244:245]
	v_add_f64 v[240:241], v[240:241], v[246:247]
	buffer_load_dword v248, off, s[0:3], 0 offset:192
	buffer_load_dword v249, off, s[0:3], 0 offset:196
	;; [unrolled: 1-line block ×4, first 2 shown]
	v_fma_f64 v[4:5], v[106:107], v[232:233], -v[4:5]
	v_add_f64 v[2:3], v[2:3], v[4:5]
	v_mul_f64 v[4:5], v[104:105], v[236:237]
	v_fma_f64 v[4:5], v[102:103], v[238:239], -v[4:5]
	v_add_f64 v[2:3], v[2:3], v[4:5]
	v_mul_f64 v[4:5], v[112:113], v[228:229]
	;; [unrolled: 3-line block ×3, first 2 shown]
	v_fma_f64 v[4:5], v[114:115], v[244:245], -v[4:5]
	v_add_f64 v[2:3], v[2:3], v[4:5]
	v_accvgpr_read_b32 v254, a143
	v_cmp_lt_u32_e32 vcc, 10, v254
	s_waitcnt vmcnt(2)
	v_add_f64 v[2:3], v[248:249], -v[2:3]
	s_waitcnt vmcnt(0)
	v_add_f64 v[4:5], v[246:247], -v[240:241]
	buffer_store_dword v3, off, s[0:3], 0 offset:196
	buffer_store_dword v2, off, s[0:3], 0 offset:192
	buffer_store_dword v5, off, s[0:3], 0 offset:204
	buffer_store_dword v4, off, s[0:3], 0 offset:200
	s_and_saveexec_b64 s[4:5], vcc
	s_cbranch_execz .LBB111_281
; %bb.280:
	v_accvgpr_read_b32 v0, a133
	buffer_load_dword v2, v0, s[0:3], 0 offen
	buffer_load_dword v3, v0, s[0:3], 0 offen offset:4
	buffer_load_dword v4, v0, s[0:3], 0 offen offset:8
	;; [unrolled: 1-line block ×3, first 2 shown]
	v_mov_b32_e32 v0, 0
	v_accvgpr_read_b32 v1, a144
	buffer_store_dword v0, off, s[0:3], 0 offset:176
	buffer_store_dword v0, off, s[0:3], 0 offset:180
	buffer_store_dword v0, off, s[0:3], 0 offset:184
	buffer_store_dword v0, off, s[0:3], 0 offset:188
	s_waitcnt vmcnt(4)
	ds_write_b128 v1, v[2:5]
.LBB111_281:
	s_or_b64 exec, exec, s[4:5]
	s_waitcnt lgkmcnt(0)
	; wave barrier
	s_waitcnt lgkmcnt(0)
	buffer_load_dword v66, off, s[0:3], 0 offset:192
	buffer_load_dword v67, off, s[0:3], 0 offset:196
	;; [unrolled: 1-line block ×55, first 2 shown]
	v_mov_b32_e32 v1, 0
	ds_read_b128 v[74:77], v1 offset:944
	ds_read_b128 v[86:89], v1 offset:960
	;; [unrolled: 1-line block ×9, first 2 shown]
	buffer_load_dword v136, off, s[0:3], 0 offset:416
	buffer_load_dword v155, off, s[0:3], 0 offset:412
	;; [unrolled: 1-line block ×61, first 2 shown]
	v_cmp_lt_u32_e32 vcc, 9, v254
	s_waitcnt vmcnt(62) lgkmcnt(8)
	v_mul_f64 v[6:7], v[74:75], v[68:69]
	v_fmac_f64_e32 v[6:7], v[76:77], v[66:67]
	v_add_f64 v[6:7], v[6:7], 0
	v_mul_f64 v[68:69], v[76:77], v[68:69]
	s_waitcnt lgkmcnt(7)
	v_mul_f64 v[8:9], v[86:87], v[72:73]
	v_fmac_f64_e32 v[8:9], v[88:89], v[70:71]
	s_waitcnt lgkmcnt(6)
	v_mul_f64 v[10:11], v[98:99], v[78:79]
	v_add_f64 v[6:7], v[6:7], v[8:9]
	s_waitcnt lgkmcnt(4)
	v_mul_f64 v[14:15], v[114:115], v[90:91]
	v_fma_f64 v[206:207], v[74:75], v[66:67], -v[68:69]
	v_fmac_f64_e32 v[14:15], v[116:117], v[92:93]
	v_mul_f64 v[72:73], v[88:89], v[72:73]
	v_mul_f64 v[12:13], v[110:111], v[82:83]
	;; [unrolled: 1-line block ×3, first 2 shown]
	s_waitcnt lgkmcnt(2)
	v_mul_f64 v[18:19], v[244:245], v[102:103]
	v_mul_f64 v[82:83], v[112:113], v[82:83]
	;; [unrolled: 1-line block ×4, first 2 shown]
	v_fma_f64 v[212:213], v[114:115], v[92:93], -v[90:91]
	s_waitcnt lgkmcnt(1)
	v_mul_f64 v[20:21], v[248:249], v[106:107]
	v_fmac_f64_e32 v[20:21], v[250:251], v[108:109]
	v_fmac_f64_e32 v[10:11], v[100:101], v[80:81]
	v_add_f64 v[6:7], v[6:7], v[10:11]
	v_fmac_f64_e32 v[12:13], v[112:113], v[84:85]
	v_add_f64 v[6:7], v[6:7], v[12:13]
	;; [unrolled: 2-line block ×4, first 2 shown]
	v_add_f64 v[6:7], v[6:7], v[18:19]
	v_add_f64 v[10:11], v[6:7], v[20:21]
	ds_read_b128 v[6:9], v1 offset:1088
	s_waitcnt lgkmcnt(1)
	v_mul_f64 v[12:13], v[2:3], v[118:119]
	v_fmac_f64_e32 v[12:13], v[4:5], v[120:121]
	v_add_f64 v[14:15], v[10:11], v[12:13]
	ds_read_b128 v[10:13], v1 offset:1104
	s_waitcnt lgkmcnt(1)
	v_mul_f64 v[16:17], v[6:7], v[126:127]
	v_fmac_f64_e32 v[16:17], v[8:9], v[128:129]
	;; [unrolled: 5-line block ×5, first 2 shown]
	v_add_f64 v[30:31], v[26:27], v[28:29]
	ds_read_b128 v[26:29], v1 offset:1168
	s_waitcnt vmcnt(58) lgkmcnt(1)
	v_mul_f64 v[32:33], v[22:23], v[154:155]
	s_waitcnt vmcnt(56)
	v_fmac_f64_e32 v[32:33], v[24:25], v[158:159]
	v_add_f64 v[34:35], v[30:31], v[32:33]
	ds_read_b128 v[30:33], v1 offset:1184
	s_waitcnt lgkmcnt(1)
	v_mul_f64 v[36:37], v[26:27], v[134:135]
	v_fmac_f64_e32 v[36:37], v[28:29], v[136:137]
	v_add_f64 v[38:39], v[34:35], v[36:37]
	ds_read_b128 v[34:37], v1 offset:1200
	s_waitcnt vmcnt(50) lgkmcnt(1)
	v_mul_f64 v[40:41], v[30:31], v[162:163]
	s_waitcnt vmcnt(48)
	v_fmac_f64_e32 v[40:41], v[32:33], v[166:167]
	v_add_f64 v[42:43], v[38:39], v[40:41]
	ds_read_b128 v[38:41], v1 offset:1216
	s_waitcnt lgkmcnt(1)
	v_mul_f64 v[44:45], v[34:35], v[142:143]
	v_fmac_f64_e32 v[44:45], v[36:37], v[144:145]
	v_add_f64 v[46:47], v[42:43], v[44:45]
	ds_read_b128 v[42:45], v1 offset:1232
	s_waitcnt vmcnt(42) lgkmcnt(1)
	v_mul_f64 v[48:49], v[38:39], v[170:171]
	s_waitcnt vmcnt(40)
	v_fmac_f64_e32 v[48:49], v[40:41], v[174:175]
	v_add_f64 v[50:51], v[46:47], v[48:49]
	ds_read_b128 v[46:49], v1 offset:1248
	buffer_load_dword v205, off, s[0:3], 0 offset:668
	buffer_load_dword v204, off, s[0:3], 0 offset:664
	;; [unrolled: 1-line block ×4, first 2 shown]
	s_waitcnt lgkmcnt(1)
	v_mul_f64 v[52:53], v[42:43], v[146:147]
	v_fmac_f64_e32 v[52:53], v[44:45], v[148:149]
	v_add_f64 v[54:55], v[50:51], v[52:53]
	ds_read_b128 v[50:53], v1 offset:1264
	buffer_load_dword v217, off, s[0:3], 0 offset:684
	buffer_load_dword v216, off, s[0:3], 0 offset:680
	buffer_load_dword v221, off, s[0:3], 0 offset:676
	buffer_load_dword v220, off, s[0:3], 0 offset:672
	buffer_load_dword v219, off, s[0:3], 0 offset:700
	buffer_load_dword v218, off, s[0:3], 0 offset:696
	buffer_load_dword v223, off, s[0:3], 0 offset:692
	buffer_load_dword v222, off, s[0:3], 0 offset:688
	s_waitcnt vmcnt(46) lgkmcnt(1)
	v_mul_f64 v[56:57], v[46:47], v[178:179]
	s_waitcnt vmcnt(44)
	v_fmac_f64_e32 v[56:57], v[48:49], v[182:183]
	v_add_f64 v[58:59], v[54:55], v[56:57]
	ds_read_b128 v[54:57], v1 offset:1280
	buffer_load_dword v227, off, s[0:3], 0 offset:716
	buffer_load_dword v226, off, s[0:3], 0 offset:712
	;; [unrolled: 1-line block ×12, first 2 shown]
	s_waitcnt lgkmcnt(1)
	v_mul_f64 v[60:61], v[50:51], v[150:151]
	v_fmac_f64_e32 v[60:61], v[52:53], v[152:153]
	v_add_f64 v[62:63], v[58:59], v[60:61]
	ds_read_b128 v[58:61], v1 offset:1296
	s_waitcnt vmcnt(50) lgkmcnt(1)
	v_mul_f64 v[64:65], v[54:55], v[186:187]
	s_waitcnt vmcnt(48)
	v_fmac_f64_e32 v[64:65], v[56:57], v[188:189]
	v_add_f64 v[62:63], v[62:63], v[64:65]
	buffer_load_dword v237, off, s[0:3], 0 offset:764
	buffer_load_dword v236, off, s[0:3], 0 offset:760
	buffer_load_dword v239, off, s[0:3], 0 offset:756
	buffer_load_dword v238, off, s[0:3], 0 offset:752
	s_waitcnt lgkmcnt(0)
	v_mul_f64 v[64:65], v[58:59], v[156:157]
	v_fmac_f64_e32 v[64:65], v[60:61], v[160:161]
	v_add_f64 v[196:197], v[62:63], v[64:65]
	ds_read_b128 v[62:65], v1 offset:1312
	ds_read_b128 v[66:69], v1 offset:1328
	v_fma_f64 v[208:209], v[98:99], v[80:81], -v[78:79]
	ds_read_b128 v[78:81], v1 offset:1376
	v_fma_f64 v[210:211], v[110:111], v[84:85], -v[82:83]
	ds_read_b128 v[82:85], v1 offset:1392
	s_waitcnt vmcnt(46) lgkmcnt(3)
	v_mul_f64 v[74:75], v[62:63], v[190:191]
	s_waitcnt vmcnt(44)
	v_fmac_f64_e32 v[74:75], v[64:65], v[192:193]
	v_add_f64 v[74:75], v[196:197], v[74:75]
	v_fma_f64 v[196:197], v[86:87], v[70:71], -v[72:73]
	ds_read_b128 v[70:73], v1 offset:1344
	s_waitcnt lgkmcnt(3)
	v_mul_f64 v[76:77], v[66:67], v[164:165]
	v_fmac_f64_e32 v[76:77], v[68:69], v[168:169]
	v_add_f64 v[86:87], v[74:75], v[76:77]
	ds_read_b128 v[74:77], v1 offset:1360
	s_waitcnt vmcnt(38) lgkmcnt(1)
	v_mul_f64 v[88:89], v[70:71], v[194:195]
	s_waitcnt vmcnt(36)
	v_fmac_f64_e32 v[88:89], v[72:73], v[198:199]
	v_add_f64 v[86:87], v[86:87], v[88:89]
	ds_read_b128 v[90:93], v1 offset:1424
	s_waitcnt lgkmcnt(1)
	v_mul_f64 v[88:89], v[74:75], v[172:173]
	v_fmac_f64_e32 v[88:89], v[76:77], v[176:177]
	v_add_f64 v[86:87], v[86:87], v[88:89]
	s_waitcnt vmcnt(30)
	v_mul_f64 v[88:89], v[78:79], v[200:201]
	s_waitcnt vmcnt(28)
	v_fmac_f64_e32 v[88:89], v[80:81], v[202:203]
	v_add_f64 v[86:87], v[86:87], v[88:89]
	v_mul_f64 v[88:89], v[82:83], v[180:181]
	v_fmac_f64_e32 v[88:89], v[84:85], v[184:185]
	v_add_f64 v[98:99], v[86:87], v[88:89]
	ds_read_b128 v[86:89], v1 offset:1408
	v_mul_f64 v[94:95], v[242:243], v[94:95]
	v_fma_f64 v[252:253], v[240:241], v[96:97], -v[94:95]
	ds_read_b128 v[94:97], v1 offset:1440
	v_mul_f64 v[102:103], v[246:247], v[102:103]
	v_fma_f64 v[246:247], v[244:245], v[104:105], -v[102:103]
	;; [unrolled: 3-line block ×3, first 2 shown]
	v_add_f64 v[206:207], v[206:207], 0
	v_add_f64 v[196:197], v[206:207], v[196:197]
	;; [unrolled: 1-line block ×7, first 2 shown]
	v_mul_f64 v[4:5], v[4:5], v[118:119]
	v_add_f64 v[196:197], v[252:253], v[250:251]
	v_fma_f64 v[2:3], v[2:3], v[120:121], -v[4:5]
	v_mul_f64 v[4:5], v[8:9], v[126:127]
	v_add_f64 v[2:3], v[196:197], v[2:3]
	v_fma_f64 v[4:5], v[6:7], v[128:129], -v[4:5]
	v_add_f64 v[2:3], v[2:3], v[4:5]
	ds_read_b128 v[106:109], v1 offset:1488
	v_mul_f64 v[4:5], v[12:13], v[122:123]
	v_fma_f64 v[4:5], v[10:11], v[124:125], -v[4:5]
	v_add_f64 v[2:3], v[2:3], v[4:5]
	s_waitcnt vmcnt(26) lgkmcnt(3)
	v_mul_f64 v[100:101], v[86:87], v[204:205]
	v_mul_f64 v[4:5], v[16:17], v[138:139]
	s_waitcnt vmcnt(24)
	v_fmac_f64_e32 v[100:101], v[88:89], v[214:215]
	v_add_f64 v[98:99], v[98:99], v[100:101]
	s_waitcnt vmcnt(22)
	v_mul_f64 v[100:101], v[90:91], v[216:217]
	s_waitcnt vmcnt(20)
	v_fmac_f64_e32 v[100:101], v[92:93], v[220:221]
	v_add_f64 v[98:99], v[98:99], v[100:101]
	s_waitcnt vmcnt(18) lgkmcnt(2)
	v_mul_f64 v[100:101], v[94:95], v[218:219]
	s_waitcnt vmcnt(16)
	v_fmac_f64_e32 v[100:101], v[96:97], v[222:223]
	v_add_f64 v[110:111], v[98:99], v[100:101]
	ds_read_b128 v[98:101], v1 offset:1456
	v_fma_f64 v[4:5], v[14:15], v[140:141], -v[4:5]
	v_add_f64 v[2:3], v[2:3], v[4:5]
	v_mul_f64 v[4:5], v[20:21], v[130:131]
	v_fma_f64 v[4:5], v[18:19], v[132:133], -v[4:5]
	s_waitcnt vmcnt(14) lgkmcnt(0)
	v_mul_f64 v[112:113], v[98:99], v[226:227]
	s_waitcnt vmcnt(12)
	v_fmac_f64_e32 v[112:113], v[100:101], v[228:229]
	v_add_f64 v[110:111], v[110:111], v[112:113]
	s_waitcnt vmcnt(9)
	v_mul_f64 v[112:113], v[102:103], v[232:233]
	s_waitcnt vmcnt(7)
	v_fmac_f64_e32 v[112:113], v[104:105], v[234:235]
	v_add_f64 v[110:111], v[110:111], v[112:113]
	s_waitcnt vmcnt(5)
	v_mul_f64 v[112:113], v[106:107], v[224:225]
	s_waitcnt vmcnt(4)
	v_fmac_f64_e32 v[112:113], v[108:109], v[230:231]
	v_add_f64 v[114:115], v[110:111], v[112:113]
	ds_read_b128 v[110:113], v1 offset:1504
	buffer_load_dword v242, off, s[0:3], 0 offset:776
	buffer_load_dword v243, off, s[0:3], 0 offset:780
	buffer_load_dword v244, off, s[0:3], 0 offset:768
	buffer_load_dword v245, off, s[0:3], 0 offset:772
	v_add_f64 v[2:3], v[2:3], v[4:5]
	v_mul_f64 v[4:5], v[24:25], v[154:155]
	v_fma_f64 v[4:5], v[22:23], v[158:159], -v[4:5]
	s_waitcnt vmcnt(6) lgkmcnt(0)
	v_mul_f64 v[116:117], v[110:111], v[236:237]
	s_waitcnt vmcnt(4)
	v_fmac_f64_e32 v[116:117], v[112:113], v[238:239]
	v_add_f64 v[240:241], v[114:115], v[116:117]
	ds_read_b128 v[114:117], v1 offset:1520
	v_add_f64 v[2:3], v[2:3], v[4:5]
	v_mul_f64 v[4:5], v[28:29], v[134:135]
	v_fma_f64 v[4:5], v[26:27], v[136:137], -v[4:5]
	v_add_f64 v[2:3], v[2:3], v[4:5]
	v_mul_f64 v[4:5], v[32:33], v[162:163]
	v_fma_f64 v[4:5], v[30:31], v[166:167], -v[4:5]
	;; [unrolled: 3-line block ×22, first 2 shown]
	v_add_f64 v[2:3], v[2:3], v[4:5]
	s_waitcnt vmcnt(2) lgkmcnt(0)
	v_mul_f64 v[248:249], v[114:115], v[242:243]
	v_mul_f64 v[4:5], v[116:117], v[242:243]
	s_waitcnt vmcnt(0)
	v_fmac_f64_e32 v[248:249], v[116:117], v[244:245]
	v_add_f64 v[240:241], v[240:241], v[248:249]
	buffer_load_dword v248, off, s[0:3], 0 offset:176
	buffer_load_dword v249, off, s[0:3], 0 offset:180
	;; [unrolled: 1-line block ×4, first 2 shown]
	v_fma_f64 v[4:5], v[114:115], v[244:245], -v[4:5]
	v_add_f64 v[2:3], v[2:3], v[4:5]
	s_waitcnt vmcnt(2)
	v_add_f64 v[2:3], v[248:249], -v[2:3]
	s_waitcnt vmcnt(0)
	v_add_f64 v[4:5], v[246:247], -v[240:241]
	buffer_store_dword v3, off, s[0:3], 0 offset:180
	buffer_store_dword v2, off, s[0:3], 0 offset:176
	buffer_store_dword v5, off, s[0:3], 0 offset:188
	buffer_store_dword v4, off, s[0:3], 0 offset:184
	s_and_saveexec_b64 s[4:5], vcc
	s_cbranch_execz .LBB111_283
; %bb.282:
	v_accvgpr_read_b32 v0, a134
	buffer_load_dword v2, v0, s[0:3], 0 offen
	buffer_load_dword v3, v0, s[0:3], 0 offen offset:4
	buffer_load_dword v4, v0, s[0:3], 0 offen offset:8
	;; [unrolled: 1-line block ×3, first 2 shown]
	v_accvgpr_read_b32 v0, a144
	buffer_store_dword v1, off, s[0:3], 0 offset:160
	buffer_store_dword v1, off, s[0:3], 0 offset:164
	;; [unrolled: 1-line block ×4, first 2 shown]
	s_waitcnt vmcnt(4)
	ds_write_b128 v0, v[2:5]
.LBB111_283:
	s_or_b64 exec, exec, s[4:5]
	s_waitcnt lgkmcnt(0)
	; wave barrier
	s_waitcnt lgkmcnt(0)
	buffer_load_dword v66, off, s[0:3], 0 offset:176
	buffer_load_dword v67, off, s[0:3], 0 offset:180
	;; [unrolled: 1-line block ×42, first 2 shown]
	ds_read_b128 v[78:81], v1 offset:928
	ds_read_b128 v[90:93], v1 offset:944
	;; [unrolled: 1-line block ×10, first 2 shown]
	buffer_load_dword v129, off, s[0:3], 0 offset:324
	buffer_load_dword v128, off, s[0:3], 0 offset:320
	ds_read_b128 v[6:9], v1 offset:1088
	buffer_load_dword v125, off, s[0:3], 0 offset:380
	buffer_load_dword v124, off, s[0:3], 0 offset:376
	;; [unrolled: 1-line block ×80, first 2 shown]
	s_waitcnt vmcnt(62) lgkmcnt(10)
	v_mul_f64 v[10:11], v[78:79], v[68:69]
	v_fmac_f64_e32 v[10:11], v[80:81], v[66:67]
	v_add_f64 v[10:11], v[10:11], 0
	v_mul_f64 v[68:69], v[80:81], v[68:69]
	s_waitcnt lgkmcnt(9)
	v_mul_f64 v[12:13], v[90:91], v[64:65]
	v_fmac_f64_e32 v[12:13], v[92:93], v[62:63]
	s_waitcnt lgkmcnt(8)
	v_mul_f64 v[14:15], v[102:103], v[70:71]
	v_add_f64 v[10:11], v[10:11], v[12:13]
	s_waitcnt lgkmcnt(6)
	v_mul_f64 v[18:19], v[114:115], v[82:83]
	v_mul_f64 v[64:65], v[92:93], v[64:65]
	v_fmac_f64_e32 v[18:19], v[116:117], v[84:85]
	v_fma_f64 v[208:209], v[90:91], v[62:63], -v[64:65]
	v_mul_f64 v[16:17], v[110:111], v[74:75]
	v_fma_f64 v[206:207], v[78:79], v[66:67], -v[68:69]
	s_waitcnt lgkmcnt(4)
	v_mul_f64 v[22:23], v[244:245], v[94:95]
	v_mul_f64 v[70:71], v[104:105], v[70:71]
	v_fmac_f64_e32 v[22:23], v[246:247], v[96:97]
	v_mul_f64 v[74:75], v[112:113], v[74:75]
	v_mul_f64 v[20:21], v[240:241], v[86:87]
	;; [unrolled: 1-line block ×3, first 2 shown]
	s_waitcnt lgkmcnt(2)
	v_mul_f64 v[26:27], v[252:253], v[106:107]
	v_fma_f64 v[212:213], v[114:115], v[84:85], -v[82:83]
	v_mul_f64 v[86:87], v[242:243], v[86:87]
	v_mul_f64 v[24:25], v[248:249], v[98:99]
	;; [unrolled: 1-line block ×3, first 2 shown]
	s_waitcnt lgkmcnt(1)
	v_mul_f64 v[28:29], v[118:119], v[4:5]
	v_fma_f64 v[246:247], v[244:245], v[96:97], -v[94:95]
	v_fmac_f64_e32 v[14:15], v[104:105], v[72:73]
	v_add_f64 v[10:11], v[10:11], v[14:15]
	v_fmac_f64_e32 v[16:17], v[112:113], v[76:77]
	v_add_f64 v[10:11], v[10:11], v[16:17]
	;; [unrolled: 2-line block ×3, first 2 shown]
	v_add_f64 v[10:11], v[10:11], v[20:21]
	v_fmac_f64_e32 v[24:25], v[250:251], v[100:101]
	v_add_f64 v[10:11], v[10:11], v[22:23]
	v_fmac_f64_e32 v[26:27], v[254:255], v[108:109]
	v_add_f64 v[10:11], v[10:11], v[24:25]
	v_add_f64 v[10:11], v[10:11], v[26:27]
	s_waitcnt lgkmcnt(0)
	v_mul_f64 v[16:17], v[6:7], v[2:3]
	v_fmac_f64_e32 v[28:29], v[120:121], v[128:129]
	v_add_f64 v[14:15], v[10:11], v[28:29]
	ds_read_b128 v[10:13], v1 offset:1104
	v_fmac_f64_e32 v[16:17], v[8:9], v[122:123]
	v_add_f64 v[18:19], v[14:15], v[16:17]
	ds_read_b128 v[14:17], v1 offset:1120
	v_fma_f64 v[210:211], v[110:111], v[76:77], -v[74:75]
	s_waitcnt lgkmcnt(1)
	v_mul_f64 v[20:21], v[10:11], v[130:131]
	v_fmac_f64_e32 v[20:21], v[12:13], v[146:147]
	v_add_f64 v[22:23], v[18:19], v[20:21]
	ds_read_b128 v[18:21], v1 offset:1136
	s_waitcnt lgkmcnt(1)
	v_mul_f64 v[24:25], v[14:15], v[124:125]
	v_fmac_f64_e32 v[24:25], v[16:17], v[126:127]
	v_add_f64 v[26:27], v[22:23], v[24:25]
	ds_read_b128 v[22:25], v1 offset:1152
	;; [unrolled: 5-line block ×4, first 2 shown]
	s_waitcnt vmcnt(58) lgkmcnt(1)
	v_mul_f64 v[36:37], v[26:27], v[158:159]
	s_waitcnt vmcnt(56)
	v_fmac_f64_e32 v[36:37], v[28:29], v[162:163]
	v_add_f64 v[38:39], v[34:35], v[36:37]
	ds_read_b128 v[34:37], v1 offset:1200
	s_waitcnt lgkmcnt(1)
	v_mul_f64 v[40:41], v[30:31], v[136:137]
	v_fmac_f64_e32 v[40:41], v[32:33], v[138:139]
	v_add_f64 v[42:43], v[38:39], v[40:41]
	ds_read_b128 v[38:41], v1 offset:1216
	s_waitcnt vmcnt(50) lgkmcnt(1)
	v_mul_f64 v[44:45], v[34:35], v[166:167]
	s_waitcnt vmcnt(48)
	v_fmac_f64_e32 v[44:45], v[36:37], v[170:171]
	v_add_f64 v[46:47], v[42:43], v[44:45]
	ds_read_b128 v[42:45], v1 offset:1232
	s_waitcnt lgkmcnt(1)
	v_mul_f64 v[48:49], v[38:39], v[140:141]
	v_fmac_f64_e32 v[48:49], v[40:41], v[142:143]
	v_add_f64 v[50:51], v[46:47], v[48:49]
	ds_read_b128 v[46:49], v1 offset:1248
	s_waitcnt vmcnt(42) lgkmcnt(1)
	v_mul_f64 v[52:53], v[42:43], v[174:175]
	s_waitcnt vmcnt(40)
	v_fmac_f64_e32 v[52:53], v[44:45], v[178:179]
	v_add_f64 v[54:55], v[50:51], v[52:53]
	ds_read_b128 v[50:53], v1 offset:1264
	s_waitcnt lgkmcnt(1)
	v_mul_f64 v[56:57], v[46:47], v[144:145]
	buffer_load_dword v217, off, s[0:3], 0 offset:684
	buffer_load_dword v216, off, s[0:3], 0 offset:680
	;; [unrolled: 1-line block ×4, first 2 shown]
	v_fmac_f64_e32 v[56:57], v[48:49], v[148:149]
	v_add_f64 v[58:59], v[54:55], v[56:57]
	ds_read_b128 v[54:57], v1 offset:1280
	buffer_load_dword v222, off, s[0:3], 0 offset:696
	buffer_load_dword v224, off, s[0:3], 0 offset:688
	;; [unrolled: 1-line block ×16, first 2 shown]
	s_waitcnt vmcnt(54) lgkmcnt(1)
	v_mul_f64 v[60:61], v[50:51], v[182:183]
	s_waitcnt vmcnt(52)
	v_fmac_f64_e32 v[60:61], v[52:53], v[186:187]
	v_add_f64 v[196:197], v[58:59], v[60:61]
	ds_read_b128 v[58:61], v1 offset:1296
	buffer_load_dword v236, off, s[0:3], 0 offset:760
	buffer_load_dword v238, off, s[0:3], 0 offset:752
	;; [unrolled: 1-line block ×4, first 2 shown]
	ds_read_b128 v[62:65], v1 offset:1312
	s_waitcnt lgkmcnt(2)
	v_mul_f64 v[66:67], v[54:55], v[152:153]
	v_fmac_f64_e32 v[66:67], v[56:57], v[156:157]
	s_waitcnt vmcnt(50) lgkmcnt(1)
	v_mul_f64 v[68:69], v[58:59], v[190:191]
	v_add_f64 v[66:67], v[196:197], v[66:67]
	s_waitcnt vmcnt(48)
	v_fmac_f64_e32 v[68:69], v[60:61], v[192:193]
	v_add_f64 v[66:67], v[66:67], v[68:69]
	v_fma_f64 v[196:197], v[102:103], v[72:73], -v[70:71]
	ds_read_b128 v[70:73], v1 offset:1344
	s_waitcnt lgkmcnt(1)
	v_mul_f64 v[68:69], v[62:63], v[160:161]
	v_fmac_f64_e32 v[68:69], v[64:65], v[164:165]
	v_add_f64 v[78:79], v[66:67], v[68:69]
	ds_read_b128 v[66:69], v1 offset:1328
	ds_read_b128 v[74:77], v1 offset:1360
	;; [unrolled: 1-line block ×3, first 2 shown]
	v_accvgpr_write_b32 a147, v3
	v_accvgpr_write_b32 a146, v2
	s_waitcnt vmcnt(42) lgkmcnt(2)
	v_mul_f64 v[80:81], v[66:67], v[194:195]
	s_waitcnt vmcnt(40)
	v_fmac_f64_e32 v[80:81], v[68:69], v[198:199]
	v_add_f64 v[78:79], v[78:79], v[80:81]
	v_mul_f64 v[80:81], v[70:71], v[168:169]
	v_fmac_f64_e32 v[80:81], v[72:73], v[172:173]
	v_add_f64 v[90:91], v[78:79], v[80:81]
	ds_read_b128 v[78:81], v1 offset:1376
	s_waitcnt vmcnt(34) lgkmcnt(2)
	v_mul_f64 v[92:93], v[74:75], v[200:201]
	s_waitcnt vmcnt(32)
	v_fmac_f64_e32 v[92:93], v[76:77], v[202:203]
	v_fma_f64 v[2:3], v[240:241], v[88:89], -v[86:87]
	ds_read_b128 v[86:89], v1 offset:1408
	ds_read_b128 v[94:97], v1 offset:1440
	v_add_f64 v[90:91], v[90:91], v[92:93]
	s_waitcnt lgkmcnt(2)
	v_mul_f64 v[92:93], v[78:79], v[176:177]
	v_fmac_f64_e32 v[92:93], v[80:81], v[180:181]
	v_add_f64 v[90:91], v[90:91], v[92:93]
	s_waitcnt vmcnt(26)
	v_mul_f64 v[92:93], v[82:83], v[204:205]
	s_waitcnt vmcnt(24)
	v_fmac_f64_e32 v[92:93], v[84:85], v[214:215]
	v_add_f64 v[90:91], v[90:91], v[92:93]
	s_waitcnt lgkmcnt(1)
	v_mul_f64 v[92:93], v[86:87], v[184:185]
	v_fmac_f64_e32 v[92:93], v[88:89], v[188:189]
	v_add_f64 v[102:103], v[90:91], v[92:93]
	ds_read_b128 v[90:93], v1 offset:1424
	v_mul_f64 v[98:99], v[250:251], v[98:99]
	v_fma_f64 v[250:251], v[248:249], v[100:101], -v[98:99]
	ds_read_b128 v[98:101], v1 offset:1456
	v_mul_f64 v[106:107], v[254:255], v[106:107]
	v_fma_f64 v[252:253], v[252:253], v[108:109], -v[106:107]
	v_add_f64 v[206:207], v[206:207], 0
	v_add_f64 v[206:207], v[206:207], v[208:209]
	;; [unrolled: 1-line block ×8, first 2 shown]
	v_mul_f64 v[4:5], v[120:121], v[4:5]
	v_add_f64 v[2:3], v[2:3], v[252:253]
	v_fma_f64 v[4:5], v[118:119], v[128:129], -v[4:5]
	v_add_f64 v[2:3], v[2:3], v[4:5]
	ds_read_b128 v[106:109], v1 offset:1488
	s_waitcnt vmcnt(13) lgkmcnt(1)
	v_mul_f64 v[112:113], v[98:99], v[226:227]
	v_mul_f64 v[104:105], v[90:91], v[216:217]
	s_waitcnt vmcnt(11)
	v_fmac_f64_e32 v[112:113], v[100:101], v[232:233]
	v_fmac_f64_e32 v[104:105], v[92:93], v[218:219]
	v_add_f64 v[102:103], v[102:103], v[104:105]
	v_mul_f64 v[104:105], v[94:95], v[222:223]
	v_fmac_f64_e32 v[104:105], v[96:97], v[224:225]
	v_add_f64 v[110:111], v[102:103], v[104:105]
	ds_read_b128 v[102:105], v1 offset:1472
	v_add_f64 v[110:111], v[110:111], v[112:113]
	s_waitcnt vmcnt(10) lgkmcnt(0)
	v_mul_f64 v[112:113], v[102:103], v[220:221]
	s_waitcnt vmcnt(8)
	v_fmac_f64_e32 v[112:113], v[104:105], v[230:231]
	v_add_f64 v[110:111], v[110:111], v[112:113]
	s_waitcnt vmcnt(6)
	v_mul_f64 v[112:113], v[106:107], v[228:229]
	s_waitcnt vmcnt(4)
	v_fmac_f64_e32 v[112:113], v[108:109], v[234:235]
	v_add_f64 v[114:115], v[110:111], v[112:113]
	ds_read_b128 v[110:113], v1 offset:1504
	buffer_load_dword v243, off, s[0:3], 0 offset:780
	buffer_load_dword v242, off, s[0:3], 0 offset:776
	;; [unrolled: 1-line block ×4, first 2 shown]
	s_waitcnt vmcnt(5) lgkmcnt(0)
	v_mul_f64 v[116:117], v[110:111], v[236:237]
	s_waitcnt vmcnt(4)
	v_fmac_f64_e32 v[116:117], v[112:113], v[238:239]
	v_add_f64 v[240:241], v[114:115], v[116:117]
	ds_read_b128 v[114:117], v1 offset:1520
	v_accvgpr_read_b32 v0, a146
	v_accvgpr_read_b32 v1, a147
	v_mul_f64 v[4:5], v[8:9], v[0:1]
	v_fma_f64 v[4:5], v[6:7], v[122:123], -v[4:5]
	v_add_f64 v[2:3], v[2:3], v[4:5]
	v_mul_f64 v[4:5], v[12:13], v[130:131]
	v_fma_f64 v[4:5], v[10:11], v[146:147], -v[4:5]
	v_add_f64 v[2:3], v[2:3], v[4:5]
	;; [unrolled: 3-line block ×22, first 2 shown]
	v_mul_f64 v[4:5], v[96:97], v[222:223]
	v_fma_f64 v[4:5], v[94:95], v[224:225], -v[4:5]
	s_waitcnt vmcnt(2) lgkmcnt(0)
	v_mul_f64 v[248:249], v[114:115], v[242:243]
	v_add_f64 v[2:3], v[2:3], v[4:5]
	s_waitcnt vmcnt(0)
	v_fmac_f64_e32 v[248:249], v[116:117], v[244:245]
	v_add_f64 v[240:241], v[240:241], v[248:249]
	buffer_load_dword v248, off, s[0:3], 0 offset:160
	buffer_load_dword v249, off, s[0:3], 0 offset:164
	;; [unrolled: 1-line block ×4, first 2 shown]
	v_mul_f64 v[4:5], v[100:101], v[226:227]
	v_fma_f64 v[4:5], v[98:99], v[232:233], -v[4:5]
	v_add_f64 v[2:3], v[2:3], v[4:5]
	v_mul_f64 v[4:5], v[104:105], v[220:221]
	v_fma_f64 v[4:5], v[102:103], v[230:231], -v[4:5]
	v_add_f64 v[2:3], v[2:3], v[4:5]
	;; [unrolled: 3-line block ×5, first 2 shown]
	v_accvgpr_read_b32 v0, a143
	v_cmp_lt_u32_e32 vcc, 8, v0
	s_waitcnt vmcnt(2)
	v_add_f64 v[2:3], v[248:249], -v[2:3]
	s_waitcnt vmcnt(0)
	v_add_f64 v[4:5], v[246:247], -v[240:241]
	buffer_store_dword v3, off, s[0:3], 0 offset:164
	buffer_store_dword v2, off, s[0:3], 0 offset:160
	;; [unrolled: 1-line block ×4, first 2 shown]
	s_and_saveexec_b64 s[4:5], vcc
	s_cbranch_execz .LBB111_285
; %bb.284:
	v_accvgpr_read_b32 v0, a135
	buffer_load_dword v2, v0, s[0:3], 0 offen
	buffer_load_dword v3, v0, s[0:3], 0 offen offset:4
	buffer_load_dword v4, v0, s[0:3], 0 offen offset:8
	;; [unrolled: 1-line block ×3, first 2 shown]
	v_mov_b32_e32 v0, 0
	v_accvgpr_read_b32 v1, a144
	buffer_store_dword v0, off, s[0:3], 0 offset:144
	buffer_store_dword v0, off, s[0:3], 0 offset:148
	;; [unrolled: 1-line block ×4, first 2 shown]
	s_waitcnt vmcnt(4)
	ds_write_b128 v1, v[2:5]
.LBB111_285:
	s_or_b64 exec, exec, s[4:5]
	s_waitcnt lgkmcnt(0)
	; wave barrier
	s_waitcnt lgkmcnt(0)
	buffer_load_dword v54, off, s[0:3], 0 offset:160
	buffer_load_dword v55, off, s[0:3], 0 offset:164
	;; [unrolled: 1-line block ×49, first 2 shown]
	s_waitcnt vmcnt(8)
	v_pk_mov_b32 v[2:3], v[0:1], v[0:1] op_sel:[0,1]
	v_mov_b32_e32 v1, 0
	ds_read_b128 v[62:65], v1 offset:912
	ds_read_b128 v[74:77], v1 offset:928
	;; [unrolled: 1-line block ×11, first 2 shown]
	s_waitcnt lgkmcnt(10)
	v_mul_f64 v[6:7], v[62:63], v[56:57]
	s_waitcnt lgkmcnt(9)
	v_mul_f64 v[8:9], v[74:75], v[60:61]
	v_fmac_f64_e32 v[6:7], v[64:65], v[54:55]
	s_waitcnt lgkmcnt(8)
	v_mul_f64 v[10:11], v[86:87], v[66:67]
	v_fmac_f64_e32 v[8:9], v[76:77], v[58:59]
	v_add_f64 v[6:7], v[6:7], 0
	s_waitcnt lgkmcnt(7)
	v_mul_f64 v[12:13], v[98:99], v[70:71]
	v_fmac_f64_e32 v[10:11], v[88:89], v[68:69]
	v_add_f64 v[6:7], v[6:7], v[8:9]
	;; [unrolled: 4-line block ×4, first 2 shown]
	buffer_load_dword v126, off, s[0:3], 0 offset:344
	buffer_load_dword v143, off, s[0:3], 0 offset:340
	;; [unrolled: 1-line block ×75, first 2 shown]
	s_waitcnt lgkmcnt(4)
	v_mul_f64 v[18:19], v[236:237], v[90:91]
	v_fmac_f64_e32 v[16:17], v[116:117], v[84:85]
	v_add_f64 v[6:7], v[6:7], v[14:15]
	s_waitcnt lgkmcnt(3)
	v_mul_f64 v[20:21], v[240:241], v[94:95]
	v_fmac_f64_e32 v[18:19], v[238:239], v[92:93]
	v_add_f64 v[6:7], v[6:7], v[16:17]
	;; [unrolled: 4-line block ×4, first 2 shown]
	v_add_f64 v[6:7], v[6:7], v[22:23]
	s_waitcnt vmcnt(62)
	v_fmac_f64_e32 v[24:25], v[250:251], v[108:109]
	v_add_f64 v[10:11], v[6:7], v[24:25]
	ds_read_b128 v[6:9], v1 offset:1088
	s_waitcnt lgkmcnt(1)
	v_mul_f64 v[12:13], v[118:119], v[4:5]
	v_fmac_f64_e32 v[12:13], v[120:121], v[2:3]
	v_add_f64 v[14:15], v[10:11], v[12:13]
	ds_read_b128 v[10:13], v1 offset:1104
	s_waitcnt lgkmcnt(1)
	v_mul_f64 v[16:17], v[6:7], v[126:127]
	;; [unrolled: 5-line block ×5, first 2 shown]
	v_fmac_f64_e32 v[28:29], v[20:21], v[130:131]
	v_add_f64 v[30:31], v[26:27], v[28:29]
	ds_read_b128 v[26:29], v1 offset:1168
	s_waitcnt vmcnt(58) lgkmcnt(1)
	v_mul_f64 v[32:33], v[22:23], v[154:155]
	s_waitcnt vmcnt(56)
	v_fmac_f64_e32 v[32:33], v[24:25], v[158:159]
	v_add_f64 v[34:35], v[30:31], v[32:33]
	ds_read_b128 v[30:33], v1 offset:1184
	s_waitcnt lgkmcnt(1)
	v_mul_f64 v[36:37], v[26:27], v[132:133]
	v_fmac_f64_e32 v[36:37], v[28:29], v[134:135]
	v_add_f64 v[38:39], v[34:35], v[36:37]
	ds_read_b128 v[34:37], v1 offset:1200
	s_waitcnt vmcnt(50) lgkmcnt(1)
	v_mul_f64 v[40:41], v[30:31], v[162:163]
	s_waitcnt vmcnt(48)
	v_fmac_f64_e32 v[40:41], v[32:33], v[166:167]
	v_add_f64 v[42:43], v[38:39], v[40:41]
	ds_read_b128 v[38:41], v1 offset:1216
	s_waitcnt lgkmcnt(1)
	v_mul_f64 v[44:45], v[34:35], v[136:137]
	;; [unrolled: 11-line block ×3, first 2 shown]
	buffer_load_dword v205, off, s[0:3], 0 offset:668
	buffer_load_dword v204, off, s[0:3], 0 offset:664
	;; [unrolled: 1-line block ×4, first 2 shown]
	v_fmac_f64_e32 v[52:53], v[44:45], v[144:145]
	v_add_f64 v[196:197], v[50:51], v[52:53]
	ds_read_b128 v[50:53], v1 offset:1264
	buffer_load_dword v216, off, s[0:3], 0 offset:680
	buffer_load_dword v218, off, s[0:3], 0 offset:672
	;; [unrolled: 1-line block ×20, first 2 shown]
	s_waitcnt vmcnt(58) lgkmcnt(1)
	v_mul_f64 v[206:207], v[46:47], v[178:179]
	s_waitcnt vmcnt(56)
	v_fmac_f64_e32 v[206:207], v[48:49], v[182:183]
	v_mul_f64 v[56:57], v[64:65], v[56:57]
	v_add_f64 v[196:197], v[196:197], v[206:207]
	v_fma_f64 v[206:207], v[62:63], v[54:55], -v[56:57]
	ds_read_b128 v[54:57], v1 offset:1280
	v_mul_f64 v[60:61], v[76:77], v[60:61]
	v_fma_f64 v[208:209], v[74:75], v[58:59], -v[60:61]
	ds_read_b128 v[58:61], v1 offset:1296
	s_waitcnt lgkmcnt(2)
	v_mul_f64 v[62:63], v[50:51], v[148:149]
	v_fmac_f64_e32 v[62:63], v[52:53], v[152:153]
	s_waitcnt vmcnt(50) lgkmcnt(1)
	v_mul_f64 v[64:65], v[54:55], v[186:187]
	v_add_f64 v[62:63], v[196:197], v[62:63]
	s_waitcnt vmcnt(48)
	v_fmac_f64_e32 v[64:65], v[56:57], v[188:189]
	v_add_f64 v[62:63], v[62:63], v[64:65]
	s_waitcnt lgkmcnt(0)
	v_mul_f64 v[64:65], v[58:59], v[156:157]
	v_fmac_f64_e32 v[64:65], v[60:61], v[160:161]
	v_add_f64 v[74:75], v[62:63], v[64:65]
	ds_read_b128 v[62:65], v1 offset:1312
	v_mul_f64 v[66:67], v[88:89], v[66:67]
	v_fma_f64 v[196:197], v[86:87], v[68:69], -v[66:67]
	ds_read_b128 v[66:69], v1 offset:1328
	v_mul_f64 v[70:71], v[100:101], v[70:71]
	s_waitcnt vmcnt(42) lgkmcnt(1)
	v_mul_f64 v[76:77], v[62:63], v[190:191]
	s_waitcnt vmcnt(40)
	v_fmac_f64_e32 v[76:77], v[64:65], v[192:193]
	v_add_f64 v[74:75], v[74:75], v[76:77]
	v_fma_f64 v[210:211], v[98:99], v[72:73], -v[70:71]
	ds_read_b128 v[70:73], v1 offset:1344
	s_waitcnt lgkmcnt(1)
	v_mul_f64 v[76:77], v[66:67], v[164:165]
	v_fmac_f64_e32 v[76:77], v[68:69], v[168:169]
	v_add_f64 v[86:87], v[74:75], v[76:77]
	ds_read_b128 v[74:77], v1 offset:1360
	v_mul_f64 v[78:79], v[112:113], v[78:79]
	v_fma_f64 v[212:213], v[110:111], v[80:81], -v[78:79]
	ds_read_b128 v[78:81], v1 offset:1376
	s_waitcnt vmcnt(34) lgkmcnt(2)
	v_mul_f64 v[88:89], v[70:71], v[194:195]
	v_mul_f64 v[82:83], v[116:117], v[82:83]
	s_waitcnt vmcnt(32)
	v_fmac_f64_e32 v[88:89], v[72:73], v[198:199]
	v_fma_f64 v[252:253], v[114:115], v[84:85], -v[82:83]
	ds_read_b128 v[82:85], v1 offset:1392
	v_add_f64 v[86:87], v[86:87], v[88:89]
	s_waitcnt lgkmcnt(2)
	v_mul_f64 v[88:89], v[74:75], v[172:173]
	v_fmac_f64_e32 v[88:89], v[76:77], v[176:177]
	v_add_f64 v[86:87], v[86:87], v[88:89]
	s_waitcnt vmcnt(26) lgkmcnt(1)
	v_mul_f64 v[88:89], v[78:79], v[200:201]
	s_waitcnt vmcnt(24)
	v_fmac_f64_e32 v[88:89], v[80:81], v[202:203]
	v_add_f64 v[86:87], v[86:87], v[88:89]
	s_waitcnt lgkmcnt(0)
	v_mul_f64 v[88:89], v[82:83], v[180:181]
	v_fmac_f64_e32 v[88:89], v[84:85], v[184:185]
	v_add_f64 v[98:99], v[86:87], v[88:89]
	ds_read_b128 v[86:89], v1 offset:1408
	v_mul_f64 v[90:91], v[238:239], v[90:91]
	v_fma_f64 v[254:255], v[236:237], v[92:93], -v[90:91]
	ds_read_b128 v[90:93], v1 offset:1424
	v_accvgpr_write_b32 a147, v3
	v_mul_f64 v[94:95], v[242:243], v[94:95]
	v_accvgpr_write_b32 a146, v2
	v_fma_f64 v[2:3], v[240:241], v[96:97], -v[94:95]
	ds_read_b128 v[94:97], v1 offset:1440
	v_mul_f64 v[102:103], v[246:247], v[102:103]
	v_fma_f64 v[246:247], v[244:245], v[104:105], -v[102:103]
	ds_read_b128 v[102:105], v1 offset:1472
	v_mul_f64 v[106:107], v[250:251], v[106:107]
	v_fma_f64 v[250:251], v[248:249], v[108:109], -v[106:107]
	ds_read_b128 v[106:109], v1 offset:1488
	v_add_f64 v[206:207], v[206:207], 0
	v_add_f64 v[206:207], v[206:207], v[208:209]
	;; [unrolled: 1-line block ×6, first 2 shown]
	s_waitcnt vmcnt(22) lgkmcnt(4)
	v_mul_f64 v[100:101], v[86:87], v[204:205]
	v_add_f64 v[196:197], v[196:197], v[254:255]
	s_waitcnt vmcnt(20)
	v_fmac_f64_e32 v[100:101], v[88:89], v[214:215]
	v_add_f64 v[98:99], v[98:99], v[100:101]
	v_add_f64 v[2:3], v[196:197], v[2:3]
	s_waitcnt vmcnt(17) lgkmcnt(3)
	v_mul_f64 v[100:101], v[90:91], v[216:217]
	s_waitcnt vmcnt(16)
	v_fmac_f64_e32 v[100:101], v[92:93], v[218:219]
	v_add_f64 v[110:111], v[98:99], v[100:101]
	ds_read_b128 v[98:101], v1 offset:1456
	s_waitcnt vmcnt(14) lgkmcnt(3)
	v_mul_f64 v[112:113], v[94:95], v[222:223]
	s_waitcnt vmcnt(12)
	v_fmac_f64_e32 v[112:113], v[96:97], v[226:227]
	buffer_load_dword v237, off, s[0:3], 0 offset:764
	buffer_load_dword v236, off, s[0:3], 0 offset:760
	;; [unrolled: 1-line block ×4, first 2 shown]
	v_add_f64 v[110:111], v[110:111], v[112:113]
	s_waitcnt vmcnt(14) lgkmcnt(0)
	v_mul_f64 v[112:113], v[98:99], v[224:225]
	s_waitcnt vmcnt(12)
	v_fmac_f64_e32 v[112:113], v[100:101], v[228:229]
	v_add_f64 v[110:111], v[110:111], v[112:113]
	s_waitcnt vmcnt(9)
	v_mul_f64 v[112:113], v[102:103], v[232:233]
	s_waitcnt vmcnt(7)
	v_fmac_f64_e32 v[112:113], v[104:105], v[234:235]
	v_add_f64 v[110:111], v[110:111], v[112:113]
	s_waitcnt vmcnt(5)
	v_mul_f64 v[112:113], v[106:107], v[220:221]
	s_waitcnt vmcnt(4)
	v_fmac_f64_e32 v[112:113], v[108:109], v[230:231]
	v_add_f64 v[114:115], v[110:111], v[112:113]
	ds_read_b128 v[110:113], v1 offset:1504
	buffer_load_dword v242, off, s[0:3], 0 offset:776
	buffer_load_dword v243, off, s[0:3], 0 offset:780
	;; [unrolled: 1-line block ×4, first 2 shown]
	v_add_f64 v[252:253], v[2:3], v[246:247]
	v_mul_f64 v[4:5], v[120:121], v[4:5]
	v_accvgpr_read_b32 v120, a146
	v_accvgpr_read_b32 v121, a147
	v_add_f64 v[2:3], v[252:253], v[250:251]
	v_fma_f64 v[4:5], v[118:119], v[120:121], -v[4:5]
	v_add_f64 v[2:3], v[2:3], v[4:5]
	v_mul_f64 v[4:5], v[8:9], v[126:127]
	v_fma_f64 v[4:5], v[6:7], v[142:143], -v[4:5]
	v_add_f64 v[2:3], v[2:3], v[4:5]
	v_mul_f64 v[4:5], v[12:13], v[122:123]
	;; [unrolled: 3-line block ×20, first 2 shown]
	s_waitcnt vmcnt(6) lgkmcnt(0)
	v_mul_f64 v[116:117], v[110:111], v[236:237]
	v_fma_f64 v[4:5], v[82:83], v[184:185], -v[4:5]
	s_waitcnt vmcnt(4)
	v_fmac_f64_e32 v[116:117], v[112:113], v[238:239]
	v_add_f64 v[240:241], v[114:115], v[116:117]
	ds_read_b128 v[114:117], v1 offset:1520
	v_add_f64 v[2:3], v[2:3], v[4:5]
	v_mul_f64 v[4:5], v[88:89], v[204:205]
	v_fma_f64 v[4:5], v[86:87], v[214:215], -v[4:5]
	v_add_f64 v[2:3], v[2:3], v[4:5]
	v_mul_f64 v[4:5], v[92:93], v[216:217]
	v_fma_f64 v[4:5], v[90:91], v[218:219], -v[4:5]
	v_add_f64 v[2:3], v[2:3], v[4:5]
	s_waitcnt vmcnt(2) lgkmcnt(0)
	v_mul_f64 v[248:249], v[114:115], v[242:243]
	v_mul_f64 v[4:5], v[96:97], v[222:223]
	s_waitcnt vmcnt(0)
	v_fmac_f64_e32 v[248:249], v[116:117], v[244:245]
	v_add_f64 v[240:241], v[240:241], v[248:249]
	buffer_load_dword v248, off, s[0:3], 0 offset:144
	buffer_load_dword v249, off, s[0:3], 0 offset:148
	;; [unrolled: 1-line block ×4, first 2 shown]
	v_fma_f64 v[4:5], v[94:95], v[226:227], -v[4:5]
	v_add_f64 v[2:3], v[2:3], v[4:5]
	v_mul_f64 v[4:5], v[100:101], v[224:225]
	v_fma_f64 v[4:5], v[98:99], v[228:229], -v[4:5]
	v_add_f64 v[2:3], v[2:3], v[4:5]
	v_mul_f64 v[4:5], v[104:105], v[232:233]
	;; [unrolled: 3-line block ×5, first 2 shown]
	v_fma_f64 v[4:5], v[114:115], v[244:245], -v[4:5]
	v_add_f64 v[2:3], v[2:3], v[4:5]
	v_accvgpr_read_b32 v0, a143
	v_cmp_lt_u32_e32 vcc, 7, v0
	s_waitcnt vmcnt(2)
	v_add_f64 v[2:3], v[248:249], -v[2:3]
	s_waitcnt vmcnt(0)
	v_add_f64 v[4:5], v[246:247], -v[240:241]
	buffer_store_dword v3, off, s[0:3], 0 offset:148
	buffer_store_dword v2, off, s[0:3], 0 offset:144
	;; [unrolled: 1-line block ×4, first 2 shown]
	s_and_saveexec_b64 s[4:5], vcc
	s_cbranch_execz .LBB111_287
; %bb.286:
	v_accvgpr_read_b32 v0, a136
	buffer_load_dword v2, v0, s[0:3], 0 offen
	buffer_load_dword v3, v0, s[0:3], 0 offen offset:4
	buffer_load_dword v4, v0, s[0:3], 0 offen offset:8
	;; [unrolled: 1-line block ×3, first 2 shown]
	v_accvgpr_read_b32 v0, a144
	buffer_store_dword v1, off, s[0:3], 0 offset:128
	buffer_store_dword v1, off, s[0:3], 0 offset:132
	;; [unrolled: 1-line block ×4, first 2 shown]
	s_waitcnt vmcnt(4)
	ds_write_b128 v0, v[2:5]
.LBB111_287:
	s_or_b64 exec, exec, s[4:5]
	s_waitcnt lgkmcnt(0)
	; wave barrier
	s_waitcnt lgkmcnt(0)
	buffer_load_dword v56, off, s[0:3], 0 offset:144
	buffer_load_dword v57, off, s[0:3], 0 offset:148
	;; [unrolled: 1-line block ×42, first 2 shown]
	ds_read_b128 v[78:81], v1 offset:896
	ds_read_b128 v[90:93], v1 offset:912
	;; [unrolled: 1-line block ×10, first 2 shown]
	buffer_load_dword v105, off, s[0:3], 0 offset:292
	buffer_load_dword v104, off, s[0:3], 0 offset:288
	ds_read_b128 v[106:109], v1 offset:1056
	buffer_load_dword v3, off, s[0:3], 0 offset:348
	buffer_load_dword v2, off, s[0:3], 0 offset:344
	s_waitcnt vmcnt(38) lgkmcnt(9)
	v_mul_f64 v[4:5], v[90:91], v[62:63]
	v_fmac_f64_e32 v[4:5], v[92:93], v[54:55]
	s_waitcnt vmcnt(36) lgkmcnt(8)
	v_mul_f64 v[6:7], v[114:115], v[58:59]
	v_mul_f64 v[58:59], v[116:117], v[58:59]
	s_waitcnt vmcnt(34) lgkmcnt(6)
	v_mul_f64 v[10:11], v[240:241], v[70:71]
	v_mul_f64 v[70:71], v[242:243], v[70:71]
	s_waitcnt vmcnt(32)
	v_fmac_f64_e32 v[10:11], v[242:243], v[72:73]
	v_fma_f64 v[240:241], v[240:241], v[72:73], -v[70:71]
	s_waitcnt vmcnt(30)
	v_mul_f64 v[8:9], v[236:237], v[64:65]
	s_waitcnt vmcnt(28) lgkmcnt(4)
	v_mul_f64 v[14:15], v[248:249], v[82:83]
	v_mul_f64 v[82:83], v[250:251], v[82:83]
	s_waitcnt vmcnt(26)
	v_fmac_f64_e32 v[14:15], v[250:251], v[84:85]
	v_fma_f64 v[248:249], v[248:249], v[84:85], -v[82:83]
	s_waitcnt vmcnt(24)
	v_mul_f64 v[12:13], v[244:245], v[74:75]
	v_mul_f64 v[74:75], v[246:247], v[74:75]
	s_waitcnt vmcnt(22) lgkmcnt(2)
	v_mul_f64 v[18:19], v[206:207], v[94:95]
	v_mul_f64 v[94:95], v[208:209], v[94:95]
	s_waitcnt vmcnt(19)
	v_mul_f64 v[16:17], v[252:253], v[86:87]
	v_mul_f64 v[86:87], v[254:255], v[86:87]
	s_waitcnt vmcnt(17) lgkmcnt(1)
	v_mul_f64 v[20:21], v[98:99], v[102:103]
	s_waitcnt vmcnt(15)
	v_fmac_f64_e32 v[6:7], v[116:117], v[68:69]
	s_waitcnt vmcnt(13)
	v_fmac_f64_e32 v[8:9], v[238:239], v[66:67]
	;; [unrolled: 2-line block ×3, first 2 shown]
	v_fma_f64 v[246:247], v[244:245], v[76:77], -v[74:75]
	s_waitcnt vmcnt(9)
	v_fmac_f64_e32 v[16:17], v[254:255], v[88:89]
	s_waitcnt vmcnt(8)
	v_fmac_f64_e32 v[18:19], v[208:209], v[96:97]
	v_fma_f64 v[254:255], v[252:253], v[88:89], -v[86:87]
	v_fma_f64 v[206:207], v[206:207], v[96:97], -v[94:95]
	s_waitcnt vmcnt(2)
	v_fmac_f64_e32 v[20:21], v[100:101], v[104:105]
	v_mul_f64 v[100:101], v[100:101], v[102:103]
	s_waitcnt vmcnt(0)
	v_pk_mov_b32 v[22:23], v[2:3], v[2:3] op_sel:[0,1]
	buffer_load_dword v3, off, s[0:3], 0 offset:340
	buffer_load_dword v2, off, s[0:3], 0 offset:336
	;; [unrolled: 1-line block ×78, first 2 shown]
	ds_read_b128 v[118:121], v1 offset:1072
	v_accvgpr_write_b32 a147, v23
	v_accvgpr_write_b32 a146, v22
	v_fma_f64 v[250:251], v[98:99], v[104:105], -v[100:101]
	s_waitcnt vmcnt(62)
	v_pk_mov_b32 v[24:25], v[2:3], v[2:3] op_sel:[0,1]
	v_mul_f64 v[2:3], v[78:79], v[60:61]
	v_fmac_f64_e32 v[2:3], v[80:81], v[56:57]
	v_add_f64 v[2:3], v[2:3], 0
	v_add_f64 v[2:3], v[2:3], v[4:5]
	;; [unrolled: 1-line block ×9, first 2 shown]
	s_waitcnt lgkmcnt(1)
	v_mul_f64 v[8:9], v[106:107], v[110:111]
	v_add_f64 v[6:7], v[2:3], v[20:21]
	v_fmac_f64_e32 v[8:9], v[108:109], v[112:113]
	v_add_f64 v[10:11], v[6:7], v[8:9]
	ds_read_b128 v[6:9], v1 offset:1088
	s_waitcnt lgkmcnt(1)
	v_mul_f64 v[12:13], v[118:119], v[122:123]
	v_fmac_f64_e32 v[12:13], v[120:121], v[138:139]
	v_add_f64 v[14:15], v[10:11], v[12:13]
	ds_read_b128 v[10:13], v1 offset:1104
	s_waitcnt lgkmcnt(1)
	v_mul_f64 v[16:17], v[6:7], v[22:23]
	;; [unrolled: 5-line block ×3, first 2 shown]
	v_fmac_f64_e32 v[20:21], v[12:13], v[146:147]
	v_add_f64 v[22:23], v[18:19], v[20:21]
	ds_read_b128 v[18:21], v1 offset:1136
	v_accvgpr_write_b32 a149, v25
	v_accvgpr_write_b32 a148, v24
	s_waitcnt lgkmcnt(1)
	v_mul_f64 v[24:25], v[14:15], v[124:125]
	v_fmac_f64_e32 v[24:25], v[16:17], v[126:127]
	v_add_f64 v[26:27], v[22:23], v[24:25]
	ds_read_b128 v[22:25], v1 offset:1152
	s_waitcnt vmcnt(58) lgkmcnt(1)
	v_mul_f64 v[28:29], v[18:19], v[150:151]
	s_waitcnt vmcnt(56)
	v_fmac_f64_e32 v[28:29], v[20:21], v[154:155]
	v_add_f64 v[30:31], v[26:27], v[28:29]
	ds_read_b128 v[26:29], v1 offset:1168
	s_waitcnt lgkmcnt(1)
	v_mul_f64 v[32:33], v[22:23], v[128:129]
	v_fmac_f64_e32 v[32:33], v[24:25], v[130:131]
	v_add_f64 v[34:35], v[30:31], v[32:33]
	ds_read_b128 v[30:33], v1 offset:1184
	s_waitcnt vmcnt(50) lgkmcnt(1)
	v_mul_f64 v[36:37], v[26:27], v[158:159]
	s_waitcnt vmcnt(48)
	v_fmac_f64_e32 v[36:37], v[28:29], v[162:163]
	v_add_f64 v[38:39], v[34:35], v[36:37]
	ds_read_b128 v[34:37], v1 offset:1200
	;; [unrolled: 11-line block ×4, first 2 shown]
	buffer_load_dword v200, off, s[0:3], 0 offset:664
	buffer_load_dword v205, off, s[0:3], 0 offset:652
	;; [unrolled: 1-line block ×28, first 2 shown]
	s_waitcnt lgkmcnt(1)
	v_mul_f64 v[210:211], v[46:47], v[144:145]
	v_fmac_f64_e32 v[210:211], v[48:49], v[148:149]
	v_mul_f64 v[60:61], v[80:81], v[60:61]
	v_add_f64 v[196:197], v[196:197], v[210:211]
	s_waitcnt vmcnt(54) lgkmcnt(0)
	v_mul_f64 v[210:211], v[50:51], v[182:183]
	v_fma_f64 v[212:213], v[78:79], v[56:57], -v[60:61]
	v_mul_f64 v[56:57], v[92:93], v[62:63]
	v_fma_f64 v[2:3], v[90:91], v[54:55], -v[56:57]
	s_waitcnt vmcnt(52)
	v_fmac_f64_e32 v[210:211], v[52:53], v[184:185]
	ds_read_b128 v[54:57], v1 offset:1280
	v_add_f64 v[4:5], v[196:197], v[210:211]
	v_fma_f64 v[196:197], v[114:115], v[68:69], -v[58:59]
	ds_read_b128 v[58:61], v1 offset:1296
	v_mul_f64 v[62:63], v[238:239], v[64:65]
	v_fma_f64 v[210:211], v[236:237], v[66:67], -v[62:63]
	ds_read_b128 v[62:65], v1 offset:1312
	ds_read_b128 v[70:73], v1 offset:1344
	s_waitcnt lgkmcnt(3)
	v_mul_f64 v[68:69], v[54:55], v[152:153]
	v_fmac_f64_e32 v[68:69], v[56:57], v[156:157]
	s_waitcnt vmcnt(46) lgkmcnt(2)
	v_mul_f64 v[66:67], v[58:59], v[186:187]
	v_add_f64 v[4:5], v[4:5], v[68:69]
	s_waitcnt vmcnt(44)
	v_fmac_f64_e32 v[66:67], v[60:61], v[188:189]
	v_add_f64 v[4:5], v[4:5], v[66:67]
	s_waitcnt lgkmcnt(1)
	v_mul_f64 v[66:67], v[62:63], v[160:161]
	v_fmac_f64_e32 v[66:67], v[64:65], v[164:165]
	v_add_f64 v[4:5], v[4:5], v[66:67]
	ds_read_b128 v[66:69], v1 offset:1328
	ds_read_b128 v[74:77], v1 offset:1360
	;; [unrolled: 1-line block ×5, first 2 shown]
	s_waitcnt vmcnt(38) lgkmcnt(4)
	v_mul_f64 v[78:79], v[66:67], v[190:191]
	s_waitcnt vmcnt(36)
	v_fmac_f64_e32 v[78:79], v[68:69], v[192:193]
	v_add_f64 v[4:5], v[4:5], v[78:79]
	v_mul_f64 v[78:79], v[70:71], v[168:169]
	v_fmac_f64_e32 v[78:79], v[72:73], v[172:173]
	v_add_f64 v[4:5], v[4:5], v[78:79]
	s_waitcnt vmcnt(30) lgkmcnt(3)
	v_mul_f64 v[78:79], v[74:75], v[194:195]
	s_waitcnt vmcnt(28)
	v_fmac_f64_e32 v[78:79], v[76:77], v[198:199]
	v_add_f64 v[4:5], v[4:5], v[78:79]
	ds_read_b128 v[78:81], v1 offset:1376
	v_mul_f64 v[108:109], v[108:109], v[110:111]
	v_fma_f64 v[252:253], v[106:107], v[112:113], -v[108:109]
	v_mul_f64 v[120:121], v[120:121], v[122:123]
	v_fma_f64 v[118:119], v[118:119], v[138:139], -v[120:121]
	s_waitcnt lgkmcnt(0)
	v_mul_f64 v[90:91], v[78:79], v[176:177]
	v_fmac_f64_e32 v[90:91], v[80:81], v[180:181]
	v_add_f64 v[4:5], v[4:5], v[90:91]
	ds_read_b128 v[98:101], v1 offset:1456
	ds_read_b128 v[106:109], v1 offset:1488
	s_waitcnt vmcnt(9) lgkmcnt(1)
	v_mul_f64 v[110:111], v[98:99], v[228:229]
	v_mul_f64 v[90:91], v[82:83], v[204:205]
	s_waitcnt vmcnt(7)
	v_fmac_f64_e32 v[110:111], v[100:101], v[232:233]
	v_fmac_f64_e32 v[90:91], v[84:85], v[214:215]
	v_add_f64 v[4:5], v[4:5], v[90:91]
	v_mul_f64 v[90:91], v[86:87], v[200:201]
	v_fmac_f64_e32 v[90:91], v[88:89], v[202:203]
	v_add_f64 v[4:5], v[4:5], v[90:91]
	ds_read_b128 v[90:93], v1 offset:1424
	v_mul_f64 v[102:103], v[94:95], v[222:223]
	v_fmac_f64_e32 v[102:103], v[96:97], v[224:225]
	s_waitcnt lgkmcnt(0)
	v_mul_f64 v[114:115], v[90:91], v[216:217]
	v_fmac_f64_e32 v[114:115], v[92:93], v[218:219]
	v_add_f64 v[4:5], v[4:5], v[114:115]
	v_add_f64 v[4:5], v[4:5], v[102:103]
	ds_read_b128 v[102:105], v1 offset:1472
	buffer_load_dword v236, off, s[0:3], 0 offset:760
	buffer_load_dword v237, off, s[0:3], 0 offset:764
	;; [unrolled: 1-line block ×4, first 2 shown]
	v_add_f64 v[4:5], v[4:5], v[110:111]
	s_waitcnt vmcnt(9) lgkmcnt(0)
	v_mul_f64 v[110:111], v[102:103], v[220:221]
	s_waitcnt vmcnt(8)
	v_fmac_f64_e32 v[110:111], v[104:105], v[226:227]
	v_add_f64 v[4:5], v[4:5], v[110:111]
	s_waitcnt vmcnt(6)
	v_mul_f64 v[110:111], v[106:107], v[230:231]
	s_waitcnt vmcnt(4)
	v_fmac_f64_e32 v[110:111], v[108:109], v[234:235]
	v_add_f64 v[4:5], v[4:5], v[110:111]
	ds_read_b128 v[110:113], v1 offset:1504
	buffer_load_dword v243, off, s[0:3], 0 offset:780
	buffer_load_dword v242, off, s[0:3], 0 offset:776
	;; [unrolled: 1-line block ×4, first 2 shown]
	s_waitcnt vmcnt(6) lgkmcnt(0)
	v_mul_f64 v[114:115], v[110:111], v[236:237]
	s_waitcnt vmcnt(4)
	v_fmac_f64_e32 v[114:115], v[112:113], v[238:239]
	v_add_f64 v[4:5], v[4:5], v[114:115]
	ds_read_b128 v[114:117], v1 offset:1520
	v_accvgpr_read_b32 v0, a146
	v_accvgpr_read_b32 v1, a147
	v_mul_f64 v[8:9], v[8:9], v[0:1]
	v_accvgpr_read_b32 v0, a148
	v_accvgpr_read_b32 v1, a149
	v_fma_f64 v[6:7], v[6:7], v[0:1], -v[8:9]
	s_waitcnt vmcnt(2) lgkmcnt(0)
	v_mul_f64 v[208:209], v[114:115], v[242:243]
	v_accvgpr_read_b32 v0, a143
	s_waitcnt vmcnt(0)
	v_fmac_f64_e32 v[208:209], v[116:117], v[244:245]
	v_add_f64 v[4:5], v[4:5], v[208:209]
	v_add_f64 v[208:209], v[212:213], 0
	;; [unrolled: 1-line block ×8, first 2 shown]
	buffer_load_dword v248, off, s[0:3], 0 offset:128
	buffer_load_dword v249, off, s[0:3], 0 offset:132
	;; [unrolled: 1-line block ×4, first 2 shown]
	v_add_f64 v[2:3], v[2:3], v[254:255]
	v_add_f64 v[254:255], v[2:3], v[206:207]
	;; [unrolled: 1-line block ×6, first 2 shown]
	v_mul_f64 v[6:7], v[12:13], v[142:143]
	v_fma_f64 v[6:7], v[10:11], v[146:147], -v[6:7]
	v_add_f64 v[2:3], v[2:3], v[6:7]
	v_mul_f64 v[6:7], v[16:17], v[124:125]
	v_fma_f64 v[6:7], v[14:15], v[126:127], -v[6:7]
	v_add_f64 v[2:3], v[2:3], v[6:7]
	;; [unrolled: 3-line block ×27, first 2 shown]
	s_waitcnt vmcnt(2)
	v_add_f64 v[2:3], v[248:249], -v[2:3]
	v_cmp_lt_u32_e32 vcc, 6, v0
	s_waitcnt vmcnt(0)
	v_add_f64 v[4:5], v[246:247], -v[4:5]
	buffer_store_dword v3, off, s[0:3], 0 offset:132
	buffer_store_dword v2, off, s[0:3], 0 offset:128
	;; [unrolled: 1-line block ×4, first 2 shown]
	s_and_saveexec_b64 s[4:5], vcc
	s_cbranch_execz .LBB111_289
; %bb.288:
	v_accvgpr_read_b32 v0, a137
	buffer_load_dword v2, v0, s[0:3], 0 offen
	buffer_load_dword v3, v0, s[0:3], 0 offen offset:4
	buffer_load_dword v4, v0, s[0:3], 0 offen offset:8
	;; [unrolled: 1-line block ×3, first 2 shown]
	v_mov_b32_e32 v0, 0
	v_accvgpr_read_b32 v1, a144
	buffer_store_dword v0, off, s[0:3], 0 offset:112
	buffer_store_dword v0, off, s[0:3], 0 offset:116
	buffer_store_dword v0, off, s[0:3], 0 offset:120
	buffer_store_dword v0, off, s[0:3], 0 offset:124
	s_waitcnt vmcnt(4)
	ds_write_b128 v1, v[2:5]
.LBB111_289:
	s_or_b64 exec, exec, s[4:5]
	s_waitcnt lgkmcnt(0)
	; wave barrier
	s_waitcnt lgkmcnt(0)
	buffer_load_dword v54, off, s[0:3], 0 offset:128
	buffer_load_dword v55, off, s[0:3], 0 offset:132
	;; [unrolled: 1-line block ×46, first 2 shown]
	v_mov_b32_e32 v1, 0
	buffer_load_dword v255, off, s[0:3], 0 offset:324
	buffer_load_dword v254, off, s[0:3], 0 offset:320
	;; [unrolled: 1-line block ×3, first 2 shown]
	ds_read_b128 v[94:97], v1 offset:880
	ds_read_b128 v[108:111], v1 offset:896
	;; [unrolled: 1-line block ×11, first 2 shown]
	v_accvgpr_read_b32 v0, a143
	v_cmp_lt_u32_e32 vcc, 5, v0
	s_waitcnt vmcnt(41) lgkmcnt(9)
	v_mul_f64 v[4:5], v[108:109], v[62:63]
	v_fmac_f64_e32 v[4:5], v[110:111], v[58:59]
	s_waitcnt vmcnt(39) lgkmcnt(8)
	v_mul_f64 v[6:7], v[112:113], v[60:61]
	v_mul_f64 v[62:63], v[110:111], v[62:63]
	s_waitcnt vmcnt(37) lgkmcnt(6)
	v_mul_f64 v[10:11], v[238:239], v[64:65]
	s_waitcnt vmcnt(35)
	v_fmac_f64_e32 v[10:11], v[240:241], v[66:67]
	s_waitcnt vmcnt(33)
	v_mul_f64 v[8:9], v[204:205], v[68:69]
	s_waitcnt vmcnt(31) lgkmcnt(4)
	v_mul_f64 v[14:15], v[246:247], v[74:75]
	v_mul_f64 v[74:75], v[248:249], v[74:75]
	s_waitcnt vmcnt(29)
	v_fmac_f64_e32 v[14:15], v[248:249], v[76:77]
	v_fma_f64 v[246:247], v[246:247], v[76:77], -v[74:75]
	s_waitcnt vmcnt(27)
	v_mul_f64 v[12:13], v[242:243], v[70:71]
	s_waitcnt vmcnt(25) lgkmcnt(2)
	v_mul_f64 v[18:19], v[208:209], v[86:87]
	v_mul_f64 v[86:87], v[210:211], v[86:87]
	s_waitcnt vmcnt(22)
	v_mul_f64 v[16:17], v[250:251], v[78:79]
	v_mul_f64 v[78:79], v[252:253], v[78:79]
	s_waitcnt vmcnt(20) lgkmcnt(1)
	v_mul_f64 v[20:21], v[116:117], v[90:91]
	v_mul_f64 v[90:91], v[118:119], v[90:91]
	s_waitcnt vmcnt(18)
	v_fmac_f64_e32 v[6:7], v[114:115], v[84:85]
	s_waitcnt vmcnt(16)
	v_fmac_f64_e32 v[8:9], v[206:207], v[82:83]
	s_waitcnt vmcnt(14)
	v_fmac_f64_e32 v[12:13], v[244:245], v[72:73]
	s_waitcnt vmcnt(12)
	v_fmac_f64_e32 v[16:17], v[252:253], v[80:81]
	s_waitcnt vmcnt(11)
	v_fmac_f64_e32 v[18:19], v[210:211], v[88:89]
	v_fma_f64 v[248:249], v[250:251], v[80:81], -v[78:79]
	v_fma_f64 v[252:253], v[208:209], v[88:89], -v[86:87]
	s_waitcnt vmcnt(5)
	v_fmac_f64_e32 v[20:21], v[118:119], v[92:93]
	v_fma_f64 v[118:119], v[116:117], v[92:93], -v[90:91]
	s_waitcnt vmcnt(3)
	v_pk_mov_b32 v[22:23], v[2:3], v[2:3] op_sel:[0,1]
	v_mul_f64 v[2:3], v[94:95], v[56:57]
	v_fmac_f64_e32 v[2:3], v[96:97], v[54:55]
	v_add_f64 v[2:3], v[2:3], 0
	v_add_f64 v[2:3], v[2:3], v[4:5]
	buffer_load_dword v106, off, s[0:3], 0 offset:312
	buffer_load_dword v197, off, s[0:3], 0 offset:308
	;; [unrolled: 1-line block ×75, first 2 shown]
	v_add_f64 v[2:3], v[2:3], v[6:7]
	v_add_f64 v[2:3], v[2:3], v[8:9]
	;; [unrolled: 1-line block ×3, first 2 shown]
	ds_read_b128 v[234:237], v1 offset:1056
	ds_read_b128 v[120:123], v1 offset:1072
	v_add_f64 v[2:3], v[2:3], v[12:13]
	v_add_f64 v[2:3], v[2:3], v[14:15]
	;; [unrolled: 1-line block ×5, first 2 shown]
	s_waitcnt lgkmcnt(0)
	v_mul_f64 v[12:13], v[120:121], v[22:23]
	s_waitcnt vmcnt(62)
	v_fmac_f64_e32 v[12:13], v[122:123], v[254:255]
	v_accvgpr_write_b32 a147, v23
	v_accvgpr_write_b32 a146, v22
	v_mul_f64 v[56:57], v[96:97], v[56:57]
	v_mul_f64 v[8:9], v[234:235], v[106:107]
	v_fmac_f64_e32 v[8:9], v[236:237], v[196:197]
	v_pk_mov_b32 v[24:25], v[4:5], v[4:5] op_sel:[0,1]
	v_mul_f64 v[4:5], v[98:99], v[102:103]
	v_fmac_f64_e32 v[4:5], v[100:101], v[104:105]
	v_add_f64 v[6:7], v[2:3], v[4:5]
	v_add_f64 v[10:11], v[6:7], v[8:9]
	ds_read_b128 v[6:9], v1 offset:1088
	v_add_f64 v[14:15], v[10:11], v[12:13]
	ds_read_b128 v[10:13], v1 offset:1104
	v_accvgpr_write_b32 a149, v25
	v_accvgpr_write_b32 a148, v24
	s_waitcnt lgkmcnt(1)
	v_mul_f64 v[16:17], v[6:7], v[138:139]
	v_fmac_f64_e32 v[16:17], v[8:9], v[142:143]
	s_waitcnt lgkmcnt(0)
	v_mul_f64 v[20:21], v[10:11], v[24:25]
	v_add_f64 v[18:19], v[14:15], v[16:17]
	ds_read_b128 v[14:17], v1 offset:1120
	v_fmac_f64_e32 v[20:21], v[12:13], v[124:125]
	v_add_f64 v[22:23], v[18:19], v[20:21]
	ds_read_b128 v[18:21], v1 offset:1136
	v_fma_f64 v[2:3], v[94:95], v[54:55], -v[56:57]
	s_waitcnt vmcnt(58) lgkmcnt(1)
	v_mul_f64 v[24:25], v[14:15], v[146:147]
	s_waitcnt vmcnt(56)
	v_fmac_f64_e32 v[24:25], v[16:17], v[150:151]
	v_add_f64 v[26:27], v[22:23], v[24:25]
	s_waitcnt lgkmcnt(0)
	v_mul_f64 v[28:29], v[18:19], v[126:127]
	ds_read_b128 v[22:25], v1 offset:1152
	v_fmac_f64_e32 v[28:29], v[20:21], v[128:129]
	v_add_f64 v[30:31], v[26:27], v[28:29]
	ds_read_b128 v[26:29], v1 offset:1168
	v_fma_f64 v[94:95], v[108:109], v[58:59], -v[62:63]
	s_waitcnt vmcnt(50) lgkmcnt(1)
	v_mul_f64 v[32:33], v[22:23], v[154:155]
	s_waitcnt vmcnt(48)
	v_fmac_f64_e32 v[32:33], v[24:25], v[158:159]
	v_add_f64 v[34:35], v[30:31], v[32:33]
	s_waitcnt lgkmcnt(0)
	v_mul_f64 v[36:37], v[26:27], v[130:131]
	ds_read_b128 v[30:33], v1 offset:1184
	v_fmac_f64_e32 v[36:37], v[28:29], v[132:133]
	v_add_f64 v[38:39], v[34:35], v[36:37]
	ds_read_b128 v[34:37], v1 offset:1200
	v_mul_f64 v[58:59], v[114:115], v[60:61]
	s_waitcnt vmcnt(42) lgkmcnt(1)
	v_mul_f64 v[40:41], v[30:31], v[162:163]
	s_waitcnt vmcnt(40)
	v_fmac_f64_e32 v[40:41], v[32:33], v[166:167]
	v_add_f64 v[42:43], v[38:39], v[40:41]
	s_waitcnt lgkmcnt(0)
	v_mul_f64 v[44:45], v[34:35], v[134:135]
	ds_read_b128 v[38:41], v1 offset:1216
	v_fmac_f64_e32 v[44:45], v[36:37], v[136:137]
	v_add_f64 v[46:47], v[42:43], v[44:45]
	ds_read_b128 v[42:45], v1 offset:1232
	v_fma_f64 v[96:97], v[112:113], v[84:85], -v[58:59]
	s_waitcnt vmcnt(34) lgkmcnt(1)
	v_mul_f64 v[48:49], v[38:39], v[170:171]
	s_waitcnt vmcnt(32)
	v_fmac_f64_e32 v[48:49], v[40:41], v[174:175]
	v_add_f64 v[50:51], v[46:47], v[48:49]
	s_waitcnt lgkmcnt(0)
	v_mul_f64 v[52:53], v[42:43], v[140:141]
	v_fmac_f64_e32 v[52:53], v[44:45], v[144:145]
	ds_read_b128 v[46:49], v1 offset:1248
	v_add_f64 v[200:201], v[50:51], v[52:53]
	ds_read_b128 v[50:53], v1 offset:1264
	buffer_load_dword v195, off, s[0:3], 0 offset:636
	buffer_load_dword v194, off, s[0:3], 0 offset:632
	;; [unrolled: 1-line block ×4, first 2 shown]
	v_mul_f64 v[58:59], v[206:207], v[68:69]
	s_waitcnt vmcnt(30) lgkmcnt(1)
	v_mul_f64 v[202:203], v[46:47], v[178:179]
	s_waitcnt vmcnt(28)
	v_fmac_f64_e32 v[202:203], v[48:49], v[180:181]
	v_add_f64 v[212:213], v[200:201], v[202:203]
	buffer_load_dword v202, off, s[0:3], 0 offset:648
	buffer_load_dword v214, off, s[0:3], 0 offset:640
	buffer_load_dword v203, off, s[0:3], 0 offset:652
	buffer_load_dword v215, off, s[0:3], 0 offset:644
	buffer_load_dword v201, off, s[0:3], 0 offset:684
	buffer_load_dword v217, off, s[0:3], 0 offset:668
	buffer_load_dword v216, off, s[0:3], 0 offset:664
	buffer_load_dword v221, off, s[0:3], 0 offset:660
	buffer_load_dword v220, off, s[0:3], 0 offset:656
	buffer_load_dword v200, off, s[0:3], 0 offset:680
	buffer_load_dword v219, off, s[0:3], 0 offset:676
	buffer_load_dword v218, off, s[0:3], 0 offset:672
	ds_read_b128 v[54:57], v1 offset:1280
	buffer_load_dword v223, off, s[0:3], 0 offset:700
	buffer_load_dword v222, off, s[0:3], 0 offset:696
	;; [unrolled: 1-line block ×4, first 2 shown]
	s_waitcnt lgkmcnt(1)
	v_mul_f64 v[4:5], v[50:51], v[148:149]
	buffer_load_dword v226, off, s[0:3], 0 offset:712
	buffer_load_dword v228, off, s[0:3], 0 offset:704
	;; [unrolled: 1-line block ×8, first 2 shown]
	v_fmac_f64_e32 v[4:5], v[52:53], v[152:153]
	v_add_f64 v[4:5], v[212:213], v[4:5]
	buffer_load_dword v206, off, s[0:3], 0 offset:744
	buffer_load_dword v212, off, s[0:3], 0 offset:736
	;; [unrolled: 1-line block ×4, first 2 shown]
	v_fma_f64 v[108:109], v[204:205], v[82:83], -v[58:59]
	s_waitcnt vmcnt(50) lgkmcnt(0)
	v_mul_f64 v[58:59], v[54:55], v[182:183]
	s_waitcnt vmcnt(48)
	v_fmac_f64_e32 v[58:59], v[56:57], v[184:185]
	v_add_f64 v[4:5], v[4:5], v[58:59]
	ds_read_b128 v[58:61], v1 offset:1296
	v_mul_f64 v[62:63], v[240:241], v[64:65]
	v_fma_f64 v[240:241], v[238:239], v[66:67], -v[62:63]
	ds_read_b128 v[62:65], v1 offset:1312
	v_mul_f64 v[66:67], v[244:245], v[70:71]
	v_fma_f64 v[204:205], v[242:243], v[72:73], -v[66:67]
	ds_read_b128 v[66:69], v1 offset:1328
	ds_read_b128 v[74:77], v1 offset:1360
	s_waitcnt lgkmcnt(3)
	v_mul_f64 v[82:83], v[58:59], v[156:157]
	v_fmac_f64_e32 v[82:83], v[60:61], v[160:161]
	s_waitcnt vmcnt(42) lgkmcnt(2)
	v_mul_f64 v[70:71], v[62:63], v[186:187]
	v_add_f64 v[4:5], v[4:5], v[82:83]
	s_waitcnt vmcnt(40)
	v_fmac_f64_e32 v[70:71], v[64:65], v[188:189]
	v_add_f64 v[4:5], v[4:5], v[70:71]
	s_waitcnt lgkmcnt(1)
	v_mul_f64 v[70:71], v[66:67], v[164:165]
	v_fmac_f64_e32 v[70:71], v[68:69], v[168:169]
	v_add_f64 v[4:5], v[4:5], v[70:71]
	ds_read_b128 v[70:73], v1 offset:1344
	ds_read_b128 v[78:81], v1 offset:1376
	;; [unrolled: 1-line block ×4, first 2 shown]
	v_mul_f64 v[100:101], v[100:101], v[102:103]
	s_waitcnt vmcnt(34) lgkmcnt(3)
	v_mul_f64 v[82:83], v[70:71], v[190:191]
	s_waitcnt vmcnt(32)
	v_fmac_f64_e32 v[82:83], v[72:73], v[192:193]
	v_add_f64 v[4:5], v[4:5], v[82:83]
	v_mul_f64 v[82:83], v[74:75], v[172:173]
	v_fmac_f64_e32 v[82:83], v[76:77], v[176:177]
	v_add_f64 v[4:5], v[4:5], v[82:83]
	v_mul_f64 v[102:103], v[236:237], v[106:107]
	v_fma_f64 v[250:251], v[98:99], v[104:105], -v[100:101]
	ds_read_b128 v[98:101], v1 offset:1456
	v_fma_f64 v[102:103], v[234:235], v[196:197], -v[102:103]
	v_accvgpr_write_b32 a151, v103
	v_accvgpr_write_b32 a150, v102
	ds_read_b128 v[102:105], v1 offset:1472
	ds_read_b128 v[234:237], v1 offset:1488
	v_add_f64 v[2:3], v[2:3], 0
	v_add_f64 v[2:3], v[2:3], v[94:95]
	;; [unrolled: 1-line block ×7, first 2 shown]
	ds_read_b128 v[86:89], v1 offset:1408
	v_add_f64 v[2:3], v[2:3], v[248:249]
	v_add_f64 v[2:3], v[2:3], v[252:253]
	;; [unrolled: 1-line block ×3, first 2 shown]
	v_accvgpr_read_b32 v94, a146
	v_add_f64 v[252:253], v[2:3], v[250:251]
	v_accvgpr_read_b32 v2, a150
	v_accvgpr_read_b32 v95, a147
	;; [unrolled: 1-line block ×3, first 2 shown]
	v_mul_f64 v[94:95], v[122:123], v[94:95]
	v_add_f64 v[2:3], v[252:253], v[2:3]
	v_fma_f64 v[94:95], v[120:121], v[254:255], -v[94:95]
	v_mul_f64 v[8:9], v[8:9], v[138:139]
	v_add_f64 v[2:3], v[2:3], v[94:95]
	v_fma_f64 v[6:7], v[6:7], v[142:143], -v[8:9]
	v_add_f64 v[2:3], v[2:3], v[6:7]
	v_accvgpr_read_b32 v6, a148
	s_waitcnt vmcnt(30) lgkmcnt(6)
	v_mul_f64 v[82:83], v[78:79], v[194:195]
	v_accvgpr_read_b32 v7, a149
	s_waitcnt vmcnt(28)
	v_fmac_f64_e32 v[82:83], v[80:81], v[198:199]
	v_add_f64 v[4:5], v[4:5], v[82:83]
	ds_read_b128 v[82:85], v1 offset:1392
	v_mul_f64 v[6:7], v[12:13], v[6:7]
	v_fma_f64 v[6:7], v[10:11], v[124:125], -v[6:7]
	s_waitcnt vmcnt(9) lgkmcnt(4)
	v_mul_f64 v[106:107], v[98:99], v[226:227]
	s_waitcnt vmcnt(8)
	v_fmac_f64_e32 v[106:107], v[100:101], v[228:229]
	s_waitcnt lgkmcnt(0)
	v_mul_f64 v[110:111], v[82:83], v[202:203]
	v_fmac_f64_e32 v[110:111], v[84:85], v[214:215]
	v_add_f64 v[4:5], v[4:5], v[110:111]
	v_mul_f64 v[110:111], v[86:87], v[216:217]
	v_fmac_f64_e32 v[110:111], v[88:89], v[220:221]
	v_add_f64 v[4:5], v[4:5], v[110:111]
	;; [unrolled: 3-line block ×4, first 2 shown]
	v_add_f64 v[4:5], v[4:5], v[106:107]
	s_waitcnt vmcnt(6)
	v_mul_f64 v[106:107], v[102:103], v[230:231]
	s_waitcnt vmcnt(4)
	v_fmac_f64_e32 v[106:107], v[104:105], v[232:233]
	v_add_f64 v[4:5], v[4:5], v[106:107]
	s_waitcnt vmcnt(1)
	v_mul_f64 v[106:107], v[234:235], v[206:207]
	s_waitcnt vmcnt(0)
	v_fmac_f64_e32 v[106:107], v[236:237], v[212:213]
	v_add_f64 v[4:5], v[4:5], v[106:107]
	buffer_load_dword v107, off, s[0:3], 0 offset:764
	buffer_load_dword v106, off, s[0:3], 0 offset:760
	;; [unrolled: 1-line block ×4, first 2 shown]
	ds_read_b128 v[110:113], v1 offset:1504
	buffer_load_dword v242, off, s[0:3], 0 offset:776
	buffer_load_dword v243, off, s[0:3], 0 offset:780
	;; [unrolled: 1-line block ×4, first 2 shown]
	v_add_f64 v[2:3], v[2:3], v[6:7]
	v_mul_f64 v[6:7], v[16:17], v[146:147]
	v_fma_f64 v[6:7], v[14:15], v[150:151], -v[6:7]
	v_add_f64 v[2:3], v[2:3], v[6:7]
	v_mul_f64 v[6:7], v[20:21], v[126:127]
	v_fma_f64 v[6:7], v[18:19], v[128:129], -v[6:7]
	;; [unrolled: 3-line block ×24, first 2 shown]
	v_add_f64 v[2:3], v[2:3], v[6:7]
	s_waitcnt vmcnt(6) lgkmcnt(0)
	v_mul_f64 v[114:115], v[110:111], v[106:107]
	v_mul_f64 v[6:7], v[112:113], v[106:107]
	s_waitcnt vmcnt(4)
	v_fmac_f64_e32 v[114:115], v[112:113], v[238:239]
	v_add_f64 v[4:5], v[4:5], v[114:115]
	ds_read_b128 v[114:117], v1 offset:1520
	buffer_load_dword v248, off, s[0:3], 0 offset:112
	buffer_load_dword v249, off, s[0:3], 0 offset:116
	buffer_load_dword v246, off, s[0:3], 0 offset:120
	buffer_load_dword v247, off, s[0:3], 0 offset:124
	v_fma_f64 v[6:7], v[110:111], v[238:239], -v[6:7]
	v_add_f64 v[2:3], v[2:3], v[6:7]
	s_waitcnt vmcnt(6) lgkmcnt(0)
	v_mul_f64 v[6:7], v[116:117], v[242:243]
	v_mul_f64 v[196:197], v[114:115], v[242:243]
	s_waitcnt vmcnt(4)
	v_fma_f64 v[6:7], v[114:115], v[244:245], -v[6:7]
	v_fmac_f64_e32 v[196:197], v[116:117], v[244:245]
	v_add_f64 v[2:3], v[2:3], v[6:7]
	v_add_f64 v[4:5], v[4:5], v[196:197]
	s_waitcnt vmcnt(2)
	v_add_f64 v[2:3], v[248:249], -v[2:3]
	s_waitcnt vmcnt(0)
	v_add_f64 v[4:5], v[246:247], -v[4:5]
	buffer_store_dword v3, off, s[0:3], 0 offset:116
	buffer_store_dword v2, off, s[0:3], 0 offset:112
	;; [unrolled: 1-line block ×4, first 2 shown]
	s_and_saveexec_b64 s[4:5], vcc
	s_cbranch_execz .LBB111_291
; %bb.290:
	v_accvgpr_read_b32 v0, a138
	buffer_load_dword v2, v0, s[0:3], 0 offen
	buffer_load_dword v3, v0, s[0:3], 0 offen offset:4
	buffer_load_dword v4, v0, s[0:3], 0 offen offset:8
	;; [unrolled: 1-line block ×3, first 2 shown]
	v_accvgpr_read_b32 v0, a144
	buffer_store_dword v1, off, s[0:3], 0 offset:96
	buffer_store_dword v1, off, s[0:3], 0 offset:100
	;; [unrolled: 1-line block ×4, first 2 shown]
	s_waitcnt vmcnt(4)
	ds_write_b128 v0, v[2:5]
.LBB111_291:
	s_or_b64 exec, exec, s[4:5]
	s_waitcnt lgkmcnt(0)
	; wave barrier
	s_waitcnt lgkmcnt(0)
	buffer_load_dword v58, off, s[0:3], 0 offset:112
	buffer_load_dword v59, off, s[0:3], 0 offset:116
	;; [unrolled: 1-line block ×42, first 2 shown]
	ds_read_b128 v[110:113], v1 offset:864
	ds_read_b128 v[114:117], v1 offset:880
	;; [unrolled: 1-line block ×10, first 2 shown]
	buffer_load_dword v223, off, s[0:3], 0 offset:260
	buffer_load_dword v222, off, s[0:3], 0 offset:256
	ds_read_b128 v[90:93], v1 offset:1024
	buffer_load_dword v105, off, s[0:3], 0 offset:316
	buffer_load_dword v104, off, s[0:3], 0 offset:312
	;; [unrolled: 1-line block ×6, first 2 shown]
	s_waitcnt vmcnt(46) lgkmcnt(10)
	v_mul_f64 v[2:3], v[110:111], v[60:61]
	v_fmac_f64_e32 v[2:3], v[112:113], v[58:59]
	v_add_f64 v[2:3], v[2:3], 0
	v_mul_f64 v[60:61], v[112:113], v[60:61]
	s_waitcnt vmcnt(42) lgkmcnt(9)
	v_mul_f64 v[4:5], v[114:115], v[62:63]
	v_fmac_f64_e32 v[4:5], v[116:117], v[56:57]
	v_add_f64 v[2:3], v[2:3], v[4:5]
	buffer_load_dword v225, off, s[0:3], 0 offset:292
	buffer_load_dword v224, off, s[0:3], 0 offset:288
	buffer_load_dword v5, off, s[0:3], 0 offset:348
	buffer_load_dword v4, off, s[0:3], 0 offset:344
	s_waitcnt vmcnt(44) lgkmcnt(8)
	v_mul_f64 v[6:7], v[204:205], v[54:55]
	s_waitcnt vmcnt(42) lgkmcnt(6)
	v_mul_f64 v[10:11], v[232:233], v[64:65]
	s_waitcnt vmcnt(40)
	v_fmac_f64_e32 v[10:11], v[234:235], v[66:67]
	v_mul_f64 v[54:55], v[206:207], v[54:55]
	s_waitcnt vmcnt(38)
	v_mul_f64 v[8:9], v[208:209], v[68:69]
	s_waitcnt vmcnt(36) lgkmcnt(4)
	v_mul_f64 v[14:15], v[240:241], v[70:71]
	s_waitcnt vmcnt(34)
	v_fmac_f64_e32 v[14:15], v[242:243], v[72:73]
	s_waitcnt vmcnt(32)
	v_mul_f64 v[12:13], v[236:237], v[74:75]
	s_waitcnt vmcnt(30) lgkmcnt(2)
	v_mul_f64 v[18:19], v[248:249], v[78:79]
	v_mul_f64 v[78:79], v[250:251], v[78:79]
	s_waitcnt vmcnt(27)
	v_mul_f64 v[16:17], v[244:245], v[76:77]
	s_waitcnt vmcnt(25) lgkmcnt(1)
	v_mul_f64 v[20:21], v[82:83], v[86:87]
	s_waitcnt vmcnt(23)
	v_fmac_f64_e32 v[6:7], v[206:207], v[100:101]
	v_add_f64 v[2:3], v[2:3], v[6:7]
	s_waitcnt vmcnt(21)
	v_fmac_f64_e32 v[8:9], v[210:211], v[98:99]
	v_add_f64 v[2:3], v[2:3], v[8:9]
	;; [unrolled: 3-line block ×3, first 2 shown]
	v_add_f64 v[2:3], v[2:3], v[12:13]
	s_waitcnt vmcnt(17)
	v_fmac_f64_e32 v[16:17], v[246:247], v[88:89]
	v_add_f64 v[2:3], v[2:3], v[14:15]
	s_waitcnt vmcnt(16)
	v_fmac_f64_e32 v[18:19], v[250:251], v[80:81]
	v_add_f64 v[2:3], v[2:3], v[16:17]
	v_add_f64 v[2:3], v[2:3], v[18:19]
	v_fma_f64 v[54:55], v[204:205], v[100:101], -v[54:55]
	s_waitcnt vmcnt(10)
	v_fmac_f64_e32 v[20:21], v[84:85], v[222:223]
	v_add_f64 v[2:3], v[2:3], v[20:21]
	v_fma_f64 v[248:249], v[248:249], v[80:81], -v[78:79]
	v_mul_f64 v[84:85], v[84:85], v[86:87]
	v_fma_f64 v[250:251], v[82:83], v[222:223], -v[84:85]
	s_waitcnt vmcnt(0)
	v_pk_mov_b32 v[18:19], v[4:5], v[4:5] op_sel:[0,1]
	buffer_load_dword v5, off, s[0:3], 0 offset:340
	buffer_load_dword v4, off, s[0:3], 0 offset:336
	v_accvgpr_write_b32 a147, v19
	v_accvgpr_write_b32 a146, v18
	s_waitcnt vmcnt(0)
	v_pk_mov_b32 v[22:23], v[4:5], v[4:5] op_sel:[0,1]
	buffer_load_dword v135, off, s[0:3], 0 offset:332
	buffer_load_dword v134, off, s[0:3], 0 offset:328
	;; [unrolled: 1-line block ×6, first 2 shown]
	v_accvgpr_write_b32 a149, v23
	v_accvgpr_write_b32 a148, v22
	s_waitcnt vmcnt(0)
	v_pk_mov_b32 v[26:27], v[4:5], v[4:5] op_sel:[0,1]
	buffer_load_dword v5, off, s[0:3], 0 offset:372
	buffer_load_dword v4, off, s[0:3], 0 offset:368
	v_accvgpr_write_b32 a151, v27
	v_accvgpr_write_b32 a150, v26
	s_waitcnt vmcnt(0)
	v_pk_mov_b32 v[28:29], v[4:5], v[4:5] op_sel:[0,1]
	buffer_load_dword v143, off, s[0:3], 0 offset:364
	buffer_load_dword v142, off, s[0:3], 0 offset:360
	;; [unrolled: 1-line block ×60, first 2 shown]
	ds_read_b128 v[252:255], v1 offset:1040
	ds_read_b128 v[118:121], v1 offset:1056
	;; [unrolled: 1-line block ×5, first 2 shown]
	v_accvgpr_write_b32 a153, v29
	s_waitcnt lgkmcnt(3)
	v_mul_f64 v[8:9], v[118:119], v[104:105]
	v_fmac_f64_e32 v[8:9], v[120:121], v[106:107]
	s_waitcnt lgkmcnt(2)
	v_mul_f64 v[12:13], v[126:127], v[134:135]
	v_fmac_f64_e32 v[12:13], v[128:129], v[138:139]
	;; [unrolled: 3-line block ×3, first 2 shown]
	v_accvgpr_write_b32 a152, v28
	v_mul_f64 v[104:105], v[120:121], v[104:105]
	s_waitcnt vmcnt(46)
	v_pk_mov_b32 v[42:43], v[4:5], v[4:5] op_sel:[0,1]
	v_mul_f64 v[4:5], v[90:91], v[96:97]
	v_fmac_f64_e32 v[4:5], v[92:93], v[102:103]
	v_add_f64 v[2:3], v[2:3], v[4:5]
	v_mul_f64 v[4:5], v[252:253], v[108:109]
	v_fmac_f64_e32 v[4:5], v[254:255], v[224:225]
	v_add_f64 v[6:7], v[2:3], v[4:5]
	v_add_f64 v[10:11], v[6:7], v[8:9]
	;; [unrolled: 1-line block ×4, first 2 shown]
	ds_read_b128 v[14:17], v1 offset:1120
	s_waitcnt lgkmcnt(1)
	v_mul_f64 v[20:21], v[122:123], v[142:143]
	v_fmac_f64_e32 v[20:21], v[124:125], v[146:147]
	v_add_f64 v[22:23], v[18:19], v[20:21]
	ds_read_b128 v[18:21], v1 offset:1136
	s_waitcnt lgkmcnt(1)
	v_mul_f64 v[24:25], v[14:15], v[26:27]
	v_fmac_f64_e32 v[24:25], v[16:17], v[28:29]
	v_add_f64 v[26:27], v[22:23], v[24:25]
	;; [unrolled: 5-line block ×4, first 2 shown]
	ds_read_b128 v[30:33], v1 offset:1184
	s_waitcnt vmcnt(42) lgkmcnt(1)
	v_mul_f64 v[36:37], v[26:27], v[158:159]
	s_waitcnt vmcnt(40)
	v_fmac_f64_e32 v[36:37], v[28:29], v[162:163]
	v_add_f64 v[38:39], v[34:35], v[36:37]
	ds_read_b128 v[34:37], v1 offset:1200
	s_waitcnt lgkmcnt(1)
	v_mul_f64 v[40:41], v[30:31], v[42:43]
	v_accvgpr_write_b32 a155, v43
	v_fmac_f64_e32 v[40:41], v[32:33], v[132:133]
	v_accvgpr_write_b32 a154, v42
	v_add_f64 v[42:43], v[38:39], v[40:41]
	ds_read_b128 v[38:41], v1 offset:1216
	s_waitcnt vmcnt(34) lgkmcnt(1)
	v_mul_f64 v[44:45], v[34:35], v[166:167]
	s_waitcnt vmcnt(32)
	v_fmac_f64_e32 v[44:45], v[36:37], v[170:171]
	v_add_f64 v[46:47], v[42:43], v[44:45]
	ds_read_b128 v[42:45], v1 offset:1232
	s_waitcnt lgkmcnt(1)
	v_mul_f64 v[48:49], v[38:39], v[136:137]
	v_fmac_f64_e32 v[48:49], v[40:41], v[140:141]
	v_add_f64 v[50:51], v[46:47], v[48:49]
	ds_read_b128 v[46:49], v1 offset:1248
	s_waitcnt vmcnt(26) lgkmcnt(1)
	v_mul_f64 v[52:53], v[42:43], v[174:175]
	s_waitcnt vmcnt(24)
	v_fmac_f64_e32 v[52:53], v[44:45], v[176:177]
	v_add_f64 v[2:3], v[50:51], v[52:53]
	ds_read_b128 v[50:53], v1 offset:1264
	buffer_load_dword v13, off, s[0:3], 0 offset:620
	buffer_load_dword v12, off, s[0:3], 0 offset:616
	;; [unrolled: 1-line block ×20, first 2 shown]
	s_waitcnt lgkmcnt(1)
	v_mul_f64 v[4:5], v[46:47], v[144:145]
	v_fma_f64 v[6:7], v[110:111], v[58:59], -v[60:61]
	v_mul_f64 v[58:59], v[116:117], v[62:63]
	v_fmac_f64_e32 v[4:5], v[48:49], v[148:149]
	v_fma_f64 v[226:227], v[114:115], v[56:57], -v[58:59]
	v_mul_f64 v[56:57], v[210:211], v[68:69]
	v_add_f64 v[58:59], v[2:3], v[4:5]
	v_mul_f64 v[2:3], v[234:235], v[64:65]
	v_fma_f64 v[56:57], v[208:209], v[98:99], -v[56:57]
	buffer_load_dword v204, off, s[0:3], 0 offset:696
	buffer_load_dword v208, off, s[0:3], 0 offset:688
	;; [unrolled: 1-line block ×12, first 2 shown]
	v_fma_f64 v[2:3], v[232:233], v[66:67], -v[2:3]
	buffer_load_dword v233, off, s[0:3], 0 offset:748
	buffer_load_dword v232, off, s[0:3], 0 offset:744
	;; [unrolled: 1-line block ×4, first 2 shown]
	ds_read_b128 v[8:11], v1 offset:1280
	s_waitcnt vmcnt(54) lgkmcnt(1)
	v_mul_f64 v[4:5], v[50:51], v[178:179]
	s_waitcnt vmcnt(52)
	v_fmac_f64_e32 v[4:5], v[52:53], v[180:181]
	v_add_f64 v[4:5], v[58:59], v[4:5]
	v_mul_f64 v[58:59], v[238:239], v[74:75]
	v_fma_f64 v[94:95], v[236:237], v[94:95], -v[58:59]
	ds_read_b128 v[58:61], v1 offset:1296
	s_waitcnt lgkmcnt(1)
	v_mul_f64 v[62:63], v[8:9], v[152:153]
	v_fmac_f64_e32 v[62:63], v[10:11], v[156:157]
	v_add_f64 v[4:5], v[4:5], v[62:63]
	ds_read_b128 v[62:65], v1 offset:1312
	v_mul_f64 v[66:67], v[242:243], v[70:71]
	s_waitcnt vmcnt(46) lgkmcnt(1)
	v_mul_f64 v[70:71], v[58:59], v[182:183]
	v_fma_f64 v[240:241], v[240:241], v[72:73], -v[66:67]
	ds_read_b128 v[66:69], v1 offset:1328
	s_waitcnt vmcnt(44)
	v_fmac_f64_e32 v[70:71], v[60:61], v[184:185]
	v_add_f64 v[4:5], v[4:5], v[70:71]
	v_mul_f64 v[70:71], v[246:247], v[76:77]
	v_fma_f64 v[246:247], v[244:245], v[88:89], -v[70:71]
	ds_read_b128 v[70:73], v1 offset:1344
	ds_read_b128 v[78:81], v1 offset:1376
	s_waitcnt lgkmcnt(3)
	v_mul_f64 v[74:75], v[62:63], v[160:161]
	v_fmac_f64_e32 v[74:75], v[64:65], v[164:165]
	v_add_f64 v[4:5], v[4:5], v[74:75]
	s_waitcnt vmcnt(38) lgkmcnt(2)
	v_mul_f64 v[74:75], v[66:67], v[186:187]
	s_waitcnt vmcnt(36)
	v_fmac_f64_e32 v[74:75], v[68:69], v[188:189]
	v_add_f64 v[4:5], v[4:5], v[74:75]
	s_waitcnt lgkmcnt(1)
	v_mul_f64 v[74:75], v[70:71], v[168:169]
	v_fmac_f64_e32 v[74:75], v[72:73], v[172:173]
	v_add_f64 v[4:5], v[4:5], v[74:75]
	ds_read_b128 v[74:77], v1 offset:1360
	ds_read_b128 v[82:85], v1 offset:1392
	v_mul_f64 v[92:93], v[92:93], v[96:97]
	v_fma_f64 v[102:103], v[90:91], v[102:103], -v[92:93]
	v_add_f64 v[6:7], v[6:7], 0
	v_add_f64 v[6:7], v[6:7], v[226:227]
	;; [unrolled: 1-line block ×3, first 2 shown]
	ds_read_b128 v[98:101], v1 offset:1440
	v_add_f64 v[6:7], v[6:7], v[56:57]
	v_add_f64 v[2:3], v[6:7], v[2:3]
	;; [unrolled: 1-line block ×7, first 2 shown]
	v_mul_f64 v[6:7], v[128:129], v[134:135]
	v_fma_f64 v[6:7], v[126:127], v[138:139], -v[6:7]
	ds_read_b128 v[90:93], v1 offset:1424
	s_waitcnt vmcnt(25) lgkmcnt(2)
	v_mul_f64 v[96:97], v[82:83], v[202:203]
	s_waitcnt vmcnt(23)
	v_fmac_f64_e32 v[96:97], v[84:85], v[218:219]
	v_mul_f64 v[88:89], v[74:75], v[12:13]
	v_fmac_f64_e32 v[88:89], v[76:77], v[130:131]
	v_mul_f64 v[86:87], v[78:79], v[198:199]
	v_add_f64 v[4:5], v[4:5], v[88:89]
	v_fmac_f64_e32 v[86:87], v[80:81], v[200:201]
	v_add_f64 v[4:5], v[4:5], v[86:87]
	ds_read_b128 v[86:89], v1 offset:1408
	v_add_f64 v[4:5], v[4:5], v[96:97]
	s_waitcnt vmcnt(18) lgkmcnt(1)
	v_mul_f64 v[110:111], v[90:91], v[214:215]
	s_waitcnt vmcnt(16)
	v_fmac_f64_e32 v[110:111], v[92:93], v[220:221]
	s_waitcnt lgkmcnt(0)
	v_mul_f64 v[96:97], v[86:87], v[194:195]
	v_fmac_f64_e32 v[96:97], v[88:89], v[216:217]
	v_add_f64 v[4:5], v[4:5], v[96:97]
	v_mul_f64 v[96:97], v[254:255], v[108:109]
	v_fma_f64 v[96:97], v[252:253], v[224:225], -v[96:97]
	ds_read_b128 v[222:225], v1 offset:1456
	v_fma_f64 v[252:253], v[118:119], v[106:107], -v[104:105]
	ds_read_b128 v[118:121], v1 offset:1472
	ds_read_b128 v[106:109], v1 offset:1488
	buffer_load_dword v236, off, s[0:3], 0 offset:760
	buffer_load_dword v237, off, s[0:3], 0 offset:764
	;; [unrolled: 1-line block ×4, first 2 shown]
	v_add_f64 v[4:5], v[4:5], v[110:111]
	ds_read_b128 v[110:113], v1 offset:1504
	buffer_load_dword v243, off, s[0:3], 0 offset:780
	buffer_load_dword v242, off, s[0:3], 0 offset:776
	;; [unrolled: 1-line block ×4, first 2 shown]
	ds_read_b128 v[114:117], v1 offset:1520
	buffer_load_dword v248, off, s[0:3], 0 offset:96
	buffer_load_dword v249, off, s[0:3], 0 offset:100
	;; [unrolled: 1-line block ×4, first 2 shown]
	v_add_f64 v[254:255], v[2:3], v[102:103]
	v_add_f64 v[2:3], v[254:255], v[96:97]
	v_accvgpr_read_b32 v0, a146
	v_add_f64 v[2:3], v[2:3], v[252:253]
	v_accvgpr_read_b32 v1, a147
	v_add_f64 v[2:3], v[2:3], v[6:7]
	v_mul_f64 v[6:7], v[192:193], v[0:1]
	v_accvgpr_read_b32 v0, a148
	v_accvgpr_read_b32 v1, a149
	v_fma_f64 v[6:7], v[190:191], v[0:1], -v[6:7]
	v_add_f64 v[2:3], v[2:3], v[6:7]
	v_mul_f64 v[6:7], v[124:125], v[142:143]
	v_accvgpr_read_b32 v0, a150
	v_fma_f64 v[6:7], v[122:123], v[146:147], -v[6:7]
	v_accvgpr_read_b32 v1, a151
	v_add_f64 v[2:3], v[2:3], v[6:7]
	v_mul_f64 v[6:7], v[16:17], v[0:1]
	v_accvgpr_read_b32 v0, a152
	v_accvgpr_read_b32 v1, a153
	v_fma_f64 v[6:7], v[14:15], v[0:1], -v[6:7]
	v_add_f64 v[2:3], v[2:3], v[6:7]
	v_mul_f64 v[6:7], v[20:21], v[150:151]
	v_fma_f64 v[6:7], v[18:19], v[154:155], -v[6:7]
	v_add_f64 v[2:3], v[2:3], v[6:7]
	v_mul_f64 v[6:7], v[24:25], v[212:213]
	;; [unrolled: 3-line block ×3, first 2 shown]
	v_accvgpr_read_b32 v0, a154
	v_fma_f64 v[6:7], v[26:27], v[162:163], -v[6:7]
	v_accvgpr_read_b32 v1, a155
	v_add_f64 v[2:3], v[2:3], v[6:7]
	v_mul_f64 v[6:7], v[32:33], v[0:1]
	v_fma_f64 v[6:7], v[30:31], v[132:133], -v[6:7]
	v_add_f64 v[2:3], v[2:3], v[6:7]
	v_mul_f64 v[6:7], v[36:37], v[166:167]
	v_fma_f64 v[6:7], v[34:35], v[170:171], -v[6:7]
	;; [unrolled: 3-line block ×16, first 2 shown]
	v_add_f64 v[2:3], v[2:3], v[6:7]
	s_waitcnt vmcnt(25)
	v_mul_f64 v[6:7], v[100:101], v[204:205]
	v_mul_f64 v[104:105], v[98:99], v[204:205]
	s_waitcnt vmcnt(24)
	v_fma_f64 v[6:7], v[98:99], v[208:209], -v[6:7]
	v_fmac_f64_e32 v[104:105], v[100:101], v[208:209]
	v_add_f64 v[2:3], v[2:3], v[6:7]
	s_waitcnt vmcnt(21) lgkmcnt(4)
	v_mul_f64 v[6:7], v[224:225], v[228:229]
	v_add_f64 v[4:5], v[4:5], v[104:105]
	v_mul_f64 v[104:105], v[222:223], v[228:229]
	s_waitcnt vmcnt(19)
	v_fma_f64 v[6:7], v[222:223], v[230:231], -v[6:7]
	v_fmac_f64_e32 v[104:105], v[224:225], v[230:231]
	v_add_f64 v[2:3], v[2:3], v[6:7]
	s_waitcnt vmcnt(17) lgkmcnt(3)
	v_mul_f64 v[6:7], v[120:121], v[206:207]
	v_add_f64 v[4:5], v[4:5], v[104:105]
	;; [unrolled: 8-line block ×5, first 2 shown]
	v_mul_f64 v[104:105], v[114:115], v[242:243]
	s_waitcnt vmcnt(4)
	v_fma_f64 v[6:7], v[114:115], v[244:245], -v[6:7]
	v_fmac_f64_e32 v[104:105], v[116:117], v[244:245]
	v_add_f64 v[2:3], v[2:3], v[6:7]
	v_accvgpr_read_b32 v0, a143
	v_add_f64 v[4:5], v[4:5], v[104:105]
	s_waitcnt vmcnt(2)
	v_add_f64 v[2:3], v[248:249], -v[2:3]
	v_cmp_lt_u32_e32 vcc, 4, v0
	s_waitcnt vmcnt(0)
	v_add_f64 v[4:5], v[246:247], -v[4:5]
	buffer_store_dword v3, off, s[0:3], 0 offset:100
	buffer_store_dword v2, off, s[0:3], 0 offset:96
	;; [unrolled: 1-line block ×4, first 2 shown]
	s_and_saveexec_b64 s[4:5], vcc
	s_cbranch_execz .LBB111_293
; %bb.292:
	v_accvgpr_read_b32 v0, a139
	buffer_load_dword v2, v0, s[0:3], 0 offen
	buffer_load_dword v3, v0, s[0:3], 0 offen offset:4
	buffer_load_dword v4, v0, s[0:3], 0 offen offset:8
	;; [unrolled: 1-line block ×3, first 2 shown]
	v_mov_b32_e32 v0, 0
	v_accvgpr_read_b32 v1, a144
	buffer_store_dword v0, off, s[0:3], 0 offset:80
	buffer_store_dword v0, off, s[0:3], 0 offset:84
	;; [unrolled: 1-line block ×4, first 2 shown]
	s_waitcnt vmcnt(4)
	ds_write_b128 v1, v[2:5]
.LBB111_293:
	s_or_b64 exec, exec, s[4:5]
	s_waitcnt lgkmcnt(0)
	; wave barrier
	s_waitcnt lgkmcnt(0)
	buffer_load_dword v50, off, s[0:3], 0 offset:96
	buffer_load_dword v51, off, s[0:3], 0 offset:100
	;; [unrolled: 1-line block ×54, first 2 shown]
	v_mov_b32_e32 v1, 0
	ds_read_b128 v[102:105], v1 offset:848
	ds_read_b128 v[106:109], v1 offset:864
	;; [unrolled: 1-line block ×9, first 2 shown]
	v_accvgpr_read_b32 v0, a143
	v_cmp_lt_u32_e32 vcc, 3, v0
	s_waitcnt vmcnt(46) lgkmcnt(7)
	v_mul_f64 v[4:5], v[106:107], v[58:59]
	v_fmac_f64_e32 v[4:5], v[108:109], v[52:53]
	s_waitcnt vmcnt(44) lgkmcnt(6)
	v_mul_f64 v[6:7], v[110:111], v[214:215]
	s_waitcnt vmcnt(42) lgkmcnt(4)
	v_mul_f64 v[10:11], v[204:205], v[62:63]
	s_waitcnt vmcnt(40)
	v_fmac_f64_e32 v[10:11], v[206:207], v[60:61]
	s_waitcnt vmcnt(38)
	v_mul_f64 v[8:9], v[114:115], v[64:65]
	s_waitcnt vmcnt(36) lgkmcnt(2)
	v_mul_f64 v[14:15], v[234:235], v[66:67]
	s_waitcnt vmcnt(34)
	v_fmac_f64_e32 v[14:15], v[236:237], v[70:71]
	s_waitcnt vmcnt(32)
	;; [unrolled: 6-line block ×3, first 2 shown]
	v_fmac_f64_e32 v[8:9], v[116:117], v[80:81]
	s_waitcnt vmcnt(24)
	v_fmac_f64_e32 v[12:13], v[210:211], v[78:79]
	s_waitcnt vmcnt(22)
	;; [unrolled: 2-line block ×3, first 2 shown]
	v_pk_mov_b32 v[18:19], v[2:3], v[2:3] op_sel:[0,1]
	v_mul_f64 v[2:3], v[102:103], v[56:57]
	v_fmac_f64_e32 v[2:3], v[104:105], v[50:51]
	v_add_f64 v[2:3], v[2:3], 0
	v_add_f64 v[2:3], v[2:3], v[4:5]
	buffer_load_dword v5, off, s[0:3], 0 offset:324
	buffer_load_dword v4, off, s[0:3], 0 offset:320
	v_add_f64 v[2:3], v[2:3], v[6:7]
	v_add_f64 v[2:3], v[2:3], v[8:9]
	;; [unrolled: 1-line block ×5, first 2 shown]
	s_waitcnt lgkmcnt(0)
	v_mul_f64 v[6:7], v[242:243], v[74:75]
	v_add_f64 v[2:3], v[2:3], v[16:17]
	v_fmac_f64_e32 v[6:7], v[244:245], v[84:85]
	v_add_f64 v[2:3], v[2:3], v[6:7]
	v_accvgpr_write_b32 a147, v19
	v_accvgpr_write_b32 a146, v18
	v_mul_f64 v[74:75], v[244:245], v[74:75]
	s_waitcnt vmcnt(0)
	v_pk_mov_b32 v[12:13], v[4:5], v[4:5] op_sel:[0,1]
	buffer_load_dword v55, off, s[0:3], 0 offset:316
	buffer_load_dword v54, off, s[0:3], 0 offset:312
	;; [unrolled: 1-line block ×6, first 2 shown]
	v_accvgpr_write_b32 a149, v13
	v_accvgpr_write_b32 a148, v12
	s_waitcnt vmcnt(0)
	v_pk_mov_b32 v[20:21], v[4:5], v[4:5] op_sel:[0,1]
	buffer_load_dword v5, off, s[0:3], 0 offset:356
	buffer_load_dword v4, off, s[0:3], 0 offset:352
	;; [unrolled: 1-line block ×54, first 2 shown]
	ds_read_b128 v[246:249], v1 offset:992
	ds_read_b128 v[250:253], v1 offset:1008
	;; [unrolled: 1-line block ×6, first 2 shown]
	s_waitcnt lgkmcnt(5)
	v_mul_f64 v[6:7], v[246:247], v[90:91]
	v_fmac_f64_e32 v[6:7], v[248:249], v[92:93]
	v_add_f64 v[2:3], v[2:3], v[6:7]
	s_waitcnt lgkmcnt(4)
	v_mul_f64 v[6:7], v[250:251], v[86:87]
	v_fmac_f64_e32 v[6:7], v[252:253], v[88:89]
	v_add_f64 v[2:3], v[2:3], v[6:7]
	;; [unrolled: 4-line block ×4, first 2 shown]
	s_waitcnt lgkmcnt(1)
	v_mul_f64 v[6:7], v[218:219], v[54:55]
	v_fmac_f64_e32 v[6:7], v[220:221], v[200:201]
	s_waitcnt lgkmcnt(0)
	v_mul_f64 v[10:11], v[126:127], v[18:19]
	v_add_f64 v[2:3], v[2:3], v[6:7]
	ds_read_b128 v[130:133], v1 offset:1088
	v_fmac_f64_e32 v[10:11], v[128:129], v[12:13]
	v_add_f64 v[2:3], v[2:3], v[10:11]
	ds_read_b128 v[10:13], v1 offset:1104
	v_accvgpr_write_b32 a151, v21
	v_accvgpr_write_b32 a150, v20
	s_waitcnt vmcnt(52)
	v_accvgpr_write_b32 a153, v5
	s_waitcnt vmcnt(50) lgkmcnt(1)
	v_mul_f64 v[14:15], v[130:131], v[138:139]
	s_waitcnt lgkmcnt(0)
	v_mul_f64 v[18:19], v[10:11], v[20:21]
	s_waitcnt vmcnt(48)
	v_fmac_f64_e32 v[14:15], v[132:133], v[142:143]
	v_add_f64 v[2:3], v[2:3], v[14:15]
	ds_read_b128 v[14:17], v1 offset:1120
	v_fmac_f64_e32 v[18:19], v[12:13], v[4:5]
	v_add_f64 v[2:3], v[2:3], v[18:19]
	ds_read_b128 v[18:21], v1 offset:1136
	v_accvgpr_write_b32 a152, v4
	s_waitcnt vmcnt(42) lgkmcnt(1)
	v_mul_f64 v[22:23], v[14:15], v[146:147]
	s_waitcnt vmcnt(40)
	v_fmac_f64_e32 v[22:23], v[16:17], v[150:151]
	v_add_f64 v[2:3], v[2:3], v[22:23]
	s_waitcnt lgkmcnt(0)
	v_mul_f64 v[26:27], v[18:19], v[254:255]
	ds_read_b128 v[22:25], v1 offset:1152
	v_fmac_f64_e32 v[26:27], v[20:21], v[212:213]
	v_add_f64 v[2:3], v[2:3], v[26:27]
	ds_read_b128 v[26:29], v1 offset:1168
	v_mul_f64 v[4:5], v[104:105], v[56:57]
	s_waitcnt vmcnt(34) lgkmcnt(1)
	v_mul_f64 v[30:31], v[22:23], v[154:155]
	s_waitcnt vmcnt(32)
	v_fmac_f64_e32 v[30:31], v[24:25], v[158:159]
	v_add_f64 v[2:3], v[2:3], v[30:31]
	s_waitcnt lgkmcnt(0)
	v_mul_f64 v[34:35], v[26:27], v[8:9]
	ds_read_b128 v[30:33], v1 offset:1184
	v_fmac_f64_e32 v[34:35], v[28:29], v[196:197]
	v_add_f64 v[2:3], v[2:3], v[34:35]
	ds_read_b128 v[34:37], v1 offset:1200
	v_mul_f64 v[6:7], v[108:109], v[58:59]
	s_waitcnt vmcnt(26) lgkmcnt(1)
	v_mul_f64 v[38:39], v[30:31], v[162:163]
	s_waitcnt vmcnt(24)
	v_fmac_f64_e32 v[38:39], v[32:33], v[164:165]
	v_add_f64 v[2:3], v[2:3], v[38:39]
	s_waitcnt lgkmcnt(0)
	v_mul_f64 v[42:43], v[34:35], v[134:135]
	v_fmac_f64_e32 v[42:43], v[36:37], v[136:137]
	ds_read_b128 v[38:41], v1 offset:1216
	v_add_f64 v[2:3], v[2:3], v[42:43]
	ds_read_b128 v[42:45], v1 offset:1232
	buffer_load_dword v179, off, s[0:3], 0 offset:588
	buffer_load_dword v181, off, s[0:3], 0 offset:572
	;; [unrolled: 1-line block ×8, first 2 shown]
	v_fma_f64 v[4:5], v[102:103], v[50:51], -v[4:5]
	s_waitcnt vmcnt(26) lgkmcnt(1)
	v_mul_f64 v[46:47], v[38:39], v[166:167]
	s_waitcnt vmcnt(24)
	v_fmac_f64_e32 v[46:47], v[40:41], v[168:169]
	v_add_f64 v[2:3], v[2:3], v[46:47]
	ds_read_b128 v[46:49], v1 offset:1248
	buffer_load_dword v187, off, s[0:3], 0 offset:604
	buffer_load_dword v186, off, s[0:3], 0 offset:600
	;; [unrolled: 1-line block ×4, first 2 shown]
	s_waitcnt lgkmcnt(1)
	v_mul_f64 v[190:191], v[42:43], v[140:141]
	v_fmac_f64_e32 v[190:191], v[44:45], v[144:145]
	v_add_f64 v[2:3], v[2:3], v[190:191]
	buffer_load_dword v191, off, s[0:3], 0 offset:620
	buffer_load_dword v190, off, s[0:3], 0 offset:616
	;; [unrolled: 1-line block ×12, first 2 shown]
	v_fma_f64 v[102:103], v[106:107], v[52:53], -v[6:7]
	v_mul_f64 v[6:7], v[112:113], v[214:215]
	v_fma_f64 v[104:105], v[110:111], v[82:83], -v[6:7]
	buffer_load_dword v215, off, s[0:3], 0 offset:668
	buffer_load_dword v214, off, s[0:3], 0 offset:664
	;; [unrolled: 1-line block ×4, first 2 shown]
	v_mul_f64 v[6:7], v[116:117], v[64:65]
	v_fma_f64 v[106:107], v[114:115], v[80:81], -v[6:7]
	buffer_load_dword v7, off, s[0:3], 0 offset:684
	buffer_load_dword v6, off, s[0:3], 0 offset:680
	buffer_load_dword v223, off, s[0:3], 0 offset:676
	buffer_load_dword v222, off, s[0:3], 0 offset:672
	v_mul_f64 v[50:51], v[206:207], v[62:63]
	buffer_load_dword v207, off, s[0:3], 0 offset:716
	buffer_load_dword v225, off, s[0:3], 0 offset:700
	;; [unrolled: 1-line block ×12, first 2 shown]
	v_fma_f64 v[108:109], v[204:205], v[60:61], -v[50:51]
	ds_read_b128 v[50:53], v1 offset:1264
	v_mul_f64 v[60:61], v[210:211], v[76:77]
	v_fma_f64 v[204:205], v[208:209], v[78:79], -v[60:61]
	ds_read_b128 v[208:211], v1 offset:1280
	s_waitcnt vmcnt(54) lgkmcnt(2)
	v_mul_f64 v[58:59], v[46:47], v[170:171]
	s_waitcnt vmcnt(52)
	v_fmac_f64_e32 v[58:59], v[48:49], v[172:173]
	v_add_f64 v[2:3], v[2:3], v[58:59]
	s_waitcnt lgkmcnt(1)
	v_mul_f64 v[58:59], v[50:51], v[148:149]
	v_fmac_f64_e32 v[58:59], v[52:53], v[152:153]
	v_add_f64 v[2:3], v[2:3], v[58:59]
	s_waitcnt vmcnt(46) lgkmcnt(0)
	v_mul_f64 v[58:59], v[208:209], v[174:175]
	s_waitcnt vmcnt(44)
	v_fmac_f64_e32 v[58:59], v[210:211], v[176:177]
	v_add_f64 v[2:3], v[2:3], v[58:59]
	ds_read_b128 v[58:61], v1 offset:1296
	v_mul_f64 v[62:63], v[236:237], v[66:67]
	v_fma_f64 v[234:235], v[234:235], v[70:71], -v[62:63]
	ds_read_b128 v[62:65], v1 offset:1312
	v_mul_f64 v[66:67], v[240:241], v[68:69]
	v_fma_f64 v[240:241], v[238:239], v[72:73], -v[66:67]
	ds_read_b128 v[66:69], v1 offset:1328
	s_waitcnt lgkmcnt(2)
	v_mul_f64 v[70:71], v[58:59], v[156:157]
	v_fmac_f64_e32 v[70:71], v[60:61], v[160:161]
	v_add_f64 v[2:3], v[2:3], v[70:71]
	v_fma_f64 v[236:237], v[242:243], v[84:85], -v[74:75]
	ds_read_b128 v[74:77], v1 offset:1360
	v_mul_f64 v[78:79], v[248:249], v[90:91]
	v_fma_f64 v[246:247], v[246:247], v[92:93], -v[78:79]
	v_mul_f64 v[86:87], v[252:253], v[86:87]
	v_fma_f64 v[248:249], v[250:251], v[88:89], -v[86:87]
	;; [unrolled: 2-line block ×4, first 2 shown]
	v_accvgpr_write_b32 a155, v55
	v_accvgpr_write_b32 a154, v54
	v_add_f64 v[4:5], v[4:5], 0
	v_add_f64 v[4:5], v[4:5], v[102:103]
	;; [unrolled: 1-line block ×9, first 2 shown]
	ds_read_b128 v[78:81], v1 offset:1376
	v_add_f64 v[4:5], v[4:5], v[246:247]
	v_add_f64 v[4:5], v[4:5], v[248:249]
	v_accvgpr_read_b32 v102, a146
	v_accvgpr_read_b32 v103, a147
	;; [unrolled: 1-line block ×3, first 2 shown]
	v_mul_f64 v[102:103], v[128:129], v[102:103]
	v_accvgpr_read_b32 v105, a149
	s_waitcnt vmcnt(41) lgkmcnt(3)
	v_mul_f64 v[70:71], v[62:63], v[180:181]
	v_fma_f64 v[102:103], v[126:127], v[104:105], -v[102:103]
	s_waitcnt vmcnt(39)
	v_fmac_f64_e32 v[70:71], v[64:65], v[184:185]
	v_add_f64 v[2:3], v[2:3], v[70:71]
	s_waitcnt vmcnt(38) lgkmcnt(2)
	v_mul_f64 v[70:71], v[66:67], v[178:179]
	s_waitcnt vmcnt(36)
	v_fmac_f64_e32 v[70:71], v[68:69], v[182:183]
	v_add_f64 v[2:3], v[2:3], v[70:71]
	ds_read_b128 v[70:73], v1 offset:1344
	ds_read_b128 v[86:89], v1 offset:1408
	v_mul_f64 v[8:9], v[28:29], v[8:9]
	v_fma_f64 v[8:9], v[26:27], v[196:197], -v[8:9]
	ds_read_b128 v[94:97], v1 offset:1440
	s_waitcnt vmcnt(34) lgkmcnt(2)
	v_mul_f64 v[82:83], v[70:71], v[186:187]
	s_waitcnt vmcnt(32)
	v_fmac_f64_e32 v[82:83], v[72:73], v[188:189]
	v_add_f64 v[2:3], v[2:3], v[82:83]
	s_waitcnt vmcnt(30)
	v_mul_f64 v[82:83], v[74:75], v[190:191]
	s_waitcnt vmcnt(28)
	v_fmac_f64_e32 v[82:83], v[76:77], v[194:195]
	v_add_f64 v[2:3], v[2:3], v[82:83]
	s_waitcnt vmcnt(26)
	v_mul_f64 v[82:83], v[78:79], v[192:193]
	s_waitcnt vmcnt(24)
	v_fmac_f64_e32 v[82:83], v[80:81], v[198:199]
	v_add_f64 v[2:3], v[2:3], v[82:83]
	ds_read_b128 v[82:85], v1 offset:1392
	s_waitcnt vmcnt(9) lgkmcnt(1)
	v_mul_f64 v[54:55], v[94:95], v[224:225]
	s_waitcnt vmcnt(7)
	v_fmac_f64_e32 v[54:55], v[96:97], v[230:231]
	s_waitcnt lgkmcnt(0)
	v_mul_f64 v[90:91], v[82:83], v[56:57]
	v_fmac_f64_e32 v[90:91], v[84:85], v[202:203]
	v_add_f64 v[110:111], v[2:3], v[90:91]
	v_mul_f64 v[90:91], v[120:121], v[98:99]
	v_fma_f64 v[252:253], v[118:119], v[100:101], -v[90:91]
	ds_read_b128 v[90:93], v1 offset:1424
	v_mul_f64 v[98:99], v[86:87], v[214:215]
	v_fmac_f64_e32 v[98:99], v[88:89], v[216:217]
	v_add_f64 v[98:99], v[110:111], v[98:99]
	ds_read_b128 v[118:121], v1 offset:1472
	s_waitcnt lgkmcnt(1)
	v_mul_f64 v[100:101], v[90:91], v[6:7]
	v_fmac_f64_e32 v[100:101], v[92:93], v[222:223]
	v_add_f64 v[110:111], v[98:99], v[100:101]
	ds_read_b128 v[98:101], v1 offset:1456
	v_add_f64 v[54:55], v[110:111], v[54:55]
	buffer_load_dword v2, off, s[0:3], 0 offset:744
	v_add_f64 v[4:5], v[4:5], v[252:253]
	v_add_f64 v[252:253], v[4:5], v[250:251]
	s_waitcnt vmcnt(7) lgkmcnt(0)
	v_mul_f64 v[110:111], v[98:99], v[206:207]
	s_waitcnt vmcnt(5)
	v_fmac_f64_e32 v[110:111], v[100:101], v[228:229]
	v_add_f64 v[54:55], v[54:55], v[110:111]
	s_waitcnt vmcnt(3)
	v_mul_f64 v[110:111], v[118:119], v[226:227]
	s_waitcnt vmcnt(1)
	v_fmac_f64_e32 v[110:111], v[120:121], v[232:233]
	v_add_f64 v[110:111], v[54:55], v[110:111]
	buffer_load_dword v54, off, s[0:3], 0 offset:736
	buffer_load_dword v3, off, s[0:3], 0 offset:748
	;; [unrolled: 1-line block ×3, first 2 shown]
	ds_read_b128 v[122:125], v1 offset:1488
	buffer_load_dword v219, off, s[0:3], 0 offset:764
	buffer_load_dword v218, off, s[0:3], 0 offset:760
	;; [unrolled: 1-line block ×4, first 2 shown]
	v_accvgpr_read_b32 v4, a154
	v_accvgpr_read_b32 v5, a155
	v_add_f64 v[4:5], v[252:253], v[4:5]
	v_add_f64 v[4:5], v[4:5], v[102:103]
	v_mul_f64 v[102:103], v[132:133], v[138:139]
	v_fma_f64 v[102:103], v[130:131], v[142:143], -v[102:103]
	v_add_f64 v[4:5], v[4:5], v[102:103]
	v_accvgpr_read_b32 v102, a150
	v_accvgpr_read_b32 v103, a151
	v_mul_f64 v[12:13], v[12:13], v[102:103]
	v_accvgpr_read_b32 v102, a152
	v_accvgpr_read_b32 v103, a153
	v_fma_f64 v[10:11], v[10:11], v[102:103], -v[12:13]
	v_add_f64 v[4:5], v[4:5], v[10:11]
	v_mul_f64 v[10:11], v[16:17], v[146:147]
	v_fma_f64 v[10:11], v[14:15], v[150:151], -v[10:11]
	v_add_f64 v[4:5], v[4:5], v[10:11]
	v_mul_f64 v[10:11], v[20:21], v[254:255]
	;; [unrolled: 3-line block ×3, first 2 shown]
	v_fma_f64 v[10:11], v[22:23], v[158:159], -v[10:11]
	v_add_f64 v[4:5], v[4:5], v[10:11]
	v_add_f64 v[4:5], v[4:5], v[8:9]
	v_mul_f64 v[8:9], v[32:33], v[162:163]
	v_fma_f64 v[8:9], v[30:31], v[164:165], -v[8:9]
	v_add_f64 v[4:5], v[4:5], v[8:9]
	v_mul_f64 v[8:9], v[36:37], v[134:135]
	v_fma_f64 v[8:9], v[34:35], v[136:137], -v[8:9]
	;; [unrolled: 3-line block ×15, first 2 shown]
	v_mul_f64 v[6:7], v[92:93], v[6:7]
	v_add_f64 v[4:5], v[4:5], v[8:9]
	v_fma_f64 v[6:7], v[90:91], v[222:223], -v[6:7]
	v_add_f64 v[4:5], v[4:5], v[6:7]
	v_mul_f64 v[6:7], v[96:97], v[224:225]
	v_fma_f64 v[6:7], v[94:95], v[230:231], -v[6:7]
	v_add_f64 v[4:5], v[4:5], v[6:7]
	v_mul_f64 v[6:7], v[100:101], v[206:207]
	s_waitcnt vmcnt(5) lgkmcnt(0)
	v_mul_f64 v[112:113], v[122:123], v[2:3]
	s_waitcnt vmcnt(4)
	v_fmac_f64_e32 v[112:113], v[124:125], v[54:55]
	v_add_f64 v[114:115], v[110:111], v[112:113]
	ds_read_b128 v[110:113], v1 offset:1504
	buffer_load_dword v242, off, s[0:3], 0 offset:776
	buffer_load_dword v243, off, s[0:3], 0 offset:780
	;; [unrolled: 1-line block ×4, first 2 shown]
	v_fma_f64 v[6:7], v[98:99], v[228:229], -v[6:7]
	v_add_f64 v[4:5], v[4:5], v[6:7]
	v_mul_f64 v[6:7], v[120:121], v[226:227]
	s_waitcnt vmcnt(6) lgkmcnt(0)
	v_mul_f64 v[116:117], v[110:111], v[218:219]
	s_waitcnt vmcnt(4)
	v_fmac_f64_e32 v[116:117], v[112:113], v[238:239]
	v_add_f64 v[200:201], v[114:115], v[116:117]
	ds_read_b128 v[114:117], v1 offset:1520
	buffer_load_dword v248, off, s[0:3], 0 offset:80
	buffer_load_dword v249, off, s[0:3], 0 offset:84
	;; [unrolled: 1-line block ×4, first 2 shown]
	v_fma_f64 v[6:7], v[118:119], v[232:233], -v[6:7]
	v_mul_f64 v[2:3], v[124:125], v[2:3]
	v_add_f64 v[4:5], v[4:5], v[6:7]
	v_fma_f64 v[2:3], v[122:123], v[54:55], -v[2:3]
	v_add_f64 v[2:3], v[4:5], v[2:3]
	v_mul_f64 v[4:5], v[112:113], v[218:219]
	v_fma_f64 v[4:5], v[110:111], v[238:239], -v[4:5]
	v_add_f64 v[2:3], v[2:3], v[4:5]
	s_waitcnt vmcnt(6) lgkmcnt(0)
	v_mul_f64 v[4:5], v[116:117], v[242:243]
	v_mul_f64 v[220:221], v[114:115], v[242:243]
	s_waitcnt vmcnt(4)
	v_fma_f64 v[4:5], v[114:115], v[244:245], -v[4:5]
	v_fmac_f64_e32 v[220:221], v[116:117], v[244:245]
	v_add_f64 v[2:3], v[2:3], v[4:5]
	v_add_f64 v[200:201], v[200:201], v[220:221]
	s_waitcnt vmcnt(2)
	v_add_f64 v[2:3], v[248:249], -v[2:3]
	s_waitcnt vmcnt(0)
	v_add_f64 v[4:5], v[246:247], -v[200:201]
	buffer_store_dword v3, off, s[0:3], 0 offset:84
	buffer_store_dword v2, off, s[0:3], 0 offset:80
	;; [unrolled: 1-line block ×4, first 2 shown]
	s_and_saveexec_b64 s[4:5], vcc
	s_cbranch_execz .LBB111_295
; %bb.294:
	v_accvgpr_read_b32 v0, a140
	buffer_load_dword v2, v0, s[0:3], 0 offen
	buffer_load_dword v3, v0, s[0:3], 0 offen offset:4
	buffer_load_dword v4, v0, s[0:3], 0 offen offset:8
	;; [unrolled: 1-line block ×3, first 2 shown]
	v_accvgpr_read_b32 v0, a144
	buffer_store_dword v1, off, s[0:3], 0 offset:64
	buffer_store_dword v1, off, s[0:3], 0 offset:68
	;; [unrolled: 1-line block ×4, first 2 shown]
	s_waitcnt vmcnt(4)
	ds_write_b128 v0, v[2:5]
.LBB111_295:
	s_or_b64 exec, exec, s[4:5]
	s_waitcnt lgkmcnt(0)
	; wave barrier
	s_waitcnt lgkmcnt(0)
	buffer_load_dword v184, off, s[0:3], 0 offset:80
	buffer_load_dword v185, off, s[0:3], 0 offset:84
	;; [unrolled: 1-line block ×36, first 2 shown]
	ds_read_b128 v[82:85], v1 offset:832
	ds_read_b128 v[78:81], v1 offset:848
	ds_read_b128 v[74:77], v1 offset:864
	ds_read_b128 v[70:73], v1 offset:880
	ds_read_b128 v[62:65], v1 offset:896
	ds_read_b128 v[50:53], v1 offset:912
	ds_read_b128 v[54:57], v1 offset:928
	ds_read_b128 v[58:61], v1 offset:944
	ds_read_b128 v[66:69], v1 offset:960
	buffer_load_dword v235, off, s[0:3], 0 offset:252
	buffer_load_dword v234, off, s[0:3], 0 offset:248
	;; [unrolled: 1-line block ×19, first 2 shown]
	s_waitcnt vmcnt(51) lgkmcnt(8)
	v_mul_f64 v[2:3], v[82:83], v[192:193]
	v_fmac_f64_e32 v[2:3], v[84:85], v[184:185]
	v_add_f64 v[2:3], v[2:3], 0
	s_waitcnt vmcnt(47) lgkmcnt(7)
	v_mul_f64 v[4:5], v[78:79], v[198:199]
	v_fmac_f64_e32 v[4:5], v[80:81], v[194:195]
	v_add_f64 v[2:3], v[2:3], v[4:5]
	buffer_load_dword v244, off, s[0:3], 0 offset:304
	buffer_load_dword v99, off, s[0:3], 0 offset:300
	;; [unrolled: 1-line block ×7, first 2 shown]
	s_waitcnt vmcnt(52) lgkmcnt(6)
	v_mul_f64 v[6:7], v[74:75], v[202:203]
	s_waitcnt vmcnt(50) lgkmcnt(4)
	v_mul_f64 v[10:11], v[62:63], v[222:223]
	s_waitcnt vmcnt(48)
	v_fmac_f64_e32 v[10:11], v[64:65], v[224:225]
	v_mul_f64 v[80:81], v[80:81], v[198:199]
	s_waitcnt vmcnt(46)
	v_mul_f64 v[8:9], v[70:71], v[214:215]
	v_fma_f64 v[78:79], v[78:79], v[194:195], -v[80:81]
	s_waitcnt vmcnt(44) lgkmcnt(2)
	v_mul_f64 v[14:15], v[54:55], v[104:105]
	v_mul_f64 v[64:65], v[64:65], v[222:223]
	s_waitcnt vmcnt(42)
	v_fmac_f64_e32 v[14:15], v[56:57], v[108:109]
	v_fma_f64 v[222:223], v[62:63], v[224:225], -v[64:65]
	s_waitcnt vmcnt(40)
	v_mul_f64 v[12:13], v[50:51], v[112:113]
	s_waitcnt vmcnt(38) lgkmcnt(1)
	v_mul_f64 v[16:17], v[58:59], v[106:107]
	s_waitcnt vmcnt(36)
	v_fmac_f64_e32 v[6:7], v[76:77], v[200:201]
	v_add_f64 v[2:3], v[2:3], v[6:7]
	s_waitcnt vmcnt(34)
	v_fmac_f64_e32 v[8:9], v[72:73], v[116:117]
	v_add_f64 v[2:3], v[2:3], v[8:9]
	;; [unrolled: 3-line block ×3, first 2 shown]
	v_add_f64 v[2:3], v[2:3], v[12:13]
	s_waitcnt vmcnt(30)
	v_fmac_f64_e32 v[16:17], v[60:61], v[110:111]
	v_add_f64 v[2:3], v[2:3], v[14:15]
	v_add_f64 v[2:3], v[2:3], v[16:17]
	v_mul_f64 v[76:77], v[76:77], v[202:203]
	v_fma_f64 v[80:81], v[74:75], v[200:201], -v[76:77]
	v_mul_f64 v[72:73], v[72:73], v[214:215]
	v_mul_f64 v[52:53], v[52:53], v[112:113]
	;; [unrolled: 1-line block ×3, first 2 shown]
	v_fma_f64 v[116:117], v[70:71], v[116:117], -v[72:73]
	s_waitcnt vmcnt(0)
	v_pk_mov_b32 v[18:19], v[4:5], v[4:5] op_sel:[0,1]
	buffer_load_dword v5, off, s[0:3], 0 offset:340
	buffer_load_dword v4, off, s[0:3], 0 offset:336
	v_accvgpr_write_b32 a147, v19
	v_accvgpr_write_b32 a146, v18
	s_waitcnt vmcnt(0)
	v_pk_mov_b32 v[20:21], v[4:5], v[4:5] op_sel:[0,1]
	buffer_load_dword v135, off, s[0:3], 0 offset:332
	buffer_load_dword v134, off, s[0:3], 0 offset:328
	;; [unrolled: 1-line block ×6, first 2 shown]
	v_accvgpr_write_b32 a149, v21
	v_accvgpr_write_b32 a148, v20
	s_waitcnt vmcnt(0)
	v_pk_mov_b32 v[26:27], v[4:5], v[4:5] op_sel:[0,1]
	buffer_load_dword v5, off, s[0:3], 0 offset:372
	buffer_load_dword v4, off, s[0:3], 0 offset:368
	v_accvgpr_write_b32 a151, v27
	v_accvgpr_write_b32 a150, v26
	s_waitcnt vmcnt(0)
	v_pk_mov_b32 v[28:29], v[4:5], v[4:5] op_sel:[0,1]
	buffer_load_dword v143, off, s[0:3], 0 offset:364
	buffer_load_dword v142, off, s[0:3], 0 offset:360
	;; [unrolled: 1-line block ×6, first 2 shown]
	v_accvgpr_write_b32 a153, v29
	v_accvgpr_write_b32 a152, v28
	s_waitcnt vmcnt(0)
	v_pk_mov_b32 v[34:35], v[4:5], v[4:5] op_sel:[0,1]
	buffer_load_dword v5, off, s[0:3], 0 offset:404
	buffer_load_dword v4, off, s[0:3], 0 offset:400
	;; [unrolled: 1-line block ×38, first 2 shown]
	ds_read_b128 v[206:209], v1 offset:976
	ds_read_b128 v[210:213], v1 offset:992
	;; [unrolled: 1-line block ×9, first 2 shown]
	v_accvgpr_write_b32 a155, v35
	s_waitcnt lgkmcnt(3)
	v_mul_f64 v[8:9], v[94:95], v[242:243]
	v_fmac_f64_e32 v[8:9], v[96:97], v[244:245]
	s_waitcnt lgkmcnt(2)
	v_mul_f64 v[12:13], v[130:131], v[134:135]
	v_fmac_f64_e32 v[12:13], v[132:133], v[138:139]
	s_waitcnt lgkmcnt(1)
	v_mul_f64 v[16:17], v[126:127], v[18:19]
	v_fmac_f64_e32 v[16:17], v[128:129], v[20:21]
	v_accvgpr_write_b32 a154, v34
	v_mul_f64 v[70:71], v[208:209], v[238:239]
	v_mul_f64 v[96:97], v[96:97], v[242:243]
	s_waitcnt vmcnt(36)
	v_pk_mov_b32 v[36:37], v[4:5], v[4:5] op_sel:[0,1]
	v_mul_f64 v[4:5], v[66:67], v[102:103]
	v_fmac_f64_e32 v[4:5], v[68:69], v[204:205]
	v_add_f64 v[2:3], v[2:3], v[4:5]
	v_mul_f64 v[4:5], v[206:207], v[238:239]
	v_fmac_f64_e32 v[4:5], v[208:209], v[240:241]
	v_add_f64 v[2:3], v[2:3], v[4:5]
	;; [unrolled: 3-line block ×6, first 2 shown]
	v_add_f64 v[10:11], v[6:7], v[8:9]
	v_add_f64 v[14:15], v[10:11], v[12:13]
	;; [unrolled: 1-line block ×3, first 2 shown]
	ds_read_b128 v[14:17], v1 offset:1120
	s_waitcnt lgkmcnt(1)
	v_mul_f64 v[20:21], v[122:123], v[142:143]
	v_fmac_f64_e32 v[20:21], v[124:125], v[146:147]
	v_add_f64 v[22:23], v[18:19], v[20:21]
	ds_read_b128 v[18:21], v1 offset:1136
	s_waitcnt lgkmcnt(1)
	v_mul_f64 v[24:25], v[14:15], v[26:27]
	v_fmac_f64_e32 v[24:25], v[16:17], v[28:29]
	v_add_f64 v[26:27], v[22:23], v[24:25]
	ds_read_b128 v[22:25], v1 offset:1152
	s_waitcnt vmcnt(34) lgkmcnt(1)
	v_mul_f64 v[28:29], v[18:19], v[150:151]
	s_waitcnt vmcnt(32)
	v_fmac_f64_e32 v[28:29], v[20:21], v[154:155]
	v_add_f64 v[30:31], v[26:27], v[28:29]
	ds_read_b128 v[26:29], v1 offset:1168
	s_waitcnt lgkmcnt(1)
	v_mul_f64 v[32:33], v[22:23], v[34:35]
	v_fmac_f64_e32 v[32:33], v[24:25], v[36:37]
	v_accvgpr_write_b32 a157, v37
	v_accvgpr_write_b32 a156, v36
	v_add_f64 v[34:35], v[30:31], v[32:33]
	ds_read_b128 v[30:33], v1 offset:1184
	s_waitcnt vmcnt(26) lgkmcnt(1)
	v_mul_f64 v[36:37], v[26:27], v[158:159]
	s_waitcnt vmcnt(24)
	v_fmac_f64_e32 v[36:37], v[28:29], v[160:161]
	v_add_f64 v[38:39], v[34:35], v[36:37]
	ds_read_b128 v[34:37], v1 offset:1200
	s_waitcnt lgkmcnt(1)
	v_mul_f64 v[40:41], v[30:31], v[196:197]
	v_fmac_f64_e32 v[40:41], v[32:33], v[254:255]
	v_add_f64 v[42:43], v[38:39], v[40:41]
	ds_read_b128 v[38:41], v1 offset:1216
	s_waitcnt vmcnt(18) lgkmcnt(1)
	v_mul_f64 v[44:45], v[34:35], v[162:163]
	s_waitcnt vmcnt(16)
	v_fmac_f64_e32 v[44:45], v[36:37], v[164:165]
	v_add_f64 v[46:47], v[42:43], v[44:45]
	ds_read_b128 v[42:45], v1 offset:1232
	buffer_load_dword v175, off, s[0:3], 0 offset:556
	buffer_load_dword v174, off, s[0:3], 0 offset:552
	;; [unrolled: 1-line block ×4, first 2 shown]
	s_waitcnt lgkmcnt(1)
	v_mul_f64 v[48:49], v[38:39], v[136:137]
	v_fmac_f64_e32 v[48:49], v[40:41], v[140:141]
	v_add_f64 v[178:179], v[46:47], v[48:49]
	ds_read_b128 v[46:49], v1 offset:1248
	buffer_load_dword v181, off, s[0:3], 0 offset:572
	buffer_load_dword v180, off, s[0:3], 0 offset:568
	;; [unrolled: 1-line block ×4, first 2 shown]
	s_waitcnt vmcnt(18) lgkmcnt(1)
	v_mul_f64 v[186:187], v[42:43], v[166:167]
	s_waitcnt vmcnt(16)
	v_fmac_f64_e32 v[186:187], v[44:45], v[168:169]
	v_add_f64 v[2:3], v[178:179], v[186:187]
	buffer_load_dword v179, off, s[0:3], 0 offset:604
	buffer_load_dword v187, off, s[0:3], 0 offset:588
	;; [unrolled: 1-line block ×8, first 2 shown]
	v_mul_f64 v[4:5], v[84:85], v[192:193]
	v_fma_f64 v[10:11], v[82:83], v[184:185], -v[4:5]
	buffer_load_dword v184, off, s[0:3], 0 offset:632
	buffer_load_dword v193, off, s[0:3], 0 offset:620
	;; [unrolled: 1-line block ×20, first 2 shown]
	s_waitcnt lgkmcnt(0)
	v_mul_f64 v[8:9], v[46:47], v[144:145]
	v_fmac_f64_e32 v[8:9], v[48:49], v[148:149]
	v_fma_f64 v[6:7], v[50:51], v[114:115], -v[52:53]
	buffer_load_dword v225, off, s[0:3], 0 offset:700
	buffer_load_dword v224, off, s[0:3], 0 offset:696
	;; [unrolled: 1-line block ×12, first 2 shown]
	v_add_f64 v[2:3], v[2:3], v[8:9]
	ds_read_b128 v[50:53], v1 offset:1264
	v_mul_f64 v[8:9], v[56:57], v[104:105]
	v_fma_f64 v[8:9], v[54:55], v[108:109], -v[8:9]
	ds_read_b128 v[54:57], v1 offset:1280
	v_fma_f64 v[4:5], v[58:59], v[110:111], -v[60:61]
	ds_read_b128 v[58:61], v1 offset:1296
	s_waitcnt vmcnt(50) lgkmcnt(2)
	v_mul_f64 v[62:63], v[50:51], v[170:171]
	s_waitcnt vmcnt(48)
	v_fmac_f64_e32 v[62:63], v[52:53], v[172:173]
	s_waitcnt lgkmcnt(1)
	v_mul_f64 v[12:13], v[54:55], v[152:153]
	v_add_f64 v[2:3], v[2:3], v[62:63]
	ds_read_b128 v[62:65], v1 offset:1312
	v_fmac_f64_e32 v[12:13], v[56:57], v[156:157]
	v_add_f64 v[2:3], v[2:3], v[12:13]
	v_fma_f64 v[240:241], v[206:207], v[240:241], -v[70:71]
	v_mul_f64 v[82:83], v[212:213], v[234:235]
	v_mul_f64 v[88:89], v[88:89], v[246:247]
	v_fma_f64 v[246:247], v[86:87], v[248:249], -v[88:89]
	ds_read_b128 v[86:89], v1 offset:1424
	v_mul_f64 v[92:93], v[92:93], v[98:99]
	v_add_f64 v[10:11], v[10:11], 0
	v_add_f64 v[10:11], v[10:11], v[78:79]
	;; [unrolled: 1-line block ×8, first 2 shown]
	v_mul_f64 v[6:7], v[132:133], v[134:135]
	v_fma_f64 v[6:7], v[130:131], v[138:139], -v[6:7]
	ds_read_b128 v[70:73], v1 offset:1344
	ds_read_b128 v[206:209], v1 offset:1408
	s_waitcnt vmcnt(46) lgkmcnt(4)
	v_mul_f64 v[12:13], v[58:59], v[174:175]
	s_waitcnt vmcnt(44)
	v_fmac_f64_e32 v[12:13], v[60:61], v[176:177]
	v_add_f64 v[2:3], v[2:3], v[12:13]
	v_mul_f64 v[12:13], v[68:69], v[102:103]
	v_fma_f64 v[12:13], v[66:67], v[204:205], -v[12:13]
	ds_read_b128 v[66:69], v1 offset:1328
	s_waitcnt vmcnt(42) lgkmcnt(4)
	v_mul_f64 v[74:75], v[62:63], v[180:181]
	s_waitcnt vmcnt(40)
	v_fmac_f64_e32 v[74:75], v[64:65], v[182:183]
	v_add_f64 v[2:3], v[2:3], v[74:75]
	v_fma_f64 v[204:205], v[210:211], v[236:237], -v[82:83]
	s_waitcnt vmcnt(37) lgkmcnt(0)
	v_mul_f64 v[74:75], v[66:67], v[186:187]
	s_waitcnt vmcnt(35)
	v_fmac_f64_e32 v[74:75], v[68:69], v[190:191]
	v_add_f64 v[2:3], v[2:3], v[74:75]
	s_waitcnt vmcnt(34)
	v_mul_f64 v[74:75], v[70:71], v[178:179]
	s_waitcnt vmcnt(32)
	v_fmac_f64_e32 v[74:75], v[72:73], v[188:189]
	v_add_f64 v[2:3], v[2:3], v[74:75]
	ds_read_b128 v[74:77], v1 offset:1360
	ds_read_b128 v[210:213], v1 offset:1376
	v_add_f64 v[4:5], v[4:5], v[12:13]
	v_add_f64 v[4:5], v[4:5], v[240:241]
	;; [unrolled: 1-line block ×3, first 2 shown]
	s_waitcnt vmcnt(29) lgkmcnt(1)
	v_mul_f64 v[82:83], v[74:75], v[192:193]
	s_waitcnt vmcnt(27)
	v_fmac_f64_e32 v[82:83], v[76:77], v[198:199]
	v_add_f64 v[2:3], v[2:3], v[82:83]
	v_mul_f64 v[82:83], v[120:121], v[250:251]
	v_fma_f64 v[118:119], v[118:119], v[252:253], -v[82:83]
	ds_read_b128 v[82:85], v1 offset:1392
	s_waitcnt vmcnt(25) lgkmcnt(1)
	v_mul_f64 v[102:103], v[210:211], v[184:185]
	s_waitcnt vmcnt(24)
	v_fmac_f64_e32 v[102:103], v[212:213], v[194:195]
	v_add_f64 v[2:3], v[2:3], v[102:103]
	v_fma_f64 v[250:251], v[90:91], v[100:101], -v[92:93]
	s_waitcnt vmcnt(21) lgkmcnt(0)
	v_mul_f64 v[102:103], v[82:83], v[202:203]
	s_waitcnt vmcnt(19)
	v_fmac_f64_e32 v[102:103], v[84:85], v[218:219]
	v_add_f64 v[2:3], v[2:3], v[102:103]
	s_waitcnt vmcnt(18)
	v_mul_f64 v[102:103], v[206:207], v[200:201]
	s_waitcnt vmcnt(16)
	v_fmac_f64_e32 v[102:103], v[208:209], v[216:217]
	v_add_f64 v[2:3], v[2:3], v[102:103]
	ds_read_b128 v[98:101], v1 offset:1440
	s_waitcnt vmcnt(14)
	v_mul_f64 v[102:103], v[86:87], v[214:215]
	s_waitcnt vmcnt(12)
	v_fmac_f64_e32 v[102:103], v[88:89], v[220:221]
	v_add_f64 v[2:3], v[2:3], v[102:103]
	ds_read_b128 v[90:93], v1 offset:1456
	ds_read_b128 v[102:105], v1 offset:1472
	buffer_load_dword v121, off, s[0:3], 0 offset:748
	buffer_load_dword v120, off, s[0:3], 0 offset:744
	;; [unrolled: 1-line block ×4, first 2 shown]
	ds_read_b128 v[106:109], v1 offset:1488
	buffer_load_dword v236, off, s[0:3], 0 offset:760
	buffer_load_dword v237, off, s[0:3], 0 offset:764
	;; [unrolled: 1-line block ×4, first 2 shown]
	v_fma_f64 v[252:253], v[94:95], v[244:245], -v[96:97]
	ds_read_b128 v[110:113], v1 offset:1504
	buffer_load_dword v243, off, s[0:3], 0 offset:780
	buffer_load_dword v242, off, s[0:3], 0 offset:776
	;; [unrolled: 1-line block ×4, first 2 shown]
	s_waitcnt vmcnt(22) lgkmcnt(4)
	v_mul_f64 v[94:95], v[98:99], v[224:225]
	s_waitcnt vmcnt(20)
	v_fmac_f64_e32 v[94:95], v[100:101], v[226:227]
	v_add_f64 v[2:3], v[2:3], v[94:95]
	s_waitcnt vmcnt(17) lgkmcnt(3)
	v_mul_f64 v[94:95], v[90:91], v[230:231]
	s_waitcnt vmcnt(15)
	v_fmac_f64_e32 v[94:95], v[92:93], v[232:233]
	v_add_f64 v[2:3], v[2:3], v[94:95]
	;; [unrolled: 5-line block ×3, first 2 shown]
	v_add_f64 v[4:5], v[4:5], v[118:119]
	v_add_f64 v[118:119], v[4:5], v[246:247]
	;; [unrolled: 1-line block ×5, first 2 shown]
	s_waitcnt vmcnt(10) lgkmcnt(1)
	v_mul_f64 v[94:95], v[106:107], v[120:121]
	s_waitcnt vmcnt(8)
	v_fmac_f64_e32 v[94:95], v[108:109], v[234:235]
	v_add_f64 v[2:3], v[2:3], v[94:95]
	s_waitcnt vmcnt(6) lgkmcnt(0)
	v_mul_f64 v[94:95], v[110:111], v[236:237]
	s_waitcnt vmcnt(4)
	v_fmac_f64_e32 v[94:95], v[112:113], v[238:239]
	v_add_f64 v[2:3], v[2:3], v[94:95]
	ds_read_b128 v[94:97], v1 offset:1520
	v_accvgpr_read_b32 v0, a146
	v_accvgpr_read_b32 v1, a147
	v_mul_f64 v[6:7], v[128:129], v[0:1]
	v_accvgpr_read_b32 v0, a148
	s_waitcnt vmcnt(2) lgkmcnt(0)
	v_mul_f64 v[248:249], v[94:95], v[242:243]
	s_waitcnt vmcnt(0)
	v_fmac_f64_e32 v[248:249], v[96:97], v[244:245]
	v_add_f64 v[2:3], v[2:3], v[248:249]
	buffer_load_dword v248, off, s[0:3], 0 offset:64
	buffer_load_dword v249, off, s[0:3], 0 offset:68
	;; [unrolled: 1-line block ×4, first 2 shown]
	v_accvgpr_read_b32 v1, a149
	v_fma_f64 v[6:7], v[126:127], v[0:1], -v[6:7]
	v_add_f64 v[4:5], v[4:5], v[6:7]
	v_mul_f64 v[6:7], v[124:125], v[142:143]
	v_accvgpr_read_b32 v0, a150
	v_fma_f64 v[6:7], v[122:123], v[146:147], -v[6:7]
	v_accvgpr_read_b32 v1, a151
	v_add_f64 v[4:5], v[4:5], v[6:7]
	v_mul_f64 v[6:7], v[16:17], v[0:1]
	v_accvgpr_read_b32 v0, a152
	v_accvgpr_read_b32 v1, a153
	v_fma_f64 v[6:7], v[14:15], v[0:1], -v[6:7]
	v_add_f64 v[4:5], v[4:5], v[6:7]
	v_mul_f64 v[6:7], v[20:21], v[150:151]
	v_accvgpr_read_b32 v0, a154
	v_fma_f64 v[6:7], v[18:19], v[154:155], -v[6:7]
	v_accvgpr_read_b32 v1, a155
	v_add_f64 v[4:5], v[4:5], v[6:7]
	v_mul_f64 v[6:7], v[24:25], v[0:1]
	v_accvgpr_read_b32 v0, a156
	v_accvgpr_read_b32 v1, a157
	v_fma_f64 v[6:7], v[22:23], v[0:1], -v[6:7]
	v_add_f64 v[4:5], v[4:5], v[6:7]
	v_mul_f64 v[6:7], v[28:29], v[158:159]
	v_fma_f64 v[6:7], v[26:27], v[160:161], -v[6:7]
	v_add_f64 v[4:5], v[4:5], v[6:7]
	v_mul_f64 v[6:7], v[32:33], v[196:197]
	;; [unrolled: 3-line block ×23, first 2 shown]
	v_fma_f64 v[6:7], v[94:95], v[244:245], -v[6:7]
	v_add_f64 v[4:5], v[4:5], v[6:7]
	v_accvgpr_read_b32 v0, a143
	s_waitcnt vmcnt(2)
	v_add_f64 v[4:5], v[248:249], -v[4:5]
	v_cmp_lt_u32_e32 vcc, 2, v0
	s_waitcnt vmcnt(0)
	v_add_f64 v[2:3], v[246:247], -v[2:3]
	buffer_store_dword v5, off, s[0:3], 0 offset:68
	buffer_store_dword v4, off, s[0:3], 0 offset:64
	;; [unrolled: 1-line block ×4, first 2 shown]
	s_and_saveexec_b64 s[4:5], vcc
	s_cbranch_execz .LBB111_297
; %bb.296:
	v_accvgpr_read_b32 v0, a141
	buffer_load_dword v2, v0, s[0:3], 0 offen
	buffer_load_dword v3, v0, s[0:3], 0 offen offset:4
	buffer_load_dword v4, v0, s[0:3], 0 offen offset:8
	;; [unrolled: 1-line block ×3, first 2 shown]
	v_mov_b32_e32 v0, 0
	v_accvgpr_read_b32 v1, a144
	buffer_store_dword v0, off, s[0:3], 0 offset:48
	buffer_store_dword v0, off, s[0:3], 0 offset:52
	;; [unrolled: 1-line block ×4, first 2 shown]
	s_waitcnt vmcnt(4)
	ds_write_b128 v1, v[2:5]
.LBB111_297:
	s_or_b64 exec, exec, s[4:5]
	s_waitcnt lgkmcnt(0)
	; wave barrier
	s_waitcnt lgkmcnt(0)
	buffer_load_dword v56, off, s[0:3], 0 offset:64
	buffer_load_dword v57, off, s[0:3], 0 offset:68
	;; [unrolled: 1-line block ×36, first 2 shown]
	v_mov_b32_e32 v128, 0
	buffer_load_dword v87, off, s[0:3], 0 offset:236
	buffer_load_dword v86, off, s[0:3], 0 offset:232
	;; [unrolled: 1-line block ×18, first 2 shown]
	ds_read_b128 v[110:113], v128 offset:816
	ds_read_b128 v[114:117], v128 offset:832
	;; [unrolled: 1-line block ×9, first 2 shown]
	s_waitcnt vmcnt(50) lgkmcnt(8)
	v_mul_f64 v[2:3], v[110:111], v[58:59]
	v_fmac_f64_e32 v[2:3], v[112:113], v[56:57]
	v_add_f64 v[2:3], v[2:3], 0
	s_waitcnt vmcnt(46) lgkmcnt(7)
	v_mul_f64 v[4:5], v[114:115], v[54:55]
	v_fmac_f64_e32 v[4:5], v[116:117], v[52:53]
	v_add_f64 v[2:3], v[2:3], v[4:5]
	buffer_load_dword v105, off, s[0:3], 0 offset:292
	buffer_load_dword v104, off, s[0:3], 0 offset:288
	;; [unrolled: 1-line block ×8, first 2 shown]
	s_waitcnt vmcnt(52) lgkmcnt(6)
	v_mul_f64 v[6:7], v[194:195], v[50:51]
	s_waitcnt vmcnt(50) lgkmcnt(4)
	v_mul_f64 v[10:11], v[202:203], v[60:61]
	s_waitcnt vmcnt(48)
	v_fmac_f64_e32 v[10:11], v[204:205], v[62:63]
	v_mul_f64 v[50:51], v[196:197], v[50:51]
	s_waitcnt vmcnt(46)
	v_mul_f64 v[8:9], v[198:199], v[64:65]
	v_mul_f64 v[54:55], v[116:117], v[54:55]
	s_waitcnt vmcnt(44) lgkmcnt(2)
	v_mul_f64 v[14:15], v[210:211], v[74:75]
	s_waitcnt vmcnt(42)
	v_fmac_f64_e32 v[14:15], v[212:213], v[72:73]
	s_waitcnt vmcnt(40)
	v_mul_f64 v[12:13], v[206:207], v[76:77]
	s_waitcnt vmcnt(38) lgkmcnt(1)
	v_mul_f64 v[16:17], v[232:233], v[68:69]
	s_waitcnt vmcnt(36)
	v_fmac_f64_e32 v[6:7], v[196:197], v[82:83]
	v_add_f64 v[2:3], v[2:3], v[6:7]
	s_waitcnt vmcnt(34)
	v_fmac_f64_e32 v[8:9], v[200:201], v[80:81]
	v_add_f64 v[2:3], v[2:3], v[8:9]
	;; [unrolled: 3-line block ×3, first 2 shown]
	v_add_f64 v[2:3], v[2:3], v[12:13]
	v_add_f64 v[2:3], v[2:3], v[14:15]
	s_waitcnt vmcnt(30)
	v_fmac_f64_e32 v[16:17], v[234:235], v[70:71]
	v_add_f64 v[2:3], v[2:3], v[16:17]
	s_waitcnt vmcnt(0)
	v_pk_mov_b32 v[14:15], v[4:5], v[4:5] op_sel:[0,1]
	buffer_load_dword v5, off, s[0:3], 0 offset:324
	buffer_load_dword v4, off, s[0:3], 0 offset:320
	v_accvgpr_write_b32 a147, v15
	v_accvgpr_write_b32 a146, v14
	s_waitcnt vmcnt(0)
	v_pk_mov_b32 v[18:19], v[4:5], v[4:5] op_sel:[0,1]
	buffer_load_dword v107, off, s[0:3], 0 offset:316
	buffer_load_dword v106, off, s[0:3], 0 offset:312
	buffer_load_dword v109, off, s[0:3], 0 offset:308
	buffer_load_dword v108, off, s[0:3], 0 offset:304
	buffer_load_dword v5, off, s[0:3], 0 offset:364
	buffer_load_dword v4, off, s[0:3], 0 offset:360
	v_accvgpr_write_b32 a149, v19
	v_accvgpr_write_b32 a148, v18
	s_waitcnt vmcnt(0)
	v_pk_mov_b32 v[22:23], v[4:5], v[4:5] op_sel:[0,1]
	buffer_load_dword v5, off, s[0:3], 0 offset:356
	buffer_load_dword v4, off, s[0:3], 0 offset:352
	v_accvgpr_write_b32 a151, v23
	v_accvgpr_write_b32 a150, v22
	s_waitcnt vmcnt(0)
	v_pk_mov_b32 v[24:25], v[4:5], v[4:5] op_sel:[0,1]
	buffer_load_dword v139, off, s[0:3], 0 offset:348
	buffer_load_dword v138, off, s[0:3], 0 offset:344
	buffer_load_dword v143, off, s[0:3], 0 offset:340
	buffer_load_dword v142, off, s[0:3], 0 offset:336
	buffer_load_dword v5, off, s[0:3], 0 offset:396
	buffer_load_dword v4, off, s[0:3], 0 offset:392
	v_accvgpr_write_b32 a153, v25
	v_accvgpr_write_b32 a152, v24
	s_waitcnt vmcnt(0)
	v_pk_mov_b32 v[30:31], v[4:5], v[4:5] op_sel:[0,1]
	buffer_load_dword v5, off, s[0:3], 0 offset:388
	buffer_load_dword v4, off, s[0:3], 0 offset:384
	v_accvgpr_write_b32 a155, v31
	v_accvgpr_write_b32 a154, v30
	s_waitcnt vmcnt(0)
	v_pk_mov_b32 v[32:33], v[4:5], v[4:5] op_sel:[0,1]
	buffer_load_dword v147, off, s[0:3], 0 offset:380
	buffer_load_dword v146, off, s[0:3], 0 offset:376
	buffer_load_dword v151, off, s[0:3], 0 offset:372
	buffer_load_dword v150, off, s[0:3], 0 offset:368
	buffer_load_dword v5, off, s[0:3], 0 offset:428
	buffer_load_dword v4, off, s[0:3], 0 offset:424
	v_accvgpr_write_b32 a157, v33
	v_accvgpr_write_b32 a156, v32
	s_waitcnt vmcnt(0)
	v_pk_mov_b32 v[38:39], v[4:5], v[4:5] op_sel:[0,1]
	buffer_load_dword v5, off, s[0:3], 0 offset:420
	buffer_load_dword v4, off, s[0:3], 0 offset:416
	;; [unrolled: 1-line block ×30, first 2 shown]
	ds_read_b128 v[240:243], v128 offset:960
	ds_read_b128 v[244:247], v128 offset:976
	;; [unrolled: 1-line block ×10, first 2 shown]
	v_accvgpr_write_b32 a159, v39
	s_waitcnt lgkmcnt(3)
	v_mul_f64 v[8:9], v[226:227], v[106:107]
	v_fmac_f64_e32 v[8:9], v[228:229], v[108:109]
	s_waitcnt lgkmcnt(2)
	v_mul_f64 v[12:13], v[130:131], v[14:15]
	v_fmac_f64_e32 v[12:13], v[132:133], v[18:19]
	;; [unrolled: 3-line block ×4, first 2 shown]
	v_accvgpr_write_b32 a158, v38
	s_waitcnt vmcnt(28)
	v_pk_mov_b32 v[40:41], v[4:5], v[4:5] op_sel:[0,1]
	v_mul_f64 v[4:5], v[236:237], v[66:67]
	v_fmac_f64_e32 v[4:5], v[238:239], v[84:85]
	v_add_f64 v[2:3], v[2:3], v[4:5]
	v_mul_f64 v[4:5], v[240:241], v[90:91]
	v_fmac_f64_e32 v[4:5], v[242:243], v[92:93]
	v_add_f64 v[2:3], v[2:3], v[4:5]
	;; [unrolled: 3-line block ×7, first 2 shown]
	v_add_f64 v[10:11], v[6:7], v[8:9]
	v_add_f64 v[14:15], v[10:11], v[12:13]
	;; [unrolled: 1-line block ×3, first 2 shown]
	ds_read_b128 v[14:17], v128 offset:1120
	v_add_f64 v[22:23], v[18:19], v[20:21]
	ds_read_b128 v[18:21], v128 offset:1136
	v_accvgpr_write_b32 a161, v41
	v_accvgpr_write_b32 a160, v40
	s_waitcnt lgkmcnt(1)
	v_mul_f64 v[24:25], v[14:15], v[146:147]
	v_fmac_f64_e32 v[24:25], v[16:17], v[150:151]
	v_add_f64 v[26:27], v[22:23], v[24:25]
	ds_read_b128 v[22:25], v128 offset:1152
	s_waitcnt lgkmcnt(1)
	v_mul_f64 v[28:29], v[18:19], v[30:31]
	v_fmac_f64_e32 v[28:29], v[20:21], v[32:33]
	v_add_f64 v[30:31], v[26:27], v[28:29]
	ds_read_b128 v[26:29], v128 offset:1168
	s_waitcnt vmcnt(26) lgkmcnt(1)
	v_mul_f64 v[32:33], v[22:23], v[154:155]
	s_waitcnt vmcnt(24)
	v_fmac_f64_e32 v[32:33], v[24:25], v[156:157]
	v_add_f64 v[34:35], v[30:31], v[32:33]
	ds_read_b128 v[30:33], v128 offset:1184
	s_waitcnt lgkmcnt(1)
	v_mul_f64 v[36:37], v[26:27], v[38:39]
	v_fmac_f64_e32 v[36:37], v[28:29], v[40:41]
	v_add_f64 v[38:39], v[34:35], v[36:37]
	ds_read_b128 v[34:37], v128 offset:1200
	s_waitcnt vmcnt(18) lgkmcnt(1)
	v_mul_f64 v[40:41], v[30:31], v[158:159]
	s_waitcnt vmcnt(16)
	v_fmac_f64_e32 v[40:41], v[32:33], v[160:161]
	v_add_f64 v[42:43], v[38:39], v[40:41]
	ds_read_b128 v[38:41], v128 offset:1216
	s_waitcnt lgkmcnt(1)
	v_mul_f64 v[44:45], v[34:35], v[134:135]
	v_fmac_f64_e32 v[44:45], v[36:37], v[136:137]
	v_add_f64 v[46:47], v[42:43], v[44:45]
	ds_read_b128 v[42:45], v128 offset:1232
	s_waitcnt vmcnt(10) lgkmcnt(1)
	v_mul_f64 v[48:49], v[38:39], v[162:163]
	s_waitcnt vmcnt(8)
	v_fmac_f64_e32 v[48:49], v[40:41], v[164:165]
	v_add_f64 v[172:173], v[46:47], v[48:49]
	ds_read_b128 v[46:49], v128 offset:1248
	s_waitcnt lgkmcnt(1)
	v_mul_f64 v[176:177], v[42:43], v[140:141]
	buffer_load_dword v171, off, s[0:3], 0 offset:540
	buffer_load_dword v170, off, s[0:3], 0 offset:536
	;; [unrolled: 1-line block ×4, first 2 shown]
	v_fmac_f64_e32 v[176:177], v[44:45], v[144:145]
	v_add_f64 v[2:3], v[172:173], v[176:177]
	buffer_load_dword v177, off, s[0:3], 0 offset:556
	buffer_load_dword v176, off, s[0:3], 0 offset:552
	;; [unrolled: 1-line block ×20, first 2 shown]
	v_mul_f64 v[4:5], v[112:113], v[58:59]
	v_fma_f64 v[112:113], v[194:195], v[82:83], -v[50:51]
	v_mul_f64 v[50:51], v[200:201], v[64:65]
	v_fma_f64 v[10:11], v[110:111], v[56:57], -v[4:5]
	v_fma_f64 v[110:111], v[114:115], v[52:53], -v[54:55]
	;; [unrolled: 1-line block ×3, first 2 shown]
	buffer_load_dword v195, off, s[0:3], 0 offset:636
	buffer_load_dword v194, off, s[0:3], 0 offset:632
	;; [unrolled: 1-line block ×4, first 2 shown]
	v_mul_f64 v[50:51], v[204:205], v[60:61]
	buffer_load_dword v201, off, s[0:3], 0 offset:652
	buffer_load_dword v200, off, s[0:3], 0 offset:648
	;; [unrolled: 1-line block ×8, first 2 shown]
	v_mul_f64 v[54:55], v[208:209], v[76:77]
	v_fma_f64 v[116:117], v[202:203], v[62:63], -v[50:51]
	v_fma_f64 v[202:203], v[206:207], v[78:79], -v[54:55]
	v_mul_f64 v[54:55], v[212:213], v[74:75]
	ds_read_b128 v[50:53], v128 offset:1264
	v_fma_f64 v[6:7], v[210:211], v[72:73], -v[54:55]
	v_mul_f64 v[54:55], v[234:235], v[68:69]
	buffer_load_dword v213, off, s[0:3], 0 offset:684
	buffer_load_dword v212, off, s[0:3], 0 offset:680
	;; [unrolled: 1-line block ×12, first 2 shown]
	v_fma_f64 v[4:5], v[232:233], v[70:71], -v[54:55]
	buffer_load_dword v233, off, s[0:3], 0 offset:732
	buffer_load_dword v232, off, s[0:3], 0 offset:728
	;; [unrolled: 1-line block ×4, first 2 shown]
	ds_read_b128 v[54:57], v128 offset:1280
	ds_read_b128 v[58:61], v128 offset:1296
	s_waitcnt vmcnt(54) lgkmcnt(3)
	v_mul_f64 v[8:9], v[46:47], v[166:167]
	s_waitcnt vmcnt(52)
	v_fmac_f64_e32 v[8:9], v[48:49], v[168:169]
	v_add_f64 v[2:3], v[2:3], v[8:9]
	s_waitcnt lgkmcnt(2)
	v_mul_f64 v[8:9], v[50:51], v[148:149]
	ds_read_b128 v[62:65], v128 offset:1312
	v_fmac_f64_e32 v[8:9], v[52:53], v[152:153]
	v_add_f64 v[2:3], v[2:3], v[8:9]
	v_mul_f64 v[8:9], v[238:239], v[66:67]
	v_mul_f64 v[70:71], v[246:247], v[86:87]
	;; [unrolled: 1-line block ×3, first 2 shown]
	v_fma_f64 v[8:9], v[236:237], v[84:85], -v[8:9]
	v_mul_f64 v[0:1], v[216:217], v[0:1]
	v_add_f64 v[10:11], v[10:11], 0
	v_add_f64 v[10:11], v[10:11], v[110:111]
	;; [unrolled: 1-line block ×9, first 2 shown]
	v_accvgpr_read_b32 v6, a146
	v_accvgpr_read_b32 v7, a147
	;; [unrolled: 1-line block ×3, first 2 shown]
	v_mul_f64 v[6:7], v[132:133], v[6:7]
	v_accvgpr_read_b32 v9, a149
	v_fma_f64 v[6:7], v[130:131], v[8:9], -v[6:7]
	v_accvgpr_read_b32 v8, a152
	v_accvgpr_read_b32 v9, a153
	s_waitcnt vmcnt(50) lgkmcnt(2)
	v_mul_f64 v[12:13], v[54:55], v[170:171]
	s_waitcnt vmcnt(48)
	v_fmac_f64_e32 v[12:13], v[56:57], v[174:175]
	s_waitcnt vmcnt(46) lgkmcnt(1)
	v_mul_f64 v[66:67], v[58:59], v[176:177]
	v_add_f64 v[2:3], v[2:3], v[12:13]
	s_waitcnt vmcnt(44)
	v_fmac_f64_e32 v[66:67], v[60:61], v[178:179]
	v_add_f64 v[2:3], v[2:3], v[66:67]
	ds_read_b128 v[66:69], v128 offset:1328
	s_waitcnt vmcnt(41) lgkmcnt(1)
	v_mul_f64 v[74:75], v[62:63], v[182:183]
	v_mul_f64 v[12:13], v[242:243], v[90:91]
	v_fma_f64 v[242:243], v[244:245], v[88:89], -v[70:71]
	s_waitcnt vmcnt(39)
	v_fmac_f64_e32 v[74:75], v[64:65], v[186:187]
	ds_read_b128 v[70:73], v128 offset:1344
	v_add_f64 v[2:3], v[2:3], v[74:75]
	v_mul_f64 v[74:75], v[250:251], v[100:101]
	v_fma_f64 v[248:249], v[248:249], v[102:103], -v[74:75]
	ds_read_b128 v[74:77], v128 offset:1360
	s_waitcnt vmcnt(38) lgkmcnt(2)
	v_mul_f64 v[78:79], v[66:67], v[172:173]
	s_waitcnt vmcnt(36)
	v_fmac_f64_e32 v[78:79], v[68:69], v[184:185]
	v_add_f64 v[2:3], v[2:3], v[78:79]
	s_waitcnt vmcnt(33) lgkmcnt(1)
	v_mul_f64 v[78:79], v[70:71], v[190:191]
	s_waitcnt vmcnt(31)
	v_fmac_f64_e32 v[78:79], v[72:73], v[192:193]
	v_add_f64 v[2:3], v[2:3], v[78:79]
	;; [unrolled: 5-line block ×3, first 2 shown]
	ds_read_b128 v[78:81], v128 offset:1376
	v_fma_f64 v[250:251], v[252:253], v[98:99], -v[82:83]
	ds_read_b128 v[82:85], v128 offset:1392
	ds_read_b128 v[86:89], v128 offset:1408
	v_fma_f64 v[252:253], v[214:215], v[126:127], -v[0:1]
	s_waitcnt vmcnt(26) lgkmcnt(2)
	v_mul_f64 v[90:91], v[78:79], v[194:195]
	s_waitcnt vmcnt(24)
	v_fmac_f64_e32 v[90:91], v[80:81], v[198:199]
	v_add_f64 v[0:1], v[2:3], v[90:91]
	s_waitcnt vmcnt(22) lgkmcnt(1)
	v_mul_f64 v[2:3], v[82:83], v[200:201]
	s_waitcnt vmcnt(20)
	v_fmac_f64_e32 v[2:3], v[84:85], v[204:205]
	v_fma_f64 v[12:13], v[240:241], v[92:93], -v[12:13]
	ds_read_b128 v[90:93], v128 offset:1424
	v_add_f64 v[0:1], v[0:1], v[2:3]
	s_waitcnt vmcnt(18) lgkmcnt(1)
	v_mul_f64 v[2:3], v[86:87], v[196:197]
	s_waitcnt vmcnt(16)
	v_fmac_f64_e32 v[2:3], v[88:89], v[218:219]
	v_add_f64 v[0:1], v[0:1], v[2:3]
	v_mul_f64 v[2:3], v[222:223], v[94:95]
	v_mul_f64 v[98:99], v[228:229], v[106:107]
	v_fma_f64 v[254:255], v[220:221], v[104:105], -v[2:3]
	ds_read_b128 v[94:97], v128 offset:1440
	v_fma_f64 v[214:215], v[226:227], v[108:109], -v[98:99]
	ds_read_b128 v[98:101], v128 offset:1456
	ds_read_b128 v[102:105], v128 offset:1472
	buffer_load_dword v126, off, s[0:3], 0 offset:744
	buffer_load_dword v127, off, s[0:3], 0 offset:748
	;; [unrolled: 1-line block ×4, first 2 shown]
	ds_read_b128 v[106:109], v128 offset:1488
	buffer_load_dword v239, off, s[0:3], 0 offset:764
	buffer_load_dword v238, off, s[0:3], 0 offset:760
	;; [unrolled: 1-line block ×4, first 2 shown]
	s_waitcnt vmcnt(22) lgkmcnt(4)
	v_mul_f64 v[2:3], v[90:91], v[212:213]
	s_waitcnt vmcnt(20)
	v_fmac_f64_e32 v[2:3], v[92:93], v[224:225]
	v_add_f64 v[0:1], v[0:1], v[2:3]
	s_waitcnt vmcnt(17) lgkmcnt(3)
	v_mul_f64 v[2:3], v[94:95], v[206:207]
	s_waitcnt vmcnt(15)
	v_fmac_f64_e32 v[2:3], v[96:97], v[230:231]
	v_add_f64 v[0:1], v[0:1], v[2:3]
	;; [unrolled: 5-line block ×4, first 2 shown]
	v_add_f64 v[4:5], v[4:5], v[12:13]
	v_add_f64 v[4:5], v[4:5], v[242:243]
	;; [unrolled: 1-line block ×8, first 2 shown]
	v_mul_f64 v[6:7], v[124:125], v[138:139]
	v_fma_f64 v[6:7], v[122:123], v[142:143], -v[6:7]
	v_add_f64 v[4:5], v[4:5], v[6:7]
	v_accvgpr_read_b32 v6, a150
	v_accvgpr_read_b32 v7, a151
	v_mul_f64 v[6:7], v[120:121], v[6:7]
	v_fma_f64 v[6:7], v[118:119], v[8:9], -v[6:7]
	v_add_f64 v[4:5], v[4:5], v[6:7]
	v_mul_f64 v[6:7], v[16:17], v[146:147]
	v_fma_f64 v[6:7], v[14:15], v[150:151], -v[6:7]
	v_add_f64 v[4:5], v[4:5], v[6:7]
	v_accvgpr_read_b32 v6, a154
	v_accvgpr_read_b32 v7, a155
	;; [unrolled: 1-line block ×3, first 2 shown]
	v_mul_f64 v[6:7], v[20:21], v[6:7]
	v_accvgpr_read_b32 v9, a157
	v_fma_f64 v[6:7], v[18:19], v[8:9], -v[6:7]
	v_add_f64 v[4:5], v[4:5], v[6:7]
	v_mul_f64 v[6:7], v[24:25], v[154:155]
	v_fma_f64 v[6:7], v[22:23], v[156:157], -v[6:7]
	v_add_f64 v[4:5], v[4:5], v[6:7]
	v_accvgpr_read_b32 v6, a158
	v_accvgpr_read_b32 v7, a159
	;; [unrolled: 1-line block ×3, first 2 shown]
	v_mul_f64 v[6:7], v[28:29], v[6:7]
	v_accvgpr_read_b32 v9, a161
	v_fma_f64 v[6:7], v[26:27], v[8:9], -v[6:7]
	v_add_f64 v[4:5], v[4:5], v[6:7]
	v_mul_f64 v[6:7], v[32:33], v[158:159]
	v_fma_f64 v[6:7], v[30:31], v[160:161], -v[6:7]
	v_add_f64 v[4:5], v[4:5], v[6:7]
	v_mul_f64 v[6:7], v[36:37], v[134:135]
	;; [unrolled: 3-line block ×9, first 2 shown]
	v_fma_f64 v[6:7], v[62:63], v[186:187], -v[6:7]
	v_add_f64 v[4:5], v[4:5], v[6:7]
	s_waitcnt vmcnt(6) lgkmcnt(0)
	v_mul_f64 v[2:3], v[106:107], v[126:127]
	v_mul_f64 v[6:7], v[68:69], v[172:173]
	s_waitcnt vmcnt(4)
	v_fmac_f64_e32 v[2:3], v[108:109], v[236:237]
	v_add_f64 v[216:217], v[0:1], v[2:3]
	ds_read_b128 v[0:3], v128 offset:1504
	buffer_load_dword v244, off, s[0:3], 0 offset:776
	buffer_load_dword v245, off, s[0:3], 0 offset:780
	;; [unrolled: 1-line block ×4, first 2 shown]
	v_fma_f64 v[6:7], v[66:67], v[184:185], -v[6:7]
	v_add_f64 v[4:5], v[4:5], v[6:7]
	v_mul_f64 v[6:7], v[72:73], v[190:191]
	s_waitcnt vmcnt(6) lgkmcnt(0)
	v_mul_f64 v[220:221], v[0:1], v[238:239]
	s_waitcnt vmcnt(4)
	v_fmac_f64_e32 v[220:221], v[2:3], v[240:241]
	v_add_f64 v[216:217], v[216:217], v[220:221]
	ds_read_b128 v[220:223], v128 offset:1520
	buffer_load_dword v250, off, s[0:3], 0 offset:48
	buffer_load_dword v251, off, s[0:3], 0 offset:52
	;; [unrolled: 1-line block ×4, first 2 shown]
	v_fma_f64 v[6:7], v[70:71], v[192:193], -v[6:7]
	v_add_f64 v[4:5], v[4:5], v[6:7]
	v_mul_f64 v[6:7], v[76:77], v[180:181]
	v_fma_f64 v[6:7], v[74:75], v[188:189], -v[6:7]
	v_add_f64 v[4:5], v[4:5], v[6:7]
	v_mul_f64 v[6:7], v[80:81], v[194:195]
	;; [unrolled: 3-line block ×9, first 2 shown]
	v_fma_f64 v[6:7], v[106:107], v[236:237], -v[6:7]
	v_mul_f64 v[2:3], v[2:3], v[238:239]
	v_add_f64 v[4:5], v[4:5], v[6:7]
	v_fma_f64 v[0:1], v[0:1], v[240:241], -v[2:3]
	v_add_f64 v[0:1], v[4:5], v[0:1]
	s_waitcnt vmcnt(6) lgkmcnt(0)
	v_mul_f64 v[2:3], v[222:223], v[244:245]
	v_mul_f64 v[226:227], v[220:221], v[244:245]
	s_waitcnt vmcnt(4)
	v_fma_f64 v[2:3], v[220:221], v[246:247], -v[2:3]
	v_fmac_f64_e32 v[226:227], v[222:223], v[246:247]
	v_add_f64 v[0:1], v[0:1], v[2:3]
	v_add_f64 v[216:217], v[216:217], v[226:227]
	s_waitcnt vmcnt(2)
	v_add_f64 v[0:1], v[250:251], -v[0:1]
	s_waitcnt vmcnt(0)
	v_add_f64 v[2:3], v[248:249], -v[216:217]
	buffer_store_dword v1, off, s[0:3], 0 offset:52
	buffer_store_dword v0, off, s[0:3], 0 offset:48
	;; [unrolled: 1-line block ×4, first 2 shown]
	v_accvgpr_read_b32 v0, a143
	v_cmp_lt_u32_e32 vcc, 1, v0
	s_and_saveexec_b64 s[4:5], vcc
	s_cbranch_execz .LBB111_299
; %bb.298:
	v_accvgpr_read_b32 v0, a142
	buffer_load_dword v2, v0, s[0:3], 0 offen
	buffer_load_dword v3, v0, s[0:3], 0 offen offset:4
	buffer_load_dword v4, v0, s[0:3], 0 offen offset:8
	;; [unrolled: 1-line block ×3, first 2 shown]
	v_accvgpr_read_b32 v0, a144
	buffer_store_dword v128, off, s[0:3], 0 offset:32
	buffer_store_dword v128, off, s[0:3], 0 offset:36
	;; [unrolled: 1-line block ×4, first 2 shown]
	s_waitcnt vmcnt(4)
	ds_write_b128 v0, v[2:5]
.LBB111_299:
	s_or_b64 exec, exec, s[4:5]
	s_waitcnt lgkmcnt(0)
	; wave barrier
	s_waitcnt lgkmcnt(0)
	buffer_load_dword v60, off, s[0:3], 0 offset:48
	buffer_load_dword v61, off, s[0:3], 0 offset:52
	;; [unrolled: 1-line block ×42, first 2 shown]
	ds_read_b128 v[114:117], v128 offset:800
	ds_read_b128 v[180:183], v128 offset:816
	;; [unrolled: 1-line block ×10, first 2 shown]
	buffer_load_dword v1, off, s[0:3], 0 offset:196
	buffer_load_dword v0, off, s[0:3], 0 offset:192
	ds_read_b128 v[62:65], v128 offset:960
	buffer_load_dword v101, off, s[0:3], 0 offset:252
	buffer_load_dword v100, off, s[0:3], 0 offset:248
	;; [unrolled: 1-line block ×6, first 2 shown]
	s_waitcnt vmcnt(46) lgkmcnt(10)
	v_mul_f64 v[2:3], v[114:115], v[66:67]
	v_fmac_f64_e32 v[2:3], v[116:117], v[60:61]
	v_add_f64 v[2:3], v[2:3], 0
	s_waitcnt vmcnt(42) lgkmcnt(9)
	v_mul_f64 v[4:5], v[180:181], v[58:59]
	v_fmac_f64_e32 v[4:5], v[182:183], v[50:51]
	v_add_f64 v[2:3], v[2:3], v[4:5]
	buffer_load_dword v225, off, s[0:3], 0 offset:228
	buffer_load_dword v224, off, s[0:3], 0 offset:224
	buffer_load_dword v111, off, s[0:3], 0 offset:284
	buffer_load_dword v110, off, s[0:3], 0 offset:280
	buffer_load_dword v113, off, s[0:3], 0 offset:276
	buffer_load_dword v112, off, s[0:3], 0 offset:272
	buffer_load_dword v227, off, s[0:3], 0 offset:268
	buffer_load_dword v226, off, s[0:3], 0 offset:264
	buffer_load_dword v229, off, s[0:3], 0 offset:260
	buffer_load_dword v228, off, s[0:3], 0 offset:256
	buffer_load_dword v107, off, s[0:3], 0 offset:316
	buffer_load_dword v106, off, s[0:3], 0 offset:312
	buffer_load_dword v109, off, s[0:3], 0 offset:308
	buffer_load_dword v108, off, s[0:3], 0 offset:304
	buffer_load_dword v79, off, s[0:3], 0 offset:300
	buffer_load_dword v78, off, s[0:3], 0 offset:296
	buffer_load_dword v91, off, s[0:3], 0 offset:292
	buffer_load_dword v90, off, s[0:3], 0 offset:288
	buffer_load_dword v5, off, s[0:3], 0 offset:348
	buffer_load_dword v4, off, s[0:3], 0 offset:344
	s_waitcnt vmcnt(60) lgkmcnt(8)
	v_mul_f64 v[6:7], v[184:185], v[52:53]
	s_waitcnt vmcnt(58) lgkmcnt(6)
	v_mul_f64 v[10:11], v[196:197], v[68:69]
	s_waitcnt vmcnt(56)
	v_fmac_f64_e32 v[10:11], v[198:199], v[70:71]
	s_waitcnt vmcnt(54)
	v_mul_f64 v[8:9], v[192:193], v[72:73]
	s_waitcnt vmcnt(52) lgkmcnt(4)
	v_mul_f64 v[14:15], v[204:205], v[74:75]
	s_waitcnt vmcnt(50)
	v_fmac_f64_e32 v[14:15], v[206:207], v[76:77]
	s_waitcnt vmcnt(48)
	v_mul_f64 v[12:13], v[200:201], v[230:231]
	s_waitcnt vmcnt(46) lgkmcnt(2)
	v_mul_f64 v[18:19], v[236:237], v[82:83]
	s_waitcnt vmcnt(43)
	v_mul_f64 v[16:17], v[208:209], v[86:87]
	s_waitcnt vmcnt(41) lgkmcnt(1)
	v_mul_f64 v[20:21], v[54:55], v[80:81]
	s_waitcnt vmcnt(39)
	v_fmac_f64_e32 v[6:7], v[186:187], v[96:97]
	v_add_f64 v[2:3], v[2:3], v[6:7]
	s_waitcnt vmcnt(37)
	v_fmac_f64_e32 v[8:9], v[194:195], v[92:93]
	v_add_f64 v[2:3], v[2:3], v[8:9]
	;; [unrolled: 3-line block ×3, first 2 shown]
	v_add_f64 v[2:3], v[2:3], v[12:13]
	s_waitcnt vmcnt(33)
	v_fmac_f64_e32 v[16:17], v[210:211], v[88:89]
	v_add_f64 v[2:3], v[2:3], v[14:15]
	v_add_f64 v[2:3], v[2:3], v[16:17]
	s_waitcnt vmcnt(32)
	v_fmac_f64_e32 v[18:19], v[238:239], v[84:85]
	v_add_f64 v[2:3], v[2:3], v[18:19]
	s_waitcnt vmcnt(26)
	v_fmac_f64_e32 v[20:21], v[56:57], v[0:1]
	v_add_f64 v[2:3], v[2:3], v[20:21]
	v_mul_f64 v[56:57], v[56:57], v[80:81]
	v_fma_f64 v[0:1], v[54:55], v[0:1], -v[56:57]
	s_waitcnt vmcnt(0)
	v_pk_mov_b32 v[8:9], v[4:5], v[4:5] op_sel:[0,1]
	buffer_load_dword v5, off, s[0:3], 0 offset:340
	buffer_load_dword v4, off, s[0:3], 0 offset:336
	v_accvgpr_write_b32 a147, v9
	v_accvgpr_write_b32 a146, v8
	s_waitcnt vmcnt(0)
	v_pk_mov_b32 v[16:17], v[4:5], v[4:5] op_sel:[0,1]
	buffer_load_dword v13, off, s[0:3], 0 offset:332
	buffer_load_dword v12, off, s[0:3], 0 offset:328
	;; [unrolled: 1-line block ×6, first 2 shown]
	v_accvgpr_write_b32 a149, v17
	v_accvgpr_write_b32 a148, v16
	s_waitcnt vmcnt(0)
	v_pk_mov_b32 v[24:25], v[4:5], v[4:5] op_sel:[0,1]
	buffer_load_dword v5, off, s[0:3], 0 offset:372
	buffer_load_dword v4, off, s[0:3], 0 offset:368
	v_accvgpr_write_b32 a151, v25
	v_accvgpr_write_b32 a150, v24
	s_waitcnt vmcnt(0)
	v_pk_mov_b32 v[26:27], v[4:5], v[4:5] op_sel:[0,1]
	buffer_load_dword v143, off, s[0:3], 0 offset:364
	buffer_load_dword v142, off, s[0:3], 0 offset:360
	;; [unrolled: 1-line block ×6, first 2 shown]
	v_accvgpr_write_b32 a153, v27
	v_accvgpr_write_b32 a152, v26
	s_waitcnt vmcnt(0)
	v_pk_mov_b32 v[32:33], v[4:5], v[4:5] op_sel:[0,1]
	buffer_load_dword v5, off, s[0:3], 0 offset:404
	buffer_load_dword v4, off, s[0:3], 0 offset:400
	;; [unrolled: 1-line block ×38, first 2 shown]
	ds_read_b128 v[240:243], v128 offset:976
	ds_read_b128 v[244:247], v128 offset:992
	;; [unrolled: 1-line block ×9, first 2 shown]
	v_accvgpr_write_b32 a155, v33
	v_accvgpr_write_b32 a154, v32
	s_waitcnt lgkmcnt(2)
	v_mul_f64 v[10:11], v[122:123], v[12:13]
	v_fmac_f64_e32 v[10:11], v[124:125], v[138:139]
	s_waitcnt lgkmcnt(1)
	v_mul_f64 v[14:15], v[130:131], v[8:9]
	v_fmac_f64_e32 v[14:15], v[132:133], v[16:17]
	ds_read_b128 v[42:45], v128 offset:1232
	s_waitcnt vmcnt(36)
	v_accvgpr_write_b32 a157, v5
	v_accvgpr_write_b32 a156, v4
	s_waitcnt vmcnt(28)
	v_pk_mov_b32 v[40:41], v[6:7], v[6:7] op_sel:[0,1]
	v_mul_f64 v[6:7], v[62:63], v[94:95]
	v_fmac_f64_e32 v[6:7], v[64:65], v[98:99]
	v_add_f64 v[2:3], v[2:3], v[6:7]
	v_mul_f64 v[6:7], v[240:241], v[104:105]
	v_fmac_f64_e32 v[6:7], v[242:243], v[224:225]
	v_add_f64 v[2:3], v[2:3], v[6:7]
	;; [unrolled: 3-line block ×7, first 2 shown]
	v_add_f64 v[2:3], v[2:3], v[10:11]
	v_add_f64 v[2:3], v[2:3], v[14:15]
	ds_read_b128 v[14:17], v128 offset:1120
	s_waitcnt lgkmcnt(2)
	v_mul_f64 v[18:19], v[134:135], v[142:143]
	v_fmac_f64_e32 v[18:19], v[136:137], v[146:147]
	v_add_f64 v[2:3], v[2:3], v[18:19]
	ds_read_b128 v[18:21], v128 offset:1136
	s_waitcnt lgkmcnt(1)
	v_mul_f64 v[22:23], v[14:15], v[24:25]
	v_fmac_f64_e32 v[22:23], v[16:17], v[26:27]
	;; [unrolled: 5-line block ×4, first 2 shown]
	v_add_f64 v[2:3], v[2:3], v[30:31]
	ds_read_b128 v[30:33], v128 offset:1184
	s_waitcnt vmcnt(26) lgkmcnt(1)
	v_mul_f64 v[34:35], v[26:27], v[158:159]
	s_waitcnt vmcnt(24)
	v_fmac_f64_e32 v[34:35], v[28:29], v[160:161]
	v_add_f64 v[2:3], v[2:3], v[34:35]
	ds_read_b128 v[34:37], v128 offset:1200
	s_waitcnt lgkmcnt(1)
	v_mul_f64 v[38:39], v[30:31], v[212:213]
	v_fmac_f64_e32 v[38:39], v[32:33], v[40:41]
	v_accvgpr_write_b32 a159, v41
	v_accvgpr_write_b32 a158, v40
	v_add_f64 v[2:3], v[2:3], v[38:39]
	ds_read_b128 v[38:41], v128 offset:1216
	s_waitcnt vmcnt(18) lgkmcnt(1)
	v_mul_f64 v[46:47], v[34:35], v[162:163]
	s_waitcnt vmcnt(16)
	v_fmac_f64_e32 v[46:47], v[36:37], v[164:165]
	v_add_f64 v[2:3], v[2:3], v[46:47]
	v_mul_f64 v[6:7], v[182:183], v[58:59]
	s_waitcnt lgkmcnt(0)
	v_mul_f64 v[46:47], v[38:39], v[126:127]
	v_fmac_f64_e32 v[46:47], v[40:41], v[140:141]
	v_add_f64 v[2:3], v[2:3], v[46:47]
	s_waitcnt vmcnt(10)
	v_mul_f64 v[46:47], v[42:43], v[166:167]
	s_waitcnt vmcnt(8)
	v_fmac_f64_e32 v[46:47], v[44:45], v[168:169]
	v_add_f64 v[2:3], v[2:3], v[46:47]
	ds_read_b128 v[46:49], v128 offset:1248
	buffer_load_dword v175, off, s[0:3], 0 offset:556
	buffer_load_dword v174, off, s[0:3], 0 offset:552
	;; [unrolled: 1-line block ×5, first 2 shown]
	v_fma_f64 v[58:59], v[180:181], v[50:51], -v[6:7]
	buffer_load_dword v180, off, s[0:3], 0 offset:560
	buffer_load_dword v177, off, s[0:3], 0 offset:572
	;; [unrolled: 1-line block ×3, first 2 shown]
	v_mul_f64 v[4:5], v[116:117], v[66:67]
	v_mul_f64 v[6:7], v[186:187], v[52:53]
	v_fma_f64 v[4:5], v[114:115], v[60:61], -v[4:5]
	v_fma_f64 v[60:61], v[184:185], v[96:97], -v[6:7]
	buffer_load_dword v185, off, s[0:3], 0 offset:588
	buffer_load_dword v184, off, s[0:3], 0 offset:584
	;; [unrolled: 1-line block ×16, first 2 shown]
	v_mul_f64 v[6:7], v[194:195], v[72:73]
	v_fma_f64 v[92:93], v[192:193], v[92:93], -v[6:7]
	v_mul_f64 v[6:7], v[198:199], v[68:69]
	v_fma_f64 v[96:97], v[196:197], v[70:71], -v[6:7]
	buffer_load_dword v197, off, s[0:3], 0 offset:652
	buffer_load_dword v196, off, s[0:3], 0 offset:648
	;; [unrolled: 1-line block ×8, first 2 shown]
	v_mul_f64 v[50:51], v[206:207], v[74:75]
	v_mul_f64 v[6:7], v[202:203], v[230:231]
	v_fma_f64 v[204:205], v[204:205], v[76:77], -v[50:51]
	v_mul_f64 v[50:51], v[210:211], v[86:87]
	v_fma_f64 v[198:199], v[200:201], v[232:233], -v[6:7]
	v_fma_f64 v[200:201], v[208:209], v[88:89], -v[50:51]
	buffer_load_dword v207, off, s[0:3], 0 offset:700
	buffer_load_dword v209, off, s[0:3], 0 offset:684
	;; [unrolled: 1-line block ×12, first 2 shown]
	v_mul_f64 v[66:67], v[238:239], v[82:83]
	ds_read_b128 v[50:53], v128 offset:1264
	v_fma_f64 v[202:203], v[236:237], v[84:85], -v[66:67]
	buffer_load_dword v236, off, s[0:3], 0 offset:728
	buffer_load_dword v238, off, s[0:3], 0 offset:720
	;; [unrolled: 1-line block ×4, first 2 shown]
	ds_read_b128 v[54:57], v128 offset:1280
	s_waitcnt lgkmcnt(2)
	v_mul_f64 v[66:67], v[46:47], v[144:145]
	v_fmac_f64_e32 v[66:67], v[48:49], v[148:149]
	s_waitcnt vmcnt(50) lgkmcnt(1)
	v_mul_f64 v[6:7], v[50:51], v[170:171]
	v_add_f64 v[2:3], v[2:3], v[66:67]
	s_waitcnt vmcnt(48)
	v_fmac_f64_e32 v[6:7], v[52:53], v[172:173]
	v_mul_f64 v[64:65], v[64:65], v[94:95]
	v_add_f64 v[2:3], v[2:3], v[6:7]
	v_fma_f64 v[94:95], v[62:63], v[98:99], -v[64:65]
	ds_read_b128 v[62:65], v128 offset:1312
	s_waitcnt lgkmcnt(1)
	v_mul_f64 v[6:7], v[54:55], v[152:153]
	v_fmac_f64_e32 v[6:7], v[56:57], v[156:157]
	v_add_f64 v[2:3], v[2:3], v[6:7]
	ds_read_b128 v[6:9], v128 offset:1296
	v_mul_f64 v[74:75], v[246:247], v[100:101]
	v_fma_f64 v[244:245], v[244:245], v[102:103], -v[74:75]
	ds_read_b128 v[74:77], v128 offset:1360
	v_mul_f64 v[82:83], v[250:251], v[226:227]
	v_fma_f64 v[228:229], v[248:249], v[228:229], -v[82:83]
	ds_read_b128 v[86:89], v128 offset:1408
	v_mul_f64 v[78:79], v[120:121], v[78:79]
	v_add_f64 v[4:5], v[4:5], 0
	v_add_f64 v[4:5], v[4:5], v[58:59]
	;; [unrolled: 1-line block ×10, first 2 shown]
	ds_read_b128 v[82:85], v128 offset:1392
	v_add_f64 v[0:1], v[0:1], v[94:95]
	v_mul_f64 v[4:5], v[124:125], v[12:13]
	v_fma_f64 v[4:5], v[122:123], v[138:139], -v[4:5]
	v_accvgpr_read_b32 v12, a148
	v_accvgpr_read_b32 v13, a149
	ds_read_b128 v[98:101], v128 offset:1456
	s_waitcnt vmcnt(46) lgkmcnt(4)
	v_mul_f64 v[66:67], v[6:7], v[174:175]
	s_waitcnt vmcnt(44)
	v_fmac_f64_e32 v[66:67], v[8:9], v[178:179]
	v_add_f64 v[2:3], v[2:3], v[66:67]
	v_mul_f64 v[66:67], v[242:243], v[104:105]
	v_fma_f64 v[240:241], v[240:241], v[224:225], -v[66:67]
	ds_read_b128 v[66:69], v128 offset:1328
	s_waitcnt vmcnt(41)
	v_mul_f64 v[70:71], v[62:63], v[176:177]
	s_waitcnt vmcnt(40)
	v_fmac_f64_e32 v[70:71], v[64:65], v[180:181]
	v_add_f64 v[2:3], v[2:3], v[70:71]
	ds_read_b128 v[70:73], v128 offset:1344
	s_waitcnt vmcnt(38) lgkmcnt(1)
	v_mul_f64 v[80:81], v[66:67], v[184:185]
	s_waitcnt vmcnt(36)
	v_fmac_f64_e32 v[80:81], v[68:69], v[188:189]
	ds_read_b128 v[224:227], v128 offset:1376
	v_add_f64 v[2:3], v[2:3], v[80:81]
	s_waitcnt vmcnt(34) lgkmcnt(1)
	v_mul_f64 v[80:81], v[70:71], v[186:187]
	s_waitcnt vmcnt(32)
	v_fmac_f64_e32 v[80:81], v[72:73], v[190:191]
	v_add_f64 v[2:3], v[2:3], v[80:81]
	s_waitcnt vmcnt(29)
	v_mul_f64 v[80:81], v[74:75], v[216:217]
	s_waitcnt vmcnt(27)
	v_fmac_f64_e32 v[80:81], v[76:77], v[218:219]
	v_add_f64 v[2:3], v[2:3], v[80:81]
	s_waitcnt vmcnt(25) lgkmcnt(0)
	v_mul_f64 v[80:81], v[224:225], v[182:183]
	s_waitcnt vmcnt(24)
	v_fmac_f64_e32 v[80:81], v[226:227], v[214:215]
	v_add_f64 v[2:3], v[2:3], v[80:81]
	v_mul_f64 v[80:81], v[254:255], v[110:111]
	v_fma_f64 v[248:249], v[252:253], v[112:113], -v[80:81]
	s_waitcnt vmcnt(22)
	v_mul_f64 v[80:81], v[82:83], v[196:197]
	s_waitcnt vmcnt(20)
	v_fmac_f64_e32 v[80:81], v[84:85], v[10:11]
	v_add_f64 v[2:3], v[2:3], v[80:81]
	v_fma_f64 v[252:253], v[118:119], v[90:91], -v[78:79]
	ds_read_b128 v[78:81], v128 offset:1424
	s_waitcnt vmcnt(17)
	v_mul_f64 v[90:91], v[86:87], v[192:193]
	ds_read_b128 v[118:121], v128 offset:1440
	s_waitcnt vmcnt(16)
	v_fmac_f64_e32 v[90:91], v[88:89], v[194:195]
	v_add_f64 v[2:3], v[2:3], v[90:91]
	v_mul_f64 v[90:91], v[222:223], v[106:107]
	v_fma_f64 v[254:255], v[220:221], v[108:109], -v[90:91]
	s_waitcnt vmcnt(13) lgkmcnt(1)
	v_mul_f64 v[90:91], v[78:79], v[208:209]
	s_waitcnt vmcnt(11)
	v_fmac_f64_e32 v[90:91], v[80:81], v[232:233]
	ds_read_b128 v[102:105], v128 offset:1472
	v_add_f64 v[2:3], v[2:3], v[90:91]
	s_waitcnt vmcnt(10) lgkmcnt(1)
	v_mul_f64 v[90:91], v[118:119], v[206:207]
	s_waitcnt vmcnt(8)
	v_fmac_f64_e32 v[90:91], v[120:121], v[230:231]
	v_add_f64 v[2:3], v[2:3], v[90:91]
	s_waitcnt vmcnt(6)
	v_mul_f64 v[90:91], v[98:99], v[210:211]
	s_waitcnt vmcnt(4)
	v_fmac_f64_e32 v[90:91], v[100:101], v[234:235]
	v_add_f64 v[2:3], v[2:3], v[90:91]
	s_waitcnt vmcnt(1) lgkmcnt(0)
	v_mul_f64 v[90:91], v[102:103], v[236:237]
	s_waitcnt vmcnt(0)
	v_fmac_f64_e32 v[90:91], v[104:105], v[238:239]
	v_add_f64 v[110:111], v[2:3], v[90:91]
	buffer_load_dword v91, off, s[0:3], 0 offset:748
	buffer_load_dword v90, off, s[0:3], 0 offset:744
	;; [unrolled: 1-line block ×4, first 2 shown]
	ds_read_b128 v[106:109], v128 offset:1488
	buffer_load_dword v222, off, s[0:3], 0 offset:760
	buffer_load_dword v223, off, s[0:3], 0 offset:764
	;; [unrolled: 1-line block ×4, first 2 shown]
	v_add_f64 v[0:1], v[0:1], v[240:241]
	v_add_f64 v[0:1], v[0:1], v[244:245]
	;; [unrolled: 1-line block ×7, first 2 shown]
	v_accvgpr_read_b32 v4, a146
	v_accvgpr_read_b32 v5, a147
	v_mul_f64 v[4:5], v[132:133], v[4:5]
	v_fma_f64 v[4:5], v[130:131], v[12:13], -v[4:5]
	v_add_f64 v[0:1], v[0:1], v[4:5]
	v_mul_f64 v[4:5], v[136:137], v[142:143]
	v_fma_f64 v[4:5], v[134:135], v[146:147], -v[4:5]
	v_add_f64 v[0:1], v[0:1], v[4:5]
	v_accvgpr_read_b32 v4, a150
	v_accvgpr_read_b32 v5, a151
	;; [unrolled: 1-line block ×3, first 2 shown]
	v_mul_f64 v[4:5], v[16:17], v[4:5]
	v_accvgpr_read_b32 v13, a153
	v_fma_f64 v[4:5], v[14:15], v[12:13], -v[4:5]
	v_add_f64 v[0:1], v[0:1], v[4:5]
	v_mul_f64 v[4:5], v[20:21], v[150:151]
	v_fma_f64 v[4:5], v[18:19], v[154:155], -v[4:5]
	v_add_f64 v[0:1], v[0:1], v[4:5]
	v_accvgpr_read_b32 v4, a154
	v_accvgpr_read_b32 v5, a155
	v_accvgpr_read_b32 v12, a156
	v_mul_f64 v[4:5], v[24:25], v[4:5]
	v_accvgpr_read_b32 v13, a157
	v_fma_f64 v[4:5], v[22:23], v[12:13], -v[4:5]
	v_add_f64 v[0:1], v[0:1], v[4:5]
	v_mul_f64 v[4:5], v[28:29], v[158:159]
	v_fma_f64 v[4:5], v[26:27], v[160:161], -v[4:5]
	v_accvgpr_read_b32 v12, a158
	v_add_f64 v[0:1], v[0:1], v[4:5]
	v_mul_f64 v[4:5], v[32:33], v[212:213]
	v_accvgpr_read_b32 v13, a159
	v_fma_f64 v[4:5], v[30:31], v[12:13], -v[4:5]
	v_add_f64 v[0:1], v[0:1], v[4:5]
	v_mul_f64 v[4:5], v[36:37], v[162:163]
	v_fma_f64 v[4:5], v[34:35], v[164:165], -v[4:5]
	v_add_f64 v[0:1], v[0:1], v[4:5]
	v_mul_f64 v[4:5], v[40:41], v[126:127]
	;; [unrolled: 3-line block ×12, first 2 shown]
	v_fma_f64 v[4:5], v[224:225], v[214:215], -v[4:5]
	s_waitcnt vmcnt(6) lgkmcnt(0)
	v_mul_f64 v[112:113], v[106:107], v[90:91]
	v_add_f64 v[0:1], v[0:1], v[4:5]
	s_waitcnt vmcnt(4)
	v_fmac_f64_e32 v[112:113], v[108:109], v[2:3]
	v_add_f64 v[114:115], v[110:111], v[112:113]
	ds_read_b128 v[110:113], v128 offset:1504
	buffer_load_dword v221, off, s[0:3], 0 offset:780
	buffer_load_dword v220, off, s[0:3], 0 offset:776
	;; [unrolled: 1-line block ×4, first 2 shown]
	v_mul_f64 v[4:5], v[84:85], v[196:197]
	v_fma_f64 v[4:5], v[82:83], v[10:11], -v[4:5]
	v_add_f64 v[0:1], v[0:1], v[4:5]
	s_waitcnt vmcnt(6) lgkmcnt(0)
	v_mul_f64 v[116:117], v[110:111], v[222:223]
	s_waitcnt vmcnt(4)
	v_fmac_f64_e32 v[116:117], v[112:113], v[242:243]
	v_add_f64 v[250:251], v[114:115], v[116:117]
	ds_read_b128 v[114:117], v128 offset:1520
	v_mul_f64 v[4:5], v[88:89], v[192:193]
	v_fma_f64 v[4:5], v[86:87], v[194:195], -v[4:5]
	v_add_f64 v[0:1], v[0:1], v[4:5]
	v_mul_f64 v[4:5], v[80:81], v[208:209]
	v_fma_f64 v[4:5], v[78:79], v[232:233], -v[4:5]
	v_add_f64 v[0:1], v[0:1], v[4:5]
	;; [unrolled: 3-line block ×7, first 2 shown]
	s_waitcnt vmcnt(2) lgkmcnt(0)
	v_mul_f64 v[128:129], v[114:115], v[220:221]
	v_mul_f64 v[2:3], v[116:117], v[220:221]
	s_waitcnt vmcnt(0)
	v_fmac_f64_e32 v[128:129], v[116:117], v[246:247]
	v_add_f64 v[128:129], v[250:251], v[128:129]
	buffer_load_dword v250, off, s[0:3], 0 offset:32
	buffer_load_dword v251, off, s[0:3], 0 offset:36
	;; [unrolled: 1-line block ×4, first 2 shown]
	v_fma_f64 v[2:3], v[114:115], v[246:247], -v[2:3]
	v_add_f64 v[0:1], v[0:1], v[2:3]
	s_waitcnt vmcnt(2)
	v_add_f64 v[0:1], v[250:251], -v[0:1]
	s_waitcnt vmcnt(0)
	v_add_f64 v[2:3], v[248:249], -v[128:129]
	buffer_store_dword v1, off, s[0:3], 0 offset:36
	buffer_store_dword v0, off, s[0:3], 0 offset:32
	;; [unrolled: 1-line block ×4, first 2 shown]
	v_accvgpr_read_b32 v0, a143
	v_cmp_ne_u32_e32 vcc, 0, v0
	s_and_saveexec_b64 s[4:5], vcc
	s_cbranch_execz .LBB111_301
; %bb.300:
	buffer_load_dword v0, off, s[0:3], 0 offset:16
	buffer_load_dword v1, off, s[0:3], 0 offset:20
	;; [unrolled: 1-line block ×4, first 2 shown]
	v_mov_b32_e32 v4, 0
	v_accvgpr_read_b32 v5, a144
	buffer_store_dword v4, off, s[0:3], 0 offset:16
	buffer_store_dword v4, off, s[0:3], 0 offset:20
	;; [unrolled: 1-line block ×4, first 2 shown]
	s_waitcnt vmcnt(4)
	ds_write_b128 v5, v[0:3]
.LBB111_301:
	s_or_b64 exec, exec, s[4:5]
	s_waitcnt lgkmcnt(0)
	; wave barrier
	s_waitcnt lgkmcnt(0)
	buffer_load_dword v44, off, s[0:3], 0 offset:32
	buffer_load_dword v45, off, s[0:3], 0 offset:36
	;; [unrolled: 1-line block ×42, first 2 shown]
	v_mov_b32_e32 v20, 0
	buffer_load_dword v101, off, s[0:3], 0 offset:180
	buffer_load_dword v100, off, s[0:3], 0 offset:176
	;; [unrolled: 1-line block ×7, first 2 shown]
	ds_read_b128 v[110:113], v20 offset:784
	ds_read_b128 v[130:133], v20 offset:800
	ds_read_b128 v[134:137], v20 offset:816
	ds_read_b128 v[138:141], v20 offset:832
	ds_read_b128 v[142:145], v20 offset:848
	ds_read_b128 v[148:151], v20 offset:864
	ds_read_b128 v[152:155], v20 offset:880
	ds_read_b128 v[162:165], v20 offset:896
	ds_read_b128 v[166:169], v20 offset:912
	ds_read_b128 v[174:177], v20 offset:928
	ds_read_b128 v[52:55], v20 offset:944
	s_and_b64 vcc, exec, s[16:17]
	s_waitcnt vmcnt(45) lgkmcnt(10)
	v_mul_f64 v[0:1], v[110:111], v[46:47]
	v_fmac_f64_e32 v[0:1], v[112:113], v[44:45]
	v_add_f64 v[0:1], v[0:1], 0
	v_mul_f64 v[46:47], v[112:113], v[46:47]
	s_waitcnt vmcnt(41) lgkmcnt(9)
	v_mul_f64 v[2:3], v[130:131], v[56:57]
	v_fmac_f64_e32 v[2:3], v[132:133], v[48:49]
	v_add_f64 v[0:1], v[0:1], v[2:3]
	buffer_load_dword v94, off, s[0:3], 0 offset:216
	buffer_load_dword v115, off, s[0:3], 0 offset:212
	;; [unrolled: 1-line block ×21, first 2 shown]
	s_waitcnt vmcnt(60) lgkmcnt(8)
	v_mul_f64 v[4:5], v[134:135], v[50:51]
	s_waitcnt vmcnt(58) lgkmcnt(6)
	v_mul_f64 v[8:9], v[142:143], v[58:59]
	s_waitcnt vmcnt(56)
	v_fmac_f64_e32 v[8:9], v[144:145], v[60:61]
	v_mul_f64 v[56:57], v[132:133], v[56:57]
	s_waitcnt vmcnt(54)
	v_mul_f64 v[6:7], v[138:139], v[62:63]
	s_waitcnt vmcnt(52) lgkmcnt(4)
	v_mul_f64 v[12:13], v[152:153], v[64:65]
	s_waitcnt vmcnt(50)
	v_fmac_f64_e32 v[12:13], v[154:155], v[66:67]
	s_waitcnt vmcnt(48)
	v_mul_f64 v[10:11], v[148:149], v[68:69]
	s_waitcnt vmcnt(46) lgkmcnt(2)
	v_mul_f64 v[16:17], v[166:167], v[72:73]
	s_waitcnt vmcnt(43)
	v_mul_f64 v[14:15], v[162:163], v[76:77]
	s_waitcnt vmcnt(41) lgkmcnt(1)
	v_mul_f64 v[18:19], v[174:175], v[70:71]
	s_waitcnt vmcnt(39)
	v_fmac_f64_e32 v[4:5], v[136:137], v[86:87]
	v_add_f64 v[0:1], v[0:1], v[4:5]
	s_waitcnt vmcnt(37)
	v_fmac_f64_e32 v[6:7], v[140:141], v[84:85]
	v_add_f64 v[0:1], v[0:1], v[6:7]
	;; [unrolled: 3-line block ×3, first 2 shown]
	v_add_f64 v[0:1], v[0:1], v[10:11]
	v_add_f64 v[0:1], v[0:1], v[12:13]
	s_waitcnt vmcnt(33)
	v_fmac_f64_e32 v[14:15], v[164:165], v[78:79]
	v_add_f64 v[0:1], v[0:1], v[14:15]
	s_waitcnt vmcnt(32)
	v_fmac_f64_e32 v[16:17], v[168:169], v[74:75]
	v_add_f64 v[0:1], v[0:1], v[16:17]
	s_waitcnt vmcnt(26)
	v_fmac_f64_e32 v[18:19], v[176:177], v[100:101]
	v_add_f64 v[0:1], v[0:1], v[18:19]
	s_waitcnt vmcnt(0)
	v_pk_mov_b32 v[12:13], v[2:3], v[2:3] op_sel:[0,1]
	buffer_load_dword v3, off, s[0:3], 0 offset:324
	buffer_load_dword v2, off, s[0:3], 0 offset:320
	v_accvgpr_write_b32 a145, v13
	v_accvgpr_write_b32 a144, v12
	s_waitcnt vmcnt(0)
	v_pk_mov_b32 v[14:15], v[2:3], v[2:3] op_sel:[0,1]
	buffer_load_dword v103, off, s[0:3], 0 offset:316
	buffer_load_dword v102, off, s[0:3], 0 offset:312
	;; [unrolled: 1-line block ×6, first 2 shown]
	v_accvgpr_write_b32 a147, v15
	v_accvgpr_write_b32 a146, v14
	s_waitcnt vmcnt(0)
	v_pk_mov_b32 v[22:23], v[2:3], v[2:3] op_sel:[0,1]
	buffer_load_dword v3, off, s[0:3], 0 offset:356
	buffer_load_dword v2, off, s[0:3], 0 offset:352
	v_accvgpr_write_b32 a151, v23
	v_accvgpr_write_b32 a150, v22
	s_waitcnt vmcnt(0)
	v_pk_mov_b32 v[24:25], v[2:3], v[2:3] op_sel:[0,1]
	buffer_load_dword v3, off, s[0:3], 0 offset:348
	buffer_load_dword v2, off, s[0:3], 0 offset:344
	;; [unrolled: 6-line block ×3, first 2 shown]
	buffer_load_dword v3, off, s[0:3], 0 offset:396
	buffer_load_dword v2, off, s[0:3], 0 offset:392
	v_accvgpr_write_b32 a149, v17
	v_accvgpr_write_b32 a148, v16
	s_waitcnt vmcnt(0)
	v_pk_mov_b32 v[28:29], v[2:3], v[2:3] op_sel:[0,1]
	buffer_load_dword v3, off, s[0:3], 0 offset:388
	buffer_load_dword v2, off, s[0:3], 0 offset:384
	v_accvgpr_write_b32 a155, v29
	v_accvgpr_write_b32 a154, v28
	s_waitcnt vmcnt(0)
	v_pk_mov_b32 v[30:31], v[2:3], v[2:3] op_sel:[0,1]
	buffer_load_dword v241, off, s[0:3], 0 offset:380
	buffer_load_dword v240, off, s[0:3], 0 offset:376
	buffer_load_dword v245, off, s[0:3], 0 offset:372
	buffer_load_dword v244, off, s[0:3], 0 offset:368
	buffer_load_dword v3, off, s[0:3], 0 offset:428
	buffer_load_dword v2, off, s[0:3], 0 offset:424
	v_accvgpr_write_b32 a157, v31
	v_accvgpr_write_b32 a156, v30
	s_waitcnt vmcnt(0)
	v_pk_mov_b32 v[36:37], v[2:3], v[2:3] op_sel:[0,1]
	buffer_load_dword v3, off, s[0:3], 0 offset:420
	buffer_load_dword v2, off, s[0:3], 0 offset:416
	v_accvgpr_write_b32 a159, v37
	v_accvgpr_write_b32 a158, v36
	s_waitcnt vmcnt(0)
	v_pk_mov_b32 v[38:39], v[2:3], v[2:3] op_sel:[0,1]
	buffer_load_dword v249, off, s[0:3], 0 offset:412
	buffer_load_dword v248, off, s[0:3], 0 offset:408
	buffer_load_dword v251, off, s[0:3], 0 offset:404
	buffer_load_dword v250, off, s[0:3], 0 offset:400
	;; [unrolled: 16-line block ×3, first 2 shown]
	buffer_load_dword v3, off, s[0:3], 0 offset:492
	buffer_load_dword v2, off, s[0:3], 0 offset:488
	;; [unrolled: 1-line block ×16, first 2 shown]
	ds_read_b128 v[178:181], v20 offset:960
	ds_read_b128 v[182:185], v20 offset:976
	;; [unrolled: 1-line block ×12, first 2 shown]
	s_waitcnt lgkmcnt(5)
	v_mul_f64 v[6:7], v[202:203], v[102:103]
	v_fmac_f64_e32 v[6:7], v[204:205], v[104:105]
	s_waitcnt lgkmcnt(4)
	v_mul_f64 v[10:11], v[226:227], v[12:13]
	v_fmac_f64_e32 v[10:11], v[228:229], v[14:15]
	s_waitcnt lgkmcnt(3)
	v_mul_f64 v[14:15], v[222:223], v[16:17]
	ds_read_b128 v[116:119], v20 offset:1152
	v_fmac_f64_e32 v[14:15], v[224:225], v[236:237]
	s_waitcnt lgkmcnt(3)
	v_mul_f64 v[18:19], v[218:219], v[22:23]
	v_fmac_f64_e32 v[18:19], v[220:221], v[24:25]
	s_waitcnt lgkmcnt(2)
	v_mul_f64 v[22:23], v[214:215], v[240:241]
	;; [unrolled: 3-line block ×3, first 2 shown]
	v_fmac_f64_e32 v[26:27], v[122:123], v[30:31]
	v_accvgpr_write_b32 a165, v129
	v_accvgpr_write_b32 a164, v128
	s_waitcnt vmcnt(14)
	v_pk_mov_b32 v[146:147], v[2:3], v[2:3] op_sel:[0,1]
	v_mul_f64 v[2:3], v[52:53], v[82:83]
	v_fmac_f64_e32 v[2:3], v[54:55], v[88:89]
	v_add_f64 v[0:1], v[0:1], v[2:3]
	v_mul_f64 v[2:3], v[178:179], v[94:95]
	v_fmac_f64_e32 v[2:3], v[180:181], v[114:115]
	v_add_f64 v[0:1], v[0:1], v[2:3]
	;; [unrolled: 3-line block ×7, first 2 shown]
	v_add_f64 v[8:9], v[4:5], v[6:7]
	v_add_f64 v[12:13], v[8:9], v[10:11]
	;; [unrolled: 1-line block ×6, first 2 shown]
	ds_read_b128 v[24:27], v20 offset:1168
	s_waitcnt lgkmcnt(1)
	v_mul_f64 v[30:31], v[116:117], v[248:249]
	v_fmac_f64_e32 v[30:31], v[118:119], v[250:251]
	v_add_f64 v[32:33], v[28:29], v[30:31]
	ds_read_b128 v[28:31], v20 offset:1184
	s_waitcnt lgkmcnt(1)
	v_mul_f64 v[34:35], v[24:25], v[36:37]
	v_fmac_f64_e32 v[34:35], v[26:27], v[38:39]
	v_add_f64 v[36:37], v[32:33], v[34:35]
	;; [unrolled: 5-line block ×4, first 2 shown]
	ds_read_b128 v[40:43], v20 offset:1232
	s_waitcnt vmcnt(10) lgkmcnt(1)
	v_mul_f64 v[128:129], v[36:37], v[232:233]
	s_waitcnt vmcnt(8)
	v_fmac_f64_e32 v[128:129], v[38:39], v[234:235]
	v_fma_f64 v[16:17], v[110:111], v[44:45], -v[46:47]
	ds_read_b128 v[44:47], v20 offset:1248
	v_add_f64 v[2:3], v[126:127], v[128:129]
	buffer_load_dword v127, off, s[0:3], 0 offset:540
	buffer_load_dword v126, off, s[0:3], 0 offset:536
	;; [unrolled: 1-line block ×4, first 2 shown]
	v_fma_f64 v[110:111], v[130:131], v[48:49], -v[56:57]
	buffer_load_dword v130, off, s[0:3], 0 offset:552
	buffer_load_dword v132, off, s[0:3], 0 offset:544
	;; [unrolled: 1-line block ×4, first 2 shown]
	v_mul_f64 v[48:49], v[136:137], v[50:51]
	v_fma_f64 v[86:87], v[134:135], v[86:87], -v[48:49]
	v_mul_f64 v[48:49], v[140:141], v[62:63]
	v_fma_f64 v[84:85], v[138:139], v[84:85], -v[48:49]
	buffer_load_dword v135, off, s[0:3], 0 offset:588
	buffer_load_dword v137, off, s[0:3], 0 offset:572
	;; [unrolled: 1-line block ×8, first 2 shown]
	v_mul_f64 v[50:51], v[144:145], v[58:59]
	s_waitcnt lgkmcnt(1)
	v_mul_f64 v[48:49], v[40:41], v[146:147]
	v_pk_mov_b32 v[22:23], v[146:147], v[146:147] op_sel:[0,1]
	v_fma_f64 v[12:13], v[142:143], v[60:61], -v[50:51]
	buffer_load_dword v143, off, s[0:3], 0 offset:604
	buffer_load_dword v142, off, s[0:3], 0 offset:600
	;; [unrolled: 1-line block ×5, first 2 shown]
	v_mul_f64 v[6:7], v[150:151], v[68:69]
	buffer_load_dword v150, off, s[0:3], 0 offset:608
	buffer_load_dword v145, off, s[0:3], 0 offset:620
	;; [unrolled: 1-line block ×3, first 2 shown]
	v_mul_f64 v[50:51], v[154:155], v[64:65]
	v_fma_f64 v[8:9], v[148:149], v[80:81], -v[6:7]
	v_fma_f64 v[6:7], v[152:153], v[66:67], -v[50:51]
	buffer_load_dword v148, off, s[0:3], 0 offset:648
	buffer_load_dword v155, off, s[0:3], 0 offset:636
	;; [unrolled: 1-line block ×12, first 2 shown]
	v_mul_f64 v[10:11], v[164:165], v[76:77]
	v_mul_f64 v[50:51], v[168:169], v[72:73]
	v_fma_f64 v[10:11], v[162:163], v[78:79], -v[10:11]
	v_fma_f64 v[4:5], v[166:167], v[74:75], -v[50:51]
	buffer_load_dword v165, off, s[0:3], 0 offset:684
	buffer_load_dword v164, off, s[0:3], 0 offset:680
	;; [unrolled: 1-line block ×12, first 2 shown]
	v_fmac_f64_e32 v[48:49], v[42:43], v[238:239]
	v_add_f64 v[2:3], v[2:3], v[48:49]
	v_mul_f64 v[48:49], v[176:177], v[70:71]
	v_fma_f64 v[0:1], v[174:175], v[100:101], -v[48:49]
	buffer_load_dword v175, off, s[0:3], 0 offset:732
	buffer_load_dword v174, off, s[0:3], 0 offset:728
	;; [unrolled: 1-line block ×4, first 2 shown]
	ds_read_b128 v[48:51], v20 offset:1264
	v_mul_f64 v[18:19], v[54:55], v[82:83]
	v_fma_f64 v[18:19], v[52:53], v[88:89], -v[18:19]
	ds_read_b128 v[52:55], v20 offset:1280
	s_waitcnt vmcnt(54) lgkmcnt(2)
	v_mul_f64 v[14:15], v[44:45], v[230:231]
	s_waitcnt vmcnt(52)
	v_fmac_f64_e32 v[14:15], v[46:47], v[124:125]
	v_add_f64 v[2:3], v[2:3], v[14:15]
	s_waitcnt lgkmcnt(1)
	v_mul_f64 v[14:15], v[48:49], v[242:243]
	v_fmac_f64_e32 v[14:15], v[50:51], v[246:247]
	ds_read_b128 v[56:59], v20 offset:1296
	ds_read_b128 v[60:63], v20 offset:1312
	v_add_f64 v[2:3], v[2:3], v[14:15]
	v_mul_f64 v[64:65], v[184:185], v[90:91]
	v_mul_f64 v[72:73], v[188:189], v[206:207]
	v_fma_f64 v[186:187], v[186:187], v[208:209], -v[72:73]
	v_mul_f64 v[88:89], v[196:197], v[210:211]
	v_fma_f64 v[196:197], v[194:195], v[212:213], -v[88:89]
	;; [unrolled: 2-line block ×4, first 2 shown]
	ds_read_b128 v[96:99], v20 offset:1456
	v_add_f64 v[16:17], v[16:17], 0
	v_add_f64 v[16:17], v[16:17], v[110:111]
	;; [unrolled: 1-line block ×3, first 2 shown]
	ds_read_b128 v[72:75], v20 offset:1360
	v_add_f64 v[16:17], v[16:17], v[84:85]
	v_add_f64 v[12:13], v[16:17], v[12:13]
	;; [unrolled: 1-line block ×6, first 2 shown]
	ds_read_b128 v[208:211], v20 offset:1408
	v_add_f64 v[0:1], v[4:5], v[0:1]
	v_add_f64 v[0:1], v[0:1], v[18:19]
	v_accvgpr_read_b32 v4, a144
	v_accvgpr_read_b32 v5, a145
	;; [unrolled: 1-line block ×3, first 2 shown]
	v_mul_f64 v[4:5], v[228:229], v[4:5]
	v_accvgpr_read_b32 v7, a147
	v_fma_f64 v[4:5], v[226:227], v[6:7], -v[4:5]
	v_accvgpr_read_b32 v6, a152
	v_accvgpr_read_b32 v7, a153
	s_waitcnt vmcnt(50) lgkmcnt(5)
	v_mul_f64 v[14:15], v[52:53], v[126:127]
	s_waitcnt vmcnt(48)
	v_fmac_f64_e32 v[14:15], v[54:55], v[128:129]
	v_add_f64 v[2:3], v[2:3], v[14:15]
	v_mul_f64 v[14:15], v[180:181], v[94:95]
	v_fma_f64 v[14:15], v[178:179], v[114:115], -v[14:15]
	v_fma_f64 v[178:179], v[182:183], v[92:93], -v[64:65]
	ds_read_b128 v[64:67], v20 offset:1328
	s_waitcnt vmcnt(45) lgkmcnt(5)
	v_mul_f64 v[68:69], v[56:57], v[130:131]
	s_waitcnt vmcnt(44)
	v_fmac_f64_e32 v[68:69], v[58:59], v[132:133]
	v_add_f64 v[2:3], v[2:3], v[68:69]
	s_waitcnt vmcnt(41) lgkmcnt(4)
	v_mul_f64 v[68:69], v[60:61], v[136:137]
	s_waitcnt vmcnt(39)
	v_fmac_f64_e32 v[68:69], v[62:63], v[140:141]
	v_add_f64 v[2:3], v[2:3], v[68:69]
	;; [unrolled: 5-line block ×3, first 2 shown]
	ds_read_b128 v[68:71], v20 offset:1344
	s_waitcnt vmcnt(29)
	v_mul_f64 v[80:81], v[72:73], v[144:145]
	s_waitcnt vmcnt(28)
	v_fmac_f64_e32 v[80:81], v[74:75], v[150:151]
	ds_read_b128 v[92:95], v20 offset:1424
	v_add_f64 v[0:1], v[0:1], v[14:15]
	s_waitcnt lgkmcnt(1)
	v_mul_f64 v[76:77], v[68:69], v[142:143]
	v_fmac_f64_e32 v[76:77], v[70:71], v[146:147]
	v_add_f64 v[2:3], v[2:3], v[76:77]
	v_mul_f64 v[76:77], v[192:193], v[106:107]
	v_fma_f64 v[192:193], v[190:191], v[108:109], -v[76:77]
	ds_read_b128 v[76:79], v20 offset:1376
	v_add_f64 v[2:3], v[2:3], v[80:81]
	ds_read_b128 v[80:83], v20 offset:1392
	v_add_f64 v[0:1], v[0:1], v[178:179]
	v_add_f64 v[0:1], v[0:1], v[186:187]
	s_waitcnt vmcnt(25) lgkmcnt(1)
	v_mul_f64 v[88:89], v[76:77], v[154:155]
	s_waitcnt vmcnt(23)
	v_fmac_f64_e32 v[88:89], v[78:79], v[158:159]
	v_add_f64 v[2:3], v[2:3], v[88:89]
	s_waitcnt vmcnt(21) lgkmcnt(0)
	v_mul_f64 v[88:89], v[80:81], v[148:149]
	s_waitcnt vmcnt(20)
	v_fmac_f64_e32 v[88:89], v[82:83], v[152:153]
	v_add_f64 v[2:3], v[2:3], v[88:89]
	s_waitcnt vmcnt(18)
	v_mul_f64 v[88:89], v[208:209], v[156:157]
	s_waitcnt vmcnt(16)
	v_fmac_f64_e32 v[88:89], v[210:211], v[160:161]
	v_add_f64 v[2:3], v[2:3], v[88:89]
	ds_read_b128 v[88:91], v20 offset:1440
	s_waitcnt vmcnt(14)
	v_mul_f64 v[100:101], v[92:93], v[164:165]
	s_waitcnt vmcnt(12)
	v_fmac_f64_e32 v[100:101], v[94:95], v[166:167]
	v_add_f64 v[2:3], v[2:3], v[100:101]
	v_add_f64 v[0:1], v[0:1], v[192:193]
	s_waitcnt vmcnt(9) lgkmcnt(0)
	v_mul_f64 v[100:101], v[88:89], v[170:171]
	s_waitcnt vmcnt(7)
	v_fmac_f64_e32 v[100:101], v[90:91], v[172:173]
	v_add_f64 v[2:3], v[2:3], v[100:101]
	s_waitcnt vmcnt(5)
	v_mul_f64 v[100:101], v[96:97], v[162:163]
	s_waitcnt vmcnt(4)
	v_fmac_f64_e32 v[100:101], v[98:99], v[168:169]
	v_add_f64 v[2:3], v[2:3], v[100:101]
	ds_read_b128 v[100:103], v20 offset:1472
	v_add_f64 v[202:203], v[0:1], v[196:197]
	v_add_f64 v[0:1], v[202:203], v[198:199]
	;; [unrolled: 1-line block ×4, first 2 shown]
	s_waitcnt vmcnt(2) lgkmcnt(0)
	v_mul_f64 v[104:105], v[100:101], v[174:175]
	s_waitcnt vmcnt(0)
	v_fmac_f64_e32 v[104:105], v[102:103], v[176:177]
	v_add_f64 v[108:109], v[2:3], v[104:105]
	buffer_load_dword v2, off, s[0:3], 0 offset:744
	buffer_load_dword v3, off, s[0:3], 0 offset:748
	;; [unrolled: 1-line block ×4, first 2 shown]
	ds_read_b128 v[104:107], v20 offset:1488
	buffer_load_dword v183, off, s[0:3], 0 offset:764
	buffer_load_dword v182, off, s[0:3], 0 offset:760
	buffer_load_dword v185, off, s[0:3], 0 offset:756
	buffer_load_dword v184, off, s[0:3], 0 offset:752
	ds_read_b128 v[204:207], v20 offset:1504
	buffer_load_dword v188, off, s[0:3], 0 offset:776
	buffer_load_dword v189, off, s[0:3], 0 offset:780
	;; [unrolled: 1-line block ×4, first 2 shown]
	v_accvgpr_read_b32 v4, a148
	v_accvgpr_read_b32 v5, a149
	v_mul_f64 v[4:5], v[224:225], v[4:5]
	v_fma_f64 v[4:5], v[222:223], v[236:237], -v[4:5]
	v_add_f64 v[0:1], v[0:1], v[4:5]
	v_accvgpr_read_b32 v4, a150
	v_accvgpr_read_b32 v5, a151
	v_mul_f64 v[4:5], v[220:221], v[4:5]
	v_fma_f64 v[4:5], v[218:219], v[6:7], -v[4:5]
	v_add_f64 v[0:1], v[0:1], v[4:5]
	v_mul_f64 v[4:5], v[216:217], v[240:241]
	v_fma_f64 v[4:5], v[214:215], v[244:245], -v[4:5]
	v_add_f64 v[0:1], v[0:1], v[4:5]
	v_accvgpr_read_b32 v4, a154
	v_accvgpr_read_b32 v5, a155
	v_accvgpr_read_b32 v6, a156
	v_mul_f64 v[4:5], v[122:123], v[4:5]
	v_accvgpr_read_b32 v7, a157
	v_fma_f64 v[4:5], v[120:121], v[6:7], -v[4:5]
	v_add_f64 v[0:1], v[0:1], v[4:5]
	v_mul_f64 v[4:5], v[118:119], v[248:249]
	v_fma_f64 v[4:5], v[116:117], v[250:251], -v[4:5]
	v_add_f64 v[0:1], v[0:1], v[4:5]
	v_accvgpr_read_b32 v4, a158
	v_accvgpr_read_b32 v5, a159
	v_accvgpr_read_b32 v6, a160
	v_mul_f64 v[4:5], v[26:27], v[4:5]
	v_accvgpr_read_b32 v7, a161
	;; [unrolled: 10-line block ×3, first 2 shown]
	v_fma_f64 v[4:5], v[32:33], v[6:7], -v[4:5]
	v_add_f64 v[0:1], v[0:1], v[4:5]
	v_mul_f64 v[4:5], v[38:39], v[232:233]
	v_fma_f64 v[4:5], v[36:37], v[234:235], -v[4:5]
	v_add_f64 v[0:1], v[0:1], v[4:5]
	v_mul_f64 v[4:5], v[42:43], v[22:23]
	;; [unrolled: 3-line block ×11, first 2 shown]
	v_fma_f64 v[4:5], v[76:77], v[158:159], -v[4:5]
	v_add_f64 v[0:1], v[0:1], v[4:5]
	s_waitcnt vmcnt(10) lgkmcnt(1)
	v_mul_f64 v[112:113], v[104:105], v[2:3]
	v_mul_f64 v[4:5], v[82:83], v[148:149]
	s_waitcnt vmcnt(8)
	v_fmac_f64_e32 v[112:113], v[106:107], v[180:181]
	v_add_f64 v[108:109], v[108:109], v[112:113]
	s_waitcnt vmcnt(6) lgkmcnt(0)
	v_mul_f64 v[112:113], v[204:205], v[182:183]
	s_waitcnt vmcnt(4)
	v_fmac_f64_e32 v[112:113], v[206:207], v[184:185]
	v_add_f64 v[108:109], v[108:109], v[112:113]
	ds_read_b128 v[112:115], v20 offset:1520
	v_fma_f64 v[4:5], v[80:81], v[152:153], -v[4:5]
	v_add_f64 v[0:1], v[0:1], v[4:5]
	v_mul_f64 v[4:5], v[210:211], v[156:157]
	v_fma_f64 v[4:5], v[208:209], v[160:161], -v[4:5]
	s_waitcnt vmcnt(2) lgkmcnt(0)
	v_mul_f64 v[194:195], v[112:113], v[188:189]
	s_waitcnt vmcnt(0)
	v_fmac_f64_e32 v[194:195], v[114:115], v[190:191]
	v_add_f64 v[108:109], v[108:109], v[194:195]
	buffer_load_dword v194, off, s[0:3], 0 offset:16
	buffer_load_dword v195, off, s[0:3], 0 offset:20
	;; [unrolled: 1-line block ×4, first 2 shown]
	v_add_f64 v[0:1], v[0:1], v[4:5]
	v_mul_f64 v[4:5], v[94:95], v[164:165]
	v_fma_f64 v[4:5], v[92:93], v[166:167], -v[4:5]
	v_add_f64 v[0:1], v[0:1], v[4:5]
	v_mul_f64 v[4:5], v[90:91], v[170:171]
	v_fma_f64 v[4:5], v[88:89], v[172:173], -v[4:5]
	;; [unrolled: 3-line block ×4, first 2 shown]
	v_mul_f64 v[2:3], v[106:107], v[2:3]
	v_add_f64 v[0:1], v[0:1], v[4:5]
	v_fma_f64 v[2:3], v[104:105], v[180:181], -v[2:3]
	v_add_f64 v[0:1], v[0:1], v[2:3]
	v_mul_f64 v[2:3], v[206:207], v[182:183]
	v_fma_f64 v[2:3], v[204:205], v[184:185], -v[2:3]
	v_add_f64 v[0:1], v[0:1], v[2:3]
	v_mul_f64 v[2:3], v[114:115], v[188:189]
	v_fma_f64 v[2:3], v[112:113], v[190:191], -v[2:3]
	v_add_f64 v[0:1], v[0:1], v[2:3]
	s_waitcnt vmcnt(2)
	v_add_f64 v[0:1], v[194:195], -v[0:1]
	s_waitcnt vmcnt(0)
	v_add_f64 v[2:3], v[192:193], -v[108:109]
	buffer_store_dword v1, off, s[0:3], 0 offset:20
	buffer_store_dword v0, off, s[0:3], 0 offset:16
	;; [unrolled: 1-line block ×4, first 2 shown]
	s_cbranch_vccz .LBB111_397
; %bb.302:
	v_pk_mov_b32 v[0:1], s[10:11], s[10:11] op_sel:[0,1]
	flat_load_dword v0, v[0:1] offset:184
	s_waitcnt vmcnt(0) lgkmcnt(0)
	v_add_u32_e32 v0, -1, v0
	v_cmp_ne_u32_e32 vcc, 46, v0
	s_and_saveexec_b64 s[4:5], vcc
	s_cbranch_execz .LBB111_304
; %bb.303:
	v_mov_b32_e32 v1, 16
	v_accvgpr_read_b32 v9, a97
	v_lshl_add_u32 v0, v0, 4, v1
	buffer_load_dword v1, v9, s[0:3], 0 offen offset:4
	buffer_load_dword v2, v9, s[0:3], 0 offen offset:8
	buffer_load_dword v3, v9, s[0:3], 0 offen offset:12
	buffer_load_dword v4, v0, s[0:3], 0 offen
	buffer_load_dword v5, v0, s[0:3], 0 offen offset:4
	buffer_load_dword v6, v0, s[0:3], 0 offen offset:8
	buffer_load_dword v7, v0, s[0:3], 0 offen offset:12
	buffer_load_dword v8, v9, s[0:3], 0 offen
	s_waitcnt vmcnt(4)
	buffer_store_dword v4, v9, s[0:3], 0 offen
	s_waitcnt vmcnt(4)
	buffer_store_dword v5, v9, s[0:3], 0 offen offset:4
	s_waitcnt vmcnt(4)
	buffer_store_dword v6, v9, s[0:3], 0 offen offset:8
	s_waitcnt vmcnt(4)
	buffer_store_dword v7, v9, s[0:3], 0 offen offset:12
	buffer_store_dword v3, v0, s[0:3], 0 offen offset:12
	buffer_store_dword v2, v0, s[0:3], 0 offen offset:8
	buffer_store_dword v1, v0, s[0:3], 0 offen offset:4
	s_waitcnt vmcnt(7)
	buffer_store_dword v8, v0, s[0:3], 0 offen
.LBB111_304:
	s_or_b64 exec, exec, s[4:5]
	v_pk_mov_b32 v[0:1], s[10:11], s[10:11] op_sel:[0,1]
	flat_load_dword v0, v[0:1] offset:180
	s_waitcnt vmcnt(0) lgkmcnt(0)
	v_add_u32_e32 v0, -1, v0
	v_cmp_ne_u32_e32 vcc, 45, v0
	s_and_saveexec_b64 s[4:5], vcc
	s_cbranch_execz .LBB111_306
; %bb.305:
	v_mov_b32_e32 v1, 16
	v_accvgpr_read_b32 v9, a98
	v_lshl_add_u32 v0, v0, 4, v1
	buffer_load_dword v1, v9, s[0:3], 0 offen offset:4
	buffer_load_dword v2, v9, s[0:3], 0 offen offset:8
	buffer_load_dword v3, v9, s[0:3], 0 offen offset:12
	buffer_load_dword v4, v0, s[0:3], 0 offen
	buffer_load_dword v5, v0, s[0:3], 0 offen offset:4
	buffer_load_dword v6, v0, s[0:3], 0 offen offset:8
	buffer_load_dword v7, v0, s[0:3], 0 offen offset:12
	buffer_load_dword v8, v9, s[0:3], 0 offen
	s_waitcnt vmcnt(4)
	buffer_store_dword v4, v9, s[0:3], 0 offen
	s_waitcnt vmcnt(4)
	buffer_store_dword v5, v9, s[0:3], 0 offen offset:4
	s_waitcnt vmcnt(4)
	buffer_store_dword v6, v9, s[0:3], 0 offen offset:8
	s_waitcnt vmcnt(4)
	buffer_store_dword v7, v9, s[0:3], 0 offen offset:12
	buffer_store_dword v3, v0, s[0:3], 0 offen offset:12
	buffer_store_dword v2, v0, s[0:3], 0 offen offset:8
	buffer_store_dword v1, v0, s[0:3], 0 offen offset:4
	s_waitcnt vmcnt(7)
	buffer_store_dword v8, v0, s[0:3], 0 offen
.LBB111_306:
	s_or_b64 exec, exec, s[4:5]
	;; [unrolled: 34-line block ×46, first 2 shown]
	v_pk_mov_b32 v[0:1], s[10:11], s[10:11] op_sel:[0,1]
	flat_load_dword v0, v[0:1]
	s_waitcnt vmcnt(0) lgkmcnt(0)
	v_add_u32_e32 v0, -1, v0
	v_cmp_ne_u32_e32 vcc, 0, v0
	s_and_saveexec_b64 s[4:5], vcc
	s_cbranch_execz .LBB111_396
; %bb.395:
	v_mov_b32_e32 v1, 16
	v_lshl_add_u32 v0, v0, 4, v1
	buffer_load_dword v1, v0, s[0:3], 0 offen
	buffer_load_dword v2, v0, s[0:3], 0 offen offset:4
	buffer_load_dword v3, v0, s[0:3], 0 offen offset:8
	;; [unrolled: 1-line block ×3, first 2 shown]
	buffer_load_dword v5, off, s[0:3], 0 offset:28
	buffer_load_dword v6, off, s[0:3], 0 offset:24
	;; [unrolled: 1-line block ×4, first 2 shown]
	s_waitcnt vmcnt(7)
	buffer_store_dword v1, off, s[0:3], 0 offset:16
	s_waitcnt vmcnt(7)
	buffer_store_dword v2, off, s[0:3], 0 offset:20
	;; [unrolled: 2-line block ×4, first 2 shown]
	s_waitcnt vmcnt(7)
	buffer_store_dword v5, v0, s[0:3], 0 offen offset:12
	s_waitcnt vmcnt(7)
	buffer_store_dword v6, v0, s[0:3], 0 offen offset:8
	;; [unrolled: 2-line block ×3, first 2 shown]
	s_waitcnt vmcnt(7)
	buffer_store_dword v8, v0, s[0:3], 0 offen
.LBB111_396:
	s_or_b64 exec, exec, s[4:5]
.LBB111_397:
	buffer_load_dword v0, off, s[0:3], 0 offset:16
	buffer_load_dword v1, off, s[0:3], 0 offset:20
	;; [unrolled: 1-line block ×4, first 2 shown]
	v_accvgpr_read_b32 v4, a78
	v_accvgpr_read_b32 v5, a79
	s_waitcnt vmcnt(0)
	global_store_dwordx4 v[4:5], v[0:3], off
	s_nop 0
	v_accvgpr_read_b32 v3, a142
	buffer_load_dword v0, v3, s[0:3], 0 offen
	buffer_load_dword v1, v3, s[0:3], 0 offen offset:4
	buffer_load_dword v2, v3, s[0:3], 0 offen offset:8
	s_nop 0
	buffer_load_dword v3, v3, s[0:3], 0 offen offset:12
	v_accvgpr_read_b32 v4, a72
	v_accvgpr_read_b32 v5, a73
	s_waitcnt vmcnt(0)
	global_store_dwordx4 v[4:5], v[0:3], off
	s_nop 0
	v_accvgpr_read_b32 v3, a141
	buffer_load_dword v0, v3, s[0:3], 0 offen
	buffer_load_dword v1, v3, s[0:3], 0 offen offset:4
	buffer_load_dword v2, v3, s[0:3], 0 offen offset:8
	s_nop 0
	buffer_load_dword v3, v3, s[0:3], 0 offen offset:12
	;; [unrolled: 11-line block ×6, first 2 shown]
	v_accvgpr_read_b32 v4, a38
	v_accvgpr_read_b32 v5, a39
	s_waitcnt vmcnt(0)
	global_store_dwordx4 v[4:5], v[0:3], off
	v_accvgpr_read_b32 v4, a136
	buffer_load_dword v0, v4, s[0:3], 0 offen
	buffer_load_dword v1, v4, s[0:3], 0 offen offset:4
	buffer_load_dword v2, v4, s[0:3], 0 offen offset:8
	buffer_load_dword v3, v4, s[0:3], 0 offen offset:12
	v_accvgpr_read_b32 v4, a94
	v_accvgpr_read_b32 v5, a95
	s_waitcnt vmcnt(0)
	global_store_dwordx4 v[4:5], v[0:3], off
	v_accvgpr_read_b32 v4, a135
	buffer_load_dword v0, v4, s[0:3], 0 offen
	buffer_load_dword v1, v4, s[0:3], 0 offen offset:4
	buffer_load_dword v2, v4, s[0:3], 0 offen offset:8
	buffer_load_dword v3, v4, s[0:3], 0 offen offset:12
	;; [unrolled: 9-line block ×41, first 2 shown]
	v_accvgpr_read_b32 v5, a1
	v_accvgpr_read_b32 v4, a0
	s_waitcnt vmcnt(0)
	global_store_dwordx4 v[4:5], v[0:3], off
	s_endpgm
	.section	.rodata,"a",@progbits
	.p2align	6, 0x0
	.amdhsa_kernel _ZN9rocsolver6v33100L18getri_kernel_smallILi48E19rocblas_complex_numIdEPKPS3_EEvT1_iilPiilS8_bb
		.amdhsa_group_segment_fixed_size 1544
		.amdhsa_private_segment_fixed_size 800
		.amdhsa_kernarg_size 60
		.amdhsa_user_sgpr_count 8
		.amdhsa_user_sgpr_private_segment_buffer 1
		.amdhsa_user_sgpr_dispatch_ptr 0
		.amdhsa_user_sgpr_queue_ptr 0
		.amdhsa_user_sgpr_kernarg_segment_ptr 1
		.amdhsa_user_sgpr_dispatch_id 0
		.amdhsa_user_sgpr_flat_scratch_init 1
		.amdhsa_user_sgpr_kernarg_preload_length 0
		.amdhsa_user_sgpr_kernarg_preload_offset 0
		.amdhsa_user_sgpr_private_segment_size 0
		.amdhsa_uses_dynamic_stack 0
		.amdhsa_system_sgpr_private_segment_wavefront_offset 1
		.amdhsa_system_sgpr_workgroup_id_x 1
		.amdhsa_system_sgpr_workgroup_id_y 0
		.amdhsa_system_sgpr_workgroup_id_z 0
		.amdhsa_system_sgpr_workgroup_info 0
		.amdhsa_system_vgpr_workitem_id 0
		.amdhsa_next_free_vgpr 422
		.amdhsa_next_free_sgpr 22
		.amdhsa_accum_offset 256
		.amdhsa_reserve_vcc 1
		.amdhsa_reserve_flat_scratch 1
		.amdhsa_float_round_mode_32 0
		.amdhsa_float_round_mode_16_64 0
		.amdhsa_float_denorm_mode_32 3
		.amdhsa_float_denorm_mode_16_64 3
		.amdhsa_dx10_clamp 1
		.amdhsa_ieee_mode 1
		.amdhsa_fp16_overflow 0
		.amdhsa_tg_split 0
		.amdhsa_exception_fp_ieee_invalid_op 0
		.amdhsa_exception_fp_denorm_src 0
		.amdhsa_exception_fp_ieee_div_zero 0
		.amdhsa_exception_fp_ieee_overflow 0
		.amdhsa_exception_fp_ieee_underflow 0
		.amdhsa_exception_fp_ieee_inexact 0
		.amdhsa_exception_int_div_zero 0
	.end_amdhsa_kernel
	.section	.text._ZN9rocsolver6v33100L18getri_kernel_smallILi48E19rocblas_complex_numIdEPKPS3_EEvT1_iilPiilS8_bb,"axG",@progbits,_ZN9rocsolver6v33100L18getri_kernel_smallILi48E19rocblas_complex_numIdEPKPS3_EEvT1_iilPiilS8_bb,comdat
.Lfunc_end111:
	.size	_ZN9rocsolver6v33100L18getri_kernel_smallILi48E19rocblas_complex_numIdEPKPS3_EEvT1_iilPiilS8_bb, .Lfunc_end111-_ZN9rocsolver6v33100L18getri_kernel_smallILi48E19rocblas_complex_numIdEPKPS3_EEvT1_iilPiilS8_bb
                                        ; -- End function
	.section	.AMDGPU.csdata,"",@progbits
; Kernel info:
; codeLenInByte = 146916
; NumSgprs: 28
; NumVgprs: 256
; NumAgprs: 166
; TotalNumVgprs: 422
; ScratchSize: 800
; MemoryBound: 0
; FloatMode: 240
; IeeeMode: 1
; LDSByteSize: 1544 bytes/workgroup (compile time only)
; SGPRBlocks: 3
; VGPRBlocks: 52
; NumSGPRsForWavesPerEU: 28
; NumVGPRsForWavesPerEU: 422
; AccumOffset: 256
; Occupancy: 1
; WaveLimiterHint : 1
; COMPUTE_PGM_RSRC2:SCRATCH_EN: 1
; COMPUTE_PGM_RSRC2:USER_SGPR: 8
; COMPUTE_PGM_RSRC2:TRAP_HANDLER: 0
; COMPUTE_PGM_RSRC2:TGID_X_EN: 1
; COMPUTE_PGM_RSRC2:TGID_Y_EN: 0
; COMPUTE_PGM_RSRC2:TGID_Z_EN: 0
; COMPUTE_PGM_RSRC2:TIDIG_COMP_CNT: 0
; COMPUTE_PGM_RSRC3_GFX90A:ACCUM_OFFSET: 63
; COMPUTE_PGM_RSRC3_GFX90A:TG_SPLIT: 0
	.section	.text._ZN9rocsolver6v33100L18getri_kernel_smallILi49E19rocblas_complex_numIdEPKPS3_EEvT1_iilPiilS8_bb,"axG",@progbits,_ZN9rocsolver6v33100L18getri_kernel_smallILi49E19rocblas_complex_numIdEPKPS3_EEvT1_iilPiilS8_bb,comdat
	.globl	_ZN9rocsolver6v33100L18getri_kernel_smallILi49E19rocblas_complex_numIdEPKPS3_EEvT1_iilPiilS8_bb ; -- Begin function _ZN9rocsolver6v33100L18getri_kernel_smallILi49E19rocblas_complex_numIdEPKPS3_EEvT1_iilPiilS8_bb
	.p2align	8
	.type	_ZN9rocsolver6v33100L18getri_kernel_smallILi49E19rocblas_complex_numIdEPKPS3_EEvT1_iilPiilS8_bb,@function
_ZN9rocsolver6v33100L18getri_kernel_smallILi49E19rocblas_complex_numIdEPKPS3_EEvT1_iilPiilS8_bb: ; @_ZN9rocsolver6v33100L18getri_kernel_smallILi49E19rocblas_complex_numIdEPKPS3_EEvT1_iilPiilS8_bb
; %bb.0:
	s_add_u32 flat_scratch_lo, s6, s9
	s_addc_u32 flat_scratch_hi, s7, 0
	s_add_u32 s0, s0, s9
	v_mov_b32_e32 v254, v0
	s_addc_u32 s1, s1, 0
	v_cmp_gt_u32_e32 vcc, 49, v254
	s_and_saveexec_b64 s[6:7], vcc
	s_cbranch_execz .LBB112_210
; %bb.1:
	s_load_dword s18, s[4:5], 0x38
	s_load_dwordx2 s[6:7], s[4:5], 0x0
	s_load_dwordx4 s[12:15], s[4:5], 0x28
	s_waitcnt lgkmcnt(0)
	s_bitcmp1_b32 s18, 8
	s_cselect_b64 s[16:17], -1, 0
	s_ashr_i32 s9, s8, 31
	s_lshl_b64 s[10:11], s[8:9], 3
	s_add_u32 s6, s6, s10
	s_addc_u32 s7, s7, s11
	s_load_dwordx2 s[6:7], s[6:7], 0x0
	s_bfe_u32 s10, s18, 0x10008
	s_cmp_eq_u32 s10, 0
                                        ; implicit-def: $sgpr10_sgpr11
	s_cbranch_scc1 .LBB112_3
; %bb.2:
	s_load_dword s10, s[4:5], 0x20
	s_load_dwordx2 s[20:21], s[4:5], 0x18
	s_mul_i32 s11, s8, s13
	s_mul_hi_u32 s13, s8, s12
	s_add_i32 s13, s13, s11
	s_mul_i32 s19, s9, s12
	s_add_i32 s13, s13, s19
	s_mul_i32 s12, s8, s12
	s_waitcnt lgkmcnt(0)
	s_ashr_i32 s11, s10, 31
	s_lshl_b64 s[12:13], s[12:13], 2
	s_add_u32 s12, s20, s12
	s_addc_u32 s13, s21, s13
	s_lshl_b64 s[10:11], s[10:11], 2
	s_add_u32 s10, s12, s10
	s_addc_u32 s11, s13, s11
.LBB112_3:
	s_load_dwordx2 s[4:5], s[4:5], 0x8
	v_lshlrev_b32_e32 v1, 4, v254
	s_waitcnt lgkmcnt(0)
	s_ashr_i32 s13, s4, 31
	s_mov_b32 s12, s4
	s_lshl_b64 s[12:13], s[12:13], 4
	s_add_u32 s6, s6, s12
	s_addc_u32 s7, s7, s13
	v_mov_b32_e32 v0, s7
	v_add_co_u32_e32 v6, vcc, s6, v1
	global_load_dwordx4 v[2:5], v1, s[6:7]
	s_ashr_i32 s13, s5, 31
	s_mov_b32 s12, s5
	v_addc_co_u32_e32 v7, vcc, 0, v0, vcc
	s_lshl_b64 s[12:13], s[12:13], 4
	v_accvgpr_write_b32 a0, v6
	s_add_i32 s4, s5, s5
	v_mov_b32_e32 v0, s13
	v_add_co_u32_e32 v10, vcc, s12, v6
	v_accvgpr_write_b32 a1, v7
	v_add_u32_e32 v6, s4, v254
	v_addc_co_u32_e32 v11, vcc, v7, v0, vcc
	v_ashrrev_i32_e32 v7, 31, v6
	v_accvgpr_write_b32 a2, v10
	v_lshlrev_b64 v[8:9], 4, v[6:7]
	v_accvgpr_write_b32 a3, v11
	global_load_dwordx4 v[10:13], v[10:11], off
	v_mov_b32_e32 v0, s7
	v_add_co_u32_e32 v8, vcc, s6, v8
	v_add_u32_e32 v6, s5, v6
	v_addc_co_u32_e32 v9, vcc, v0, v9, vcc
	v_accvgpr_write_b32 a4, v8
	v_ashrrev_i32_e32 v7, 31, v6
	v_accvgpr_write_b32 a5, v9
	global_load_dwordx4 v[14:17], v[8:9], off
	v_lshlrev_b64 v[8:9], 4, v[6:7]
	v_add_co_u32_e32 v8, vcc, s6, v8
	v_add_u32_e32 v6, s5, v6
	v_addc_co_u32_e32 v9, vcc, v0, v9, vcc
	v_accvgpr_write_b32 a6, v8
	v_ashrrev_i32_e32 v7, 31, v6
	v_accvgpr_write_b32 a7, v9
	global_load_dwordx4 v[18:21], v[8:9], off
	v_add_u32_e32 v8, s5, v6
	v_lshlrev_b64 v[6:7], 4, v[6:7]
	v_add_co_u32_e32 v22, vcc, s6, v6
	v_addc_co_u32_e32 v23, vcc, v0, v7, vcc
	v_accvgpr_write_b32 a12, v22
	v_ashrrev_i32_e32 v9, 31, v8
	v_accvgpr_write_b32 a13, v23
	global_load_dwordx4 v[22:25], v[22:23], off
	v_lshlrev_b64 v[6:7], 4, v[8:9]
	v_mov_b32_e32 v26, s7
	v_add_co_u32_e32 v6, vcc, s6, v6
	v_add_u32_e32 v30, s5, v8
	v_addc_co_u32_e32 v7, vcc, v26, v7, vcc
	v_ashrrev_i32_e32 v31, 31, v30
	v_accvgpr_write_b32 a11, v7
	global_load_dwordx4 v[26:29], v[6:7], off
	v_accvgpr_write_b32 a10, v6
	v_lshlrev_b64 v[6:7], 4, v[30:31]
	v_mov_b32_e32 v32, s7
	v_add_u32_e32 v8, s5, v30
	v_add_co_u32_e32 v30, vcc, s6, v6
	v_addc_co_u32_e32 v31, vcc, v32, v7, vcc
	v_accvgpr_write_b32 a14, v30
	v_ashrrev_i32_e32 v9, 31, v8
	v_accvgpr_write_b32 a15, v31
	global_load_dwordx4 v[30:33], v[30:31], off
	v_lshlrev_b64 v[6:7], 4, v[8:9]
	v_mov_b32_e32 v34, s7
	v_add_u32_e32 v38, s5, v8
	v_add_co_u32_e32 v8, vcc, s6, v6
	v_ashrrev_i32_e32 v39, 31, v38
	v_addc_co_u32_e32 v9, vcc, v34, v7, vcc
	global_load_dwordx4 v[34:37], v[8:9], off
	v_lshlrev_b64 v[6:7], 4, v[38:39]
	v_add_co_u32_e32 v6, vcc, s6, v6
	v_addc_co_u32_e32 v7, vcc, v0, v7, vcc
	v_accvgpr_write_b32 a8, v8
	v_accvgpr_write_b32 a17, v7
	;; [unrolled: 1-line block ×4, first 2 shown]
	global_load_dwordx4 v[6:9], v[6:7], off
	s_waitcnt vmcnt(8)
	buffer_store_dword v5, off, s[0:3], 0 offset:28
	buffer_store_dword v4, off, s[0:3], 0 offset:24
	buffer_store_dword v3, off, s[0:3], 0 offset:20
	buffer_store_dword v2, off, s[0:3], 0 offset:16
	s_waitcnt vmcnt(11)
	buffer_store_dword v13, off, s[0:3], 0 offset:44
	buffer_store_dword v12, off, s[0:3], 0 offset:40
	buffer_store_dword v11, off, s[0:3], 0 offset:36
	buffer_store_dword v10, off, s[0:3], 0 offset:32
	;; [unrolled: 5-line block ×4, first 2 shown]
	v_add_u32_e32 v2, s5, v38
	v_ashrrev_i32_e32 v3, 31, v2
	v_lshlrev_b64 v[4:5], 4, v[2:3]
	v_add_co_u32_e32 v10, vcc, s6, v4
	v_addc_co_u32_e32 v11, vcc, v0, v5, vcc
	v_add_u32_e32 v2, s5, v2
	v_ashrrev_i32_e32 v3, 31, v2
	v_accvgpr_write_b32 a19, v11
	v_lshlrev_b64 v[4:5], 4, v[2:3]
	v_accvgpr_write_b32 a18, v10
	global_load_dwordx4 v[10:13], v[10:11], off
	v_add_co_u32_e32 v4, vcc, s6, v4
	v_addc_co_u32_e32 v5, vcc, v0, v5, vcc
	global_load_dwordx4 v[14:17], v[4:5], off
	v_add_u32_e32 v2, s5, v2
	v_accvgpr_write_b32 a21, v5
	v_ashrrev_i32_e32 v3, 31, v2
	v_accvgpr_write_b32 a20, v4
	v_lshlrev_b64 v[4:5], 4, v[2:3]
	v_add_co_u32_e32 v18, vcc, s6, v4
	v_addc_co_u32_e32 v19, vcc, v0, v5, vcc
	s_waitcnt vmcnt(22)
	buffer_store_dword v25, off, s[0:3], 0 offset:92
	buffer_store_dword v24, off, s[0:3], 0 offset:88
	;; [unrolled: 1-line block ×4, first 2 shown]
	s_waitcnt vmcnt(25)
	buffer_store_dword v29, off, s[0:3], 0 offset:108
	buffer_store_dword v28, off, s[0:3], 0 offset:104
	;; [unrolled: 1-line block ×4, first 2 shown]
	v_add_u32_e32 v2, s5, v2
	v_accvgpr_write_b32 a23, v19
	v_ashrrev_i32_e32 v3, 31, v2
	v_accvgpr_write_b32 a22, v18
	global_load_dwordx4 v[18:21], v[18:19], off
	v_lshlrev_b64 v[4:5], 4, v[2:3]
	v_add_co_u32_e32 v4, vcc, s6, v4
	v_addc_co_u32_e32 v5, vcc, v0, v5, vcc
	global_load_dwordx4 v[22:25], v[4:5], off
	v_add_u32_e32 v2, s5, v2
	v_accvgpr_write_b32 a25, v5
	v_ashrrev_i32_e32 v3, 31, v2
	v_accvgpr_write_b32 a24, v4
	v_lshlrev_b64 v[4:5], 4, v[2:3]
	v_add_co_u32_e32 v26, vcc, s6, v4
	s_waitcnt vmcnt(30)
	buffer_store_dword v33, off, s[0:3], 0 offset:124
	buffer_store_dword v32, off, s[0:3], 0 offset:120
	;; [unrolled: 1-line block ×4, first 2 shown]
	s_waitcnt vmcnt(33)
	buffer_store_dword v37, off, s[0:3], 0 offset:140
	buffer_store_dword v36, off, s[0:3], 0 offset:136
	;; [unrolled: 1-line block ×4, first 2 shown]
	s_waitcnt vmcnt(36)
	buffer_store_dword v9, off, s[0:3], 0 offset:156
	v_addc_co_u32_e32 v27, vcc, v0, v5, vcc
	v_add_u32_e32 v2, s5, v2
	v_accvgpr_write_b32 a26, v26
	v_ashrrev_i32_e32 v3, 31, v2
	v_accvgpr_write_b32 a27, v27
	global_load_dwordx4 v[26:29], v[26:27], off
	v_lshlrev_b64 v[4:5], 4, v[2:3]
	v_add_co_u32_e32 v4, vcc, s6, v4
	v_addc_co_u32_e32 v5, vcc, v0, v5, vcc
	v_add_u32_e32 v2, s5, v2
	v_accvgpr_write_b32 a29, v5
	global_load_dwordx4 v[30:33], v[4:5], off
	v_ashrrev_i32_e32 v3, 31, v2
	v_accvgpr_write_b32 a28, v4
	v_lshlrev_b64 v[4:5], 4, v[2:3]
	v_add_co_u32_e32 v34, vcc, s6, v4
	v_addc_co_u32_e32 v35, vcc, v0, v5, vcc
	v_add_u32_e32 v2, s5, v2
	v_accvgpr_write_b32 a30, v34
	v_ashrrev_i32_e32 v3, 31, v2
	v_accvgpr_write_b32 a31, v35
	global_load_dwordx4 v[34:37], v[34:35], off
	v_lshlrev_b64 v[4:5], 4, v[2:3]
	v_add_co_u32_e32 v4, vcc, s6, v4
	v_addc_co_u32_e32 v5, vcc, v0, v5, vcc
	global_load_dwordx4 v[38:41], v[4:5], off
	v_add_u32_e32 v2, s5, v2
	v_accvgpr_write_b32 a33, v5
	v_ashrrev_i32_e32 v3, 31, v2
	v_accvgpr_write_b32 a32, v4
	v_lshlrev_b64 v[4:5], 4, v[2:3]
	v_add_co_u32_e32 v42, vcc, s6, v4
	v_addc_co_u32_e32 v43, vcc, v0, v5, vcc
	v_add_u32_e32 v2, s5, v2
	v_accvgpr_write_b32 a34, v42
	v_ashrrev_i32_e32 v3, 31, v2
	v_accvgpr_write_b32 a35, v43
	global_load_dwordx4 v[42:45], v[42:43], off
	v_lshlrev_b64 v[4:5], 4, v[2:3]
	v_add_co_u32_e32 v4, vcc, s6, v4
	v_addc_co_u32_e32 v5, vcc, v0, v5, vcc
	global_load_dwordx4 v[46:49], v[4:5], off
	v_add_u32_e32 v2, s5, v2
	v_accvgpr_write_b32 a37, v5
	v_ashrrev_i32_e32 v3, 31, v2
	v_accvgpr_write_b32 a36, v4
	v_lshlrev_b64 v[4:5], 4, v[2:3]
	v_add_co_u32_e32 v50, vcc, s6, v4
	v_addc_co_u32_e32 v51, vcc, v0, v5, vcc
	v_add_u32_e32 v2, s5, v2
	v_accvgpr_write_b32 a38, v50
	v_ashrrev_i32_e32 v3, 31, v2
	v_accvgpr_write_b32 a39, v51
	global_load_dwordx4 v[50:53], v[50:51], off
	v_lshlrev_b64 v[4:5], 4, v[2:3]
	v_add_co_u32_e32 v4, vcc, s6, v4
	v_addc_co_u32_e32 v5, vcc, v0, v5, vcc
	global_load_dwordx4 v[54:57], v[4:5], off
	v_add_u32_e32 v2, s5, v2
	v_accvgpr_write_b32 a41, v5
	v_ashrrev_i32_e32 v3, 31, v2
	v_accvgpr_write_b32 a40, v4
	v_lshlrev_b64 v[4:5], 4, v[2:3]
	v_add_co_u32_e32 v58, vcc, s6, v4
	v_addc_co_u32_e32 v59, vcc, v0, v5, vcc
	v_add_u32_e32 v2, s5, v2
	v_accvgpr_write_b32 a42, v58
	v_ashrrev_i32_e32 v3, 31, v2
	v_accvgpr_write_b32 a43, v59
	global_load_dwordx4 v[58:61], v[58:59], off
	v_lshlrev_b64 v[4:5], 4, v[2:3]
	v_add_co_u32_e32 v4, vcc, s6, v4
	v_addc_co_u32_e32 v5, vcc, v0, v5, vcc
	global_load_dwordx4 v[62:65], v[4:5], off
	v_add_u32_e32 v2, s5, v2
	v_accvgpr_write_b32 a45, v5
	v_ashrrev_i32_e32 v3, 31, v2
	v_accvgpr_write_b32 a44, v4
	v_lshlrev_b64 v[4:5], 4, v[2:3]
	v_add_co_u32_e32 v66, vcc, s6, v4
	v_addc_co_u32_e32 v67, vcc, v0, v5, vcc
	v_add_u32_e32 v2, s5, v2
	v_accvgpr_write_b32 a46, v66
	v_ashrrev_i32_e32 v3, 31, v2
	v_accvgpr_write_b32 a47, v67
	global_load_dwordx4 v[66:69], v[66:67], off
	v_lshlrev_b64 v[4:5], 4, v[2:3]
	v_add_co_u32_e32 v4, vcc, s6, v4
	v_addc_co_u32_e32 v5, vcc, v0, v5, vcc
	global_load_dwordx4 v[70:73], v[4:5], off
	v_add_u32_e32 v2, s5, v2
	v_accvgpr_write_b32 a49, v5
	v_ashrrev_i32_e32 v3, 31, v2
	v_accvgpr_write_b32 a48, v4
	v_lshlrev_b64 v[4:5], 4, v[2:3]
	v_add_co_u32_e32 v74, vcc, s6, v4
	v_addc_co_u32_e32 v75, vcc, v0, v5, vcc
	v_add_u32_e32 v2, s5, v2
	v_accvgpr_write_b32 a50, v74
	v_ashrrev_i32_e32 v3, 31, v2
	v_accvgpr_write_b32 a51, v75
	global_load_dwordx4 v[74:77], v[74:75], off
	v_lshlrev_b64 v[4:5], 4, v[2:3]
	v_add_co_u32_e32 v4, vcc, s6, v4
	v_addc_co_u32_e32 v5, vcc, v0, v5, vcc
	global_load_dwordx4 v[78:81], v[4:5], off
	v_add_u32_e32 v2, s5, v2
	v_accvgpr_write_b32 a53, v5
	v_ashrrev_i32_e32 v3, 31, v2
	v_accvgpr_write_b32 a52, v4
	v_lshlrev_b64 v[4:5], 4, v[2:3]
	v_add_co_u32_e32 v4, vcc, s6, v4
	v_add_u32_e32 v86, s5, v2
	v_addc_co_u32_e32 v5, vcc, v0, v5, vcc
	v_ashrrev_i32_e32 v87, 31, v86
	v_lshlrev_b64 v[2:3], 4, v[86:87]
	global_load_dwordx4 v[82:85], v[4:5], off
	v_add_co_u32_e32 v2, vcc, s6, v2
	v_addc_co_u32_e32 v3, vcc, v0, v3, vcc
	v_accvgpr_write_b32 a55, v5
	v_accvgpr_write_b32 a57, v3
	;; [unrolled: 1-line block ×4, first 2 shown]
	global_load_dwordx4 v[2:5], v[2:3], off
	s_nop 0
	buffer_store_dword v8, off, s[0:3], 0 offset:152
	buffer_store_dword v7, off, s[0:3], 0 offset:148
	buffer_store_dword v6, off, s[0:3], 0 offset:144
	s_waitcnt vmcnt(39)
	buffer_store_dword v10, off, s[0:3], 0 offset:160
	buffer_store_dword v11, off, s[0:3], 0 offset:164
	buffer_store_dword v12, off, s[0:3], 0 offset:168
	buffer_store_dword v13, off, s[0:3], 0 offset:172
	s_waitcnt vmcnt(42)
	buffer_store_dword v14, off, s[0:3], 0 offset:176
	;; [unrolled: 5-line block ×15, first 2 shown]
	buffer_store_dword v68, off, s[0:3], 0 offset:392
	buffer_store_dword v67, off, s[0:3], 0 offset:388
	;; [unrolled: 1-line block ×11, first 2 shown]
	s_waitcnt vmcnt(62)
	buffer_store_dword v81, off, s[0:3], 0 offset:444
	buffer_store_dword v80, off, s[0:3], 0 offset:440
	;; [unrolled: 1-line block ×9, first 2 shown]
	v_add_u32_e32 v6, s5, v86
	v_ashrrev_i32_e32 v7, 31, v6
	v_lshlrev_b64 v[8:9], 4, v[6:7]
	v_add_u32_e32 v14, s5, v6
	v_add_co_u32_e32 v8, vcc, s6, v8
	v_ashrrev_i32_e32 v15, 31, v14
	v_addc_co_u32_e32 v9, vcc, v0, v9, vcc
	v_lshlrev_b64 v[6:7], 4, v[14:15]
	v_add_co_u32_e32 v10, vcc, s6, v6
	v_accvgpr_write_b32 a61, v9
	v_addc_co_u32_e32 v11, vcc, v0, v7, vcc
	v_accvgpr_write_b32 a60, v8
	global_load_dwordx4 v[6:9], v[8:9], off
	v_add_u32_e32 v14, s5, v14
	v_accvgpr_write_b32 a63, v11
	v_ashrrev_i32_e32 v15, 31, v14
	v_accvgpr_write_b32 a62, v10
	global_load_dwordx4 v[10:13], v[10:11], off
	v_lshlrev_b64 v[16:17], 4, v[14:15]
	v_add_u32_e32 v22, s5, v14
	v_add_co_u32_e32 v16, vcc, s6, v16
	v_ashrrev_i32_e32 v23, 31, v22
	v_addc_co_u32_e32 v17, vcc, v0, v17, vcc
	v_lshlrev_b64 v[14:15], 4, v[22:23]
	v_add_co_u32_e32 v18, vcc, s6, v14
	v_accvgpr_write_b32 a65, v17
	v_addc_co_u32_e32 v19, vcc, v0, v15, vcc
	v_accvgpr_write_b32 a64, v16
	global_load_dwordx4 v[14:17], v[16:17], off
	v_add_u32_e32 v22, s5, v22
	v_accvgpr_write_b32 a67, v19
	v_ashrrev_i32_e32 v23, 31, v22
	v_accvgpr_write_b32 a66, v18
	global_load_dwordx4 v[18:21], v[18:19], off
	;; [unrolled: 16-line block ×9, first 2 shown]
	v_lshlrev_b64 v[80:81], 4, v[78:79]
	v_add_co_u32_e32 v80, vcc, s6, v80
	v_addc_co_u32_e32 v81, vcc, v0, v81, vcc
	v_add_u32_e32 v78, s5, v78
	v_ashrrev_i32_e32 v79, 31, v78
	v_accvgpr_write_b32 a97, v81
	v_lshlrev_b64 v[82:83], 4, v[78:79]
	v_accvgpr_write_b32 a96, v80
	global_load_dwordx4 v[78:81], v[80:81], off
	v_add_co_u32_e32 v82, vcc, s6, v82
	v_addc_co_u32_e32 v83, vcc, v0, v83, vcc
	v_accvgpr_write_b32 a58, v82
	v_accvgpr_write_b32 a59, v83
	global_load_dwordx4 v[82:85], v[82:83], off
	v_mov_b32_e32 v0, 16
	buffer_store_dword v4, off, s[0:3], 0 offset:472
	buffer_store_dword v3, off, s[0:3], 0 offset:468
	buffer_store_dword v2, off, s[0:3], 0 offset:464
	s_waitcnt vmcnt(22)
	buffer_store_dword v9, off, s[0:3], 0 offset:492
	buffer_store_dword v8, off, s[0:3], 0 offset:488
	buffer_store_dword v7, off, s[0:3], 0 offset:484
	buffer_store_dword v6, off, s[0:3], 0 offset:480
	s_waitcnt vmcnt(25)
	buffer_store_dword v13, off, s[0:3], 0 offset:508
	;; [unrolled: 5-line block ×15, first 2 shown]
	buffer_store_dword v64, off, s[0:3], 0 offset:712
	buffer_store_dword v63, off, s[0:3], 0 offset:708
	;; [unrolled: 1-line block ×11, first 2 shown]
	s_waitcnt vmcnt(62)
	buffer_store_dword v77, off, s[0:3], 0 offset:764
	buffer_store_dword v76, off, s[0:3], 0 offset:760
	;; [unrolled: 1-line block ×12, first 2 shown]
	v_add_u32_e32 v2, 16, v0
	v_accvgpr_write_b32 a145, v2
	v_add_u32_e32 v2, 32, v0
	v_accvgpr_write_b32 a144, v2
	;; [unrolled: 2-line block ×46, first 2 shown]
	v_add_u32_e32 v2, 0x2f0, v0
	v_add_u32_e32 v0, 0x300, v0
	v_accvgpr_write_b32 a99, v2
	v_accvgpr_write_b32 a98, v0
	s_bitcmp0_b32 s18, 0
	s_mov_b64 s[6:7], -1
	s_cbranch_scc1 .LBB112_208
; %bb.4:
	v_cmp_eq_u32_e64 s[4:5], 0, v254
	s_and_saveexec_b64 s[6:7], s[4:5]
	s_cbranch_execz .LBB112_6
; %bb.5:
	v_mov_b32_e32 v0, 0
	ds_write_b32 v0, v0 offset:1568
.LBB112_6:
	s_or_b64 exec, exec, s[6:7]
	v_mov_b32_e32 v0, 16
	v_lshl_add_u32 v12, v254, 4, v0
	s_waitcnt lgkmcnt(0)
	; wave barrier
	s_waitcnt lgkmcnt(0)
	buffer_load_dword v2, v12, s[0:3], 0 offen
	buffer_load_dword v3, v12, s[0:3], 0 offen offset:4
	buffer_load_dword v4, v12, s[0:3], 0 offen offset:8
	;; [unrolled: 1-line block ×3, first 2 shown]
	s_waitcnt vmcnt(2)
	v_cmp_eq_f64_e32 vcc, 0, v[2:3]
	s_waitcnt vmcnt(0)
	v_cmp_eq_f64_e64 s[6:7], 0, v[4:5]
	s_and_b64 s[6:7], vcc, s[6:7]
	s_and_saveexec_b64 s[12:13], s[6:7]
	s_cbranch_execz .LBB112_10
; %bb.7:
	v_mov_b32_e32 v2, 0
	ds_read_b32 v0, v2 offset:1568
	v_add_u32_e32 v3, 1, v254
	s_waitcnt lgkmcnt(0)
	v_readfirstlane_b32 s6, v0
	s_cmp_eq_u32 s6, 0
	s_cselect_b64 s[18:19], -1, 0
	v_cmp_gt_i32_e32 vcc, s6, v3
	s_or_b64 s[18:19], s[18:19], vcc
	s_and_b64 exec, exec, s[18:19]
	s_cbranch_execz .LBB112_10
; %bb.8:
	s_mov_b64 s[18:19], 0
	v_mov_b32_e32 v4, s6
.LBB112_9:                              ; =>This Inner Loop Header: Depth=1
	ds_cmpst_rtn_b32 v4, v2, v4, v3 offset:1568
	s_waitcnt lgkmcnt(0)
	v_cmp_ne_u32_e32 vcc, 0, v4
	v_cmp_le_i32_e64 s[6:7], v4, v3
	s_and_b64 s[6:7], vcc, s[6:7]
	s_and_b64 s[6:7], exec, s[6:7]
	s_or_b64 s[18:19], s[6:7], s[18:19]
	s_andn2_b64 exec, exec, s[18:19]
	s_cbranch_execnz .LBB112_9
.LBB112_10:
	s_or_b64 exec, exec, s[12:13]
	v_mov_b32_e32 v3, 0
	s_waitcnt lgkmcnt(0)
	; wave barrier
	ds_read_b32 v2, v3 offset:1568
	s_and_saveexec_b64 s[6:7], s[4:5]
	s_cbranch_execz .LBB112_12
; %bb.11:
	s_lshl_b64 s[12:13], s[8:9], 2
	s_add_u32 s12, s14, s12
	s_addc_u32 s13, s15, s13
	s_waitcnt lgkmcnt(0)
	global_store_dword v3, v2, s[12:13]
.LBB112_12:
	s_or_b64 exec, exec, s[6:7]
	s_waitcnt lgkmcnt(0)
	v_cmp_ne_u32_e32 vcc, 0, v2
	s_mov_b64 s[6:7], 0
	s_cbranch_vccnz .LBB112_208
; %bb.13:
	buffer_load_dword v7, v12, s[0:3], 0 offen offset:4
	buffer_load_dword v6, v12, s[0:3], 0 offen
	buffer_load_dword v9, v12, s[0:3], 0 offen offset:12
	buffer_load_dword v8, v12, s[0:3], 0 offen offset:8
                                        ; implicit-def: $vgpr10_vgpr11
	s_waitcnt vmcnt(3)
	v_xor_b32_e32 v0, 0x80000000, v7
	s_waitcnt vmcnt(2)
	v_cmp_gt_f64_e32 vcc, 0, v[6:7]
	s_waitcnt vmcnt(1)
	v_xor_b32_e32 v4, 0x80000000, v9
	v_cndmask_b32_e32 v3, v7, v0, vcc
	s_waitcnt vmcnt(0)
	v_cmp_gt_f64_e32 vcc, 0, v[8:9]
	v_mov_b32_e32 v2, v6
	v_cndmask_b32_e32 v5, v9, v4, vcc
	v_mov_b32_e32 v4, v8
	v_cmp_ngt_f64_e32 vcc, v[2:3], v[4:5]
                                        ; implicit-def: $vgpr4_vgpr5
	s_and_saveexec_b64 s[6:7], vcc
	s_xor_b64 s[6:7], exec, s[6:7]
	s_cbranch_execz .LBB112_15
; %bb.14:
	v_div_scale_f64 v[2:3], s[12:13], v[8:9], v[8:9], v[6:7]
	v_rcp_f64_e32 v[4:5], v[2:3]
	v_div_scale_f64 v[10:11], vcc, v[6:7], v[8:9], v[6:7]
	v_fma_f64 v[14:15], -v[2:3], v[4:5], 1.0
	v_fmac_f64_e32 v[4:5], v[4:5], v[14:15]
	v_fma_f64 v[14:15], -v[2:3], v[4:5], 1.0
	v_fmac_f64_e32 v[4:5], v[4:5], v[14:15]
	v_mul_f64 v[14:15], v[10:11], v[4:5]
	v_fma_f64 v[2:3], -v[2:3], v[14:15], v[10:11]
	v_div_fmas_f64 v[2:3], v[2:3], v[4:5], v[14:15]
	v_div_fixup_f64 v[2:3], v[2:3], v[8:9], v[6:7]
	v_fmac_f64_e32 v[8:9], v[6:7], v[2:3]
	v_div_scale_f64 v[4:5], s[12:13], v[8:9], v[8:9], 1.0
	v_rcp_f64_e32 v[6:7], v[4:5]
	v_fma_f64 v[10:11], -v[4:5], v[6:7], 1.0
	v_fmac_f64_e32 v[6:7], v[6:7], v[10:11]
	v_fma_f64 v[10:11], -v[4:5], v[6:7], 1.0
	v_fmac_f64_e32 v[6:7], v[6:7], v[10:11]
	v_div_scale_f64 v[10:11], vcc, 1.0, v[8:9], 1.0
	v_mul_f64 v[14:15], v[10:11], v[6:7]
	v_fma_f64 v[4:5], -v[4:5], v[14:15], v[10:11]
	s_nop 1
	v_div_fmas_f64 v[4:5], v[4:5], v[6:7], v[14:15]
	v_div_fixup_f64 v[4:5], v[4:5], v[8:9], 1.0
	v_mul_f64 v[10:11], v[2:3], v[4:5]
	v_xor_b32_e32 v5, 0x80000000, v5
	v_xor_b32_e32 v3, 0x80000000, v11
	v_mov_b32_e32 v2, v10
                                        ; implicit-def: $vgpr6_vgpr7
                                        ; implicit-def: $vgpr8_vgpr9
.LBB112_15:
	s_andn2_saveexec_b64 s[6:7], s[6:7]
	s_cbranch_execz .LBB112_17
; %bb.16:
	v_div_scale_f64 v[2:3], s[12:13], v[6:7], v[6:7], v[8:9]
	v_rcp_f64_e32 v[4:5], v[2:3]
	v_div_scale_f64 v[10:11], vcc, v[8:9], v[6:7], v[8:9]
	v_fma_f64 v[14:15], -v[2:3], v[4:5], 1.0
	v_fmac_f64_e32 v[4:5], v[4:5], v[14:15]
	v_fma_f64 v[14:15], -v[2:3], v[4:5], 1.0
	v_fmac_f64_e32 v[4:5], v[4:5], v[14:15]
	v_mul_f64 v[14:15], v[10:11], v[4:5]
	v_fma_f64 v[2:3], -v[2:3], v[14:15], v[10:11]
	v_div_fmas_f64 v[2:3], v[2:3], v[4:5], v[14:15]
	v_div_fixup_f64 v[4:5], v[2:3], v[6:7], v[8:9]
	v_fmac_f64_e32 v[6:7], v[8:9], v[4:5]
	v_div_scale_f64 v[2:3], s[12:13], v[6:7], v[6:7], 1.0
	v_rcp_f64_e32 v[8:9], v[2:3]
	v_fma_f64 v[10:11], -v[2:3], v[8:9], 1.0
	v_fmac_f64_e32 v[8:9], v[8:9], v[10:11]
	v_fma_f64 v[10:11], -v[2:3], v[8:9], 1.0
	v_fmac_f64_e32 v[8:9], v[8:9], v[10:11]
	v_div_scale_f64 v[10:11], vcc, 1.0, v[6:7], 1.0
	v_mul_f64 v[14:15], v[10:11], v[8:9]
	v_fma_f64 v[2:3], -v[2:3], v[14:15], v[10:11]
	s_nop 1
	v_div_fmas_f64 v[2:3], v[2:3], v[8:9], v[14:15]
	v_div_fixup_f64 v[10:11], v[2:3], v[6:7], 1.0
	v_xor_b32_e32 v3, 0x80000000, v11
	v_mov_b32_e32 v2, v10
	v_mul_f64 v[4:5], v[4:5], -v[10:11]
.LBB112_17:
	s_or_b64 exec, exec, s[6:7]
	buffer_store_dword v11, v12, s[0:3], 0 offen offset:4
	buffer_store_dword v10, v12, s[0:3], 0 offen
	buffer_store_dword v5, v12, s[0:3], 0 offen offset:12
	buffer_store_dword v4, v12, s[0:3], 0 offen offset:8
	v_accvgpr_read_b32 v0, a145
	buffer_load_dword v11, v0, s[0:3], 0 offen offset:12
	buffer_load_dword v10, v0, s[0:3], 0 offen offset:8
	;; [unrolled: 1-line block ×3, first 2 shown]
	buffer_load_dword v8, v0, s[0:3], 0 offen
	v_xor_b32_e32 v5, 0x80000000, v5
	v_add_u32_e32 v6, 0x310, v1
	ds_write_b128 v1, v[2:5]
	s_waitcnt vmcnt(0)
	ds_write_b128 v1, v[8:11] offset:784
	s_waitcnt lgkmcnt(0)
	; wave barrier
	s_waitcnt lgkmcnt(0)
	s_and_saveexec_b64 s[6:7], s[4:5]
	s_cbranch_execz .LBB112_19
; %bb.18:
	buffer_load_dword v14, v12, s[0:3], 0 offen offset:8
	buffer_load_dword v15, v12, s[0:3], 0 offen offset:12
	buffer_load_dword v16, v12, s[0:3], 0 offen
	buffer_load_dword v17, v12, s[0:3], 0 offen offset:4
	ds_read_b128 v[2:5], v6
	v_mov_b32_e32 v0, 0
	ds_read_b128 v[8:11], v0 offset:16
	s_waitcnt vmcnt(2) lgkmcnt(1)
	v_mul_f64 v[18:19], v[4:5], v[14:15]
	v_mul_f64 v[14:15], v[2:3], v[14:15]
	s_waitcnt vmcnt(0)
	v_fmac_f64_e32 v[14:15], v[4:5], v[16:17]
	v_fma_f64 v[2:3], v[2:3], v[16:17], -v[18:19]
	v_add_f64 v[4:5], v[14:15], 0
	v_add_f64 v[2:3], v[2:3], 0
	s_waitcnt lgkmcnt(0)
	v_mul_f64 v[14:15], v[4:5], v[10:11]
	v_mul_f64 v[10:11], v[2:3], v[10:11]
	v_fma_f64 v[2:3], v[2:3], v[8:9], -v[14:15]
	v_fmac_f64_e32 v[10:11], v[4:5], v[8:9]
	buffer_store_dword v2, off, s[0:3], 0 offset:32
	buffer_store_dword v3, off, s[0:3], 0 offset:36
	buffer_store_dword v10, off, s[0:3], 0 offset:40
	buffer_store_dword v11, off, s[0:3], 0 offset:44
.LBB112_19:
	s_or_b64 exec, exec, s[6:7]
	v_accvgpr_read_b32 v0, a144
	s_waitcnt lgkmcnt(0)
	; wave barrier
	buffer_load_dword v2, v0, s[0:3], 0 offen
	buffer_load_dword v3, v0, s[0:3], 0 offen offset:4
	buffer_load_dword v4, v0, s[0:3], 0 offen offset:8
	;; [unrolled: 1-line block ×3, first 2 shown]
	v_cmp_gt_u32_e32 vcc, 2, v254
	s_waitcnt vmcnt(0)
	ds_write_b128 v6, v[2:5]
	s_waitcnt lgkmcnt(0)
	; wave barrier
	s_waitcnt lgkmcnt(0)
	s_and_saveexec_b64 s[6:7], vcc
	s_cbranch_execz .LBB112_23
; %bb.20:
	buffer_load_dword v8, v12, s[0:3], 0 offen offset:8
	buffer_load_dword v9, v12, s[0:3], 0 offen offset:12
	buffer_load_dword v10, v12, s[0:3], 0 offen
	buffer_load_dword v11, v12, s[0:3], 0 offen offset:4
	ds_read_b128 v[2:5], v6
	s_waitcnt vmcnt(2) lgkmcnt(0)
	v_mul_f64 v[12:13], v[4:5], v[8:9]
	v_mul_f64 v[8:9], v[2:3], v[8:9]
	s_waitcnt vmcnt(0)
	v_fma_f64 v[2:3], v[2:3], v[10:11], -v[12:13]
	v_fmac_f64_e32 v[8:9], v[4:5], v[10:11]
	v_add_f64 v[4:5], v[2:3], 0
	v_add_f64 v[2:3], v[8:9], 0
	s_and_saveexec_b64 s[12:13], s[4:5]
	s_cbranch_execz .LBB112_22
; %bb.21:
	buffer_load_dword v12, off, s[0:3], 0 offset:40
	buffer_load_dword v13, off, s[0:3], 0 offset:44
	;; [unrolled: 1-line block ×4, first 2 shown]
	v_mov_b32_e32 v0, 0
	ds_read_b128 v[8:11], v0 offset:800
	s_waitcnt vmcnt(2) lgkmcnt(0)
	v_mul_f64 v[16:17], v[8:9], v[12:13]
	v_mul_f64 v[12:13], v[10:11], v[12:13]
	s_waitcnt vmcnt(0)
	v_fmac_f64_e32 v[16:17], v[10:11], v[14:15]
	v_fma_f64 v[8:9], v[8:9], v[14:15], -v[12:13]
	v_add_f64 v[2:3], v[2:3], v[16:17]
	v_add_f64 v[4:5], v[4:5], v[8:9]
.LBB112_22:
	s_or_b64 exec, exec, s[12:13]
	v_mov_b32_e32 v0, 0
	ds_read_b128 v[8:11], v0 offset:32
	s_waitcnt lgkmcnt(0)
	v_mul_f64 v[12:13], v[2:3], v[10:11]
	v_mul_f64 v[10:11], v[4:5], v[10:11]
	v_fma_f64 v[4:5], v[4:5], v[8:9], -v[12:13]
	v_fmac_f64_e32 v[10:11], v[2:3], v[8:9]
	buffer_store_dword v5, off, s[0:3], 0 offset:52
	buffer_store_dword v4, off, s[0:3], 0 offset:48
	;; [unrolled: 1-line block ×4, first 2 shown]
.LBB112_23:
	s_or_b64 exec, exec, s[6:7]
	v_accvgpr_read_b32 v0, a143
	s_waitcnt lgkmcnt(0)
	; wave barrier
	buffer_load_dword v2, v0, s[0:3], 0 offen
	buffer_load_dword v3, v0, s[0:3], 0 offen offset:4
	buffer_load_dword v4, v0, s[0:3], 0 offen offset:8
	;; [unrolled: 1-line block ×3, first 2 shown]
	v_cmp_gt_u32_e32 vcc, 3, v254
	v_add_u32_e32 v7, -1, v254
	s_waitcnt vmcnt(0)
	ds_write_b128 v6, v[2:5]
	s_waitcnt lgkmcnt(0)
	; wave barrier
	s_waitcnt lgkmcnt(0)
	s_and_saveexec_b64 s[4:5], vcc
	s_cbranch_execz .LBB112_27
; %bb.24:
	v_pk_mov_b32 v[2:3], 0, 0
	v_add_u32_e32 v8, -1, v254
	v_add_u32_e32 v9, 0x310, v1
	v_add_u32_e32 v10, 16, v1
	s_mov_b64 s[6:7], 0
	v_pk_mov_b32 v[4:5], v[2:3], v[2:3] op_sel:[0,1]
.LBB112_25:                             ; =>This Inner Loop Header: Depth=1
	buffer_load_dword v16, v10, s[0:3], 0 offen offset:8
	buffer_load_dword v17, v10, s[0:3], 0 offen offset:12
	buffer_load_dword v18, v10, s[0:3], 0 offen
	buffer_load_dword v19, v10, s[0:3], 0 offen offset:4
	ds_read_b128 v[12:15], v9
	v_add_u32_e32 v8, 1, v8
	v_cmp_lt_u32_e32 vcc, 1, v8
	v_add_u32_e32 v9, 16, v9
	v_add_u32_e32 v10, 16, v10
	s_or_b64 s[6:7], vcc, s[6:7]
	s_waitcnt vmcnt(2) lgkmcnt(0)
	v_mul_f64 v[20:21], v[14:15], v[16:17]
	v_mul_f64 v[16:17], v[12:13], v[16:17]
	s_waitcnt vmcnt(0)
	v_fma_f64 v[12:13], v[12:13], v[18:19], -v[20:21]
	v_fmac_f64_e32 v[16:17], v[14:15], v[18:19]
	v_add_f64 v[4:5], v[4:5], v[12:13]
	v_add_f64 v[2:3], v[2:3], v[16:17]
	s_andn2_b64 exec, exec, s[6:7]
	s_cbranch_execnz .LBB112_25
; %bb.26:
	s_or_b64 exec, exec, s[6:7]
	v_mov_b32_e32 v0, 0
	ds_read_b128 v[8:11], v0 offset:48
	s_waitcnt lgkmcnt(0)
	v_mul_f64 v[12:13], v[2:3], v[10:11]
	v_mul_f64 v[10:11], v[4:5], v[10:11]
	v_fma_f64 v[4:5], v[4:5], v[8:9], -v[12:13]
	v_fmac_f64_e32 v[10:11], v[2:3], v[8:9]
	buffer_store_dword v5, off, s[0:3], 0 offset:68
	buffer_store_dword v4, off, s[0:3], 0 offset:64
	buffer_store_dword v11, off, s[0:3], 0 offset:76
	buffer_store_dword v10, off, s[0:3], 0 offset:72
.LBB112_27:
	s_or_b64 exec, exec, s[4:5]
	v_accvgpr_read_b32 v0, a142
	s_waitcnt lgkmcnt(0)
	; wave barrier
	buffer_load_dword v2, v0, s[0:3], 0 offen
	buffer_load_dword v3, v0, s[0:3], 0 offen offset:4
	buffer_load_dword v4, v0, s[0:3], 0 offen offset:8
	buffer_load_dword v5, v0, s[0:3], 0 offen offset:12
	v_cmp_gt_u32_e32 vcc, 4, v254
	s_waitcnt vmcnt(0)
	ds_write_b128 v6, v[2:5]
	s_waitcnt lgkmcnt(0)
	; wave barrier
	s_waitcnt lgkmcnt(0)
	s_and_saveexec_b64 s[4:5], vcc
	s_cbranch_execz .LBB112_31
; %bb.28:
	v_pk_mov_b32 v[2:3], 0, 0
	v_add_u32_e32 v8, -1, v254
	v_add_u32_e32 v9, 0x310, v1
	v_add_u32_e32 v10, 16, v1
	s_mov_b64 s[6:7], 0
	v_pk_mov_b32 v[4:5], v[2:3], v[2:3] op_sel:[0,1]
.LBB112_29:                             ; =>This Inner Loop Header: Depth=1
	buffer_load_dword v16, v10, s[0:3], 0 offen offset:8
	buffer_load_dword v17, v10, s[0:3], 0 offen offset:12
	buffer_load_dword v18, v10, s[0:3], 0 offen
	buffer_load_dword v19, v10, s[0:3], 0 offen offset:4
	ds_read_b128 v[12:15], v9
	v_add_u32_e32 v8, 1, v8
	v_cmp_lt_u32_e32 vcc, 2, v8
	v_add_u32_e32 v9, 16, v9
	v_add_u32_e32 v10, 16, v10
	s_or_b64 s[6:7], vcc, s[6:7]
	s_waitcnt vmcnt(2) lgkmcnt(0)
	v_mul_f64 v[20:21], v[14:15], v[16:17]
	v_mul_f64 v[16:17], v[12:13], v[16:17]
	s_waitcnt vmcnt(0)
	v_fma_f64 v[12:13], v[12:13], v[18:19], -v[20:21]
	v_fmac_f64_e32 v[16:17], v[14:15], v[18:19]
	v_add_f64 v[4:5], v[4:5], v[12:13]
	v_add_f64 v[2:3], v[2:3], v[16:17]
	s_andn2_b64 exec, exec, s[6:7]
	s_cbranch_execnz .LBB112_29
; %bb.30:
	s_or_b64 exec, exec, s[6:7]
	v_mov_b32_e32 v0, 0
	ds_read_b128 v[8:11], v0 offset:64
	s_waitcnt lgkmcnt(0)
	v_mul_f64 v[12:13], v[2:3], v[10:11]
	v_mul_f64 v[10:11], v[4:5], v[10:11]
	v_fma_f64 v[4:5], v[4:5], v[8:9], -v[12:13]
	v_fmac_f64_e32 v[10:11], v[2:3], v[8:9]
	buffer_store_dword v5, off, s[0:3], 0 offset:84
	buffer_store_dword v4, off, s[0:3], 0 offset:80
	buffer_store_dword v11, off, s[0:3], 0 offset:92
	buffer_store_dword v10, off, s[0:3], 0 offset:88
.LBB112_31:
	s_or_b64 exec, exec, s[4:5]
	v_accvgpr_read_b32 v0, a141
	s_waitcnt lgkmcnt(0)
	; wave barrier
	buffer_load_dword v2, v0, s[0:3], 0 offen
	buffer_load_dword v3, v0, s[0:3], 0 offen offset:4
	buffer_load_dword v4, v0, s[0:3], 0 offen offset:8
	buffer_load_dword v5, v0, s[0:3], 0 offen offset:12
	v_cmp_gt_u32_e32 vcc, 5, v254
	;; [unrolled: 58-line block ×19, first 2 shown]
	s_waitcnt vmcnt(0)
	ds_write_b128 v6, v[2:5]
	s_waitcnt lgkmcnt(0)
	; wave barrier
	s_waitcnt lgkmcnt(0)
	s_and_saveexec_b64 s[4:5], vcc
	s_cbranch_execz .LBB112_103
; %bb.100:
	v_pk_mov_b32 v[2:3], 0, 0
	v_add_u32_e32 v8, -1, v254
	v_add_u32_e32 v9, 0x310, v1
	v_add_u32_e32 v10, 16, v1
	s_mov_b64 s[6:7], 0
	v_pk_mov_b32 v[4:5], v[2:3], v[2:3] op_sel:[0,1]
.LBB112_101:                            ; =>This Inner Loop Header: Depth=1
	buffer_load_dword v16, v10, s[0:3], 0 offen offset:8
	buffer_load_dword v17, v10, s[0:3], 0 offen offset:12
	buffer_load_dword v18, v10, s[0:3], 0 offen
	buffer_load_dword v19, v10, s[0:3], 0 offen offset:4
	ds_read_b128 v[12:15], v9
	v_add_u32_e32 v8, 1, v8
	v_cmp_lt_u32_e32 vcc, 20, v8
	v_add_u32_e32 v9, 16, v9
	v_add_u32_e32 v10, 16, v10
	s_or_b64 s[6:7], vcc, s[6:7]
	s_waitcnt vmcnt(2) lgkmcnt(0)
	v_mul_f64 v[20:21], v[14:15], v[16:17]
	v_mul_f64 v[16:17], v[12:13], v[16:17]
	s_waitcnt vmcnt(0)
	v_fma_f64 v[12:13], v[12:13], v[18:19], -v[20:21]
	v_fmac_f64_e32 v[16:17], v[14:15], v[18:19]
	v_add_f64 v[4:5], v[4:5], v[12:13]
	v_add_f64 v[2:3], v[2:3], v[16:17]
	s_andn2_b64 exec, exec, s[6:7]
	s_cbranch_execnz .LBB112_101
; %bb.102:
	s_or_b64 exec, exec, s[6:7]
	v_mov_b32_e32 v0, 0
	ds_read_b128 v[8:11], v0 offset:352
	s_waitcnt lgkmcnt(0)
	v_mul_f64 v[12:13], v[2:3], v[10:11]
	v_mul_f64 v[10:11], v[4:5], v[10:11]
	v_fma_f64 v[4:5], v[4:5], v[8:9], -v[12:13]
	v_fmac_f64_e32 v[10:11], v[2:3], v[8:9]
	buffer_store_dword v5, off, s[0:3], 0 offset:372
	buffer_store_dword v4, off, s[0:3], 0 offset:368
	buffer_store_dword v11, off, s[0:3], 0 offset:380
	buffer_store_dword v10, off, s[0:3], 0 offset:376
.LBB112_103:
	s_or_b64 exec, exec, s[4:5]
	v_accvgpr_read_b32 v0, a123
	s_waitcnt lgkmcnt(0)
	; wave barrier
	buffer_load_dword v2, v0, s[0:3], 0 offen
	buffer_load_dword v3, v0, s[0:3], 0 offen offset:4
	buffer_load_dword v4, v0, s[0:3], 0 offen offset:8
	buffer_load_dword v5, v0, s[0:3], 0 offen offset:12
	v_cmp_gt_u32_e32 vcc, 23, v254
	s_waitcnt vmcnt(0)
	ds_write_b128 v6, v[2:5]
	s_waitcnt lgkmcnt(0)
	; wave barrier
	s_waitcnt lgkmcnt(0)
	s_and_saveexec_b64 s[4:5], vcc
	s_cbranch_execz .LBB112_107
; %bb.104:
	v_pk_mov_b32 v[2:3], 0, 0
	v_add_u32_e32 v8, -1, v254
	v_add_u32_e32 v9, 0x310, v1
	v_add_u32_e32 v10, 16, v1
	s_mov_b64 s[6:7], 0
	v_pk_mov_b32 v[4:5], v[2:3], v[2:3] op_sel:[0,1]
.LBB112_105:                            ; =>This Inner Loop Header: Depth=1
	buffer_load_dword v16, v10, s[0:3], 0 offen offset:8
	buffer_load_dword v17, v10, s[0:3], 0 offen offset:12
	buffer_load_dword v18, v10, s[0:3], 0 offen
	buffer_load_dword v19, v10, s[0:3], 0 offen offset:4
	ds_read_b128 v[12:15], v9
	v_add_u32_e32 v8, 1, v8
	v_cmp_lt_u32_e32 vcc, 21, v8
	v_add_u32_e32 v9, 16, v9
	v_add_u32_e32 v10, 16, v10
	s_or_b64 s[6:7], vcc, s[6:7]
	s_waitcnt vmcnt(2) lgkmcnt(0)
	v_mul_f64 v[20:21], v[14:15], v[16:17]
	v_mul_f64 v[16:17], v[12:13], v[16:17]
	s_waitcnt vmcnt(0)
	v_fma_f64 v[12:13], v[12:13], v[18:19], -v[20:21]
	v_fmac_f64_e32 v[16:17], v[14:15], v[18:19]
	v_add_f64 v[4:5], v[4:5], v[12:13]
	v_add_f64 v[2:3], v[2:3], v[16:17]
	s_andn2_b64 exec, exec, s[6:7]
	s_cbranch_execnz .LBB112_105
; %bb.106:
	s_or_b64 exec, exec, s[6:7]
	v_mov_b32_e32 v0, 0
	ds_read_b128 v[8:11], v0 offset:368
	s_waitcnt lgkmcnt(0)
	v_mul_f64 v[12:13], v[2:3], v[10:11]
	v_mul_f64 v[10:11], v[4:5], v[10:11]
	v_fma_f64 v[4:5], v[4:5], v[8:9], -v[12:13]
	v_fmac_f64_e32 v[10:11], v[2:3], v[8:9]
	buffer_store_dword v5, off, s[0:3], 0 offset:388
	buffer_store_dword v4, off, s[0:3], 0 offset:384
	buffer_store_dword v11, off, s[0:3], 0 offset:396
	buffer_store_dword v10, off, s[0:3], 0 offset:392
.LBB112_107:
	s_or_b64 exec, exec, s[4:5]
	v_accvgpr_read_b32 v0, a122
	s_waitcnt lgkmcnt(0)
	; wave barrier
	buffer_load_dword v2, v0, s[0:3], 0 offen
	buffer_load_dword v3, v0, s[0:3], 0 offen offset:4
	buffer_load_dword v4, v0, s[0:3], 0 offen offset:8
	buffer_load_dword v5, v0, s[0:3], 0 offen offset:12
	v_cmp_gt_u32_e32 vcc, 24, v254
	;; [unrolled: 58-line block ×25, first 2 shown]
	s_waitcnt vmcnt(0)
	ds_write_b128 v6, v[2:5]
	s_waitcnt lgkmcnt(0)
	; wave barrier
	s_waitcnt lgkmcnt(0)
	s_and_saveexec_b64 s[4:5], vcc
	s_cbranch_execz .LBB112_203
; %bb.200:
	v_pk_mov_b32 v[2:3], 0, 0
	v_add_u32_e32 v8, -1, v254
	v_add_u32_e32 v9, 0x310, v1
	v_add_u32_e32 v10, 16, v1
	s_mov_b64 s[6:7], 0
	v_pk_mov_b32 v[4:5], v[2:3], v[2:3] op_sel:[0,1]
.LBB112_201:                            ; =>This Inner Loop Header: Depth=1
	buffer_load_dword v16, v10, s[0:3], 0 offen offset:8
	buffer_load_dword v17, v10, s[0:3], 0 offen offset:12
	buffer_load_dword v18, v10, s[0:3], 0 offen
	buffer_load_dword v19, v10, s[0:3], 0 offen offset:4
	ds_read_b128 v[12:15], v9
	v_add_u32_e32 v8, 1, v8
	v_cmp_lt_u32_e32 vcc, 45, v8
	v_add_u32_e32 v9, 16, v9
	v_add_u32_e32 v10, 16, v10
	s_or_b64 s[6:7], vcc, s[6:7]
	s_waitcnt vmcnt(2) lgkmcnt(0)
	v_mul_f64 v[20:21], v[14:15], v[16:17]
	v_mul_f64 v[16:17], v[12:13], v[16:17]
	s_waitcnt vmcnt(0)
	v_fma_f64 v[12:13], v[12:13], v[18:19], -v[20:21]
	v_fmac_f64_e32 v[16:17], v[14:15], v[18:19]
	v_add_f64 v[4:5], v[4:5], v[12:13]
	v_add_f64 v[2:3], v[2:3], v[16:17]
	s_andn2_b64 exec, exec, s[6:7]
	s_cbranch_execnz .LBB112_201
; %bb.202:
	s_or_b64 exec, exec, s[6:7]
	v_mov_b32_e32 v0, 0
	ds_read_b128 v[8:11], v0 offset:752
	s_waitcnt lgkmcnt(0)
	v_mul_f64 v[12:13], v[2:3], v[10:11]
	v_mul_f64 v[10:11], v[4:5], v[10:11]
	v_fma_f64 v[4:5], v[4:5], v[8:9], -v[12:13]
	v_fmac_f64_e32 v[10:11], v[2:3], v[8:9]
	buffer_store_dword v5, off, s[0:3], 0 offset:772
	buffer_store_dword v4, off, s[0:3], 0 offset:768
	;; [unrolled: 1-line block ×4, first 2 shown]
.LBB112_203:
	s_or_b64 exec, exec, s[4:5]
	v_accvgpr_read_b32 v0, a98
	s_waitcnt lgkmcnt(0)
	; wave barrier
	buffer_load_dword v2, v0, s[0:3], 0 offen
	buffer_load_dword v3, v0, s[0:3], 0 offen offset:4
	buffer_load_dword v4, v0, s[0:3], 0 offen offset:8
	;; [unrolled: 1-line block ×3, first 2 shown]
	v_cmp_ne_u32_e32 vcc, 48, v254
	s_waitcnt vmcnt(0)
	ds_write_b128 v6, v[2:5]
	s_waitcnt lgkmcnt(0)
	; wave barrier
	s_waitcnt lgkmcnt(0)
	s_and_saveexec_b64 s[4:5], vcc
	s_cbranch_execz .LBB112_207
; %bb.204:
	v_pk_mov_b32 v[2:3], 0, 0
	v_add_u32_e32 v6, 0x310, v1
	v_add_u32_e32 v1, 16, v1
	s_mov_b64 s[6:7], 0
	v_pk_mov_b32 v[4:5], v[2:3], v[2:3] op_sel:[0,1]
.LBB112_205:                            ; =>This Inner Loop Header: Depth=1
	buffer_load_dword v12, v1, s[0:3], 0 offen offset:8
	buffer_load_dword v13, v1, s[0:3], 0 offen offset:12
	buffer_load_dword v14, v1, s[0:3], 0 offen
	buffer_load_dword v15, v1, s[0:3], 0 offen offset:4
	ds_read_b128 v[8:11], v6
	v_add_u32_e32 v7, 1, v7
	v_cmp_lt_u32_e32 vcc, 46, v7
	v_add_u32_e32 v6, 16, v6
	v_add_u32_e32 v1, 16, v1
	s_or_b64 s[6:7], vcc, s[6:7]
	s_waitcnt vmcnt(2) lgkmcnt(0)
	v_mul_f64 v[16:17], v[10:11], v[12:13]
	v_mul_f64 v[12:13], v[8:9], v[12:13]
	s_waitcnt vmcnt(0)
	v_fma_f64 v[8:9], v[8:9], v[14:15], -v[16:17]
	v_fmac_f64_e32 v[12:13], v[10:11], v[14:15]
	v_add_f64 v[4:5], v[4:5], v[8:9]
	v_add_f64 v[2:3], v[2:3], v[12:13]
	s_andn2_b64 exec, exec, s[6:7]
	s_cbranch_execnz .LBB112_205
; %bb.206:
	s_or_b64 exec, exec, s[6:7]
	v_mov_b32_e32 v0, 0
	ds_read_b128 v[6:9], v0 offset:768
	s_waitcnt lgkmcnt(0)
	v_mul_f64 v[10:11], v[2:3], v[8:9]
	v_mul_f64 v[8:9], v[4:5], v[8:9]
	v_fma_f64 v[4:5], v[4:5], v[6:7], -v[10:11]
	v_fmac_f64_e32 v[8:9], v[2:3], v[6:7]
	buffer_store_dword v5, off, s[0:3], 0 offset:788
	buffer_store_dword v4, off, s[0:3], 0 offset:784
	;; [unrolled: 1-line block ×4, first 2 shown]
.LBB112_207:
	s_or_b64 exec, exec, s[4:5]
	s_mov_b64 s[6:7], -1
	s_waitcnt lgkmcnt(0)
	; wave barrier
.LBB112_208:
	s_and_b64 vcc, exec, s[6:7]
	s_cbranch_vccz .LBB112_210
; %bb.209:
	s_lshl_b64 s[4:5], s[8:9], 2
	s_add_u32 s4, s14, s4
	s_addc_u32 s5, s15, s5
	v_mov_b32_e32 v0, 0
	global_load_dword v0, v0, s[4:5]
	s_waitcnt vmcnt(0)
	v_cmp_ne_u32_e32 vcc, 0, v0
	s_cbranch_vccz .LBB112_211
.LBB112_210:
	s_endpgm
.LBB112_211:
	v_mov_b32_e32 v0, 0x310
	v_lshl_add_u32 v0, v254, 4, v0
	v_accvgpr_write_b32 a147, v0
	v_cmp_eq_u32_e32 vcc, 48, v254
	s_and_saveexec_b64 s[4:5], vcc
	s_cbranch_execz .LBB112_213
; %bb.212:
	v_accvgpr_read_b32 v0, a99
	buffer_load_dword v2, v0, s[0:3], 0 offen
	buffer_load_dword v3, v0, s[0:3], 0 offen offset:4
	buffer_load_dword v4, v0, s[0:3], 0 offen offset:8
	;; [unrolled: 1-line block ×3, first 2 shown]
	v_mov_b32_e32 v0, 0
	v_accvgpr_read_b32 v1, a147
	buffer_store_dword v0, off, s[0:3], 0 offset:768
	buffer_store_dword v0, off, s[0:3], 0 offset:772
	;; [unrolled: 1-line block ×4, first 2 shown]
	s_waitcnt vmcnt(4)
	ds_write_b128 v1, v[2:5]
.LBB112_213:
	s_or_b64 exec, exec, s[4:5]
	s_waitcnt lgkmcnt(0)
	; wave barrier
	s_waitcnt lgkmcnt(0)
	buffer_load_dword v6, off, s[0:3], 0 offset:792
	buffer_load_dword v7, off, s[0:3], 0 offset:796
	;; [unrolled: 1-line block ×8, first 2 shown]
	v_mov_b32_e32 v1, 0
	ds_read_b128 v[2:5], v1 offset:1552
	v_cmp_lt_u32_e32 vcc, 46, v254
	s_waitcnt vmcnt(6) lgkmcnt(0)
	v_mul_f64 v[14:15], v[2:3], v[6:7]
	v_mul_f64 v[6:7], v[4:5], v[6:7]
	s_waitcnt vmcnt(4)
	v_fma_f64 v[2:3], v[2:3], v[8:9], -v[6:7]
	v_fmac_f64_e32 v[14:15], v[4:5], v[8:9]
	v_add_f64 v[2:3], v[2:3], 0
	v_add_f64 v[4:5], v[14:15], 0
	s_waitcnt vmcnt(2)
	v_add_f64 v[2:3], v[10:11], -v[2:3]
	s_waitcnt vmcnt(0)
	v_add_f64 v[4:5], v[12:13], -v[4:5]
	buffer_store_dword v2, off, s[0:3], 0 offset:768
	buffer_store_dword v3, off, s[0:3], 0 offset:772
	;; [unrolled: 1-line block ×4, first 2 shown]
	s_and_saveexec_b64 s[4:5], vcc
	s_cbranch_execz .LBB112_215
; %bb.214:
	v_accvgpr_read_b32 v0, a100
	buffer_load_dword v2, v0, s[0:3], 0 offen
	buffer_load_dword v3, v0, s[0:3], 0 offen offset:4
	buffer_load_dword v4, v0, s[0:3], 0 offen offset:8
	;; [unrolled: 1-line block ×3, first 2 shown]
	v_accvgpr_read_b32 v0, a147
	buffer_store_dword v1, off, s[0:3], 0 offset:752
	buffer_store_dword v1, off, s[0:3], 0 offset:756
	buffer_store_dword v1, off, s[0:3], 0 offset:760
	buffer_store_dword v1, off, s[0:3], 0 offset:764
	s_waitcnt vmcnt(4)
	ds_write_b128 v0, v[2:5]
.LBB112_215:
	s_or_b64 exec, exec, s[4:5]
	s_waitcnt lgkmcnt(0)
	; wave barrier
	s_waitcnt lgkmcnt(0)
	buffer_load_dword v10, off, s[0:3], 0 offset:776
	buffer_load_dword v11, off, s[0:3], 0 offset:780
	;; [unrolled: 1-line block ×12, first 2 shown]
	ds_read_b128 v[2:5], v1 offset:1536
	ds_read_b128 v[6:9], v1 offset:1552
	v_cmp_lt_u32_e32 vcc, 45, v254
	s_waitcnt vmcnt(10) lgkmcnt(1)
	v_mul_f64 v[22:23], v[2:3], v[10:11]
	v_mul_f64 v[10:11], v[4:5], v[10:11]
	s_waitcnt vmcnt(8) lgkmcnt(0)
	v_mul_f64 v[24:25], v[6:7], v[12:13]
	v_mul_f64 v[12:13], v[8:9], v[12:13]
	s_waitcnt vmcnt(6)
	v_fma_f64 v[2:3], v[2:3], v[14:15], -v[10:11]
	v_fmac_f64_e32 v[22:23], v[4:5], v[14:15]
	s_waitcnt vmcnt(4)
	v_fma_f64 v[4:5], v[6:7], v[16:17], -v[12:13]
	v_add_f64 v[2:3], v[2:3], 0
	v_fmac_f64_e32 v[24:25], v[8:9], v[16:17]
	v_add_f64 v[6:7], v[22:23], 0
	v_add_f64 v[2:3], v[2:3], v[4:5]
	;; [unrolled: 1-line block ×3, first 2 shown]
	s_waitcnt vmcnt(2)
	v_add_f64 v[2:3], v[18:19], -v[2:3]
	s_waitcnt vmcnt(0)
	v_add_f64 v[4:5], v[20:21], -v[6:7]
	buffer_store_dword v2, off, s[0:3], 0 offset:752
	buffer_store_dword v3, off, s[0:3], 0 offset:756
	;; [unrolled: 1-line block ×4, first 2 shown]
	s_and_saveexec_b64 s[4:5], vcc
	s_cbranch_execz .LBB112_217
; %bb.216:
	v_accvgpr_read_b32 v0, a101
	buffer_load_dword v2, v0, s[0:3], 0 offen
	buffer_load_dword v3, v0, s[0:3], 0 offen offset:4
	buffer_load_dword v4, v0, s[0:3], 0 offen offset:8
	;; [unrolled: 1-line block ×3, first 2 shown]
	v_mov_b32_e32 v0, 0
	v_accvgpr_read_b32 v1, a147
	buffer_store_dword v0, off, s[0:3], 0 offset:736
	buffer_store_dword v0, off, s[0:3], 0 offset:740
	;; [unrolled: 1-line block ×4, first 2 shown]
	s_waitcnt vmcnt(4)
	ds_write_b128 v1, v[2:5]
.LBB112_217:
	s_or_b64 exec, exec, s[4:5]
	s_waitcnt lgkmcnt(0)
	; wave barrier
	s_waitcnt lgkmcnt(0)
	buffer_load_dword v14, off, s[0:3], 0 offset:760
	buffer_load_dword v15, off, s[0:3], 0 offset:764
	;; [unrolled: 1-line block ×16, first 2 shown]
	v_mov_b32_e32 v1, 0
	ds_read_b128 v[2:5], v1 offset:1520
	ds_read_b128 v[6:9], v1 offset:1536
	;; [unrolled: 1-line block ×3, first 2 shown]
	v_cmp_lt_u32_e32 vcc, 44, v254
	s_waitcnt vmcnt(14) lgkmcnt(2)
	v_mul_f64 v[30:31], v[2:3], v[14:15]
	v_mul_f64 v[14:15], v[4:5], v[14:15]
	s_waitcnt vmcnt(12) lgkmcnt(1)
	v_mul_f64 v[32:33], v[6:7], v[16:17]
	v_mul_f64 v[16:17], v[8:9], v[16:17]
	;; [unrolled: 3-line block ×3, first 2 shown]
	s_waitcnt vmcnt(8)
	v_fma_f64 v[2:3], v[2:3], v[20:21], -v[14:15]
	v_fmac_f64_e32 v[30:31], v[4:5], v[20:21]
	s_waitcnt vmcnt(6)
	v_fma_f64 v[4:5], v[6:7], v[22:23], -v[16:17]
	v_add_f64 v[2:3], v[2:3], 0
	v_fmac_f64_e32 v[32:33], v[8:9], v[22:23]
	s_waitcnt vmcnt(4)
	v_fma_f64 v[6:7], v[10:11], v[24:25], -v[18:19]
	v_add_f64 v[8:9], v[30:31], 0
	v_add_f64 v[2:3], v[2:3], v[4:5]
	v_fmac_f64_e32 v[34:35], v[12:13], v[24:25]
	v_add_f64 v[8:9], v[8:9], v[32:33]
	v_add_f64 v[2:3], v[2:3], v[6:7]
	;; [unrolled: 1-line block ×3, first 2 shown]
	s_waitcnt vmcnt(2)
	v_add_f64 v[2:3], v[26:27], -v[2:3]
	s_waitcnt vmcnt(0)
	v_add_f64 v[4:5], v[28:29], -v[4:5]
	buffer_store_dword v2, off, s[0:3], 0 offset:736
	buffer_store_dword v3, off, s[0:3], 0 offset:740
	;; [unrolled: 1-line block ×4, first 2 shown]
	s_and_saveexec_b64 s[4:5], vcc
	s_cbranch_execz .LBB112_219
; %bb.218:
	v_accvgpr_read_b32 v0, a102
	buffer_load_dword v2, v0, s[0:3], 0 offen
	buffer_load_dword v3, v0, s[0:3], 0 offen offset:4
	buffer_load_dword v4, v0, s[0:3], 0 offen offset:8
	;; [unrolled: 1-line block ×3, first 2 shown]
	v_accvgpr_read_b32 v0, a147
	buffer_store_dword v1, off, s[0:3], 0 offset:720
	buffer_store_dword v1, off, s[0:3], 0 offset:724
	;; [unrolled: 1-line block ×4, first 2 shown]
	s_waitcnt vmcnt(4)
	ds_write_b128 v0, v[2:5]
.LBB112_219:
	s_or_b64 exec, exec, s[4:5]
	s_waitcnt lgkmcnt(0)
	; wave barrier
	s_waitcnt lgkmcnt(0)
	buffer_load_dword v18, off, s[0:3], 0 offset:744
	buffer_load_dword v19, off, s[0:3], 0 offset:748
	;; [unrolled: 1-line block ×20, first 2 shown]
	ds_read_b128 v[2:5], v1 offset:1504
	ds_read_b128 v[6:9], v1 offset:1520
	;; [unrolled: 1-line block ×4, first 2 shown]
	v_cmp_lt_u32_e32 vcc, 43, v254
	s_waitcnt vmcnt(18) lgkmcnt(3)
	v_mul_f64 v[38:39], v[2:3], v[18:19]
	v_mul_f64 v[18:19], v[4:5], v[18:19]
	s_waitcnt vmcnt(16) lgkmcnt(2)
	v_mul_f64 v[40:41], v[6:7], v[20:21]
	v_mul_f64 v[20:21], v[8:9], v[20:21]
	;; [unrolled: 3-line block ×4, first 2 shown]
	s_waitcnt vmcnt(10)
	v_fma_f64 v[2:3], v[2:3], v[26:27], -v[18:19]
	v_fmac_f64_e32 v[38:39], v[4:5], v[26:27]
	s_waitcnt vmcnt(8)
	v_fma_f64 v[4:5], v[6:7], v[28:29], -v[20:21]
	v_add_f64 v[2:3], v[2:3], 0
	v_fmac_f64_e32 v[40:41], v[8:9], v[28:29]
	s_waitcnt vmcnt(6)
	v_fma_f64 v[6:7], v[10:11], v[30:31], -v[22:23]
	v_add_f64 v[10:11], v[38:39], 0
	v_add_f64 v[2:3], v[2:3], v[4:5]
	v_fmac_f64_e32 v[42:43], v[12:13], v[30:31]
	s_waitcnt vmcnt(4)
	v_fma_f64 v[8:9], v[14:15], v[32:33], -v[24:25]
	v_add_f64 v[10:11], v[10:11], v[40:41]
	v_add_f64 v[2:3], v[2:3], v[6:7]
	v_fmac_f64_e32 v[44:45], v[16:17], v[32:33]
	v_add_f64 v[4:5], v[10:11], v[42:43]
	v_add_f64 v[2:3], v[2:3], v[8:9]
	;; [unrolled: 1-line block ×3, first 2 shown]
	s_waitcnt vmcnt(2)
	v_add_f64 v[2:3], v[34:35], -v[2:3]
	s_waitcnt vmcnt(0)
	v_add_f64 v[4:5], v[36:37], -v[4:5]
	buffer_store_dword v2, off, s[0:3], 0 offset:720
	buffer_store_dword v3, off, s[0:3], 0 offset:724
	;; [unrolled: 1-line block ×4, first 2 shown]
	s_and_saveexec_b64 s[4:5], vcc
	s_cbranch_execz .LBB112_221
; %bb.220:
	v_accvgpr_read_b32 v0, a103
	buffer_load_dword v2, v0, s[0:3], 0 offen
	buffer_load_dword v3, v0, s[0:3], 0 offen offset:4
	buffer_load_dword v4, v0, s[0:3], 0 offen offset:8
	;; [unrolled: 1-line block ×3, first 2 shown]
	v_mov_b32_e32 v0, 0
	v_accvgpr_read_b32 v1, a147
	buffer_store_dword v0, off, s[0:3], 0 offset:704
	buffer_store_dword v0, off, s[0:3], 0 offset:708
	;; [unrolled: 1-line block ×4, first 2 shown]
	s_waitcnt vmcnt(4)
	ds_write_b128 v1, v[2:5]
.LBB112_221:
	s_or_b64 exec, exec, s[4:5]
	s_waitcnt lgkmcnt(0)
	; wave barrier
	s_waitcnt lgkmcnt(0)
	buffer_load_dword v22, off, s[0:3], 0 offset:728
	buffer_load_dword v23, off, s[0:3], 0 offset:732
	;; [unrolled: 1-line block ×24, first 2 shown]
	v_mov_b32_e32 v1, 0
	ds_read_b128 v[2:5], v1 offset:1488
	ds_read_b128 v[6:9], v1 offset:1504
	;; [unrolled: 1-line block ×5, first 2 shown]
	v_cmp_lt_u32_e32 vcc, 42, v254
	s_waitcnt vmcnt(22) lgkmcnt(4)
	v_mul_f64 v[46:47], v[2:3], v[22:23]
	v_mul_f64 v[22:23], v[4:5], v[22:23]
	s_waitcnt vmcnt(20) lgkmcnt(3)
	v_mul_f64 v[48:49], v[6:7], v[24:25]
	v_mul_f64 v[24:25], v[8:9], v[24:25]
	;; [unrolled: 3-line block ×4, first 2 shown]
	s_waitcnt vmcnt(13) lgkmcnt(0)
	v_mul_f64 v[54:55], v[18:19], v[28:29]
	s_waitcnt vmcnt(11)
	v_fma_f64 v[2:3], v[2:3], v[34:35], -v[22:23]
	v_fmac_f64_e32 v[46:47], v[4:5], v[34:35]
	s_waitcnt vmcnt(9)
	v_fma_f64 v[4:5], v[6:7], v[36:37], -v[24:25]
	v_add_f64 v[2:3], v[2:3], 0
	v_fmac_f64_e32 v[48:49], v[8:9], v[36:37]
	s_waitcnt vmcnt(7)
	v_fmac_f64_e32 v[50:51], v[12:13], v[38:39]
	v_fma_f64 v[6:7], v[10:11], v[38:39], -v[26:27]
	v_add_f64 v[12:13], v[46:47], 0
	v_add_f64 v[2:3], v[2:3], v[4:5]
	v_mul_f64 v[28:29], v[20:21], v[28:29]
	s_waitcnt vmcnt(5)
	v_fma_f64 v[8:9], v[14:15], v[40:41], -v[32:33]
	v_add_f64 v[12:13], v[12:13], v[48:49]
	v_add_f64 v[2:3], v[2:3], v[6:7]
	v_fmac_f64_e32 v[52:53], v[16:17], v[40:41]
	s_waitcnt vmcnt(4)
	v_fma_f64 v[10:11], v[18:19], v[30:31], -v[28:29]
	v_add_f64 v[4:5], v[12:13], v[50:51]
	v_add_f64 v[2:3], v[2:3], v[8:9]
	v_fmac_f64_e32 v[54:55], v[20:21], v[30:31]
	v_add_f64 v[4:5], v[4:5], v[52:53]
	v_add_f64 v[2:3], v[2:3], v[10:11]
	v_add_f64 v[4:5], v[4:5], v[54:55]
	s_waitcnt vmcnt(2)
	v_add_f64 v[2:3], v[42:43], -v[2:3]
	s_waitcnt vmcnt(0)
	v_add_f64 v[4:5], v[44:45], -v[4:5]
	buffer_store_dword v3, off, s[0:3], 0 offset:708
	buffer_store_dword v2, off, s[0:3], 0 offset:704
	;; [unrolled: 1-line block ×4, first 2 shown]
	s_and_saveexec_b64 s[4:5], vcc
	s_cbranch_execz .LBB112_223
; %bb.222:
	v_accvgpr_read_b32 v0, a104
	buffer_load_dword v2, v0, s[0:3], 0 offen
	buffer_load_dword v3, v0, s[0:3], 0 offen offset:4
	buffer_load_dword v4, v0, s[0:3], 0 offen offset:8
	;; [unrolled: 1-line block ×3, first 2 shown]
	v_accvgpr_read_b32 v0, a147
	buffer_store_dword v1, off, s[0:3], 0 offset:688
	buffer_store_dword v1, off, s[0:3], 0 offset:692
	;; [unrolled: 1-line block ×4, first 2 shown]
	s_waitcnt vmcnt(4)
	ds_write_b128 v0, v[2:5]
.LBB112_223:
	s_or_b64 exec, exec, s[4:5]
	s_waitcnt lgkmcnt(0)
	; wave barrier
	s_waitcnt lgkmcnt(0)
	buffer_load_dword v26, off, s[0:3], 0 offset:712
	buffer_load_dword v27, off, s[0:3], 0 offset:716
	;; [unrolled: 1-line block ×28, first 2 shown]
	ds_read_b128 v[2:5], v1 offset:1472
	ds_read_b128 v[6:9], v1 offset:1488
	;; [unrolled: 1-line block ×6, first 2 shown]
	v_cmp_lt_u32_e32 vcc, 41, v254
	s_waitcnt vmcnt(26) lgkmcnt(5)
	v_mul_f64 v[54:55], v[2:3], v[26:27]
	v_mul_f64 v[26:27], v[4:5], v[26:27]
	s_waitcnt vmcnt(24) lgkmcnt(4)
	v_mul_f64 v[56:57], v[6:7], v[28:29]
	v_mul_f64 v[28:29], v[8:9], v[28:29]
	;; [unrolled: 3-line block ×4, first 2 shown]
	s_waitcnt vmcnt(17)
	v_mul_f64 v[60:61], v[14:15], v[36:37]
	v_mul_f64 v[36:37], v[16:17], v[36:37]
	s_waitcnt vmcnt(15) lgkmcnt(0)
	v_mul_f64 v[64:65], v[22:23], v[38:39]
	v_mul_f64 v[38:39], v[24:25], v[38:39]
	s_waitcnt vmcnt(14)
	v_fmac_f64_e32 v[62:63], v[20:21], v[34:35]
	s_waitcnt vmcnt(12)
	v_fma_f64 v[2:3], v[2:3], v[40:41], -v[26:27]
	v_fmac_f64_e32 v[54:55], v[4:5], v[40:41]
	s_waitcnt vmcnt(10)
	v_fma_f64 v[4:5], v[6:7], v[42:43], -v[28:29]
	v_add_f64 v[2:3], v[2:3], 0
	v_fmac_f64_e32 v[56:57], v[8:9], v[42:43]
	s_waitcnt vmcnt(8)
	v_fma_f64 v[6:7], v[10:11], v[44:45], -v[30:31]
	s_waitcnt vmcnt(6)
	v_fma_f64 v[8:9], v[14:15], v[46:47], -v[36:37]
	v_add_f64 v[14:15], v[54:55], 0
	v_add_f64 v[2:3], v[2:3], v[4:5]
	v_fmac_f64_e32 v[58:59], v[12:13], v[44:45]
	v_add_f64 v[14:15], v[14:15], v[56:57]
	v_add_f64 v[2:3], v[2:3], v[6:7]
	v_fmac_f64_e32 v[60:61], v[16:17], v[46:47]
	v_fma_f64 v[10:11], v[18:19], v[34:35], -v[32:33]
	v_add_f64 v[4:5], v[14:15], v[58:59]
	v_add_f64 v[2:3], v[2:3], v[8:9]
	s_waitcnt vmcnt(4)
	v_fma_f64 v[12:13], v[22:23], v[48:49], -v[38:39]
	v_add_f64 v[4:5], v[4:5], v[60:61]
	v_add_f64 v[2:3], v[2:3], v[10:11]
	v_fmac_f64_e32 v[64:65], v[24:25], v[48:49]
	v_add_f64 v[4:5], v[4:5], v[62:63]
	v_add_f64 v[2:3], v[2:3], v[12:13]
	;; [unrolled: 1-line block ×3, first 2 shown]
	s_waitcnt vmcnt(2)
	v_add_f64 v[2:3], v[50:51], -v[2:3]
	s_waitcnt vmcnt(0)
	v_add_f64 v[4:5], v[52:53], -v[4:5]
	buffer_store_dword v3, off, s[0:3], 0 offset:692
	buffer_store_dword v2, off, s[0:3], 0 offset:688
	;; [unrolled: 1-line block ×4, first 2 shown]
	s_and_saveexec_b64 s[4:5], vcc
	s_cbranch_execz .LBB112_225
; %bb.224:
	v_accvgpr_read_b32 v0, a105
	buffer_load_dword v2, v0, s[0:3], 0 offen
	buffer_load_dword v3, v0, s[0:3], 0 offen offset:4
	buffer_load_dword v4, v0, s[0:3], 0 offen offset:8
	;; [unrolled: 1-line block ×3, first 2 shown]
	v_mov_b32_e32 v0, 0
	v_accvgpr_read_b32 v1, a147
	buffer_store_dword v0, off, s[0:3], 0 offset:672
	buffer_store_dword v0, off, s[0:3], 0 offset:676
	;; [unrolled: 1-line block ×4, first 2 shown]
	s_waitcnt vmcnt(4)
	ds_write_b128 v1, v[2:5]
.LBB112_225:
	s_or_b64 exec, exec, s[4:5]
	s_waitcnt lgkmcnt(0)
	; wave barrier
	s_waitcnt lgkmcnt(0)
	buffer_load_dword v30, off, s[0:3], 0 offset:696
	buffer_load_dword v31, off, s[0:3], 0 offset:700
	buffer_load_dword v32, off, s[0:3], 0 offset:712
	buffer_load_dword v33, off, s[0:3], 0 offset:716
	buffer_load_dword v34, off, s[0:3], 0 offset:728
	buffer_load_dword v35, off, s[0:3], 0 offset:732
	buffer_load_dword v37, off, s[0:3], 0 offset:764
	buffer_load_dword v36, off, s[0:3], 0 offset:760
	buffer_load_dword v38, off, s[0:3], 0 offset:752
	buffer_load_dword v41, off, s[0:3], 0 offset:748
	buffer_load_dword v40, off, s[0:3], 0 offset:744
	buffer_load_dword v42, off, s[0:3], 0 offset:792
	buffer_load_dword v44, off, s[0:3], 0 offset:784
	buffer_load_dword v47, off, s[0:3], 0 offset:780
	buffer_load_dword v46, off, s[0:3], 0 offset:776
	buffer_load_dword v43, off, s[0:3], 0 offset:796
	buffer_load_dword v39, off, s[0:3], 0 offset:756
	buffer_load_dword v48, off, s[0:3], 0 offset:688
	buffer_load_dword v49, off, s[0:3], 0 offset:692
	buffer_load_dword v50, off, s[0:3], 0 offset:704
	buffer_load_dword v51, off, s[0:3], 0 offset:708
	buffer_load_dword v52, off, s[0:3], 0 offset:720
	buffer_load_dword v53, off, s[0:3], 0 offset:724
	buffer_load_dword v55, off, s[0:3], 0 offset:740
	buffer_load_dword v54, off, s[0:3], 0 offset:736
	buffer_load_dword v57, off, s[0:3], 0 offset:772
	buffer_load_dword v56, off, s[0:3], 0 offset:768
	buffer_load_dword v45, off, s[0:3], 0 offset:788
	buffer_load_dword v58, off, s[0:3], 0 offset:672
	buffer_load_dword v59, off, s[0:3], 0 offset:676
	buffer_load_dword v60, off, s[0:3], 0 offset:680
	buffer_load_dword v61, off, s[0:3], 0 offset:684
	v_mov_b32_e32 v1, 0
	ds_read_b128 v[2:5], v1 offset:1456
	ds_read_b128 v[6:9], v1 offset:1472
	;; [unrolled: 1-line block ×7, first 2 shown]
	v_cmp_lt_u32_e32 vcc, 40, v254
	s_waitcnt vmcnt(30) lgkmcnt(6)
	v_mul_f64 v[62:63], v[2:3], v[30:31]
	v_mul_f64 v[30:31], v[4:5], v[30:31]
	s_waitcnt vmcnt(28) lgkmcnt(5)
	v_mul_f64 v[64:65], v[6:7], v[32:33]
	v_mul_f64 v[32:33], v[8:9], v[32:33]
	;; [unrolled: 3-line block ×4, first 2 shown]
	s_waitcnt vmcnt(21)
	v_mul_f64 v[68:69], v[14:15], v[40:41]
	v_mul_f64 v[40:41], v[16:17], v[40:41]
	s_waitcnt vmcnt(17) lgkmcnt(1)
	v_mul_f64 v[72:73], v[22:23], v[46:47]
	v_mul_f64 v[46:47], v[24:25], v[46:47]
	s_waitcnt vmcnt(16) lgkmcnt(0)
	v_mul_f64 v[74:75], v[26:27], v[42:43]
	v_mul_f64 v[42:43], v[28:29], v[42:43]
	s_waitcnt vmcnt(13)
	v_fma_f64 v[2:3], v[2:3], v[48:49], -v[30:31]
	v_fmac_f64_e32 v[62:63], v[4:5], v[48:49]
	s_waitcnt vmcnt(11)
	v_fma_f64 v[4:5], v[6:7], v[50:51], -v[32:33]
	v_add_f64 v[2:3], v[2:3], 0
	v_fmac_f64_e32 v[64:65], v[8:9], v[50:51]
	s_waitcnt vmcnt(9)
	v_fma_f64 v[6:7], v[10:11], v[52:53], -v[34:35]
	s_waitcnt vmcnt(7)
	v_fmac_f64_e32 v[68:69], v[16:17], v[54:55]
	v_add_f64 v[16:17], v[62:63], 0
	v_add_f64 v[2:3], v[2:3], v[4:5]
	v_fmac_f64_e32 v[66:67], v[12:13], v[52:53]
	v_fma_f64 v[8:9], v[14:15], v[54:55], -v[40:41]
	v_add_f64 v[16:17], v[16:17], v[64:65]
	v_add_f64 v[2:3], v[2:3], v[6:7]
	v_fma_f64 v[10:11], v[18:19], v[38:39], -v[36:37]
	v_add_f64 v[4:5], v[16:17], v[66:67]
	v_add_f64 v[2:3], v[2:3], v[8:9]
	v_fmac_f64_e32 v[70:71], v[20:21], v[38:39]
	s_waitcnt vmcnt(5)
	v_fma_f64 v[12:13], v[22:23], v[56:57], -v[46:47]
	v_add_f64 v[4:5], v[4:5], v[68:69]
	v_add_f64 v[2:3], v[2:3], v[10:11]
	v_fmac_f64_e32 v[72:73], v[24:25], v[56:57]
	s_waitcnt vmcnt(4)
	v_fma_f64 v[14:15], v[26:27], v[44:45], -v[42:43]
	v_add_f64 v[4:5], v[4:5], v[70:71]
	v_add_f64 v[2:3], v[2:3], v[12:13]
	v_fmac_f64_e32 v[74:75], v[28:29], v[44:45]
	v_add_f64 v[4:5], v[4:5], v[72:73]
	v_add_f64 v[2:3], v[2:3], v[14:15]
	;; [unrolled: 1-line block ×3, first 2 shown]
	s_waitcnt vmcnt(2)
	v_add_f64 v[2:3], v[58:59], -v[2:3]
	s_waitcnt vmcnt(0)
	v_add_f64 v[4:5], v[60:61], -v[4:5]
	buffer_store_dword v3, off, s[0:3], 0 offset:676
	buffer_store_dword v2, off, s[0:3], 0 offset:672
	;; [unrolled: 1-line block ×4, first 2 shown]
	s_and_saveexec_b64 s[4:5], vcc
	s_cbranch_execz .LBB112_227
; %bb.226:
	v_accvgpr_read_b32 v0, a106
	buffer_load_dword v2, v0, s[0:3], 0 offen
	buffer_load_dword v3, v0, s[0:3], 0 offen offset:4
	buffer_load_dword v4, v0, s[0:3], 0 offen offset:8
	;; [unrolled: 1-line block ×3, first 2 shown]
	v_accvgpr_read_b32 v0, a147
	buffer_store_dword v1, off, s[0:3], 0 offset:656
	buffer_store_dword v1, off, s[0:3], 0 offset:660
	;; [unrolled: 1-line block ×4, first 2 shown]
	s_waitcnt vmcnt(4)
	ds_write_b128 v0, v[2:5]
.LBB112_227:
	s_or_b64 exec, exec, s[4:5]
	s_waitcnt lgkmcnt(0)
	; wave barrier
	s_waitcnt lgkmcnt(0)
	buffer_load_dword v34, off, s[0:3], 0 offset:680
	buffer_load_dword v35, off, s[0:3], 0 offset:684
	;; [unrolled: 1-line block ×36, first 2 shown]
	ds_read_b128 v[2:5], v1 offset:1440
	ds_read_b128 v[6:9], v1 offset:1456
	;; [unrolled: 1-line block ×8, first 2 shown]
	v_cmp_lt_u32_e32 vcc, 39, v254
	s_waitcnt vmcnt(34) lgkmcnt(7)
	v_mul_f64 v[70:71], v[2:3], v[34:35]
	v_mul_f64 v[34:35], v[4:5], v[34:35]
	s_waitcnt vmcnt(32) lgkmcnt(6)
	v_mul_f64 v[72:73], v[6:7], v[36:37]
	v_mul_f64 v[36:37], v[8:9], v[36:37]
	;; [unrolled: 3-line block ×4, first 2 shown]
	s_waitcnt vmcnt(25)
	v_mul_f64 v[76:77], v[14:15], v[44:45]
	v_mul_f64 v[44:45], v[16:17], v[44:45]
	s_waitcnt vmcnt(23) lgkmcnt(1)
	v_mul_f64 v[82:83], v[26:27], v[46:47]
	v_mul_f64 v[46:47], v[28:29], v[46:47]
	s_waitcnt vmcnt(20)
	v_mul_f64 v[80:81], v[22:23], v[50:51]
	v_mul_f64 v[50:51], v[24:25], v[50:51]
	s_waitcnt vmcnt(18) lgkmcnt(0)
	v_mul_f64 v[84:85], v[30:31], v[52:53]
	s_waitcnt vmcnt(17)
	v_fmac_f64_e32 v[78:79], v[20:21], v[42:43]
	s_waitcnt vmcnt(16)
	v_fmac_f64_e32 v[82:83], v[28:29], v[48:49]
	s_waitcnt vmcnt(14)
	v_fma_f64 v[2:3], v[2:3], v[54:55], -v[34:35]
	v_fmac_f64_e32 v[70:71], v[4:5], v[54:55]
	s_waitcnt vmcnt(12)
	v_fma_f64 v[4:5], v[6:7], v[56:57], -v[36:37]
	v_add_f64 v[2:3], v[2:3], 0
	v_fmac_f64_e32 v[72:73], v[8:9], v[56:57]
	s_waitcnt vmcnt(10)
	v_fma_f64 v[6:7], v[10:11], v[58:59], -v[38:39]
	s_waitcnt vmcnt(8)
	v_fmac_f64_e32 v[76:77], v[16:17], v[60:61]
	v_add_f64 v[16:17], v[70:71], 0
	v_add_f64 v[2:3], v[2:3], v[4:5]
	v_fmac_f64_e32 v[74:75], v[12:13], v[58:59]
	v_fma_f64 v[8:9], v[14:15], v[60:61], -v[44:45]
	v_add_f64 v[16:17], v[16:17], v[72:73]
	v_add_f64 v[2:3], v[2:3], v[6:7]
	v_fma_f64 v[10:11], v[18:19], v[42:43], -v[40:41]
	v_add_f64 v[4:5], v[16:17], v[74:75]
	v_add_f64 v[2:3], v[2:3], v[8:9]
	s_waitcnt vmcnt(6)
	v_fma_f64 v[12:13], v[22:23], v[62:63], -v[50:51]
	v_add_f64 v[4:5], v[4:5], v[76:77]
	v_add_f64 v[2:3], v[2:3], v[10:11]
	v_fmac_f64_e32 v[80:81], v[24:25], v[62:63]
	v_fma_f64 v[14:15], v[26:27], v[48:49], -v[46:47]
	v_add_f64 v[4:5], v[4:5], v[78:79]
	v_add_f64 v[2:3], v[2:3], v[12:13]
	v_mul_f64 v[6:7], v[32:33], v[52:53]
	v_add_f64 v[4:5], v[4:5], v[80:81]
	v_add_f64 v[2:3], v[2:3], v[14:15]
	s_waitcnt vmcnt(4)
	v_fma_f64 v[6:7], v[30:31], v[64:65], -v[6:7]
	v_fmac_f64_e32 v[84:85], v[32:33], v[64:65]
	v_add_f64 v[4:5], v[4:5], v[82:83]
	v_add_f64 v[2:3], v[2:3], v[6:7]
	;; [unrolled: 1-line block ×3, first 2 shown]
	s_waitcnt vmcnt(2)
	v_add_f64 v[2:3], v[66:67], -v[2:3]
	s_waitcnt vmcnt(0)
	v_add_f64 v[4:5], v[68:69], -v[4:5]
	buffer_store_dword v3, off, s[0:3], 0 offset:660
	buffer_store_dword v2, off, s[0:3], 0 offset:656
	;; [unrolled: 1-line block ×4, first 2 shown]
	s_and_saveexec_b64 s[4:5], vcc
	s_cbranch_execz .LBB112_229
; %bb.228:
	v_accvgpr_read_b32 v0, a107
	buffer_load_dword v2, v0, s[0:3], 0 offen
	buffer_load_dword v3, v0, s[0:3], 0 offen offset:4
	buffer_load_dword v4, v0, s[0:3], 0 offen offset:8
	;; [unrolled: 1-line block ×3, first 2 shown]
	v_mov_b32_e32 v0, 0
	v_accvgpr_read_b32 v1, a147
	buffer_store_dword v0, off, s[0:3], 0 offset:640
	buffer_store_dword v0, off, s[0:3], 0 offset:644
	;; [unrolled: 1-line block ×4, first 2 shown]
	s_waitcnt vmcnt(4)
	ds_write_b128 v1, v[2:5]
.LBB112_229:
	s_or_b64 exec, exec, s[4:5]
	s_waitcnt lgkmcnt(0)
	; wave barrier
	s_waitcnt lgkmcnt(0)
	buffer_load_dword v38, off, s[0:3], 0 offset:664
	buffer_load_dword v39, off, s[0:3], 0 offset:668
	buffer_load_dword v40, off, s[0:3], 0 offset:680
	buffer_load_dword v41, off, s[0:3], 0 offset:684
	buffer_load_dword v42, off, s[0:3], 0 offset:696
	buffer_load_dword v43, off, s[0:3], 0 offset:700
	buffer_load_dword v45, off, s[0:3], 0 offset:732
	buffer_load_dword v44, off, s[0:3], 0 offset:728
	buffer_load_dword v47, off, s[0:3], 0 offset:724
	buffer_load_dword v46, off, s[0:3], 0 offset:720
	buffer_load_dword v49, off, s[0:3], 0 offset:716
	buffer_load_dword v48, off, s[0:3], 0 offset:712
	buffer_load_dword v51, off, s[0:3], 0 offset:764
	buffer_load_dword v50, off, s[0:3], 0 offset:760
	buffer_load_dword v53, off, s[0:3], 0 offset:756
	buffer_load_dword v52, off, s[0:3], 0 offset:752
	buffer_load_dword v55, off, s[0:3], 0 offset:748
	buffer_load_dword v54, off, s[0:3], 0 offset:744
	buffer_load_dword v56, off, s[0:3], 0 offset:792
	buffer_load_dword v58, off, s[0:3], 0 offset:784
	buffer_load_dword v61, off, s[0:3], 0 offset:780
	buffer_load_dword v60, off, s[0:3], 0 offset:776
	buffer_load_dword v57, off, s[0:3], 0 offset:796
	buffer_load_dword v62, off, s[0:3], 0 offset:656
	buffer_load_dword v63, off, s[0:3], 0 offset:660
	buffer_load_dword v64, off, s[0:3], 0 offset:672
	buffer_load_dword v65, off, s[0:3], 0 offset:676
	buffer_load_dword v66, off, s[0:3], 0 offset:688
	buffer_load_dword v67, off, s[0:3], 0 offset:692
	buffer_load_dword v69, off, s[0:3], 0 offset:708
	buffer_load_dword v68, off, s[0:3], 0 offset:704
	buffer_load_dword v71, off, s[0:3], 0 offset:740
	buffer_load_dword v70, off, s[0:3], 0 offset:736
	buffer_load_dword v73, off, s[0:3], 0 offset:772
	buffer_load_dword v72, off, s[0:3], 0 offset:768
	buffer_load_dword v59, off, s[0:3], 0 offset:788
	buffer_load_dword v74, off, s[0:3], 0 offset:640
	buffer_load_dword v75, off, s[0:3], 0 offset:644
	buffer_load_dword v76, off, s[0:3], 0 offset:648
	buffer_load_dword v77, off, s[0:3], 0 offset:652
	v_mov_b32_e32 v1, 0
	ds_read_b128 v[2:5], v1 offset:1424
	ds_read_b128 v[6:9], v1 offset:1440
	;; [unrolled: 1-line block ×9, first 2 shown]
	v_cmp_lt_u32_e32 vcc, 38, v254
	s_waitcnt vmcnt(38) lgkmcnt(8)
	v_mul_f64 v[78:79], v[2:3], v[38:39]
	v_mul_f64 v[38:39], v[4:5], v[38:39]
	s_waitcnt vmcnt(36) lgkmcnt(7)
	v_mul_f64 v[80:81], v[6:7], v[40:41]
	v_mul_f64 v[40:41], v[8:9], v[40:41]
	s_waitcnt vmcnt(34) lgkmcnt(6)
	v_mul_f64 v[82:83], v[10:11], v[42:43]
	v_mul_f64 v[42:43], v[12:13], v[42:43]
	s_waitcnt vmcnt(32) lgkmcnt(4)
	v_mul_f64 v[86:87], v[18:19], v[44:45]
	s_waitcnt vmcnt(30)
	v_fmac_f64_e32 v[86:87], v[20:21], v[46:47]
	s_waitcnt vmcnt(28)
	v_mul_f64 v[84:85], v[14:15], v[48:49]
	v_mul_f64 v[48:49], v[16:17], v[48:49]
	s_waitcnt vmcnt(26) lgkmcnt(2)
	v_mul_f64 v[90:91], v[26:27], v[50:51]
	s_waitcnt vmcnt(24)
	v_fmac_f64_e32 v[90:91], v[28:29], v[52:53]
	s_waitcnt vmcnt(22)
	v_mul_f64 v[88:89], v[22:23], v[54:55]
	s_waitcnt vmcnt(18) lgkmcnt(1)
	v_mul_f64 v[92:93], v[30:31], v[60:61]
	s_waitcnt vmcnt(17) lgkmcnt(0)
	v_mul_f64 v[94:95], v[34:35], v[56:57]
	s_waitcnt vmcnt(15)
	v_fma_f64 v[2:3], v[2:3], v[62:63], -v[38:39]
	v_fmac_f64_e32 v[78:79], v[4:5], v[62:63]
	s_waitcnt vmcnt(13)
	v_fma_f64 v[4:5], v[6:7], v[64:65], -v[40:41]
	v_add_f64 v[2:3], v[2:3], 0
	s_waitcnt vmcnt(11)
	v_fma_f64 v[6:7], v[10:11], v[66:67], -v[42:43]
	v_add_f64 v[2:3], v[2:3], v[4:5]
	v_fmac_f64_e32 v[80:81], v[8:9], v[64:65]
	s_waitcnt vmcnt(9)
	v_fma_f64 v[8:9], v[14:15], v[68:69], -v[48:49]
	v_add_f64 v[2:3], v[2:3], v[6:7]
	v_mul_f64 v[6:7], v[20:21], v[44:45]
	v_add_f64 v[2:3], v[2:3], v[8:9]
	v_fma_f64 v[6:7], v[18:19], v[46:47], -v[6:7]
	v_add_f64 v[2:3], v[2:3], v[6:7]
	v_mul_f64 v[6:7], v[24:25], v[54:55]
	v_add_f64 v[10:11], v[78:79], 0
	s_waitcnt vmcnt(7)
	v_fma_f64 v[6:7], v[22:23], v[70:71], -v[6:7]
	v_fmac_f64_e32 v[82:83], v[12:13], v[66:67]
	v_add_f64 v[10:11], v[10:11], v[80:81]
	v_add_f64 v[2:3], v[2:3], v[6:7]
	v_mul_f64 v[6:7], v[28:29], v[50:51]
	v_fmac_f64_e32 v[84:85], v[16:17], v[68:69]
	v_add_f64 v[4:5], v[10:11], v[82:83]
	v_fma_f64 v[6:7], v[26:27], v[52:53], -v[6:7]
	v_add_f64 v[4:5], v[4:5], v[84:85]
	v_add_f64 v[2:3], v[2:3], v[6:7]
	v_mul_f64 v[6:7], v[32:33], v[60:61]
	v_fmac_f64_e32 v[88:89], v[24:25], v[70:71]
	v_add_f64 v[4:5], v[4:5], v[86:87]
	s_waitcnt vmcnt(5)
	v_fma_f64 v[6:7], v[30:31], v[72:73], -v[6:7]
	v_add_f64 v[4:5], v[4:5], v[88:89]
	v_add_f64 v[2:3], v[2:3], v[6:7]
	v_mul_f64 v[6:7], v[36:37], v[56:57]
	v_fmac_f64_e32 v[92:93], v[32:33], v[72:73]
	v_add_f64 v[4:5], v[4:5], v[90:91]
	s_waitcnt vmcnt(4)
	v_fma_f64 v[6:7], v[34:35], v[58:59], -v[6:7]
	v_fmac_f64_e32 v[94:95], v[36:37], v[58:59]
	v_add_f64 v[4:5], v[4:5], v[92:93]
	v_add_f64 v[2:3], v[2:3], v[6:7]
	;; [unrolled: 1-line block ×3, first 2 shown]
	s_waitcnt vmcnt(2)
	v_add_f64 v[2:3], v[74:75], -v[2:3]
	s_waitcnt vmcnt(0)
	v_add_f64 v[4:5], v[76:77], -v[4:5]
	buffer_store_dword v3, off, s[0:3], 0 offset:644
	buffer_store_dword v2, off, s[0:3], 0 offset:640
	buffer_store_dword v5, off, s[0:3], 0 offset:652
	buffer_store_dword v4, off, s[0:3], 0 offset:648
	s_and_saveexec_b64 s[4:5], vcc
	s_cbranch_execz .LBB112_231
; %bb.230:
	v_accvgpr_read_b32 v0, a108
	buffer_load_dword v2, v0, s[0:3], 0 offen
	buffer_load_dword v3, v0, s[0:3], 0 offen offset:4
	buffer_load_dword v4, v0, s[0:3], 0 offen offset:8
	;; [unrolled: 1-line block ×3, first 2 shown]
	v_accvgpr_read_b32 v0, a147
	buffer_store_dword v1, off, s[0:3], 0 offset:624
	buffer_store_dword v1, off, s[0:3], 0 offset:628
	;; [unrolled: 1-line block ×4, first 2 shown]
	s_waitcnt vmcnt(4)
	ds_write_b128 v0, v[2:5]
.LBB112_231:
	s_or_b64 exec, exec, s[4:5]
	s_waitcnt lgkmcnt(0)
	; wave barrier
	s_waitcnt lgkmcnt(0)
	buffer_load_dword v4, off, s[0:3], 0 offset:640
	buffer_load_dword v5, off, s[0:3], 0 offset:644
	;; [unrolled: 1-line block ×44, first 2 shown]
	ds_read_b128 v[6:9], v1 offset:1408
	ds_read_b128 v[10:13], v1 offset:1424
	;; [unrolled: 1-line block ×10, first 2 shown]
	v_cmp_lt_u32_e32 vcc, 37, v254
	s_waitcnt vmcnt(40) lgkmcnt(9)
	v_mul_f64 v[86:87], v[6:7], v[46:47]
	v_mul_f64 v[46:47], v[8:9], v[46:47]
	s_waitcnt vmcnt(38) lgkmcnt(8)
	v_mul_f64 v[88:89], v[10:11], v[48:49]
	v_mul_f64 v[48:49], v[12:13], v[48:49]
	v_fmac_f64_e32 v[86:87], v[8:9], v[4:5]
	v_fma_f64 v[4:5], v[6:7], v[4:5], -v[46:47]
	s_waitcnt vmcnt(36) lgkmcnt(7)
	v_mul_f64 v[90:91], v[14:15], v[2:3]
	v_add_f64 v[4:5], v[4:5], 0
	v_mul_f64 v[2:3], v[16:17], v[2:3]
	v_add_f64 v[8:9], v[86:87], 0
	s_waitcnt vmcnt(30) lgkmcnt(6)
	v_mul_f64 v[92:93], v[18:19], v[54:55]
	s_waitcnt lgkmcnt(5)
	v_mul_f64 v[94:95], v[22:23], v[50:51]
	v_fmac_f64_e32 v[94:95], v[24:25], v[52:53]
	s_waitcnt vmcnt(28) lgkmcnt(3)
	v_mul_f64 v[98:99], v[30:31], v[56:57]
	s_waitcnt vmcnt(26)
	v_fmac_f64_e32 v[98:99], v[32:33], v[58:59]
	s_waitcnt vmcnt(24)
	v_mul_f64 v[96:97], v[26:27], v[60:61]
	s_waitcnt vmcnt(22) lgkmcnt(1)
	v_mul_f64 v[102:103], v[38:39], v[62:63]
	s_waitcnt vmcnt(20)
	v_fmac_f64_e32 v[102:103], v[40:41], v[64:65]
	s_waitcnt vmcnt(18)
	v_mul_f64 v[100:101], v[34:35], v[66:67]
	s_waitcnt vmcnt(16) lgkmcnt(0)
	v_mul_f64 v[104:105], v[42:43], v[68:69]
	s_waitcnt vmcnt(14)
	v_fma_f64 v[6:7], v[10:11], v[70:71], -v[48:49]
	v_add_f64 v[4:5], v[4:5], v[6:7]
	s_waitcnt vmcnt(12)
	v_fma_f64 v[2:3], v[14:15], v[72:73], -v[2:3]
	v_add_f64 v[2:3], v[4:5], v[2:3]
	v_mul_f64 v[4:5], v[20:21], v[54:55]
	s_waitcnt vmcnt(10)
	v_fma_f64 v[4:5], v[18:19], v[74:75], -v[4:5]
	v_add_f64 v[2:3], v[2:3], v[4:5]
	v_mul_f64 v[4:5], v[24:25], v[50:51]
	v_fma_f64 v[4:5], v[22:23], v[52:53], -v[4:5]
	v_add_f64 v[2:3], v[2:3], v[4:5]
	v_mul_f64 v[4:5], v[28:29], v[60:61]
	s_waitcnt vmcnt(8)
	v_fma_f64 v[4:5], v[26:27], v[76:77], -v[4:5]
	v_fmac_f64_e32 v[88:89], v[12:13], v[70:71]
	v_add_f64 v[2:3], v[2:3], v[4:5]
	v_mul_f64 v[4:5], v[32:33], v[56:57]
	v_fmac_f64_e32 v[90:91], v[16:17], v[72:73]
	v_add_f64 v[8:9], v[8:9], v[88:89]
	v_fma_f64 v[4:5], v[30:31], v[58:59], -v[4:5]
	v_fmac_f64_e32 v[92:93], v[20:21], v[74:75]
	v_add_f64 v[6:7], v[8:9], v[90:91]
	v_add_f64 v[2:3], v[2:3], v[4:5]
	v_mul_f64 v[4:5], v[36:37], v[66:67]
	v_add_f64 v[6:7], v[6:7], v[92:93]
	s_waitcnt vmcnt(6)
	v_fma_f64 v[4:5], v[34:35], v[78:79], -v[4:5]
	v_fmac_f64_e32 v[96:97], v[28:29], v[76:77]
	v_add_f64 v[6:7], v[6:7], v[94:95]
	v_add_f64 v[2:3], v[2:3], v[4:5]
	v_mul_f64 v[4:5], v[40:41], v[62:63]
	v_add_f64 v[6:7], v[6:7], v[96:97]
	v_fma_f64 v[4:5], v[38:39], v[64:65], -v[4:5]
	v_fmac_f64_e32 v[100:101], v[36:37], v[78:79]
	v_add_f64 v[6:7], v[6:7], v[98:99]
	v_add_f64 v[2:3], v[2:3], v[4:5]
	v_mul_f64 v[4:5], v[44:45], v[68:69]
	v_add_f64 v[6:7], v[6:7], v[100:101]
	s_waitcnt vmcnt(4)
	v_fma_f64 v[4:5], v[42:43], v[80:81], -v[4:5]
	v_fmac_f64_e32 v[104:105], v[44:45], v[80:81]
	v_add_f64 v[6:7], v[6:7], v[102:103]
	v_add_f64 v[2:3], v[2:3], v[4:5]
	;; [unrolled: 1-line block ×3, first 2 shown]
	s_waitcnt vmcnt(2)
	v_add_f64 v[2:3], v[82:83], -v[2:3]
	s_waitcnt vmcnt(0)
	v_add_f64 v[4:5], v[84:85], -v[6:7]
	buffer_store_dword v3, off, s[0:3], 0 offset:628
	buffer_store_dword v2, off, s[0:3], 0 offset:624
	;; [unrolled: 1-line block ×4, first 2 shown]
	s_and_saveexec_b64 s[4:5], vcc
	s_cbranch_execz .LBB112_233
; %bb.232:
	v_accvgpr_read_b32 v0, a109
	buffer_load_dword v2, v0, s[0:3], 0 offen
	buffer_load_dword v3, v0, s[0:3], 0 offen offset:4
	buffer_load_dword v4, v0, s[0:3], 0 offen offset:8
	;; [unrolled: 1-line block ×3, first 2 shown]
	v_mov_b32_e32 v0, 0
	v_accvgpr_read_b32 v1, a147
	buffer_store_dword v0, off, s[0:3], 0 offset:608
	buffer_store_dword v0, off, s[0:3], 0 offset:612
	;; [unrolled: 1-line block ×4, first 2 shown]
	s_waitcnt vmcnt(4)
	ds_write_b128 v1, v[2:5]
.LBB112_233:
	s_or_b64 exec, exec, s[4:5]
	v_mov_b32_e32 v1, 0
	s_waitcnt lgkmcnt(0)
	; wave barrier
	s_waitcnt lgkmcnt(0)
	ds_read_b128 v[14:17], v1 offset:1392
	ds_read_b128 v[10:13], v1 offset:1408
	;; [unrolled: 1-line block ×4, first 2 shown]
	buffer_load_dword v48, off, s[0:3], 0 offset:608
	buffer_load_dword v49, off, s[0:3], 0 offset:612
	;; [unrolled: 1-line block ×20, first 2 shown]
	v_cmp_lt_u32_e32 vcc, 36, v254
	s_waitcnt vmcnt(12) lgkmcnt(3)
	v_mul_f64 v[18:19], v[14:15], v[56:57]
	v_fmac_f64_e32 v[18:19], v[16:17], v[50:51]
	v_add_f64 v[18:19], v[18:19], 0
	v_mul_f64 v[16:17], v[16:17], v[56:57]
	s_waitcnt vmcnt(8) lgkmcnt(2)
	v_mul_f64 v[20:21], v[10:11], v[58:59]
	v_fmac_f64_e32 v[20:21], v[12:13], v[52:53]
	v_add_f64 v[18:19], v[18:19], v[20:21]
	v_fma_f64 v[14:15], v[14:15], v[50:51], -v[16:17]
	s_waitcnt vmcnt(4) lgkmcnt(1)
	v_mul_f64 v[20:21], v[6:7], v[60:61]
	v_fmac_f64_e32 v[20:21], v[8:9], v[54:55]
	v_add_f64 v[18:19], v[18:19], v[20:21]
	s_waitcnt vmcnt(0) lgkmcnt(0)
	v_mul_f64 v[20:21], v[2:3], v[64:65]
	v_fmac_f64_e32 v[20:21], v[4:5], v[62:63]
	v_add_f64 v[22:23], v[18:19], v[20:21]
	ds_read_b128 v[18:21], v1 offset:1456
	buffer_load_dword v67, off, s[0:3], 0 offset:692
	buffer_load_dword v66, off, s[0:3], 0 offset:688
	buffer_load_dword v69, off, s[0:3], 0 offset:700
	buffer_load_dword v68, off, s[0:3], 0 offset:696
	v_mul_f64 v[12:13], v[12:13], v[58:59]
	v_add_f64 v[14:15], v[14:15], 0
	v_fma_f64 v[10:11], v[10:11], v[52:53], -v[12:13]
	v_mul_f64 v[8:9], v[8:9], v[60:61]
	v_add_f64 v[10:11], v[14:15], v[10:11]
	v_fma_f64 v[6:7], v[6:7], v[54:55], -v[8:9]
	;; [unrolled: 3-line block ×3, first 2 shown]
	v_add_f64 v[2:3], v[6:7], v[2:3]
	s_waitcnt vmcnt(0) lgkmcnt(0)
	v_mul_f64 v[24:25], v[18:19], v[68:69]
	v_fmac_f64_e32 v[24:25], v[20:21], v[66:67]
	v_add_f64 v[26:27], v[22:23], v[24:25]
	ds_read_b128 v[22:25], v1 offset:1472
	buffer_load_dword v71, off, s[0:3], 0 offset:708
	buffer_load_dword v70, off, s[0:3], 0 offset:704
	buffer_load_dword v73, off, s[0:3], 0 offset:716
	buffer_load_dword v72, off, s[0:3], 0 offset:712
	v_mul_f64 v[4:5], v[20:21], v[68:69]
	v_fma_f64 v[4:5], v[18:19], v[66:67], -v[4:5]
	v_add_f64 v[2:3], v[2:3], v[4:5]
	s_waitcnt vmcnt(0) lgkmcnt(0)
	v_mul_f64 v[28:29], v[22:23], v[72:73]
	v_fmac_f64_e32 v[28:29], v[24:25], v[70:71]
	v_add_f64 v[30:31], v[26:27], v[28:29]
	ds_read_b128 v[26:29], v1 offset:1488
	buffer_load_dword v75, off, s[0:3], 0 offset:724
	buffer_load_dword v74, off, s[0:3], 0 offset:720
	buffer_load_dword v77, off, s[0:3], 0 offset:732
	buffer_load_dword v76, off, s[0:3], 0 offset:728
	v_mul_f64 v[4:5], v[24:25], v[72:73]
	v_fma_f64 v[4:5], v[22:23], v[70:71], -v[4:5]
	;; [unrolled: 12-line block ×6, first 2 shown]
	v_add_f64 v[2:3], v[2:3], v[4:5]
	s_waitcnt vmcnt(0) lgkmcnt(0)
	v_mul_f64 v[4:5], v[44:45], v[92:93]
	v_mul_f64 v[96:97], v[42:43], v[92:93]
	v_fma_f64 v[4:5], v[42:43], v[90:91], -v[4:5]
	v_fmac_f64_e32 v[96:97], v[44:45], v[90:91]
	v_add_f64 v[2:3], v[2:3], v[4:5]
	v_add_f64 v[94:95], v[94:95], v[96:97]
	v_add_f64 v[2:3], v[48:49], -v[2:3]
	v_add_f64 v[4:5], v[46:47], -v[94:95]
	buffer_store_dword v3, off, s[0:3], 0 offset:612
	buffer_store_dword v2, off, s[0:3], 0 offset:608
	;; [unrolled: 1-line block ×4, first 2 shown]
	s_and_saveexec_b64 s[4:5], vcc
	s_cbranch_execz .LBB112_235
; %bb.234:
	v_accvgpr_read_b32 v0, a110
	buffer_load_dword v2, v0, s[0:3], 0 offen
	buffer_load_dword v3, v0, s[0:3], 0 offen offset:4
	buffer_load_dword v4, v0, s[0:3], 0 offen offset:8
	;; [unrolled: 1-line block ×3, first 2 shown]
	v_accvgpr_read_b32 v0, a147
	buffer_store_dword v1, off, s[0:3], 0 offset:592
	buffer_store_dword v1, off, s[0:3], 0 offset:596
	buffer_store_dword v1, off, s[0:3], 0 offset:600
	buffer_store_dword v1, off, s[0:3], 0 offset:604
	s_waitcnt vmcnt(4)
	ds_write_b128 v0, v[2:5]
.LBB112_235:
	s_or_b64 exec, exec, s[4:5]
	s_waitcnt lgkmcnt(0)
	; wave barrier
	s_waitcnt lgkmcnt(0)
	ds_read_b128 v[14:17], v1 offset:1376
	ds_read_b128 v[10:13], v1 offset:1392
	;; [unrolled: 1-line block ×4, first 2 shown]
	buffer_load_dword v48, off, s[0:3], 0 offset:592
	buffer_load_dword v49, off, s[0:3], 0 offset:596
	;; [unrolled: 1-line block ×20, first 2 shown]
	v_cmp_lt_u32_e32 vcc, 35, v254
	s_waitcnt vmcnt(12) lgkmcnt(3)
	v_mul_f64 v[18:19], v[14:15], v[56:57]
	v_fmac_f64_e32 v[18:19], v[16:17], v[50:51]
	v_add_f64 v[18:19], v[18:19], 0
	v_mul_f64 v[16:17], v[16:17], v[56:57]
	s_waitcnt vmcnt(8) lgkmcnt(2)
	v_mul_f64 v[20:21], v[10:11], v[58:59]
	v_fmac_f64_e32 v[20:21], v[12:13], v[52:53]
	v_add_f64 v[18:19], v[18:19], v[20:21]
	v_fma_f64 v[14:15], v[14:15], v[50:51], -v[16:17]
	s_waitcnt vmcnt(4) lgkmcnt(1)
	v_mul_f64 v[20:21], v[6:7], v[60:61]
	v_fmac_f64_e32 v[20:21], v[8:9], v[54:55]
	v_add_f64 v[18:19], v[18:19], v[20:21]
	s_waitcnt vmcnt(0) lgkmcnt(0)
	v_mul_f64 v[20:21], v[2:3], v[64:65]
	v_fmac_f64_e32 v[20:21], v[4:5], v[62:63]
	v_add_f64 v[22:23], v[18:19], v[20:21]
	ds_read_b128 v[18:21], v1 offset:1440
	buffer_load_dword v67, off, s[0:3], 0 offset:676
	buffer_load_dword v66, off, s[0:3], 0 offset:672
	buffer_load_dword v69, off, s[0:3], 0 offset:684
	buffer_load_dword v68, off, s[0:3], 0 offset:680
	v_mul_f64 v[12:13], v[12:13], v[58:59]
	v_add_f64 v[14:15], v[14:15], 0
	v_fma_f64 v[10:11], v[10:11], v[52:53], -v[12:13]
	v_mul_f64 v[8:9], v[8:9], v[60:61]
	v_add_f64 v[10:11], v[14:15], v[10:11]
	v_fma_f64 v[6:7], v[6:7], v[54:55], -v[8:9]
	v_mul_f64 v[4:5], v[4:5], v[64:65]
	v_add_f64 v[6:7], v[10:11], v[6:7]
	v_fma_f64 v[2:3], v[2:3], v[62:63], -v[4:5]
	v_add_f64 v[2:3], v[6:7], v[2:3]
	s_waitcnt vmcnt(0) lgkmcnt(0)
	v_mul_f64 v[24:25], v[18:19], v[68:69]
	v_fmac_f64_e32 v[24:25], v[20:21], v[66:67]
	v_add_f64 v[26:27], v[22:23], v[24:25]
	ds_read_b128 v[22:25], v1 offset:1456
	buffer_load_dword v71, off, s[0:3], 0 offset:692
	buffer_load_dword v70, off, s[0:3], 0 offset:688
	buffer_load_dword v73, off, s[0:3], 0 offset:700
	buffer_load_dword v72, off, s[0:3], 0 offset:696
	v_mul_f64 v[4:5], v[20:21], v[68:69]
	v_fma_f64 v[4:5], v[18:19], v[66:67], -v[4:5]
	v_add_f64 v[2:3], v[2:3], v[4:5]
	s_waitcnt vmcnt(0) lgkmcnt(0)
	v_mul_f64 v[28:29], v[22:23], v[72:73]
	v_fmac_f64_e32 v[28:29], v[24:25], v[70:71]
	v_add_f64 v[30:31], v[26:27], v[28:29]
	ds_read_b128 v[26:29], v1 offset:1472
	buffer_load_dword v75, off, s[0:3], 0 offset:708
	buffer_load_dword v74, off, s[0:3], 0 offset:704
	buffer_load_dword v77, off, s[0:3], 0 offset:716
	buffer_load_dword v76, off, s[0:3], 0 offset:712
	v_mul_f64 v[4:5], v[24:25], v[72:73]
	v_fma_f64 v[4:5], v[22:23], v[70:71], -v[4:5]
	;; [unrolled: 12-line block ×7, first 2 shown]
	v_add_f64 v[2:3], v[2:3], v[4:5]
	s_waitcnt vmcnt(0) lgkmcnt(0)
	v_mul_f64 v[4:5], v[96:97], v[102:103]
	v_mul_f64 v[104:105], v[94:95], v[102:103]
	v_fma_f64 v[4:5], v[94:95], v[100:101], -v[4:5]
	v_fmac_f64_e32 v[104:105], v[96:97], v[100:101]
	v_add_f64 v[2:3], v[2:3], v[4:5]
	v_add_f64 v[98:99], v[98:99], v[104:105]
	v_add_f64 v[2:3], v[48:49], -v[2:3]
	v_add_f64 v[4:5], v[46:47], -v[98:99]
	buffer_store_dword v3, off, s[0:3], 0 offset:596
	buffer_store_dword v2, off, s[0:3], 0 offset:592
	;; [unrolled: 1-line block ×4, first 2 shown]
	s_and_saveexec_b64 s[4:5], vcc
	s_cbranch_execz .LBB112_237
; %bb.236:
	v_accvgpr_read_b32 v0, a111
	buffer_load_dword v2, v0, s[0:3], 0 offen
	buffer_load_dword v3, v0, s[0:3], 0 offen offset:4
	buffer_load_dword v4, v0, s[0:3], 0 offen offset:8
	;; [unrolled: 1-line block ×3, first 2 shown]
	v_mov_b32_e32 v0, 0
	v_accvgpr_read_b32 v1, a147
	buffer_store_dword v0, off, s[0:3], 0 offset:576
	buffer_store_dword v0, off, s[0:3], 0 offset:580
	;; [unrolled: 1-line block ×4, first 2 shown]
	s_waitcnt vmcnt(4)
	ds_write_b128 v1, v[2:5]
.LBB112_237:
	s_or_b64 exec, exec, s[4:5]
	s_waitcnt lgkmcnt(0)
	; wave barrier
	s_waitcnt lgkmcnt(0)
	buffer_load_dword v2, off, s[0:3], 0 offset:592
	buffer_load_dword v3, off, s[0:3], 0 offset:596
	buffer_load_dword v6, off, s[0:3], 0 offset:600
	buffer_load_dword v7, off, s[0:3], 0 offset:604
	buffer_load_dword v4, off, s[0:3], 0 offset:608
	buffer_load_dword v5, off, s[0:3], 0 offset:612
	buffer_load_dword v8, off, s[0:3], 0 offset:616
	buffer_load_dword v9, off, s[0:3], 0 offset:620
	buffer_load_dword v10, off, s[0:3], 0 offset:632
	buffer_load_dword v11, off, s[0:3], 0 offset:636
	buffer_load_dword v13, off, s[0:3], 0 offset:652
	buffer_load_dword v12, off, s[0:3], 0 offset:648
	buffer_load_dword v15, off, s[0:3], 0 offset:700
	buffer_load_dword v14, off, s[0:3], 0 offset:696
	buffer_load_dword v17, off, s[0:3], 0 offset:692
	buffer_load_dword v19, off, s[0:3], 0 offset:684
	buffer_load_dword v18, off, s[0:3], 0 offset:680
	buffer_load_dword v21, off, s[0:3], 0 offset:668
	buffer_load_dword v20, off, s[0:3], 0 offset:664
	buffer_load_dword v23, off, s[0:3], 0 offset:660
	buffer_load_dword v22, off, s[0:3], 0 offset:656
	buffer_load_dword v28, off, s[0:3], 0 offset:624
	buffer_load_dword v29, off, s[0:3], 0 offset:628
	buffer_load_dword v27, off, s[0:3], 0 offset:644
	buffer_load_dword v26, off, s[0:3], 0 offset:640
	buffer_load_dword v25, off, s[0:3], 0 offset:676
	buffer_load_dword v24, off, s[0:3], 0 offset:672
	buffer_load_dword v16, off, s[0:3], 0 offset:688
	buffer_load_dword v83, off, s[0:3], 0 offset:732
	buffer_load_dword v85, off, s[0:3], 0 offset:724
	buffer_load_dword v87, off, s[0:3], 0 offset:716
	buffer_load_dword v86, off, s[0:3], 0 offset:712
	buffer_load_dword v89, off, s[0:3], 0 offset:708
	buffer_load_dword v88, off, s[0:3], 0 offset:704
	buffer_load_dword v82, off, s[0:3], 0 offset:728
	buffer_load_dword v84, off, s[0:3], 0 offset:720
	buffer_load_dword v91, off, s[0:3], 0 offset:764
	buffer_load_dword v93, off, s[0:3], 0 offset:756
	buffer_load_dword v95, off, s[0:3], 0 offset:748
	buffer_load_dword v94, off, s[0:3], 0 offset:744
	buffer_load_dword v97, off, s[0:3], 0 offset:740
	buffer_load_dword v96, off, s[0:3], 0 offset:736
	buffer_load_dword v90, off, s[0:3], 0 offset:760
	buffer_load_dword v92, off, s[0:3], 0 offset:752
	buffer_load_dword v99, off, s[0:3], 0 offset:796
	buffer_load_dword v101, off, s[0:3], 0 offset:788
	buffer_load_dword v103, off, s[0:3], 0 offset:780
	buffer_load_dword v102, off, s[0:3], 0 offset:776
	buffer_load_dword v105, off, s[0:3], 0 offset:772
	buffer_load_dword v104, off, s[0:3], 0 offset:768
	buffer_load_dword v98, off, s[0:3], 0 offset:792
	buffer_load_dword v100, off, s[0:3], 0 offset:784
	buffer_load_dword v106, off, s[0:3], 0 offset:576
	buffer_load_dword v107, off, s[0:3], 0 offset:580
	buffer_load_dword v108, off, s[0:3], 0 offset:584
	buffer_load_dword v109, off, s[0:3], 0 offset:588
	v_mov_b32_e32 v1, 0
	ds_read_b128 v[30:33], v1 offset:1360
	ds_read_b128 v[34:37], v1 offset:1376
	;; [unrolled: 1-line block ×9, first 2 shown]
	v_cmp_lt_u32_e32 vcc, 34, v254
	s_waitcnt vmcnt(52) lgkmcnt(8)
	v_mul_f64 v[62:63], v[30:31], v[6:7]
	v_fmac_f64_e32 v[62:63], v[32:33], v[2:3]
	v_mul_f64 v[6:7], v[32:33], v[6:7]
	v_add_f64 v[62:63], v[62:63], 0
	s_waitcnt vmcnt(48) lgkmcnt(7)
	v_mul_f64 v[64:65], v[34:35], v[8:9]
	v_fmac_f64_e32 v[64:65], v[36:37], v[4:5]
	s_waitcnt vmcnt(46) lgkmcnt(6)
	v_mul_f64 v[66:67], v[38:39], v[10:11]
	v_fma_f64 v[2:3], v[30:31], v[2:3], -v[6:7]
	v_mul_f64 v[6:7], v[36:37], v[8:9]
	s_waitcnt vmcnt(44) lgkmcnt(5)
	v_mul_f64 v[68:69], v[42:43], v[12:13]
	v_add_f64 v[62:63], v[62:63], v[64:65]
	v_add_f64 v[2:3], v[2:3], 0
	v_fma_f64 v[4:5], v[34:35], v[4:5], -v[6:7]
	v_add_f64 v[2:3], v[2:3], v[4:5]
	v_mul_f64 v[4:5], v[40:41], v[10:11]
	s_waitcnt vmcnt(37) lgkmcnt(4)
	v_mul_f64 v[70:71], v[46:47], v[20:21]
	s_waitcnt lgkmcnt(3)
	v_mul_f64 v[72:73], v[50:51], v[18:19]
	s_waitcnt vmcnt(35)
	v_fmac_f64_e32 v[70:71], v[48:49], v[22:23]
	s_waitcnt lgkmcnt(2)
	v_mul_f64 v[74:75], v[54:55], v[14:15]
	s_waitcnt vmcnt(33)
	v_fmac_f64_e32 v[66:67], v[40:41], v[28:29]
	v_add_f64 v[62:63], v[62:63], v[66:67]
	s_waitcnt vmcnt(31)
	v_fmac_f64_e32 v[68:69], v[44:45], v[26:27]
	v_add_f64 v[62:63], v[62:63], v[68:69]
	v_fma_f64 v[4:5], v[38:39], v[28:29], -v[4:5]
	s_waitcnt vmcnt(29)
	v_fmac_f64_e32 v[72:73], v[52:53], v[24:25]
	v_add_f64 v[62:63], v[62:63], v[70:71]
	v_add_f64 v[2:3], v[2:3], v[4:5]
	v_mul_f64 v[4:5], v[44:45], v[12:13]
	s_waitcnt vmcnt(28)
	v_fmac_f64_e32 v[74:75], v[56:57], v[16:17]
	v_add_f64 v[62:63], v[62:63], v[72:73]
	v_fma_f64 v[4:5], v[42:43], v[26:27], -v[4:5]
	v_add_f64 v[66:67], v[62:63], v[74:75]
	ds_read_b128 v[62:65], v1 offset:1488
	s_waitcnt vmcnt(24) lgkmcnt(2)
	v_mul_f64 v[68:69], v[58:59], v[86:87]
	v_add_f64 v[2:3], v[2:3], v[4:5]
	v_mul_f64 v[4:5], v[48:49], v[20:21]
	s_waitcnt vmcnt(22)
	v_fmac_f64_e32 v[68:69], v[60:61], v[88:89]
	v_fma_f64 v[4:5], v[46:47], v[22:23], -v[4:5]
	v_add_f64 v[70:71], v[66:67], v[68:69]
	ds_read_b128 v[66:69], v1 offset:1504
	v_add_f64 v[2:3], v[2:3], v[4:5]
	v_mul_f64 v[4:5], v[52:53], v[18:19]
	v_fma_f64 v[4:5], v[50:51], v[24:25], -v[4:5]
	v_add_f64 v[2:3], v[2:3], v[4:5]
	v_mul_f64 v[4:5], v[56:57], v[14:15]
	s_waitcnt vmcnt(21) lgkmcnt(1)
	v_mul_f64 v[72:73], v[62:63], v[82:83]
	v_fma_f64 v[4:5], v[54:55], v[16:17], -v[4:5]
	s_waitcnt vmcnt(20)
	v_fmac_f64_e32 v[72:73], v[64:65], v[84:85]
	v_add_f64 v[2:3], v[2:3], v[4:5]
	v_mul_f64 v[4:5], v[60:61], v[86:87]
	v_add_f64 v[74:75], v[70:71], v[72:73]
	ds_read_b128 v[70:73], v1 offset:1520
	s_waitcnt vmcnt(16) lgkmcnt(1)
	v_mul_f64 v[76:77], v[66:67], v[94:95]
	v_fma_f64 v[4:5], v[58:59], v[88:89], -v[4:5]
	s_waitcnt vmcnt(14)
	v_fmac_f64_e32 v[76:77], v[68:69], v[96:97]
	v_add_f64 v[2:3], v[2:3], v[4:5]
	v_mul_f64 v[4:5], v[64:65], v[82:83]
	v_add_f64 v[110:111], v[74:75], v[76:77]
	ds_read_b128 v[74:77], v1 offset:1536
	v_fma_f64 v[4:5], v[62:63], v[84:85], -v[4:5]
	v_add_f64 v[2:3], v[2:3], v[4:5]
	v_mul_f64 v[4:5], v[68:69], v[94:95]
	v_fma_f64 v[4:5], v[66:67], v[96:97], -v[4:5]
	v_add_f64 v[2:3], v[2:3], v[4:5]
	s_waitcnt vmcnt(13) lgkmcnt(1)
	v_mul_f64 v[4:5], v[72:73], v[90:91]
	v_mul_f64 v[112:113], v[70:71], v[90:91]
	s_waitcnt vmcnt(12)
	v_fma_f64 v[4:5], v[70:71], v[92:93], -v[4:5]
	v_fmac_f64_e32 v[112:113], v[72:73], v[92:93]
	v_add_f64 v[2:3], v[2:3], v[4:5]
	s_waitcnt vmcnt(8) lgkmcnt(0)
	v_mul_f64 v[4:5], v[76:77], v[102:103]
	v_add_f64 v[110:111], v[110:111], v[112:113]
	v_mul_f64 v[112:113], v[74:75], v[102:103]
	s_waitcnt vmcnt(6)
	v_fma_f64 v[4:5], v[74:75], v[104:105], -v[4:5]
	v_fmac_f64_e32 v[112:113], v[76:77], v[104:105]
	v_add_f64 v[2:3], v[2:3], v[4:5]
	s_waitcnt vmcnt(5)
	v_mul_f64 v[4:5], v[80:81], v[98:99]
	v_add_f64 v[110:111], v[110:111], v[112:113]
	v_mul_f64 v[112:113], v[78:79], v[98:99]
	s_waitcnt vmcnt(4)
	v_fma_f64 v[4:5], v[78:79], v[100:101], -v[4:5]
	v_fmac_f64_e32 v[112:113], v[80:81], v[100:101]
	v_add_f64 v[2:3], v[2:3], v[4:5]
	v_add_f64 v[110:111], v[110:111], v[112:113]
	s_waitcnt vmcnt(2)
	v_add_f64 v[2:3], v[106:107], -v[2:3]
	s_waitcnt vmcnt(0)
	v_add_f64 v[4:5], v[108:109], -v[110:111]
	buffer_store_dword v3, off, s[0:3], 0 offset:580
	buffer_store_dword v2, off, s[0:3], 0 offset:576
	;; [unrolled: 1-line block ×4, first 2 shown]
	s_and_saveexec_b64 s[4:5], vcc
	s_cbranch_execz .LBB112_239
; %bb.238:
	v_accvgpr_read_b32 v0, a112
	buffer_load_dword v2, v0, s[0:3], 0 offen
	buffer_load_dword v3, v0, s[0:3], 0 offen offset:4
	buffer_load_dword v4, v0, s[0:3], 0 offen offset:8
	;; [unrolled: 1-line block ×3, first 2 shown]
	v_accvgpr_read_b32 v0, a147
	buffer_store_dword v1, off, s[0:3], 0 offset:560
	buffer_store_dword v1, off, s[0:3], 0 offset:564
	;; [unrolled: 1-line block ×4, first 2 shown]
	s_waitcnt vmcnt(4)
	ds_write_b128 v0, v[2:5]
.LBB112_239:
	s_or_b64 exec, exec, s[4:5]
	s_waitcnt lgkmcnt(0)
	; wave barrier
	s_waitcnt lgkmcnt(0)
	buffer_load_dword v2, off, s[0:3], 0 offset:576
	buffer_load_dword v3, off, s[0:3], 0 offset:580
	;; [unrolled: 1-line block ×60, first 2 shown]
	ds_read_b128 v[30:33], v1 offset:1344
	ds_read_b128 v[34:37], v1 offset:1360
	;; [unrolled: 1-line block ×8, first 2 shown]
	v_cmp_lt_u32_e32 vcc, 33, v254
	ds_read_b128 v[82:85], v1 offset:1552
	s_waitcnt vmcnt(56) lgkmcnt(8)
	v_mul_f64 v[62:63], v[30:31], v[6:7]
	v_fmac_f64_e32 v[62:63], v[32:33], v[2:3]
	v_add_f64 v[62:63], v[62:63], 0
	v_mul_f64 v[6:7], v[32:33], v[6:7]
	s_waitcnt vmcnt(52) lgkmcnt(7)
	v_mul_f64 v[64:65], v[34:35], v[8:9]
	v_fmac_f64_e32 v[64:65], v[36:37], v[4:5]
	s_waitcnt vmcnt(50) lgkmcnt(6)
	v_mul_f64 v[66:67], v[38:39], v[10:11]
	v_add_f64 v[62:63], v[62:63], v[64:65]
	s_waitcnt vmcnt(48) lgkmcnt(4)
	v_mul_f64 v[70:71], v[46:47], v[12:13]
	v_fma_f64 v[2:3], v[30:31], v[2:3], -v[6:7]
	s_waitcnt vmcnt(46)
	v_fmac_f64_e32 v[70:71], v[48:49], v[14:15]
	v_mul_f64 v[6:7], v[36:37], v[8:9]
	s_waitcnt vmcnt(44)
	v_mul_f64 v[68:69], v[42:43], v[16:17]
	v_add_f64 v[2:3], v[2:3], 0
	v_fma_f64 v[4:5], v[34:35], v[4:5], -v[6:7]
	v_add_f64 v[2:3], v[2:3], v[4:5]
	s_waitcnt vmcnt(40) lgkmcnt(3)
	v_mul_f64 v[72:73], v[50:51], v[22:23]
	v_mul_f64 v[4:5], v[40:41], v[10:11]
	s_waitcnt vmcnt(38)
	v_fmac_f64_e32 v[66:67], v[40:41], v[28:29]
	v_add_f64 v[62:63], v[62:63], v[66:67]
	s_waitcnt vmcnt(36)
	v_fmac_f64_e32 v[68:69], v[44:45], v[26:27]
	v_add_f64 v[62:63], v[62:63], v[68:69]
	;; [unrolled: 3-line block ×3, first 2 shown]
	s_waitcnt vmcnt(33) lgkmcnt(2)
	v_mul_f64 v[64:65], v[54:55], v[18:19]
	v_add_f64 v[62:63], v[62:63], v[72:73]
	s_waitcnt vmcnt(32)
	v_fmac_f64_e32 v[64:65], v[56:57], v[20:21]
	v_add_f64 v[66:67], v[62:63], v[64:65]
	ds_read_b128 v[62:65], v1 offset:1472
	v_fma_f64 v[4:5], v[38:39], v[28:29], -v[4:5]
	v_add_f64 v[2:3], v[2:3], v[4:5]
	v_mul_f64 v[4:5], v[44:45], v[16:17]
	v_fma_f64 v[4:5], v[42:43], v[26:27], -v[4:5]
	s_waitcnt vmcnt(28) lgkmcnt(2)
	v_mul_f64 v[68:69], v[58:59], v[90:91]
	v_add_f64 v[2:3], v[2:3], v[4:5]
	v_mul_f64 v[4:5], v[48:49], v[12:13]
	s_waitcnt vmcnt(26)
	v_fmac_f64_e32 v[68:69], v[60:61], v[92:93]
	v_fma_f64 v[4:5], v[46:47], v[14:15], -v[4:5]
	v_add_f64 v[70:71], v[66:67], v[68:69]
	ds_read_b128 v[66:69], v1 offset:1488
	s_waitcnt vmcnt(25) lgkmcnt(1)
	v_mul_f64 v[72:73], v[62:63], v[86:87]
	v_add_f64 v[2:3], v[2:3], v[4:5]
	v_mul_f64 v[4:5], v[52:53], v[22:23]
	s_waitcnt vmcnt(24)
	v_fmac_f64_e32 v[72:73], v[64:65], v[88:89]
	v_fma_f64 v[4:5], v[50:51], v[24:25], -v[4:5]
	v_add_f64 v[74:75], v[70:71], v[72:73]
	ds_read_b128 v[70:73], v1 offset:1504
	v_add_f64 v[2:3], v[2:3], v[4:5]
	v_mul_f64 v[4:5], v[56:57], v[18:19]
	v_fma_f64 v[4:5], v[54:55], v[20:21], -v[4:5]
	v_add_f64 v[2:3], v[2:3], v[4:5]
	v_mul_f64 v[4:5], v[60:61], v[90:91]
	s_waitcnt vmcnt(20) lgkmcnt(1)
	v_mul_f64 v[76:77], v[66:67], v[98:99]
	v_fma_f64 v[4:5], v[58:59], v[92:93], -v[4:5]
	s_waitcnt vmcnt(18)
	v_fmac_f64_e32 v[76:77], v[68:69], v[100:101]
	v_add_f64 v[2:3], v[2:3], v[4:5]
	v_mul_f64 v[4:5], v[64:65], v[86:87]
	v_add_f64 v[78:79], v[74:75], v[76:77]
	ds_read_b128 v[74:77], v1 offset:1520
	s_waitcnt vmcnt(17) lgkmcnt(1)
	v_mul_f64 v[80:81], v[70:71], v[94:95]
	v_fma_f64 v[4:5], v[62:63], v[88:89], -v[4:5]
	s_waitcnt vmcnt(16)
	v_fmac_f64_e32 v[80:81], v[72:73], v[96:97]
	v_add_f64 v[2:3], v[2:3], v[4:5]
	v_mul_f64 v[4:5], v[68:69], v[98:99]
	v_add_f64 v[118:119], v[78:79], v[80:81]
	ds_read_b128 v[78:81], v1 offset:1536
	v_fma_f64 v[4:5], v[66:67], v[100:101], -v[4:5]
	v_add_f64 v[2:3], v[2:3], v[4:5]
	v_mul_f64 v[4:5], v[72:73], v[94:95]
	v_fma_f64 v[4:5], v[70:71], v[96:97], -v[4:5]
	v_add_f64 v[2:3], v[2:3], v[4:5]
	s_waitcnt vmcnt(12) lgkmcnt(1)
	v_mul_f64 v[4:5], v[76:77], v[106:107]
	v_mul_f64 v[120:121], v[74:75], v[106:107]
	s_waitcnt vmcnt(10)
	v_fma_f64 v[4:5], v[74:75], v[108:109], -v[4:5]
	v_fmac_f64_e32 v[120:121], v[76:77], v[108:109]
	v_add_f64 v[2:3], v[2:3], v[4:5]
	s_waitcnt vmcnt(9) lgkmcnt(0)
	v_mul_f64 v[4:5], v[80:81], v[102:103]
	v_add_f64 v[118:119], v[118:119], v[120:121]
	v_mul_f64 v[120:121], v[78:79], v[102:103]
	s_waitcnt vmcnt(8)
	v_fma_f64 v[4:5], v[78:79], v[104:105], -v[4:5]
	v_fmac_f64_e32 v[120:121], v[80:81], v[104:105]
	v_add_f64 v[2:3], v[2:3], v[4:5]
	s_waitcnt vmcnt(6)
	v_mul_f64 v[4:5], v[84:85], v[110:111]
	v_add_f64 v[118:119], v[118:119], v[120:121]
	v_mul_f64 v[120:121], v[82:83], v[110:111]
	s_waitcnt vmcnt(4)
	v_fma_f64 v[4:5], v[82:83], v[112:113], -v[4:5]
	v_fmac_f64_e32 v[120:121], v[84:85], v[112:113]
	v_add_f64 v[2:3], v[2:3], v[4:5]
	v_add_f64 v[118:119], v[118:119], v[120:121]
	s_waitcnt vmcnt(2)
	v_add_f64 v[2:3], v[114:115], -v[2:3]
	s_waitcnt vmcnt(0)
	v_add_f64 v[4:5], v[116:117], -v[118:119]
	buffer_store_dword v3, off, s[0:3], 0 offset:564
	buffer_store_dword v2, off, s[0:3], 0 offset:560
	buffer_store_dword v5, off, s[0:3], 0 offset:572
	buffer_store_dword v4, off, s[0:3], 0 offset:568
	s_and_saveexec_b64 s[4:5], vcc
	s_cbranch_execz .LBB112_241
; %bb.240:
	v_accvgpr_read_b32 v0, a113
	buffer_load_dword v2, v0, s[0:3], 0 offen
	buffer_load_dword v3, v0, s[0:3], 0 offen offset:4
	buffer_load_dword v4, v0, s[0:3], 0 offen offset:8
	;; [unrolled: 1-line block ×3, first 2 shown]
	v_mov_b32_e32 v0, 0
	v_accvgpr_read_b32 v1, a147
	buffer_store_dword v0, off, s[0:3], 0 offset:544
	buffer_store_dword v0, off, s[0:3], 0 offset:548
	;; [unrolled: 1-line block ×4, first 2 shown]
	s_waitcnt vmcnt(4)
	ds_write_b128 v1, v[2:5]
.LBB112_241:
	s_or_b64 exec, exec, s[4:5]
	s_waitcnt lgkmcnt(0)
	; wave barrier
	s_waitcnt lgkmcnt(0)
	buffer_load_dword v2, off, s[0:3], 0 offset:560
	buffer_load_dword v3, off, s[0:3], 0 offset:564
	;; [unrolled: 1-line block ×64, first 2 shown]
	v_mov_b32_e32 v1, 0
	ds_read_b128 v[38:41], v1 offset:1328
	ds_read_b128 v[42:45], v1 offset:1344
	;; [unrolled: 1-line block ×7, first 2 shown]
	v_cmp_lt_u32_e32 vcc, 32, v254
	s_waitcnt vmcnt(60) lgkmcnt(6)
	v_mul_f64 v[62:63], v[38:39], v[4:5]
	v_fmac_f64_e32 v[62:63], v[40:41], v[2:3]
	s_waitcnt vmcnt(58) lgkmcnt(5)
	v_mul_f64 v[64:65], v[42:43], v[6:7]
	v_add_f64 v[62:63], v[62:63], 0
	s_waitcnt vmcnt(56) lgkmcnt(4)
	v_mul_f64 v[66:67], v[46:47], v[8:9]
	v_mul_f64 v[4:5], v[40:41], v[4:5]
	s_waitcnt vmcnt(54) lgkmcnt(2)
	v_mul_f64 v[70:71], v[54:55], v[10:11]
	v_fma_f64 v[2:3], v[38:39], v[2:3], -v[4:5]
	v_mul_f64 v[4:5], v[44:45], v[6:7]
	s_waitcnt vmcnt(51)
	v_mul_f64 v[68:69], v[50:51], v[14:15]
	v_add_f64 v[2:3], v[2:3], 0
	s_waitcnt vmcnt(49)
	v_fmac_f64_e32 v[64:65], v[44:45], v[20:21]
	v_add_f64 v[62:63], v[62:63], v[64:65]
	s_waitcnt vmcnt(47)
	v_fmac_f64_e32 v[66:67], v[48:49], v[18:19]
	;; [unrolled: 3-line block ×4, first 2 shown]
	v_add_f64 v[66:67], v[62:63], v[70:71]
	ds_read_b128 v[62:65], v1 offset:1424
	s_waitcnt vmcnt(40) lgkmcnt(2)
	v_mul_f64 v[68:69], v[58:59], v[26:27]
	v_fma_f64 v[4:5], v[42:43], v[20:21], -v[4:5]
	s_waitcnt vmcnt(38)
	v_fmac_f64_e32 v[68:69], v[60:61], v[28:29]
	v_add_f64 v[70:71], v[66:67], v[68:69]
	ds_read_b128 v[66:69], v1 offset:1440
	s_waitcnt vmcnt(37) lgkmcnt(1)
	v_mul_f64 v[72:73], v[62:63], v[22:23]
	s_waitcnt vmcnt(36)
	v_fmac_f64_e32 v[72:73], v[64:65], v[24:25]
	v_add_f64 v[2:3], v[2:3], v[4:5]
	v_mul_f64 v[4:5], v[48:49], v[8:9]
	v_add_f64 v[74:75], v[70:71], v[72:73]
	ds_read_b128 v[70:73], v1 offset:1456
	s_waitcnt vmcnt(32) lgkmcnt(1)
	v_mul_f64 v[76:77], v[66:67], v[34:35]
	v_fma_f64 v[4:5], v[46:47], v[18:19], -v[4:5]
	s_waitcnt vmcnt(30)
	v_fmac_f64_e32 v[76:77], v[68:69], v[36:37]
	v_add_f64 v[2:3], v[2:3], v[4:5]
	v_mul_f64 v[4:5], v[52:53], v[14:15]
	v_add_f64 v[78:79], v[74:75], v[76:77]
	ds_read_b128 v[74:77], v1 offset:1472
	v_fma_f64 v[4:5], v[50:51], v[16:17], -v[4:5]
	v_add_f64 v[2:3], v[2:3], v[4:5]
	v_mul_f64 v[4:5], v[56:57], v[10:11]
	v_fma_f64 v[4:5], v[54:55], v[12:13], -v[4:5]
	s_waitcnt vmcnt(29) lgkmcnt(1)
	v_mul_f64 v[80:81], v[70:71], v[30:31]
	v_add_f64 v[2:3], v[2:3], v[4:5]
	v_mul_f64 v[4:5], v[60:61], v[26:27]
	s_waitcnt vmcnt(28)
	v_fmac_f64_e32 v[80:81], v[72:73], v[32:33]
	v_fma_f64 v[4:5], v[58:59], v[28:29], -v[4:5]
	v_add_f64 v[82:83], v[78:79], v[80:81]
	ds_read_b128 v[78:81], v1 offset:1488
	s_waitcnt vmcnt(24) lgkmcnt(1)
	v_mul_f64 v[84:85], v[74:75], v[102:103]
	v_add_f64 v[2:3], v[2:3], v[4:5]
	v_mul_f64 v[4:5], v[64:65], v[22:23]
	s_waitcnt vmcnt(22)
	v_fmac_f64_e32 v[84:85], v[76:77], v[104:105]
	v_fma_f64 v[4:5], v[62:63], v[24:25], -v[4:5]
	v_add_f64 v[86:87], v[82:83], v[84:85]
	ds_read_b128 v[82:85], v1 offset:1504
	v_add_f64 v[2:3], v[2:3], v[4:5]
	v_mul_f64 v[4:5], v[68:69], v[34:35]
	v_fma_f64 v[4:5], v[66:67], v[36:37], -v[4:5]
	v_add_f64 v[2:3], v[2:3], v[4:5]
	v_mul_f64 v[4:5], v[72:73], v[30:31]
	s_waitcnt vmcnt(21) lgkmcnt(1)
	v_mul_f64 v[88:89], v[78:79], v[98:99]
	v_fma_f64 v[4:5], v[70:71], v[32:33], -v[4:5]
	s_waitcnt vmcnt(20)
	v_fmac_f64_e32 v[88:89], v[80:81], v[100:101]
	v_add_f64 v[2:3], v[2:3], v[4:5]
	v_mul_f64 v[4:5], v[76:77], v[102:103]
	v_add_f64 v[90:91], v[86:87], v[88:89]
	ds_read_b128 v[86:89], v1 offset:1520
	s_waitcnt vmcnt(16) lgkmcnt(1)
	v_mul_f64 v[92:93], v[82:83], v[110:111]
	v_fma_f64 v[4:5], v[74:75], v[104:105], -v[4:5]
	s_waitcnt vmcnt(14)
	v_fmac_f64_e32 v[92:93], v[84:85], v[112:113]
	v_add_f64 v[2:3], v[2:3], v[4:5]
	v_mul_f64 v[4:5], v[80:81], v[98:99]
	v_add_f64 v[126:127], v[90:91], v[92:93]
	ds_read_b128 v[90:93], v1 offset:1536
	v_fma_f64 v[4:5], v[78:79], v[100:101], -v[4:5]
	v_add_f64 v[2:3], v[2:3], v[4:5]
	v_mul_f64 v[4:5], v[84:85], v[110:111]
	v_fma_f64 v[4:5], v[82:83], v[112:113], -v[4:5]
	v_add_f64 v[2:3], v[2:3], v[4:5]
	s_waitcnt vmcnt(13) lgkmcnt(1)
	v_mul_f64 v[4:5], v[88:89], v[106:107]
	v_mul_f64 v[128:129], v[86:87], v[106:107]
	s_waitcnt vmcnt(12)
	v_fma_f64 v[4:5], v[86:87], v[108:109], -v[4:5]
	v_fmac_f64_e32 v[128:129], v[88:89], v[108:109]
	v_add_f64 v[2:3], v[2:3], v[4:5]
	s_waitcnt vmcnt(8) lgkmcnt(0)
	v_mul_f64 v[4:5], v[92:93], v[118:119]
	v_add_f64 v[126:127], v[126:127], v[128:129]
	v_mul_f64 v[128:129], v[90:91], v[118:119]
	s_waitcnt vmcnt(6)
	v_fma_f64 v[4:5], v[90:91], v[120:121], -v[4:5]
	v_fmac_f64_e32 v[128:129], v[92:93], v[120:121]
	v_add_f64 v[2:3], v[2:3], v[4:5]
	s_waitcnt vmcnt(5)
	v_mul_f64 v[4:5], v[96:97], v[114:115]
	v_add_f64 v[126:127], v[126:127], v[128:129]
	v_mul_f64 v[128:129], v[94:95], v[114:115]
	s_waitcnt vmcnt(4)
	v_fma_f64 v[4:5], v[94:95], v[116:117], -v[4:5]
	v_fmac_f64_e32 v[128:129], v[96:97], v[116:117]
	v_add_f64 v[2:3], v[2:3], v[4:5]
	v_add_f64 v[126:127], v[126:127], v[128:129]
	s_waitcnt vmcnt(2)
	v_add_f64 v[2:3], v[122:123], -v[2:3]
	s_waitcnt vmcnt(0)
	v_add_f64 v[4:5], v[124:125], -v[126:127]
	buffer_store_dword v3, off, s[0:3], 0 offset:548
	buffer_store_dword v2, off, s[0:3], 0 offset:544
	;; [unrolled: 1-line block ×4, first 2 shown]
	s_and_saveexec_b64 s[4:5], vcc
	s_cbranch_execz .LBB112_243
; %bb.242:
	v_accvgpr_read_b32 v0, a114
	buffer_load_dword v2, v0, s[0:3], 0 offen
	buffer_load_dword v3, v0, s[0:3], 0 offen offset:4
	buffer_load_dword v4, v0, s[0:3], 0 offen offset:8
	;; [unrolled: 1-line block ×3, first 2 shown]
	v_accvgpr_read_b32 v0, a147
	buffer_store_dword v1, off, s[0:3], 0 offset:528
	buffer_store_dword v1, off, s[0:3], 0 offset:532
	;; [unrolled: 1-line block ×4, first 2 shown]
	s_waitcnt vmcnt(4)
	ds_write_b128 v0, v[2:5]
.LBB112_243:
	s_or_b64 exec, exec, s[4:5]
	s_waitcnt lgkmcnt(0)
	; wave barrier
	s_waitcnt lgkmcnt(0)
	buffer_load_dword v2, off, s[0:3], 0 offset:544
	buffer_load_dword v3, off, s[0:3], 0 offset:548
	;; [unrolled: 1-line block ×64, first 2 shown]
	ds_read_b128 v[46:49], v1 offset:1312
	ds_read_b128 v[50:53], v1 offset:1328
	;; [unrolled: 1-line block ×4, first 2 shown]
	buffer_load_dword v130, off, s[0:3], 0 offset:528
	buffer_load_dword v131, off, s[0:3], 0 offset:532
	;; [unrolled: 1-line block ×4, first 2 shown]
	v_cmp_lt_u32_e32 vcc, 31, v254
	ds_read_b128 v[106:109], v1 offset:1552
	s_waitcnt vmcnt(62) lgkmcnt(4)
	v_mul_f64 v[62:63], v[46:47], v[4:5]
	v_fmac_f64_e32 v[62:63], v[48:49], v[2:3]
	v_add_f64 v[62:63], v[62:63], 0
	s_waitcnt lgkmcnt(2)
	v_mul_f64 v[66:67], v[54:55], v[6:7]
	v_mul_f64 v[4:5], v[48:49], v[4:5]
	v_fma_f64 v[2:3], v[46:47], v[2:3], -v[4:5]
	s_waitcnt vmcnt(58) lgkmcnt(1)
	v_mul_f64 v[68:69], v[58:59], v[12:13]
	v_add_f64 v[2:3], v[2:3], 0
	s_waitcnt vmcnt(56)
	v_mul_f64 v[64:65], v[50:51], v[18:19]
	v_mul_f64 v[4:5], v[52:53], v[18:19]
	s_waitcnt vmcnt(53)
	v_fmac_f64_e32 v[66:67], v[56:57], v[16:17]
	s_waitcnt vmcnt(52)
	v_fmac_f64_e32 v[64:65], v[52:53], v[20:21]
	v_add_f64 v[70:71], v[62:63], v[64:65]
	ds_read_b128 v[62:65], v1 offset:1376
	v_add_f64 v[66:67], v[70:71], v[66:67]
	s_waitcnt vmcnt(50)
	v_fmac_f64_e32 v[68:69], v[60:61], v[14:15]
	v_add_f64 v[70:71], v[66:67], v[68:69]
	ds_read_b128 v[66:69], v1 offset:1392
	s_waitcnt vmcnt(49) lgkmcnt(1)
	v_mul_f64 v[72:73], v[62:63], v[8:9]
	s_waitcnt vmcnt(48)
	v_fmac_f64_e32 v[72:73], v[64:65], v[10:11]
	v_add_f64 v[74:75], v[70:71], v[72:73]
	ds_read_b128 v[70:73], v1 offset:1408
	s_waitcnt vmcnt(44) lgkmcnt(1)
	v_mul_f64 v[76:77], v[66:67], v[26:27]
	;; [unrolled: 6-line block ×3, first 2 shown]
	s_waitcnt vmcnt(40)
	v_fmac_f64_e32 v[80:81], v[72:73], v[24:25]
	v_add_f64 v[82:83], v[78:79], v[80:81]
	ds_read_b128 v[78:81], v1 offset:1440
	v_fma_f64 v[4:5], v[50:51], v[20:21], -v[4:5]
	v_add_f64 v[2:3], v[2:3], v[4:5]
	v_mul_f64 v[4:5], v[56:57], v[6:7]
	s_waitcnt vmcnt(36) lgkmcnt(1)
	v_mul_f64 v[84:85], v[74:75], v[34:35]
	v_fma_f64 v[4:5], v[54:55], v[16:17], -v[4:5]
	s_waitcnt vmcnt(34)
	v_fmac_f64_e32 v[84:85], v[76:77], v[36:37]
	v_add_f64 v[2:3], v[2:3], v[4:5]
	v_mul_f64 v[4:5], v[60:61], v[12:13]
	v_add_f64 v[86:87], v[82:83], v[84:85]
	ds_read_b128 v[82:85], v1 offset:1456
	s_waitcnt vmcnt(33) lgkmcnt(1)
	v_mul_f64 v[88:89], v[78:79], v[30:31]
	v_fma_f64 v[4:5], v[58:59], v[14:15], -v[4:5]
	s_waitcnt vmcnt(32)
	v_fmac_f64_e32 v[88:89], v[80:81], v[32:33]
	v_add_f64 v[2:3], v[2:3], v[4:5]
	v_mul_f64 v[4:5], v[64:65], v[8:9]
	v_add_f64 v[90:91], v[86:87], v[88:89]
	ds_read_b128 v[86:89], v1 offset:1472
	v_fma_f64 v[4:5], v[62:63], v[10:11], -v[4:5]
	v_add_f64 v[2:3], v[2:3], v[4:5]
	v_mul_f64 v[4:5], v[68:69], v[26:27]
	v_fma_f64 v[4:5], v[66:67], v[28:29], -v[4:5]
	s_waitcnt vmcnt(28) lgkmcnt(1)
	v_mul_f64 v[92:93], v[82:83], v[42:43]
	v_add_f64 v[2:3], v[2:3], v[4:5]
	v_mul_f64 v[4:5], v[72:73], v[22:23]
	s_waitcnt vmcnt(26)
	v_fmac_f64_e32 v[92:93], v[84:85], v[44:45]
	v_fma_f64 v[4:5], v[70:71], v[24:25], -v[4:5]
	v_add_f64 v[94:95], v[90:91], v[92:93]
	ds_read_b128 v[90:93], v1 offset:1488
	s_waitcnt vmcnt(25) lgkmcnt(1)
	v_mul_f64 v[96:97], v[86:87], v[38:39]
	v_add_f64 v[2:3], v[2:3], v[4:5]
	v_mul_f64 v[4:5], v[76:77], v[34:35]
	s_waitcnt vmcnt(24)
	v_fmac_f64_e32 v[96:97], v[88:89], v[40:41]
	v_fma_f64 v[4:5], v[74:75], v[36:37], -v[4:5]
	v_add_f64 v[98:99], v[94:95], v[96:97]
	ds_read_b128 v[94:97], v1 offset:1504
	v_add_f64 v[2:3], v[2:3], v[4:5]
	v_mul_f64 v[4:5], v[80:81], v[30:31]
	v_fma_f64 v[4:5], v[78:79], v[32:33], -v[4:5]
	v_add_f64 v[2:3], v[2:3], v[4:5]
	v_mul_f64 v[4:5], v[84:85], v[42:43]
	s_waitcnt vmcnt(20) lgkmcnt(1)
	v_mul_f64 v[100:101], v[90:91], v[114:115]
	v_fma_f64 v[4:5], v[82:83], v[44:45], -v[4:5]
	s_waitcnt vmcnt(18)
	v_fmac_f64_e32 v[100:101], v[92:93], v[116:117]
	v_add_f64 v[2:3], v[2:3], v[4:5]
	v_mul_f64 v[4:5], v[88:89], v[38:39]
	v_add_f64 v[102:103], v[98:99], v[100:101]
	ds_read_b128 v[98:101], v1 offset:1520
	s_waitcnt vmcnt(17) lgkmcnt(1)
	v_mul_f64 v[104:105], v[94:95], v[110:111]
	v_fma_f64 v[4:5], v[86:87], v[40:41], -v[4:5]
	s_waitcnt vmcnt(16)
	v_fmac_f64_e32 v[104:105], v[96:97], v[112:113]
	v_add_f64 v[2:3], v[2:3], v[4:5]
	v_mul_f64 v[4:5], v[92:93], v[114:115]
	v_add_f64 v[134:135], v[102:103], v[104:105]
	ds_read_b128 v[102:105], v1 offset:1536
	v_fma_f64 v[4:5], v[90:91], v[116:117], -v[4:5]
	v_add_f64 v[2:3], v[2:3], v[4:5]
	v_mul_f64 v[4:5], v[96:97], v[110:111]
	v_fma_f64 v[4:5], v[94:95], v[112:113], -v[4:5]
	v_add_f64 v[2:3], v[2:3], v[4:5]
	s_waitcnt vmcnt(12) lgkmcnt(1)
	v_mul_f64 v[4:5], v[100:101], v[122:123]
	v_mul_f64 v[136:137], v[98:99], v[122:123]
	s_waitcnt vmcnt(10)
	v_fma_f64 v[4:5], v[98:99], v[124:125], -v[4:5]
	v_fmac_f64_e32 v[136:137], v[100:101], v[124:125]
	v_add_f64 v[2:3], v[2:3], v[4:5]
	s_waitcnt vmcnt(9) lgkmcnt(0)
	v_mul_f64 v[4:5], v[104:105], v[118:119]
	v_add_f64 v[134:135], v[134:135], v[136:137]
	v_mul_f64 v[136:137], v[102:103], v[118:119]
	s_waitcnt vmcnt(8)
	v_fma_f64 v[4:5], v[102:103], v[120:121], -v[4:5]
	v_fmac_f64_e32 v[136:137], v[104:105], v[120:121]
	v_add_f64 v[2:3], v[2:3], v[4:5]
	s_waitcnt vmcnt(6)
	v_mul_f64 v[4:5], v[108:109], v[126:127]
	v_add_f64 v[134:135], v[134:135], v[136:137]
	v_mul_f64 v[136:137], v[106:107], v[126:127]
	s_waitcnt vmcnt(4)
	v_fma_f64 v[4:5], v[106:107], v[128:129], -v[4:5]
	v_fmac_f64_e32 v[136:137], v[108:109], v[128:129]
	v_add_f64 v[2:3], v[2:3], v[4:5]
	v_add_f64 v[134:135], v[134:135], v[136:137]
	s_waitcnt vmcnt(2)
	v_add_f64 v[2:3], v[130:131], -v[2:3]
	s_waitcnt vmcnt(0)
	v_add_f64 v[4:5], v[132:133], -v[134:135]
	buffer_store_dword v3, off, s[0:3], 0 offset:532
	buffer_store_dword v2, off, s[0:3], 0 offset:528
	;; [unrolled: 1-line block ×4, first 2 shown]
	s_and_saveexec_b64 s[4:5], vcc
	s_cbranch_execz .LBB112_245
; %bb.244:
	v_accvgpr_read_b32 v0, a115
	buffer_load_dword v2, v0, s[0:3], 0 offen
	buffer_load_dword v3, v0, s[0:3], 0 offen offset:4
	buffer_load_dword v4, v0, s[0:3], 0 offen offset:8
	;; [unrolled: 1-line block ×3, first 2 shown]
	v_mov_b32_e32 v0, 0
	v_accvgpr_read_b32 v1, a147
	buffer_store_dword v0, off, s[0:3], 0 offset:512
	buffer_store_dword v0, off, s[0:3], 0 offset:516
	;; [unrolled: 1-line block ×4, first 2 shown]
	s_waitcnt vmcnt(4)
	ds_write_b128 v1, v[2:5]
.LBB112_245:
	s_or_b64 exec, exec, s[4:5]
	s_waitcnt lgkmcnt(0)
	; wave barrier
	s_waitcnt lgkmcnt(0)
	buffer_load_dword v2, off, s[0:3], 0 offset:528
	buffer_load_dword v3, off, s[0:3], 0 offset:532
	;; [unrolled: 1-line block ×68, first 2 shown]
	v_mov_b32_e32 v1, 0
	buffer_load_dword v138, off, s[0:3], 0 offset:512
	buffer_load_dword v139, off, s[0:3], 0 offset:516
	;; [unrolled: 1-line block ×3, first 2 shown]
	ds_read_b128 v[46:49], v1 offset:1296
	ds_read_b128 v[50:53], v1 offset:1312
	buffer_load_dword v141, off, s[0:3], 0 offset:524
	ds_read_b128 v[54:57], v1 offset:1328
	ds_read_b128 v[58:61], v1 offset:1344
	;; [unrolled: 1-line block ×3, first 2 shown]
	v_cmp_lt_u32_e32 vcc, 30, v254
	s_waitcnt vmcnt(62) lgkmcnt(4)
	v_mul_f64 v[62:63], v[46:47], v[6:7]
	v_fmac_f64_e32 v[62:63], v[48:49], v[2:3]
	v_add_f64 v[62:63], v[62:63], 0
	v_mul_f64 v[6:7], v[48:49], v[6:7]
	s_waitcnt lgkmcnt(3)
	v_mul_f64 v[64:65], v[50:51], v[10:11]
	v_fmac_f64_e32 v[64:65], v[52:53], v[4:5]
	v_add_f64 v[62:63], v[62:63], v[64:65]
	v_fma_f64 v[2:3], v[46:47], v[2:3], -v[6:7]
	s_waitcnt vmcnt(60) lgkmcnt(2)
	v_mul_f64 v[64:65], v[54:55], v[12:13]
	v_fmac_f64_e32 v[64:65], v[56:57], v[8:9]
	v_add_f64 v[66:67], v[62:63], v[64:65]
	ds_read_b128 v[62:65], v1 offset:1360
	s_waitcnt vmcnt(56) lgkmcnt(2)
	v_mul_f64 v[68:69], v[58:59], v[18:19]
	v_mul_f64 v[6:7], v[52:53], v[10:11]
	s_waitcnt vmcnt(54)
	v_fmac_f64_e32 v[68:69], v[60:61], v[20:21]
	v_add_f64 v[70:71], v[66:67], v[68:69]
	ds_read_b128 v[66:69], v1 offset:1376
	s_waitcnt vmcnt(53) lgkmcnt(1)
	v_mul_f64 v[72:73], v[62:63], v[14:15]
	s_waitcnt vmcnt(52)
	v_fmac_f64_e32 v[72:73], v[64:65], v[16:17]
	v_add_f64 v[74:75], v[70:71], v[72:73]
	ds_read_b128 v[70:73], v1 offset:1392
	s_waitcnt vmcnt(48) lgkmcnt(1)
	;; [unrolled: 6-line block ×4, first 2 shown]
	v_mul_f64 v[84:85], v[74:75], v[34:35]
	s_waitcnt vmcnt(38)
	v_fmac_f64_e32 v[84:85], v[76:77], v[36:37]
	v_add_f64 v[2:3], v[2:3], 0
	v_fma_f64 v[4:5], v[50:51], v[4:5], -v[6:7]
	v_add_f64 v[86:87], v[82:83], v[84:85]
	ds_read_b128 v[82:85], v1 offset:1440
	v_add_f64 v[2:3], v[2:3], v[4:5]
	v_mul_f64 v[4:5], v[56:57], v[12:13]
	v_fma_f64 v[4:5], v[54:55], v[8:9], -v[4:5]
	v_add_f64 v[2:3], v[2:3], v[4:5]
	v_mul_f64 v[4:5], v[60:61], v[18:19]
	s_waitcnt vmcnt(37) lgkmcnt(1)
	v_mul_f64 v[88:89], v[78:79], v[30:31]
	v_fma_f64 v[4:5], v[58:59], v[20:21], -v[4:5]
	s_waitcnt vmcnt(36)
	v_fmac_f64_e32 v[88:89], v[80:81], v[32:33]
	v_add_f64 v[2:3], v[2:3], v[4:5]
	v_mul_f64 v[4:5], v[64:65], v[14:15]
	v_add_f64 v[90:91], v[86:87], v[88:89]
	ds_read_b128 v[86:89], v1 offset:1456
	s_waitcnt vmcnt(32) lgkmcnt(1)
	v_mul_f64 v[92:93], v[82:83], v[42:43]
	v_fma_f64 v[4:5], v[62:63], v[16:17], -v[4:5]
	s_waitcnt vmcnt(30)
	v_fmac_f64_e32 v[92:93], v[84:85], v[44:45]
	v_add_f64 v[2:3], v[2:3], v[4:5]
	v_mul_f64 v[4:5], v[68:69], v[26:27]
	v_add_f64 v[94:95], v[90:91], v[92:93]
	ds_read_b128 v[90:93], v1 offset:1472
	v_fma_f64 v[4:5], v[66:67], v[28:29], -v[4:5]
	v_add_f64 v[2:3], v[2:3], v[4:5]
	v_mul_f64 v[4:5], v[72:73], v[22:23]
	v_fma_f64 v[4:5], v[70:71], v[24:25], -v[4:5]
	s_waitcnt vmcnt(29) lgkmcnt(1)
	v_mul_f64 v[96:97], v[86:87], v[38:39]
	v_add_f64 v[2:3], v[2:3], v[4:5]
	v_mul_f64 v[4:5], v[76:77], v[34:35]
	s_waitcnt vmcnt(28)
	v_fmac_f64_e32 v[96:97], v[88:89], v[40:41]
	v_fma_f64 v[4:5], v[74:75], v[36:37], -v[4:5]
	v_add_f64 v[98:99], v[94:95], v[96:97]
	ds_read_b128 v[94:97], v1 offset:1488
	s_waitcnt vmcnt(24) lgkmcnt(1)
	v_mul_f64 v[100:101], v[90:91], v[118:119]
	v_add_f64 v[2:3], v[2:3], v[4:5]
	v_mul_f64 v[4:5], v[80:81], v[30:31]
	s_waitcnt vmcnt(22)
	v_fmac_f64_e32 v[100:101], v[92:93], v[120:121]
	v_fma_f64 v[4:5], v[78:79], v[32:33], -v[4:5]
	v_add_f64 v[102:103], v[98:99], v[100:101]
	ds_read_b128 v[98:101], v1 offset:1504
	v_add_f64 v[2:3], v[2:3], v[4:5]
	v_mul_f64 v[4:5], v[84:85], v[42:43]
	v_fma_f64 v[4:5], v[82:83], v[44:45], -v[4:5]
	v_add_f64 v[2:3], v[2:3], v[4:5]
	v_mul_f64 v[4:5], v[88:89], v[38:39]
	s_waitcnt vmcnt(21) lgkmcnt(1)
	v_mul_f64 v[104:105], v[94:95], v[114:115]
	v_fma_f64 v[4:5], v[86:87], v[40:41], -v[4:5]
	s_waitcnt vmcnt(20)
	v_fmac_f64_e32 v[104:105], v[96:97], v[116:117]
	v_add_f64 v[2:3], v[2:3], v[4:5]
	v_mul_f64 v[4:5], v[92:93], v[118:119]
	v_add_f64 v[106:107], v[102:103], v[104:105]
	ds_read_b128 v[102:105], v1 offset:1520
	s_waitcnt vmcnt(16) lgkmcnt(1)
	v_mul_f64 v[108:109], v[98:99], v[126:127]
	v_fma_f64 v[4:5], v[90:91], v[120:121], -v[4:5]
	s_waitcnt vmcnt(14)
	v_fmac_f64_e32 v[108:109], v[100:101], v[128:129]
	v_add_f64 v[2:3], v[2:3], v[4:5]
	v_mul_f64 v[4:5], v[96:97], v[114:115]
	v_add_f64 v[142:143], v[106:107], v[108:109]
	ds_read_b128 v[106:109], v1 offset:1536
	v_fma_f64 v[4:5], v[94:95], v[116:117], -v[4:5]
	v_add_f64 v[2:3], v[2:3], v[4:5]
	v_mul_f64 v[4:5], v[100:101], v[126:127]
	v_fma_f64 v[4:5], v[98:99], v[128:129], -v[4:5]
	v_add_f64 v[2:3], v[2:3], v[4:5]
	s_waitcnt vmcnt(13) lgkmcnt(1)
	v_mul_f64 v[4:5], v[104:105], v[122:123]
	v_mul_f64 v[144:145], v[102:103], v[122:123]
	s_waitcnt vmcnt(12)
	v_fma_f64 v[4:5], v[102:103], v[124:125], -v[4:5]
	v_fmac_f64_e32 v[144:145], v[104:105], v[124:125]
	v_add_f64 v[2:3], v[2:3], v[4:5]
	s_waitcnt vmcnt(8) lgkmcnt(0)
	v_mul_f64 v[4:5], v[108:109], v[134:135]
	v_add_f64 v[142:143], v[142:143], v[144:145]
	v_mul_f64 v[144:145], v[106:107], v[134:135]
	s_waitcnt vmcnt(6)
	v_fma_f64 v[4:5], v[106:107], v[136:137], -v[4:5]
	v_fmac_f64_e32 v[144:145], v[108:109], v[136:137]
	v_add_f64 v[2:3], v[2:3], v[4:5]
	s_waitcnt vmcnt(5)
	v_mul_f64 v[4:5], v[112:113], v[130:131]
	v_add_f64 v[142:143], v[142:143], v[144:145]
	v_mul_f64 v[144:145], v[110:111], v[130:131]
	s_waitcnt vmcnt(4)
	v_fma_f64 v[4:5], v[110:111], v[132:133], -v[4:5]
	v_fmac_f64_e32 v[144:145], v[112:113], v[132:133]
	v_add_f64 v[2:3], v[2:3], v[4:5]
	v_add_f64 v[142:143], v[142:143], v[144:145]
	s_waitcnt vmcnt(2)
	v_add_f64 v[2:3], v[138:139], -v[2:3]
	s_waitcnt vmcnt(0)
	v_add_f64 v[4:5], v[140:141], -v[142:143]
	buffer_store_dword v3, off, s[0:3], 0 offset:516
	buffer_store_dword v2, off, s[0:3], 0 offset:512
	;; [unrolled: 1-line block ×4, first 2 shown]
	s_and_saveexec_b64 s[4:5], vcc
	s_cbranch_execz .LBB112_247
; %bb.246:
	v_accvgpr_read_b32 v0, a116
	buffer_load_dword v2, v0, s[0:3], 0 offen
	buffer_load_dword v3, v0, s[0:3], 0 offen offset:4
	buffer_load_dword v4, v0, s[0:3], 0 offen offset:8
	;; [unrolled: 1-line block ×3, first 2 shown]
	v_accvgpr_read_b32 v0, a147
	buffer_store_dword v1, off, s[0:3], 0 offset:496
	buffer_store_dword v1, off, s[0:3], 0 offset:500
	;; [unrolled: 1-line block ×4, first 2 shown]
	s_waitcnt vmcnt(4)
	ds_write_b128 v0, v[2:5]
.LBB112_247:
	s_or_b64 exec, exec, s[4:5]
	s_waitcnt lgkmcnt(0)
	; wave barrier
	s_waitcnt lgkmcnt(0)
	buffer_load_dword v2, off, s[0:3], 0 offset:512
	buffer_load_dword v3, off, s[0:3], 0 offset:516
	buffer_load_dword v8, off, s[0:3], 0 offset:520
	buffer_load_dword v9, off, s[0:3], 0 offset:524
	buffer_load_dword v4, off, s[0:3], 0 offset:528
	buffer_load_dword v5, off, s[0:3], 0 offset:532
	buffer_load_dword v10, off, s[0:3], 0 offset:536
	buffer_load_dword v11, off, s[0:3], 0 offset:540
	buffer_load_dword v6, off, s[0:3], 0 offset:544
	buffer_load_dword v7, off, s[0:3], 0 offset:548
	buffer_load_dword v12, off, s[0:3], 0 offset:552
	buffer_load_dword v13, off, s[0:3], 0 offset:556
	buffer_load_dword v15, off, s[0:3], 0 offset:588
	buffer_load_dword v17, off, s[0:3], 0 offset:580
	buffer_load_dword v19, off, s[0:3], 0 offset:572
	buffer_load_dword v18, off, s[0:3], 0 offset:568
	buffer_load_dword v21, off, s[0:3], 0 offset:564
	buffer_load_dword v20, off, s[0:3], 0 offset:560
	buffer_load_dword v14, off, s[0:3], 0 offset:584
	buffer_load_dword v16, off, s[0:3], 0 offset:576
	buffer_load_dword v23, off, s[0:3], 0 offset:620
	buffer_load_dword v25, off, s[0:3], 0 offset:612
	buffer_load_dword v27, off, s[0:3], 0 offset:604
	buffer_load_dword v26, off, s[0:3], 0 offset:600
	buffer_load_dword v29, off, s[0:3], 0 offset:596
	buffer_load_dword v28, off, s[0:3], 0 offset:592
	buffer_load_dword v22, off, s[0:3], 0 offset:616
	buffer_load_dword v24, off, s[0:3], 0 offset:608
	buffer_load_dword v31, off, s[0:3], 0 offset:652
	buffer_load_dword v33, off, s[0:3], 0 offset:644
	buffer_load_dword v35, off, s[0:3], 0 offset:636
	buffer_load_dword v34, off, s[0:3], 0 offset:632
	buffer_load_dword v37, off, s[0:3], 0 offset:628
	buffer_load_dword v36, off, s[0:3], 0 offset:624
	buffer_load_dword v30, off, s[0:3], 0 offset:648
	buffer_load_dword v32, off, s[0:3], 0 offset:640
	buffer_load_dword v39, off, s[0:3], 0 offset:684
	buffer_load_dword v41, off, s[0:3], 0 offset:676
	buffer_load_dword v43, off, s[0:3], 0 offset:668
	buffer_load_dword v42, off, s[0:3], 0 offset:664
	buffer_load_dword v45, off, s[0:3], 0 offset:660
	buffer_load_dword v44, off, s[0:3], 0 offset:656
	buffer_load_dword v38, off, s[0:3], 0 offset:680
	buffer_load_dword v40, off, s[0:3], 0 offset:672
	buffer_load_dword v47, off, s[0:3], 0 offset:716
	buffer_load_dword v49, off, s[0:3], 0 offset:708
	buffer_load_dword v51, off, s[0:3], 0 offset:700
	buffer_load_dword v50, off, s[0:3], 0 offset:696
	buffer_load_dword v117, off, s[0:3], 0 offset:692
	buffer_load_dword v116, off, s[0:3], 0 offset:688
	buffer_load_dword v46, off, s[0:3], 0 offset:712
	buffer_load_dword v48, off, s[0:3], 0 offset:704
	buffer_load_dword v119, off, s[0:3], 0 offset:748
	buffer_load_dword v129, off, s[0:3], 0 offset:740
	buffer_load_dword v131, off, s[0:3], 0 offset:732
	buffer_load_dword v130, off, s[0:3], 0 offset:728
	buffer_load_dword v133, off, s[0:3], 0 offset:724
	buffer_load_dword v132, off, s[0:3], 0 offset:720
	buffer_load_dword v118, off, s[0:3], 0 offset:744
	buffer_load_dword v128, off, s[0:3], 0 offset:736
	buffer_load_dword v135, off, s[0:3], 0 offset:780
	buffer_load_dword v137, off, s[0:3], 0 offset:772
	buffer_load_dword v139, off, s[0:3], 0 offset:764
	buffer_load_dword v138, off, s[0:3], 0 offset:760
	buffer_load_dword v141, off, s[0:3], 0 offset:756
	buffer_load_dword v140, off, s[0:3], 0 offset:752
	buffer_load_dword v134, off, s[0:3], 0 offset:776
	buffer_load_dword v136, off, s[0:3], 0 offset:768
	buffer_load_dword v143, off, s[0:3], 0 offset:796
	buffer_load_dword v142, off, s[0:3], 0 offset:792
	buffer_load_dword v145, off, s[0:3], 0 offset:788
	buffer_load_dword v144, off, s[0:3], 0 offset:784
	ds_read_b128 v[52:55], v1 offset:1280
	buffer_load_dword v146, off, s[0:3], 0 offset:496
	buffer_load_dword v147, off, s[0:3], 0 offset:500
	;; [unrolled: 1-line block ×4, first 2 shown]
	ds_read_b128 v[56:59], v1 offset:1296
	ds_read_b128 v[60:63], v1 offset:1312
	;; [unrolled: 1-line block ×3, first 2 shown]
	v_cmp_lt_u32_e32 vcc, 29, v254
	ds_read_b128 v[124:127], v1 offset:1552
	s_waitcnt vmcnt(62) lgkmcnt(4)
	v_mul_f64 v[68:69], v[52:53], v[8:9]
	v_fmac_f64_e32 v[68:69], v[54:55], v[2:3]
	v_add_f64 v[68:69], v[68:69], 0
	v_mul_f64 v[8:9], v[54:55], v[8:9]
	s_waitcnt lgkmcnt(3)
	v_mul_f64 v[70:71], v[56:57], v[10:11]
	v_fmac_f64_e32 v[70:71], v[58:59], v[4:5]
	v_add_f64 v[68:69], v[68:69], v[70:71]
	v_fma_f64 v[2:3], v[52:53], v[2:3], -v[8:9]
	s_waitcnt lgkmcnt(2)
	v_mul_f64 v[70:71], v[60:61], v[12:13]
	v_fmac_f64_e32 v[70:71], v[62:63], v[6:7]
	v_add_f64 v[72:73], v[68:69], v[70:71]
	ds_read_b128 v[68:71], v1 offset:1344
	s_waitcnt vmcnt(60) lgkmcnt(2)
	v_mul_f64 v[74:75], v[64:65], v[18:19]
	v_mul_f64 v[8:9], v[58:59], v[10:11]
	s_waitcnt vmcnt(58)
	v_fmac_f64_e32 v[74:75], v[66:67], v[20:21]
	v_add_f64 v[76:77], v[72:73], v[74:75]
	ds_read_b128 v[72:75], v1 offset:1360
	s_waitcnt vmcnt(57) lgkmcnt(1)
	v_mul_f64 v[78:79], v[68:69], v[14:15]
	s_waitcnt vmcnt(56)
	v_fmac_f64_e32 v[78:79], v[70:71], v[16:17]
	v_add_f64 v[80:81], v[76:77], v[78:79]
	ds_read_b128 v[76:79], v1 offset:1376
	s_waitcnt vmcnt(52) lgkmcnt(1)
	;; [unrolled: 6-line block ×4, first 2 shown]
	v_mul_f64 v[90:91], v[80:81], v[34:35]
	s_waitcnt vmcnt(42)
	v_fmac_f64_e32 v[90:91], v[82:83], v[36:37]
	v_add_f64 v[2:3], v[2:3], 0
	v_fma_f64 v[4:5], v[56:57], v[4:5], -v[8:9]
	v_add_f64 v[92:93], v[88:89], v[90:91]
	ds_read_b128 v[88:91], v1 offset:1424
	s_waitcnt vmcnt(41) lgkmcnt(1)
	v_mul_f64 v[94:95], v[84:85], v[30:31]
	v_add_f64 v[2:3], v[2:3], v[4:5]
	v_mul_f64 v[4:5], v[62:63], v[12:13]
	s_waitcnt vmcnt(40)
	v_fmac_f64_e32 v[94:95], v[86:87], v[32:33]
	v_fma_f64 v[4:5], v[60:61], v[6:7], -v[4:5]
	v_add_f64 v[96:97], v[92:93], v[94:95]
	ds_read_b128 v[92:95], v1 offset:1440
	v_add_f64 v[2:3], v[2:3], v[4:5]
	v_mul_f64 v[4:5], v[66:67], v[18:19]
	v_fma_f64 v[4:5], v[64:65], v[20:21], -v[4:5]
	v_add_f64 v[2:3], v[2:3], v[4:5]
	v_mul_f64 v[4:5], v[70:71], v[14:15]
	s_waitcnt vmcnt(36) lgkmcnt(1)
	v_mul_f64 v[98:99], v[88:89], v[42:43]
	v_fma_f64 v[4:5], v[68:69], v[16:17], -v[4:5]
	s_waitcnt vmcnt(34)
	v_fmac_f64_e32 v[98:99], v[90:91], v[44:45]
	v_add_f64 v[2:3], v[2:3], v[4:5]
	v_mul_f64 v[4:5], v[74:75], v[26:27]
	v_add_f64 v[100:101], v[96:97], v[98:99]
	ds_read_b128 v[96:99], v1 offset:1456
	s_waitcnt vmcnt(33) lgkmcnt(1)
	v_mul_f64 v[102:103], v[92:93], v[38:39]
	v_fma_f64 v[4:5], v[72:73], v[28:29], -v[4:5]
	s_waitcnt vmcnt(32)
	v_fmac_f64_e32 v[102:103], v[94:95], v[40:41]
	v_add_f64 v[2:3], v[2:3], v[4:5]
	v_mul_f64 v[4:5], v[78:79], v[22:23]
	v_add_f64 v[104:105], v[100:101], v[102:103]
	ds_read_b128 v[100:103], v1 offset:1472
	v_fma_f64 v[4:5], v[76:77], v[24:25], -v[4:5]
	v_add_f64 v[2:3], v[2:3], v[4:5]
	v_mul_f64 v[4:5], v[82:83], v[34:35]
	v_fma_f64 v[4:5], v[80:81], v[36:37], -v[4:5]
	s_waitcnt vmcnt(28) lgkmcnt(1)
	v_mul_f64 v[106:107], v[96:97], v[50:51]
	v_add_f64 v[2:3], v[2:3], v[4:5]
	v_mul_f64 v[4:5], v[86:87], v[30:31]
	s_waitcnt vmcnt(26)
	v_fmac_f64_e32 v[106:107], v[98:99], v[116:117]
	v_fma_f64 v[4:5], v[84:85], v[32:33], -v[4:5]
	v_add_f64 v[108:109], v[104:105], v[106:107]
	ds_read_b128 v[104:107], v1 offset:1488
	s_waitcnt vmcnt(25) lgkmcnt(1)
	v_mul_f64 v[110:111], v[100:101], v[46:47]
	v_add_f64 v[2:3], v[2:3], v[4:5]
	v_mul_f64 v[4:5], v[90:91], v[42:43]
	s_waitcnt vmcnt(24)
	v_fmac_f64_e32 v[110:111], v[102:103], v[48:49]
	v_fma_f64 v[4:5], v[88:89], v[44:45], -v[4:5]
	v_add_f64 v[112:113], v[108:109], v[110:111]
	ds_read_b128 v[108:111], v1 offset:1504
	v_add_f64 v[2:3], v[2:3], v[4:5]
	v_mul_f64 v[4:5], v[94:95], v[38:39]
	v_fma_f64 v[4:5], v[92:93], v[40:41], -v[4:5]
	v_add_f64 v[2:3], v[2:3], v[4:5]
	v_mul_f64 v[4:5], v[98:99], v[50:51]
	s_waitcnt vmcnt(20) lgkmcnt(1)
	v_mul_f64 v[114:115], v[104:105], v[130:131]
	v_fma_f64 v[4:5], v[96:97], v[116:117], -v[4:5]
	s_waitcnt vmcnt(18)
	v_fmac_f64_e32 v[114:115], v[106:107], v[132:133]
	v_add_f64 v[2:3], v[2:3], v[4:5]
	v_mul_f64 v[4:5], v[102:103], v[46:47]
	v_add_f64 v[120:121], v[112:113], v[114:115]
	ds_read_b128 v[112:115], v1 offset:1520
	s_waitcnt vmcnt(17) lgkmcnt(1)
	v_mul_f64 v[122:123], v[108:109], v[118:119]
	v_fma_f64 v[4:5], v[100:101], v[48:49], -v[4:5]
	s_waitcnt vmcnt(16)
	v_fmac_f64_e32 v[122:123], v[110:111], v[128:129]
	v_add_f64 v[2:3], v[2:3], v[4:5]
	v_mul_f64 v[4:5], v[106:107], v[130:131]
	v_add_f64 v[150:151], v[120:121], v[122:123]
	ds_read_b128 v[120:123], v1 offset:1536
	v_fma_f64 v[4:5], v[104:105], v[132:133], -v[4:5]
	v_add_f64 v[2:3], v[2:3], v[4:5]
	v_mul_f64 v[4:5], v[110:111], v[118:119]
	v_fma_f64 v[4:5], v[108:109], v[128:129], -v[4:5]
	v_add_f64 v[2:3], v[2:3], v[4:5]
	s_waitcnt vmcnt(12) lgkmcnt(1)
	v_mul_f64 v[4:5], v[114:115], v[138:139]
	v_mul_f64 v[152:153], v[112:113], v[138:139]
	s_waitcnt vmcnt(10)
	v_fma_f64 v[4:5], v[112:113], v[140:141], -v[4:5]
	v_fmac_f64_e32 v[152:153], v[114:115], v[140:141]
	v_add_f64 v[2:3], v[2:3], v[4:5]
	s_waitcnt vmcnt(9) lgkmcnt(0)
	v_mul_f64 v[4:5], v[122:123], v[134:135]
	v_add_f64 v[150:151], v[150:151], v[152:153]
	v_mul_f64 v[152:153], v[120:121], v[134:135]
	s_waitcnt vmcnt(8)
	v_fma_f64 v[4:5], v[120:121], v[136:137], -v[4:5]
	v_fmac_f64_e32 v[152:153], v[122:123], v[136:137]
	v_add_f64 v[2:3], v[2:3], v[4:5]
	s_waitcnt vmcnt(6)
	v_mul_f64 v[4:5], v[126:127], v[142:143]
	v_add_f64 v[150:151], v[150:151], v[152:153]
	v_mul_f64 v[152:153], v[124:125], v[142:143]
	s_waitcnt vmcnt(4)
	v_fma_f64 v[4:5], v[124:125], v[144:145], -v[4:5]
	v_fmac_f64_e32 v[152:153], v[126:127], v[144:145]
	v_add_f64 v[2:3], v[2:3], v[4:5]
	v_add_f64 v[150:151], v[150:151], v[152:153]
	s_waitcnt vmcnt(2)
	v_add_f64 v[2:3], v[146:147], -v[2:3]
	s_waitcnt vmcnt(0)
	v_add_f64 v[4:5], v[148:149], -v[150:151]
	buffer_store_dword v3, off, s[0:3], 0 offset:500
	buffer_store_dword v2, off, s[0:3], 0 offset:496
	;; [unrolled: 1-line block ×4, first 2 shown]
	s_and_saveexec_b64 s[4:5], vcc
	s_cbranch_execz .LBB112_249
; %bb.248:
	v_accvgpr_read_b32 v0, a117
	buffer_load_dword v2, v0, s[0:3], 0 offen
	buffer_load_dword v3, v0, s[0:3], 0 offen offset:4
	buffer_load_dword v4, v0, s[0:3], 0 offen offset:8
	;; [unrolled: 1-line block ×3, first 2 shown]
	v_mov_b32_e32 v0, 0
	v_accvgpr_read_b32 v1, a147
	buffer_store_dword v0, off, s[0:3], 0 offset:480
	buffer_store_dword v0, off, s[0:3], 0 offset:484
	;; [unrolled: 1-line block ×4, first 2 shown]
	s_waitcnt vmcnt(4)
	ds_write_b128 v1, v[2:5]
.LBB112_249:
	s_or_b64 exec, exec, s[4:5]
	s_waitcnt lgkmcnt(0)
	; wave barrier
	s_waitcnt lgkmcnt(0)
	buffer_load_dword v2, off, s[0:3], 0 offset:496
	buffer_load_dword v3, off, s[0:3], 0 offset:500
	;; [unrolled: 1-line block ×76, first 2 shown]
	v_mov_b32_e32 v1, 0
	ds_read_b128 v[54:57], v1 offset:1264
	buffer_load_dword v154, off, s[0:3], 0 offset:480
	buffer_load_dword v155, off, s[0:3], 0 offset:484
	;; [unrolled: 1-line block ×4, first 2 shown]
	ds_read_b128 v[58:61], v1 offset:1280
	ds_read_b128 v[62:65], v1 offset:1296
	;; [unrolled: 1-line block ×4, first 2 shown]
	v_cmp_lt_u32_e32 vcc, 28, v254
	s_waitcnt vmcnt(62) lgkmcnt(4)
	v_mul_f64 v[70:71], v[54:55], v[8:9]
	v_fmac_f64_e32 v[70:71], v[56:57], v[2:3]
	v_add_f64 v[70:71], v[70:71], 0
	v_mul_f64 v[8:9], v[56:57], v[8:9]
	s_waitcnt lgkmcnt(3)
	v_mul_f64 v[72:73], v[58:59], v[10:11]
	v_fmac_f64_e32 v[72:73], v[60:61], v[4:5]
	v_add_f64 v[70:71], v[70:71], v[72:73]
	v_fma_f64 v[2:3], v[54:55], v[2:3], -v[8:9]
	s_waitcnt lgkmcnt(2)
	v_mul_f64 v[72:73], v[62:63], v[12:13]
	v_fmac_f64_e32 v[72:73], v[64:65], v[6:7]
	v_add_f64 v[74:75], v[70:71], v[72:73]
	ds_read_b128 v[70:73], v1 offset:1328
	s_waitcnt lgkmcnt(2)
	v_mul_f64 v[76:77], v[66:67], v[18:19]
	v_mul_f64 v[8:9], v[60:61], v[10:11]
	v_fmac_f64_e32 v[76:77], v[68:69], v[20:21]
	v_add_f64 v[78:79], v[74:75], v[76:77]
	ds_read_b128 v[74:77], v1 offset:1344
	s_waitcnt vmcnt(61) lgkmcnt(1)
	v_mul_f64 v[80:81], v[70:71], v[14:15]
	s_waitcnt vmcnt(60)
	v_fmac_f64_e32 v[80:81], v[72:73], v[16:17]
	v_add_f64 v[82:83], v[78:79], v[80:81]
	ds_read_b128 v[78:81], v1 offset:1360
	s_waitcnt vmcnt(56) lgkmcnt(1)
	v_mul_f64 v[84:85], v[74:75], v[26:27]
	s_waitcnt vmcnt(54)
	;; [unrolled: 6-line block ×4, first 2 shown]
	v_fmac_f64_e32 v[92:93], v[84:85], v[36:37]
	v_add_f64 v[94:95], v[90:91], v[92:93]
	ds_read_b128 v[90:93], v1 offset:1408
	v_add_f64 v[2:3], v[2:3], 0
	v_fma_f64 v[4:5], v[58:59], v[4:5], -v[8:9]
	s_waitcnt vmcnt(45) lgkmcnt(1)
	v_mul_f64 v[96:97], v[86:87], v[30:31]
	v_add_f64 v[2:3], v[2:3], v[4:5]
	v_mul_f64 v[4:5], v[64:65], v[12:13]
	s_waitcnt vmcnt(44)
	v_fmac_f64_e32 v[96:97], v[88:89], v[32:33]
	v_fma_f64 v[4:5], v[62:63], v[6:7], -v[4:5]
	v_add_f64 v[98:99], v[94:95], v[96:97]
	ds_read_b128 v[94:97], v1 offset:1424
	s_waitcnt vmcnt(40) lgkmcnt(1)
	v_mul_f64 v[100:101], v[90:91], v[42:43]
	v_add_f64 v[2:3], v[2:3], v[4:5]
	v_mul_f64 v[4:5], v[68:69], v[18:19]
	s_waitcnt vmcnt(38)
	v_fmac_f64_e32 v[100:101], v[92:93], v[44:45]
	v_fma_f64 v[4:5], v[66:67], v[20:21], -v[4:5]
	v_add_f64 v[102:103], v[98:99], v[100:101]
	ds_read_b128 v[98:101], v1 offset:1440
	v_add_f64 v[2:3], v[2:3], v[4:5]
	v_mul_f64 v[4:5], v[72:73], v[14:15]
	v_fma_f64 v[4:5], v[70:71], v[16:17], -v[4:5]
	v_add_f64 v[2:3], v[2:3], v[4:5]
	v_mul_f64 v[4:5], v[76:77], v[26:27]
	s_waitcnt vmcnt(37) lgkmcnt(1)
	v_mul_f64 v[104:105], v[94:95], v[38:39]
	v_fma_f64 v[4:5], v[74:75], v[28:29], -v[4:5]
	s_waitcnt vmcnt(36)
	v_fmac_f64_e32 v[104:105], v[96:97], v[40:41]
	v_add_f64 v[2:3], v[2:3], v[4:5]
	v_mul_f64 v[4:5], v[80:81], v[22:23]
	v_add_f64 v[106:107], v[102:103], v[104:105]
	ds_read_b128 v[102:105], v1 offset:1456
	s_waitcnt vmcnt(32) lgkmcnt(1)
	v_mul_f64 v[108:109], v[98:99], v[50:51]
	v_fma_f64 v[4:5], v[78:79], v[24:25], -v[4:5]
	s_waitcnt vmcnt(30)
	v_fmac_f64_e32 v[108:109], v[100:101], v[52:53]
	v_add_f64 v[2:3], v[2:3], v[4:5]
	v_mul_f64 v[4:5], v[84:85], v[34:35]
	v_add_f64 v[110:111], v[106:107], v[108:109]
	ds_read_b128 v[106:109], v1 offset:1472
	v_fma_f64 v[4:5], v[82:83], v[36:37], -v[4:5]
	v_add_f64 v[2:3], v[2:3], v[4:5]
	v_mul_f64 v[4:5], v[88:89], v[30:31]
	v_fma_f64 v[4:5], v[86:87], v[32:33], -v[4:5]
	s_waitcnt vmcnt(29) lgkmcnt(1)
	v_mul_f64 v[112:113], v[102:103], v[46:47]
	v_add_f64 v[2:3], v[2:3], v[4:5]
	v_mul_f64 v[4:5], v[92:93], v[42:43]
	s_waitcnt vmcnt(28)
	v_fmac_f64_e32 v[112:113], v[104:105], v[48:49]
	v_fma_f64 v[4:5], v[90:91], v[44:45], -v[4:5]
	v_add_f64 v[114:115], v[110:111], v[112:113]
	ds_read_b128 v[110:113], v1 offset:1488
	s_waitcnt vmcnt(24) lgkmcnt(1)
	v_mul_f64 v[116:117], v[106:107], v[134:135]
	v_add_f64 v[2:3], v[2:3], v[4:5]
	v_mul_f64 v[4:5], v[96:97], v[38:39]
	s_waitcnt vmcnt(22)
	v_fmac_f64_e32 v[116:117], v[108:109], v[136:137]
	v_fma_f64 v[4:5], v[94:95], v[40:41], -v[4:5]
	v_add_f64 v[120:121], v[114:115], v[116:117]
	ds_read_b128 v[114:117], v1 offset:1504
	v_add_f64 v[2:3], v[2:3], v[4:5]
	v_mul_f64 v[4:5], v[100:101], v[50:51]
	v_fma_f64 v[4:5], v[98:99], v[52:53], -v[4:5]
	v_add_f64 v[2:3], v[2:3], v[4:5]
	v_mul_f64 v[4:5], v[104:105], v[46:47]
	s_waitcnt vmcnt(21) lgkmcnt(1)
	v_mul_f64 v[122:123], v[110:111], v[118:119]
	v_fma_f64 v[4:5], v[102:103], v[48:49], -v[4:5]
	s_waitcnt vmcnt(20)
	v_fmac_f64_e32 v[122:123], v[112:113], v[132:133]
	v_add_f64 v[2:3], v[2:3], v[4:5]
	v_mul_f64 v[4:5], v[108:109], v[134:135]
	v_add_f64 v[124:125], v[120:121], v[122:123]
	ds_read_b128 v[120:123], v1 offset:1520
	s_waitcnt vmcnt(16) lgkmcnt(1)
	v_mul_f64 v[126:127], v[114:115], v[142:143]
	v_fma_f64 v[4:5], v[106:107], v[136:137], -v[4:5]
	s_waitcnt vmcnt(14)
	v_fmac_f64_e32 v[126:127], v[116:117], v[144:145]
	v_add_f64 v[2:3], v[2:3], v[4:5]
	v_mul_f64 v[4:5], v[112:113], v[118:119]
	v_add_f64 v[158:159], v[124:125], v[126:127]
	ds_read_b128 v[124:127], v1 offset:1536
	v_fma_f64 v[4:5], v[110:111], v[132:133], -v[4:5]
	v_add_f64 v[2:3], v[2:3], v[4:5]
	v_mul_f64 v[4:5], v[116:117], v[142:143]
	v_fma_f64 v[4:5], v[114:115], v[144:145], -v[4:5]
	v_add_f64 v[2:3], v[2:3], v[4:5]
	s_waitcnt vmcnt(13) lgkmcnt(1)
	v_mul_f64 v[4:5], v[122:123], v[138:139]
	v_mul_f64 v[160:161], v[120:121], v[138:139]
	s_waitcnt vmcnt(12)
	v_fma_f64 v[4:5], v[120:121], v[140:141], -v[4:5]
	v_fmac_f64_e32 v[160:161], v[122:123], v[140:141]
	v_add_f64 v[2:3], v[2:3], v[4:5]
	s_waitcnt vmcnt(8) lgkmcnt(0)
	v_mul_f64 v[4:5], v[126:127], v[150:151]
	v_add_f64 v[158:159], v[158:159], v[160:161]
	v_mul_f64 v[160:161], v[124:125], v[150:151]
	s_waitcnt vmcnt(6)
	v_fma_f64 v[4:5], v[124:125], v[152:153], -v[4:5]
	v_fmac_f64_e32 v[160:161], v[126:127], v[152:153]
	v_add_f64 v[2:3], v[2:3], v[4:5]
	s_waitcnt vmcnt(5)
	v_mul_f64 v[4:5], v[130:131], v[146:147]
	v_add_f64 v[158:159], v[158:159], v[160:161]
	v_mul_f64 v[160:161], v[128:129], v[146:147]
	s_waitcnt vmcnt(4)
	v_fma_f64 v[4:5], v[128:129], v[148:149], -v[4:5]
	v_fmac_f64_e32 v[160:161], v[130:131], v[148:149]
	v_add_f64 v[2:3], v[2:3], v[4:5]
	v_add_f64 v[158:159], v[158:159], v[160:161]
	s_waitcnt vmcnt(2)
	v_add_f64 v[2:3], v[154:155], -v[2:3]
	s_waitcnt vmcnt(0)
	v_add_f64 v[4:5], v[156:157], -v[158:159]
	buffer_store_dword v3, off, s[0:3], 0 offset:484
	buffer_store_dword v2, off, s[0:3], 0 offset:480
	buffer_store_dword v5, off, s[0:3], 0 offset:492
	buffer_store_dword v4, off, s[0:3], 0 offset:488
	s_and_saveexec_b64 s[4:5], vcc
	s_cbranch_execz .LBB112_251
; %bb.250:
	v_accvgpr_read_b32 v0, a118
	buffer_load_dword v2, v0, s[0:3], 0 offen
	buffer_load_dword v3, v0, s[0:3], 0 offen offset:4
	buffer_load_dword v4, v0, s[0:3], 0 offen offset:8
	;; [unrolled: 1-line block ×3, first 2 shown]
	v_accvgpr_read_b32 v0, a147
	buffer_store_dword v1, off, s[0:3], 0 offset:464
	buffer_store_dword v1, off, s[0:3], 0 offset:468
	;; [unrolled: 1-line block ×4, first 2 shown]
	s_waitcnt vmcnt(4)
	ds_write_b128 v0, v[2:5]
.LBB112_251:
	s_or_b64 exec, exec, s[4:5]
	s_waitcnt lgkmcnt(0)
	; wave barrier
	s_waitcnt lgkmcnt(0)
	buffer_load_dword v2, off, s[0:3], 0 offset:480
	buffer_load_dword v3, off, s[0:3], 0 offset:484
	;; [unrolled: 1-line block ×76, first 2 shown]
	ds_read_b128 v[54:57], v1 offset:1248
	buffer_load_dword v159, off, s[0:3], 0 offset:796
	buffer_load_dword v158, off, s[0:3], 0 offset:792
	;; [unrolled: 1-line block ×8, first 2 shown]
	ds_read_b128 v[58:61], v1 offset:1264
	ds_read_b128 v[62:65], v1 offset:1280
	;; [unrolled: 1-line block ×3, first 2 shown]
	v_cmp_lt_u32_e32 vcc, 27, v254
	ds_read_b128 v[132:135], v1 offset:1552
	s_waitcnt vmcnt(62) lgkmcnt(4)
	v_mul_f64 v[70:71], v[54:55], v[8:9]
	v_fmac_f64_e32 v[70:71], v[56:57], v[2:3]
	v_add_f64 v[70:71], v[70:71], 0
	v_mul_f64 v[8:9], v[56:57], v[8:9]
	s_waitcnt lgkmcnt(3)
	v_mul_f64 v[72:73], v[58:59], v[10:11]
	v_fmac_f64_e32 v[72:73], v[60:61], v[4:5]
	v_add_f64 v[70:71], v[70:71], v[72:73]
	v_fma_f64 v[2:3], v[54:55], v[2:3], -v[8:9]
	s_waitcnt lgkmcnt(2)
	v_mul_f64 v[72:73], v[62:63], v[12:13]
	v_fmac_f64_e32 v[72:73], v[64:65], v[6:7]
	v_add_f64 v[74:75], v[70:71], v[72:73]
	ds_read_b128 v[70:73], v1 offset:1312
	v_mul_f64 v[8:9], v[60:61], v[10:11]
	v_add_f64 v[2:3], v[2:3], 0
	s_waitcnt lgkmcnt(2)
	v_mul_f64 v[76:77], v[66:67], v[18:19]
	v_fma_f64 v[4:5], v[58:59], v[4:5], -v[8:9]
	v_fmac_f64_e32 v[76:77], v[68:69], v[20:21]
	v_add_f64 v[78:79], v[74:75], v[76:77]
	ds_read_b128 v[74:77], v1 offset:1328
	s_waitcnt lgkmcnt(1)
	v_mul_f64 v[80:81], v[70:71], v[14:15]
	v_fmac_f64_e32 v[80:81], v[72:73], v[16:17]
	v_add_f64 v[82:83], v[78:79], v[80:81]
	ds_read_b128 v[78:81], v1 offset:1344
	s_waitcnt vmcnt(58) lgkmcnt(1)
	v_mul_f64 v[84:85], v[74:75], v[26:27]
	s_waitcnt vmcnt(56)
	v_fmac_f64_e32 v[84:85], v[76:77], v[28:29]
	v_add_f64 v[86:87], v[82:83], v[84:85]
	ds_read_b128 v[82:85], v1 offset:1360
	s_waitcnt lgkmcnt(1)
	v_mul_f64 v[88:89], v[78:79], v[22:23]
	v_fmac_f64_e32 v[88:89], v[80:81], v[24:25]
	v_add_f64 v[90:91], v[86:87], v[88:89]
	ds_read_b128 v[86:89], v1 offset:1376
	s_waitcnt vmcnt(50) lgkmcnt(1)
	v_mul_f64 v[92:93], v[82:83], v[34:35]
	s_waitcnt vmcnt(48)
	v_fmac_f64_e32 v[92:93], v[84:85], v[36:37]
	v_add_f64 v[94:95], v[90:91], v[92:93]
	ds_read_b128 v[90:93], v1 offset:1392
	s_waitcnt lgkmcnt(1)
	v_mul_f64 v[96:97], v[86:87], v[30:31]
	v_fmac_f64_e32 v[96:97], v[88:89], v[32:33]
	v_add_f64 v[98:99], v[94:95], v[96:97]
	ds_read_b128 v[94:97], v1 offset:1408
	v_add_f64 v[2:3], v[2:3], v[4:5]
	v_mul_f64 v[4:5], v[64:65], v[12:13]
	v_fma_f64 v[4:5], v[62:63], v[6:7], -v[4:5]
	s_waitcnt vmcnt(42) lgkmcnt(1)
	v_mul_f64 v[100:101], v[90:91], v[42:43]
	v_add_f64 v[2:3], v[2:3], v[4:5]
	v_mul_f64 v[4:5], v[68:69], v[18:19]
	s_waitcnt vmcnt(40)
	v_fmac_f64_e32 v[100:101], v[92:93], v[44:45]
	v_fma_f64 v[4:5], v[66:67], v[20:21], -v[4:5]
	v_add_f64 v[102:103], v[98:99], v[100:101]
	ds_read_b128 v[98:101], v1 offset:1424
	s_waitcnt lgkmcnt(1)
	v_mul_f64 v[104:105], v[94:95], v[38:39]
	v_add_f64 v[2:3], v[2:3], v[4:5]
	v_mul_f64 v[4:5], v[72:73], v[14:15]
	v_fmac_f64_e32 v[104:105], v[96:97], v[40:41]
	v_fma_f64 v[4:5], v[70:71], v[16:17], -v[4:5]
	v_add_f64 v[106:107], v[102:103], v[104:105]
	ds_read_b128 v[102:105], v1 offset:1440
	v_add_f64 v[2:3], v[2:3], v[4:5]
	v_mul_f64 v[4:5], v[76:77], v[26:27]
	v_fma_f64 v[4:5], v[74:75], v[28:29], -v[4:5]
	v_add_f64 v[2:3], v[2:3], v[4:5]
	v_mul_f64 v[4:5], v[80:81], v[22:23]
	s_waitcnt vmcnt(34) lgkmcnt(1)
	v_mul_f64 v[108:109], v[98:99], v[50:51]
	v_fma_f64 v[4:5], v[78:79], v[24:25], -v[4:5]
	s_waitcnt vmcnt(32)
	v_fmac_f64_e32 v[108:109], v[100:101], v[52:53]
	v_add_f64 v[2:3], v[2:3], v[4:5]
	v_mul_f64 v[4:5], v[84:85], v[34:35]
	v_add_f64 v[110:111], v[106:107], v[108:109]
	ds_read_b128 v[106:109], v1 offset:1456
	s_waitcnt lgkmcnt(1)
	v_mul_f64 v[112:113], v[102:103], v[46:47]
	v_fma_f64 v[4:5], v[82:83], v[36:37], -v[4:5]
	v_fmac_f64_e32 v[112:113], v[104:105], v[48:49]
	v_add_f64 v[2:3], v[2:3], v[4:5]
	v_mul_f64 v[4:5], v[88:89], v[30:31]
	v_add_f64 v[114:115], v[110:111], v[112:113]
	ds_read_b128 v[110:113], v1 offset:1472
	v_fma_f64 v[4:5], v[86:87], v[32:33], -v[4:5]
	v_add_f64 v[2:3], v[2:3], v[4:5]
	v_mul_f64 v[4:5], v[92:93], v[42:43]
	v_fma_f64 v[4:5], v[90:91], v[44:45], -v[4:5]
	s_waitcnt vmcnt(26) lgkmcnt(1)
	v_mul_f64 v[116:117], v[106:107], v[138:139]
	v_add_f64 v[2:3], v[2:3], v[4:5]
	v_mul_f64 v[4:5], v[96:97], v[38:39]
	s_waitcnt vmcnt(24)
	v_fmac_f64_e32 v[116:117], v[108:109], v[140:141]
	v_fma_f64 v[4:5], v[94:95], v[40:41], -v[4:5]
	v_add_f64 v[120:121], v[114:115], v[116:117]
	ds_read_b128 v[114:117], v1 offset:1488
	s_waitcnt lgkmcnt(1)
	v_mul_f64 v[122:123], v[110:111], v[118:119]
	v_add_f64 v[2:3], v[2:3], v[4:5]
	v_mul_f64 v[4:5], v[100:101], v[50:51]
	v_fmac_f64_e32 v[122:123], v[112:113], v[136:137]
	v_fma_f64 v[4:5], v[98:99], v[52:53], -v[4:5]
	v_add_f64 v[124:125], v[120:121], v[122:123]
	ds_read_b128 v[120:123], v1 offset:1504
	v_add_f64 v[2:3], v[2:3], v[4:5]
	v_mul_f64 v[4:5], v[104:105], v[46:47]
	v_fma_f64 v[4:5], v[102:103], v[48:49], -v[4:5]
	v_add_f64 v[2:3], v[2:3], v[4:5]
	v_mul_f64 v[4:5], v[108:109], v[138:139]
	s_waitcnt vmcnt(18) lgkmcnt(1)
	v_mul_f64 v[126:127], v[114:115], v[146:147]
	v_fma_f64 v[4:5], v[106:107], v[140:141], -v[4:5]
	s_waitcnt vmcnt(16)
	v_fmac_f64_e32 v[126:127], v[116:117], v[148:149]
	v_add_f64 v[2:3], v[2:3], v[4:5]
	v_mul_f64 v[4:5], v[112:113], v[118:119]
	v_add_f64 v[128:129], v[124:125], v[126:127]
	ds_read_b128 v[124:127], v1 offset:1520
	s_waitcnt lgkmcnt(1)
	v_mul_f64 v[130:131], v[120:121], v[142:143]
	v_fma_f64 v[4:5], v[110:111], v[136:137], -v[4:5]
	v_fmac_f64_e32 v[130:131], v[122:123], v[144:145]
	v_add_f64 v[2:3], v[2:3], v[4:5]
	v_mul_f64 v[4:5], v[116:117], v[146:147]
	v_add_f64 v[166:167], v[128:129], v[130:131]
	ds_read_b128 v[128:131], v1 offset:1536
	v_fma_f64 v[4:5], v[114:115], v[148:149], -v[4:5]
	v_add_f64 v[2:3], v[2:3], v[4:5]
	v_mul_f64 v[4:5], v[122:123], v[142:143]
	v_fma_f64 v[4:5], v[120:121], v[144:145], -v[4:5]
	v_add_f64 v[2:3], v[2:3], v[4:5]
	s_waitcnt vmcnt(10) lgkmcnt(1)
	v_mul_f64 v[4:5], v[126:127], v[154:155]
	v_mul_f64 v[168:169], v[124:125], v[154:155]
	s_waitcnt vmcnt(8)
	v_fma_f64 v[4:5], v[124:125], v[156:157], -v[4:5]
	v_fmac_f64_e32 v[168:169], v[126:127], v[156:157]
	v_add_f64 v[2:3], v[2:3], v[4:5]
	s_waitcnt lgkmcnt(0)
	v_mul_f64 v[4:5], v[130:131], v[150:151]
	v_add_f64 v[166:167], v[166:167], v[168:169]
	v_mul_f64 v[168:169], v[128:129], v[150:151]
	v_fma_f64 v[4:5], v[128:129], v[152:153], -v[4:5]
	v_fmac_f64_e32 v[168:169], v[130:131], v[152:153]
	v_add_f64 v[2:3], v[2:3], v[4:5]
	s_waitcnt vmcnt(6)
	v_mul_f64 v[4:5], v[134:135], v[158:159]
	v_add_f64 v[166:167], v[166:167], v[168:169]
	v_mul_f64 v[168:169], v[132:133], v[158:159]
	s_waitcnt vmcnt(4)
	v_fma_f64 v[4:5], v[132:133], v[160:161], -v[4:5]
	v_fmac_f64_e32 v[168:169], v[134:135], v[160:161]
	v_add_f64 v[2:3], v[2:3], v[4:5]
	v_add_f64 v[166:167], v[166:167], v[168:169]
	s_waitcnt vmcnt(2)
	v_add_f64 v[2:3], v[162:163], -v[2:3]
	s_waitcnt vmcnt(0)
	v_add_f64 v[4:5], v[164:165], -v[166:167]
	buffer_store_dword v3, off, s[0:3], 0 offset:468
	buffer_store_dword v2, off, s[0:3], 0 offset:464
	;; [unrolled: 1-line block ×4, first 2 shown]
	s_and_saveexec_b64 s[4:5], vcc
	s_cbranch_execz .LBB112_253
; %bb.252:
	v_accvgpr_read_b32 v0, a119
	buffer_load_dword v2, v0, s[0:3], 0 offen
	buffer_load_dword v3, v0, s[0:3], 0 offen offset:4
	buffer_load_dword v4, v0, s[0:3], 0 offen offset:8
	;; [unrolled: 1-line block ×3, first 2 shown]
	v_mov_b32_e32 v0, 0
	v_accvgpr_read_b32 v1, a147
	buffer_store_dword v0, off, s[0:3], 0 offset:448
	buffer_store_dword v0, off, s[0:3], 0 offset:452
	;; [unrolled: 1-line block ×4, first 2 shown]
	s_waitcnt vmcnt(4)
	ds_write_b128 v1, v[2:5]
.LBB112_253:
	s_or_b64 exec, exec, s[4:5]
	s_waitcnt lgkmcnt(0)
	; wave barrier
	s_waitcnt lgkmcnt(0)
	buffer_load_dword v4, off, s[0:3], 0 offset:448
	buffer_load_dword v5, off, s[0:3], 0 offset:452
	;; [unrolled: 1-line block ×84, first 2 shown]
	v_mov_b32_e32 v1, 0
	ds_read_b128 v[66:69], v1 offset:1232
	buffer_load_dword v171, off, s[0:3], 0 offset:796
	buffer_load_dword v170, off, s[0:3], 0 offset:792
	;; [unrolled: 1-line block ×4, first 2 shown]
	ds_read_b128 v[70:73], v1 offset:1248
	ds_read_b128 v[74:77], v1 offset:1264
	;; [unrolled: 1-line block ×4, first 2 shown]
	v_cmp_lt_u32_e32 vcc, 26, v254
	s_waitcnt vmcnt(62) lgkmcnt(4)
	v_mul_f64 v[82:83], v[66:67], v[12:13]
	v_fmac_f64_e32 v[82:83], v[68:69], v[6:7]
	s_waitcnt lgkmcnt(3)
	v_mul_f64 v[84:85], v[70:71], v[14:15]
	v_add_f64 v[82:83], v[82:83], 0
	v_fmac_f64_e32 v[84:85], v[72:73], v[8:9]
	v_add_f64 v[82:83], v[82:83], v[84:85]
	s_waitcnt lgkmcnt(2)
	v_mul_f64 v[84:85], v[74:75], v[16:17]
	v_fmac_f64_e32 v[84:85], v[76:77], v[10:11]
	v_add_f64 v[86:87], v[82:83], v[84:85]
	ds_read_b128 v[82:85], v1 offset:1296
	v_mul_f64 v[12:13], v[68:69], v[12:13]
	s_waitcnt lgkmcnt(2)
	v_mul_f64 v[88:89], v[78:79], v[22:23]
	v_fma_f64 v[6:7], v[66:67], v[6:7], -v[12:13]
	v_fmac_f64_e32 v[88:89], v[80:81], v[24:25]
	v_add_f64 v[90:91], v[86:87], v[88:89]
	ds_read_b128 v[86:89], v1 offset:1312
	s_waitcnt lgkmcnt(1)
	v_mul_f64 v[92:93], v[82:83], v[18:19]
	v_fmac_f64_e32 v[92:93], v[84:85], v[20:21]
	v_add_f64 v[94:95], v[90:91], v[92:93]
	ds_read_b128 v[90:93], v1 offset:1328
	s_waitcnt vmcnt(58) lgkmcnt(1)
	v_mul_f64 v[96:97], v[86:87], v[30:31]
	s_waitcnt vmcnt(56)
	v_fmac_f64_e32 v[96:97], v[88:89], v[32:33]
	v_add_f64 v[98:99], v[94:95], v[96:97]
	ds_read_b128 v[94:97], v1 offset:1344
	s_waitcnt lgkmcnt(1)
	v_mul_f64 v[100:101], v[90:91], v[26:27]
	v_fmac_f64_e32 v[100:101], v[92:93], v[28:29]
	v_add_f64 v[102:103], v[98:99], v[100:101]
	ds_read_b128 v[98:101], v1 offset:1360
	s_waitcnt vmcnt(50) lgkmcnt(1)
	v_mul_f64 v[104:105], v[94:95], v[38:39]
	s_waitcnt vmcnt(48)
	v_fmac_f64_e32 v[104:105], v[96:97], v[40:41]
	v_add_f64 v[106:107], v[102:103], v[104:105]
	ds_read_b128 v[102:105], v1 offset:1376
	s_waitcnt lgkmcnt(1)
	v_mul_f64 v[108:109], v[98:99], v[34:35]
	v_fmac_f64_e32 v[108:109], v[100:101], v[36:37]
	v_mul_f64 v[12:13], v[72:73], v[14:15]
	v_add_f64 v[110:111], v[106:107], v[108:109]
	ds_read_b128 v[106:109], v1 offset:1392
	s_waitcnt vmcnt(42) lgkmcnt(1)
	v_mul_f64 v[112:113], v[102:103], v[46:47]
	v_add_f64 v[6:7], v[6:7], 0
	v_fma_f64 v[8:9], v[70:71], v[8:9], -v[12:13]
	s_waitcnt vmcnt(40)
	v_fmac_f64_e32 v[112:113], v[104:105], v[48:49]
	v_add_f64 v[6:7], v[6:7], v[8:9]
	v_mul_f64 v[8:9], v[76:77], v[16:17]
	v_add_f64 v[114:115], v[110:111], v[112:113]
	ds_read_b128 v[110:113], v1 offset:1408
	v_fma_f64 v[8:9], v[74:75], v[10:11], -v[8:9]
	v_add_f64 v[6:7], v[6:7], v[8:9]
	v_mul_f64 v[8:9], v[80:81], v[22:23]
	v_fma_f64 v[8:9], v[78:79], v[24:25], -v[8:9]
	s_waitcnt lgkmcnt(1)
	v_mul_f64 v[116:117], v[106:107], v[42:43]
	v_add_f64 v[6:7], v[6:7], v[8:9]
	v_mul_f64 v[8:9], v[84:85], v[18:19]
	v_fmac_f64_e32 v[116:117], v[108:109], v[44:45]
	v_fma_f64 v[8:9], v[82:83], v[20:21], -v[8:9]
	v_add_f64 v[120:121], v[114:115], v[116:117]
	ds_read_b128 v[114:117], v1 offset:1424
	s_waitcnt vmcnt(34) lgkmcnt(1)
	v_mul_f64 v[122:123], v[110:111], v[54:55]
	v_add_f64 v[6:7], v[6:7], v[8:9]
	v_mul_f64 v[8:9], v[88:89], v[30:31]
	s_waitcnt vmcnt(32)
	v_fmac_f64_e32 v[122:123], v[112:113], v[56:57]
	v_fma_f64 v[8:9], v[86:87], v[32:33], -v[8:9]
	v_add_f64 v[124:125], v[120:121], v[122:123]
	ds_read_b128 v[120:123], v1 offset:1440
	v_add_f64 v[6:7], v[6:7], v[8:9]
	v_mul_f64 v[8:9], v[92:93], v[26:27]
	v_fma_f64 v[8:9], v[90:91], v[28:29], -v[8:9]
	v_add_f64 v[6:7], v[6:7], v[8:9]
	v_mul_f64 v[8:9], v[96:97], v[38:39]
	s_waitcnt lgkmcnt(1)
	v_mul_f64 v[126:127], v[114:115], v[50:51]
	v_fma_f64 v[8:9], v[94:95], v[40:41], -v[8:9]
	v_fmac_f64_e32 v[126:127], v[116:117], v[52:53]
	v_add_f64 v[6:7], v[6:7], v[8:9]
	v_mul_f64 v[8:9], v[100:101], v[34:35]
	v_add_f64 v[128:129], v[124:125], v[126:127]
	ds_read_b128 v[124:127], v1 offset:1456
	s_waitcnt vmcnt(26) lgkmcnt(1)
	v_mul_f64 v[130:131], v[120:121], v[62:63]
	v_fma_f64 v[8:9], v[98:99], v[36:37], -v[8:9]
	s_waitcnt vmcnt(24)
	v_fmac_f64_e32 v[130:131], v[122:123], v[64:65]
	v_add_f64 v[6:7], v[6:7], v[8:9]
	v_mul_f64 v[8:9], v[104:105], v[46:47]
	v_add_f64 v[132:133], v[128:129], v[130:131]
	ds_read_b128 v[128:131], v1 offset:1472
	v_fma_f64 v[8:9], v[102:103], v[48:49], -v[8:9]
	v_add_f64 v[6:7], v[6:7], v[8:9]
	v_mul_f64 v[8:9], v[108:109], v[42:43]
	v_fma_f64 v[8:9], v[106:107], v[44:45], -v[8:9]
	s_waitcnt lgkmcnt(1)
	v_mul_f64 v[134:135], v[124:125], v[58:59]
	v_add_f64 v[6:7], v[6:7], v[8:9]
	v_mul_f64 v[8:9], v[112:113], v[54:55]
	v_fmac_f64_e32 v[134:135], v[126:127], v[60:61]
	v_fma_f64 v[8:9], v[110:111], v[56:57], -v[8:9]
	v_add_f64 v[136:137], v[132:133], v[134:135]
	ds_read_b128 v[132:135], v1 offset:1488
	s_waitcnt vmcnt(18) lgkmcnt(1)
	v_mul_f64 v[138:139], v[128:129], v[154:155]
	v_add_f64 v[6:7], v[6:7], v[8:9]
	v_mul_f64 v[8:9], v[116:117], v[50:51]
	s_waitcnt vmcnt(16)
	v_fmac_f64_e32 v[138:139], v[130:131], v[156:157]
	v_fma_f64 v[8:9], v[114:115], v[52:53], -v[8:9]
	v_add_f64 v[140:141], v[136:137], v[138:139]
	ds_read_b128 v[136:139], v1 offset:1504
	v_add_f64 v[6:7], v[6:7], v[8:9]
	v_mul_f64 v[8:9], v[122:123], v[62:63]
	v_fma_f64 v[8:9], v[120:121], v[64:65], -v[8:9]
	v_add_f64 v[6:7], v[6:7], v[8:9]
	v_mul_f64 v[8:9], v[126:127], v[58:59]
	s_waitcnt lgkmcnt(1)
	v_mul_f64 v[142:143], v[132:133], v[118:119]
	v_fma_f64 v[8:9], v[124:125], v[60:61], -v[8:9]
	v_fmac_f64_e32 v[142:143], v[134:135], v[152:153]
	v_add_f64 v[6:7], v[6:7], v[8:9]
	v_mul_f64 v[8:9], v[130:131], v[154:155]
	v_add_f64 v[144:145], v[140:141], v[142:143]
	ds_read_b128 v[140:143], v1 offset:1520
	s_waitcnt vmcnt(10) lgkmcnt(1)
	v_mul_f64 v[146:147], v[136:137], v[162:163]
	v_fma_f64 v[8:9], v[128:129], v[156:157], -v[8:9]
	s_waitcnt vmcnt(8)
	v_fmac_f64_e32 v[146:147], v[138:139], v[164:165]
	v_add_f64 v[6:7], v[6:7], v[8:9]
	v_mul_f64 v[8:9], v[134:135], v[118:119]
	v_add_f64 v[174:175], v[144:145], v[146:147]
	ds_read_b128 v[144:147], v1 offset:1536
	v_fma_f64 v[8:9], v[132:133], v[152:153], -v[8:9]
	v_add_f64 v[6:7], v[6:7], v[8:9]
	v_mul_f64 v[8:9], v[138:139], v[162:163]
	v_fma_f64 v[8:9], v[136:137], v[164:165], -v[8:9]
	v_add_f64 v[6:7], v[6:7], v[8:9]
	s_waitcnt lgkmcnt(1)
	v_mul_f64 v[8:9], v[142:143], v[158:159]
	v_mul_f64 v[176:177], v[140:141], v[158:159]
	v_fma_f64 v[8:9], v[140:141], v[160:161], -v[8:9]
	v_fmac_f64_e32 v[176:177], v[142:143], v[160:161]
	v_add_f64 v[6:7], v[6:7], v[8:9]
	s_waitcnt vmcnt(6) lgkmcnt(0)
	v_mul_f64 v[8:9], v[146:147], v[166:167]
	v_add_f64 v[174:175], v[174:175], v[176:177]
	v_mul_f64 v[176:177], v[144:145], v[166:167]
	s_waitcnt vmcnt(4)
	v_fma_f64 v[8:9], v[144:145], v[168:169], -v[8:9]
	v_fmac_f64_e32 v[176:177], v[146:147], v[168:169]
	v_add_f64 v[6:7], v[6:7], v[8:9]
	s_waitcnt vmcnt(2)
	v_mul_f64 v[8:9], v[150:151], v[170:171]
	v_add_f64 v[174:175], v[174:175], v[176:177]
	v_mul_f64 v[176:177], v[148:149], v[170:171]
	s_waitcnt vmcnt(0)
	v_fma_f64 v[8:9], v[148:149], v[172:173], -v[8:9]
	v_fmac_f64_e32 v[176:177], v[150:151], v[172:173]
	v_add_f64 v[6:7], v[6:7], v[8:9]
	v_add_f64 v[174:175], v[174:175], v[176:177]
	v_add_f64 v[4:5], v[4:5], -v[6:7]
	v_add_f64 v[2:3], v[2:3], -v[174:175]
	buffer_store_dword v5, off, s[0:3], 0 offset:452
	buffer_store_dword v4, off, s[0:3], 0 offset:448
	;; [unrolled: 1-line block ×4, first 2 shown]
	s_and_saveexec_b64 s[4:5], vcc
	s_cbranch_execz .LBB112_255
; %bb.254:
	v_accvgpr_read_b32 v0, a120
	buffer_load_dword v2, v0, s[0:3], 0 offen
	buffer_load_dword v3, v0, s[0:3], 0 offen offset:4
	buffer_load_dword v4, v0, s[0:3], 0 offen offset:8
	;; [unrolled: 1-line block ×3, first 2 shown]
	v_accvgpr_read_b32 v0, a147
	buffer_store_dword v1, off, s[0:3], 0 offset:432
	buffer_store_dword v1, off, s[0:3], 0 offset:436
	;; [unrolled: 1-line block ×4, first 2 shown]
	s_waitcnt vmcnt(4)
	ds_write_b128 v0, v[2:5]
.LBB112_255:
	s_or_b64 exec, exec, s[4:5]
	s_waitcnt lgkmcnt(0)
	; wave barrier
	s_waitcnt lgkmcnt(0)
	ds_read_b128 v[14:17], v1 offset:1216
	ds_read_b128 v[10:13], v1 offset:1232
	;; [unrolled: 1-line block ×4, first 2 shown]
	buffer_load_dword v20, off, s[0:3], 0 offset:432
	buffer_load_dword v21, off, s[0:3], 0 offset:436
	;; [unrolled: 1-line block ×92, first 2 shown]
	s_waitcnt vmcnt(62) lgkmcnt(3)
	v_mul_f64 v[86:87], v[14:15], v[28:29]
	v_fmac_f64_e32 v[86:87], v[16:17], v[22:23]
	s_waitcnt lgkmcnt(2)
	v_mul_f64 v[88:89], v[10:11], v[30:31]
	v_add_f64 v[86:87], v[86:87], 0
	v_fmac_f64_e32 v[88:89], v[12:13], v[24:25]
	v_add_f64 v[86:87], v[86:87], v[88:89]
	s_waitcnt lgkmcnt(1)
	v_mul_f64 v[88:89], v[6:7], v[32:33]
	v_fmac_f64_e32 v[88:89], v[8:9], v[26:27]
	v_add_f64 v[90:91], v[86:87], v[88:89]
	ds_read_b128 v[86:89], v1 offset:1280
	v_mul_f64 v[16:17], v[16:17], v[28:29]
	v_fma_f64 v[14:15], v[14:15], v[22:23], -v[16:17]
	s_waitcnt lgkmcnt(1)
	v_mul_f64 v[92:93], v[2:3], v[38:39]
	v_mul_f64 v[12:13], v[12:13], v[30:31]
	v_fmac_f64_e32 v[92:93], v[4:5], v[40:41]
	v_add_f64 v[94:95], v[90:91], v[92:93]
	ds_read_b128 v[90:93], v1 offset:1296
	s_waitcnt lgkmcnt(1)
	v_mul_f64 v[96:97], v[86:87], v[34:35]
	v_fmac_f64_e32 v[96:97], v[88:89], v[36:37]
	v_add_f64 v[98:99], v[94:95], v[96:97]
	ds_read_b128 v[94:97], v1 offset:1312
	s_waitcnt lgkmcnt(1)
	v_mul_f64 v[100:101], v[90:91], v[46:47]
	s_waitcnt vmcnt(60)
	v_fmac_f64_e32 v[100:101], v[92:93], v[48:49]
	v_add_f64 v[102:103], v[98:99], v[100:101]
	ds_read_b128 v[98:101], v1 offset:1328
	s_waitcnt lgkmcnt(1)
	v_mul_f64 v[104:105], v[94:95], v[42:43]
	v_fmac_f64_e32 v[104:105], v[96:97], v[44:45]
	v_add_f64 v[106:107], v[102:103], v[104:105]
	ds_read_b128 v[102:105], v1 offset:1344
	s_waitcnt vmcnt(54) lgkmcnt(1)
	v_mul_f64 v[108:109], v[98:99], v[54:55]
	s_waitcnt vmcnt(52)
	v_fmac_f64_e32 v[108:109], v[100:101], v[56:57]
	v_add_f64 v[110:111], v[106:107], v[108:109]
	ds_read_b128 v[106:109], v1 offset:1360
	s_waitcnt lgkmcnt(1)
	v_mul_f64 v[112:113], v[102:103], v[50:51]
	v_fmac_f64_e32 v[112:113], v[104:105], v[52:53]
	v_add_f64 v[114:115], v[110:111], v[112:113]
	ds_read_b128 v[110:113], v1 offset:1376
	s_waitcnt vmcnt(46) lgkmcnt(1)
	v_mul_f64 v[116:117], v[106:107], v[62:63]
	s_waitcnt vmcnt(44)
	v_fmac_f64_e32 v[116:117], v[108:109], v[64:65]
	v_add_f64 v[120:121], v[114:115], v[116:117]
	ds_read_b128 v[114:117], v1 offset:1392
	s_waitcnt lgkmcnt(1)
	v_mul_f64 v[122:123], v[110:111], v[58:59]
	v_fmac_f64_e32 v[122:123], v[112:113], v[60:61]
	v_add_f64 v[14:15], v[14:15], 0
	v_fma_f64 v[10:11], v[10:11], v[24:25], -v[12:13]
	v_mul_f64 v[8:9], v[8:9], v[32:33]
	v_add_f64 v[124:125], v[120:121], v[122:123]
	ds_read_b128 v[120:123], v1 offset:1408
	v_add_f64 v[10:11], v[14:15], v[10:11]
	v_fma_f64 v[6:7], v[6:7], v[26:27], -v[8:9]
	v_mul_f64 v[4:5], v[4:5], v[38:39]
	v_add_f64 v[6:7], v[10:11], v[6:7]
	v_fma_f64 v[2:3], v[2:3], v[40:41], -v[4:5]
	v_mul_f64 v[4:5], v[88:89], v[34:35]
	v_add_f64 v[2:3], v[6:7], v[2:3]
	v_fma_f64 v[4:5], v[86:87], v[36:37], -v[4:5]
	s_waitcnt vmcnt(38) lgkmcnt(1)
	v_mul_f64 v[126:127], v[114:115], v[70:71]
	v_add_f64 v[2:3], v[2:3], v[4:5]
	v_mul_f64 v[4:5], v[92:93], v[46:47]
	s_waitcnt vmcnt(36)
	v_fmac_f64_e32 v[126:127], v[116:117], v[72:73]
	v_fma_f64 v[4:5], v[90:91], v[48:49], -v[4:5]
	v_add_f64 v[128:129], v[124:125], v[126:127]
	ds_read_b128 v[124:127], v1 offset:1424
	s_waitcnt lgkmcnt(1)
	v_mul_f64 v[130:131], v[120:121], v[66:67]
	v_add_f64 v[2:3], v[2:3], v[4:5]
	v_mul_f64 v[4:5], v[96:97], v[42:43]
	v_fmac_f64_e32 v[130:131], v[122:123], v[68:69]
	v_fma_f64 v[4:5], v[94:95], v[44:45], -v[4:5]
	v_add_f64 v[132:133], v[128:129], v[130:131]
	ds_read_b128 v[128:131], v1 offset:1440
	v_add_f64 v[2:3], v[2:3], v[4:5]
	v_mul_f64 v[4:5], v[100:101], v[54:55]
	v_fma_f64 v[4:5], v[98:99], v[56:57], -v[4:5]
	v_add_f64 v[2:3], v[2:3], v[4:5]
	v_mul_f64 v[4:5], v[104:105], v[50:51]
	s_waitcnt vmcnt(30) lgkmcnt(1)
	v_mul_f64 v[134:135], v[124:125], v[78:79]
	v_fma_f64 v[4:5], v[102:103], v[52:53], -v[4:5]
	s_waitcnt vmcnt(28)
	v_fmac_f64_e32 v[134:135], v[126:127], v[80:81]
	v_add_f64 v[2:3], v[2:3], v[4:5]
	v_mul_f64 v[4:5], v[108:109], v[62:63]
	v_add_f64 v[136:137], v[132:133], v[134:135]
	ds_read_b128 v[132:135], v1 offset:1456
	s_waitcnt lgkmcnt(1)
	v_mul_f64 v[138:139], v[128:129], v[74:75]
	v_fma_f64 v[4:5], v[106:107], v[64:65], -v[4:5]
	v_fmac_f64_e32 v[138:139], v[130:131], v[76:77]
	v_add_f64 v[2:3], v[2:3], v[4:5]
	v_mul_f64 v[4:5], v[112:113], v[58:59]
	v_add_f64 v[140:141], v[136:137], v[138:139]
	ds_read_b128 v[136:139], v1 offset:1472
	v_fma_f64 v[4:5], v[110:111], v[60:61], -v[4:5]
	v_add_f64 v[2:3], v[2:3], v[4:5]
	v_mul_f64 v[4:5], v[116:117], v[70:71]
	v_fma_f64 v[4:5], v[114:115], v[72:73], -v[4:5]
	s_waitcnt vmcnt(22) lgkmcnt(1)
	v_mul_f64 v[142:143], v[132:133], v[118:119]
	v_add_f64 v[2:3], v[2:3], v[4:5]
	v_mul_f64 v[4:5], v[122:123], v[66:67]
	s_waitcnt vmcnt(20)
	v_fmac_f64_e32 v[142:143], v[134:135], v[160:161]
	v_fma_f64 v[4:5], v[120:121], v[68:69], -v[4:5]
	v_add_f64 v[144:145], v[140:141], v[142:143]
	ds_read_b128 v[140:143], v1 offset:1488
	s_waitcnt lgkmcnt(1)
	v_mul_f64 v[146:147], v[136:137], v[82:83]
	v_add_f64 v[2:3], v[2:3], v[4:5]
	v_mul_f64 v[4:5], v[126:127], v[78:79]
	v_fmac_f64_e32 v[146:147], v[138:139], v[84:85]
	v_fma_f64 v[4:5], v[124:125], v[80:81], -v[4:5]
	v_add_f64 v[148:149], v[144:145], v[146:147]
	ds_read_b128 v[144:147], v1 offset:1504
	v_add_f64 v[2:3], v[2:3], v[4:5]
	v_mul_f64 v[4:5], v[130:131], v[74:75]
	v_fma_f64 v[4:5], v[128:129], v[76:77], -v[4:5]
	v_add_f64 v[2:3], v[2:3], v[4:5]
	v_mul_f64 v[4:5], v[134:135], v[118:119]
	s_waitcnt vmcnt(14) lgkmcnt(1)
	v_mul_f64 v[150:151], v[140:141], v[166:167]
	v_fma_f64 v[4:5], v[132:133], v[160:161], -v[4:5]
	s_waitcnt vmcnt(12)
	v_fmac_f64_e32 v[150:151], v[142:143], v[168:169]
	v_add_f64 v[2:3], v[2:3], v[4:5]
	v_mul_f64 v[4:5], v[138:139], v[82:83]
	v_add_f64 v[152:153], v[148:149], v[150:151]
	ds_read_b128 v[148:151], v1 offset:1520
	s_waitcnt lgkmcnt(1)
	v_mul_f64 v[154:155], v[144:145], v[162:163]
	v_fma_f64 v[4:5], v[136:137], v[84:85], -v[4:5]
	v_fmac_f64_e32 v[154:155], v[146:147], v[164:165]
	v_add_f64 v[2:3], v[2:3], v[4:5]
	v_mul_f64 v[4:5], v[142:143], v[166:167]
	v_add_f64 v[182:183], v[152:153], v[154:155]
	ds_read_b128 v[152:155], v1 offset:1536
	ds_read_b128 v[156:159], v1 offset:1552
	v_fma_f64 v[4:5], v[140:141], v[168:169], -v[4:5]
	v_add_f64 v[2:3], v[2:3], v[4:5]
	v_mul_f64 v[4:5], v[146:147], v[162:163]
	v_fma_f64 v[4:5], v[144:145], v[164:165], -v[4:5]
	v_add_f64 v[2:3], v[2:3], v[4:5]
	s_waitcnt vmcnt(6) lgkmcnt(2)
	v_mul_f64 v[4:5], v[150:151], v[174:175]
	v_mul_f64 v[184:185], v[148:149], v[174:175]
	s_waitcnt vmcnt(4)
	v_fma_f64 v[4:5], v[148:149], v[176:177], -v[4:5]
	v_fmac_f64_e32 v[184:185], v[150:151], v[176:177]
	v_add_f64 v[2:3], v[2:3], v[4:5]
	s_waitcnt lgkmcnt(1)
	v_mul_f64 v[4:5], v[154:155], v[170:171]
	v_add_f64 v[182:183], v[182:183], v[184:185]
	v_mul_f64 v[184:185], v[152:153], v[170:171]
	v_fma_f64 v[4:5], v[152:153], v[172:173], -v[4:5]
	v_fmac_f64_e32 v[184:185], v[154:155], v[172:173]
	v_add_f64 v[2:3], v[2:3], v[4:5]
	s_waitcnt vmcnt(2) lgkmcnt(0)
	v_mul_f64 v[4:5], v[158:159], v[178:179]
	v_add_f64 v[182:183], v[182:183], v[184:185]
	v_mul_f64 v[184:185], v[156:157], v[178:179]
	s_waitcnt vmcnt(0)
	v_fma_f64 v[4:5], v[156:157], v[180:181], -v[4:5]
	v_fmac_f64_e32 v[184:185], v[158:159], v[180:181]
	v_add_f64 v[2:3], v[2:3], v[4:5]
	v_add_f64 v[182:183], v[182:183], v[184:185]
	v_add_f64 v[2:3], v[20:21], -v[2:3]
	v_cmp_lt_u32_e32 vcc, 25, v254
	v_add_f64 v[4:5], v[18:19], -v[182:183]
	buffer_store_dword v3, off, s[0:3], 0 offset:436
	buffer_store_dword v2, off, s[0:3], 0 offset:432
	;; [unrolled: 1-line block ×4, first 2 shown]
	s_and_saveexec_b64 s[4:5], vcc
	s_cbranch_execz .LBB112_257
; %bb.256:
	v_accvgpr_read_b32 v0, a121
	buffer_load_dword v2, v0, s[0:3], 0 offen
	buffer_load_dword v3, v0, s[0:3], 0 offen offset:4
	buffer_load_dword v4, v0, s[0:3], 0 offen offset:8
	;; [unrolled: 1-line block ×3, first 2 shown]
	v_mov_b32_e32 v0, 0
	v_accvgpr_read_b32 v1, a147
	buffer_store_dword v0, off, s[0:3], 0 offset:416
	buffer_store_dword v0, off, s[0:3], 0 offset:420
	buffer_store_dword v0, off, s[0:3], 0 offset:424
	buffer_store_dword v0, off, s[0:3], 0 offset:428
	s_waitcnt vmcnt(4)
	ds_write_b128 v1, v[2:5]
.LBB112_257:
	s_or_b64 exec, exec, s[4:5]
	s_waitcnt lgkmcnt(0)
	; wave barrier
	s_waitcnt lgkmcnt(0)
	buffer_load_dword v9, off, s[0:3], 0 offset:444
	buffer_load_dword v6, off, s[0:3], 0 offset:456
	;; [unrolled: 1-line block ×64, first 2 shown]
	v_mov_b32_e32 v1, 0
	ds_read_b128 v[74:77], v1 offset:1200
	ds_read_b128 v[78:81], v1 offset:1216
	buffer_load_dword v67, off, s[0:3], 0 offset:700
	buffer_load_dword v66, off, s[0:3], 0 offset:696
	;; [unrolled: 1-line block ×8, first 2 shown]
	ds_read_b128 v[82:85], v1 offset:1232
	ds_read_b128 v[86:89], v1 offset:1248
	buffer_load_dword v119, off, s[0:3], 0 offset:732
	buffer_load_dword v118, off, s[0:3], 0 offset:728
	;; [unrolled: 1-line block ×24, first 2 shown]
	ds_read_b128 v[164:167], v1 offset:1552
	v_cmp_lt_u32_e32 vcc, 24, v254
	s_waitcnt vmcnt(62) lgkmcnt(1)
	v_mul_f64 v[96:97], v[86:87], v[22:23]
	v_fmac_f64_e32 v[96:97], v[88:89], v[24:25]
	v_mul_f64 v[92:93], v[78:79], v[6:7]
	v_mul_f64 v[90:91], v[74:75], v[8:9]
	;; [unrolled: 1-line block ×3, first 2 shown]
	v_fmac_f64_e32 v[90:91], v[76:77], v[10:11]
	v_add_f64 v[90:91], v[90:91], 0
	v_fma_f64 v[8:9], v[74:75], v[10:11], -v[8:9]
	v_mul_f64 v[6:7], v[80:81], v[6:7]
	v_add_f64 v[8:9], v[8:9], 0
	v_fmac_f64_e32 v[92:93], v[80:81], v[14:15]
	v_add_f64 v[90:91], v[90:91], v[92:93]
	v_mul_f64 v[92:93], v[82:83], v[16:17]
	v_fmac_f64_e32 v[92:93], v[84:85], v[12:13]
	v_add_f64 v[94:95], v[90:91], v[92:93]
	ds_read_b128 v[90:93], v1 offset:1264
	v_add_f64 v[98:99], v[94:95], v[96:97]
	ds_read_b128 v[94:97], v1 offset:1280
	v_fma_f64 v[6:7], v[78:79], v[14:15], -v[6:7]
	v_add_f64 v[6:7], v[8:9], v[6:7]
	s_waitcnt lgkmcnt(1)
	v_mul_f64 v[100:101], v[90:91], v[18:19]
	v_fmac_f64_e32 v[100:101], v[92:93], v[20:21]
	v_add_f64 v[102:103], v[98:99], v[100:101]
	ds_read_b128 v[98:101], v1 offset:1296
	s_waitcnt lgkmcnt(1)
	v_mul_f64 v[104:105], v[94:95], v[30:31]
	v_fmac_f64_e32 v[104:105], v[96:97], v[32:33]
	v_add_f64 v[106:107], v[102:103], v[104:105]
	ds_read_b128 v[102:105], v1 offset:1312
	s_waitcnt lgkmcnt(1)
	v_mul_f64 v[108:109], v[98:99], v[26:27]
	v_fmac_f64_e32 v[108:109], v[100:101], v[28:29]
	v_add_f64 v[110:111], v[106:107], v[108:109]
	ds_read_b128 v[106:109], v1 offset:1328
	s_waitcnt vmcnt(58) lgkmcnt(1)
	v_mul_f64 v[112:113], v[102:103], v[38:39]
	s_waitcnt vmcnt(56)
	v_fmac_f64_e32 v[112:113], v[104:105], v[40:41]
	v_add_f64 v[114:115], v[110:111], v[112:113]
	ds_read_b128 v[110:113], v1 offset:1344
	s_waitcnt lgkmcnt(1)
	v_mul_f64 v[116:117], v[106:107], v[34:35]
	v_fmac_f64_e32 v[116:117], v[108:109], v[36:37]
	v_add_f64 v[120:121], v[114:115], v[116:117]
	ds_read_b128 v[114:117], v1 offset:1360
	s_waitcnt vmcnt(50) lgkmcnt(1)
	v_mul_f64 v[122:123], v[110:111], v[46:47]
	s_waitcnt vmcnt(48)
	v_fmac_f64_e32 v[122:123], v[112:113], v[48:49]
	v_add_f64 v[124:125], v[120:121], v[122:123]
	ds_read_b128 v[120:123], v1 offset:1376
	v_mul_f64 v[8:9], v[84:85], v[16:17]
	s_waitcnt lgkmcnt(1)
	v_mul_f64 v[126:127], v[114:115], v[42:43]
	v_fma_f64 v[8:9], v[82:83], v[12:13], -v[8:9]
	v_fmac_f64_e32 v[126:127], v[116:117], v[44:45]
	v_add_f64 v[6:7], v[6:7], v[8:9]
	v_mul_f64 v[8:9], v[88:89], v[22:23]
	v_add_f64 v[128:129], v[124:125], v[126:127]
	ds_read_b128 v[124:127], v1 offset:1392
	s_waitcnt vmcnt(42) lgkmcnt(1)
	v_mul_f64 v[130:131], v[120:121], v[54:55]
	v_fma_f64 v[8:9], v[86:87], v[24:25], -v[8:9]
	s_waitcnt vmcnt(40)
	v_fmac_f64_e32 v[130:131], v[122:123], v[56:57]
	v_add_f64 v[6:7], v[6:7], v[8:9]
	v_mul_f64 v[8:9], v[92:93], v[18:19]
	v_add_f64 v[132:133], v[128:129], v[130:131]
	ds_read_b128 v[128:131], v1 offset:1408
	v_fma_f64 v[8:9], v[90:91], v[20:21], -v[8:9]
	v_add_f64 v[6:7], v[6:7], v[8:9]
	v_mul_f64 v[8:9], v[96:97], v[30:31]
	v_fma_f64 v[8:9], v[94:95], v[32:33], -v[8:9]
	s_waitcnt lgkmcnt(1)
	v_mul_f64 v[134:135], v[124:125], v[50:51]
	v_add_f64 v[6:7], v[6:7], v[8:9]
	v_mul_f64 v[8:9], v[100:101], v[26:27]
	v_fmac_f64_e32 v[134:135], v[126:127], v[52:53]
	v_fma_f64 v[8:9], v[98:99], v[28:29], -v[8:9]
	v_add_f64 v[136:137], v[132:133], v[134:135]
	ds_read_b128 v[132:135], v1 offset:1424
	s_waitcnt vmcnt(34) lgkmcnt(1)
	v_mul_f64 v[138:139], v[128:129], v[62:63]
	v_add_f64 v[6:7], v[6:7], v[8:9]
	v_mul_f64 v[8:9], v[104:105], v[38:39]
	s_waitcnt vmcnt(32)
	v_fmac_f64_e32 v[138:139], v[130:131], v[64:65]
	v_fma_f64 v[8:9], v[102:103], v[40:41], -v[8:9]
	v_add_f64 v[140:141], v[136:137], v[138:139]
	ds_read_b128 v[136:139], v1 offset:1440
	v_add_f64 v[6:7], v[6:7], v[8:9]
	v_mul_f64 v[8:9], v[108:109], v[34:35]
	v_fma_f64 v[8:9], v[106:107], v[36:37], -v[8:9]
	v_add_f64 v[6:7], v[6:7], v[8:9]
	v_mul_f64 v[8:9], v[112:113], v[46:47]
	s_waitcnt lgkmcnt(1)
	v_mul_f64 v[142:143], v[132:133], v[58:59]
	v_fma_f64 v[8:9], v[110:111], v[48:49], -v[8:9]
	v_fmac_f64_e32 v[142:143], v[134:135], v[60:61]
	v_add_f64 v[6:7], v[6:7], v[8:9]
	v_mul_f64 v[8:9], v[116:117], v[42:43]
	v_add_f64 v[144:145], v[140:141], v[142:143]
	ds_read_b128 v[140:143], v1 offset:1456
	s_waitcnt vmcnt(26) lgkmcnt(1)
	v_mul_f64 v[146:147], v[136:137], v[70:71]
	v_fma_f64 v[8:9], v[114:115], v[44:45], -v[8:9]
	s_waitcnt vmcnt(24)
	v_fmac_f64_e32 v[146:147], v[138:139], v[72:73]
	v_add_f64 v[6:7], v[6:7], v[8:9]
	v_mul_f64 v[8:9], v[122:123], v[54:55]
	v_add_f64 v[148:149], v[144:145], v[146:147]
	ds_read_b128 v[144:147], v1 offset:1472
	v_fma_f64 v[8:9], v[120:121], v[56:57], -v[8:9]
	v_add_f64 v[6:7], v[6:7], v[8:9]
	v_mul_f64 v[8:9], v[126:127], v[50:51]
	v_fma_f64 v[8:9], v[124:125], v[52:53], -v[8:9]
	s_waitcnt lgkmcnt(1)
	v_mul_f64 v[150:151], v[140:141], v[66:67]
	v_add_f64 v[6:7], v[6:7], v[8:9]
	v_mul_f64 v[8:9], v[130:131], v[62:63]
	v_fmac_f64_e32 v[150:151], v[142:143], v[68:69]
	v_fma_f64 v[8:9], v[128:129], v[64:65], -v[8:9]
	v_add_f64 v[152:153], v[148:149], v[150:151]
	ds_read_b128 v[148:151], v1 offset:1488
	s_waitcnt vmcnt(18) lgkmcnt(1)
	v_mul_f64 v[154:155], v[144:145], v[170:171]
	v_add_f64 v[6:7], v[6:7], v[8:9]
	v_mul_f64 v[8:9], v[134:135], v[58:59]
	s_waitcnt vmcnt(16)
	v_fmac_f64_e32 v[154:155], v[146:147], v[172:173]
	v_fma_f64 v[8:9], v[132:133], v[60:61], -v[8:9]
	v_add_f64 v[156:157], v[152:153], v[154:155]
	ds_read_b128 v[152:155], v1 offset:1504
	v_add_f64 v[6:7], v[6:7], v[8:9]
	v_mul_f64 v[8:9], v[138:139], v[70:71]
	v_fma_f64 v[8:9], v[136:137], v[72:73], -v[8:9]
	v_add_f64 v[6:7], v[6:7], v[8:9]
	v_mul_f64 v[8:9], v[142:143], v[66:67]
	s_waitcnt lgkmcnt(1)
	v_mul_f64 v[158:159], v[148:149], v[118:119]
	v_fma_f64 v[8:9], v[140:141], v[68:69], -v[8:9]
	v_fmac_f64_e32 v[158:159], v[150:151], v[168:169]
	v_add_f64 v[6:7], v[6:7], v[8:9]
	v_mul_f64 v[8:9], v[146:147], v[170:171]
	v_add_f64 v[160:161], v[156:157], v[158:159]
	ds_read_b128 v[156:159], v1 offset:1520
	s_waitcnt vmcnt(10) lgkmcnt(1)
	v_mul_f64 v[162:163], v[152:153], v[178:179]
	v_fma_f64 v[8:9], v[144:145], v[172:173], -v[8:9]
	s_waitcnt vmcnt(8)
	v_fmac_f64_e32 v[162:163], v[154:155], v[180:181]
	v_add_f64 v[6:7], v[6:7], v[8:9]
	v_mul_f64 v[8:9], v[150:151], v[118:119]
	v_add_f64 v[190:191], v[160:161], v[162:163]
	ds_read_b128 v[160:163], v1 offset:1536
	v_fma_f64 v[8:9], v[148:149], v[168:169], -v[8:9]
	v_add_f64 v[6:7], v[6:7], v[8:9]
	v_mul_f64 v[8:9], v[154:155], v[178:179]
	v_fma_f64 v[8:9], v[152:153], v[180:181], -v[8:9]
	v_add_f64 v[6:7], v[6:7], v[8:9]
	s_waitcnt lgkmcnt(1)
	v_mul_f64 v[8:9], v[158:159], v[174:175]
	v_mul_f64 v[192:193], v[156:157], v[174:175]
	v_fma_f64 v[8:9], v[156:157], v[176:177], -v[8:9]
	v_fmac_f64_e32 v[192:193], v[158:159], v[176:177]
	v_add_f64 v[6:7], v[6:7], v[8:9]
	s_waitcnt vmcnt(2) lgkmcnt(0)
	v_mul_f64 v[8:9], v[162:163], v[186:187]
	v_add_f64 v[190:191], v[190:191], v[192:193]
	v_mul_f64 v[192:193], v[160:161], v[186:187]
	s_waitcnt vmcnt(0)
	v_fma_f64 v[8:9], v[160:161], v[188:189], -v[8:9]
	v_fmac_f64_e32 v[192:193], v[162:163], v[188:189]
	v_add_f64 v[6:7], v[6:7], v[8:9]
	v_mul_f64 v[8:9], v[166:167], v[182:183]
	v_add_f64 v[190:191], v[190:191], v[192:193]
	v_mul_f64 v[192:193], v[164:165], v[182:183]
	v_fma_f64 v[8:9], v[164:165], v[184:185], -v[8:9]
	v_fmac_f64_e32 v[192:193], v[166:167], v[184:185]
	v_add_f64 v[6:7], v[6:7], v[8:9]
	v_add_f64 v[190:191], v[190:191], v[192:193]
	v_add_f64 v[4:5], v[4:5], -v[6:7]
	v_add_f64 v[2:3], v[2:3], -v[190:191]
	buffer_store_dword v5, off, s[0:3], 0 offset:420
	buffer_store_dword v4, off, s[0:3], 0 offset:416
	;; [unrolled: 1-line block ×4, first 2 shown]
	s_and_saveexec_b64 s[4:5], vcc
	s_cbranch_execz .LBB112_259
; %bb.258:
	v_accvgpr_read_b32 v0, a122
	buffer_load_dword v2, v0, s[0:3], 0 offen
	buffer_load_dword v3, v0, s[0:3], 0 offen offset:4
	buffer_load_dword v4, v0, s[0:3], 0 offen offset:8
	;; [unrolled: 1-line block ×3, first 2 shown]
	v_accvgpr_read_b32 v0, a147
	buffer_store_dword v1, off, s[0:3], 0 offset:400
	buffer_store_dword v1, off, s[0:3], 0 offset:404
	;; [unrolled: 1-line block ×4, first 2 shown]
	s_waitcnt vmcnt(4)
	ds_write_b128 v0, v[2:5]
.LBB112_259:
	s_or_b64 exec, exec, s[4:5]
	s_waitcnt lgkmcnt(0)
	; wave barrier
	s_waitcnt lgkmcnt(0)
	buffer_load_dword v22, off, s[0:3], 0 offset:416
	buffer_load_dword v23, off, s[0:3], 0 offset:420
	;; [unrolled: 1-line block ×16, first 2 shown]
	ds_read_b128 v[2:5], v1 offset:1184
	ds_read_b128 v[6:9], v1 offset:1200
	;; [unrolled: 1-line block ×4, first 2 shown]
	buffer_load_dword v35, off, s[0:3], 0 offset:492
	buffer_load_dword v34, off, s[0:3], 0 offset:488
	buffer_load_dword v37, off, s[0:3], 0 offset:484
	buffer_load_dword v36, off, s[0:3], 0 offset:480
	buffer_load_dword v39, off, s[0:3], 0 offset:476
	buffer_load_dword v38, off, s[0:3], 0 offset:472
	buffer_load_dword v41, off, s[0:3], 0 offset:468
	buffer_load_dword v40, off, s[0:3], 0 offset:464
	buffer_load_dword v43, off, s[0:3], 0 offset:524
	buffer_load_dword v42, off, s[0:3], 0 offset:520
	buffer_load_dword v45, off, s[0:3], 0 offset:516
	buffer_load_dword v44, off, s[0:3], 0 offset:512
	buffer_load_dword v47, off, s[0:3], 0 offset:508
	buffer_load_dword v46, off, s[0:3], 0 offset:504
	buffer_load_dword v49, off, s[0:3], 0 offset:500
	buffer_load_dword v48, off, s[0:3], 0 offset:496
	buffer_load_dword v51, off, s[0:3], 0 offset:556
	buffer_load_dword v50, off, s[0:3], 0 offset:552
	buffer_load_dword v53, off, s[0:3], 0 offset:548
	buffer_load_dword v52, off, s[0:3], 0 offset:544
	buffer_load_dword v55, off, s[0:3], 0 offset:540
	buffer_load_dword v54, off, s[0:3], 0 offset:536
	buffer_load_dword v57, off, s[0:3], 0 offset:532
	buffer_load_dword v56, off, s[0:3], 0 offset:528
	buffer_load_dword v59, off, s[0:3], 0 offset:588
	buffer_load_dword v58, off, s[0:3], 0 offset:584
	buffer_load_dword v61, off, s[0:3], 0 offset:580
	buffer_load_dword v60, off, s[0:3], 0 offset:576
	buffer_load_dword v63, off, s[0:3], 0 offset:572
	buffer_load_dword v62, off, s[0:3], 0 offset:568
	buffer_load_dword v65, off, s[0:3], 0 offset:564
	buffer_load_dword v64, off, s[0:3], 0 offset:560
	buffer_load_dword v67, off, s[0:3], 0 offset:620
	buffer_load_dword v66, off, s[0:3], 0 offset:616
	buffer_load_dword v69, off, s[0:3], 0 offset:612
	buffer_load_dword v68, off, s[0:3], 0 offset:608
	buffer_load_dword v71, off, s[0:3], 0 offset:604
	buffer_load_dword v70, off, s[0:3], 0 offset:600
	buffer_load_dword v73, off, s[0:3], 0 offset:596
	buffer_load_dword v72, off, s[0:3], 0 offset:592
	buffer_load_dword v75, off, s[0:3], 0 offset:652
	buffer_load_dword v74, off, s[0:3], 0 offset:648
	buffer_load_dword v77, off, s[0:3], 0 offset:644
	buffer_load_dword v76, off, s[0:3], 0 offset:640
	buffer_load_dword v79, off, s[0:3], 0 offset:636
	buffer_load_dword v78, off, s[0:3], 0 offset:632
	buffer_load_dword v81, off, s[0:3], 0 offset:628
	buffer_load_dword v80, off, s[0:3], 0 offset:624
	v_cmp_lt_u32_e32 vcc, 23, v254
	s_waitcnt vmcnt(42) lgkmcnt(0)
	v_mul_f64 v[104:105], v[14:15], v[38:39]
	s_waitcnt vmcnt(40)
	v_fmac_f64_e32 v[104:105], v[16:17], v[40:41]
	v_mul_f64 v[82:83], v[2:3], v[24:25]
	v_fmac_f64_e32 v[82:83], v[4:5], v[22:23]
	v_add_f64 v[82:83], v[82:83], 0
	v_mul_f64 v[4:5], v[4:5], v[24:25]
	v_mul_f64 v[84:85], v[6:7], v[32:33]
	v_fma_f64 v[2:3], v[2:3], v[22:23], -v[4:5]
	v_mul_f64 v[98:99], v[10:11], v[26:27]
	v_fmac_f64_e32 v[98:99], v[12:13], v[30:31]
	v_fmac_f64_e32 v[84:85], v[8:9], v[28:29]
	v_add_f64 v[100:101], v[82:83], v[84:85]
	buffer_load_dword v83, off, s[0:3], 0 offset:684
	buffer_load_dword v82, off, s[0:3], 0 offset:680
	;; [unrolled: 1-line block ×32, first 2 shown]
	v_add_f64 v[102:103], v[100:101], v[98:99]
	ds_read_b128 v[98:101], v1 offset:1248
	buffer_load_dword v195, off, s[0:3], 0 offset:796
	buffer_load_dword v194, off, s[0:3], 0 offset:792
	;; [unrolled: 1-line block ×4, first 2 shown]
	v_add_f64 v[106:107], v[102:103], v[104:105]
	ds_read_b128 v[102:105], v1 offset:1264
	v_mul_f64 v[4:5], v[8:9], v[32:33]
	s_waitcnt lgkmcnt(1)
	v_mul_f64 v[108:109], v[98:99], v[34:35]
	v_fmac_f64_e32 v[108:109], v[100:101], v[36:37]
	v_add_f64 v[110:111], v[106:107], v[108:109]
	ds_read_b128 v[106:109], v1 offset:1280
	s_waitcnt vmcnt(62) lgkmcnt(1)
	v_mul_f64 v[112:113], v[102:103], v[46:47]
	v_fmac_f64_e32 v[112:113], v[104:105], v[48:49]
	v_add_f64 v[114:115], v[110:111], v[112:113]
	ds_read_b128 v[110:113], v1 offset:1296
	s_waitcnt lgkmcnt(1)
	v_mul_f64 v[116:117], v[106:107], v[42:43]
	v_fmac_f64_e32 v[116:117], v[108:109], v[44:45]
	v_add_f64 v[120:121], v[114:115], v[116:117]
	ds_read_b128 v[114:117], v1 offset:1312
	s_waitcnt lgkmcnt(1)
	v_mul_f64 v[122:123], v[110:111], v[54:55]
	s_waitcnt vmcnt(60)
	v_fmac_f64_e32 v[122:123], v[112:113], v[56:57]
	v_add_f64 v[124:125], v[120:121], v[122:123]
	ds_read_b128 v[120:123], v1 offset:1328
	s_waitcnt lgkmcnt(1)
	v_mul_f64 v[126:127], v[114:115], v[50:51]
	v_fmac_f64_e32 v[126:127], v[116:117], v[52:53]
	v_add_f64 v[128:129], v[124:125], v[126:127]
	ds_read_b128 v[124:127], v1 offset:1344
	s_waitcnt vmcnt(54) lgkmcnt(1)
	v_mul_f64 v[130:131], v[120:121], v[62:63]
	s_waitcnt vmcnt(52)
	v_fmac_f64_e32 v[130:131], v[122:123], v[64:65]
	v_add_f64 v[132:133], v[128:129], v[130:131]
	ds_read_b128 v[128:131], v1 offset:1360
	s_waitcnt lgkmcnt(1)
	v_mul_f64 v[134:135], v[124:125], v[58:59]
	v_fmac_f64_e32 v[134:135], v[126:127], v[60:61]
	v_add_f64 v[2:3], v[2:3], 0
	v_fma_f64 v[4:5], v[6:7], v[28:29], -v[4:5]
	v_add_f64 v[136:137], v[132:133], v[134:135]
	ds_read_b128 v[132:135], v1 offset:1376
	v_add_f64 v[2:3], v[2:3], v[4:5]
	v_mul_f64 v[4:5], v[12:13], v[26:27]
	v_fma_f64 v[4:5], v[10:11], v[30:31], -v[4:5]
	v_add_f64 v[2:3], v[2:3], v[4:5]
	v_mul_f64 v[4:5], v[16:17], v[38:39]
	s_waitcnt vmcnt(46) lgkmcnt(1)
	v_mul_f64 v[138:139], v[128:129], v[70:71]
	v_fma_f64 v[4:5], v[14:15], v[40:41], -v[4:5]
	s_waitcnt vmcnt(44)
	v_fmac_f64_e32 v[138:139], v[130:131], v[72:73]
	v_add_f64 v[2:3], v[2:3], v[4:5]
	v_mul_f64 v[4:5], v[100:101], v[34:35]
	v_add_f64 v[140:141], v[136:137], v[138:139]
	ds_read_b128 v[136:139], v1 offset:1392
	s_waitcnt lgkmcnt(1)
	v_mul_f64 v[142:143], v[132:133], v[66:67]
	v_fma_f64 v[4:5], v[98:99], v[36:37], -v[4:5]
	v_fmac_f64_e32 v[142:143], v[134:135], v[68:69]
	v_add_f64 v[2:3], v[2:3], v[4:5]
	v_mul_f64 v[4:5], v[104:105], v[46:47]
	v_add_f64 v[144:145], v[140:141], v[142:143]
	ds_read_b128 v[140:143], v1 offset:1408
	v_fma_f64 v[4:5], v[102:103], v[48:49], -v[4:5]
	v_add_f64 v[2:3], v[2:3], v[4:5]
	v_mul_f64 v[4:5], v[108:109], v[42:43]
	v_fma_f64 v[4:5], v[106:107], v[44:45], -v[4:5]
	s_waitcnt vmcnt(38) lgkmcnt(1)
	v_mul_f64 v[146:147], v[136:137], v[78:79]
	v_add_f64 v[2:3], v[2:3], v[4:5]
	v_mul_f64 v[4:5], v[112:113], v[54:55]
	s_waitcnt vmcnt(36)
	v_fmac_f64_e32 v[146:147], v[138:139], v[80:81]
	v_fma_f64 v[4:5], v[110:111], v[56:57], -v[4:5]
	v_add_f64 v[148:149], v[144:145], v[146:147]
	ds_read_b128 v[144:147], v1 offset:1424
	s_waitcnt lgkmcnt(1)
	v_mul_f64 v[150:151], v[140:141], v[74:75]
	v_add_f64 v[2:3], v[2:3], v[4:5]
	v_mul_f64 v[4:5], v[116:117], v[50:51]
	v_fmac_f64_e32 v[150:151], v[142:143], v[76:77]
	v_fma_f64 v[4:5], v[114:115], v[52:53], -v[4:5]
	v_add_f64 v[152:153], v[148:149], v[150:151]
	ds_read_b128 v[148:151], v1 offset:1440
	v_add_f64 v[2:3], v[2:3], v[4:5]
	v_mul_f64 v[4:5], v[122:123], v[62:63]
	v_fma_f64 v[4:5], v[120:121], v[64:65], -v[4:5]
	v_add_f64 v[2:3], v[2:3], v[4:5]
	v_mul_f64 v[4:5], v[126:127], v[58:59]
	s_waitcnt vmcnt(30) lgkmcnt(1)
	v_mul_f64 v[154:155], v[144:145], v[86:87]
	v_fma_f64 v[4:5], v[124:125], v[60:61], -v[4:5]
	s_waitcnt vmcnt(28)
	v_fmac_f64_e32 v[154:155], v[146:147], v[88:89]
	v_add_f64 v[2:3], v[2:3], v[4:5]
	v_mul_f64 v[4:5], v[130:131], v[70:71]
	v_add_f64 v[156:157], v[152:153], v[154:155]
	ds_read_b128 v[152:155], v1 offset:1456
	s_waitcnt lgkmcnt(1)
	v_mul_f64 v[158:159], v[148:149], v[82:83]
	v_fma_f64 v[4:5], v[128:129], v[72:73], -v[4:5]
	v_fmac_f64_e32 v[158:159], v[150:151], v[84:85]
	v_add_f64 v[2:3], v[2:3], v[4:5]
	v_mul_f64 v[4:5], v[134:135], v[66:67]
	v_add_f64 v[160:161], v[156:157], v[158:159]
	ds_read_b128 v[156:159], v1 offset:1472
	v_fma_f64 v[4:5], v[132:133], v[68:69], -v[4:5]
	v_add_f64 v[2:3], v[2:3], v[4:5]
	v_mul_f64 v[4:5], v[138:139], v[78:79]
	v_fma_f64 v[4:5], v[136:137], v[80:81], -v[4:5]
	s_waitcnt vmcnt(22) lgkmcnt(1)
	v_mul_f64 v[162:163], v[152:153], v[94:95]
	v_add_f64 v[2:3], v[2:3], v[4:5]
	v_mul_f64 v[4:5], v[142:143], v[74:75]
	s_waitcnt vmcnt(20)
	v_fmac_f64_e32 v[162:163], v[154:155], v[96:97]
	v_fma_f64 v[4:5], v[140:141], v[76:77], -v[4:5]
	v_add_f64 v[164:165], v[160:161], v[162:163]
	ds_read_b128 v[160:163], v1 offset:1488
	s_waitcnt lgkmcnt(1)
	v_mul_f64 v[166:167], v[156:157], v[90:91]
	v_add_f64 v[2:3], v[2:3], v[4:5]
	v_mul_f64 v[4:5], v[146:147], v[86:87]
	v_fmac_f64_e32 v[166:167], v[158:159], v[92:93]
	v_fma_f64 v[4:5], v[144:145], v[88:89], -v[4:5]
	v_add_f64 v[168:169], v[164:165], v[166:167]
	ds_read_b128 v[164:167], v1 offset:1504
	v_add_f64 v[2:3], v[2:3], v[4:5]
	v_mul_f64 v[4:5], v[150:151], v[82:83]
	v_fma_f64 v[4:5], v[148:149], v[84:85], -v[4:5]
	v_add_f64 v[2:3], v[2:3], v[4:5]
	v_mul_f64 v[4:5], v[154:155], v[94:95]
	s_waitcnt vmcnt(14) lgkmcnt(1)
	v_mul_f64 v[170:171], v[160:161], v[182:183]
	v_fma_f64 v[4:5], v[152:153], v[96:97], -v[4:5]
	s_waitcnt vmcnt(12)
	v_fmac_f64_e32 v[170:171], v[162:163], v[184:185]
	v_add_f64 v[2:3], v[2:3], v[4:5]
	v_mul_f64 v[4:5], v[158:159], v[90:91]
	v_add_f64 v[172:173], v[168:169], v[170:171]
	ds_read_b128 v[168:171], v1 offset:1520
	s_waitcnt lgkmcnt(1)
	v_mul_f64 v[174:175], v[164:165], v[118:119]
	v_fma_f64 v[4:5], v[156:157], v[92:93], -v[4:5]
	v_fmac_f64_e32 v[174:175], v[166:167], v[180:181]
	v_add_f64 v[2:3], v[2:3], v[4:5]
	v_mul_f64 v[4:5], v[162:163], v[182:183]
	v_add_f64 v[198:199], v[172:173], v[174:175]
	ds_read_b128 v[172:175], v1 offset:1536
	v_fma_f64 v[4:5], v[160:161], v[184:185], -v[4:5]
	v_add_f64 v[2:3], v[2:3], v[4:5]
	v_mul_f64 v[4:5], v[166:167], v[118:119]
	ds_read_b128 v[176:179], v1 offset:1552
	v_fma_f64 v[4:5], v[164:165], v[180:181], -v[4:5]
	v_add_f64 v[2:3], v[2:3], v[4:5]
	s_waitcnt vmcnt(6) lgkmcnt(2)
	v_mul_f64 v[4:5], v[170:171], v[190:191]
	v_mul_f64 v[200:201], v[168:169], v[190:191]
	s_waitcnt vmcnt(4)
	v_fma_f64 v[4:5], v[168:169], v[192:193], -v[4:5]
	v_fmac_f64_e32 v[200:201], v[170:171], v[192:193]
	v_add_f64 v[2:3], v[2:3], v[4:5]
	s_waitcnt lgkmcnt(1)
	v_mul_f64 v[4:5], v[174:175], v[186:187]
	v_add_f64 v[198:199], v[198:199], v[200:201]
	v_mul_f64 v[200:201], v[172:173], v[186:187]
	v_fma_f64 v[4:5], v[172:173], v[188:189], -v[4:5]
	v_fmac_f64_e32 v[200:201], v[174:175], v[188:189]
	v_add_f64 v[2:3], v[2:3], v[4:5]
	s_waitcnt vmcnt(2) lgkmcnt(0)
	v_mul_f64 v[4:5], v[178:179], v[194:195]
	v_add_f64 v[198:199], v[198:199], v[200:201]
	v_mul_f64 v[200:201], v[176:177], v[194:195]
	s_waitcnt vmcnt(0)
	v_fma_f64 v[4:5], v[176:177], v[196:197], -v[4:5]
	v_fmac_f64_e32 v[200:201], v[178:179], v[196:197]
	v_add_f64 v[2:3], v[2:3], v[4:5]
	v_add_f64 v[198:199], v[198:199], v[200:201]
	v_add_f64 v[2:3], v[20:21], -v[2:3]
	v_add_f64 v[4:5], v[18:19], -v[198:199]
	buffer_store_dword v3, off, s[0:3], 0 offset:404
	buffer_store_dword v2, off, s[0:3], 0 offset:400
	;; [unrolled: 1-line block ×4, first 2 shown]
	s_and_saveexec_b64 s[4:5], vcc
	s_cbranch_execz .LBB112_261
; %bb.260:
	v_accvgpr_read_b32 v0, a123
	buffer_load_dword v2, v0, s[0:3], 0 offen
	buffer_load_dword v3, v0, s[0:3], 0 offen offset:4
	buffer_load_dword v4, v0, s[0:3], 0 offen offset:8
	;; [unrolled: 1-line block ×3, first 2 shown]
	v_mov_b32_e32 v0, 0
	v_accvgpr_read_b32 v1, a147
	buffer_store_dword v0, off, s[0:3], 0 offset:384
	buffer_store_dword v0, off, s[0:3], 0 offset:388
	;; [unrolled: 1-line block ×4, first 2 shown]
	s_waitcnt vmcnt(4)
	ds_write_b128 v1, v[2:5]
.LBB112_261:
	s_or_b64 exec, exec, s[4:5]
	s_waitcnt lgkmcnt(0)
	; wave barrier
	s_waitcnt lgkmcnt(0)
	buffer_load_dword v22, off, s[0:3], 0 offset:400
	buffer_load_dword v23, off, s[0:3], 0 offset:404
	;; [unrolled: 1-line block ×64, first 2 shown]
	v_mov_b32_e32 v1, 0
	ds_read_b128 v[18:21], v1 offset:1168
	ds_read_b128 v[14:17], v1 offset:1184
	;; [unrolled: 1-line block ×5, first 2 shown]
	v_cmp_lt_u32_e32 vcc, 22, v254
	s_waitcnt vmcnt(60) lgkmcnt(4)
	v_mul_f64 v[86:87], v[18:19], v[26:27]
	v_fmac_f64_e32 v[86:87], v[20:21], v[22:23]
	v_add_f64 v[86:87], v[86:87], 0
	v_mul_f64 v[20:21], v[20:21], v[26:27]
	s_waitcnt vmcnt(56) lgkmcnt(3)
	v_mul_f64 v[88:89], v[14:15], v[28:29]
	v_fmac_f64_e32 v[88:89], v[16:17], v[24:25]
	s_waitcnt vmcnt(54) lgkmcnt(2)
	v_mul_f64 v[90:91], v[10:11], v[30:31]
	v_add_f64 v[86:87], v[86:87], v[88:89]
	v_fma_f64 v[18:19], v[18:19], v[22:23], -v[20:21]
	v_mul_f64 v[16:17], v[16:17], v[28:29]
	s_waitcnt vmcnt(50) lgkmcnt(1)
	v_mul_f64 v[102:103], v[6:7], v[40:41]
	v_add_f64 v[18:19], v[18:19], 0
	s_waitcnt vmcnt(48)
	v_fmac_f64_e32 v[90:91], v[12:13], v[44:45]
	v_add_f64 v[104:105], v[86:87], v[90:91]
	buffer_load_dword v87, off, s[0:3], 0 offset:668
	buffer_load_dword v86, off, s[0:3], 0 offset:664
	;; [unrolled: 1-line block ×40, first 2 shown]
	s_waitcnt vmcnt(62)
	v_fmac_f64_e32 v[102:103], v[8:9], v[42:43]
	v_add_f64 v[106:107], v[104:105], v[102:103]
	ds_read_b128 v[102:105], v1 offset:1248
	s_waitcnt lgkmcnt(1)
	v_mul_f64 v[108:109], v[2:3], v[36:37]
	v_fmac_f64_e32 v[108:109], v[4:5], v[38:39]
	v_add_f64 v[110:111], v[106:107], v[108:109]
	ds_read_b128 v[106:109], v1 offset:1264
	s_waitcnt lgkmcnt(1)
	v_mul_f64 v[112:113], v[102:103], v[50:51]
	;; [unrolled: 5-line block ×5, first 2 shown]
	v_fmac_f64_e32 v[126:127], v[116:117], v[56:57]
	v_add_f64 v[128:129], v[124:125], v[126:127]
	ds_read_b128 v[124:127], v1 offset:1328
	s_waitcnt vmcnt(58) lgkmcnt(1)
	v_mul_f64 v[130:131], v[120:121], v[66:67]
	s_waitcnt vmcnt(56)
	v_fmac_f64_e32 v[130:131], v[122:123], v[68:69]
	v_add_f64 v[132:133], v[128:129], v[130:131]
	ds_read_b128 v[128:131], v1 offset:1344
	s_waitcnt lgkmcnt(1)
	v_mul_f64 v[134:135], v[124:125], v[62:63]
	v_fmac_f64_e32 v[134:135], v[126:127], v[64:65]
	v_add_f64 v[136:137], v[132:133], v[134:135]
	ds_read_b128 v[132:135], v1 offset:1360
	s_waitcnt vmcnt(50) lgkmcnt(1)
	v_mul_f64 v[138:139], v[128:129], v[74:75]
	s_waitcnt vmcnt(48)
	v_fmac_f64_e32 v[138:139], v[130:131], v[76:77]
	v_add_f64 v[140:141], v[136:137], v[138:139]
	ds_read_b128 v[136:139], v1 offset:1376
	v_fma_f64 v[14:15], v[14:15], v[24:25], -v[16:17]
	v_mul_f64 v[12:13], v[12:13], v[30:31]
	v_add_f64 v[14:15], v[18:19], v[14:15]
	v_fma_f64 v[10:11], v[10:11], v[44:45], -v[12:13]
	v_mul_f64 v[8:9], v[8:9], v[40:41]
	s_waitcnt lgkmcnt(1)
	v_mul_f64 v[142:143], v[132:133], v[70:71]
	v_add_f64 v[10:11], v[14:15], v[10:11]
	v_fma_f64 v[6:7], v[6:7], v[42:43], -v[8:9]
	v_mul_f64 v[4:5], v[4:5], v[36:37]
	v_fmac_f64_e32 v[142:143], v[134:135], v[72:73]
	v_add_f64 v[6:7], v[10:11], v[6:7]
	v_fma_f64 v[2:3], v[2:3], v[38:39], -v[4:5]
	v_mul_f64 v[4:5], v[104:105], v[50:51]
	v_add_f64 v[144:145], v[140:141], v[142:143]
	ds_read_b128 v[140:143], v1 offset:1392
	s_waitcnt vmcnt(42) lgkmcnt(1)
	v_mul_f64 v[146:147], v[136:137], v[82:83]
	v_add_f64 v[2:3], v[6:7], v[2:3]
	v_fma_f64 v[4:5], v[102:103], v[52:53], -v[4:5]
	s_waitcnt vmcnt(40)
	v_fmac_f64_e32 v[146:147], v[138:139], v[84:85]
	v_add_f64 v[2:3], v[2:3], v[4:5]
	v_mul_f64 v[4:5], v[108:109], v[46:47]
	v_add_f64 v[148:149], v[144:145], v[146:147]
	ds_read_b128 v[144:147], v1 offset:1408
	v_fma_f64 v[4:5], v[106:107], v[48:49], -v[4:5]
	v_add_f64 v[2:3], v[2:3], v[4:5]
	v_mul_f64 v[4:5], v[112:113], v[58:59]
	v_fma_f64 v[4:5], v[110:111], v[60:61], -v[4:5]
	s_waitcnt lgkmcnt(1)
	v_mul_f64 v[150:151], v[140:141], v[78:79]
	v_add_f64 v[2:3], v[2:3], v[4:5]
	v_mul_f64 v[4:5], v[116:117], v[54:55]
	v_fmac_f64_e32 v[150:151], v[142:143], v[80:81]
	v_fma_f64 v[4:5], v[114:115], v[56:57], -v[4:5]
	v_add_f64 v[152:153], v[148:149], v[150:151]
	ds_read_b128 v[148:151], v1 offset:1424
	s_waitcnt vmcnt(34) lgkmcnt(1)
	v_mul_f64 v[154:155], v[144:145], v[90:91]
	v_add_f64 v[2:3], v[2:3], v[4:5]
	v_mul_f64 v[4:5], v[122:123], v[66:67]
	s_waitcnt vmcnt(32)
	v_fmac_f64_e32 v[154:155], v[146:147], v[92:93]
	v_fma_f64 v[4:5], v[120:121], v[68:69], -v[4:5]
	v_add_f64 v[156:157], v[152:153], v[154:155]
	ds_read_b128 v[152:155], v1 offset:1440
	v_add_f64 v[2:3], v[2:3], v[4:5]
	v_mul_f64 v[4:5], v[126:127], v[62:63]
	v_fma_f64 v[4:5], v[124:125], v[64:65], -v[4:5]
	v_add_f64 v[2:3], v[2:3], v[4:5]
	v_mul_f64 v[4:5], v[130:131], v[74:75]
	s_waitcnt lgkmcnt(1)
	v_mul_f64 v[158:159], v[148:149], v[86:87]
	v_fma_f64 v[4:5], v[128:129], v[76:77], -v[4:5]
	v_fmac_f64_e32 v[158:159], v[150:151], v[88:89]
	v_add_f64 v[2:3], v[2:3], v[4:5]
	v_mul_f64 v[4:5], v[134:135], v[70:71]
	v_add_f64 v[160:161], v[156:157], v[158:159]
	ds_read_b128 v[156:159], v1 offset:1456
	s_waitcnt vmcnt(26) lgkmcnt(1)
	v_mul_f64 v[162:163], v[152:153], v[98:99]
	v_fma_f64 v[4:5], v[132:133], v[72:73], -v[4:5]
	s_waitcnt vmcnt(24)
	v_fmac_f64_e32 v[162:163], v[154:155], v[100:101]
	v_add_f64 v[2:3], v[2:3], v[4:5]
	v_mul_f64 v[4:5], v[138:139], v[82:83]
	v_add_f64 v[164:165], v[160:161], v[162:163]
	ds_read_b128 v[160:163], v1 offset:1472
	v_fma_f64 v[4:5], v[136:137], v[84:85], -v[4:5]
	v_add_f64 v[2:3], v[2:3], v[4:5]
	v_mul_f64 v[4:5], v[142:143], v[78:79]
	v_fma_f64 v[4:5], v[140:141], v[80:81], -v[4:5]
	s_waitcnt lgkmcnt(1)
	v_mul_f64 v[166:167], v[156:157], v[94:95]
	v_add_f64 v[2:3], v[2:3], v[4:5]
	v_mul_f64 v[4:5], v[146:147], v[90:91]
	v_fmac_f64_e32 v[166:167], v[158:159], v[96:97]
	v_fma_f64 v[4:5], v[144:145], v[92:93], -v[4:5]
	v_add_f64 v[168:169], v[164:165], v[166:167]
	ds_read_b128 v[164:167], v1 offset:1488
	s_waitcnt vmcnt(18) lgkmcnt(1)
	v_mul_f64 v[170:171], v[160:161], v[186:187]
	v_add_f64 v[2:3], v[2:3], v[4:5]
	v_mul_f64 v[4:5], v[150:151], v[86:87]
	s_waitcnt vmcnt(16)
	v_fmac_f64_e32 v[170:171], v[162:163], v[188:189]
	v_fma_f64 v[4:5], v[148:149], v[88:89], -v[4:5]
	v_add_f64 v[172:173], v[168:169], v[170:171]
	ds_read_b128 v[168:171], v1 offset:1504
	v_add_f64 v[2:3], v[2:3], v[4:5]
	v_mul_f64 v[4:5], v[154:155], v[98:99]
	v_fma_f64 v[4:5], v[152:153], v[100:101], -v[4:5]
	v_add_f64 v[2:3], v[2:3], v[4:5]
	v_mul_f64 v[4:5], v[158:159], v[94:95]
	s_waitcnt lgkmcnt(1)
	v_mul_f64 v[174:175], v[164:165], v[118:119]
	v_fma_f64 v[4:5], v[156:157], v[96:97], -v[4:5]
	v_fmac_f64_e32 v[174:175], v[166:167], v[184:185]
	v_add_f64 v[2:3], v[2:3], v[4:5]
	v_mul_f64 v[4:5], v[162:163], v[186:187]
	v_add_f64 v[176:177], v[172:173], v[174:175]
	ds_read_b128 v[172:175], v1 offset:1520
	s_waitcnt vmcnt(10) lgkmcnt(1)
	v_mul_f64 v[178:179], v[168:169], v[194:195]
	v_fma_f64 v[4:5], v[160:161], v[188:189], -v[4:5]
	s_waitcnt vmcnt(8)
	v_fmac_f64_e32 v[178:179], v[170:171], v[196:197]
	v_add_f64 v[2:3], v[2:3], v[4:5]
	v_mul_f64 v[4:5], v[166:167], v[118:119]
	v_add_f64 v[206:207], v[176:177], v[178:179]
	ds_read_b128 v[176:179], v1 offset:1536
	ds_read_b128 v[180:183], v1 offset:1552
	v_fma_f64 v[4:5], v[164:165], v[184:185], -v[4:5]
	v_add_f64 v[2:3], v[2:3], v[4:5]
	v_mul_f64 v[4:5], v[170:171], v[194:195]
	v_fma_f64 v[4:5], v[168:169], v[196:197], -v[4:5]
	v_add_f64 v[2:3], v[2:3], v[4:5]
	s_waitcnt lgkmcnt(2)
	v_mul_f64 v[4:5], v[174:175], v[190:191]
	v_mul_f64 v[208:209], v[172:173], v[190:191]
	v_fma_f64 v[4:5], v[172:173], v[192:193], -v[4:5]
	v_fmac_f64_e32 v[208:209], v[174:175], v[192:193]
	v_add_f64 v[2:3], v[2:3], v[4:5]
	s_waitcnt vmcnt(2) lgkmcnt(1)
	v_mul_f64 v[4:5], v[178:179], v[202:203]
	v_add_f64 v[206:207], v[206:207], v[208:209]
	v_mul_f64 v[208:209], v[176:177], v[202:203]
	s_waitcnt vmcnt(0)
	v_fma_f64 v[4:5], v[176:177], v[204:205], -v[4:5]
	v_fmac_f64_e32 v[208:209], v[178:179], v[204:205]
	v_add_f64 v[2:3], v[2:3], v[4:5]
	s_waitcnt lgkmcnt(0)
	v_mul_f64 v[4:5], v[182:183], v[198:199]
	v_add_f64 v[206:207], v[206:207], v[208:209]
	v_mul_f64 v[208:209], v[180:181], v[198:199]
	v_fma_f64 v[4:5], v[180:181], v[200:201], -v[4:5]
	v_fmac_f64_e32 v[208:209], v[182:183], v[200:201]
	v_add_f64 v[2:3], v[2:3], v[4:5]
	v_add_f64 v[206:207], v[206:207], v[208:209]
	v_add_f64 v[2:3], v[34:35], -v[2:3]
	v_add_f64 v[4:5], v[32:33], -v[206:207]
	buffer_store_dword v3, off, s[0:3], 0 offset:388
	buffer_store_dword v2, off, s[0:3], 0 offset:384
	;; [unrolled: 1-line block ×4, first 2 shown]
	s_and_saveexec_b64 s[4:5], vcc
	s_cbranch_execz .LBB112_263
; %bb.262:
	v_accvgpr_read_b32 v0, a124
	buffer_load_dword v2, v0, s[0:3], 0 offen
	buffer_load_dword v3, v0, s[0:3], 0 offen offset:4
	buffer_load_dword v4, v0, s[0:3], 0 offen offset:8
	;; [unrolled: 1-line block ×3, first 2 shown]
	v_accvgpr_read_b32 v0, a147
	buffer_store_dword v1, off, s[0:3], 0 offset:368
	buffer_store_dword v1, off, s[0:3], 0 offset:372
	;; [unrolled: 1-line block ×4, first 2 shown]
	s_waitcnt vmcnt(4)
	ds_write_b128 v0, v[2:5]
.LBB112_263:
	s_or_b64 exec, exec, s[4:5]
	s_waitcnt lgkmcnt(0)
	; wave barrier
	s_waitcnt lgkmcnt(0)
	buffer_load_dword v26, off, s[0:3], 0 offset:384
	buffer_load_dword v27, off, s[0:3], 0 offset:388
	;; [unrolled: 1-line block ×24, first 2 shown]
	ds_read_b128 v[22:25], v1 offset:1152
	ds_read_b128 v[18:21], v1 offset:1168
	;; [unrolled: 1-line block ×6, first 2 shown]
	buffer_load_dword v51, off, s[0:3], 0 offset:492
	buffer_load_dword v50, off, s[0:3], 0 offset:488
	;; [unrolled: 1-line block ×40, first 2 shown]
	v_cmp_lt_u32_e32 vcc, 21, v254
	s_waitcnt vmcnt(34) lgkmcnt(0)
	v_mul_f64 v[122:123], v[14:15], v[54:55]
	s_waitcnt vmcnt(32)
	v_fmac_f64_e32 v[122:123], v[16:17], v[56:57]
	v_mul_f64 v[90:91], v[22:23], v[28:29]
	v_fmac_f64_e32 v[90:91], v[24:25], v[26:27]
	v_mul_f64 v[92:93], v[18:19], v[30:31]
	v_add_f64 v[90:91], v[90:91], 0
	v_mul_f64 v[94:95], v[10:11], v[32:33]
	v_mul_f64 v[24:25], v[24:25], v[28:29]
	;; [unrolled: 1-line block ×3, first 2 shown]
	v_fma_f64 v[22:23], v[22:23], v[26:27], -v[24:25]
	v_add_f64 v[22:23], v[22:23], 0
	v_mul_f64 v[96:97], v[6:7], v[42:43]
	v_fmac_f64_e32 v[92:93], v[20:21], v[48:49]
	v_add_f64 v[90:91], v[90:91], v[92:93]
	v_fmac_f64_e32 v[94:95], v[12:13], v[46:47]
	v_add_f64 v[90:91], v[90:91], v[94:95]
	;; [unrolled: 2-line block ×3, first 2 shown]
	buffer_load_dword v91, off, s[0:3], 0 offset:652
	buffer_load_dword v90, off, s[0:3], 0 offset:648
	;; [unrolled: 1-line block ×40, first 2 shown]
	v_fmac_f64_e32 v[114:115], v[4:5], v[40:41]
	v_add_f64 v[120:121], v[116:117], v[114:115]
	ds_read_b128 v[114:117], v1 offset:1248
	buffer_load_dword v211, off, s[0:3], 0 offset:796
	buffer_load_dword v210, off, s[0:3], 0 offset:792
	;; [unrolled: 1-line block ×4, first 2 shown]
	v_add_f64 v[124:125], v[120:121], v[122:123]
	ds_read_b128 v[120:123], v1 offset:1264
	v_mul_f64 v[20:21], v[20:21], v[30:31]
	s_waitcnt lgkmcnt(1)
	v_mul_f64 v[126:127], v[114:115], v[50:51]
	v_fmac_f64_e32 v[126:127], v[116:117], v[52:53]
	v_add_f64 v[128:129], v[124:125], v[126:127]
	ds_read_b128 v[124:127], v1 offset:1280
	s_waitcnt vmcnt(62) lgkmcnt(1)
	v_mul_f64 v[130:131], v[120:121], v[62:63]
	v_fmac_f64_e32 v[130:131], v[122:123], v[64:65]
	v_add_f64 v[132:133], v[128:129], v[130:131]
	ds_read_b128 v[128:131], v1 offset:1296
	s_waitcnt lgkmcnt(1)
	v_mul_f64 v[134:135], v[124:125], v[58:59]
	v_fmac_f64_e32 v[134:135], v[126:127], v[60:61]
	v_add_f64 v[136:137], v[132:133], v[134:135]
	ds_read_b128 v[132:135], v1 offset:1312
	s_waitcnt lgkmcnt(1)
	v_mul_f64 v[138:139], v[128:129], v[70:71]
	s_waitcnt vmcnt(60)
	v_fmac_f64_e32 v[138:139], v[130:131], v[72:73]
	v_add_f64 v[140:141], v[136:137], v[138:139]
	ds_read_b128 v[136:139], v1 offset:1328
	s_waitcnt lgkmcnt(1)
	v_mul_f64 v[142:143], v[132:133], v[66:67]
	v_fmac_f64_e32 v[142:143], v[134:135], v[68:69]
	v_add_f64 v[144:145], v[140:141], v[142:143]
	ds_read_b128 v[140:143], v1 offset:1344
	s_waitcnt vmcnt(54) lgkmcnt(1)
	v_mul_f64 v[146:147], v[136:137], v[78:79]
	s_waitcnt vmcnt(52)
	v_fmac_f64_e32 v[146:147], v[138:139], v[80:81]
	v_add_f64 v[148:149], v[144:145], v[146:147]
	ds_read_b128 v[144:147], v1 offset:1360
	s_waitcnt lgkmcnt(1)
	v_mul_f64 v[150:151], v[140:141], v[74:75]
	v_fmac_f64_e32 v[150:151], v[142:143], v[76:77]
	v_fma_f64 v[18:19], v[18:19], v[48:49], -v[20:21]
	v_mul_f64 v[12:13], v[12:13], v[32:33]
	v_add_f64 v[152:153], v[148:149], v[150:151]
	ds_read_b128 v[148:151], v1 offset:1376
	v_add_f64 v[18:19], v[22:23], v[18:19]
	v_fma_f64 v[10:11], v[10:11], v[46:47], -v[12:13]
	v_mul_f64 v[8:9], v[8:9], v[42:43]
	v_add_f64 v[10:11], v[18:19], v[10:11]
	v_fma_f64 v[6:7], v[6:7], v[44:45], -v[8:9]
	v_mul_f64 v[4:5], v[4:5], v[38:39]
	;; [unrolled: 3-line block ×3, first 2 shown]
	s_waitcnt vmcnt(46) lgkmcnt(1)
	v_mul_f64 v[154:155], v[144:145], v[86:87]
	v_add_f64 v[2:3], v[6:7], v[2:3]
	v_fma_f64 v[4:5], v[14:15], v[56:57], -v[4:5]
	s_waitcnt vmcnt(44)
	v_fmac_f64_e32 v[154:155], v[146:147], v[88:89]
	v_add_f64 v[2:3], v[2:3], v[4:5]
	v_mul_f64 v[4:5], v[116:117], v[50:51]
	v_add_f64 v[156:157], v[152:153], v[154:155]
	ds_read_b128 v[152:155], v1 offset:1392
	s_waitcnt lgkmcnt(1)
	v_mul_f64 v[158:159], v[148:149], v[82:83]
	v_fma_f64 v[4:5], v[114:115], v[52:53], -v[4:5]
	v_fmac_f64_e32 v[158:159], v[150:151], v[84:85]
	v_add_f64 v[2:3], v[2:3], v[4:5]
	v_mul_f64 v[4:5], v[122:123], v[62:63]
	v_add_f64 v[160:161], v[156:157], v[158:159]
	ds_read_b128 v[156:159], v1 offset:1408
	v_fma_f64 v[4:5], v[120:121], v[64:65], -v[4:5]
	v_add_f64 v[2:3], v[2:3], v[4:5]
	v_mul_f64 v[4:5], v[126:127], v[58:59]
	v_fma_f64 v[4:5], v[124:125], v[60:61], -v[4:5]
	s_waitcnt vmcnt(38) lgkmcnt(1)
	v_mul_f64 v[162:163], v[152:153], v[94:95]
	v_add_f64 v[2:3], v[2:3], v[4:5]
	v_mul_f64 v[4:5], v[130:131], v[70:71]
	s_waitcnt vmcnt(36)
	v_fmac_f64_e32 v[162:163], v[154:155], v[96:97]
	v_fma_f64 v[4:5], v[128:129], v[72:73], -v[4:5]
	v_add_f64 v[164:165], v[160:161], v[162:163]
	ds_read_b128 v[160:163], v1 offset:1424
	s_waitcnt lgkmcnt(1)
	v_mul_f64 v[166:167], v[156:157], v[90:91]
	v_add_f64 v[2:3], v[2:3], v[4:5]
	v_mul_f64 v[4:5], v[134:135], v[66:67]
	v_fmac_f64_e32 v[166:167], v[158:159], v[92:93]
	v_fma_f64 v[4:5], v[132:133], v[68:69], -v[4:5]
	v_add_f64 v[168:169], v[164:165], v[166:167]
	ds_read_b128 v[164:167], v1 offset:1440
	v_add_f64 v[2:3], v[2:3], v[4:5]
	v_mul_f64 v[4:5], v[138:139], v[78:79]
	v_fma_f64 v[4:5], v[136:137], v[80:81], -v[4:5]
	v_add_f64 v[2:3], v[2:3], v[4:5]
	v_mul_f64 v[4:5], v[142:143], v[74:75]
	s_waitcnt vmcnt(30) lgkmcnt(1)
	v_mul_f64 v[170:171], v[160:161], v[102:103]
	v_fma_f64 v[4:5], v[140:141], v[76:77], -v[4:5]
	s_waitcnt vmcnt(28)
	v_fmac_f64_e32 v[170:171], v[162:163], v[104:105]
	v_add_f64 v[2:3], v[2:3], v[4:5]
	v_mul_f64 v[4:5], v[146:147], v[86:87]
	v_add_f64 v[172:173], v[168:169], v[170:171]
	ds_read_b128 v[168:171], v1 offset:1456
	s_waitcnt lgkmcnt(1)
	v_mul_f64 v[174:175], v[164:165], v[98:99]
	v_fma_f64 v[4:5], v[144:145], v[88:89], -v[4:5]
	v_fmac_f64_e32 v[174:175], v[166:167], v[100:101]
	v_add_f64 v[2:3], v[2:3], v[4:5]
	v_mul_f64 v[4:5], v[150:151], v[82:83]
	v_add_f64 v[176:177], v[172:173], v[174:175]
	ds_read_b128 v[172:175], v1 offset:1472
	v_fma_f64 v[4:5], v[148:149], v[84:85], -v[4:5]
	v_add_f64 v[2:3], v[2:3], v[4:5]
	v_mul_f64 v[4:5], v[154:155], v[94:95]
	v_fma_f64 v[4:5], v[152:153], v[96:97], -v[4:5]
	s_waitcnt vmcnt(22) lgkmcnt(1)
	v_mul_f64 v[178:179], v[168:169], v[110:111]
	v_add_f64 v[2:3], v[2:3], v[4:5]
	v_mul_f64 v[4:5], v[158:159], v[90:91]
	s_waitcnt vmcnt(20)
	v_fmac_f64_e32 v[178:179], v[170:171], v[112:113]
	v_fma_f64 v[4:5], v[156:157], v[92:93], -v[4:5]
	v_add_f64 v[180:181], v[176:177], v[178:179]
	ds_read_b128 v[176:179], v1 offset:1488
	s_waitcnt lgkmcnt(1)
	v_mul_f64 v[182:183], v[172:173], v[106:107]
	v_add_f64 v[2:3], v[2:3], v[4:5]
	v_mul_f64 v[4:5], v[162:163], v[102:103]
	v_fmac_f64_e32 v[182:183], v[174:175], v[108:109]
	v_fma_f64 v[4:5], v[160:161], v[104:105], -v[4:5]
	v_add_f64 v[184:185], v[180:181], v[182:183]
	ds_read_b128 v[180:183], v1 offset:1504
	v_add_f64 v[2:3], v[2:3], v[4:5]
	v_mul_f64 v[4:5], v[166:167], v[98:99]
	v_fma_f64 v[4:5], v[164:165], v[100:101], -v[4:5]
	v_add_f64 v[2:3], v[2:3], v[4:5]
	v_mul_f64 v[4:5], v[170:171], v[110:111]
	s_waitcnt vmcnt(14) lgkmcnt(1)
	v_mul_f64 v[186:187], v[176:177], v[198:199]
	v_fma_f64 v[4:5], v[168:169], v[112:113], -v[4:5]
	s_waitcnt vmcnt(12)
	v_fmac_f64_e32 v[186:187], v[178:179], v[200:201]
	v_add_f64 v[2:3], v[2:3], v[4:5]
	v_mul_f64 v[4:5], v[174:175], v[106:107]
	v_add_f64 v[188:189], v[184:185], v[186:187]
	ds_read_b128 v[184:187], v1 offset:1520
	s_waitcnt lgkmcnt(1)
	v_mul_f64 v[190:191], v[180:181], v[118:119]
	v_fma_f64 v[4:5], v[172:173], v[108:109], -v[4:5]
	v_fmac_f64_e32 v[190:191], v[182:183], v[196:197]
	v_add_f64 v[2:3], v[2:3], v[4:5]
	v_mul_f64 v[4:5], v[178:179], v[198:199]
	v_add_f64 v[214:215], v[188:189], v[190:191]
	ds_read_b128 v[188:191], v1 offset:1536
	v_fma_f64 v[4:5], v[176:177], v[200:201], -v[4:5]
	v_add_f64 v[2:3], v[2:3], v[4:5]
	v_mul_f64 v[4:5], v[182:183], v[118:119]
	ds_read_b128 v[192:195], v1 offset:1552
	v_fma_f64 v[4:5], v[180:181], v[196:197], -v[4:5]
	v_add_f64 v[2:3], v[2:3], v[4:5]
	s_waitcnt vmcnt(6) lgkmcnt(2)
	v_mul_f64 v[4:5], v[186:187], v[206:207]
	v_mul_f64 v[216:217], v[184:185], v[206:207]
	s_waitcnt vmcnt(4)
	v_fma_f64 v[4:5], v[184:185], v[208:209], -v[4:5]
	v_fmac_f64_e32 v[216:217], v[186:187], v[208:209]
	v_add_f64 v[2:3], v[2:3], v[4:5]
	s_waitcnt lgkmcnt(1)
	v_mul_f64 v[4:5], v[190:191], v[202:203]
	v_add_f64 v[214:215], v[214:215], v[216:217]
	v_mul_f64 v[216:217], v[188:189], v[202:203]
	v_fma_f64 v[4:5], v[188:189], v[204:205], -v[4:5]
	v_fmac_f64_e32 v[216:217], v[190:191], v[204:205]
	v_add_f64 v[2:3], v[2:3], v[4:5]
	s_waitcnt vmcnt(2) lgkmcnt(0)
	v_mul_f64 v[4:5], v[194:195], v[210:211]
	v_add_f64 v[214:215], v[214:215], v[216:217]
	v_mul_f64 v[216:217], v[192:193], v[210:211]
	s_waitcnt vmcnt(0)
	v_fma_f64 v[4:5], v[192:193], v[212:213], -v[4:5]
	v_fmac_f64_e32 v[216:217], v[194:195], v[212:213]
	v_add_f64 v[2:3], v[2:3], v[4:5]
	v_add_f64 v[214:215], v[214:215], v[216:217]
	v_add_f64 v[2:3], v[36:37], -v[2:3]
	v_add_f64 v[4:5], v[34:35], -v[214:215]
	buffer_store_dword v3, off, s[0:3], 0 offset:372
	buffer_store_dword v2, off, s[0:3], 0 offset:368
	;; [unrolled: 1-line block ×4, first 2 shown]
	s_and_saveexec_b64 s[4:5], vcc
	s_cbranch_execz .LBB112_265
; %bb.264:
	v_accvgpr_read_b32 v0, a125
	buffer_load_dword v2, v0, s[0:3], 0 offen
	buffer_load_dword v3, v0, s[0:3], 0 offen offset:4
	buffer_load_dword v4, v0, s[0:3], 0 offen offset:8
	;; [unrolled: 1-line block ×3, first 2 shown]
	v_mov_b32_e32 v0, 0
	v_accvgpr_read_b32 v1, a147
	buffer_store_dword v0, off, s[0:3], 0 offset:352
	buffer_store_dword v0, off, s[0:3], 0 offset:356
	;; [unrolled: 1-line block ×4, first 2 shown]
	s_waitcnt vmcnt(4)
	ds_write_b128 v1, v[2:5]
.LBB112_265:
	s_or_b64 exec, exec, s[4:5]
	s_waitcnt lgkmcnt(0)
	; wave barrier
	s_waitcnt lgkmcnt(0)
	buffer_load_dword v30, off, s[0:3], 0 offset:368
	buffer_load_dword v31, off, s[0:3], 0 offset:372
	;; [unrolled: 1-line block ×56, first 2 shown]
	v_mov_b32_e32 v1, 0
	ds_read_b128 v[26:29], v1 offset:1136
	ds_read_b128 v[22:25], v1 offset:1152
	ds_read_b128 v[18:21], v1 offset:1168
	ds_read_b128 v[14:17], v1 offset:1184
	ds_read_b128 v[10:13], v1 offset:1200
	ds_read_b128 v[6:9], v1 offset:1216
	ds_read_b128 v[2:5], v1 offset:1232
	v_cmp_lt_u32_e32 vcc, 20, v254
	s_waitcnt vmcnt(52) lgkmcnt(6)
	v_mul_f64 v[86:87], v[26:27], v[34:35]
	v_fmac_f64_e32 v[86:87], v[28:29], v[30:31]
	v_add_f64 v[86:87], v[86:87], 0
	v_mul_f64 v[28:29], v[28:29], v[34:35]
	s_waitcnt vmcnt(48) lgkmcnt(5)
	v_mul_f64 v[88:89], v[22:23], v[36:37]
	v_fmac_f64_e32 v[88:89], v[24:25], v[32:33]
	s_waitcnt vmcnt(46) lgkmcnt(4)
	v_mul_f64 v[90:91], v[18:19], v[38:39]
	v_add_f64 v[86:87], v[86:87], v[88:89]
	s_waitcnt vmcnt(44) lgkmcnt(2)
	v_mul_f64 v[94:95], v[10:11], v[40:41]
	v_fma_f64 v[26:27], v[26:27], v[30:31], -v[28:29]
	s_waitcnt vmcnt(42)
	v_fmac_f64_e32 v[94:95], v[12:13], v[42:43]
	v_mul_f64 v[24:25], v[24:25], v[36:37]
	s_waitcnt vmcnt(40)
	v_mul_f64 v[92:93], v[14:15], v[48:49]
	v_add_f64 v[26:27], v[26:27], 0
	v_fma_f64 v[22:23], v[22:23], v[32:33], -v[24:25]
	v_add_f64 v[22:23], v[26:27], v[22:23]
	s_waitcnt vmcnt(36) lgkmcnt(1)
	v_mul_f64 v[110:111], v[6:7], v[54:55]
	v_mul_f64 v[12:13], v[12:13], v[40:41]
	s_waitcnt vmcnt(34)
	v_fmac_f64_e32 v[90:91], v[20:21], v[60:61]
	v_add_f64 v[86:87], v[86:87], v[90:91]
	s_waitcnt vmcnt(32)
	v_fmac_f64_e32 v[92:93], v[16:17], v[58:59]
	v_add_f64 v[86:87], v[86:87], v[92:93]
	v_add_f64 v[116:117], v[86:87], v[94:95]
	buffer_load_dword v87, off, s[0:3], 0 offset:604
	buffer_load_dword v86, off, s[0:3], 0 offset:600
	;; [unrolled: 1-line block ×56, first 2 shown]
	ds_read_b128 v[126:129], v1 offset:1248
	ds_read_b128 v[130:133], v1 offset:1264
	v_mul_f64 v[20:21], v[20:21], v[38:39]
	v_fma_f64 v[18:19], v[18:19], v[60:61], -v[20:21]
	v_mul_f64 v[16:17], v[16:17], v[48:49]
	s_waitcnt vmcnt(62)
	v_fmac_f64_e32 v[110:111], v[8:9], v[56:57]
	v_add_f64 v[18:19], v[22:23], v[18:19]
	v_fma_f64 v[14:15], v[14:15], v[58:59], -v[16:17]
	v_add_f64 v[110:111], v[116:117], v[110:111]
	s_waitcnt lgkmcnt(2)
	v_mul_f64 v[116:117], v[2:3], v[50:51]
	v_add_f64 v[14:15], v[18:19], v[14:15]
	v_fma_f64 v[10:11], v[10:11], v[42:43], -v[12:13]
	v_mul_f64 v[8:9], v[8:9], v[54:55]
	v_fmac_f64_e32 v[116:117], v[4:5], v[52:53]
	ds_read_b128 v[134:137], v1 offset:1280
	ds_read_b128 v[138:141], v1 offset:1296
	v_add_f64 v[10:11], v[14:15], v[10:11]
	v_fma_f64 v[6:7], v[6:7], v[56:57], -v[8:9]
	v_mul_f64 v[4:5], v[4:5], v[50:51]
	v_add_f64 v[6:7], v[10:11], v[6:7]
	v_fma_f64 v[2:3], v[2:3], v[52:53], -v[4:5]
	s_waitcnt lgkmcnt(3)
	v_mul_f64 v[4:5], v[128:129], v[66:67]
	v_add_f64 v[110:111], v[110:111], v[116:117]
	v_mul_f64 v[116:117], v[126:127], v[66:67]
	v_add_f64 v[2:3], v[6:7], v[2:3]
	v_fma_f64 v[4:5], v[126:127], v[68:69], -v[4:5]
	v_fmac_f64_e32 v[116:117], v[128:129], v[68:69]
	v_add_f64 v[2:3], v[2:3], v[4:5]
	s_waitcnt lgkmcnt(2)
	v_mul_f64 v[4:5], v[132:133], v[62:63]
	v_add_f64 v[110:111], v[110:111], v[116:117]
	v_mul_f64 v[116:117], v[130:131], v[62:63]
	ds_read_b128 v[142:145], v1 offset:1312
	ds_read_b128 v[146:149], v1 offset:1328
	v_fma_f64 v[4:5], v[130:131], v[64:65], -v[4:5]
	v_fmac_f64_e32 v[116:117], v[132:133], v[64:65]
	v_add_f64 v[2:3], v[2:3], v[4:5]
	s_waitcnt lgkmcnt(3)
	v_mul_f64 v[4:5], v[136:137], v[74:75]
	v_add_f64 v[110:111], v[110:111], v[116:117]
	v_mul_f64 v[116:117], v[134:135], v[74:75]
	v_fma_f64 v[4:5], v[134:135], v[76:77], -v[4:5]
	v_fmac_f64_e32 v[116:117], v[136:137], v[76:77]
	v_add_f64 v[2:3], v[2:3], v[4:5]
	s_waitcnt lgkmcnt(2)
	v_mul_f64 v[4:5], v[140:141], v[70:71]
	v_add_f64 v[110:111], v[110:111], v[116:117]
	v_mul_f64 v[116:117], v[138:139], v[70:71]
	ds_read_b128 v[150:153], v1 offset:1344
	ds_read_b128 v[154:157], v1 offset:1360
	v_fma_f64 v[4:5], v[138:139], v[72:73], -v[4:5]
	v_fmac_f64_e32 v[116:117], v[140:141], v[72:73]
	v_add_f64 v[2:3], v[2:3], v[4:5]
	s_waitcnt vmcnt(58) lgkmcnt(3)
	v_mul_f64 v[4:5], v[144:145], v[82:83]
	v_add_f64 v[110:111], v[110:111], v[116:117]
	v_mul_f64 v[116:117], v[142:143], v[82:83]
	s_waitcnt vmcnt(56)
	v_fma_f64 v[4:5], v[142:143], v[84:85], -v[4:5]
	v_fmac_f64_e32 v[116:117], v[144:145], v[84:85]
	v_add_f64 v[2:3], v[2:3], v[4:5]
	s_waitcnt lgkmcnt(2)
	v_mul_f64 v[4:5], v[148:149], v[78:79]
	v_add_f64 v[110:111], v[110:111], v[116:117]
	v_mul_f64 v[116:117], v[146:147], v[78:79]
	ds_read_b128 v[158:161], v1 offset:1376
	ds_read_b128 v[162:165], v1 offset:1392
	v_fma_f64 v[4:5], v[146:147], v[80:81], -v[4:5]
	v_fmac_f64_e32 v[116:117], v[148:149], v[80:81]
	v_add_f64 v[2:3], v[2:3], v[4:5]
	s_waitcnt vmcnt(50) lgkmcnt(3)
	v_mul_f64 v[4:5], v[152:153], v[90:91]
	v_add_f64 v[110:111], v[110:111], v[116:117]
	v_mul_f64 v[116:117], v[150:151], v[90:91]
	s_waitcnt vmcnt(48)
	v_fma_f64 v[4:5], v[150:151], v[92:93], -v[4:5]
	v_fmac_f64_e32 v[116:117], v[152:153], v[92:93]
	v_add_f64 v[2:3], v[2:3], v[4:5]
	s_waitcnt lgkmcnt(2)
	v_mul_f64 v[4:5], v[156:157], v[86:87]
	v_add_f64 v[110:111], v[110:111], v[116:117]
	v_mul_f64 v[116:117], v[154:155], v[86:87]
	ds_read_b128 v[166:169], v1 offset:1408
	ds_read_b128 v[170:173], v1 offset:1424
	v_fma_f64 v[4:5], v[154:155], v[88:89], -v[4:5]
	v_fmac_f64_e32 v[116:117], v[156:157], v[88:89]
	v_add_f64 v[2:3], v[2:3], v[4:5]
	s_waitcnt vmcnt(42) lgkmcnt(3)
	v_mul_f64 v[4:5], v[160:161], v[98:99]
	v_add_f64 v[110:111], v[110:111], v[116:117]
	v_mul_f64 v[116:117], v[158:159], v[98:99]
	s_waitcnt vmcnt(40)
	v_fma_f64 v[4:5], v[158:159], v[100:101], -v[4:5]
	v_fmac_f64_e32 v[116:117], v[160:161], v[100:101]
	v_add_f64 v[2:3], v[2:3], v[4:5]
	s_waitcnt lgkmcnt(2)
	v_mul_f64 v[4:5], v[164:165], v[94:95]
	v_add_f64 v[110:111], v[110:111], v[116:117]
	v_mul_f64 v[116:117], v[162:163], v[94:95]
	ds_read_b128 v[174:177], v1 offset:1440
	ds_read_b128 v[178:181], v1 offset:1456
	v_fma_f64 v[4:5], v[162:163], v[96:97], -v[4:5]
	v_fmac_f64_e32 v[116:117], v[164:165], v[96:97]
	v_add_f64 v[2:3], v[2:3], v[4:5]
	s_waitcnt vmcnt(34) lgkmcnt(3)
	v_mul_f64 v[4:5], v[168:169], v[106:107]
	v_add_f64 v[110:111], v[110:111], v[116:117]
	v_mul_f64 v[116:117], v[166:167], v[106:107]
	s_waitcnt vmcnt(32)
	v_fma_f64 v[4:5], v[166:167], v[108:109], -v[4:5]
	v_fmac_f64_e32 v[116:117], v[168:169], v[108:109]
	v_add_f64 v[2:3], v[2:3], v[4:5]
	s_waitcnt lgkmcnt(2)
	v_mul_f64 v[4:5], v[172:173], v[102:103]
	v_add_f64 v[110:111], v[110:111], v[116:117]
	v_mul_f64 v[116:117], v[170:171], v[102:103]
	ds_read_b128 v[182:185], v1 offset:1472
	ds_read_b128 v[186:189], v1 offset:1488
	v_fma_f64 v[4:5], v[170:171], v[104:105], -v[4:5]
	v_fmac_f64_e32 v[116:117], v[172:173], v[104:105]
	v_add_f64 v[2:3], v[2:3], v[4:5]
	s_waitcnt vmcnt(26) lgkmcnt(3)
	v_mul_f64 v[4:5], v[176:177], v[120:121]
	v_add_f64 v[110:111], v[110:111], v[116:117]
	v_mul_f64 v[116:117], v[174:175], v[120:121]
	s_waitcnt vmcnt(24)
	v_fma_f64 v[4:5], v[174:175], v[122:123], -v[4:5]
	v_fmac_f64_e32 v[116:117], v[176:177], v[122:123]
	v_add_f64 v[2:3], v[2:3], v[4:5]
	s_waitcnt lgkmcnt(2)
	v_mul_f64 v[4:5], v[180:181], v[112:113]
	v_add_f64 v[110:111], v[110:111], v[116:117]
	v_mul_f64 v[116:117], v[178:179], v[112:113]
	ds_read_b128 v[190:193], v1 offset:1504
	ds_read_b128 v[194:197], v1 offset:1520
	v_fma_f64 v[4:5], v[178:179], v[114:115], -v[4:5]
	v_fmac_f64_e32 v[116:117], v[180:181], v[114:115]
	v_add_f64 v[2:3], v[2:3], v[4:5]
	s_waitcnt vmcnt(18) lgkmcnt(3)
	v_mul_f64 v[4:5], v[184:185], v[206:207]
	v_add_f64 v[110:111], v[110:111], v[116:117]
	v_mul_f64 v[116:117], v[182:183], v[206:207]
	s_waitcnt vmcnt(16)
	v_fma_f64 v[4:5], v[182:183], v[208:209], -v[4:5]
	v_fmac_f64_e32 v[116:117], v[184:185], v[208:209]
	v_add_f64 v[2:3], v[2:3], v[4:5]
	s_waitcnt lgkmcnt(2)
	v_mul_f64 v[4:5], v[188:189], v[124:125]
	v_add_f64 v[110:111], v[110:111], v[116:117]
	v_mul_f64 v[116:117], v[186:187], v[124:125]
	ds_read_b128 v[198:201], v1 offset:1536
	ds_read_b128 v[202:205], v1 offset:1552
	v_fma_f64 v[4:5], v[186:187], v[118:119], -v[4:5]
	v_fmac_f64_e32 v[116:117], v[188:189], v[118:119]
	v_add_f64 v[2:3], v[2:3], v[4:5]
	s_waitcnt vmcnt(10) lgkmcnt(3)
	v_mul_f64 v[4:5], v[192:193], v[214:215]
	v_add_f64 v[110:111], v[110:111], v[116:117]
	v_mul_f64 v[116:117], v[190:191], v[214:215]
	s_waitcnt vmcnt(8)
	v_fma_f64 v[4:5], v[190:191], v[216:217], -v[4:5]
	v_fmac_f64_e32 v[116:117], v[192:193], v[216:217]
	v_add_f64 v[2:3], v[2:3], v[4:5]
	s_waitcnt lgkmcnt(2)
	v_mul_f64 v[4:5], v[196:197], v[210:211]
	v_add_f64 v[110:111], v[110:111], v[116:117]
	v_mul_f64 v[116:117], v[194:195], v[210:211]
	v_fma_f64 v[4:5], v[194:195], v[212:213], -v[4:5]
	v_fmac_f64_e32 v[116:117], v[196:197], v[212:213]
	v_add_f64 v[2:3], v[2:3], v[4:5]
	s_waitcnt vmcnt(2) lgkmcnt(1)
	v_mul_f64 v[4:5], v[200:201], v[222:223]
	v_add_f64 v[110:111], v[110:111], v[116:117]
	v_mul_f64 v[116:117], v[198:199], v[222:223]
	s_waitcnt vmcnt(0)
	v_fma_f64 v[4:5], v[198:199], v[224:225], -v[4:5]
	v_fmac_f64_e32 v[116:117], v[200:201], v[224:225]
	v_add_f64 v[2:3], v[2:3], v[4:5]
	s_waitcnt lgkmcnt(0)
	v_mul_f64 v[4:5], v[204:205], v[218:219]
	v_add_f64 v[110:111], v[110:111], v[116:117]
	v_mul_f64 v[116:117], v[202:203], v[218:219]
	v_fma_f64 v[4:5], v[202:203], v[220:221], -v[4:5]
	v_fmac_f64_e32 v[116:117], v[204:205], v[220:221]
	v_add_f64 v[2:3], v[2:3], v[4:5]
	v_add_f64 v[110:111], v[110:111], v[116:117]
	v_add_f64 v[2:3], v[46:47], -v[2:3]
	v_add_f64 v[4:5], v[44:45], -v[110:111]
	buffer_store_dword v3, off, s[0:3], 0 offset:356
	buffer_store_dword v2, off, s[0:3], 0 offset:352
	;; [unrolled: 1-line block ×4, first 2 shown]
	s_and_saveexec_b64 s[4:5], vcc
	s_cbranch_execz .LBB112_267
; %bb.266:
	v_accvgpr_read_b32 v0, a126
	buffer_load_dword v2, v0, s[0:3], 0 offen
	buffer_load_dword v3, v0, s[0:3], 0 offen offset:4
	buffer_load_dword v4, v0, s[0:3], 0 offen offset:8
	buffer_load_dword v5, v0, s[0:3], 0 offen offset:12
	v_accvgpr_read_b32 v0, a147
	buffer_store_dword v1, off, s[0:3], 0 offset:336
	buffer_store_dword v1, off, s[0:3], 0 offset:340
	;; [unrolled: 1-line block ×4, first 2 shown]
	s_waitcnt vmcnt(4)
	ds_write_b128 v0, v[2:5]
.LBB112_267:
	s_or_b64 exec, exec, s[4:5]
	s_waitcnt lgkmcnt(0)
	; wave barrier
	s_waitcnt lgkmcnt(0)
	buffer_load_dword v34, off, s[0:3], 0 offset:352
	buffer_load_dword v35, off, s[0:3], 0 offset:356
	buffer_load_dword v38, off, s[0:3], 0 offset:360
	buffer_load_dword v39, off, s[0:3], 0 offset:364
	buffer_load_dword v36, off, s[0:3], 0 offset:368
	buffer_load_dword v37, off, s[0:3], 0 offset:372
	buffer_load_dword v40, off, s[0:3], 0 offset:376
	buffer_load_dword v41, off, s[0:3], 0 offset:380
	buffer_load_dword v42, off, s[0:3], 0 offset:392
	buffer_load_dword v43, off, s[0:3], 0 offset:396
	buffer_load_dword v49, off, s[0:3], 0 offset:412
	buffer_load_dword v48, off, s[0:3], 0 offset:408
	buffer_load_dword v51, off, s[0:3], 0 offset:460
	buffer_load_dword v50, off, s[0:3], 0 offset:456
	buffer_load_dword v53, off, s[0:3], 0 offset:452
	buffer_load_dword v55, off, s[0:3], 0 offset:444
	buffer_load_dword v54, off, s[0:3], 0 offset:440
	buffer_load_dword v57, off, s[0:3], 0 offset:428
	buffer_load_dword v56, off, s[0:3], 0 offset:424
	buffer_load_dword v59, off, s[0:3], 0 offset:420
	buffer_load_dword v58, off, s[0:3], 0 offset:416
	buffer_load_dword v64, off, s[0:3], 0 offset:384
	buffer_load_dword v65, off, s[0:3], 0 offset:388
	buffer_load_dword v63, off, s[0:3], 0 offset:404
	buffer_load_dword v62, off, s[0:3], 0 offset:400
	buffer_load_dword v61, off, s[0:3], 0 offset:436
	buffer_load_dword v60, off, s[0:3], 0 offset:432
	buffer_load_dword v52, off, s[0:3], 0 offset:448
	buffer_load_dword v46, off, s[0:3], 0 offset:336
	buffer_load_dword v47, off, s[0:3], 0 offset:340
	buffer_load_dword v44, off, s[0:3], 0 offset:344
	buffer_load_dword v45, off, s[0:3], 0 offset:348
	ds_read_b128 v[30:33], v1 offset:1120
	ds_read_b128 v[26:29], v1 offset:1136
	;; [unrolled: 1-line block ×8, first 2 shown]
	buffer_load_dword v67, off, s[0:3], 0 offset:492
	buffer_load_dword v66, off, s[0:3], 0 offset:488
	;; [unrolled: 1-line block ×24, first 2 shown]
	v_cmp_lt_u32_e32 vcc, 19, v254
	s_waitcnt vmcnt(52) lgkmcnt(7)
	v_mul_f64 v[90:91], v[30:31], v[38:39]
	v_fmac_f64_e32 v[90:91], v[32:33], v[34:35]
	v_add_f64 v[90:91], v[90:91], 0
	v_mul_f64 v[32:33], v[32:33], v[38:39]
	s_waitcnt vmcnt(48) lgkmcnt(6)
	v_mul_f64 v[92:93], v[26:27], v[40:41]
	v_fmac_f64_e32 v[92:93], v[28:29], v[36:37]
	s_waitcnt vmcnt(46) lgkmcnt(5)
	v_mul_f64 v[94:95], v[22:23], v[42:43]
	v_add_f64 v[90:91], v[90:91], v[92:93]
	s_waitcnt vmcnt(44) lgkmcnt(4)
	v_mul_f64 v[96:97], v[18:19], v[48:49]
	v_fma_f64 v[30:31], v[30:31], v[34:35], -v[32:33]
	s_waitcnt vmcnt(42) lgkmcnt(1)
	v_mul_f64 v[124:125], v[2:3], v[50:51]
	v_mul_f64 v[28:29], v[28:29], v[40:41]
	s_waitcnt vmcnt(18) lgkmcnt(0)
	v_mul_f64 v[138:139], v[14:15], v[70:71]
	v_mul_f64 v[100:101], v[6:7], v[54:55]
	s_waitcnt vmcnt(16)
	v_fmac_f64_e32 v[138:139], v[16:17], v[72:73]
	v_mul_f64 v[98:99], v[10:11], v[56:57]
	v_add_f64 v[30:31], v[30:31], 0
	v_fmac_f64_e32 v[98:99], v[12:13], v[58:59]
	v_fma_f64 v[26:27], v[26:27], v[36:37], -v[28:29]
	v_fmac_f64_e32 v[94:95], v[24:25], v[64:65]
	v_add_f64 v[90:91], v[90:91], v[94:95]
	v_fmac_f64_e32 v[96:97], v[20:21], v[62:63]
	v_add_f64 v[90:91], v[90:91], v[96:97]
	;; [unrolled: 2-line block ×3, first 2 shown]
	v_add_f64 v[126:127], v[90:91], v[100:101]
	buffer_load_dword v91, off, s[0:3], 0 offset:588
	buffer_load_dword v90, off, s[0:3], 0 offset:584
	;; [unrolled: 1-line block ×56, first 2 shown]
	v_fmac_f64_e32 v[124:125], v[4:5], v[52:53]
	v_add_f64 v[136:137], v[126:127], v[124:125]
	ds_read_b128 v[124:127], v1 offset:1248
	buffer_load_dword v227, off, s[0:3], 0 offset:796
	buffer_load_dword v226, off, s[0:3], 0 offset:792
	;; [unrolled: 1-line block ×4, first 2 shown]
	v_add_f64 v[140:141], v[136:137], v[138:139]
	ds_read_b128 v[136:139], v1 offset:1264
	v_mul_f64 v[24:25], v[24:25], v[42:43]
	s_waitcnt lgkmcnt(1)
	v_mul_f64 v[142:143], v[124:125], v[66:67]
	v_fmac_f64_e32 v[142:143], v[126:127], v[68:69]
	v_add_f64 v[144:145], v[140:141], v[142:143]
	ds_read_b128 v[140:143], v1 offset:1280
	s_waitcnt vmcnt(62) lgkmcnt(1)
	v_mul_f64 v[146:147], v[136:137], v[78:79]
	v_fmac_f64_e32 v[146:147], v[138:139], v[80:81]
	v_add_f64 v[148:149], v[144:145], v[146:147]
	ds_read_b128 v[144:147], v1 offset:1296
	s_waitcnt lgkmcnt(1)
	v_mul_f64 v[150:151], v[140:141], v[74:75]
	v_fmac_f64_e32 v[150:151], v[142:143], v[76:77]
	v_add_f64 v[152:153], v[148:149], v[150:151]
	ds_read_b128 v[148:151], v1 offset:1312
	s_waitcnt lgkmcnt(1)
	v_mul_f64 v[154:155], v[144:145], v[86:87]
	s_waitcnt vmcnt(60)
	v_fmac_f64_e32 v[154:155], v[146:147], v[88:89]
	v_add_f64 v[156:157], v[152:153], v[154:155]
	ds_read_b128 v[152:155], v1 offset:1328
	s_waitcnt lgkmcnt(1)
	v_mul_f64 v[158:159], v[148:149], v[82:83]
	v_fmac_f64_e32 v[158:159], v[150:151], v[84:85]
	v_add_f64 v[160:161], v[156:157], v[158:159]
	ds_read_b128 v[156:159], v1 offset:1344
	v_add_f64 v[26:27], v[30:31], v[26:27]
	v_fma_f64 v[22:23], v[22:23], v[64:65], -v[24:25]
	s_waitcnt vmcnt(54) lgkmcnt(1)
	v_mul_f64 v[162:163], v[152:153], v[94:95]
	v_mul_f64 v[20:21], v[20:21], v[48:49]
	s_waitcnt vmcnt(52)
	v_fmac_f64_e32 v[162:163], v[154:155], v[96:97]
	v_add_f64 v[164:165], v[160:161], v[162:163]
	ds_read_b128 v[160:163], v1 offset:1360
	s_waitcnt lgkmcnt(1)
	v_mul_f64 v[166:167], v[156:157], v[90:91]
	v_fmac_f64_e32 v[166:167], v[158:159], v[92:93]
	v_add_f64 v[22:23], v[26:27], v[22:23]
	v_fma_f64 v[18:19], v[18:19], v[62:63], -v[20:21]
	v_mul_f64 v[12:13], v[12:13], v[56:57]
	v_add_f64 v[168:169], v[164:165], v[166:167]
	ds_read_b128 v[164:167], v1 offset:1376
	v_add_f64 v[18:19], v[22:23], v[18:19]
	v_fma_f64 v[10:11], v[10:11], v[58:59], -v[12:13]
	v_mul_f64 v[8:9], v[8:9], v[54:55]
	v_add_f64 v[10:11], v[18:19], v[10:11]
	v_fma_f64 v[6:7], v[6:7], v[60:61], -v[8:9]
	v_mul_f64 v[4:5], v[4:5], v[50:51]
	;; [unrolled: 3-line block ×3, first 2 shown]
	s_waitcnt vmcnt(46) lgkmcnt(1)
	v_mul_f64 v[170:171], v[160:161], v[102:103]
	v_add_f64 v[2:3], v[6:7], v[2:3]
	v_fma_f64 v[4:5], v[14:15], v[72:73], -v[4:5]
	s_waitcnt vmcnt(44)
	v_fmac_f64_e32 v[170:171], v[162:163], v[104:105]
	v_add_f64 v[2:3], v[2:3], v[4:5]
	v_mul_f64 v[4:5], v[126:127], v[66:67]
	v_add_f64 v[172:173], v[168:169], v[170:171]
	ds_read_b128 v[168:171], v1 offset:1392
	s_waitcnt lgkmcnt(1)
	v_mul_f64 v[174:175], v[164:165], v[98:99]
	v_fma_f64 v[4:5], v[124:125], v[68:69], -v[4:5]
	v_fmac_f64_e32 v[174:175], v[166:167], v[100:101]
	v_add_f64 v[2:3], v[2:3], v[4:5]
	v_mul_f64 v[4:5], v[138:139], v[78:79]
	v_add_f64 v[176:177], v[172:173], v[174:175]
	ds_read_b128 v[172:175], v1 offset:1408
	v_fma_f64 v[4:5], v[136:137], v[80:81], -v[4:5]
	v_add_f64 v[2:3], v[2:3], v[4:5]
	v_mul_f64 v[4:5], v[142:143], v[74:75]
	v_fma_f64 v[4:5], v[140:141], v[76:77], -v[4:5]
	s_waitcnt vmcnt(38) lgkmcnt(1)
	v_mul_f64 v[178:179], v[168:169], v[110:111]
	v_add_f64 v[2:3], v[2:3], v[4:5]
	v_mul_f64 v[4:5], v[146:147], v[86:87]
	s_waitcnt vmcnt(36)
	v_fmac_f64_e32 v[178:179], v[170:171], v[112:113]
	v_fma_f64 v[4:5], v[144:145], v[88:89], -v[4:5]
	v_add_f64 v[180:181], v[176:177], v[178:179]
	ds_read_b128 v[176:179], v1 offset:1424
	s_waitcnt lgkmcnt(1)
	v_mul_f64 v[182:183], v[172:173], v[106:107]
	v_add_f64 v[2:3], v[2:3], v[4:5]
	v_mul_f64 v[4:5], v[150:151], v[82:83]
	v_fmac_f64_e32 v[182:183], v[174:175], v[108:109]
	v_fma_f64 v[4:5], v[148:149], v[84:85], -v[4:5]
	v_add_f64 v[184:185], v[180:181], v[182:183]
	ds_read_b128 v[180:183], v1 offset:1440
	v_add_f64 v[2:3], v[2:3], v[4:5]
	v_mul_f64 v[4:5], v[154:155], v[94:95]
	v_fma_f64 v[4:5], v[152:153], v[96:97], -v[4:5]
	v_add_f64 v[2:3], v[2:3], v[4:5]
	v_mul_f64 v[4:5], v[158:159], v[90:91]
	s_waitcnt vmcnt(30) lgkmcnt(1)
	v_mul_f64 v[186:187], v[176:177], v[120:121]
	v_fma_f64 v[4:5], v[156:157], v[92:93], -v[4:5]
	s_waitcnt vmcnt(28)
	v_fmac_f64_e32 v[186:187], v[178:179], v[122:123]
	v_add_f64 v[2:3], v[2:3], v[4:5]
	v_mul_f64 v[4:5], v[162:163], v[102:103]
	v_add_f64 v[188:189], v[184:185], v[186:187]
	ds_read_b128 v[184:187], v1 offset:1456
	s_waitcnt lgkmcnt(1)
	v_mul_f64 v[190:191], v[180:181], v[114:115]
	v_fma_f64 v[4:5], v[160:161], v[104:105], -v[4:5]
	v_fmac_f64_e32 v[190:191], v[182:183], v[116:117]
	v_add_f64 v[2:3], v[2:3], v[4:5]
	v_mul_f64 v[4:5], v[166:167], v[98:99]
	v_add_f64 v[192:193], v[188:189], v[190:191]
	ds_read_b128 v[188:191], v1 offset:1472
	v_fma_f64 v[4:5], v[164:165], v[100:101], -v[4:5]
	v_add_f64 v[2:3], v[2:3], v[4:5]
	v_mul_f64 v[4:5], v[170:171], v[110:111]
	v_fma_f64 v[4:5], v[168:169], v[112:113], -v[4:5]
	s_waitcnt vmcnt(22) lgkmcnt(1)
	v_mul_f64 v[194:195], v[184:185], v[132:133]
	v_add_f64 v[2:3], v[2:3], v[4:5]
	v_mul_f64 v[4:5], v[174:175], v[106:107]
	s_waitcnt vmcnt(20)
	v_fmac_f64_e32 v[194:195], v[186:187], v[134:135]
	v_fma_f64 v[4:5], v[172:173], v[108:109], -v[4:5]
	v_add_f64 v[196:197], v[192:193], v[194:195]
	ds_read_b128 v[192:195], v1 offset:1488
	s_waitcnt lgkmcnt(1)
	v_mul_f64 v[198:199], v[188:189], v[128:129]
	v_add_f64 v[2:3], v[2:3], v[4:5]
	v_mul_f64 v[4:5], v[178:179], v[120:121]
	v_fmac_f64_e32 v[198:199], v[190:191], v[130:131]
	v_fma_f64 v[4:5], v[176:177], v[122:123], -v[4:5]
	v_add_f64 v[200:201], v[196:197], v[198:199]
	ds_read_b128 v[196:199], v1 offset:1504
	v_add_f64 v[2:3], v[2:3], v[4:5]
	v_mul_f64 v[4:5], v[182:183], v[114:115]
	v_fma_f64 v[4:5], v[180:181], v[116:117], -v[4:5]
	v_add_f64 v[2:3], v[2:3], v[4:5]
	v_mul_f64 v[4:5], v[186:187], v[132:133]
	s_waitcnt vmcnt(14) lgkmcnt(1)
	v_mul_f64 v[202:203], v[192:193], v[210:211]
	v_fma_f64 v[4:5], v[184:185], v[134:135], -v[4:5]
	s_waitcnt vmcnt(12)
	v_fmac_f64_e32 v[202:203], v[194:195], v[212:213]
	v_add_f64 v[2:3], v[2:3], v[4:5]
	v_mul_f64 v[4:5], v[190:191], v[128:129]
	v_add_f64 v[204:205], v[200:201], v[202:203]
	ds_read_b128 v[200:203], v1 offset:1520
	s_waitcnt lgkmcnt(1)
	v_mul_f64 v[206:207], v[196:197], v[118:119]
	v_fma_f64 v[4:5], v[188:189], v[130:131], -v[4:5]
	v_fmac_f64_e32 v[206:207], v[198:199], v[208:209]
	v_add_f64 v[2:3], v[2:3], v[4:5]
	v_mul_f64 v[4:5], v[194:195], v[210:211]
	v_add_f64 v[230:231], v[204:205], v[206:207]
	ds_read_b128 v[204:207], v1 offset:1536
	v_fma_f64 v[4:5], v[192:193], v[212:213], -v[4:5]
	v_add_f64 v[2:3], v[2:3], v[4:5]
	v_mul_f64 v[4:5], v[198:199], v[118:119]
	ds_read_b128 v[216:219], v1 offset:1552
	v_fma_f64 v[4:5], v[196:197], v[208:209], -v[4:5]
	v_add_f64 v[2:3], v[2:3], v[4:5]
	s_waitcnt vmcnt(6) lgkmcnt(2)
	v_mul_f64 v[4:5], v[202:203], v[222:223]
	v_mul_f64 v[232:233], v[200:201], v[222:223]
	s_waitcnt vmcnt(4)
	v_fma_f64 v[4:5], v[200:201], v[224:225], -v[4:5]
	v_fmac_f64_e32 v[232:233], v[202:203], v[224:225]
	v_add_f64 v[2:3], v[2:3], v[4:5]
	s_waitcnt lgkmcnt(1)
	v_mul_f64 v[4:5], v[206:207], v[214:215]
	v_add_f64 v[230:231], v[230:231], v[232:233]
	v_mul_f64 v[232:233], v[204:205], v[214:215]
	v_fma_f64 v[4:5], v[204:205], v[220:221], -v[4:5]
	v_fmac_f64_e32 v[232:233], v[206:207], v[220:221]
	v_add_f64 v[2:3], v[2:3], v[4:5]
	s_waitcnt vmcnt(2) lgkmcnt(0)
	v_mul_f64 v[4:5], v[218:219], v[226:227]
	v_add_f64 v[230:231], v[230:231], v[232:233]
	v_mul_f64 v[232:233], v[216:217], v[226:227]
	s_waitcnt vmcnt(0)
	v_fma_f64 v[4:5], v[216:217], v[228:229], -v[4:5]
	v_fmac_f64_e32 v[232:233], v[218:219], v[228:229]
	v_add_f64 v[2:3], v[2:3], v[4:5]
	v_add_f64 v[230:231], v[230:231], v[232:233]
	v_add_f64 v[2:3], v[46:47], -v[2:3]
	v_add_f64 v[4:5], v[44:45], -v[230:231]
	buffer_store_dword v3, off, s[0:3], 0 offset:340
	buffer_store_dword v2, off, s[0:3], 0 offset:336
	;; [unrolled: 1-line block ×4, first 2 shown]
	s_and_saveexec_b64 s[4:5], vcc
	s_cbranch_execz .LBB112_269
; %bb.268:
	v_accvgpr_read_b32 v0, a127
	buffer_load_dword v2, v0, s[0:3], 0 offen
	buffer_load_dword v3, v0, s[0:3], 0 offen offset:4
	buffer_load_dword v4, v0, s[0:3], 0 offen offset:8
	;; [unrolled: 1-line block ×3, first 2 shown]
	v_mov_b32_e32 v0, 0
	v_accvgpr_read_b32 v1, a147
	buffer_store_dword v0, off, s[0:3], 0 offset:320
	buffer_store_dword v0, off, s[0:3], 0 offset:324
	;; [unrolled: 1-line block ×4, first 2 shown]
	s_waitcnt vmcnt(4)
	ds_write_b128 v1, v[2:5]
.LBB112_269:
	s_or_b64 exec, exec, s[4:5]
	s_waitcnt lgkmcnt(0)
	; wave barrier
	s_waitcnt lgkmcnt(0)
	buffer_load_dword v38, off, s[0:3], 0 offset:336
	buffer_load_dword v39, off, s[0:3], 0 offset:340
	buffer_load_dword v42, off, s[0:3], 0 offset:344
	buffer_load_dword v43, off, s[0:3], 0 offset:348
	buffer_load_dword v40, off, s[0:3], 0 offset:352
	buffer_load_dword v41, off, s[0:3], 0 offset:356
	buffer_load_dword v44, off, s[0:3], 0 offset:360
	buffer_load_dword v45, off, s[0:3], 0 offset:364
	buffer_load_dword v46, off, s[0:3], 0 offset:376
	buffer_load_dword v47, off, s[0:3], 0 offset:380
	buffer_load_dword v49, off, s[0:3], 0 offset:412
	buffer_load_dword v48, off, s[0:3], 0 offset:408
	buffer_load_dword v51, off, s[0:3], 0 offset:404
	buffer_load_dword v50, off, s[0:3], 0 offset:400
	buffer_load_dword v53, off, s[0:3], 0 offset:396
	buffer_load_dword v52, off, s[0:3], 0 offset:392
	buffer_load_dword v55, off, s[0:3], 0 offset:444
	buffer_load_dword v54, off, s[0:3], 0 offset:440
	buffer_load_dword v57, off, s[0:3], 0 offset:436
	buffer_load_dword v56, off, s[0:3], 0 offset:432
	buffer_load_dword v59, off, s[0:3], 0 offset:428
	buffer_load_dword v58, off, s[0:3], 0 offset:424
	buffer_load_dword v65, off, s[0:3], 0 offset:476
	buffer_load_dword v67, off, s[0:3], 0 offset:468
	buffer_load_dword v69, off, s[0:3], 0 offset:460
	buffer_load_dword v68, off, s[0:3], 0 offset:456
	buffer_load_dword v76, off, s[0:3], 0 offset:368
	buffer_load_dword v77, off, s[0:3], 0 offset:372
	buffer_load_dword v75, off, s[0:3], 0 offset:388
	buffer_load_dword v74, off, s[0:3], 0 offset:384
	buffer_load_dword v73, off, s[0:3], 0 offset:420
	buffer_load_dword v72, off, s[0:3], 0 offset:416
	buffer_load_dword v71, off, s[0:3], 0 offset:452
	buffer_load_dword v70, off, s[0:3], 0 offset:448
	buffer_load_dword v64, off, s[0:3], 0 offset:472
	buffer_load_dword v66, off, s[0:3], 0 offset:464
	buffer_load_dword v62, off, s[0:3], 0 offset:320
	buffer_load_dword v63, off, s[0:3], 0 offset:324
	buffer_load_dword v60, off, s[0:3], 0 offset:328
	buffer_load_dword v61, off, s[0:3], 0 offset:332
	buffer_load_dword v79, off, s[0:3], 0 offset:508
	buffer_load_dword v78, off, s[0:3], 0 offset:504
	buffer_load_dword v81, off, s[0:3], 0 offset:500
	buffer_load_dword v80, off, s[0:3], 0 offset:496
	buffer_load_dword v83, off, s[0:3], 0 offset:492
	buffer_load_dword v82, off, s[0:3], 0 offset:488
	buffer_load_dword v85, off, s[0:3], 0 offset:484
	buffer_load_dword v84, off, s[0:3], 0 offset:480
	v_mov_b32_e32 v1, 0
	ds_read_b128 v[34:37], v1 offset:1104
	ds_read_b128 v[30:33], v1 offset:1120
	;; [unrolled: 1-line block ×9, first 2 shown]
	v_cmp_lt_u32_e32 vcc, 18, v254
	s_waitcnt vmcnt(44) lgkmcnt(8)
	v_mul_f64 v[86:87], v[34:35], v[42:43]
	v_fmac_f64_e32 v[86:87], v[36:37], v[38:39]
	v_add_f64 v[86:87], v[86:87], 0
	v_mul_f64 v[36:37], v[36:37], v[42:43]
	s_waitcnt vmcnt(40) lgkmcnt(7)
	v_mul_f64 v[88:89], v[30:31], v[44:45]
	v_fmac_f64_e32 v[88:89], v[32:33], v[40:41]
	s_waitcnt vmcnt(38) lgkmcnt(6)
	v_mul_f64 v[90:91], v[26:27], v[46:47]
	v_add_f64 v[86:87], v[86:87], v[88:89]
	s_waitcnt vmcnt(36) lgkmcnt(4)
	v_mul_f64 v[94:95], v[18:19], v[48:49]
	v_fma_f64 v[34:35], v[34:35], v[38:39], -v[36:37]
	s_waitcnt vmcnt(34)
	v_fmac_f64_e32 v[94:95], v[20:21], v[50:51]
	v_mul_f64 v[32:33], v[32:33], v[44:45]
	s_waitcnt vmcnt(32)
	v_mul_f64 v[92:93], v[22:23], v[52:53]
	v_add_f64 v[34:35], v[34:35], 0
	s_waitcnt vmcnt(30) lgkmcnt(2)
	v_mul_f64 v[98:99], v[10:11], v[54:55]
	v_fma_f64 v[30:31], v[30:31], v[40:41], -v[32:33]
	s_waitcnt vmcnt(28)
	v_fmac_f64_e32 v[98:99], v[12:13], v[56:57]
	v_add_f64 v[30:31], v[34:35], v[30:31]
	s_waitcnt vmcnt(26)
	v_mul_f64 v[96:97], v[14:15], v[58:59]
	v_mul_f64 v[20:21], v[20:21], v[48:49]
	v_fma_f64 v[18:19], v[18:19], v[50:51], -v[20:21]
	v_mul_f64 v[12:13], v[12:13], v[54:55]
	s_waitcnt vmcnt(22) lgkmcnt(1)
	v_mul_f64 v[110:111], v[6:7], v[68:69]
	v_fma_f64 v[10:11], v[10:11], v[56:57], -v[12:13]
	s_waitcnt vmcnt(20)
	v_fmac_f64_e32 v[90:91], v[28:29], v[76:77]
	v_add_f64 v[86:87], v[86:87], v[90:91]
	s_waitcnt vmcnt(18)
	v_fmac_f64_e32 v[92:93], v[24:25], v[74:75]
	v_add_f64 v[86:87], v[86:87], v[92:93]
	;; [unrolled: 3-line block ×3, first 2 shown]
	v_add_f64 v[86:87], v[86:87], v[96:97]
	v_add_f64 v[112:113], v[86:87], v[98:99]
	buffer_load_dword v87, off, s[0:3], 0 offset:540
	buffer_load_dword v86, off, s[0:3], 0 offset:536
	;; [unrolled: 1-line block ×72, first 2 shown]
	s_waitcnt vmcnt(62)
	v_fmac_f64_e32 v[110:111], v[8:9], v[70:71]
	v_add_f64 v[144:145], v[112:113], v[110:111]
	ds_read_b128 v[110:113], v1 offset:1248
	s_waitcnt lgkmcnt(1)
	v_mul_f64 v[146:147], v[2:3], v[64:65]
	v_fmac_f64_e32 v[146:147], v[4:5], v[66:67]
	v_add_f64 v[148:149], v[144:145], v[146:147]
	ds_read_b128 v[144:147], v1 offset:1264
	s_waitcnt lgkmcnt(1)
	v_mul_f64 v[150:151], v[110:111], v[82:83]
	;; [unrolled: 5-line block ×5, first 2 shown]
	v_fmac_f64_e32 v[162:163], v[154:155], v[88:89]
	v_add_f64 v[164:165], v[160:161], v[162:163]
	ds_read_b128 v[160:163], v1 offset:1328
	s_waitcnt vmcnt(58) lgkmcnt(1)
	v_mul_f64 v[166:167], v[156:157], v[98:99]
	s_waitcnt vmcnt(56)
	v_fmac_f64_e32 v[166:167], v[158:159], v[100:101]
	v_add_f64 v[168:169], v[164:165], v[166:167]
	ds_read_b128 v[164:167], v1 offset:1344
	s_waitcnt lgkmcnt(1)
	v_mul_f64 v[170:171], v[160:161], v[94:95]
	v_fmac_f64_e32 v[170:171], v[162:163], v[96:97]
	v_mul_f64 v[28:29], v[28:29], v[46:47]
	v_add_f64 v[172:173], v[168:169], v[170:171]
	ds_read_b128 v[168:171], v1 offset:1360
	s_waitcnt vmcnt(50) lgkmcnt(1)
	v_mul_f64 v[174:175], v[164:165], v[106:107]
	v_fma_f64 v[26:27], v[26:27], v[76:77], -v[28:29]
	v_mul_f64 v[24:25], v[24:25], v[52:53]
	s_waitcnt vmcnt(48)
	v_fmac_f64_e32 v[174:175], v[166:167], v[108:109]
	v_add_f64 v[26:27], v[30:31], v[26:27]
	v_fma_f64 v[22:23], v[22:23], v[74:75], -v[24:25]
	v_add_f64 v[176:177], v[172:173], v[174:175]
	ds_read_b128 v[172:175], v1 offset:1376
	v_add_f64 v[22:23], v[26:27], v[22:23]
	v_mul_f64 v[16:17], v[16:17], v[58:59]
	v_add_f64 v[18:19], v[22:23], v[18:19]
	v_fma_f64 v[14:15], v[14:15], v[72:73], -v[16:17]
	v_add_f64 v[14:15], v[18:19], v[14:15]
	v_mul_f64 v[8:9], v[8:9], v[68:69]
	s_waitcnt lgkmcnt(1)
	v_mul_f64 v[178:179], v[168:169], v[102:103]
	v_add_f64 v[10:11], v[14:15], v[10:11]
	v_fma_f64 v[6:7], v[6:7], v[70:71], -v[8:9]
	v_mul_f64 v[4:5], v[4:5], v[64:65]
	v_fmac_f64_e32 v[178:179], v[170:171], v[104:105]
	v_add_f64 v[6:7], v[10:11], v[6:7]
	v_fma_f64 v[2:3], v[2:3], v[66:67], -v[4:5]
	v_mul_f64 v[4:5], v[112:113], v[82:83]
	v_add_f64 v[180:181], v[176:177], v[178:179]
	ds_read_b128 v[176:179], v1 offset:1392
	s_waitcnt vmcnt(42) lgkmcnt(1)
	v_mul_f64 v[182:183], v[172:173], v[120:121]
	v_add_f64 v[2:3], v[6:7], v[2:3]
	v_fma_f64 v[4:5], v[110:111], v[84:85], -v[4:5]
	s_waitcnt vmcnt(40)
	v_fmac_f64_e32 v[182:183], v[174:175], v[122:123]
	v_add_f64 v[2:3], v[2:3], v[4:5]
	v_mul_f64 v[4:5], v[146:147], v[78:79]
	v_add_f64 v[184:185], v[180:181], v[182:183]
	ds_read_b128 v[180:183], v1 offset:1408
	v_fma_f64 v[4:5], v[144:145], v[80:81], -v[4:5]
	v_add_f64 v[2:3], v[2:3], v[4:5]
	v_mul_f64 v[4:5], v[150:151], v[90:91]
	v_fma_f64 v[4:5], v[148:149], v[92:93], -v[4:5]
	s_waitcnt lgkmcnt(1)
	v_mul_f64 v[186:187], v[176:177], v[114:115]
	v_add_f64 v[2:3], v[2:3], v[4:5]
	v_mul_f64 v[4:5], v[154:155], v[86:87]
	v_fmac_f64_e32 v[186:187], v[178:179], v[116:117]
	v_fma_f64 v[4:5], v[152:153], v[88:89], -v[4:5]
	v_add_f64 v[188:189], v[184:185], v[186:187]
	ds_read_b128 v[184:187], v1 offset:1424
	s_waitcnt vmcnt(34) lgkmcnt(1)
	v_mul_f64 v[190:191], v[180:181], v[128:129]
	v_add_f64 v[2:3], v[2:3], v[4:5]
	v_mul_f64 v[4:5], v[158:159], v[98:99]
	s_waitcnt vmcnt(32)
	v_fmac_f64_e32 v[190:191], v[182:183], v[130:131]
	v_fma_f64 v[4:5], v[156:157], v[100:101], -v[4:5]
	v_add_f64 v[192:193], v[188:189], v[190:191]
	ds_read_b128 v[188:191], v1 offset:1440
	v_add_f64 v[2:3], v[2:3], v[4:5]
	v_mul_f64 v[4:5], v[162:163], v[94:95]
	v_fma_f64 v[4:5], v[160:161], v[96:97], -v[4:5]
	v_add_f64 v[2:3], v[2:3], v[4:5]
	v_mul_f64 v[4:5], v[166:167], v[106:107]
	s_waitcnt lgkmcnt(1)
	v_mul_f64 v[194:195], v[184:185], v[124:125]
	v_fma_f64 v[4:5], v[164:165], v[108:109], -v[4:5]
	v_fmac_f64_e32 v[194:195], v[186:187], v[126:127]
	v_add_f64 v[2:3], v[2:3], v[4:5]
	v_mul_f64 v[4:5], v[170:171], v[102:103]
	v_add_f64 v[196:197], v[192:193], v[194:195]
	ds_read_b128 v[192:195], v1 offset:1456
	s_waitcnt vmcnt(26) lgkmcnt(1)
	v_mul_f64 v[198:199], v[188:189], v[136:137]
	v_fma_f64 v[4:5], v[168:169], v[104:105], -v[4:5]
	s_waitcnt vmcnt(24)
	v_fmac_f64_e32 v[198:199], v[190:191], v[138:139]
	v_add_f64 v[2:3], v[2:3], v[4:5]
	v_mul_f64 v[4:5], v[174:175], v[120:121]
	v_add_f64 v[200:201], v[196:197], v[198:199]
	ds_read_b128 v[196:199], v1 offset:1472
	v_fma_f64 v[4:5], v[172:173], v[122:123], -v[4:5]
	v_add_f64 v[2:3], v[2:3], v[4:5]
	v_mul_f64 v[4:5], v[178:179], v[114:115]
	v_fma_f64 v[4:5], v[176:177], v[116:117], -v[4:5]
	s_waitcnt lgkmcnt(1)
	v_mul_f64 v[202:203], v[192:193], v[132:133]
	v_add_f64 v[2:3], v[2:3], v[4:5]
	v_mul_f64 v[4:5], v[182:183], v[128:129]
	v_fmac_f64_e32 v[202:203], v[194:195], v[134:135]
	v_fma_f64 v[4:5], v[180:181], v[130:131], -v[4:5]
	v_add_f64 v[204:205], v[200:201], v[202:203]
	ds_read_b128 v[200:203], v1 offset:1488
	s_waitcnt vmcnt(18) lgkmcnt(1)
	v_mul_f64 v[206:207], v[196:197], v[118:119]
	v_add_f64 v[2:3], v[2:3], v[4:5]
	v_mul_f64 v[4:5], v[186:187], v[124:125]
	s_waitcnt vmcnt(16)
	v_fmac_f64_e32 v[206:207], v[198:199], v[208:209]
	v_fma_f64 v[4:5], v[184:185], v[126:127], -v[4:5]
	v_add_f64 v[216:217], v[204:205], v[206:207]
	ds_read_b128 v[204:207], v1 offset:1504
	v_add_f64 v[2:3], v[2:3], v[4:5]
	v_mul_f64 v[4:5], v[190:191], v[136:137]
	v_fma_f64 v[4:5], v[188:189], v[138:139], -v[4:5]
	v_add_f64 v[2:3], v[2:3], v[4:5]
	v_mul_f64 v[4:5], v[194:195], v[132:133]
	s_waitcnt lgkmcnt(1)
	v_mul_f64 v[218:219], v[200:201], v[140:141]
	v_fma_f64 v[4:5], v[192:193], v[134:135], -v[4:5]
	v_fmac_f64_e32 v[218:219], v[202:203], v[142:143]
	v_add_f64 v[2:3], v[2:3], v[4:5]
	v_mul_f64 v[4:5], v[198:199], v[118:119]
	v_add_f64 v[220:221], v[216:217], v[218:219]
	ds_read_b128 v[216:219], v1 offset:1520
	s_waitcnt vmcnt(10) lgkmcnt(1)
	v_mul_f64 v[222:223], v[204:205], v[214:215]
	v_fma_f64 v[4:5], v[196:197], v[208:209], -v[4:5]
	s_waitcnt vmcnt(8)
	v_fmac_f64_e32 v[222:223], v[206:207], v[228:229]
	v_add_f64 v[2:3], v[2:3], v[4:5]
	v_mul_f64 v[4:5], v[202:203], v[140:141]
	v_add_f64 v[238:239], v[220:221], v[222:223]
	ds_read_b128 v[220:223], v1 offset:1536
	ds_read_b128 v[224:227], v1 offset:1552
	v_fma_f64 v[4:5], v[200:201], v[142:143], -v[4:5]
	v_add_f64 v[2:3], v[2:3], v[4:5]
	v_mul_f64 v[4:5], v[206:207], v[214:215]
	v_fma_f64 v[4:5], v[204:205], v[228:229], -v[4:5]
	v_add_f64 v[2:3], v[2:3], v[4:5]
	s_waitcnt lgkmcnt(2)
	v_mul_f64 v[4:5], v[218:219], v[210:211]
	v_mul_f64 v[240:241], v[216:217], v[210:211]
	v_fma_f64 v[4:5], v[216:217], v[212:213], -v[4:5]
	v_fmac_f64_e32 v[240:241], v[218:219], v[212:213]
	v_add_f64 v[2:3], v[2:3], v[4:5]
	s_waitcnt vmcnt(2) lgkmcnt(1)
	v_mul_f64 v[4:5], v[222:223], v[234:235]
	v_add_f64 v[238:239], v[238:239], v[240:241]
	v_mul_f64 v[240:241], v[220:221], v[234:235]
	s_waitcnt vmcnt(0)
	v_fma_f64 v[4:5], v[220:221], v[236:237], -v[4:5]
	v_fmac_f64_e32 v[240:241], v[222:223], v[236:237]
	v_add_f64 v[2:3], v[2:3], v[4:5]
	s_waitcnt lgkmcnt(0)
	v_mul_f64 v[4:5], v[226:227], v[230:231]
	v_add_f64 v[238:239], v[238:239], v[240:241]
	v_mul_f64 v[240:241], v[224:225], v[230:231]
	v_fma_f64 v[4:5], v[224:225], v[232:233], -v[4:5]
	v_fmac_f64_e32 v[240:241], v[226:227], v[232:233]
	v_add_f64 v[2:3], v[2:3], v[4:5]
	v_add_f64 v[238:239], v[238:239], v[240:241]
	v_add_f64 v[2:3], v[62:63], -v[2:3]
	v_add_f64 v[4:5], v[60:61], -v[238:239]
	buffer_store_dword v3, off, s[0:3], 0 offset:324
	buffer_store_dword v2, off, s[0:3], 0 offset:320
	;; [unrolled: 1-line block ×4, first 2 shown]
	s_and_saveexec_b64 s[4:5], vcc
	s_cbranch_execz .LBB112_271
; %bb.270:
	v_accvgpr_read_b32 v0, a128
	buffer_load_dword v2, v0, s[0:3], 0 offen
	buffer_load_dword v3, v0, s[0:3], 0 offen offset:4
	buffer_load_dword v4, v0, s[0:3], 0 offen offset:8
	;; [unrolled: 1-line block ×3, first 2 shown]
	v_accvgpr_read_b32 v0, a147
	buffer_store_dword v1, off, s[0:3], 0 offset:304
	buffer_store_dword v1, off, s[0:3], 0 offset:308
	;; [unrolled: 1-line block ×4, first 2 shown]
	s_waitcnt vmcnt(4)
	ds_write_b128 v0, v[2:5]
.LBB112_271:
	s_or_b64 exec, exec, s[4:5]
	s_waitcnt lgkmcnt(0)
	; wave barrier
	s_waitcnt lgkmcnt(0)
	buffer_load_dword v48, off, s[0:3], 0 offset:320
	buffer_load_dword v49, off, s[0:3], 0 offset:324
	buffer_load_dword v50, off, s[0:3], 0 offset:328
	buffer_load_dword v51, off, s[0:3], 0 offset:332
	buffer_load_dword v42, off, s[0:3], 0 offset:336
	buffer_load_dword v43, off, s[0:3], 0 offset:340
	buffer_load_dword v44, off, s[0:3], 0 offset:344
	buffer_load_dword v45, off, s[0:3], 0 offset:348
	buffer_load_dword v46, off, s[0:3], 0 offset:360
	buffer_load_dword v47, off, s[0:3], 0 offset:364
	buffer_load_dword v53, off, s[0:3], 0 offset:396
	buffer_load_dword v52, off, s[0:3], 0 offset:392
	buffer_load_dword v55, off, s[0:3], 0 offset:388
	buffer_load_dword v54, off, s[0:3], 0 offset:384
	buffer_load_dword v57, off, s[0:3], 0 offset:380
	buffer_load_dword v56, off, s[0:3], 0 offset:376
	buffer_load_dword v63, off, s[0:3], 0 offset:412
	buffer_load_dword v62, off, s[0:3], 0 offset:408
	buffer_load_dword v65, off, s[0:3], 0 offset:460
	buffer_load_dword v64, off, s[0:3], 0 offset:456
	buffer_load_dword v67, off, s[0:3], 0 offset:452
	buffer_load_dword v69, off, s[0:3], 0 offset:444
	buffer_load_dword v68, off, s[0:3], 0 offset:440
	buffer_load_dword v71, off, s[0:3], 0 offset:428
	buffer_load_dword v70, off, s[0:3], 0 offset:424
	buffer_load_dword v73, off, s[0:3], 0 offset:420
	buffer_load_dword v72, off, s[0:3], 0 offset:416
	buffer_load_dword v80, off, s[0:3], 0 offset:352
	buffer_load_dword v81, off, s[0:3], 0 offset:356
	buffer_load_dword v79, off, s[0:3], 0 offset:372
	buffer_load_dword v78, off, s[0:3], 0 offset:368
	buffer_load_dword v77, off, s[0:3], 0 offset:404
	buffer_load_dword v76, off, s[0:3], 0 offset:400
	buffer_load_dword v75, off, s[0:3], 0 offset:436
	buffer_load_dword v74, off, s[0:3], 0 offset:432
	buffer_load_dword v66, off, s[0:3], 0 offset:448
	buffer_load_dword v60, off, s[0:3], 0 offset:304
	buffer_load_dword v61, off, s[0:3], 0 offset:308
	buffer_load_dword v58, off, s[0:3], 0 offset:312
	buffer_load_dword v59, off, s[0:3], 0 offset:316
	ds_read_b128 v[38:41], v1 offset:1088
	ds_read_b128 v[34:37], v1 offset:1104
	;; [unrolled: 1-line block ×10, first 2 shown]
	buffer_load_dword v83, off, s[0:3], 0 offset:492
	buffer_load_dword v82, off, s[0:3], 0 offset:488
	;; [unrolled: 1-line block ×8, first 2 shown]
	v_cmp_lt_u32_e32 vcc, 17, v254
	s_waitcnt vmcnt(44) lgkmcnt(9)
	v_mul_f64 v[90:91], v[38:39], v[50:51]
	v_fmac_f64_e32 v[90:91], v[40:41], v[48:49]
	v_add_f64 v[90:91], v[90:91], 0
	v_mul_f64 v[40:41], v[40:41], v[50:51]
	s_waitcnt vmcnt(40) lgkmcnt(8)
	v_mul_f64 v[92:93], v[34:35], v[44:45]
	v_fmac_f64_e32 v[92:93], v[36:37], v[42:43]
	s_waitcnt vmcnt(38) lgkmcnt(7)
	v_mul_f64 v[94:95], v[30:31], v[46:47]
	v_add_f64 v[90:91], v[90:91], v[92:93]
	s_waitcnt vmcnt(36) lgkmcnt(5)
	v_mul_f64 v[98:99], v[22:23], v[52:53]
	v_mul_f64 v[36:37], v[36:37], v[44:45]
	s_waitcnt vmcnt(34)
	v_fmac_f64_e32 v[98:99], v[24:25], v[54:55]
	v_fma_f64 v[34:35], v[34:35], v[42:43], -v[36:37]
	s_waitcnt vmcnt(32)
	v_mul_f64 v[96:97], v[26:27], v[56:57]
	v_mul_f64 v[24:25], v[24:25], v[52:53]
	s_waitcnt vmcnt(30) lgkmcnt(4)
	v_mul_f64 v[100:101], v[18:19], v[62:63]
	v_fma_f64 v[22:23], v[22:23], v[54:55], -v[24:25]
	s_waitcnt vmcnt(28) lgkmcnt(1)
	v_mul_f64 v[124:125], v[2:3], v[64:65]
	s_waitcnt vmcnt(25)
	v_mul_f64 v[104:105], v[6:7], v[68:69]
	s_waitcnt vmcnt(23)
	;; [unrolled: 2-line block ×3, first 2 shown]
	v_fmac_f64_e32 v[102:103], v[12:13], v[72:73]
	v_mul_f64 v[12:13], v[12:13], v[70:71]
	s_waitcnt vmcnt(19)
	v_fmac_f64_e32 v[94:95], v[32:33], v[80:81]
	v_add_f64 v[90:91], v[90:91], v[94:95]
	s_waitcnt vmcnt(17)
	v_fmac_f64_e32 v[96:97], v[28:29], v[78:79]
	v_add_f64 v[90:91], v[90:91], v[96:97]
	;; [unrolled: 3-line block ×3, first 2 shown]
	v_add_f64 v[90:91], v[90:91], v[100:101]
	s_waitcnt vmcnt(13)
	v_fmac_f64_e32 v[104:105], v[8:9], v[74:75]
	v_add_f64 v[90:91], v[90:91], v[102:103]
	v_add_f64 v[126:127], v[90:91], v[104:105]
	buffer_load_dword v91, off, s[0:3], 0 offset:524
	buffer_load_dword v90, off, s[0:3], 0 offset:520
	;; [unrolled: 1-line block ×72, first 2 shown]
	s_waitcnt vmcnt(62)
	v_fmac_f64_e32 v[124:125], v[4:5], v[66:67]
	v_add_f64 v[152:153], v[126:127], v[124:125]
	ds_read_b128 v[124:127], v1 offset:1248
	s_waitcnt lgkmcnt(1)
	v_mul_f64 v[154:155], v[14:15], v[86:87]
	v_fmac_f64_e32 v[154:155], v[16:17], v[88:89]
	buffer_load_dword v235, off, s[0:3], 0 offset:796
	buffer_load_dword v234, off, s[0:3], 0 offset:792
	;; [unrolled: 1-line block ×4, first 2 shown]
	v_add_f64 v[156:157], v[152:153], v[154:155]
	s_waitcnt lgkmcnt(0)
	v_mul_f64 v[158:159], v[124:125], v[82:83]
	ds_read_b128 v[152:155], v1 offset:1264
	v_fmac_f64_e32 v[158:159], v[126:127], v[84:85]
	v_add_f64 v[160:161], v[156:157], v[158:159]
	ds_read_b128 v[156:159], v1 offset:1280
	v_mul_f64 v[32:33], v[32:33], v[46:47]
	s_waitcnt lgkmcnt(1)
	v_mul_f64 v[162:163], v[152:153], v[94:95]
	v_fma_f64 v[30:31], v[30:31], v[80:81], -v[32:33]
	v_fmac_f64_e32 v[162:163], v[154:155], v[96:97]
	s_waitcnt lgkmcnt(0)
	v_mul_f64 v[166:167], v[156:157], v[90:91]
	v_add_f64 v[164:165], v[160:161], v[162:163]
	ds_read_b128 v[160:163], v1 offset:1296
	v_fmac_f64_e32 v[166:167], v[158:159], v[92:93]
	v_add_f64 v[168:169], v[164:165], v[166:167]
	ds_read_b128 v[164:167], v1 offset:1312
	v_mul_f64 v[28:29], v[28:29], v[56:57]
	s_waitcnt vmcnt(62) lgkmcnt(1)
	v_mul_f64 v[170:171], v[160:161], v[102:103]
	s_waitcnt vmcnt(60)
	v_fmac_f64_e32 v[170:171], v[162:163], v[104:105]
	v_add_f64 v[172:173], v[168:169], v[170:171]
	s_waitcnt lgkmcnt(0)
	v_mul_f64 v[174:175], v[164:165], v[98:99]
	ds_read_b128 v[168:171], v1 offset:1328
	v_fmac_f64_e32 v[174:175], v[166:167], v[100:101]
	v_add_f64 v[176:177], v[172:173], v[174:175]
	ds_read_b128 v[172:175], v1 offset:1344
	v_fma_f64 v[26:27], v[26:27], v[78:79], -v[28:29]
	s_waitcnt vmcnt(54) lgkmcnt(1)
	v_mul_f64 v[178:179], v[168:169], v[110:111]
	s_waitcnt vmcnt(52)
	v_fmac_f64_e32 v[178:179], v[170:171], v[112:113]
	v_add_f64 v[180:181], v[176:177], v[178:179]
	s_waitcnt lgkmcnt(0)
	v_mul_f64 v[182:183], v[172:173], v[106:107]
	ds_read_b128 v[176:179], v1 offset:1360
	v_fmac_f64_e32 v[182:183], v[174:175], v[108:109]
	v_add_f64 v[184:185], v[180:181], v[182:183]
	ds_read_b128 v[180:183], v1 offset:1376
	v_mul_f64 v[20:21], v[20:21], v[62:63]
	s_waitcnt vmcnt(46) lgkmcnt(1)
	v_mul_f64 v[186:187], v[176:177], v[120:121]
	s_waitcnt vmcnt(44)
	v_fmac_f64_e32 v[186:187], v[178:179], v[122:123]
	v_add_f64 v[188:189], v[184:185], v[186:187]
	s_waitcnt lgkmcnt(0)
	v_mul_f64 v[190:191], v[180:181], v[114:115]
	ds_read_b128 v[184:187], v1 offset:1392
	v_fmac_f64_e32 v[190:191], v[182:183], v[116:117]
	v_add_f64 v[192:193], v[188:189], v[190:191]
	ds_read_b128 v[188:191], v1 offset:1408
	v_fma_f64 v[18:19], v[18:19], v[76:77], -v[20:21]
	s_waitcnt vmcnt(38) lgkmcnt(1)
	v_mul_f64 v[194:195], v[184:185], v[132:133]
	s_waitcnt vmcnt(36)
	v_fmac_f64_e32 v[194:195], v[186:187], v[134:135]
	v_add_f64 v[196:197], v[192:193], v[194:195]
	s_waitcnt lgkmcnt(0)
	v_mul_f64 v[198:199], v[188:189], v[128:129]
	ds_read_b128 v[192:195], v1 offset:1424
	v_fmac_f64_e32 v[198:199], v[190:191], v[130:131]
	v_add_f64 v[200:201], v[196:197], v[198:199]
	ds_read_b128 v[196:199], v1 offset:1440
	v_fma_f64 v[10:11], v[10:11], v[72:73], -v[12:13]
	s_waitcnt vmcnt(30) lgkmcnt(1)
	v_mul_f64 v[202:203], v[192:193], v[140:141]
	s_waitcnt vmcnt(28)
	v_fmac_f64_e32 v[202:203], v[194:195], v[142:143]
	v_add_f64 v[204:205], v[200:201], v[202:203]
	s_waitcnt lgkmcnt(0)
	v_mul_f64 v[206:207], v[196:197], v[136:137]
	ds_read_b128 v[200:203], v1 offset:1456
	v_fmac_f64_e32 v[206:207], v[198:199], v[138:139]
	v_add_f64 v[216:217], v[204:205], v[206:207]
	ds_read_b128 v[204:207], v1 offset:1472
	v_mul_f64 v[8:9], v[8:9], v[68:69]
	s_waitcnt vmcnt(22) lgkmcnt(1)
	v_mul_f64 v[218:219], v[200:201], v[148:149]
	s_waitcnt vmcnt(20)
	v_fmac_f64_e32 v[218:219], v[202:203], v[150:151]
	v_add_f64 v[220:221], v[216:217], v[218:219]
	s_waitcnt lgkmcnt(0)
	v_mul_f64 v[222:223], v[204:205], v[144:145]
	ds_read_b128 v[216:219], v1 offset:1488
	v_fmac_f64_e32 v[222:223], v[206:207], v[146:147]
	v_add_f64 v[224:225], v[220:221], v[222:223]
	ds_read_b128 v[220:223], v1 offset:1504
	v_fma_f64 v[6:7], v[6:7], v[74:75], -v[8:9]
	s_waitcnt vmcnt(14) lgkmcnt(1)
	v_mul_f64 v[226:227], v[216:217], v[210:211]
	s_waitcnt vmcnt(12)
	v_fmac_f64_e32 v[226:227], v[218:219], v[212:213]
	v_add_f64 v[238:239], v[224:225], v[226:227]
	s_waitcnt lgkmcnt(0)
	v_mul_f64 v[240:241], v[220:221], v[118:119]
	v_fmac_f64_e32 v[240:241], v[222:223], v[208:209]
	v_add_f64 v[238:239], v[238:239], v[240:241]
	v_fma_f64 v[240:241], v[38:39], v[48:49], -v[40:41]
	v_add_f64 v[240:241], v[240:241], 0
	v_add_f64 v[34:35], v[240:241], v[34:35]
	v_add_f64 v[30:31], v[34:35], v[30:31]
	v_add_f64 v[26:27], v[30:31], v[26:27]
	v_add_f64 v[22:23], v[26:27], v[22:23]
	v_add_f64 v[18:19], v[22:23], v[18:19]
	v_add_f64 v[10:11], v[18:19], v[10:11]
	v_mul_f64 v[4:5], v[4:5], v[64:65]
	v_add_f64 v[6:7], v[10:11], v[6:7]
	v_fma_f64 v[2:3], v[2:3], v[66:67], -v[4:5]
	v_mul_f64 v[4:5], v[16:17], v[86:87]
	v_add_f64 v[2:3], v[6:7], v[2:3]
	v_fma_f64 v[4:5], v[14:15], v[88:89], -v[4:5]
	v_add_f64 v[2:3], v[2:3], v[4:5]
	v_mul_f64 v[4:5], v[126:127], v[82:83]
	v_fma_f64 v[4:5], v[124:125], v[84:85], -v[4:5]
	v_add_f64 v[2:3], v[2:3], v[4:5]
	v_mul_f64 v[4:5], v[154:155], v[94:95]
	;; [unrolled: 3-line block ×15, first 2 shown]
	ds_read_b128 v[224:227], v1 offset:1520
	ds_read_b128 v[38:41], v1 offset:1536
	v_fma_f64 v[4:5], v[204:205], v[146:147], -v[4:5]
	v_add_f64 v[2:3], v[2:3], v[4:5]
	v_mul_f64 v[4:5], v[218:219], v[210:211]
	v_fma_f64 v[4:5], v[216:217], v[212:213], -v[4:5]
	v_add_f64 v[2:3], v[2:3], v[4:5]
	v_mul_f64 v[4:5], v[222:223], v[118:119]
	ds_read_b128 v[48:51], v1 offset:1552
	v_fma_f64 v[4:5], v[220:221], v[208:209], -v[4:5]
	v_add_f64 v[2:3], v[2:3], v[4:5]
	s_waitcnt vmcnt(6) lgkmcnt(2)
	v_mul_f64 v[4:5], v[226:227], v[230:231]
	v_mul_f64 v[242:243], v[224:225], v[230:231]
	s_waitcnt vmcnt(4)
	v_fma_f64 v[4:5], v[224:225], v[232:233], -v[4:5]
	v_fmac_f64_e32 v[242:243], v[226:227], v[232:233]
	v_add_f64 v[2:3], v[2:3], v[4:5]
	s_waitcnt lgkmcnt(1)
	v_mul_f64 v[4:5], v[40:41], v[214:215]
	v_add_f64 v[238:239], v[238:239], v[242:243]
	v_mul_f64 v[242:243], v[38:39], v[214:215]
	v_fma_f64 v[4:5], v[38:39], v[228:229], -v[4:5]
	v_fmac_f64_e32 v[242:243], v[40:41], v[228:229]
	v_add_f64 v[2:3], v[2:3], v[4:5]
	s_waitcnt vmcnt(2) lgkmcnt(0)
	v_mul_f64 v[4:5], v[50:51], v[234:235]
	v_add_f64 v[238:239], v[238:239], v[242:243]
	v_mul_f64 v[242:243], v[48:49], v[234:235]
	s_waitcnt vmcnt(0)
	v_fma_f64 v[4:5], v[48:49], v[236:237], -v[4:5]
	v_fmac_f64_e32 v[242:243], v[50:51], v[236:237]
	v_add_f64 v[2:3], v[2:3], v[4:5]
	v_add_f64 v[238:239], v[238:239], v[242:243]
	v_add_f64 v[2:3], v[60:61], -v[2:3]
	v_add_f64 v[4:5], v[58:59], -v[238:239]
	buffer_store_dword v3, off, s[0:3], 0 offset:308
	buffer_store_dword v2, off, s[0:3], 0 offset:304
	;; [unrolled: 1-line block ×4, first 2 shown]
	s_and_saveexec_b64 s[4:5], vcc
	s_cbranch_execz .LBB112_273
; %bb.272:
	v_accvgpr_read_b32 v0, a129
	buffer_load_dword v2, v0, s[0:3], 0 offen
	buffer_load_dword v3, v0, s[0:3], 0 offen offset:4
	buffer_load_dword v4, v0, s[0:3], 0 offen offset:8
	;; [unrolled: 1-line block ×3, first 2 shown]
	v_mov_b32_e32 v0, 0
	v_accvgpr_read_b32 v1, a147
	buffer_store_dword v0, off, s[0:3], 0 offset:288
	buffer_store_dword v0, off, s[0:3], 0 offset:292
	;; [unrolled: 1-line block ×4, first 2 shown]
	s_waitcnt vmcnt(4)
	ds_write_b128 v1, v[2:5]
.LBB112_273:
	s_or_b64 exec, exec, s[4:5]
	s_waitcnt lgkmcnt(0)
	; wave barrier
	s_waitcnt lgkmcnt(0)
	buffer_load_dword v106, off, s[0:3], 0 offset:304
	buffer_load_dword v107, off, s[0:3], 0 offset:308
	;; [unrolled: 1-line block ×49, first 2 shown]
	v_mov_b32_e32 v1, 0
	ds_read_b128 v[110:113], v1 offset:1072
	ds_read_b128 v[250:253], v1 offset:1088
	;; [unrolled: 1-line block ×10, first 2 shown]
	buffer_load_dword v160, off, s[0:3], 0 offset:496
	buffer_load_dword v175, off, s[0:3], 0 offset:492
	;; [unrolled: 1-line block ×69, first 2 shown]
	v_accvgpr_write_b32 a146, v254
	v_cmp_lt_u32_e32 vcc, 16, v254
	s_waitcnt vmcnt(62) lgkmcnt(9)
	v_mul_f64 v[34:35], v[110:111], v[108:109]
	v_fmac_f64_e32 v[34:35], v[112:113], v[106:107]
	v_add_f64 v[34:35], v[34:35], 0
	v_mul_f64 v[108:109], v[112:113], v[108:109]
	s_waitcnt lgkmcnt(8)
	v_mul_f64 v[36:37], v[250:251], v[116:117]
	v_fmac_f64_e32 v[36:37], v[252:253], v[114:115]
	s_waitcnt lgkmcnt(7)
	v_mul_f64 v[38:39], v[30:31], v[120:121]
	v_add_f64 v[34:35], v[34:35], v[36:37]
	s_waitcnt lgkmcnt(5)
	v_mul_f64 v[42:43], v[22:23], v[122:123]
	v_mul_f64 v[116:117], v[252:253], v[116:117]
	v_fmac_f64_e32 v[42:43], v[24:25], v[124:125]
	v_fma_f64 v[248:249], v[110:111], v[106:107], -v[108:109]
	v_mul_f64 v[40:41], v[26:27], v[126:127]
	v_fma_f64 v[250:251], v[250:251], v[114:115], -v[116:117]
	s_waitcnt lgkmcnt(3)
	v_mul_f64 v[46:47], v[14:15], v[128:129]
	v_mul_f64 v[24:25], v[24:25], v[122:123]
	v_fmac_f64_e32 v[46:47], v[16:17], v[130:131]
	v_fma_f64 v[22:23], v[22:23], v[124:125], -v[24:25]
	v_mul_f64 v[44:45], v[18:19], v[132:133]
	v_mul_f64 v[16:17], v[16:17], v[128:129]
	s_waitcnt lgkmcnt(1)
	v_mul_f64 v[50:51], v[6:7], v[134:135]
	v_fma_f64 v[14:15], v[14:15], v[130:131], -v[16:17]
	v_fmac_f64_e32 v[50:51], v[8:9], v[136:137]
	v_mul_f64 v[8:9], v[8:9], v[134:135]
	v_mul_f64 v[48:49], v[10:11], v[142:143]
	v_fma_f64 v[6:7], v[6:7], v[136:137], -v[8:9]
	s_waitcnt lgkmcnt(0)
	v_mul_f64 v[52:53], v[2:3], v[138:139]
	v_fmac_f64_e32 v[38:39], v[32:33], v[154:155]
	v_add_f64 v[34:35], v[34:35], v[38:39]
	v_fmac_f64_e32 v[40:41], v[28:29], v[152:153]
	v_add_f64 v[34:35], v[34:35], v[40:41]
	v_fmac_f64_e32 v[44:45], v[20:21], v[150:151]
	v_add_f64 v[34:35], v[34:35], v[42:43]
	v_add_f64 v[34:35], v[34:35], v[44:45]
	v_fmac_f64_e32 v[48:49], v[12:13], v[148:149]
	v_add_f64 v[34:35], v[34:35], v[46:47]
	v_add_f64 v[34:35], v[34:35], v[48:49]
	v_fmac_f64_e32 v[52:53], v[4:5], v[146:147]
	v_add_f64 v[34:35], v[34:35], v[50:51]
	v_add_f64 v[42:43], v[34:35], v[52:53]
	ds_read_b128 v[38:41], v1 offset:1232
	ds_read_b128 v[34:37], v1 offset:1248
	buffer_load_dword v231, off, s[0:3], 0 offset:796
	buffer_load_dword v230, off, s[0:3], 0 offset:792
	;; [unrolled: 1-line block ×8, first 2 shown]
	ds_read_b128 v[110:113], v1 offset:1520
	ds_read_b128 v[106:109], v1 offset:1536
	s_waitcnt lgkmcnt(3)
	v_mul_f64 v[44:45], v[38:39], v[144:145]
	v_fmac_f64_e32 v[44:45], v[40:41], v[156:157]
	v_add_f64 v[46:47], v[42:43], v[44:45]
	ds_read_b128 v[42:45], v1 offset:1264
	s_waitcnt lgkmcnt(3)
	v_mul_f64 v[48:49], v[34:35], v[174:175]
	v_fmac_f64_e32 v[48:49], v[36:37], v[178:179]
	v_add_f64 v[50:51], v[46:47], v[48:49]
	ds_read_b128 v[46:49], v1 offset:1280
	s_waitcnt lgkmcnt(1)
	v_mul_f64 v[52:53], v[42:43], v[158:159]
	v_fmac_f64_e32 v[52:53], v[44:45], v[160:161]
	v_add_f64 v[54:55], v[50:51], v[52:53]
	ds_read_b128 v[50:53], v1 offset:1296
	s_waitcnt vmcnt(62) lgkmcnt(1)
	v_mul_f64 v[56:57], v[46:47], v[182:183]
	v_fmac_f64_e32 v[56:57], v[48:49], v[186:187]
	v_add_f64 v[58:59], v[54:55], v[56:57]
	ds_read_b128 v[54:57], v1 offset:1312
	s_waitcnt lgkmcnt(1)
	v_mul_f64 v[60:61], v[50:51], v[162:163]
	v_fmac_f64_e32 v[60:61], v[52:53], v[164:165]
	v_add_f64 v[62:63], v[58:59], v[60:61]
	ds_read_b128 v[58:61], v1 offset:1328
	s_waitcnt vmcnt(58) lgkmcnt(1)
	v_mul_f64 v[64:65], v[54:55], v[190:191]
	s_waitcnt vmcnt(56)
	v_fmac_f64_e32 v[64:65], v[56:57], v[194:195]
	v_add_f64 v[66:67], v[62:63], v[64:65]
	ds_read_b128 v[62:65], v1 offset:1344
	s_waitcnt lgkmcnt(1)
	v_mul_f64 v[68:69], v[58:59], v[166:167]
	v_fmac_f64_e32 v[68:69], v[60:61], v[168:169]
	v_add_f64 v[70:71], v[66:67], v[68:69]
	ds_read_b128 v[66:69], v1 offset:1360
	s_waitcnt vmcnt(50) lgkmcnt(1)
	v_mul_f64 v[72:73], v[62:63], v[198:199]
	s_waitcnt vmcnt(48)
	;; [unrolled: 11-line block ×5, first 2 shown]
	v_fmac_f64_e32 v[96:97], v[88:89], v[228:229]
	v_add_f64 v[98:99], v[94:95], v[96:97]
	ds_read_b128 v[94:97], v1 offset:1472
	s_waitcnt lgkmcnt(1)
	v_mul_f64 v[100:101], v[90:91], v[192:193]
	v_fmac_f64_e32 v[100:101], v[92:93], v[196:197]
	v_add_f64 v[118:119], v[98:99], v[100:101]
	ds_read_b128 v[98:101], v1 offset:1488
	ds_read_b128 v[102:105], v1 offset:1504
	;; [unrolled: 1-line block ×3, first 2 shown]
	buffer_load_dword v252, off, s[0:3], 0 offset:296
	buffer_load_dword v253, off, s[0:3], 0 offset:300
	s_waitcnt vmcnt(20) lgkmcnt(3)
	v_mul_f64 v[208:209], v[94:95], v[232:233]
	s_waitcnt vmcnt(18)
	v_fmac_f64_e32 v[208:209], v[96:97], v[236:237]
	v_add_f64 v[118:119], v[118:119], v[208:209]
	s_waitcnt lgkmcnt(2)
	v_mul_f64 v[208:209], v[98:99], v[200:201]
	v_fmac_f64_e32 v[208:209], v[100:101], v[204:205]
	v_add_f64 v[118:119], v[118:119], v[208:209]
	s_waitcnt vmcnt(12) lgkmcnt(1)
	v_mul_f64 v[208:209], v[102:103], v[238:239]
	s_waitcnt vmcnt(10)
	v_fmac_f64_e32 v[208:209], v[104:105], v[240:241]
	v_add_f64 v[118:119], v[118:119], v[208:209]
	v_mul_f64 v[208:209], v[110:111], v[216:217]
	v_fmac_f64_e32 v[208:209], v[112:113], v[220:221]
	v_add_f64 v[118:119], v[118:119], v[208:209]
	s_waitcnt vmcnt(4)
	v_mul_f64 v[208:209], v[106:107], v[242:243]
	v_mul_f64 v[32:33], v[32:33], v[120:121]
	s_waitcnt vmcnt(2)
	v_fmac_f64_e32 v[208:209], v[108:109], v[244:245]
	v_add_f64 v[118:119], v[118:119], v[208:209]
	s_waitcnt lgkmcnt(0)
	v_mul_f64 v[208:209], v[114:115], v[230:231]
	v_fmac_f64_e32 v[208:209], v[116:117], v[234:235]
	v_add_f64 v[246:247], v[118:119], v[208:209]
	v_add_f64 v[118:119], v[248:249], 0
	;; [unrolled: 1-line block ×3, first 2 shown]
	v_fma_f64 v[30:31], v[30:31], v[154:155], -v[32:33]
	v_mul_f64 v[28:29], v[28:29], v[126:127]
	v_add_f64 v[30:31], v[118:119], v[30:31]
	v_fma_f64 v[26:27], v[26:27], v[152:153], -v[28:29]
	v_add_f64 v[26:27], v[30:31], v[26:27]
	v_mul_f64 v[20:21], v[20:21], v[132:133]
	v_add_f64 v[22:23], v[26:27], v[22:23]
	v_fma_f64 v[18:19], v[18:19], v[150:151], -v[20:21]
	v_add_f64 v[18:19], v[22:23], v[18:19]
	;; [unrolled: 4-line block ×3, first 2 shown]
	v_mul_f64 v[4:5], v[4:5], v[138:139]
	v_add_f64 v[6:7], v[10:11], v[6:7]
	v_fma_f64 v[2:3], v[2:3], v[146:147], -v[4:5]
	v_mul_f64 v[4:5], v[40:41], v[144:145]
	v_add_f64 v[2:3], v[6:7], v[2:3]
	v_fma_f64 v[4:5], v[38:39], v[156:157], -v[4:5]
	v_add_f64 v[2:3], v[2:3], v[4:5]
	v_mul_f64 v[4:5], v[36:37], v[174:175]
	v_fma_f64 v[4:5], v[34:35], v[178:179], -v[4:5]
	v_add_f64 v[2:3], v[2:3], v[4:5]
	v_mul_f64 v[4:5], v[44:45], v[158:159]
	;; [unrolled: 3-line block ×20, first 2 shown]
	v_fma_f64 v[4:5], v[114:115], v[234:235], -v[4:5]
	v_add_f64 v[2:3], v[2:3], v[4:5]
	v_add_f64 v[2:3], v[140:141], -v[2:3]
	s_waitcnt vmcnt(0)
	v_add_f64 v[4:5], v[252:253], -v[246:247]
	buffer_store_dword v3, off, s[0:3], 0 offset:292
	buffer_store_dword v2, off, s[0:3], 0 offset:288
	;; [unrolled: 1-line block ×4, first 2 shown]
	s_and_saveexec_b64 s[4:5], vcc
	s_cbranch_execz .LBB112_275
; %bb.274:
	v_accvgpr_read_b32 v0, a130
	buffer_load_dword v2, v0, s[0:3], 0 offen
	buffer_load_dword v3, v0, s[0:3], 0 offen offset:4
	buffer_load_dword v4, v0, s[0:3], 0 offen offset:8
	;; [unrolled: 1-line block ×3, first 2 shown]
	v_accvgpr_read_b32 v0, a147
	buffer_store_dword v1, off, s[0:3], 0 offset:272
	buffer_store_dword v1, off, s[0:3], 0 offset:276
	;; [unrolled: 1-line block ×4, first 2 shown]
	s_waitcnt vmcnt(4)
	ds_write_b128 v0, v[2:5]
.LBB112_275:
	s_or_b64 exec, exec, s[4:5]
	s_waitcnt lgkmcnt(0)
	; wave barrier
	s_waitcnt lgkmcnt(0)
	buffer_load_dword v112, off, s[0:3], 0 offset:288
	buffer_load_dword v113, off, s[0:3], 0 offset:292
	;; [unrolled: 1-line block ×36, first 2 shown]
	ds_read_b128 v[102:105], v1 offset:1056
	ds_read_b128 v[106:109], v1 offset:1072
	;; [unrolled: 1-line block ×9, first 2 shown]
	buffer_load_dword v145, off, s[0:3], 0 offset:460
	buffer_load_dword v144, off, s[0:3], 0 offset:456
	;; [unrolled: 1-line block ×78, first 2 shown]
	v_accvgpr_read_b32 v214, a146
	v_cmp_lt_u32_e32 vcc, 15, v214
	s_waitcnt vmcnt(62) lgkmcnt(8)
	v_mul_f64 v[26:27], v[102:103], v[246:247]
	v_fmac_f64_e32 v[26:27], v[104:105], v[112:113]
	v_add_f64 v[26:27], v[26:27], 0
	v_mul_f64 v[104:105], v[104:105], v[246:247]
	s_waitcnt lgkmcnt(7)
	v_mul_f64 v[28:29], v[106:107], v[248:249]
	v_fmac_f64_e32 v[28:29], v[108:109], v[110:111]
	s_waitcnt lgkmcnt(6)
	v_mul_f64 v[30:31], v[114:115], v[244:245]
	v_add_f64 v[26:27], v[26:27], v[28:29]
	s_waitcnt lgkmcnt(4)
	v_mul_f64 v[34:35], v[18:19], v[120:121]
	v_fma_f64 v[246:247], v[102:103], v[112:113], -v[104:105]
	v_fmac_f64_e32 v[34:35], v[20:21], v[122:123]
	v_mul_f64 v[108:109], v[108:109], v[248:249]
	v_mul_f64 v[32:33], v[22:23], v[124:125]
	v_fma_f64 v[248:249], v[106:107], v[110:111], -v[108:109]
	s_waitcnt lgkmcnt(2)
	v_mul_f64 v[38:39], v[10:11], v[126:127]
	v_mul_f64 v[20:21], v[20:21], v[120:121]
	v_fmac_f64_e32 v[38:39], v[12:13], v[128:129]
	v_fma_f64 v[18:19], v[18:19], v[122:123], -v[20:21]
	v_mul_f64 v[36:37], v[14:15], v[132:133]
	v_mul_f64 v[12:13], v[12:13], v[126:127]
	s_waitcnt lgkmcnt(1)
	v_mul_f64 v[40:41], v[6:7], v[130:131]
	v_fma_f64 v[10:11], v[10:11], v[128:129], -v[12:13]
	v_fmac_f64_e32 v[30:31], v[116:117], v[250:251]
	v_add_f64 v[26:27], v[26:27], v[30:31]
	v_fmac_f64_e32 v[32:33], v[24:25], v[140:141]
	v_add_f64 v[26:27], v[26:27], v[32:33]
	;; [unrolled: 2-line block ×3, first 2 shown]
	v_add_f64 v[26:27], v[26:27], v[36:37]
	v_fmac_f64_e32 v[40:41], v[8:9], v[136:137]
	v_add_f64 v[30:31], v[26:27], v[38:39]
	v_add_f64 v[30:31], v[30:31], v[40:41]
	s_waitcnt lgkmcnt(0)
	v_mul_f64 v[32:33], v[2:3], v[134:135]
	v_fmac_f64_e32 v[32:33], v[4:5], v[142:143]
	ds_read_b128 v[26:29], v1 offset:1200
	v_add_f64 v[34:35], v[30:31], v[32:33]
	ds_read_b128 v[30:33], v1 offset:1216
	buffer_load_dword v231, off, s[0:3], 0 offset:724
	buffer_load_dword v230, off, s[0:3], 0 offset:720
	v_mul_f64 v[116:117], v[116:117], v[244:245]
	s_waitcnt lgkmcnt(1)
	v_mul_f64 v[36:37], v[26:27], v[148:149]
	v_fmac_f64_e32 v[36:37], v[28:29], v[150:151]
	v_add_f64 v[38:39], v[34:35], v[36:37]
	ds_read_b128 v[34:37], v1 offset:1232
	s_waitcnt lgkmcnt(1)
	v_mul_f64 v[40:41], v[30:31], v[144:145]
	v_fmac_f64_e32 v[40:41], v[32:33], v[146:147]
	v_add_f64 v[42:43], v[38:39], v[40:41]
	ds_read_b128 v[38:41], v1 offset:1248
	;; [unrolled: 5-line block ×4, first 2 shown]
	buffer_load_dword v233, off, s[0:3], 0 offset:780
	buffer_load_dword v235, off, s[0:3], 0 offset:764
	;; [unrolled: 1-line block ×12, first 2 shown]
	s_waitcnt vmcnt(62) lgkmcnt(1)
	v_mul_f64 v[52:53], v[42:43], v[176:177]
	v_fmac_f64_e32 v[52:53], v[44:45], v[180:181]
	v_add_f64 v[54:55], v[50:51], v[52:53]
	ds_read_b128 v[50:53], v1 offset:1296
	s_waitcnt lgkmcnt(1)
	v_mul_f64 v[56:57], v[46:47], v[156:157]
	v_fmac_f64_e32 v[56:57], v[48:49], v[158:159]
	v_add_f64 v[58:59], v[54:55], v[56:57]
	ds_read_b128 v[54:57], v1 offset:1312
	s_waitcnt lgkmcnt(1)
	v_mul_f64 v[60:61], v[50:51], v[184:185]
	s_waitcnt vmcnt(60)
	v_fmac_f64_e32 v[60:61], v[52:53], v[188:189]
	v_add_f64 v[62:63], v[58:59], v[60:61]
	ds_read_b128 v[58:61], v1 offset:1328
	s_waitcnt lgkmcnt(1)
	v_mul_f64 v[64:65], v[54:55], v[164:165]
	v_fmac_f64_e32 v[64:65], v[56:57], v[166:167]
	v_add_f64 v[66:67], v[62:63], v[64:65]
	ds_read_b128 v[62:65], v1 offset:1344
	s_waitcnt vmcnt(54) lgkmcnt(1)
	v_mul_f64 v[68:69], v[58:59], v[192:193]
	s_waitcnt vmcnt(52)
	v_fmac_f64_e32 v[68:69], v[60:61], v[196:197]
	v_add_f64 v[70:71], v[66:67], v[68:69]
	ds_read_b128 v[66:69], v1 offset:1360
	s_waitcnt lgkmcnt(1)
	v_mul_f64 v[72:73], v[62:63], v[168:169]
	v_fmac_f64_e32 v[72:73], v[64:65], v[170:171]
	v_add_f64 v[74:75], v[70:71], v[72:73]
	ds_read_b128 v[70:73], v1 offset:1376
	s_waitcnt vmcnt(46) lgkmcnt(1)
	;; [unrolled: 11-line block ×4, first 2 shown]
	v_mul_f64 v[92:93], v[82:83], v[220:221]
	s_waitcnt vmcnt(28)
	v_fmac_f64_e32 v[92:93], v[84:85], v[222:223]
	v_add_f64 v[98:99], v[90:91], v[92:93]
	ds_read_b128 v[90:93], v1 offset:1456
	ds_read_b128 v[94:97], v1 offset:1472
	s_waitcnt lgkmcnt(2)
	v_mul_f64 v[100:101], v[86:87], v[186:187]
	v_fmac_f64_e32 v[100:101], v[88:89], v[190:191]
	v_add_f64 v[98:99], v[98:99], v[100:101]
	s_waitcnt vmcnt(22) lgkmcnt(1)
	v_mul_f64 v[100:101], v[90:91], v[224:225]
	s_waitcnt vmcnt(20)
	v_fmac_f64_e32 v[100:101], v[92:93], v[226:227]
	v_add_f64 v[98:99], v[98:99], v[100:101]
	s_waitcnt lgkmcnt(0)
	v_mul_f64 v[100:101], v[94:95], v[194:195]
	v_fmac_f64_e32 v[100:101], v[96:97], v[198:199]
	v_add_f64 v[118:119], v[98:99], v[100:101]
	ds_read_b128 v[98:101], v1 offset:1488
	ds_read_b128 v[102:105], v1 offset:1504
	;; [unrolled: 1-line block ×3, first 2 shown]
	v_fma_f64 v[250:251], v[114:115], v[250:251], -v[116:117]
	ds_read_b128 v[114:117], v1 offset:1552
	s_waitcnt vmcnt(14) lgkmcnt(3)
	v_mul_f64 v[112:113], v[98:99], v[228:229]
	s_waitcnt lgkmcnt(2)
	v_mul_f64 v[110:111], v[102:103], v[202:203]
	s_waitcnt vmcnt(12)
	v_fmac_f64_e32 v[112:113], v[100:101], v[230:231]
	v_add_f64 v[112:113], v[118:119], v[112:113]
	v_fmac_f64_e32 v[110:111], v[104:105], v[206:207]
	v_add_f64 v[118:119], v[112:113], v[110:111]
	ds_read_b128 v[110:113], v1 offset:1536
	buffer_load_dword v254, off, s[0:3], 0 offset:272
	buffer_load_dword v255, off, s[0:3], 0 offset:276
	;; [unrolled: 1-line block ×4, first 2 shown]
	v_mul_f64 v[24:25], v[24:25], v[124:125]
	v_fma_f64 v[22:23], v[22:23], v[140:141], -v[24:25]
	v_mul_f64 v[16:17], v[16:17], v[132:133]
	s_waitcnt vmcnt(13) lgkmcnt(2)
	v_mul_f64 v[208:209], v[106:107], v[234:235]
	v_fma_f64 v[14:15], v[14:15], v[138:139], -v[16:17]
	s_waitcnt vmcnt(11)
	v_fmac_f64_e32 v[208:209], v[108:109], v[240:241]
	v_add_f64 v[118:119], v[118:119], v[208:209]
	s_waitcnt vmcnt(10) lgkmcnt(0)
	v_mul_f64 v[208:209], v[110:111], v[232:233]
	s_waitcnt vmcnt(8)
	v_fmac_f64_e32 v[208:209], v[112:113], v[238:239]
	v_add_f64 v[118:119], v[118:119], v[208:209]
	s_waitcnt vmcnt(6)
	v_mul_f64 v[208:209], v[114:115], v[236:237]
	v_mul_f64 v[8:9], v[8:9], v[130:131]
	s_waitcnt vmcnt(4)
	v_fmac_f64_e32 v[208:209], v[116:117], v[242:243]
	v_add_f64 v[244:245], v[118:119], v[208:209]
	v_add_f64 v[118:119], v[246:247], 0
	;; [unrolled: 1-line block ×8, first 2 shown]
	v_fma_f64 v[6:7], v[6:7], v[136:137], -v[8:9]
	v_mul_f64 v[4:5], v[4:5], v[134:135]
	v_add_f64 v[6:7], v[10:11], v[6:7]
	v_fma_f64 v[2:3], v[2:3], v[142:143], -v[4:5]
	v_mul_f64 v[4:5], v[28:29], v[148:149]
	v_add_f64 v[2:3], v[6:7], v[2:3]
	v_fma_f64 v[4:5], v[26:27], v[150:151], -v[4:5]
	v_add_f64 v[2:3], v[2:3], v[4:5]
	v_mul_f64 v[4:5], v[32:33], v[144:145]
	v_fma_f64 v[4:5], v[30:31], v[146:147], -v[4:5]
	v_add_f64 v[2:3], v[2:3], v[4:5]
	v_mul_f64 v[4:5], v[36:37], v[160:161]
	;; [unrolled: 3-line block ×22, first 2 shown]
	v_fma_f64 v[4:5], v[114:115], v[242:243], -v[4:5]
	v_add_f64 v[2:3], v[2:3], v[4:5]
	s_waitcnt vmcnt(2)
	v_add_f64 v[2:3], v[254:255], -v[2:3]
	s_waitcnt vmcnt(0)
	v_add_f64 v[4:5], v[252:253], -v[244:245]
	buffer_store_dword v3, off, s[0:3], 0 offset:276
	buffer_store_dword v2, off, s[0:3], 0 offset:272
	;; [unrolled: 1-line block ×4, first 2 shown]
	s_and_saveexec_b64 s[4:5], vcc
	s_cbranch_execz .LBB112_277
; %bb.276:
	v_accvgpr_read_b32 v0, a131
	buffer_load_dword v2, v0, s[0:3], 0 offen
	buffer_load_dword v3, v0, s[0:3], 0 offen offset:4
	buffer_load_dword v4, v0, s[0:3], 0 offen offset:8
	;; [unrolled: 1-line block ×3, first 2 shown]
	v_mov_b32_e32 v0, 0
	v_accvgpr_read_b32 v1, a147
	buffer_store_dword v0, off, s[0:3], 0 offset:256
	buffer_store_dword v0, off, s[0:3], 0 offset:260
	;; [unrolled: 1-line block ×4, first 2 shown]
	s_waitcnt vmcnt(4)
	ds_write_b128 v1, v[2:5]
.LBB112_277:
	s_or_b64 exec, exec, s[4:5]
	s_waitcnt lgkmcnt(0)
	; wave barrier
	s_waitcnt lgkmcnt(0)
	buffer_load_dword v94, off, s[0:3], 0 offset:272
	buffer_load_dword v95, off, s[0:3], 0 offset:276
	;; [unrolled: 1-line block ×52, first 2 shown]
	v_mov_b32_e32 v1, 0
	ds_read_b128 v[102:105], v1 offset:1040
	ds_read_b128 v[114:117], v1 offset:1056
	;; [unrolled: 1-line block ×10, first 2 shown]
	v_cmp_lt_u32_e32 vcc, 14, v214
	s_waitcnt vmcnt(48) lgkmcnt(9)
	v_mul_f64 v[26:27], v[102:103], v[96:97]
	v_fmac_f64_e32 v[26:27], v[104:105], v[94:95]
	v_add_f64 v[26:27], v[26:27], 0
	v_mul_f64 v[96:97], v[104:105], v[96:97]
	s_waitcnt vmcnt(44) lgkmcnt(8)
	v_mul_f64 v[28:29], v[114:115], v[100:101]
	v_fmac_f64_e32 v[28:29], v[116:117], v[98:99]
	s_waitcnt vmcnt(42) lgkmcnt(7)
	v_mul_f64 v[30:31], v[244:245], v[106:107]
	v_add_f64 v[26:27], v[26:27], v[28:29]
	s_waitcnt vmcnt(40) lgkmcnt(5)
	v_mul_f64 v[34:35], v[22:23], v[122:123]
	v_fma_f64 v[208:209], v[102:103], v[94:95], -v[96:97]
	s_waitcnt vmcnt(38)
	v_fmac_f64_e32 v[34:35], v[24:25], v[126:127]
	v_mul_f64 v[100:101], v[116:117], v[100:101]
	s_waitcnt vmcnt(36)
	v_mul_f64 v[32:33], v[250:251], v[110:111]
	v_fma_f64 v[210:211], v[114:115], v[98:99], -v[100:101]
	s_waitcnt vmcnt(34) lgkmcnt(3)
	v_mul_f64 v[38:39], v[14:15], v[120:121]
	v_mul_f64 v[106:107], v[246:247], v[106:107]
	s_waitcnt vmcnt(32)
	v_fmac_f64_e32 v[38:39], v[16:17], v[124:125]
	v_mul_f64 v[110:111], v[252:253], v[110:111]
	s_waitcnt vmcnt(30)
	v_mul_f64 v[36:37], v[18:19], v[132:133]
	v_mul_f64 v[24:25], v[24:25], v[122:123]
	v_fma_f64 v[22:23], v[22:23], v[126:127], -v[24:25]
	s_waitcnt vmcnt(27) lgkmcnt(2)
	v_mul_f64 v[40:41], v[10:11], v[130:131]
	s_waitcnt vmcnt(26) lgkmcnt(1)
	v_mul_f64 v[42:43], v[6:7], v[128:129]
	v_mul_f64 v[16:17], v[16:17], v[120:121]
	s_waitcnt vmcnt(24)
	v_fmac_f64_e32 v[30:31], v[246:247], v[108:109]
	v_add_f64 v[26:27], v[26:27], v[30:31]
	s_waitcnt vmcnt(22)
	v_fmac_f64_e32 v[32:33], v[252:253], v[112:113]
	v_add_f64 v[26:27], v[26:27], v[32:33]
	;; [unrolled: 3-line block ×3, first 2 shown]
	v_add_f64 v[26:27], v[26:27], v[36:37]
	s_waitcnt vmcnt(18)
	v_fmac_f64_e32 v[40:41], v[12:13], v[134:135]
	v_add_f64 v[26:27], v[26:27], v[38:39]
	v_add_f64 v[26:27], v[26:27], v[40:41]
	s_waitcnt vmcnt(16)
	v_fmac_f64_e32 v[42:43], v[8:9], v[140:141]
	v_add_f64 v[34:35], v[26:27], v[42:43]
	ds_read_b128 v[26:29], v1 offset:1200
	ds_read_b128 v[30:33], v1 offset:1216
	buffer_load_dword v157, off, s[0:3], 0 offset:508
	buffer_load_dword v156, off, s[0:3], 0 offset:504
	;; [unrolled: 1-line block ×56, first 2 shown]
	s_waitcnt vmcnt(62) lgkmcnt(2)
	v_mul_f64 v[36:37], v[2:3], v[144:145]
	v_fmac_f64_e32 v[36:37], v[4:5], v[146:147]
	v_add_f64 v[34:35], v[34:35], v[36:37]
	s_waitcnt lgkmcnt(1)
	v_mul_f64 v[36:37], v[26:27], v[138:139]
	v_fmac_f64_e32 v[36:37], v[28:29], v[142:143]
	v_add_f64 v[34:35], v[34:35], v[36:37]
	s_waitcnt lgkmcnt(0)
	v_mul_f64 v[36:37], v[30:31], v[148:149]
	s_waitcnt vmcnt(60)
	v_fmac_f64_e32 v[36:37], v[32:33], v[152:153]
	v_add_f64 v[42:43], v[34:35], v[36:37]
	ds_read_b128 v[34:37], v1 offset:1232
	buffer_load_dword v201, off, s[0:3], 0 offset:732
	buffer_load_dword v200, off, s[0:3], 0 offset:728
	;; [unrolled: 1-line block ×16, first 2 shown]
	ds_read_b128 v[38:41], v1 offset:1248
	buffer_load_dword v231, off, s[0:3], 0 offset:796
	buffer_load_dword v230, off, s[0:3], 0 offset:792
	;; [unrolled: 1-line block ×8, first 2 shown]
	ds_read_b128 v[98:101], v1 offset:1488
	s_waitcnt vmcnt(62) lgkmcnt(2)
	v_mul_f64 v[44:45], v[34:35], v[150:151]
	v_fmac_f64_e32 v[44:45], v[36:37], v[154:155]
	v_add_f64 v[46:47], v[42:43], v[44:45]
	ds_read_b128 v[42:45], v1 offset:1264
	v_fma_f64 v[248:249], v[244:245], v[108:109], -v[106:107]
	ds_read_b128 v[106:109], v1 offset:1520
	v_fma_f64 v[246:247], v[250:251], v[112:113], -v[110:111]
	v_mul_f64 v[20:21], v[20:21], v[132:133]
	v_fma_f64 v[18:19], v[18:19], v[136:137], -v[20:21]
	v_fma_f64 v[14:15], v[14:15], v[124:125], -v[16:17]
	v_mul_f64 v[12:13], v[12:13], v[130:131]
	v_fma_f64 v[10:11], v[10:11], v[134:135], -v[12:13]
	v_mul_f64 v[8:9], v[8:9], v[128:129]
	;; [unrolled: 2-line block ×3, first 2 shown]
	s_waitcnt lgkmcnt(3)
	v_mul_f64 v[48:49], v[38:39], v[172:173]
	v_fma_f64 v[2:3], v[2:3], v[146:147], -v[4:5]
	v_fmac_f64_e32 v[48:49], v[40:41], v[176:177]
	v_add_f64 v[50:51], v[46:47], v[48:49]
	ds_read_b128 v[46:49], v1 offset:1280
	s_waitcnt lgkmcnt(2)
	v_mul_f64 v[52:53], v[42:43], v[156:157]
	v_fmac_f64_e32 v[52:53], v[44:45], v[158:159]
	v_add_f64 v[54:55], v[50:51], v[52:53]
	ds_read_b128 v[50:53], v1 offset:1296
	s_waitcnt lgkmcnt(1)
	v_mul_f64 v[56:57], v[46:47], v[180:181]
	v_fmac_f64_e32 v[56:57], v[48:49], v[184:185]
	v_add_f64 v[58:59], v[54:55], v[56:57]
	ds_read_b128 v[54:57], v1 offset:1312
	s_waitcnt lgkmcnt(1)
	v_mul_f64 v[60:61], v[50:51], v[160:161]
	v_fmac_f64_e32 v[60:61], v[52:53], v[162:163]
	v_add_f64 v[62:63], v[58:59], v[60:61]
	ds_read_b128 v[58:61], v1 offset:1328
	s_waitcnt vmcnt(58) lgkmcnt(1)
	v_mul_f64 v[64:65], v[54:55], v[188:189]
	s_waitcnt vmcnt(56)
	v_fmac_f64_e32 v[64:65], v[56:57], v[192:193]
	v_add_f64 v[66:67], v[62:63], v[64:65]
	ds_read_b128 v[62:65], v1 offset:1344
	s_waitcnt lgkmcnt(1)
	v_mul_f64 v[68:69], v[58:59], v[164:165]
	v_fmac_f64_e32 v[68:69], v[60:61], v[166:167]
	v_add_f64 v[70:71], v[66:67], v[68:69]
	ds_read_b128 v[66:69], v1 offset:1360
	s_waitcnt vmcnt(50) lgkmcnt(1)
	v_mul_f64 v[72:73], v[62:63], v[196:197]
	s_waitcnt vmcnt(48)
	v_fmac_f64_e32 v[72:73], v[64:65], v[198:199]
	v_add_f64 v[74:75], v[70:71], v[72:73]
	ds_read_b128 v[70:73], v1 offset:1376
	s_waitcnt lgkmcnt(1)
	v_mul_f64 v[76:77], v[66:67], v[168:169]
	v_fmac_f64_e32 v[76:77], v[68:69], v[170:171]
	v_add_f64 v[78:79], v[74:75], v[76:77]
	ds_read_b128 v[74:77], v1 offset:1392
	s_waitcnt vmcnt(42) lgkmcnt(1)
	v_mul_f64 v[80:81], v[70:71], v[202:203]
	s_waitcnt vmcnt(40)
	v_fmac_f64_e32 v[80:81], v[72:73], v[206:207]
	v_add_f64 v[82:83], v[78:79], v[80:81]
	ds_read_b128 v[78:81], v1 offset:1408
	s_waitcnt lgkmcnt(1)
	v_mul_f64 v[84:85], v[74:75], v[174:175]
	v_fmac_f64_e32 v[84:85], v[76:77], v[178:179]
	v_add_f64 v[90:91], v[82:83], v[84:85]
	ds_read_b128 v[82:85], v1 offset:1424
	ds_read_b128 v[86:89], v1 offset:1440
	s_waitcnt vmcnt(34) lgkmcnt(2)
	v_mul_f64 v[92:93], v[78:79], v[218:219]
	s_waitcnt vmcnt(32)
	v_fmac_f64_e32 v[92:93], v[80:81], v[224:225]
	v_add_f64 v[90:91], v[90:91], v[92:93]
	s_waitcnt lgkmcnt(1)
	v_mul_f64 v[92:93], v[82:83], v[182:183]
	v_fmac_f64_e32 v[92:93], v[84:85], v[186:187]
	v_add_f64 v[90:91], v[90:91], v[92:93]
	s_waitcnt vmcnt(27) lgkmcnt(0)
	v_mul_f64 v[92:93], v[86:87], v[222:223]
	s_waitcnt vmcnt(25)
	v_fmac_f64_e32 v[92:93], v[88:89], v[226:227]
	v_add_f64 v[118:119], v[90:91], v[92:93]
	ds_read_b128 v[90:93], v1 offset:1456
	ds_read_b128 v[94:97], v1 offset:1472
	;; [unrolled: 1-line block ×3, first 2 shown]
	v_mul_f64 v[4:5], v[28:29], v[138:139]
	v_fma_f64 v[4:5], v[26:27], v[142:143], -v[4:5]
	s_waitcnt lgkmcnt(2)
	v_mul_f64 v[102:103], v[90:91], v[190:191]
	s_waitcnt vmcnt(24)
	v_fmac_f64_e32 v[102:103], v[92:93], v[194:195]
	s_waitcnt vmcnt(18) lgkmcnt(1)
	v_mul_f64 v[104:105], v[94:95], v[228:229]
	v_add_f64 v[102:103], v[118:119], v[102:103]
	s_waitcnt vmcnt(16)
	v_fmac_f64_e32 v[104:105], v[96:97], v[232:233]
	v_add_f64 v[102:103], v[102:103], v[104:105]
	v_mul_f64 v[104:105], v[98:99], v[200:201]
	v_fmac_f64_e32 v[104:105], v[100:101], v[204:205]
	v_add_f64 v[114:115], v[102:103], v[104:105]
	ds_read_b128 v[102:105], v1 offset:1504
	s_waitcnt vmcnt(10) lgkmcnt(0)
	v_mul_f64 v[116:117], v[102:103], v[236:237]
	s_waitcnt vmcnt(8)
	v_fmac_f64_e32 v[116:117], v[104:105], v[238:239]
	v_add_f64 v[114:115], v[114:115], v[116:117]
	v_mul_f64 v[116:117], v[106:107], v[216:217]
	v_fmac_f64_e32 v[116:117], v[108:109], v[220:221]
	v_add_f64 v[114:115], v[114:115], v[116:117]
	s_waitcnt vmcnt(2)
	v_mul_f64 v[116:117], v[110:111], v[240:241]
	s_waitcnt vmcnt(0)
	v_fmac_f64_e32 v[116:117], v[112:113], v[242:243]
	v_add_f64 v[118:119], v[114:115], v[116:117]
	ds_read_b128 v[114:117], v1 offset:1552
	buffer_load_dword v252, off, s[0:3], 0 offset:256
	buffer_load_dword v253, off, s[0:3], 0 offset:260
	s_waitcnt lgkmcnt(0)
	v_mul_f64 v[212:213], v[114:115], v[230:231]
	v_fmac_f64_e32 v[212:213], v[116:117], v[234:235]
	v_add_f64 v[244:245], v[118:119], v[212:213]
	v_add_f64 v[118:119], v[208:209], 0
	;; [unrolled: 1-line block ×4, first 2 shown]
	buffer_load_dword v248, off, s[0:3], 0 offset:264
	buffer_load_dword v249, off, s[0:3], 0 offset:268
	v_add_f64 v[118:119], v[118:119], v[246:247]
	v_add_f64 v[22:23], v[118:119], v[22:23]
	;; [unrolled: 1-line block ×8, first 2 shown]
	v_mul_f64 v[4:5], v[32:33], v[148:149]
	v_fma_f64 v[4:5], v[30:31], v[152:153], -v[4:5]
	v_add_f64 v[2:3], v[2:3], v[4:5]
	v_mul_f64 v[4:5], v[36:37], v[150:151]
	v_fma_f64 v[4:5], v[34:35], v[154:155], -v[4:5]
	v_add_f64 v[2:3], v[2:3], v[4:5]
	;; [unrolled: 3-line block ×22, first 2 shown]
	s_waitcnt vmcnt(2)
	v_add_f64 v[2:3], v[252:253], -v[2:3]
	s_waitcnt vmcnt(0)
	v_add_f64 v[4:5], v[248:249], -v[244:245]
	buffer_store_dword v3, off, s[0:3], 0 offset:260
	buffer_store_dword v2, off, s[0:3], 0 offset:256
	;; [unrolled: 1-line block ×4, first 2 shown]
	s_and_saveexec_b64 s[4:5], vcc
	s_cbranch_execz .LBB112_279
; %bb.278:
	v_accvgpr_read_b32 v0, a132
	buffer_load_dword v2, v0, s[0:3], 0 offen
	buffer_load_dword v3, v0, s[0:3], 0 offen offset:4
	buffer_load_dword v4, v0, s[0:3], 0 offen offset:8
	;; [unrolled: 1-line block ×3, first 2 shown]
	v_accvgpr_read_b32 v0, a147
	buffer_store_dword v1, off, s[0:3], 0 offset:240
	buffer_store_dword v1, off, s[0:3], 0 offset:244
	;; [unrolled: 1-line block ×4, first 2 shown]
	s_waitcnt vmcnt(4)
	ds_write_b128 v0, v[2:5]
.LBB112_279:
	s_or_b64 exec, exec, s[4:5]
	s_waitcnt lgkmcnt(0)
	; wave barrier
	s_waitcnt lgkmcnt(0)
	buffer_load_dword v86, off, s[0:3], 0 offset:256
	buffer_load_dword v87, off, s[0:3], 0 offset:260
	;; [unrolled: 1-line block ×42, first 2 shown]
	ds_read_b128 v[94:97], v1 offset:1024
	ds_read_b128 v[106:109], v1 offset:1040
	;; [unrolled: 1-line block ×10, first 2 shown]
	buffer_load_dword v147, off, s[0:3], 0 offset:404
	buffer_load_dword v146, off, s[0:3], 0 offset:400
	ds_read_b128 v[6:9], v1 offset:1184
	buffer_load_dword v143, off, s[0:3], 0 offset:460
	buffer_load_dword v142, off, s[0:3], 0 offset:456
	;; [unrolled: 1-line block ×80, first 2 shown]
	s_waitcnt vmcnt(62) lgkmcnt(10)
	v_mul_f64 v[26:27], v[94:95], v[88:89]
	v_fmac_f64_e32 v[26:27], v[96:97], v[86:87]
	v_add_f64 v[26:27], v[26:27], 0
	v_mul_f64 v[88:89], v[96:97], v[88:89]
	s_waitcnt lgkmcnt(9)
	v_mul_f64 v[28:29], v[106:107], v[92:93]
	v_fmac_f64_e32 v[28:29], v[108:109], v[90:91]
	s_waitcnt lgkmcnt(8)
	v_mul_f64 v[30:31], v[114:115], v[98:99]
	v_add_f64 v[26:27], v[26:27], v[28:29]
	s_waitcnt lgkmcnt(6)
	v_mul_f64 v[34:35], v[248:249], v[110:111]
	v_fma_f64 v[208:209], v[94:95], v[86:87], -v[88:89]
	v_fmac_f64_e32 v[34:35], v[250:251], v[112:113]
	v_mul_f64 v[92:93], v[108:109], v[92:93]
	v_mul_f64 v[32:33], v[244:245], v[102:103]
	;; [unrolled: 1-line block ×3, first 2 shown]
	s_waitcnt lgkmcnt(4)
	v_mul_f64 v[38:39], v[18:19], v[120:121]
	v_mul_f64 v[102:103], v[246:247], v[102:103]
	v_fmac_f64_e32 v[38:39], v[20:21], v[122:123]
	v_mul_f64 v[110:111], v[250:251], v[110:111]
	v_mul_f64 v[36:37], v[22:23], v[124:125]
	v_fma_f64 v[248:249], v[248:249], v[112:113], -v[110:111]
	s_waitcnt lgkmcnt(2)
	v_mul_f64 v[42:43], v[10:11], v[126:127]
	v_add_f64 v[208:209], v[208:209], 0
	v_mul_f64 v[20:21], v[20:21], v[120:121]
	v_mul_f64 v[40:41], v[14:15], v[132:133]
	v_fma_f64 v[18:19], v[18:19], v[122:123], -v[20:21]
	s_waitcnt lgkmcnt(1)
	v_mul_f64 v[44:45], v[2:3], v[130:131]
	v_fmac_f64_e32 v[30:31], v[116:117], v[100:101]
	v_add_f64 v[26:27], v[26:27], v[30:31]
	v_fmac_f64_e32 v[32:33], v[246:247], v[104:105]
	v_add_f64 v[26:27], v[26:27], v[32:33]
	;; [unrolled: 2-line block ×3, first 2 shown]
	v_add_f64 v[26:27], v[26:27], v[36:37]
	v_fmac_f64_e32 v[40:41], v[16:17], v[134:135]
	v_add_f64 v[26:27], v[26:27], v[38:39]
	v_fmac_f64_e32 v[42:43], v[12:13], v[128:129]
	v_add_f64 v[26:27], v[26:27], v[40:41]
	v_add_f64 v[26:27], v[26:27], v[42:43]
	s_waitcnt lgkmcnt(0)
	v_mul_f64 v[32:33], v[6:7], v[138:139]
	v_fmac_f64_e32 v[44:45], v[4:5], v[146:147]
	v_add_f64 v[30:31], v[26:27], v[44:45]
	ds_read_b128 v[26:29], v1 offset:1200
	v_fmac_f64_e32 v[32:33], v[8:9], v[140:141]
	v_add_f64 v[34:35], v[30:31], v[32:33]
	ds_read_b128 v[30:33], v1 offset:1216
	v_fma_f64 v[210:211], v[114:115], v[100:101], -v[98:99]
	s_waitcnt lgkmcnt(1)
	v_mul_f64 v[36:37], v[26:27], v[148:149]
	v_fmac_f64_e32 v[36:37], v[28:29], v[164:165]
	v_add_f64 v[38:39], v[34:35], v[36:37]
	ds_read_b128 v[34:37], v1 offset:1232
	s_waitcnt lgkmcnt(1)
	v_mul_f64 v[40:41], v[30:31], v[142:143]
	v_fmac_f64_e32 v[40:41], v[32:33], v[144:145]
	v_add_f64 v[42:43], v[38:39], v[40:41]
	ds_read_b128 v[38:41], v1 offset:1248
	;; [unrolled: 5-line block ×4, first 2 shown]
	s_waitcnt vmcnt(58) lgkmcnt(1)
	v_mul_f64 v[52:53], v[42:43], v[176:177]
	s_waitcnt vmcnt(56)
	v_fmac_f64_e32 v[52:53], v[44:45], v[180:181]
	v_add_f64 v[54:55], v[50:51], v[52:53]
	ds_read_b128 v[50:53], v1 offset:1296
	buffer_load_dword v232, off, s[0:3], 0 offset:776
	buffer_load_dword v237, off, s[0:3], 0 offset:764
	;; [unrolled: 1-line block ×8, first 2 shown]
	s_waitcnt lgkmcnt(1)
	v_mul_f64 v[56:57], v[46:47], v[154:155]
	v_fmac_f64_e32 v[56:57], v[48:49], v[156:157]
	v_add_f64 v[58:59], v[54:55], v[56:57]
	ds_read_b128 v[54:57], v1 offset:1312
	s_waitcnt vmcnt(58) lgkmcnt(1)
	v_mul_f64 v[60:61], v[50:51], v[184:185]
	s_waitcnt vmcnt(56)
	v_fmac_f64_e32 v[60:61], v[52:53], v[188:189]
	buffer_load_dword v241, off, s[0:3], 0 offset:796
	buffer_load_dword v240, off, s[0:3], 0 offset:792
	;; [unrolled: 1-line block ×4, first 2 shown]
	v_add_f64 v[62:63], v[58:59], v[60:61]
	ds_read_b128 v[58:61], v1 offset:1328
	s_waitcnt lgkmcnt(1)
	v_mul_f64 v[64:65], v[54:55], v[158:159]
	v_fmac_f64_e32 v[64:65], v[56:57], v[160:161]
	v_add_f64 v[66:67], v[62:63], v[64:65]
	ds_read_b128 v[62:65], v1 offset:1344
	s_waitcnt vmcnt(54) lgkmcnt(1)
	v_mul_f64 v[68:69], v[58:59], v[192:193]
	s_waitcnt vmcnt(52)
	v_fmac_f64_e32 v[68:69], v[60:61], v[196:197]
	v_add_f64 v[70:71], v[66:67], v[68:69]
	ds_read_b128 v[66:69], v1 offset:1360
	s_waitcnt lgkmcnt(1)
	v_mul_f64 v[72:73], v[62:63], v[162:163]
	v_fmac_f64_e32 v[72:73], v[64:65], v[166:167]
	v_add_f64 v[74:75], v[70:71], v[72:73]
	ds_read_b128 v[70:73], v1 offset:1376
	s_waitcnt vmcnt(46) lgkmcnt(1)
	v_mul_f64 v[76:77], v[66:67], v[200:201]
	s_waitcnt vmcnt(44)
	v_fmac_f64_e32 v[76:77], v[68:69], v[204:205]
	v_add_f64 v[82:83], v[74:75], v[76:77]
	ds_read_b128 v[74:77], v1 offset:1392
	ds_read_b128 v[78:81], v1 offset:1408
	s_waitcnt lgkmcnt(2)
	v_mul_f64 v[84:85], v[70:71], v[170:171]
	v_fmac_f64_e32 v[84:85], v[72:73], v[174:175]
	v_add_f64 v[82:83], v[82:83], v[84:85]
	s_waitcnt vmcnt(38) lgkmcnt(1)
	v_mul_f64 v[84:85], v[74:75], v[216:217]
	s_waitcnt vmcnt(36)
	v_fmac_f64_e32 v[84:85], v[76:77], v[218:219]
	v_add_f64 v[82:83], v[82:83], v[84:85]
	s_waitcnt lgkmcnt(0)
	v_mul_f64 v[84:85], v[78:79], v[178:179]
	v_fmac_f64_e32 v[84:85], v[80:81], v[182:183]
	v_add_f64 v[118:119], v[82:83], v[84:85]
	ds_read_b128 v[82:85], v1 offset:1424
	ds_read_b128 v[86:89], v1 offset:1440
	;; [unrolled: 1-line block ×3, first 2 shown]
	v_fma_f64 v[246:247], v[244:245], v[104:105], -v[102:103]
	ds_read_b128 v[102:105], v1 offset:1520
	ds_read_b128 v[110:113], v1 offset:1536
	s_waitcnt vmcnt(30) lgkmcnt(4)
	v_mul_f64 v[94:95], v[82:83], v[220:221]
	s_waitcnt vmcnt(28)
	v_fmac_f64_e32 v[94:95], v[84:85], v[222:223]
	v_add_f64 v[94:95], v[118:119], v[94:95]
	v_fma_f64 v[118:119], v[106:107], v[90:91], -v[92:93]
	ds_read_b128 v[90:93], v1 offset:1456
	s_waitcnt lgkmcnt(4)
	v_mul_f64 v[96:97], v[86:87], v[186:187]
	v_fmac_f64_e32 v[96:97], v[88:89], v[190:191]
	v_add_f64 v[106:107], v[94:95], v[96:97]
	ds_read_b128 v[94:97], v1 offset:1472
	s_waitcnt vmcnt(22) lgkmcnt(1)
	v_mul_f64 v[108:109], v[90:91], v[224:225]
	s_waitcnt vmcnt(20)
	v_fmac_f64_e32 v[108:109], v[92:93], v[226:227]
	v_add_f64 v[106:107], v[106:107], v[108:109]
	v_add_f64 v[118:119], v[208:209], v[118:119]
	s_waitcnt lgkmcnt(0)
	v_mul_f64 v[108:109], v[94:95], v[194:195]
	v_fmac_f64_e32 v[108:109], v[96:97], v[198:199]
	v_add_f64 v[114:115], v[106:107], v[108:109]
	ds_read_b128 v[106:109], v1 offset:1504
	s_waitcnt vmcnt(14)
	v_mul_f64 v[116:117], v[98:99], v[228:229]
	s_waitcnt vmcnt(12)
	v_fmac_f64_e32 v[116:117], v[100:101], v[230:231]
	v_add_f64 v[114:115], v[114:115], v[116:117]
	v_add_f64 v[250:251], v[118:119], v[210:211]
	s_waitcnt lgkmcnt(0)
	v_mul_f64 v[116:117], v[106:107], v[202:203]
	v_fmac_f64_e32 v[116:117], v[108:109], v[206:207]
	v_add_f64 v[114:115], v[114:115], v[116:117]
	v_add_f64 v[118:119], v[250:251], v[246:247]
	v_mul_f64 v[24:25], v[24:25], v[124:125]
	v_add_f64 v[118:119], v[118:119], v[248:249]
	v_fma_f64 v[22:23], v[22:23], v[136:137], -v[24:25]
	v_add_f64 v[22:23], v[118:119], v[22:23]
	v_mul_f64 v[16:17], v[16:17], v[132:133]
	v_add_f64 v[18:19], v[22:23], v[18:19]
	v_fma_f64 v[14:15], v[14:15], v[134:135], -v[16:17]
	v_mul_f64 v[12:13], v[12:13], v[126:127]
	s_waitcnt vmcnt(9)
	v_mul_f64 v[116:117], v[102:103], v[236:237]
	v_add_f64 v[14:15], v[18:19], v[14:15]
	s_waitcnt vmcnt(7)
	v_fmac_f64_e32 v[116:117], v[104:105], v[238:239]
	v_add_f64 v[114:115], v[114:115], v[116:117]
	s_waitcnt vmcnt(5)
	v_mul_f64 v[116:117], v[110:111], v[232:233]
	s_waitcnt vmcnt(4)
	v_fmac_f64_e32 v[116:117], v[112:113], v[234:235]
	v_add_f64 v[212:213], v[114:115], v[116:117]
	ds_read_b128 v[114:117], v1 offset:1552
	buffer_load_dword v254, off, s[0:3], 0 offset:240
	buffer_load_dword v255, off, s[0:3], 0 offset:244
	;; [unrolled: 1-line block ×4, first 2 shown]
	v_fma_f64 v[10:11], v[10:11], v[128:129], -v[12:13]
	v_mul_f64 v[4:5], v[4:5], v[130:131]
	v_add_f64 v[10:11], v[14:15], v[10:11]
	v_fma_f64 v[2:3], v[2:3], v[146:147], -v[4:5]
	v_mul_f64 v[4:5], v[8:9], v[138:139]
	v_add_f64 v[2:3], v[10:11], v[2:3]
	v_fma_f64 v[4:5], v[6:7], v[140:141], -v[4:5]
	v_add_f64 v[2:3], v[2:3], v[4:5]
	v_mul_f64 v[4:5], v[28:29], v[148:149]
	v_fma_f64 v[4:5], v[26:27], v[164:165], -v[4:5]
	v_add_f64 v[2:3], v[2:3], v[4:5]
	v_mul_f64 v[4:5], v[32:33], v[142:143]
	;; [unrolled: 3-line block ×22, first 2 shown]
	v_fma_f64 v[4:5], v[110:111], v[234:235], -v[4:5]
	v_add_f64 v[2:3], v[2:3], v[4:5]
	s_waitcnt vmcnt(6) lgkmcnt(0)
	v_mul_f64 v[4:5], v[116:117], v[240:241]
	s_waitcnt vmcnt(4)
	v_fma_f64 v[4:5], v[114:115], v[242:243], -v[4:5]
	v_mul_f64 v[214:215], v[114:115], v[240:241]
	v_add_f64 v[2:3], v[2:3], v[4:5]
	v_fmac_f64_e32 v[214:215], v[116:117], v[242:243]
	s_waitcnt vmcnt(2)
	v_add_f64 v[2:3], v[254:255], -v[2:3]
	v_accvgpr_read_b32 v254, a146
	v_add_f64 v[244:245], v[212:213], v[214:215]
	v_cmp_lt_u32_e32 vcc, 13, v254
	s_waitcnt vmcnt(0)
	v_add_f64 v[4:5], v[252:253], -v[244:245]
	buffer_store_dword v3, off, s[0:3], 0 offset:244
	buffer_store_dword v2, off, s[0:3], 0 offset:240
	;; [unrolled: 1-line block ×4, first 2 shown]
	s_and_saveexec_b64 s[4:5], vcc
	s_cbranch_execz .LBB112_281
; %bb.280:
	v_accvgpr_read_b32 v0, a133
	buffer_load_dword v2, v0, s[0:3], 0 offen
	buffer_load_dword v3, v0, s[0:3], 0 offen offset:4
	buffer_load_dword v4, v0, s[0:3], 0 offen offset:8
	;; [unrolled: 1-line block ×3, first 2 shown]
	v_mov_b32_e32 v0, 0
	v_accvgpr_read_b32 v1, a147
	buffer_store_dword v0, off, s[0:3], 0 offset:224
	buffer_store_dword v0, off, s[0:3], 0 offset:228
	;; [unrolled: 1-line block ×4, first 2 shown]
	s_waitcnt vmcnt(4)
	ds_write_b128 v1, v[2:5]
.LBB112_281:
	s_or_b64 exec, exec, s[4:5]
	s_waitcnt lgkmcnt(0)
	; wave barrier
	s_waitcnt lgkmcnt(0)
	buffer_load_dword v82, off, s[0:3], 0 offset:240
	buffer_load_dword v83, off, s[0:3], 0 offset:244
	;; [unrolled: 1-line block ×54, first 2 shown]
	v_mov_b32_e32 v1, 0
	ds_read_b128 v[90:93], v1 offset:1008
	ds_read_b128 v[106:109], v1 offset:1024
	;; [unrolled: 1-line block ×9, first 2 shown]
	buffer_load_dword v151, off, s[0:3], 0 offset:468
	buffer_load_dword v150, off, s[0:3], 0 offset:464
	;; [unrolled: 1-line block ×62, first 2 shown]
	v_cmp_lt_u32_e32 vcc, 12, v254
	s_waitcnt vmcnt(62) lgkmcnt(8)
	v_mul_f64 v[14:15], v[90:91], v[84:85]
	v_fmac_f64_e32 v[14:15], v[92:93], v[82:83]
	v_add_f64 v[14:15], v[14:15], 0
	v_mul_f64 v[84:85], v[92:93], v[84:85]
	s_waitcnt lgkmcnt(7)
	v_mul_f64 v[16:17], v[106:107], v[88:89]
	v_fmac_f64_e32 v[16:17], v[108:109], v[86:87]
	s_waitcnt lgkmcnt(6)
	v_mul_f64 v[18:19], v[114:115], v[94:95]
	v_add_f64 v[14:15], v[14:15], v[16:17]
	s_waitcnt lgkmcnt(4)
	v_mul_f64 v[22:23], v[246:247], v[102:103]
	v_fma_f64 v[208:209], v[90:91], v[82:83], -v[84:85]
	v_fmac_f64_e32 v[22:23], v[248:249], v[104:105]
	v_mul_f64 v[88:89], v[108:109], v[88:89]
	v_mul_f64 v[20:21], v[242:243], v[98:99]
	v_fma_f64 v[210:211], v[106:107], v[86:87], -v[88:89]
	s_waitcnt lgkmcnt(2)
	v_mul_f64 v[26:27], v[10:11], v[120:121]
	v_mul_f64 v[94:95], v[116:117], v[94:95]
	v_fmac_f64_e32 v[26:27], v[12:13], v[122:123]
	v_mul_f64 v[98:99], v[244:245], v[98:99]
	v_mul_f64 v[24:25], v[250:251], v[110:111]
	;; [unrolled: 1-line block ×3, first 2 shown]
	s_waitcnt lgkmcnt(1)
	v_mul_f64 v[28:29], v[6:7], v[124:125]
	v_mul_f64 v[110:111], v[252:253], v[110:111]
	v_fmac_f64_e32 v[18:19], v[116:117], v[96:97]
	v_add_f64 v[14:15], v[14:15], v[18:19]
	v_fmac_f64_e32 v[20:21], v[244:245], v[100:101]
	v_add_f64 v[14:15], v[14:15], v[20:21]
	v_fmac_f64_e32 v[24:25], v[252:253], v[112:113]
	v_add_f64 v[14:15], v[14:15], v[22:23]
	v_add_f64 v[14:15], v[14:15], v[24:25]
	v_fmac_f64_e32 v[28:29], v[8:9], v[128:129]
	v_add_f64 v[14:15], v[14:15], v[26:27]
	v_add_f64 v[18:19], v[14:15], v[28:29]
	ds_read_b128 v[14:17], v1 offset:1152
	s_waitcnt lgkmcnt(1)
	v_mul_f64 v[20:21], v[2:3], v[126:127]
	v_fmac_f64_e32 v[20:21], v[4:5], v[130:131]
	v_add_f64 v[22:23], v[18:19], v[20:21]
	ds_read_b128 v[18:21], v1 offset:1168
	s_waitcnt lgkmcnt(1)
	v_mul_f64 v[24:25], v[14:15], v[136:137]
	v_fmac_f64_e32 v[24:25], v[16:17], v[138:139]
	v_add_f64 v[26:27], v[22:23], v[24:25]
	ds_read_b128 v[22:25], v1 offset:1184
	s_waitcnt lgkmcnt(1)
	v_mul_f64 v[28:29], v[18:19], v[132:133]
	v_fmac_f64_e32 v[28:29], v[20:21], v[134:135]
	v_add_f64 v[30:31], v[26:27], v[28:29]
	ds_read_b128 v[26:29], v1 offset:1200
	s_waitcnt lgkmcnt(1)
	v_mul_f64 v[32:33], v[22:23], v[146:147]
	v_fmac_f64_e32 v[32:33], v[24:25], v[148:149]
	v_add_f64 v[34:35], v[30:31], v[32:33]
	ds_read_b128 v[30:33], v1 offset:1216
	s_waitcnt lgkmcnt(1)
	v_mul_f64 v[36:37], v[26:27], v[140:141]
	v_fmac_f64_e32 v[36:37], v[28:29], v[142:143]
	v_add_f64 v[38:39], v[34:35], v[36:37]
	ds_read_b128 v[34:37], v1 offset:1232
	s_waitcnt vmcnt(58) lgkmcnt(1)
	v_mul_f64 v[40:41], v[30:31], v[164:165]
	s_waitcnt vmcnt(56)
	v_fmac_f64_e32 v[40:41], v[32:33], v[168:169]
	v_add_f64 v[42:43], v[38:39], v[40:41]
	ds_read_b128 v[38:41], v1 offset:1248
	s_waitcnt lgkmcnt(1)
	v_mul_f64 v[44:45], v[34:35], v[144:145]
	v_fmac_f64_e32 v[44:45], v[36:37], v[150:151]
	v_add_f64 v[46:47], v[42:43], v[44:45]
	ds_read_b128 v[42:45], v1 offset:1264
	s_waitcnt vmcnt(50) lgkmcnt(1)
	v_mul_f64 v[48:49], v[38:39], v[172:173]
	s_waitcnt vmcnt(48)
	v_fmac_f64_e32 v[48:49], v[40:41], v[176:177]
	v_add_f64 v[50:51], v[46:47], v[48:49]
	ds_read_b128 v[46:49], v1 offset:1280
	buffer_load_dword v221, off, s[0:3], 0 offset:716
	buffer_load_dword v220, off, s[0:3], 0 offset:712
	;; [unrolled: 1-line block ×8, first 2 shown]
	s_waitcnt lgkmcnt(1)
	v_mul_f64 v[52:53], v[42:43], v[152:153]
	v_fmac_f64_e32 v[52:53], v[44:45], v[154:155]
	v_add_f64 v[54:55], v[50:51], v[52:53]
	ds_read_b128 v[50:53], v1 offset:1296
	s_waitcnt vmcnt(50) lgkmcnt(1)
	v_mul_f64 v[56:57], v[46:47], v[180:181]
	s_waitcnt vmcnt(48)
	v_fmac_f64_e32 v[56:57], v[48:49], v[184:185]
	buffer_load_dword v225, off, s[0:3], 0 offset:764
	buffer_load_dword v231, off, s[0:3], 0 offset:748
	;; [unrolled: 1-line block ×12, first 2 shown]
	v_add_f64 v[58:59], v[54:55], v[56:57]
	ds_read_b128 v[54:57], v1 offset:1312
	s_waitcnt lgkmcnt(1)
	v_mul_f64 v[60:61], v[50:51], v[156:157]
	v_fmac_f64_e32 v[60:61], v[52:53], v[158:159]
	v_add_f64 v[62:63], v[58:59], v[60:61]
	ds_read_b128 v[58:61], v1 offset:1328
	s_waitcnt vmcnt(54) lgkmcnt(1)
	v_mul_f64 v[64:65], v[54:55], v[188:189]
	s_waitcnt vmcnt(52)
	v_fmac_f64_e32 v[64:65], v[56:57], v[192:193]
	v_add_f64 v[66:67], v[62:63], v[64:65]
	ds_read_b128 v[62:65], v1 offset:1344
	s_waitcnt lgkmcnt(1)
	v_mul_f64 v[68:69], v[58:59], v[160:161]
	v_fmac_f64_e32 v[68:69], v[60:61], v[162:163]
	v_add_f64 v[70:71], v[66:67], v[68:69]
	ds_read_b128 v[66:69], v1 offset:1360
	s_waitcnt vmcnt(46) lgkmcnt(1)
	v_mul_f64 v[72:73], v[62:63], v[196:197]
	s_waitcnt vmcnt(44)
	v_fmac_f64_e32 v[72:73], v[64:65], v[198:199]
	v_add_f64 v[78:79], v[70:71], v[72:73]
	ds_read_b128 v[70:73], v1 offset:1376
	ds_read_b128 v[74:77], v1 offset:1392
	s_waitcnt lgkmcnt(2)
	v_mul_f64 v[80:81], v[66:67], v[166:167]
	v_fmac_f64_e32 v[80:81], v[68:69], v[170:171]
	v_add_f64 v[78:79], v[78:79], v[80:81]
	s_waitcnt vmcnt(38) lgkmcnt(1)
	v_mul_f64 v[80:81], v[70:71], v[200:201]
	s_waitcnt vmcnt(36)
	v_fmac_f64_e32 v[80:81], v[72:73], v[202:203]
	v_add_f64 v[78:79], v[78:79], v[80:81]
	s_waitcnt lgkmcnt(0)
	v_mul_f64 v[80:81], v[74:75], v[174:175]
	v_fmac_f64_e32 v[80:81], v[76:77], v[178:179]
	v_add_f64 v[118:119], v[78:79], v[80:81]
	ds_read_b128 v[78:81], v1 offset:1408
	ds_read_b128 v[82:85], v1 offset:1424
	ds_read_b128 v[86:89], v1 offset:1440
	v_fma_f64 v[212:213], v[242:243], v[100:101], -v[98:99]
	ds_read_b128 v[98:101], v1 offset:1488
	s_waitcnt vmcnt(30) lgkmcnt(3)
	v_mul_f64 v[90:91], v[78:79], v[204:205]
	s_waitcnt vmcnt(28)
	v_fmac_f64_e32 v[90:91], v[80:81], v[206:207]
	s_waitcnt lgkmcnt(2)
	v_mul_f64 v[92:93], v[82:83], v[182:183]
	v_add_f64 v[90:91], v[118:119], v[90:91]
	v_fmac_f64_e32 v[92:93], v[84:85], v[186:187]
	v_add_f64 v[90:91], v[90:91], v[92:93]
	v_fma_f64 v[118:119], v[114:115], v[96:97], -v[94:95]
	ds_read_b128 v[94:97], v1 offset:1472
	s_waitcnt vmcnt(22) lgkmcnt(2)
	v_mul_f64 v[92:93], v[86:87], v[216:217]
	s_waitcnt vmcnt(20)
	v_fmac_f64_e32 v[92:93], v[88:89], v[218:219]
	v_add_f64 v[106:107], v[90:91], v[92:93]
	ds_read_b128 v[90:93], v1 offset:1456
	buffer_load_dword v240, off, s[0:3], 0 offset:792
	v_fma_f64 v[214:215], v[246:247], v[104:105], -v[102:103]
	ds_read_b128 v[102:105], v1 offset:1504
	v_fma_f64 v[250:251], v[250:251], v[112:113], -v[110:111]
	s_waitcnt lgkmcnt(1)
	v_mul_f64 v[108:109], v[90:91], v[190:191]
	v_fmac_f64_e32 v[108:109], v[92:93], v[194:195]
	v_add_f64 v[106:107], v[106:107], v[108:109]
	ds_read_b128 v[110:113], v1 offset:1536
	v_add_f64 v[208:209], v[208:209], 0
	v_add_f64 v[208:209], v[208:209], v[210:211]
	;; [unrolled: 1-line block ×5, first 2 shown]
	v_mul_f64 v[12:13], v[12:13], v[120:121]
	v_add_f64 v[118:119], v[252:253], v[250:251]
	v_fma_f64 v[10:11], v[10:11], v[122:123], -v[12:13]
	v_mul_f64 v[8:9], v[8:9], v[124:125]
	v_add_f64 v[10:11], v[118:119], v[10:11]
	v_fma_f64 v[6:7], v[6:7], v[128:129], -v[8:9]
	;; [unrolled: 3-line block ×3, first 2 shown]
	v_mul_f64 v[4:5], v[16:17], v[136:137]
	v_add_f64 v[2:3], v[6:7], v[2:3]
	s_waitcnt vmcnt(19)
	v_mul_f64 v[108:109], v[94:95], v[220:221]
	v_fma_f64 v[4:5], v[14:15], v[138:139], -v[4:5]
	s_waitcnt vmcnt(17)
	v_fmac_f64_e32 v[108:109], v[96:97], v[222:223]
	v_add_f64 v[106:107], v[106:107], v[108:109]
	s_waitcnt vmcnt(15)
	v_mul_f64 v[108:109], v[98:99], v[226:227]
	s_waitcnt vmcnt(13)
	v_fmac_f64_e32 v[108:109], v[100:101], v[228:229]
	v_add_f64 v[114:115], v[106:107], v[108:109]
	ds_read_b128 v[106:109], v1 offset:1520
	buffer_load_dword v244, off, s[0:3], 0 offset:784
	buffer_load_dword v241, off, s[0:3], 0 offset:796
	buffer_load_dword v245, off, s[0:3], 0 offset:788
	s_waitcnt vmcnt(13) lgkmcnt(2)
	v_mul_f64 v[116:117], v[102:103], v[230:231]
	s_waitcnt vmcnt(11)
	v_fmac_f64_e32 v[116:117], v[104:105], v[236:237]
	v_add_f64 v[114:115], v[114:115], v[116:117]
	s_waitcnt vmcnt(10) lgkmcnt(0)
	v_mul_f64 v[116:117], v[106:107], v[224:225]
	s_waitcnt vmcnt(8)
	v_fmac_f64_e32 v[116:117], v[108:109], v[234:235]
	v_add_f64 v[114:115], v[114:115], v[116:117]
	s_waitcnt vmcnt(6)
	v_mul_f64 v[116:117], v[110:111], v[232:233]
	s_waitcnt vmcnt(4)
	v_fmac_f64_e32 v[116:117], v[112:113], v[238:239]
	v_add_f64 v[242:243], v[114:115], v[116:117]
	ds_read_b128 v[114:117], v1 offset:1552
	buffer_load_dword v248, off, s[0:3], 0 offset:224
	buffer_load_dword v249, off, s[0:3], 0 offset:228
	v_add_f64 v[2:3], v[2:3], v[4:5]
	v_mul_f64 v[4:5], v[20:21], v[132:133]
	v_fma_f64 v[4:5], v[18:19], v[134:135], -v[4:5]
	v_add_f64 v[2:3], v[2:3], v[4:5]
	v_mul_f64 v[4:5], v[24:25], v[146:147]
	v_fma_f64 v[4:5], v[22:23], v[148:149], -v[4:5]
	;; [unrolled: 3-line block ×22, first 2 shown]
	v_add_f64 v[2:3], v[2:3], v[4:5]
	s_waitcnt vmcnt(3) lgkmcnt(0)
	v_mul_f64 v[246:247], v[114:115], v[240:241]
	s_waitcnt vmcnt(2)
	v_fmac_f64_e32 v[246:247], v[116:117], v[244:245]
	v_add_f64 v[242:243], v[242:243], v[246:247]
	buffer_load_dword v246, off, s[0:3], 0 offset:232
	buffer_load_dword v247, off, s[0:3], 0 offset:236
	v_mul_f64 v[4:5], v[108:109], v[224:225]
	v_fma_f64 v[4:5], v[106:107], v[234:235], -v[4:5]
	v_add_f64 v[2:3], v[2:3], v[4:5]
	v_mul_f64 v[4:5], v[112:113], v[232:233]
	v_fma_f64 v[4:5], v[110:111], v[238:239], -v[4:5]
	v_add_f64 v[2:3], v[2:3], v[4:5]
	;; [unrolled: 3-line block ×3, first 2 shown]
	s_waitcnt vmcnt(2)
	v_add_f64 v[2:3], v[248:249], -v[2:3]
	s_waitcnt vmcnt(0)
	v_add_f64 v[4:5], v[246:247], -v[242:243]
	buffer_store_dword v3, off, s[0:3], 0 offset:228
	buffer_store_dword v2, off, s[0:3], 0 offset:224
	;; [unrolled: 1-line block ×4, first 2 shown]
	s_and_saveexec_b64 s[4:5], vcc
	s_cbranch_execz .LBB112_283
; %bb.282:
	v_accvgpr_read_b32 v0, a134
	buffer_load_dword v2, v0, s[0:3], 0 offen
	buffer_load_dword v3, v0, s[0:3], 0 offen offset:4
	buffer_load_dword v4, v0, s[0:3], 0 offen offset:8
	buffer_load_dword v5, v0, s[0:3], 0 offen offset:12
	v_accvgpr_read_b32 v0, a147
	buffer_store_dword v1, off, s[0:3], 0 offset:208
	buffer_store_dword v1, off, s[0:3], 0 offset:212
	buffer_store_dword v1, off, s[0:3], 0 offset:216
	buffer_store_dword v1, off, s[0:3], 0 offset:220
	s_waitcnt vmcnt(4)
	ds_write_b128 v0, v[2:5]
.LBB112_283:
	s_or_b64 exec, exec, s[4:5]
	s_waitcnt lgkmcnt(0)
	; wave barrier
	s_waitcnt lgkmcnt(0)
	buffer_load_dword v84, off, s[0:3], 0 offset:224
	buffer_load_dword v85, off, s[0:3], 0 offset:228
	buffer_load_dword v106, off, s[0:3], 0 offset:232
	buffer_load_dword v107, off, s[0:3], 0 offset:236
	buffer_load_dword v82, off, s[0:3], 0 offset:240
	buffer_load_dword v83, off, s[0:3], 0 offset:244
	buffer_load_dword v96, off, s[0:3], 0 offset:248
	buffer_load_dword v97, off, s[0:3], 0 offset:252
	buffer_load_dword v94, off, s[0:3], 0 offset:264
	buffer_load_dword v95, off, s[0:3], 0 offset:268
	buffer_load_dword v109, off, s[0:3], 0 offset:300
	buffer_load_dword v108, off, s[0:3], 0 offset:296
	buffer_load_dword v115, off, s[0:3], 0 offset:292
	buffer_load_dword v114, off, s[0:3], 0 offset:288
	buffer_load_dword v117, off, s[0:3], 0 offset:284
	buffer_load_dword v116, off, s[0:3], 0 offset:280
	buffer_load_dword v241, off, s[0:3], 0 offset:332
	buffer_load_dword v240, off, s[0:3], 0 offset:328
	buffer_load_dword v242, off, s[0:3], 0 offset:320
	buffer_load_dword v245, off, s[0:3], 0 offset:316
	buffer_load_dword v244, off, s[0:3], 0 offset:312
	buffer_load_dword v121, off, s[0:3], 0 offset:348
	buffer_load_dword v120, off, s[0:3], 0 offset:344
	buffer_load_dword v250, off, s[0:3], 0 offset:256
	buffer_load_dword v251, off, s[0:3], 0 offset:260
	buffer_load_dword v249, off, s[0:3], 0 offset:276
	buffer_load_dword v248, off, s[0:3], 0 offset:272
	buffer_load_dword v247, off, s[0:3], 0 offset:308
	buffer_load_dword v246, off, s[0:3], 0 offset:304
	buffer_load_dword v243, off, s[0:3], 0 offset:324
	buffer_load_dword v122, off, s[0:3], 0 offset:360
	buffer_load_dword v124, off, s[0:3], 0 offset:352
	buffer_load_dword v125, off, s[0:3], 0 offset:356
	buffer_load_dword v123, off, s[0:3], 0 offset:364
	ds_read_b128 v[74:77], v1 offset:992
	ds_read_b128 v[78:81], v1 offset:1008
	;; [unrolled: 1-line block ×8, first 2 shown]
	buffer_load_dword v127, off, s[0:3], 0 offset:340
	buffer_load_dword v126, off, s[0:3], 0 offset:336
	ds_read_b128 v[6:9], v1 offset:1120
	buffer_load_dword v129, off, s[0:3], 0 offset:396
	buffer_load_dword v128, off, s[0:3], 0 offset:392
	buffer_load_dword v131, off, s[0:3], 0 offset:388
	buffer_load_dword v130, off, s[0:3], 0 offset:384
	buffer_load_dword v133, off, s[0:3], 0 offset:380
	buffer_load_dword v132, off, s[0:3], 0 offset:376
	buffer_load_dword v135, off, s[0:3], 0 offset:372
	buffer_load_dword v134, off, s[0:3], 0 offset:368
	buffer_load_dword v137, off, s[0:3], 0 offset:428
	buffer_load_dword v136, off, s[0:3], 0 offset:424
	buffer_load_dword v139, off, s[0:3], 0 offset:420
	buffer_load_dword v138, off, s[0:3], 0 offset:416
	buffer_load_dword v145, off, s[0:3], 0 offset:412
	buffer_load_dword v144, off, s[0:3], 0 offset:408
	buffer_load_dword v147, off, s[0:3], 0 offset:404
	buffer_load_dword v146, off, s[0:3], 0 offset:400
	buffer_load_dword v141, off, s[0:3], 0 offset:460
	buffer_load_dword v140, off, s[0:3], 0 offset:456
	buffer_load_dword v143, off, s[0:3], 0 offset:452
	buffer_load_dword v142, off, s[0:3], 0 offset:448
	buffer_load_dword v161, off, s[0:3], 0 offset:444
	buffer_load_dword v160, off, s[0:3], 0 offset:440
	buffer_load_dword v165, off, s[0:3], 0 offset:436
	buffer_load_dword v164, off, s[0:3], 0 offset:432
	buffer_load_dword v149, off, s[0:3], 0 offset:492
	buffer_load_dword v148, off, s[0:3], 0 offset:488
	buffer_load_dword v151, off, s[0:3], 0 offset:484
	buffer_load_dword v150, off, s[0:3], 0 offset:480
	buffer_load_dword v169, off, s[0:3], 0 offset:476
	buffer_load_dword v168, off, s[0:3], 0 offset:472
	buffer_load_dword v173, off, s[0:3], 0 offset:468
	buffer_load_dword v172, off, s[0:3], 0 offset:464
	buffer_load_dword v153, off, s[0:3], 0 offset:524
	buffer_load_dword v152, off, s[0:3], 0 offset:520
	buffer_load_dword v155, off, s[0:3], 0 offset:516
	buffer_load_dword v154, off, s[0:3], 0 offset:512
	buffer_load_dword v177, off, s[0:3], 0 offset:508
	buffer_load_dword v176, off, s[0:3], 0 offset:504
	buffer_load_dword v181, off, s[0:3], 0 offset:500
	buffer_load_dword v180, off, s[0:3], 0 offset:496
	buffer_load_dword v157, off, s[0:3], 0 offset:556
	buffer_load_dword v156, off, s[0:3], 0 offset:552
	buffer_load_dword v159, off, s[0:3], 0 offset:548
	buffer_load_dword v158, off, s[0:3], 0 offset:544
	buffer_load_dword v185, off, s[0:3], 0 offset:540
	buffer_load_dword v184, off, s[0:3], 0 offset:536
	buffer_load_dword v189, off, s[0:3], 0 offset:532
	buffer_load_dword v188, off, s[0:3], 0 offset:528
	buffer_load_dword v163, off, s[0:3], 0 offset:588
	buffer_load_dword v162, off, s[0:3], 0 offset:584
	buffer_load_dword v167, off, s[0:3], 0 offset:580
	buffer_load_dword v166, off, s[0:3], 0 offset:576
	buffer_load_dword v193, off, s[0:3], 0 offset:572
	buffer_load_dword v192, off, s[0:3], 0 offset:568
	buffer_load_dword v195, off, s[0:3], 0 offset:564
	buffer_load_dword v194, off, s[0:3], 0 offset:560
	buffer_load_dword v171, off, s[0:3], 0 offset:620
	buffer_load_dword v170, off, s[0:3], 0 offset:616
	buffer_load_dword v175, off, s[0:3], 0 offset:612
	buffer_load_dword v174, off, s[0:3], 0 offset:608
	buffer_load_dword v197, off, s[0:3], 0 offset:604
	buffer_load_dword v196, off, s[0:3], 0 offset:600
	buffer_load_dword v199, off, s[0:3], 0 offset:596
	buffer_load_dword v198, off, s[0:3], 0 offset:592
	buffer_load_dword v179, off, s[0:3], 0 offset:652
	buffer_load_dword v178, off, s[0:3], 0 offset:648
	buffer_load_dword v183, off, s[0:3], 0 offset:644
	buffer_load_dword v182, off, s[0:3], 0 offset:640
	buffer_load_dword v201, off, s[0:3], 0 offset:636
	buffer_load_dword v200, off, s[0:3], 0 offset:632
	buffer_load_dword v203, off, s[0:3], 0 offset:628
	buffer_load_dword v202, off, s[0:3], 0 offset:624
	buffer_load_dword v187, off, s[0:3], 0 offset:684
	buffer_load_dword v186, off, s[0:3], 0 offset:680
	buffer_load_dword v191, off, s[0:3], 0 offset:676
	buffer_load_dword v190, off, s[0:3], 0 offset:672
	buffer_load_dword v205, off, s[0:3], 0 offset:668
	buffer_load_dword v204, off, s[0:3], 0 offset:664
	buffer_load_dword v207, off, s[0:3], 0 offset:660
	buffer_load_dword v206, off, s[0:3], 0 offset:656
	s_waitcnt vmcnt(62) lgkmcnt(8)
	v_mul_f64 v[10:11], v[74:75], v[106:107]
	v_fmac_f64_e32 v[10:11], v[76:77], v[84:85]
	v_add_f64 v[10:11], v[10:11], 0
	v_mul_f64 v[76:77], v[76:77], v[106:107]
	s_waitcnt lgkmcnt(7)
	v_mul_f64 v[12:13], v[78:79], v[96:97]
	v_fmac_f64_e32 v[12:13], v[80:81], v[82:83]
	s_waitcnt lgkmcnt(6)
	v_mul_f64 v[14:15], v[86:87], v[94:95]
	v_add_f64 v[10:11], v[10:11], v[12:13]
	s_waitcnt lgkmcnt(4)
	v_mul_f64 v[18:19], v[98:99], v[108:109]
	v_fma_f64 v[208:209], v[74:75], v[84:85], -v[76:77]
	v_fmac_f64_e32 v[18:19], v[100:101], v[114:115]
	v_mul_f64 v[80:81], v[80:81], v[96:97]
	v_mul_f64 v[16:17], v[90:91], v[116:117]
	v_fma_f64 v[210:211], v[78:79], v[82:83], -v[80:81]
	s_waitcnt lgkmcnt(2)
	v_mul_f64 v[22:23], v[110:111], v[240:241]
	v_mul_f64 v[100:101], v[100:101], v[108:109]
	v_fma_f64 v[214:215], v[98:99], v[114:115], -v[100:101]
	v_mul_f64 v[20:21], v[102:103], v[244:245]
	v_add_f64 v[208:209], v[208:209], 0
	s_waitcnt lgkmcnt(1)
	v_mul_f64 v[24:25], v[2:3], v[120:121]
	v_add_f64 v[208:209], v[208:209], v[210:211]
	v_fmac_f64_e32 v[14:15], v[88:89], v[250:251]
	v_add_f64 v[10:11], v[10:11], v[14:15]
	v_fmac_f64_e32 v[16:17], v[92:93], v[248:249]
	;; [unrolled: 2-line block ×4, first 2 shown]
	v_add_f64 v[10:11], v[10:11], v[20:21]
	v_add_f64 v[10:11], v[10:11], v[22:23]
	s_waitcnt lgkmcnt(0)
	v_mul_f64 v[16:17], v[6:7], v[122:123]
	v_fmac_f64_e32 v[16:17], v[8:9], v[124:125]
	v_fmac_f64_e32 v[24:25], v[4:5], v[126:127]
	v_add_f64 v[14:15], v[10:11], v[24:25]
	ds_read_b128 v[10:13], v1 offset:1136
	v_add_f64 v[18:19], v[14:15], v[16:17]
	ds_read_b128 v[14:17], v1 offset:1152
	v_mul_f64 v[88:89], v[88:89], v[94:95]
	v_mul_f64 v[92:93], v[92:93], v[116:117]
	s_waitcnt lgkmcnt(1)
	v_mul_f64 v[20:21], v[10:11], v[132:133]
	v_fmac_f64_e32 v[20:21], v[12:13], v[134:135]
	s_waitcnt lgkmcnt(0)
	v_mul_f64 v[24:25], v[14:15], v[128:129]
	v_add_f64 v[22:23], v[18:19], v[20:21]
	ds_read_b128 v[18:21], v1 offset:1168
	v_fmac_f64_e32 v[24:25], v[16:17], v[130:131]
	v_add_f64 v[26:27], v[22:23], v[24:25]
	ds_read_b128 v[22:25], v1 offset:1184
	v_fma_f64 v[212:213], v[90:91], v[248:249], -v[92:93]
	s_waitcnt lgkmcnt(1)
	v_mul_f64 v[28:29], v[18:19], v[144:145]
	v_fmac_f64_e32 v[28:29], v[20:21], v[146:147]
	v_add_f64 v[30:31], v[26:27], v[28:29]
	s_waitcnt lgkmcnt(0)
	v_mul_f64 v[32:33], v[22:23], v[136:137]
	ds_read_b128 v[26:29], v1 offset:1200
	v_fmac_f64_e32 v[32:33], v[24:25], v[138:139]
	v_add_f64 v[34:35], v[30:31], v[32:33]
	ds_read_b128 v[30:33], v1 offset:1216
	v_mul_f64 v[104:105], v[104:105], v[244:245]
	s_waitcnt vmcnt(58) lgkmcnt(1)
	v_mul_f64 v[36:37], v[26:27], v[160:161]
	s_waitcnt vmcnt(56)
	v_fmac_f64_e32 v[36:37], v[28:29], v[164:165]
	v_add_f64 v[38:39], v[34:35], v[36:37]
	s_waitcnt lgkmcnt(0)
	v_mul_f64 v[40:41], v[30:31], v[140:141]
	ds_read_b128 v[34:37], v1 offset:1232
	v_fmac_f64_e32 v[40:41], v[32:33], v[142:143]
	v_add_f64 v[42:43], v[38:39], v[40:41]
	ds_read_b128 v[38:41], v1 offset:1248
	v_mul_f64 v[112:113], v[112:113], v[240:241]
	s_waitcnt vmcnt(50) lgkmcnt(1)
	v_mul_f64 v[44:45], v[34:35], v[168:169]
	s_waitcnt vmcnt(48)
	v_fmac_f64_e32 v[44:45], v[36:37], v[172:173]
	v_add_f64 v[46:47], v[42:43], v[44:45]
	s_waitcnt lgkmcnt(0)
	v_mul_f64 v[48:49], v[38:39], v[148:149]
	v_fmac_f64_e32 v[48:49], v[40:41], v[150:151]
	ds_read_b128 v[42:45], v1 offset:1264
	v_add_f64 v[50:51], v[46:47], v[48:49]
	ds_read_b128 v[46:49], v1 offset:1280
	buffer_load_dword v217, off, s[0:3], 0 offset:716
	buffer_load_dword v219, off, s[0:3], 0 offset:700
	;; [unrolled: 1-line block ×12, first 2 shown]
	v_fma_f64 v[252:253], v[110:111], v[242:243], -v[112:113]
	s_waitcnt vmcnt(54) lgkmcnt(1)
	v_mul_f64 v[52:53], v[42:43], v[176:177]
	s_waitcnt vmcnt(52)
	v_fmac_f64_e32 v[52:53], v[44:45], v[180:181]
	v_add_f64 v[54:55], v[50:51], v[52:53]
	ds_read_b128 v[50:53], v1 offset:1296
	s_waitcnt lgkmcnt(1)
	v_mul_f64 v[56:57], v[46:47], v[152:153]
	v_fmac_f64_e32 v[56:57], v[48:49], v[154:155]
	buffer_load_dword v231, off, s[0:3], 0 offset:748
	buffer_load_dword v230, off, s[0:3], 0 offset:744
	;; [unrolled: 1-line block ×12, first 2 shown]
	v_add_f64 v[58:59], v[54:55], v[56:57]
	ds_read_b128 v[54:57], v1 offset:1312
	s_waitcnt vmcnt(58) lgkmcnt(1)
	v_mul_f64 v[60:61], v[50:51], v[184:185]
	s_waitcnt vmcnt(56)
	v_fmac_f64_e32 v[60:61], v[52:53], v[188:189]
	v_add_f64 v[62:63], v[58:59], v[60:61]
	ds_read_b128 v[58:61], v1 offset:1328
	s_waitcnt lgkmcnt(1)
	v_mul_f64 v[64:65], v[54:55], v[156:157]
	v_fmac_f64_e32 v[64:65], v[56:57], v[158:159]
	v_add_f64 v[70:71], v[62:63], v[64:65]
	ds_read_b128 v[62:65], v1 offset:1344
	ds_read_b128 v[66:69], v1 offset:1360
	s_waitcnt vmcnt(50) lgkmcnt(2)
	v_mul_f64 v[72:73], v[58:59], v[192:193]
	s_waitcnt vmcnt(48)
	v_fmac_f64_e32 v[72:73], v[60:61], v[194:195]
	v_add_f64 v[70:71], v[70:71], v[72:73]
	s_waitcnt lgkmcnt(1)
	v_mul_f64 v[72:73], v[62:63], v[162:163]
	v_fmac_f64_e32 v[72:73], v[64:65], v[166:167]
	v_add_f64 v[70:71], v[70:71], v[72:73]
	s_waitcnt vmcnt(42) lgkmcnt(0)
	v_mul_f64 v[72:73], v[66:67], v[196:197]
	s_waitcnt vmcnt(40)
	v_fmac_f64_e32 v[72:73], v[68:69], v[198:199]
	v_add_f64 v[118:119], v[70:71], v[72:73]
	ds_read_b128 v[70:73], v1 offset:1376
	ds_read_b128 v[74:77], v1 offset:1392
	ds_read_b128 v[78:81], v1 offset:1408
	ds_read_b128 v[90:93], v1 offset:1456
	ds_read_b128 v[98:101], v1 offset:1488
	s_waitcnt lgkmcnt(4)
	v_mul_f64 v[84:85], v[70:71], v[170:171]
	v_fmac_f64_e32 v[84:85], v[72:73], v[174:175]
	v_add_f64 v[82:83], v[118:119], v[84:85]
	s_waitcnt vmcnt(34) lgkmcnt(3)
	v_mul_f64 v[84:85], v[74:75], v[200:201]
	s_waitcnt vmcnt(32)
	v_fmac_f64_e32 v[84:85], v[76:77], v[202:203]
	v_add_f64 v[82:83], v[82:83], v[84:85]
	v_fma_f64 v[118:119], v[86:87], v[250:251], -v[88:89]
	ds_read_b128 v[86:89], v1 offset:1440
	s_waitcnt lgkmcnt(3)
	v_mul_f64 v[84:85], v[78:79], v[178:179]
	v_fmac_f64_e32 v[84:85], v[80:81], v[182:183]
	v_add_f64 v[96:97], v[82:83], v[84:85]
	ds_read_b128 v[82:85], v1 offset:1424
	v_fma_f64 v[250:251], v[102:103], v[246:247], -v[104:105]
	ds_read_b128 v[110:113], v1 offset:1536
	v_add_f64 v[118:119], v[208:209], v[118:119]
	v_add_f64 v[118:119], v[118:119], v[212:213]
	s_waitcnt vmcnt(26) lgkmcnt(1)
	v_mul_f64 v[94:95], v[82:83], v[204:205]
	s_waitcnt vmcnt(24)
	v_fmac_f64_e32 v[94:95], v[84:85], v[206:207]
	v_add_f64 v[94:95], v[96:97], v[94:95]
	v_mul_f64 v[96:97], v[86:87], v[186:187]
	v_fmac_f64_e32 v[96:97], v[88:89], v[190:191]
	v_add_f64 v[106:107], v[94:95], v[96:97]
	ds_read_b128 v[94:97], v1 offset:1472
	v_add_f64 v[254:255], v[118:119], v[214:215]
	v_add_f64 v[118:119], v[254:255], v[250:251]
	v_mul_f64 v[4:5], v[4:5], v[120:121]
	v_add_f64 v[118:119], v[118:119], v[252:253]
	ds_read_b128 v[102:105], v1 offset:1520
	v_fma_f64 v[2:3], v[2:3], v[126:127], -v[4:5]
	v_mul_f64 v[4:5], v[8:9], v[122:123]
	v_add_f64 v[2:3], v[118:119], v[2:3]
	v_fma_f64 v[4:5], v[6:7], v[124:125], -v[4:5]
	v_add_f64 v[2:3], v[2:3], v[4:5]
	v_mul_f64 v[4:5], v[12:13], v[132:133]
	v_fma_f64 v[4:5], v[10:11], v[134:135], -v[4:5]
	v_add_f64 v[2:3], v[2:3], v[4:5]
	v_mul_f64 v[4:5], v[16:17], v[128:129]
	s_waitcnt vmcnt(21)
	v_mul_f64 v[108:109], v[90:91], v[218:219]
	v_fma_f64 v[4:5], v[14:15], v[130:131], -v[4:5]
	s_waitcnt vmcnt(19)
	v_fmac_f64_e32 v[108:109], v[92:93], v[224:225]
	v_add_f64 v[106:107], v[106:107], v[108:109]
	s_waitcnt vmcnt(18) lgkmcnt(1)
	v_mul_f64 v[108:109], v[94:95], v[216:217]
	s_waitcnt vmcnt(16)
	v_fmac_f64_e32 v[108:109], v[96:97], v[222:223]
	v_add_f64 v[114:115], v[106:107], v[108:109]
	ds_read_b128 v[106:109], v1 offset:1504
	buffer_load_dword v243, off, s[0:3], 0 offset:796
	buffer_load_dword v242, off, s[0:3], 0 offset:792
	;; [unrolled: 1-line block ×4, first 2 shown]
	s_waitcnt vmcnt(18)
	v_mul_f64 v[116:117], v[98:99], v[220:221]
	s_waitcnt vmcnt(16)
	v_fmac_f64_e32 v[116:117], v[100:101], v[226:227]
	v_add_f64 v[114:115], v[114:115], v[116:117]
	s_waitcnt vmcnt(14) lgkmcnt(0)
	v_mul_f64 v[116:117], v[106:107], v[230:231]
	s_waitcnt vmcnt(12)
	v_fmac_f64_e32 v[116:117], v[108:109], v[232:233]
	v_add_f64 v[114:115], v[114:115], v[116:117]
	s_waitcnt vmcnt(9)
	v_mul_f64 v[116:117], v[102:103], v[236:237]
	s_waitcnt vmcnt(7)
	v_fmac_f64_e32 v[116:117], v[104:105], v[238:239]
	v_add_f64 v[114:115], v[114:115], v[116:117]
	s_waitcnt vmcnt(5)
	v_mul_f64 v[116:117], v[110:111], v[228:229]
	s_waitcnt vmcnt(4)
	v_fmac_f64_e32 v[116:117], v[112:113], v[234:235]
	v_add_f64 v[240:241], v[114:115], v[116:117]
	ds_read_b128 v[114:117], v1 offset:1552
	v_add_f64 v[2:3], v[2:3], v[4:5]
	v_mul_f64 v[4:5], v[20:21], v[144:145]
	v_fma_f64 v[4:5], v[18:19], v[146:147], -v[4:5]
	v_add_f64 v[2:3], v[2:3], v[4:5]
	v_mul_f64 v[4:5], v[24:25], v[136:137]
	v_fma_f64 v[4:5], v[22:23], v[138:139], -v[4:5]
	;; [unrolled: 3-line block ×21, first 2 shown]
	v_add_f64 v[2:3], v[2:3], v[4:5]
	s_waitcnt vmcnt(2) lgkmcnt(0)
	v_mul_f64 v[246:247], v[114:115], v[242:243]
	v_mul_f64 v[4:5], v[108:109], v[230:231]
	s_waitcnt vmcnt(0)
	v_fmac_f64_e32 v[246:247], v[116:117], v[244:245]
	v_add_f64 v[240:241], v[240:241], v[246:247]
	buffer_load_dword v248, off, s[0:3], 0 offset:208
	buffer_load_dword v249, off, s[0:3], 0 offset:212
	;; [unrolled: 1-line block ×4, first 2 shown]
	v_fma_f64 v[4:5], v[106:107], v[232:233], -v[4:5]
	v_add_f64 v[2:3], v[2:3], v[4:5]
	v_mul_f64 v[4:5], v[104:105], v[236:237]
	v_fma_f64 v[4:5], v[102:103], v[238:239], -v[4:5]
	v_add_f64 v[2:3], v[2:3], v[4:5]
	v_mul_f64 v[4:5], v[112:113], v[228:229]
	;; [unrolled: 3-line block ×3, first 2 shown]
	v_fma_f64 v[4:5], v[114:115], v[244:245], -v[4:5]
	v_add_f64 v[2:3], v[2:3], v[4:5]
	v_accvgpr_read_b32 v254, a146
	v_cmp_lt_u32_e32 vcc, 11, v254
	s_waitcnt vmcnt(2)
	v_add_f64 v[2:3], v[248:249], -v[2:3]
	s_waitcnt vmcnt(0)
	v_add_f64 v[4:5], v[246:247], -v[240:241]
	buffer_store_dword v3, off, s[0:3], 0 offset:212
	buffer_store_dword v2, off, s[0:3], 0 offset:208
	;; [unrolled: 1-line block ×4, first 2 shown]
	s_and_saveexec_b64 s[4:5], vcc
	s_cbranch_execz .LBB112_285
; %bb.284:
	v_accvgpr_read_b32 v0, a135
	buffer_load_dword v2, v0, s[0:3], 0 offen
	buffer_load_dword v3, v0, s[0:3], 0 offen offset:4
	buffer_load_dword v4, v0, s[0:3], 0 offen offset:8
	;; [unrolled: 1-line block ×3, first 2 shown]
	v_mov_b32_e32 v0, 0
	v_accvgpr_read_b32 v1, a147
	buffer_store_dword v0, off, s[0:3], 0 offset:192
	buffer_store_dword v0, off, s[0:3], 0 offset:196
	;; [unrolled: 1-line block ×4, first 2 shown]
	s_waitcnt vmcnt(4)
	ds_write_b128 v1, v[2:5]
.LBB112_285:
	s_or_b64 exec, exec, s[4:5]
	s_waitcnt lgkmcnt(0)
	; wave barrier
	s_waitcnt lgkmcnt(0)
	buffer_load_dword v66, off, s[0:3], 0 offset:208
	buffer_load_dword v67, off, s[0:3], 0 offset:212
	;; [unrolled: 1-line block ×55, first 2 shown]
	v_mov_b32_e32 v1, 0
	ds_read_b128 v[74:77], v1 offset:976
	ds_read_b128 v[86:89], v1 offset:992
	;; [unrolled: 1-line block ×9, first 2 shown]
	buffer_load_dword v138, off, s[0:3], 0 offset:432
	buffer_load_dword v157, off, s[0:3], 0 offset:428
	;; [unrolled: 1-line block ×61, first 2 shown]
	v_cmp_lt_u32_e32 vcc, 10, v254
	s_waitcnt vmcnt(62) lgkmcnt(8)
	v_mul_f64 v[6:7], v[74:75], v[68:69]
	v_fmac_f64_e32 v[6:7], v[76:77], v[66:67]
	v_add_f64 v[6:7], v[6:7], 0
	v_mul_f64 v[68:69], v[76:77], v[68:69]
	s_waitcnt lgkmcnt(7)
	v_mul_f64 v[8:9], v[86:87], v[72:73]
	v_fmac_f64_e32 v[8:9], v[88:89], v[70:71]
	s_waitcnt lgkmcnt(6)
	v_mul_f64 v[10:11], v[98:99], v[78:79]
	v_add_f64 v[6:7], v[6:7], v[8:9]
	s_waitcnt lgkmcnt(4)
	v_mul_f64 v[14:15], v[114:115], v[90:91]
	v_fma_f64 v[208:209], v[74:75], v[66:67], -v[68:69]
	v_fmac_f64_e32 v[14:15], v[116:117], v[92:93]
	v_mul_f64 v[72:73], v[88:89], v[72:73]
	v_mul_f64 v[12:13], v[110:111], v[82:83]
	;; [unrolled: 1-line block ×3, first 2 shown]
	s_waitcnt lgkmcnt(2)
	v_mul_f64 v[18:19], v[244:245], v[102:103]
	v_mul_f64 v[82:83], v[112:113], v[82:83]
	;; [unrolled: 1-line block ×4, first 2 shown]
	v_fma_f64 v[214:215], v[114:115], v[92:93], -v[90:91]
	s_waitcnt lgkmcnt(1)
	v_mul_f64 v[20:21], v[248:249], v[106:107]
	v_fmac_f64_e32 v[20:21], v[250:251], v[108:109]
	v_fmac_f64_e32 v[10:11], v[100:101], v[80:81]
	v_add_f64 v[6:7], v[6:7], v[10:11]
	v_fmac_f64_e32 v[12:13], v[112:113], v[84:85]
	v_add_f64 v[6:7], v[6:7], v[12:13]
	v_fmac_f64_e32 v[16:17], v[242:243], v[96:97]
	v_add_f64 v[6:7], v[6:7], v[14:15]
	v_fmac_f64_e32 v[18:19], v[246:247], v[104:105]
	v_add_f64 v[6:7], v[6:7], v[16:17]
	v_add_f64 v[6:7], v[6:7], v[18:19]
	v_add_f64 v[10:11], v[6:7], v[20:21]
	ds_read_b128 v[6:9], v1 offset:1120
	s_waitcnt lgkmcnt(1)
	v_mul_f64 v[12:13], v[2:3], v[120:121]
	v_fmac_f64_e32 v[12:13], v[4:5], v[122:123]
	v_add_f64 v[14:15], v[10:11], v[12:13]
	ds_read_b128 v[10:13], v1 offset:1136
	s_waitcnt lgkmcnt(1)
	v_mul_f64 v[16:17], v[6:7], v[128:129]
	v_fmac_f64_e32 v[16:17], v[8:9], v[130:131]
	;; [unrolled: 5-line block ×5, first 2 shown]
	v_add_f64 v[30:31], v[26:27], v[28:29]
	ds_read_b128 v[26:29], v1 offset:1200
	s_waitcnt vmcnt(58) lgkmcnt(1)
	v_mul_f64 v[32:33], v[22:23], v[156:157]
	s_waitcnt vmcnt(56)
	v_fmac_f64_e32 v[32:33], v[24:25], v[160:161]
	v_add_f64 v[34:35], v[30:31], v[32:33]
	ds_read_b128 v[30:33], v1 offset:1216
	s_waitcnt lgkmcnt(1)
	v_mul_f64 v[36:37], v[26:27], v[136:137]
	v_fmac_f64_e32 v[36:37], v[28:29], v[138:139]
	v_add_f64 v[38:39], v[34:35], v[36:37]
	ds_read_b128 v[34:37], v1 offset:1232
	s_waitcnt vmcnt(50) lgkmcnt(1)
	v_mul_f64 v[40:41], v[30:31], v[164:165]
	s_waitcnt vmcnt(48)
	v_fmac_f64_e32 v[40:41], v[32:33], v[168:169]
	v_add_f64 v[42:43], v[38:39], v[40:41]
	ds_read_b128 v[38:41], v1 offset:1248
	s_waitcnt lgkmcnt(1)
	v_mul_f64 v[44:45], v[34:35], v[144:145]
	v_fmac_f64_e32 v[44:45], v[36:37], v[146:147]
	v_add_f64 v[46:47], v[42:43], v[44:45]
	ds_read_b128 v[42:45], v1 offset:1264
	s_waitcnt vmcnt(42) lgkmcnt(1)
	v_mul_f64 v[48:49], v[38:39], v[172:173]
	s_waitcnt vmcnt(40)
	v_fmac_f64_e32 v[48:49], v[40:41], v[176:177]
	v_add_f64 v[50:51], v[46:47], v[48:49]
	ds_read_b128 v[46:49], v1 offset:1280
	buffer_load_dword v205, off, s[0:3], 0 offset:684
	buffer_load_dword v204, off, s[0:3], 0 offset:680
	;; [unrolled: 1-line block ×4, first 2 shown]
	s_waitcnt lgkmcnt(1)
	v_mul_f64 v[52:53], v[42:43], v[148:149]
	v_fmac_f64_e32 v[52:53], v[44:45], v[150:151]
	v_add_f64 v[54:55], v[50:51], v[52:53]
	ds_read_b128 v[50:53], v1 offset:1296
	buffer_load_dword v217, off, s[0:3], 0 offset:700
	buffer_load_dword v216, off, s[0:3], 0 offset:696
	;; [unrolled: 1-line block ×8, first 2 shown]
	s_waitcnt vmcnt(46) lgkmcnt(1)
	v_mul_f64 v[56:57], v[46:47], v[180:181]
	s_waitcnt vmcnt(44)
	v_fmac_f64_e32 v[56:57], v[48:49], v[184:185]
	v_add_f64 v[58:59], v[54:55], v[56:57]
	ds_read_b128 v[54:57], v1 offset:1312
	buffer_load_dword v227, off, s[0:3], 0 offset:732
	buffer_load_dword v226, off, s[0:3], 0 offset:728
	;; [unrolled: 1-line block ×12, first 2 shown]
	s_waitcnt lgkmcnt(1)
	v_mul_f64 v[60:61], v[50:51], v[152:153]
	v_fmac_f64_e32 v[60:61], v[52:53], v[154:155]
	v_add_f64 v[62:63], v[58:59], v[60:61]
	ds_read_b128 v[58:61], v1 offset:1328
	s_waitcnt vmcnt(50) lgkmcnt(1)
	v_mul_f64 v[64:65], v[54:55], v[188:189]
	s_waitcnt vmcnt(48)
	v_fmac_f64_e32 v[64:65], v[56:57], v[190:191]
	v_add_f64 v[62:63], v[62:63], v[64:65]
	buffer_load_dword v237, off, s[0:3], 0 offset:780
	buffer_load_dword v236, off, s[0:3], 0 offset:776
	;; [unrolled: 1-line block ×4, first 2 shown]
	s_waitcnt lgkmcnt(0)
	v_mul_f64 v[64:65], v[58:59], v[158:159]
	v_fmac_f64_e32 v[64:65], v[60:61], v[162:163]
	v_add_f64 v[118:119], v[62:63], v[64:65]
	ds_read_b128 v[62:65], v1 offset:1344
	ds_read_b128 v[66:69], v1 offset:1360
	v_fma_f64 v[210:211], v[98:99], v[80:81], -v[78:79]
	ds_read_b128 v[78:81], v1 offset:1408
	v_fma_f64 v[212:213], v[110:111], v[84:85], -v[82:83]
	ds_read_b128 v[82:85], v1 offset:1424
	s_waitcnt vmcnt(46) lgkmcnt(3)
	v_mul_f64 v[74:75], v[62:63], v[192:193]
	s_waitcnt vmcnt(44)
	v_fmac_f64_e32 v[74:75], v[64:65], v[194:195]
	v_add_f64 v[74:75], v[118:119], v[74:75]
	v_fma_f64 v[118:119], v[86:87], v[70:71], -v[72:73]
	ds_read_b128 v[70:73], v1 offset:1376
	s_waitcnt lgkmcnt(3)
	v_mul_f64 v[76:77], v[66:67], v[166:167]
	v_fmac_f64_e32 v[76:77], v[68:69], v[170:171]
	v_add_f64 v[86:87], v[74:75], v[76:77]
	ds_read_b128 v[74:77], v1 offset:1392
	s_waitcnt vmcnt(38) lgkmcnt(1)
	v_mul_f64 v[88:89], v[70:71], v[196:197]
	s_waitcnt vmcnt(36)
	v_fmac_f64_e32 v[88:89], v[72:73], v[198:199]
	v_add_f64 v[86:87], v[86:87], v[88:89]
	ds_read_b128 v[90:93], v1 offset:1456
	s_waitcnt lgkmcnt(1)
	v_mul_f64 v[88:89], v[74:75], v[174:175]
	v_fmac_f64_e32 v[88:89], v[76:77], v[178:179]
	v_add_f64 v[86:87], v[86:87], v[88:89]
	s_waitcnt vmcnt(30)
	v_mul_f64 v[88:89], v[78:79], v[200:201]
	s_waitcnt vmcnt(28)
	v_fmac_f64_e32 v[88:89], v[80:81], v[202:203]
	v_add_f64 v[86:87], v[86:87], v[88:89]
	v_mul_f64 v[88:89], v[82:83], v[182:183]
	v_fmac_f64_e32 v[88:89], v[84:85], v[186:187]
	v_add_f64 v[98:99], v[86:87], v[88:89]
	ds_read_b128 v[86:89], v1 offset:1440
	v_mul_f64 v[94:95], v[242:243], v[94:95]
	v_fma_f64 v[252:253], v[240:241], v[96:97], -v[94:95]
	ds_read_b128 v[94:97], v1 offset:1472
	v_mul_f64 v[102:103], v[246:247], v[102:103]
	v_fma_f64 v[246:247], v[244:245], v[104:105], -v[102:103]
	;; [unrolled: 3-line block ×3, first 2 shown]
	v_add_f64 v[208:209], v[208:209], 0
	v_add_f64 v[118:119], v[208:209], v[118:119]
	;; [unrolled: 1-line block ×7, first 2 shown]
	v_mul_f64 v[4:5], v[4:5], v[120:121]
	v_add_f64 v[118:119], v[252:253], v[250:251]
	v_fma_f64 v[2:3], v[2:3], v[122:123], -v[4:5]
	v_mul_f64 v[4:5], v[8:9], v[128:129]
	v_add_f64 v[2:3], v[118:119], v[2:3]
	v_fma_f64 v[4:5], v[6:7], v[130:131], -v[4:5]
	v_add_f64 v[2:3], v[2:3], v[4:5]
	ds_read_b128 v[106:109], v1 offset:1520
	v_mul_f64 v[4:5], v[12:13], v[124:125]
	v_fma_f64 v[4:5], v[10:11], v[126:127], -v[4:5]
	v_add_f64 v[2:3], v[2:3], v[4:5]
	s_waitcnt vmcnt(26) lgkmcnt(3)
	v_mul_f64 v[100:101], v[86:87], v[204:205]
	v_mul_f64 v[4:5], v[16:17], v[140:141]
	s_waitcnt vmcnt(24)
	v_fmac_f64_e32 v[100:101], v[88:89], v[206:207]
	v_add_f64 v[98:99], v[98:99], v[100:101]
	s_waitcnt vmcnt(22)
	v_mul_f64 v[100:101], v[90:91], v[216:217]
	s_waitcnt vmcnt(20)
	v_fmac_f64_e32 v[100:101], v[92:93], v[220:221]
	v_add_f64 v[98:99], v[98:99], v[100:101]
	s_waitcnt vmcnt(18) lgkmcnt(2)
	v_mul_f64 v[100:101], v[94:95], v[218:219]
	s_waitcnt vmcnt(16)
	v_fmac_f64_e32 v[100:101], v[96:97], v[222:223]
	v_add_f64 v[110:111], v[98:99], v[100:101]
	ds_read_b128 v[98:101], v1 offset:1488
	v_fma_f64 v[4:5], v[14:15], v[142:143], -v[4:5]
	v_add_f64 v[2:3], v[2:3], v[4:5]
	v_mul_f64 v[4:5], v[20:21], v[132:133]
	v_fma_f64 v[4:5], v[18:19], v[134:135], -v[4:5]
	s_waitcnt vmcnt(14) lgkmcnt(0)
	v_mul_f64 v[112:113], v[98:99], v[226:227]
	s_waitcnt vmcnt(12)
	v_fmac_f64_e32 v[112:113], v[100:101], v[228:229]
	v_add_f64 v[110:111], v[110:111], v[112:113]
	s_waitcnt vmcnt(9)
	v_mul_f64 v[112:113], v[102:103], v[232:233]
	s_waitcnt vmcnt(7)
	v_fmac_f64_e32 v[112:113], v[104:105], v[234:235]
	v_add_f64 v[110:111], v[110:111], v[112:113]
	s_waitcnt vmcnt(5)
	v_mul_f64 v[112:113], v[106:107], v[224:225]
	s_waitcnt vmcnt(4)
	v_fmac_f64_e32 v[112:113], v[108:109], v[230:231]
	v_add_f64 v[114:115], v[110:111], v[112:113]
	ds_read_b128 v[110:113], v1 offset:1536
	buffer_load_dword v242, off, s[0:3], 0 offset:792
	buffer_load_dword v243, off, s[0:3], 0 offset:796
	;; [unrolled: 1-line block ×4, first 2 shown]
	v_add_f64 v[2:3], v[2:3], v[4:5]
	v_mul_f64 v[4:5], v[24:25], v[156:157]
	v_fma_f64 v[4:5], v[22:23], v[160:161], -v[4:5]
	s_waitcnt vmcnt(6) lgkmcnt(0)
	v_mul_f64 v[116:117], v[110:111], v[236:237]
	s_waitcnt vmcnt(4)
	v_fmac_f64_e32 v[116:117], v[112:113], v[238:239]
	v_add_f64 v[240:241], v[114:115], v[116:117]
	ds_read_b128 v[114:117], v1 offset:1552
	v_add_f64 v[2:3], v[2:3], v[4:5]
	v_mul_f64 v[4:5], v[28:29], v[136:137]
	v_fma_f64 v[4:5], v[26:27], v[138:139], -v[4:5]
	v_add_f64 v[2:3], v[2:3], v[4:5]
	v_mul_f64 v[4:5], v[32:33], v[164:165]
	v_fma_f64 v[4:5], v[30:31], v[168:169], -v[4:5]
	;; [unrolled: 3-line block ×22, first 2 shown]
	v_add_f64 v[2:3], v[2:3], v[4:5]
	s_waitcnt vmcnt(2) lgkmcnt(0)
	v_mul_f64 v[248:249], v[114:115], v[242:243]
	v_mul_f64 v[4:5], v[116:117], v[242:243]
	s_waitcnt vmcnt(0)
	v_fmac_f64_e32 v[248:249], v[116:117], v[244:245]
	v_add_f64 v[240:241], v[240:241], v[248:249]
	buffer_load_dword v248, off, s[0:3], 0 offset:192
	buffer_load_dword v249, off, s[0:3], 0 offset:196
	;; [unrolled: 1-line block ×4, first 2 shown]
	v_fma_f64 v[4:5], v[114:115], v[244:245], -v[4:5]
	v_add_f64 v[2:3], v[2:3], v[4:5]
	s_waitcnt vmcnt(2)
	v_add_f64 v[2:3], v[248:249], -v[2:3]
	s_waitcnt vmcnt(0)
	v_add_f64 v[4:5], v[246:247], -v[240:241]
	buffer_store_dword v3, off, s[0:3], 0 offset:196
	buffer_store_dword v2, off, s[0:3], 0 offset:192
	;; [unrolled: 1-line block ×4, first 2 shown]
	s_and_saveexec_b64 s[4:5], vcc
	s_cbranch_execz .LBB112_287
; %bb.286:
	v_accvgpr_read_b32 v0, a136
	buffer_load_dword v2, v0, s[0:3], 0 offen
	buffer_load_dword v3, v0, s[0:3], 0 offen offset:4
	buffer_load_dword v4, v0, s[0:3], 0 offen offset:8
	buffer_load_dword v5, v0, s[0:3], 0 offen offset:12
	v_accvgpr_read_b32 v0, a147
	buffer_store_dword v1, off, s[0:3], 0 offset:176
	buffer_store_dword v1, off, s[0:3], 0 offset:180
	;; [unrolled: 1-line block ×4, first 2 shown]
	s_waitcnt vmcnt(4)
	ds_write_b128 v0, v[2:5]
.LBB112_287:
	s_or_b64 exec, exec, s[4:5]
	s_waitcnt lgkmcnt(0)
	; wave barrier
	s_waitcnt lgkmcnt(0)
	buffer_load_dword v66, off, s[0:3], 0 offset:192
	buffer_load_dword v67, off, s[0:3], 0 offset:196
	;; [unrolled: 1-line block ×42, first 2 shown]
	ds_read_b128 v[78:81], v1 offset:960
	ds_read_b128 v[90:93], v1 offset:976
	;; [unrolled: 1-line block ×10, first 2 shown]
	buffer_load_dword v131, off, s[0:3], 0 offset:340
	buffer_load_dword v130, off, s[0:3], 0 offset:336
	ds_read_b128 v[6:9], v1 offset:1120
	buffer_load_dword v127, off, s[0:3], 0 offset:396
	buffer_load_dword v126, off, s[0:3], 0 offset:392
	;; [unrolled: 1-line block ×80, first 2 shown]
	s_waitcnt vmcnt(62) lgkmcnt(10)
	v_mul_f64 v[10:11], v[78:79], v[68:69]
	v_fmac_f64_e32 v[10:11], v[80:81], v[66:67]
	v_add_f64 v[10:11], v[10:11], 0
	v_mul_f64 v[68:69], v[80:81], v[68:69]
	s_waitcnt lgkmcnt(9)
	v_mul_f64 v[12:13], v[90:91], v[64:65]
	v_fmac_f64_e32 v[12:13], v[92:93], v[62:63]
	s_waitcnt lgkmcnt(8)
	v_mul_f64 v[14:15], v[102:103], v[70:71]
	v_add_f64 v[10:11], v[10:11], v[12:13]
	s_waitcnt lgkmcnt(6)
	v_mul_f64 v[18:19], v[114:115], v[82:83]
	v_mul_f64 v[64:65], v[92:93], v[64:65]
	v_fmac_f64_e32 v[18:19], v[116:117], v[84:85]
	v_fma_f64 v[210:211], v[90:91], v[62:63], -v[64:65]
	v_mul_f64 v[16:17], v[110:111], v[74:75]
	v_fma_f64 v[208:209], v[78:79], v[66:67], -v[68:69]
	s_waitcnt lgkmcnt(4)
	v_mul_f64 v[22:23], v[244:245], v[94:95]
	v_mul_f64 v[70:71], v[104:105], v[70:71]
	v_fmac_f64_e32 v[22:23], v[246:247], v[96:97]
	v_mul_f64 v[74:75], v[112:113], v[74:75]
	v_mul_f64 v[20:21], v[240:241], v[86:87]
	;; [unrolled: 1-line block ×3, first 2 shown]
	s_waitcnt lgkmcnt(2)
	v_mul_f64 v[26:27], v[252:253], v[106:107]
	v_fma_f64 v[214:215], v[114:115], v[84:85], -v[82:83]
	v_mul_f64 v[86:87], v[242:243], v[86:87]
	v_mul_f64 v[24:25], v[248:249], v[98:99]
	;; [unrolled: 1-line block ×3, first 2 shown]
	s_waitcnt lgkmcnt(1)
	v_mul_f64 v[28:29], v[120:121], v[4:5]
	v_fma_f64 v[246:247], v[244:245], v[96:97], -v[94:95]
	v_fmac_f64_e32 v[14:15], v[104:105], v[72:73]
	v_add_f64 v[10:11], v[10:11], v[14:15]
	v_fmac_f64_e32 v[16:17], v[112:113], v[76:77]
	v_add_f64 v[10:11], v[10:11], v[16:17]
	;; [unrolled: 2-line block ×3, first 2 shown]
	v_add_f64 v[10:11], v[10:11], v[20:21]
	v_fmac_f64_e32 v[24:25], v[250:251], v[100:101]
	v_add_f64 v[10:11], v[10:11], v[22:23]
	v_fmac_f64_e32 v[26:27], v[254:255], v[108:109]
	v_add_f64 v[10:11], v[10:11], v[24:25]
	v_add_f64 v[10:11], v[10:11], v[26:27]
	s_waitcnt lgkmcnt(0)
	v_mul_f64 v[16:17], v[6:7], v[2:3]
	v_fmac_f64_e32 v[28:29], v[122:123], v[130:131]
	v_add_f64 v[14:15], v[10:11], v[28:29]
	ds_read_b128 v[10:13], v1 offset:1136
	v_fmac_f64_e32 v[16:17], v[8:9], v[124:125]
	v_add_f64 v[18:19], v[14:15], v[16:17]
	ds_read_b128 v[14:17], v1 offset:1152
	v_fma_f64 v[212:213], v[110:111], v[76:77], -v[74:75]
	s_waitcnt lgkmcnt(1)
	v_mul_f64 v[20:21], v[10:11], v[132:133]
	v_fmac_f64_e32 v[20:21], v[12:13], v[148:149]
	v_add_f64 v[22:23], v[18:19], v[20:21]
	ds_read_b128 v[18:21], v1 offset:1168
	s_waitcnt lgkmcnt(1)
	v_mul_f64 v[24:25], v[14:15], v[126:127]
	v_fmac_f64_e32 v[24:25], v[16:17], v[128:129]
	v_add_f64 v[26:27], v[22:23], v[24:25]
	ds_read_b128 v[22:25], v1 offset:1184
	;; [unrolled: 5-line block ×4, first 2 shown]
	s_waitcnt vmcnt(58) lgkmcnt(1)
	v_mul_f64 v[36:37], v[26:27], v[160:161]
	s_waitcnt vmcnt(56)
	v_fmac_f64_e32 v[36:37], v[28:29], v[164:165]
	v_add_f64 v[38:39], v[34:35], v[36:37]
	ds_read_b128 v[34:37], v1 offset:1232
	s_waitcnt lgkmcnt(1)
	v_mul_f64 v[40:41], v[30:31], v[138:139]
	v_fmac_f64_e32 v[40:41], v[32:33], v[140:141]
	v_add_f64 v[42:43], v[38:39], v[40:41]
	ds_read_b128 v[38:41], v1 offset:1248
	s_waitcnt vmcnt(50) lgkmcnt(1)
	v_mul_f64 v[44:45], v[34:35], v[168:169]
	s_waitcnt vmcnt(48)
	v_fmac_f64_e32 v[44:45], v[36:37], v[172:173]
	v_add_f64 v[46:47], v[42:43], v[44:45]
	ds_read_b128 v[42:45], v1 offset:1264
	s_waitcnt lgkmcnt(1)
	v_mul_f64 v[48:49], v[38:39], v[142:143]
	v_fmac_f64_e32 v[48:49], v[40:41], v[144:145]
	v_add_f64 v[50:51], v[46:47], v[48:49]
	ds_read_b128 v[46:49], v1 offset:1280
	s_waitcnt vmcnt(42) lgkmcnt(1)
	v_mul_f64 v[52:53], v[42:43], v[176:177]
	s_waitcnt vmcnt(40)
	v_fmac_f64_e32 v[52:53], v[44:45], v[180:181]
	v_add_f64 v[54:55], v[50:51], v[52:53]
	ds_read_b128 v[50:53], v1 offset:1296
	s_waitcnt lgkmcnt(1)
	v_mul_f64 v[56:57], v[46:47], v[146:147]
	buffer_load_dword v217, off, s[0:3], 0 offset:700
	buffer_load_dword v216, off, s[0:3], 0 offset:696
	;; [unrolled: 1-line block ×4, first 2 shown]
	v_fmac_f64_e32 v[56:57], v[48:49], v[150:151]
	v_add_f64 v[58:59], v[54:55], v[56:57]
	ds_read_b128 v[54:57], v1 offset:1312
	buffer_load_dword v222, off, s[0:3], 0 offset:712
	buffer_load_dword v224, off, s[0:3], 0 offset:704
	;; [unrolled: 1-line block ×16, first 2 shown]
	s_waitcnt vmcnt(54) lgkmcnt(1)
	v_mul_f64 v[60:61], v[50:51], v[184:185]
	s_waitcnt vmcnt(52)
	v_fmac_f64_e32 v[60:61], v[52:53], v[188:189]
	v_add_f64 v[118:119], v[58:59], v[60:61]
	ds_read_b128 v[58:61], v1 offset:1328
	buffer_load_dword v236, off, s[0:3], 0 offset:776
	buffer_load_dword v238, off, s[0:3], 0 offset:768
	;; [unrolled: 1-line block ×4, first 2 shown]
	ds_read_b128 v[62:65], v1 offset:1344
	s_waitcnt lgkmcnt(2)
	v_mul_f64 v[66:67], v[54:55], v[154:155]
	v_fmac_f64_e32 v[66:67], v[56:57], v[158:159]
	s_waitcnt vmcnt(50) lgkmcnt(1)
	v_mul_f64 v[68:69], v[58:59], v[192:193]
	v_add_f64 v[66:67], v[118:119], v[66:67]
	s_waitcnt vmcnt(48)
	v_fmac_f64_e32 v[68:69], v[60:61], v[194:195]
	v_add_f64 v[66:67], v[66:67], v[68:69]
	v_fma_f64 v[118:119], v[102:103], v[72:73], -v[70:71]
	ds_read_b128 v[70:73], v1 offset:1376
	s_waitcnt lgkmcnt(1)
	v_mul_f64 v[68:69], v[62:63], v[162:163]
	v_fmac_f64_e32 v[68:69], v[64:65], v[166:167]
	v_add_f64 v[78:79], v[66:67], v[68:69]
	ds_read_b128 v[66:69], v1 offset:1360
	ds_read_b128 v[74:77], v1 offset:1392
	;; [unrolled: 1-line block ×3, first 2 shown]
	v_accvgpr_write_b32 a149, v3
	v_accvgpr_write_b32 a148, v2
	s_waitcnt vmcnt(42) lgkmcnt(2)
	v_mul_f64 v[80:81], v[66:67], v[196:197]
	s_waitcnt vmcnt(40)
	v_fmac_f64_e32 v[80:81], v[68:69], v[198:199]
	v_add_f64 v[78:79], v[78:79], v[80:81]
	v_mul_f64 v[80:81], v[70:71], v[170:171]
	v_fmac_f64_e32 v[80:81], v[72:73], v[174:175]
	v_add_f64 v[90:91], v[78:79], v[80:81]
	ds_read_b128 v[78:81], v1 offset:1408
	s_waitcnt vmcnt(34) lgkmcnt(2)
	v_mul_f64 v[92:93], v[74:75], v[200:201]
	s_waitcnt vmcnt(32)
	v_fmac_f64_e32 v[92:93], v[76:77], v[202:203]
	v_fma_f64 v[2:3], v[240:241], v[88:89], -v[86:87]
	ds_read_b128 v[86:89], v1 offset:1440
	ds_read_b128 v[94:97], v1 offset:1472
	v_add_f64 v[90:91], v[90:91], v[92:93]
	s_waitcnt lgkmcnt(2)
	v_mul_f64 v[92:93], v[78:79], v[178:179]
	v_fmac_f64_e32 v[92:93], v[80:81], v[182:183]
	v_add_f64 v[90:91], v[90:91], v[92:93]
	s_waitcnt vmcnt(26)
	v_mul_f64 v[92:93], v[82:83], v[204:205]
	s_waitcnt vmcnt(24)
	v_fmac_f64_e32 v[92:93], v[84:85], v[206:207]
	v_add_f64 v[90:91], v[90:91], v[92:93]
	s_waitcnt lgkmcnt(1)
	v_mul_f64 v[92:93], v[86:87], v[186:187]
	v_fmac_f64_e32 v[92:93], v[88:89], v[190:191]
	v_add_f64 v[102:103], v[90:91], v[92:93]
	ds_read_b128 v[90:93], v1 offset:1456
	v_mul_f64 v[98:99], v[250:251], v[98:99]
	v_fma_f64 v[250:251], v[248:249], v[100:101], -v[98:99]
	ds_read_b128 v[98:101], v1 offset:1488
	v_mul_f64 v[106:107], v[254:255], v[106:107]
	v_fma_f64 v[252:253], v[252:253], v[108:109], -v[106:107]
	v_add_f64 v[208:209], v[208:209], 0
	v_add_f64 v[208:209], v[208:209], v[210:211]
	v_add_f64 v[118:119], v[208:209], v[118:119]
	v_add_f64 v[118:119], v[118:119], v[212:213]
	v_add_f64 v[118:119], v[118:119], v[214:215]
	v_add_f64 v[2:3], v[118:119], v[2:3]
	v_add_f64 v[254:255], v[2:3], v[246:247]
	v_add_f64 v[2:3], v[254:255], v[250:251]
	v_mul_f64 v[4:5], v[122:123], v[4:5]
	v_add_f64 v[2:3], v[2:3], v[252:253]
	v_fma_f64 v[4:5], v[120:121], v[130:131], -v[4:5]
	v_add_f64 v[2:3], v[2:3], v[4:5]
	ds_read_b128 v[106:109], v1 offset:1520
	s_waitcnt vmcnt(13) lgkmcnt(1)
	v_mul_f64 v[112:113], v[98:99], v[226:227]
	v_mul_f64 v[104:105], v[90:91], v[216:217]
	s_waitcnt vmcnt(11)
	v_fmac_f64_e32 v[112:113], v[100:101], v[232:233]
	v_fmac_f64_e32 v[104:105], v[92:93], v[218:219]
	v_add_f64 v[102:103], v[102:103], v[104:105]
	v_mul_f64 v[104:105], v[94:95], v[222:223]
	v_fmac_f64_e32 v[104:105], v[96:97], v[224:225]
	v_add_f64 v[110:111], v[102:103], v[104:105]
	ds_read_b128 v[102:105], v1 offset:1504
	v_add_f64 v[110:111], v[110:111], v[112:113]
	s_waitcnt vmcnt(10) lgkmcnt(0)
	v_mul_f64 v[112:113], v[102:103], v[220:221]
	s_waitcnt vmcnt(8)
	v_fmac_f64_e32 v[112:113], v[104:105], v[230:231]
	v_add_f64 v[110:111], v[110:111], v[112:113]
	s_waitcnt vmcnt(6)
	v_mul_f64 v[112:113], v[106:107], v[228:229]
	s_waitcnt vmcnt(4)
	v_fmac_f64_e32 v[112:113], v[108:109], v[234:235]
	v_add_f64 v[114:115], v[110:111], v[112:113]
	ds_read_b128 v[110:113], v1 offset:1536
	buffer_load_dword v243, off, s[0:3], 0 offset:796
	buffer_load_dword v242, off, s[0:3], 0 offset:792
	;; [unrolled: 1-line block ×4, first 2 shown]
	s_waitcnt vmcnt(5) lgkmcnt(0)
	v_mul_f64 v[116:117], v[110:111], v[236:237]
	s_waitcnt vmcnt(4)
	v_fmac_f64_e32 v[116:117], v[112:113], v[238:239]
	v_add_f64 v[240:241], v[114:115], v[116:117]
	ds_read_b128 v[114:117], v1 offset:1552
	v_accvgpr_read_b32 v0, a148
	v_accvgpr_read_b32 v1, a149
	v_mul_f64 v[4:5], v[8:9], v[0:1]
	v_fma_f64 v[4:5], v[6:7], v[124:125], -v[4:5]
	v_add_f64 v[2:3], v[2:3], v[4:5]
	v_mul_f64 v[4:5], v[12:13], v[132:133]
	v_fma_f64 v[4:5], v[10:11], v[148:149], -v[4:5]
	v_add_f64 v[2:3], v[2:3], v[4:5]
	;; [unrolled: 3-line block ×22, first 2 shown]
	v_mul_f64 v[4:5], v[96:97], v[222:223]
	v_fma_f64 v[4:5], v[94:95], v[224:225], -v[4:5]
	s_waitcnt vmcnt(2) lgkmcnt(0)
	v_mul_f64 v[248:249], v[114:115], v[242:243]
	v_add_f64 v[2:3], v[2:3], v[4:5]
	s_waitcnt vmcnt(0)
	v_fmac_f64_e32 v[248:249], v[116:117], v[244:245]
	v_add_f64 v[240:241], v[240:241], v[248:249]
	buffer_load_dword v248, off, s[0:3], 0 offset:176
	buffer_load_dword v249, off, s[0:3], 0 offset:180
	;; [unrolled: 1-line block ×4, first 2 shown]
	v_mul_f64 v[4:5], v[100:101], v[226:227]
	v_fma_f64 v[4:5], v[98:99], v[232:233], -v[4:5]
	v_add_f64 v[2:3], v[2:3], v[4:5]
	v_mul_f64 v[4:5], v[104:105], v[220:221]
	v_fma_f64 v[4:5], v[102:103], v[230:231], -v[4:5]
	v_add_f64 v[2:3], v[2:3], v[4:5]
	v_mul_f64 v[4:5], v[108:109], v[228:229]
	v_fma_f64 v[4:5], v[106:107], v[234:235], -v[4:5]
	v_add_f64 v[2:3], v[2:3], v[4:5]
	v_mul_f64 v[4:5], v[112:113], v[236:237]
	v_fma_f64 v[4:5], v[110:111], v[238:239], -v[4:5]
	v_add_f64 v[2:3], v[2:3], v[4:5]
	v_mul_f64 v[4:5], v[116:117], v[242:243]
	v_fma_f64 v[4:5], v[114:115], v[244:245], -v[4:5]
	v_add_f64 v[2:3], v[2:3], v[4:5]
	v_accvgpr_read_b32 v0, a146
	v_cmp_lt_u32_e32 vcc, 9, v0
	s_waitcnt vmcnt(2)
	v_add_f64 v[2:3], v[248:249], -v[2:3]
	s_waitcnt vmcnt(0)
	v_add_f64 v[4:5], v[246:247], -v[240:241]
	buffer_store_dword v3, off, s[0:3], 0 offset:180
	buffer_store_dword v2, off, s[0:3], 0 offset:176
	;; [unrolled: 1-line block ×4, first 2 shown]
	s_and_saveexec_b64 s[4:5], vcc
	s_cbranch_execz .LBB112_289
; %bb.288:
	v_accvgpr_read_b32 v0, a137
	buffer_load_dword v2, v0, s[0:3], 0 offen
	buffer_load_dword v3, v0, s[0:3], 0 offen offset:4
	buffer_load_dword v4, v0, s[0:3], 0 offen offset:8
	;; [unrolled: 1-line block ×3, first 2 shown]
	v_mov_b32_e32 v0, 0
	v_accvgpr_read_b32 v1, a147
	buffer_store_dword v0, off, s[0:3], 0 offset:160
	buffer_store_dword v0, off, s[0:3], 0 offset:164
	;; [unrolled: 1-line block ×4, first 2 shown]
	s_waitcnt vmcnt(4)
	ds_write_b128 v1, v[2:5]
.LBB112_289:
	s_or_b64 exec, exec, s[4:5]
	s_waitcnt lgkmcnt(0)
	; wave barrier
	s_waitcnt lgkmcnt(0)
	buffer_load_dword v54, off, s[0:3], 0 offset:176
	buffer_load_dword v55, off, s[0:3], 0 offset:180
	;; [unrolled: 1-line block ×49, first 2 shown]
	s_waitcnt vmcnt(8)
	v_pk_mov_b32 v[2:3], v[0:1], v[0:1] op_sel:[0,1]
	v_mov_b32_e32 v1, 0
	ds_read_b128 v[62:65], v1 offset:944
	ds_read_b128 v[74:77], v1 offset:960
	;; [unrolled: 1-line block ×11, first 2 shown]
	s_waitcnt lgkmcnt(10)
	v_mul_f64 v[6:7], v[62:63], v[56:57]
	s_waitcnt lgkmcnt(9)
	v_mul_f64 v[8:9], v[74:75], v[60:61]
	v_fmac_f64_e32 v[6:7], v[64:65], v[54:55]
	s_waitcnt lgkmcnt(8)
	v_mul_f64 v[10:11], v[86:87], v[66:67]
	v_fmac_f64_e32 v[8:9], v[76:77], v[58:59]
	v_add_f64 v[6:7], v[6:7], 0
	s_waitcnt lgkmcnt(7)
	v_mul_f64 v[12:13], v[98:99], v[70:71]
	v_fmac_f64_e32 v[10:11], v[88:89], v[68:69]
	v_add_f64 v[6:7], v[6:7], v[8:9]
	;; [unrolled: 4-line block ×4, first 2 shown]
	buffer_load_dword v128, off, s[0:3], 0 offset:360
	buffer_load_dword v145, off, s[0:3], 0 offset:356
	;; [unrolled: 1-line block ×75, first 2 shown]
	s_waitcnt lgkmcnt(4)
	v_mul_f64 v[18:19], v[236:237], v[90:91]
	v_fmac_f64_e32 v[16:17], v[116:117], v[84:85]
	v_add_f64 v[6:7], v[6:7], v[14:15]
	s_waitcnt lgkmcnt(3)
	v_mul_f64 v[20:21], v[240:241], v[94:95]
	v_fmac_f64_e32 v[18:19], v[238:239], v[92:93]
	v_add_f64 v[6:7], v[6:7], v[16:17]
	;; [unrolled: 4-line block ×4, first 2 shown]
	v_add_f64 v[6:7], v[6:7], v[22:23]
	s_waitcnt vmcnt(62)
	v_fmac_f64_e32 v[24:25], v[250:251], v[108:109]
	v_add_f64 v[10:11], v[6:7], v[24:25]
	ds_read_b128 v[6:9], v1 offset:1120
	s_waitcnt lgkmcnt(1)
	v_mul_f64 v[12:13], v[120:121], v[4:5]
	v_fmac_f64_e32 v[12:13], v[122:123], v[2:3]
	v_add_f64 v[14:15], v[10:11], v[12:13]
	ds_read_b128 v[10:13], v1 offset:1136
	s_waitcnt lgkmcnt(1)
	v_mul_f64 v[16:17], v[6:7], v[128:129]
	;; [unrolled: 5-line block ×5, first 2 shown]
	v_fmac_f64_e32 v[28:29], v[20:21], v[132:133]
	v_add_f64 v[30:31], v[26:27], v[28:29]
	ds_read_b128 v[26:29], v1 offset:1200
	s_waitcnt vmcnt(58) lgkmcnt(1)
	v_mul_f64 v[32:33], v[22:23], v[156:157]
	s_waitcnt vmcnt(56)
	v_fmac_f64_e32 v[32:33], v[24:25], v[160:161]
	v_add_f64 v[34:35], v[30:31], v[32:33]
	ds_read_b128 v[30:33], v1 offset:1216
	s_waitcnt lgkmcnt(1)
	v_mul_f64 v[36:37], v[26:27], v[134:135]
	v_fmac_f64_e32 v[36:37], v[28:29], v[136:137]
	v_add_f64 v[38:39], v[34:35], v[36:37]
	ds_read_b128 v[34:37], v1 offset:1232
	s_waitcnt vmcnt(50) lgkmcnt(1)
	v_mul_f64 v[40:41], v[30:31], v[164:165]
	s_waitcnt vmcnt(48)
	v_fmac_f64_e32 v[40:41], v[32:33], v[168:169]
	v_add_f64 v[42:43], v[38:39], v[40:41]
	ds_read_b128 v[38:41], v1 offset:1248
	s_waitcnt lgkmcnt(1)
	v_mul_f64 v[44:45], v[34:35], v[138:139]
	;; [unrolled: 11-line block ×3, first 2 shown]
	buffer_load_dword v205, off, s[0:3], 0 offset:684
	buffer_load_dword v204, off, s[0:3], 0 offset:680
	;; [unrolled: 1-line block ×4, first 2 shown]
	v_fmac_f64_e32 v[52:53], v[44:45], v[146:147]
	v_add_f64 v[118:119], v[50:51], v[52:53]
	ds_read_b128 v[50:53], v1 offset:1296
	buffer_load_dword v216, off, s[0:3], 0 offset:696
	buffer_load_dword v218, off, s[0:3], 0 offset:688
	;; [unrolled: 1-line block ×20, first 2 shown]
	s_waitcnt vmcnt(58) lgkmcnt(1)
	v_mul_f64 v[208:209], v[46:47], v[180:181]
	s_waitcnt vmcnt(56)
	v_fmac_f64_e32 v[208:209], v[48:49], v[184:185]
	v_mul_f64 v[56:57], v[64:65], v[56:57]
	v_add_f64 v[118:119], v[118:119], v[208:209]
	v_fma_f64 v[208:209], v[62:63], v[54:55], -v[56:57]
	ds_read_b128 v[54:57], v1 offset:1312
	v_mul_f64 v[60:61], v[76:77], v[60:61]
	v_fma_f64 v[210:211], v[74:75], v[58:59], -v[60:61]
	ds_read_b128 v[58:61], v1 offset:1328
	s_waitcnt lgkmcnt(2)
	v_mul_f64 v[62:63], v[50:51], v[150:151]
	v_fmac_f64_e32 v[62:63], v[52:53], v[154:155]
	s_waitcnt vmcnt(50) lgkmcnt(1)
	v_mul_f64 v[64:65], v[54:55], v[188:189]
	v_add_f64 v[62:63], v[118:119], v[62:63]
	s_waitcnt vmcnt(48)
	v_fmac_f64_e32 v[64:65], v[56:57], v[190:191]
	v_add_f64 v[62:63], v[62:63], v[64:65]
	s_waitcnt lgkmcnt(0)
	v_mul_f64 v[64:65], v[58:59], v[158:159]
	v_fmac_f64_e32 v[64:65], v[60:61], v[162:163]
	v_add_f64 v[74:75], v[62:63], v[64:65]
	ds_read_b128 v[62:65], v1 offset:1344
	v_mul_f64 v[66:67], v[88:89], v[66:67]
	v_fma_f64 v[118:119], v[86:87], v[68:69], -v[66:67]
	ds_read_b128 v[66:69], v1 offset:1360
	v_mul_f64 v[70:71], v[100:101], v[70:71]
	s_waitcnt vmcnt(42) lgkmcnt(1)
	v_mul_f64 v[76:77], v[62:63], v[192:193]
	s_waitcnt vmcnt(40)
	v_fmac_f64_e32 v[76:77], v[64:65], v[194:195]
	v_add_f64 v[74:75], v[74:75], v[76:77]
	v_fma_f64 v[212:213], v[98:99], v[72:73], -v[70:71]
	ds_read_b128 v[70:73], v1 offset:1376
	s_waitcnt lgkmcnt(1)
	v_mul_f64 v[76:77], v[66:67], v[166:167]
	v_fmac_f64_e32 v[76:77], v[68:69], v[170:171]
	v_add_f64 v[86:87], v[74:75], v[76:77]
	ds_read_b128 v[74:77], v1 offset:1392
	v_mul_f64 v[78:79], v[112:113], v[78:79]
	v_fma_f64 v[214:215], v[110:111], v[80:81], -v[78:79]
	ds_read_b128 v[78:81], v1 offset:1408
	s_waitcnt vmcnt(34) lgkmcnt(2)
	v_mul_f64 v[88:89], v[70:71], v[196:197]
	v_mul_f64 v[82:83], v[116:117], v[82:83]
	s_waitcnt vmcnt(32)
	v_fmac_f64_e32 v[88:89], v[72:73], v[198:199]
	v_fma_f64 v[252:253], v[114:115], v[84:85], -v[82:83]
	ds_read_b128 v[82:85], v1 offset:1424
	v_add_f64 v[86:87], v[86:87], v[88:89]
	s_waitcnt lgkmcnt(2)
	v_mul_f64 v[88:89], v[74:75], v[174:175]
	v_fmac_f64_e32 v[88:89], v[76:77], v[178:179]
	v_add_f64 v[86:87], v[86:87], v[88:89]
	s_waitcnt vmcnt(26) lgkmcnt(1)
	v_mul_f64 v[88:89], v[78:79], v[200:201]
	s_waitcnt vmcnt(24)
	v_fmac_f64_e32 v[88:89], v[80:81], v[202:203]
	v_add_f64 v[86:87], v[86:87], v[88:89]
	s_waitcnt lgkmcnt(0)
	v_mul_f64 v[88:89], v[82:83], v[182:183]
	v_fmac_f64_e32 v[88:89], v[84:85], v[186:187]
	v_add_f64 v[98:99], v[86:87], v[88:89]
	ds_read_b128 v[86:89], v1 offset:1440
	v_mul_f64 v[90:91], v[238:239], v[90:91]
	v_fma_f64 v[254:255], v[236:237], v[92:93], -v[90:91]
	ds_read_b128 v[90:93], v1 offset:1456
	v_accvgpr_write_b32 a149, v3
	v_mul_f64 v[94:95], v[242:243], v[94:95]
	v_accvgpr_write_b32 a148, v2
	v_fma_f64 v[2:3], v[240:241], v[96:97], -v[94:95]
	ds_read_b128 v[94:97], v1 offset:1472
	v_mul_f64 v[102:103], v[246:247], v[102:103]
	v_fma_f64 v[246:247], v[244:245], v[104:105], -v[102:103]
	ds_read_b128 v[102:105], v1 offset:1504
	v_mul_f64 v[106:107], v[250:251], v[106:107]
	v_fma_f64 v[250:251], v[248:249], v[108:109], -v[106:107]
	ds_read_b128 v[106:109], v1 offset:1520
	v_add_f64 v[208:209], v[208:209], 0
	v_add_f64 v[208:209], v[208:209], v[210:211]
	v_add_f64 v[118:119], v[208:209], v[118:119]
	v_add_f64 v[118:119], v[118:119], v[212:213]
	v_add_f64 v[118:119], v[118:119], v[214:215]
	v_add_f64 v[118:119], v[118:119], v[252:253]
	s_waitcnt vmcnt(22) lgkmcnt(4)
	v_mul_f64 v[100:101], v[86:87], v[204:205]
	v_add_f64 v[118:119], v[118:119], v[254:255]
	s_waitcnt vmcnt(20)
	v_fmac_f64_e32 v[100:101], v[88:89], v[206:207]
	v_add_f64 v[98:99], v[98:99], v[100:101]
	v_add_f64 v[2:3], v[118:119], v[2:3]
	s_waitcnt vmcnt(17) lgkmcnt(3)
	v_mul_f64 v[100:101], v[90:91], v[216:217]
	s_waitcnt vmcnt(16)
	v_fmac_f64_e32 v[100:101], v[92:93], v[218:219]
	v_add_f64 v[110:111], v[98:99], v[100:101]
	ds_read_b128 v[98:101], v1 offset:1488
	s_waitcnt vmcnt(14) lgkmcnt(3)
	v_mul_f64 v[112:113], v[94:95], v[222:223]
	s_waitcnt vmcnt(12)
	v_fmac_f64_e32 v[112:113], v[96:97], v[226:227]
	buffer_load_dword v237, off, s[0:3], 0 offset:780
	buffer_load_dword v236, off, s[0:3], 0 offset:776
	;; [unrolled: 1-line block ×4, first 2 shown]
	v_add_f64 v[110:111], v[110:111], v[112:113]
	s_waitcnt vmcnt(14) lgkmcnt(0)
	v_mul_f64 v[112:113], v[98:99], v[224:225]
	s_waitcnt vmcnt(12)
	v_fmac_f64_e32 v[112:113], v[100:101], v[228:229]
	v_add_f64 v[110:111], v[110:111], v[112:113]
	s_waitcnt vmcnt(9)
	v_mul_f64 v[112:113], v[102:103], v[232:233]
	s_waitcnt vmcnt(7)
	v_fmac_f64_e32 v[112:113], v[104:105], v[234:235]
	v_add_f64 v[110:111], v[110:111], v[112:113]
	s_waitcnt vmcnt(5)
	v_mul_f64 v[112:113], v[106:107], v[220:221]
	s_waitcnt vmcnt(4)
	v_fmac_f64_e32 v[112:113], v[108:109], v[230:231]
	v_add_f64 v[114:115], v[110:111], v[112:113]
	ds_read_b128 v[110:113], v1 offset:1536
	buffer_load_dword v242, off, s[0:3], 0 offset:792
	buffer_load_dword v243, off, s[0:3], 0 offset:796
	;; [unrolled: 1-line block ×4, first 2 shown]
	v_add_f64 v[252:253], v[2:3], v[246:247]
	v_accvgpr_read_b32 v118, a148
	v_mul_f64 v[4:5], v[122:123], v[4:5]
	v_accvgpr_read_b32 v119, a149
	v_add_f64 v[2:3], v[252:253], v[250:251]
	v_fma_f64 v[4:5], v[120:121], v[118:119], -v[4:5]
	v_add_f64 v[2:3], v[2:3], v[4:5]
	v_mul_f64 v[4:5], v[8:9], v[128:129]
	v_fma_f64 v[4:5], v[6:7], v[144:145], -v[4:5]
	v_add_f64 v[2:3], v[2:3], v[4:5]
	v_mul_f64 v[4:5], v[12:13], v[124:125]
	;; [unrolled: 3-line block ×20, first 2 shown]
	s_waitcnt vmcnt(6) lgkmcnt(0)
	v_mul_f64 v[116:117], v[110:111], v[236:237]
	v_fma_f64 v[4:5], v[82:83], v[186:187], -v[4:5]
	s_waitcnt vmcnt(4)
	v_fmac_f64_e32 v[116:117], v[112:113], v[238:239]
	v_add_f64 v[240:241], v[114:115], v[116:117]
	ds_read_b128 v[114:117], v1 offset:1552
	v_add_f64 v[2:3], v[2:3], v[4:5]
	v_mul_f64 v[4:5], v[88:89], v[204:205]
	v_fma_f64 v[4:5], v[86:87], v[206:207], -v[4:5]
	v_add_f64 v[2:3], v[2:3], v[4:5]
	v_mul_f64 v[4:5], v[92:93], v[216:217]
	v_fma_f64 v[4:5], v[90:91], v[218:219], -v[4:5]
	v_add_f64 v[2:3], v[2:3], v[4:5]
	s_waitcnt vmcnt(2) lgkmcnt(0)
	v_mul_f64 v[248:249], v[114:115], v[242:243]
	v_mul_f64 v[4:5], v[96:97], v[222:223]
	s_waitcnt vmcnt(0)
	v_fmac_f64_e32 v[248:249], v[116:117], v[244:245]
	v_add_f64 v[240:241], v[240:241], v[248:249]
	buffer_load_dword v248, off, s[0:3], 0 offset:160
	buffer_load_dword v249, off, s[0:3], 0 offset:164
	;; [unrolled: 1-line block ×4, first 2 shown]
	v_fma_f64 v[4:5], v[94:95], v[226:227], -v[4:5]
	v_add_f64 v[2:3], v[2:3], v[4:5]
	v_mul_f64 v[4:5], v[100:101], v[224:225]
	v_fma_f64 v[4:5], v[98:99], v[228:229], -v[4:5]
	v_add_f64 v[2:3], v[2:3], v[4:5]
	v_mul_f64 v[4:5], v[104:105], v[232:233]
	v_fma_f64 v[4:5], v[102:103], v[234:235], -v[4:5]
	v_add_f64 v[2:3], v[2:3], v[4:5]
	v_mul_f64 v[4:5], v[108:109], v[220:221]
	v_fma_f64 v[4:5], v[106:107], v[230:231], -v[4:5]
	v_add_f64 v[2:3], v[2:3], v[4:5]
	v_mul_f64 v[4:5], v[112:113], v[236:237]
	v_fma_f64 v[4:5], v[110:111], v[238:239], -v[4:5]
	v_add_f64 v[2:3], v[2:3], v[4:5]
	v_mul_f64 v[4:5], v[116:117], v[242:243]
	v_fma_f64 v[4:5], v[114:115], v[244:245], -v[4:5]
	v_add_f64 v[2:3], v[2:3], v[4:5]
	v_accvgpr_read_b32 v0, a146
	v_cmp_lt_u32_e32 vcc, 8, v0
	s_waitcnt vmcnt(2)
	v_add_f64 v[2:3], v[248:249], -v[2:3]
	s_waitcnt vmcnt(0)
	v_add_f64 v[4:5], v[246:247], -v[240:241]
	buffer_store_dword v3, off, s[0:3], 0 offset:164
	buffer_store_dword v2, off, s[0:3], 0 offset:160
	;; [unrolled: 1-line block ×4, first 2 shown]
	s_and_saveexec_b64 s[4:5], vcc
	s_cbranch_execz .LBB112_291
; %bb.290:
	v_accvgpr_read_b32 v0, a138
	buffer_load_dword v2, v0, s[0:3], 0 offen
	buffer_load_dword v3, v0, s[0:3], 0 offen offset:4
	buffer_load_dword v4, v0, s[0:3], 0 offen offset:8
	;; [unrolled: 1-line block ×3, first 2 shown]
	v_accvgpr_read_b32 v0, a147
	buffer_store_dword v1, off, s[0:3], 0 offset:144
	buffer_store_dword v1, off, s[0:3], 0 offset:148
	buffer_store_dword v1, off, s[0:3], 0 offset:152
	buffer_store_dword v1, off, s[0:3], 0 offset:156
	s_waitcnt vmcnt(4)
	ds_write_b128 v0, v[2:5]
.LBB112_291:
	s_or_b64 exec, exec, s[4:5]
	s_waitcnt lgkmcnt(0)
	; wave barrier
	s_waitcnt lgkmcnt(0)
	buffer_load_dword v56, off, s[0:3], 0 offset:160
	buffer_load_dword v57, off, s[0:3], 0 offset:164
	;; [unrolled: 1-line block ×42, first 2 shown]
	ds_read_b128 v[78:81], v1 offset:928
	ds_read_b128 v[90:93], v1 offset:944
	;; [unrolled: 1-line block ×10, first 2 shown]
	buffer_load_dword v105, off, s[0:3], 0 offset:308
	buffer_load_dword v104, off, s[0:3], 0 offset:304
	ds_read_b128 v[106:109], v1 offset:1088
	buffer_load_dword v3, off, s[0:3], 0 offset:364
	buffer_load_dword v2, off, s[0:3], 0 offset:360
	s_waitcnt vmcnt(38) lgkmcnt(9)
	v_mul_f64 v[4:5], v[90:91], v[62:63]
	v_fmac_f64_e32 v[4:5], v[92:93], v[54:55]
	s_waitcnt vmcnt(36) lgkmcnt(8)
	v_mul_f64 v[6:7], v[114:115], v[58:59]
	v_mul_f64 v[58:59], v[116:117], v[58:59]
	s_waitcnt vmcnt(34) lgkmcnt(6)
	v_mul_f64 v[10:11], v[240:241], v[70:71]
	v_mul_f64 v[70:71], v[242:243], v[70:71]
	s_waitcnt vmcnt(32)
	v_fmac_f64_e32 v[10:11], v[242:243], v[72:73]
	v_fma_f64 v[240:241], v[240:241], v[72:73], -v[70:71]
	s_waitcnt vmcnt(30)
	v_mul_f64 v[8:9], v[236:237], v[64:65]
	s_waitcnt vmcnt(28) lgkmcnt(4)
	v_mul_f64 v[14:15], v[248:249], v[82:83]
	v_mul_f64 v[82:83], v[250:251], v[82:83]
	s_waitcnt vmcnt(26)
	v_fmac_f64_e32 v[14:15], v[250:251], v[84:85]
	v_fma_f64 v[248:249], v[248:249], v[84:85], -v[82:83]
	s_waitcnt vmcnt(24)
	v_mul_f64 v[12:13], v[244:245], v[74:75]
	v_mul_f64 v[74:75], v[246:247], v[74:75]
	s_waitcnt vmcnt(22) lgkmcnt(2)
	v_mul_f64 v[18:19], v[208:209], v[94:95]
	v_mul_f64 v[94:95], v[210:211], v[94:95]
	s_waitcnt vmcnt(19)
	v_mul_f64 v[16:17], v[252:253], v[86:87]
	v_mul_f64 v[86:87], v[254:255], v[86:87]
	s_waitcnt vmcnt(17) lgkmcnt(1)
	v_mul_f64 v[20:21], v[98:99], v[102:103]
	s_waitcnt vmcnt(15)
	v_fmac_f64_e32 v[6:7], v[116:117], v[68:69]
	s_waitcnt vmcnt(13)
	v_fmac_f64_e32 v[8:9], v[238:239], v[66:67]
	;; [unrolled: 2-line block ×3, first 2 shown]
	v_fma_f64 v[246:247], v[244:245], v[76:77], -v[74:75]
	s_waitcnt vmcnt(9)
	v_fmac_f64_e32 v[16:17], v[254:255], v[88:89]
	s_waitcnt vmcnt(8)
	v_fmac_f64_e32 v[18:19], v[210:211], v[96:97]
	v_fma_f64 v[254:255], v[252:253], v[88:89], -v[86:87]
	v_fma_f64 v[208:209], v[208:209], v[96:97], -v[94:95]
	s_waitcnt vmcnt(2)
	v_fmac_f64_e32 v[20:21], v[100:101], v[104:105]
	v_mul_f64 v[100:101], v[100:101], v[102:103]
	s_waitcnt vmcnt(0)
	v_pk_mov_b32 v[22:23], v[2:3], v[2:3] op_sel:[0,1]
	buffer_load_dword v3, off, s[0:3], 0 offset:356
	buffer_load_dword v2, off, s[0:3], 0 offset:352
	;; [unrolled: 1-line block ×78, first 2 shown]
	ds_read_b128 v[120:123], v1 offset:1104
	v_accvgpr_write_b32 a149, v23
	v_accvgpr_write_b32 a148, v22
	v_fma_f64 v[250:251], v[98:99], v[104:105], -v[100:101]
	s_waitcnt vmcnt(62)
	v_pk_mov_b32 v[24:25], v[2:3], v[2:3] op_sel:[0,1]
	v_mul_f64 v[2:3], v[78:79], v[60:61]
	v_fmac_f64_e32 v[2:3], v[80:81], v[56:57]
	v_add_f64 v[2:3], v[2:3], 0
	v_add_f64 v[2:3], v[2:3], v[4:5]
	;; [unrolled: 1-line block ×9, first 2 shown]
	s_waitcnt lgkmcnt(1)
	v_mul_f64 v[8:9], v[106:107], v[110:111]
	v_add_f64 v[6:7], v[2:3], v[20:21]
	v_fmac_f64_e32 v[8:9], v[108:109], v[112:113]
	v_add_f64 v[10:11], v[6:7], v[8:9]
	ds_read_b128 v[6:9], v1 offset:1120
	s_waitcnt lgkmcnt(1)
	v_mul_f64 v[12:13], v[120:121], v[124:125]
	v_fmac_f64_e32 v[12:13], v[122:123], v[140:141]
	v_add_f64 v[14:15], v[10:11], v[12:13]
	ds_read_b128 v[10:13], v1 offset:1136
	s_waitcnt lgkmcnt(1)
	v_mul_f64 v[16:17], v[6:7], v[22:23]
	;; [unrolled: 5-line block ×3, first 2 shown]
	v_fmac_f64_e32 v[20:21], v[12:13], v[148:149]
	v_add_f64 v[22:23], v[18:19], v[20:21]
	ds_read_b128 v[18:21], v1 offset:1168
	v_accvgpr_write_b32 a151, v25
	v_accvgpr_write_b32 a150, v24
	s_waitcnt lgkmcnt(1)
	v_mul_f64 v[24:25], v[14:15], v[126:127]
	v_fmac_f64_e32 v[24:25], v[16:17], v[128:129]
	v_add_f64 v[26:27], v[22:23], v[24:25]
	ds_read_b128 v[22:25], v1 offset:1184
	s_waitcnt vmcnt(58) lgkmcnt(1)
	v_mul_f64 v[28:29], v[18:19], v[152:153]
	s_waitcnt vmcnt(56)
	v_fmac_f64_e32 v[28:29], v[20:21], v[156:157]
	v_add_f64 v[30:31], v[26:27], v[28:29]
	ds_read_b128 v[26:29], v1 offset:1200
	s_waitcnt lgkmcnt(1)
	v_mul_f64 v[32:33], v[22:23], v[130:131]
	v_fmac_f64_e32 v[32:33], v[24:25], v[132:133]
	v_add_f64 v[34:35], v[30:31], v[32:33]
	ds_read_b128 v[30:33], v1 offset:1216
	s_waitcnt vmcnt(50) lgkmcnt(1)
	v_mul_f64 v[36:37], v[26:27], v[160:161]
	s_waitcnt vmcnt(48)
	v_fmac_f64_e32 v[36:37], v[28:29], v[164:165]
	v_add_f64 v[38:39], v[34:35], v[36:37]
	ds_read_b128 v[34:37], v1 offset:1232
	;; [unrolled: 11-line block ×4, first 2 shown]
	buffer_load_dword v200, off, s[0:3], 0 offset:680
	buffer_load_dword v205, off, s[0:3], 0 offset:668
	;; [unrolled: 1-line block ×28, first 2 shown]
	s_waitcnt lgkmcnt(1)
	v_mul_f64 v[212:213], v[46:47], v[146:147]
	v_fmac_f64_e32 v[212:213], v[48:49], v[150:151]
	v_mul_f64 v[60:61], v[80:81], v[60:61]
	v_add_f64 v[118:119], v[118:119], v[212:213]
	s_waitcnt vmcnt(54) lgkmcnt(0)
	v_mul_f64 v[212:213], v[50:51], v[184:185]
	v_fma_f64 v[214:215], v[78:79], v[56:57], -v[60:61]
	v_mul_f64 v[56:57], v[92:93], v[62:63]
	v_fma_f64 v[2:3], v[90:91], v[54:55], -v[56:57]
	s_waitcnt vmcnt(52)
	v_fmac_f64_e32 v[212:213], v[52:53], v[186:187]
	ds_read_b128 v[54:57], v1 offset:1312
	v_add_f64 v[4:5], v[118:119], v[212:213]
	v_fma_f64 v[118:119], v[114:115], v[68:69], -v[58:59]
	ds_read_b128 v[58:61], v1 offset:1328
	v_mul_f64 v[62:63], v[238:239], v[64:65]
	v_fma_f64 v[212:213], v[236:237], v[66:67], -v[62:63]
	ds_read_b128 v[62:65], v1 offset:1344
	ds_read_b128 v[70:73], v1 offset:1376
	s_waitcnt lgkmcnt(3)
	v_mul_f64 v[68:69], v[54:55], v[154:155]
	v_fmac_f64_e32 v[68:69], v[56:57], v[158:159]
	s_waitcnt vmcnt(46) lgkmcnt(2)
	v_mul_f64 v[66:67], v[58:59], v[188:189]
	v_add_f64 v[4:5], v[4:5], v[68:69]
	s_waitcnt vmcnt(44)
	v_fmac_f64_e32 v[66:67], v[60:61], v[190:191]
	v_add_f64 v[4:5], v[4:5], v[66:67]
	s_waitcnt lgkmcnt(1)
	v_mul_f64 v[66:67], v[62:63], v[162:163]
	v_fmac_f64_e32 v[66:67], v[64:65], v[166:167]
	v_add_f64 v[4:5], v[4:5], v[66:67]
	ds_read_b128 v[66:69], v1 offset:1360
	ds_read_b128 v[74:77], v1 offset:1392
	;; [unrolled: 1-line block ×5, first 2 shown]
	s_waitcnt vmcnt(38) lgkmcnt(4)
	v_mul_f64 v[78:79], v[66:67], v[192:193]
	s_waitcnt vmcnt(36)
	v_fmac_f64_e32 v[78:79], v[68:69], v[194:195]
	v_add_f64 v[4:5], v[4:5], v[78:79]
	v_mul_f64 v[78:79], v[70:71], v[170:171]
	v_fmac_f64_e32 v[78:79], v[72:73], v[174:175]
	v_add_f64 v[4:5], v[4:5], v[78:79]
	s_waitcnt vmcnt(30) lgkmcnt(3)
	v_mul_f64 v[78:79], v[74:75], v[196:197]
	s_waitcnt vmcnt(28)
	v_fmac_f64_e32 v[78:79], v[76:77], v[198:199]
	v_add_f64 v[4:5], v[4:5], v[78:79]
	ds_read_b128 v[78:81], v1 offset:1408
	v_mul_f64 v[108:109], v[108:109], v[110:111]
	v_fma_f64 v[252:253], v[106:107], v[112:113], -v[108:109]
	ds_read_b128 v[98:101], v1 offset:1488
	ds_read_b128 v[106:109], v1 offset:1520
	s_waitcnt lgkmcnt(2)
	v_mul_f64 v[90:91], v[78:79], v[178:179]
	v_fmac_f64_e32 v[90:91], v[80:81], v[182:183]
	v_add_f64 v[4:5], v[4:5], v[90:91]
	s_waitcnt vmcnt(9) lgkmcnt(1)
	v_mul_f64 v[110:111], v[98:99], v[228:229]
	v_mul_f64 v[90:91], v[82:83], v[204:205]
	s_waitcnt vmcnt(7)
	v_fmac_f64_e32 v[110:111], v[100:101], v[232:233]
	v_fmac_f64_e32 v[90:91], v[84:85], v[206:207]
	v_add_f64 v[4:5], v[4:5], v[90:91]
	v_mul_f64 v[90:91], v[86:87], v[200:201]
	v_fmac_f64_e32 v[90:91], v[88:89], v[202:203]
	v_add_f64 v[4:5], v[4:5], v[90:91]
	ds_read_b128 v[90:93], v1 offset:1456
	v_mul_f64 v[102:103], v[94:95], v[222:223]
	v_fmac_f64_e32 v[102:103], v[96:97], v[224:225]
	s_waitcnt lgkmcnt(0)
	v_mul_f64 v[114:115], v[90:91], v[216:217]
	v_fmac_f64_e32 v[114:115], v[92:93], v[218:219]
	v_add_f64 v[4:5], v[4:5], v[114:115]
	v_add_f64 v[4:5], v[4:5], v[102:103]
	ds_read_b128 v[102:105], v1 offset:1504
	buffer_load_dword v236, off, s[0:3], 0 offset:776
	buffer_load_dword v237, off, s[0:3], 0 offset:780
	;; [unrolled: 1-line block ×4, first 2 shown]
	v_add_f64 v[4:5], v[4:5], v[110:111]
	s_waitcnt vmcnt(9) lgkmcnt(0)
	v_mul_f64 v[110:111], v[102:103], v[220:221]
	s_waitcnt vmcnt(8)
	v_fmac_f64_e32 v[110:111], v[104:105], v[226:227]
	v_add_f64 v[4:5], v[4:5], v[110:111]
	s_waitcnt vmcnt(6)
	v_mul_f64 v[110:111], v[106:107], v[230:231]
	s_waitcnt vmcnt(4)
	v_fmac_f64_e32 v[110:111], v[108:109], v[234:235]
	v_add_f64 v[4:5], v[4:5], v[110:111]
	ds_read_b128 v[110:113], v1 offset:1536
	buffer_load_dword v243, off, s[0:3], 0 offset:796
	buffer_load_dword v242, off, s[0:3], 0 offset:792
	;; [unrolled: 1-line block ×4, first 2 shown]
	s_waitcnt vmcnt(6) lgkmcnt(0)
	v_mul_f64 v[114:115], v[110:111], v[236:237]
	s_waitcnt vmcnt(4)
	v_fmac_f64_e32 v[114:115], v[112:113], v[238:239]
	v_add_f64 v[4:5], v[4:5], v[114:115]
	ds_read_b128 v[114:117], v1 offset:1552
	v_accvgpr_read_b32 v0, a148
	v_accvgpr_read_b32 v1, a149
	v_mul_f64 v[8:9], v[8:9], v[0:1]
	v_accvgpr_read_b32 v0, a150
	v_accvgpr_read_b32 v1, a151
	v_fma_f64 v[6:7], v[6:7], v[0:1], -v[8:9]
	s_waitcnt vmcnt(2) lgkmcnt(0)
	v_mul_f64 v[210:211], v[114:115], v[242:243]
	v_accvgpr_read_b32 v0, a146
	s_waitcnt vmcnt(0)
	v_fmac_f64_e32 v[210:211], v[116:117], v[244:245]
	v_add_f64 v[4:5], v[4:5], v[210:211]
	v_add_f64 v[210:211], v[214:215], 0
	;; [unrolled: 1-line block ×8, first 2 shown]
	buffer_load_dword v248, off, s[0:3], 0 offset:144
	buffer_load_dword v249, off, s[0:3], 0 offset:148
	buffer_load_dword v246, off, s[0:3], 0 offset:152
	buffer_load_dword v247, off, s[0:3], 0 offset:156
	v_add_f64 v[2:3], v[2:3], v[254:255]
	v_add_f64 v[254:255], v[2:3], v[208:209]
	;; [unrolled: 1-line block ×3, first 2 shown]
	v_mul_f64 v[118:119], v[122:123], v[124:125]
	v_add_f64 v[2:3], v[2:3], v[252:253]
	v_fma_f64 v[118:119], v[120:121], v[140:141], -v[118:119]
	v_add_f64 v[2:3], v[2:3], v[118:119]
	v_add_f64 v[2:3], v[2:3], v[6:7]
	v_mul_f64 v[6:7], v[12:13], v[144:145]
	v_fma_f64 v[6:7], v[10:11], v[148:149], -v[6:7]
	v_add_f64 v[2:3], v[2:3], v[6:7]
	v_mul_f64 v[6:7], v[16:17], v[126:127]
	v_fma_f64 v[6:7], v[14:15], v[128:129], -v[6:7]
	v_add_f64 v[2:3], v[2:3], v[6:7]
	v_mul_f64 v[6:7], v[20:21], v[152:153]
	v_fma_f64 v[6:7], v[18:19], v[156:157], -v[6:7]
	v_add_f64 v[2:3], v[2:3], v[6:7]
	v_mul_f64 v[6:7], v[24:25], v[130:131]
	v_fma_f64 v[6:7], v[22:23], v[132:133], -v[6:7]
	v_add_f64 v[2:3], v[2:3], v[6:7]
	v_mul_f64 v[6:7], v[28:29], v[160:161]
	v_fma_f64 v[6:7], v[26:27], v[164:165], -v[6:7]
	v_add_f64 v[2:3], v[2:3], v[6:7]
	v_mul_f64 v[6:7], v[32:33], v[134:135]
	v_fma_f64 v[6:7], v[30:31], v[136:137], -v[6:7]
	v_add_f64 v[2:3], v[2:3], v[6:7]
	v_mul_f64 v[6:7], v[36:37], v[168:169]
	v_fma_f64 v[6:7], v[34:35], v[172:173], -v[6:7]
	v_add_f64 v[2:3], v[2:3], v[6:7]
	v_mul_f64 v[6:7], v[40:41], v[138:139]
	v_fma_f64 v[6:7], v[38:39], v[142:143], -v[6:7]
	v_add_f64 v[2:3], v[2:3], v[6:7]
	v_mul_f64 v[6:7], v[44:45], v[176:177]
	v_fma_f64 v[6:7], v[42:43], v[180:181], -v[6:7]
	v_add_f64 v[2:3], v[2:3], v[6:7]
	v_mul_f64 v[6:7], v[48:49], v[146:147]
	v_fma_f64 v[6:7], v[46:47], v[150:151], -v[6:7]
	v_add_f64 v[2:3], v[2:3], v[6:7]
	v_mul_f64 v[6:7], v[52:53], v[184:185]
	v_fma_f64 v[6:7], v[50:51], v[186:187], -v[6:7]
	v_add_f64 v[2:3], v[2:3], v[6:7]
	v_mul_f64 v[6:7], v[56:57], v[154:155]
	v_fma_f64 v[6:7], v[54:55], v[158:159], -v[6:7]
	v_add_f64 v[2:3], v[2:3], v[6:7]
	v_mul_f64 v[6:7], v[60:61], v[188:189]
	v_fma_f64 v[6:7], v[58:59], v[190:191], -v[6:7]
	v_add_f64 v[2:3], v[2:3], v[6:7]
	v_mul_f64 v[6:7], v[64:65], v[162:163]
	v_fma_f64 v[6:7], v[62:63], v[166:167], -v[6:7]
	v_add_f64 v[2:3], v[2:3], v[6:7]
	v_mul_f64 v[6:7], v[68:69], v[192:193]
	v_fma_f64 v[6:7], v[66:67], v[194:195], -v[6:7]
	v_add_f64 v[2:3], v[2:3], v[6:7]
	v_mul_f64 v[6:7], v[72:73], v[170:171]
	v_fma_f64 v[6:7], v[70:71], v[174:175], -v[6:7]
	v_add_f64 v[2:3], v[2:3], v[6:7]
	v_mul_f64 v[6:7], v[76:77], v[196:197]
	v_fma_f64 v[6:7], v[74:75], v[198:199], -v[6:7]
	v_add_f64 v[2:3], v[2:3], v[6:7]
	v_mul_f64 v[6:7], v[80:81], v[178:179]
	v_fma_f64 v[6:7], v[78:79], v[182:183], -v[6:7]
	v_add_f64 v[2:3], v[2:3], v[6:7]
	v_mul_f64 v[6:7], v[84:85], v[204:205]
	v_fma_f64 v[6:7], v[82:83], v[206:207], -v[6:7]
	v_add_f64 v[2:3], v[2:3], v[6:7]
	v_mul_f64 v[6:7], v[88:89], v[200:201]
	v_fma_f64 v[6:7], v[86:87], v[202:203], -v[6:7]
	v_add_f64 v[2:3], v[2:3], v[6:7]
	v_mul_f64 v[6:7], v[92:93], v[216:217]
	v_fma_f64 v[6:7], v[90:91], v[218:219], -v[6:7]
	v_add_f64 v[2:3], v[2:3], v[6:7]
	v_mul_f64 v[6:7], v[96:97], v[222:223]
	v_fma_f64 v[6:7], v[94:95], v[224:225], -v[6:7]
	v_add_f64 v[2:3], v[2:3], v[6:7]
	v_mul_f64 v[6:7], v[100:101], v[228:229]
	v_fma_f64 v[6:7], v[98:99], v[232:233], -v[6:7]
	v_add_f64 v[2:3], v[2:3], v[6:7]
	v_mul_f64 v[6:7], v[104:105], v[220:221]
	v_fma_f64 v[6:7], v[102:103], v[226:227], -v[6:7]
	v_add_f64 v[2:3], v[2:3], v[6:7]
	v_mul_f64 v[6:7], v[108:109], v[230:231]
	v_fma_f64 v[6:7], v[106:107], v[234:235], -v[6:7]
	v_add_f64 v[2:3], v[2:3], v[6:7]
	v_mul_f64 v[6:7], v[112:113], v[236:237]
	v_fma_f64 v[6:7], v[110:111], v[238:239], -v[6:7]
	v_add_f64 v[2:3], v[2:3], v[6:7]
	v_mul_f64 v[6:7], v[116:117], v[242:243]
	v_fma_f64 v[6:7], v[114:115], v[244:245], -v[6:7]
	v_add_f64 v[2:3], v[2:3], v[6:7]
	s_waitcnt vmcnt(2)
	v_add_f64 v[2:3], v[248:249], -v[2:3]
	v_cmp_lt_u32_e32 vcc, 7, v0
	s_waitcnt vmcnt(0)
	v_add_f64 v[4:5], v[246:247], -v[4:5]
	buffer_store_dword v3, off, s[0:3], 0 offset:148
	buffer_store_dword v2, off, s[0:3], 0 offset:144
	;; [unrolled: 1-line block ×4, first 2 shown]
	s_and_saveexec_b64 s[4:5], vcc
	s_cbranch_execz .LBB112_293
; %bb.292:
	v_accvgpr_read_b32 v0, a139
	buffer_load_dword v2, v0, s[0:3], 0 offen
	buffer_load_dword v3, v0, s[0:3], 0 offen offset:4
	buffer_load_dword v4, v0, s[0:3], 0 offen offset:8
	;; [unrolled: 1-line block ×3, first 2 shown]
	v_mov_b32_e32 v0, 0
	v_accvgpr_read_b32 v1, a147
	buffer_store_dword v0, off, s[0:3], 0 offset:128
	buffer_store_dword v0, off, s[0:3], 0 offset:132
	;; [unrolled: 1-line block ×4, first 2 shown]
	s_waitcnt vmcnt(4)
	ds_write_b128 v1, v[2:5]
.LBB112_293:
	s_or_b64 exec, exec, s[4:5]
	s_waitcnt lgkmcnt(0)
	; wave barrier
	s_waitcnt lgkmcnt(0)
	buffer_load_dword v54, off, s[0:3], 0 offset:144
	buffer_load_dword v55, off, s[0:3], 0 offset:148
	;; [unrolled: 1-line block ×46, first 2 shown]
	v_mov_b32_e32 v1, 0
	buffer_load_dword v255, off, s[0:3], 0 offset:340
	buffer_load_dword v254, off, s[0:3], 0 offset:336
	;; [unrolled: 1-line block ×3, first 2 shown]
	ds_read_b128 v[94:97], v1 offset:912
	ds_read_b128 v[108:111], v1 offset:928
	;; [unrolled: 1-line block ×11, first 2 shown]
	v_accvgpr_read_b32 v0, a146
	v_cmp_lt_u32_e32 vcc, 6, v0
	s_waitcnt vmcnt(41) lgkmcnt(9)
	v_mul_f64 v[4:5], v[108:109], v[62:63]
	v_fmac_f64_e32 v[4:5], v[110:111], v[58:59]
	s_waitcnt vmcnt(39) lgkmcnt(8)
	v_mul_f64 v[6:7], v[112:113], v[60:61]
	v_mul_f64 v[62:63], v[110:111], v[62:63]
	s_waitcnt vmcnt(37) lgkmcnt(6)
	v_mul_f64 v[10:11], v[238:239], v[64:65]
	s_waitcnt vmcnt(35)
	v_fmac_f64_e32 v[10:11], v[240:241], v[66:67]
	s_waitcnt vmcnt(33)
	v_mul_f64 v[8:9], v[206:207], v[68:69]
	s_waitcnt vmcnt(31) lgkmcnt(4)
	v_mul_f64 v[14:15], v[246:247], v[74:75]
	v_mul_f64 v[74:75], v[248:249], v[74:75]
	s_waitcnt vmcnt(29)
	v_fmac_f64_e32 v[14:15], v[248:249], v[76:77]
	v_fma_f64 v[246:247], v[246:247], v[76:77], -v[74:75]
	s_waitcnt vmcnt(27)
	v_mul_f64 v[12:13], v[242:243], v[70:71]
	s_waitcnt vmcnt(25) lgkmcnt(2)
	v_mul_f64 v[18:19], v[210:211], v[86:87]
	v_mul_f64 v[86:87], v[212:213], v[86:87]
	s_waitcnt vmcnt(22)
	v_mul_f64 v[16:17], v[250:251], v[78:79]
	v_mul_f64 v[78:79], v[252:253], v[78:79]
	s_waitcnt vmcnt(20) lgkmcnt(1)
	v_mul_f64 v[20:21], v[116:117], v[90:91]
	v_mul_f64 v[90:91], v[118:119], v[90:91]
	s_waitcnt vmcnt(18)
	v_fmac_f64_e32 v[6:7], v[114:115], v[84:85]
	s_waitcnt vmcnt(16)
	v_fmac_f64_e32 v[8:9], v[208:209], v[82:83]
	;; [unrolled: 2-line block ×5, first 2 shown]
	v_fma_f64 v[248:249], v[250:251], v[80:81], -v[78:79]
	v_fma_f64 v[252:253], v[210:211], v[88:89], -v[86:87]
	s_waitcnt vmcnt(5)
	v_fmac_f64_e32 v[20:21], v[118:119], v[92:93]
	v_fma_f64 v[250:251], v[116:117], v[92:93], -v[90:91]
	s_waitcnt vmcnt(3)
	v_pk_mov_b32 v[22:23], v[2:3], v[2:3] op_sel:[0,1]
	v_mul_f64 v[2:3], v[94:95], v[56:57]
	v_fmac_f64_e32 v[2:3], v[96:97], v[54:55]
	v_add_f64 v[2:3], v[2:3], 0
	v_add_f64 v[2:3], v[2:3], v[4:5]
	buffer_load_dword v106, off, s[0:3], 0 offset:328
	buffer_load_dword v235, off, s[0:3], 0 offset:324
	;; [unrolled: 1-line block ×75, first 2 shown]
	v_add_f64 v[2:3], v[2:3], v[6:7]
	v_add_f64 v[2:3], v[2:3], v[8:9]
	;; [unrolled: 1-line block ×3, first 2 shown]
	ds_read_b128 v[120:123], v1 offset:1088
	ds_read_b128 v[124:127], v1 offset:1104
	v_add_f64 v[2:3], v[2:3], v[12:13]
	v_add_f64 v[2:3], v[2:3], v[14:15]
	;; [unrolled: 1-line block ×5, first 2 shown]
	s_waitcnt lgkmcnt(0)
	v_mul_f64 v[12:13], v[124:125], v[22:23]
	s_waitcnt vmcnt(62)
	v_fmac_f64_e32 v[12:13], v[126:127], v[254:255]
	v_accvgpr_write_b32 a149, v23
	v_accvgpr_write_b32 a148, v22
	v_mul_f64 v[56:57], v[96:97], v[56:57]
	v_mul_f64 v[8:9], v[120:121], v[106:107]
	v_fmac_f64_e32 v[8:9], v[122:123], v[234:235]
	v_pk_mov_b32 v[24:25], v[4:5], v[4:5] op_sel:[0,1]
	v_mul_f64 v[4:5], v[98:99], v[102:103]
	v_fmac_f64_e32 v[4:5], v[100:101], v[104:105]
	v_add_f64 v[6:7], v[2:3], v[4:5]
	v_add_f64 v[10:11], v[6:7], v[8:9]
	ds_read_b128 v[6:9], v1 offset:1120
	v_add_f64 v[14:15], v[10:11], v[12:13]
	ds_read_b128 v[10:13], v1 offset:1136
	v_accvgpr_write_b32 a151, v25
	v_accvgpr_write_b32 a150, v24
	s_waitcnt lgkmcnt(1)
	v_mul_f64 v[16:17], v[6:7], v[140:141]
	v_fmac_f64_e32 v[16:17], v[8:9], v[144:145]
	s_waitcnt lgkmcnt(0)
	v_mul_f64 v[20:21], v[10:11], v[214:215]
	v_add_f64 v[18:19], v[14:15], v[16:17]
	ds_read_b128 v[14:17], v1 offset:1152
	v_fmac_f64_e32 v[20:21], v[12:13], v[24:25]
	v_add_f64 v[22:23], v[18:19], v[20:21]
	ds_read_b128 v[18:21], v1 offset:1168
	v_fma_f64 v[2:3], v[94:95], v[54:55], -v[56:57]
	s_waitcnt vmcnt(58) lgkmcnt(1)
	v_mul_f64 v[24:25], v[14:15], v[148:149]
	s_waitcnt vmcnt(56)
	v_fmac_f64_e32 v[24:25], v[16:17], v[152:153]
	v_add_f64 v[26:27], v[22:23], v[24:25]
	s_waitcnt lgkmcnt(0)
	v_mul_f64 v[28:29], v[18:19], v[128:129]
	ds_read_b128 v[22:25], v1 offset:1184
	v_fmac_f64_e32 v[28:29], v[20:21], v[130:131]
	v_add_f64 v[30:31], v[26:27], v[28:29]
	ds_read_b128 v[26:29], v1 offset:1200
	v_fma_f64 v[94:95], v[108:109], v[58:59], -v[62:63]
	s_waitcnt vmcnt(50) lgkmcnt(1)
	v_mul_f64 v[32:33], v[22:23], v[156:157]
	s_waitcnt vmcnt(48)
	v_fmac_f64_e32 v[32:33], v[24:25], v[160:161]
	v_add_f64 v[34:35], v[30:31], v[32:33]
	s_waitcnt lgkmcnt(0)
	v_mul_f64 v[36:37], v[26:27], v[132:133]
	ds_read_b128 v[30:33], v1 offset:1216
	v_fmac_f64_e32 v[36:37], v[28:29], v[134:135]
	v_add_f64 v[38:39], v[34:35], v[36:37]
	ds_read_b128 v[34:37], v1 offset:1232
	v_mul_f64 v[58:59], v[114:115], v[60:61]
	s_waitcnt vmcnt(42) lgkmcnt(1)
	v_mul_f64 v[40:41], v[30:31], v[164:165]
	s_waitcnt vmcnt(40)
	v_fmac_f64_e32 v[40:41], v[32:33], v[168:169]
	v_add_f64 v[42:43], v[38:39], v[40:41]
	s_waitcnt lgkmcnt(0)
	v_mul_f64 v[44:45], v[34:35], v[136:137]
	ds_read_b128 v[38:41], v1 offset:1248
	v_fmac_f64_e32 v[44:45], v[36:37], v[138:139]
	v_add_f64 v[46:47], v[42:43], v[44:45]
	ds_read_b128 v[42:45], v1 offset:1264
	v_fma_f64 v[96:97], v[112:113], v[84:85], -v[58:59]
	s_waitcnt vmcnt(34) lgkmcnt(1)
	v_mul_f64 v[48:49], v[38:39], v[172:173]
	s_waitcnt vmcnt(32)
	v_fmac_f64_e32 v[48:49], v[40:41], v[176:177]
	v_add_f64 v[50:51], v[46:47], v[48:49]
	s_waitcnt lgkmcnt(0)
	v_mul_f64 v[52:53], v[42:43], v[142:143]
	v_fmac_f64_e32 v[52:53], v[44:45], v[146:147]
	ds_read_b128 v[46:49], v1 offset:1280
	v_add_f64 v[200:201], v[50:51], v[52:53]
	ds_read_b128 v[50:53], v1 offset:1296
	buffer_load_dword v197, off, s[0:3], 0 offset:652
	buffer_load_dword v196, off, s[0:3], 0 offset:648
	;; [unrolled: 1-line block ×4, first 2 shown]
	v_mul_f64 v[58:59], v[208:209], v[68:69]
	s_waitcnt vmcnt(30) lgkmcnt(1)
	v_mul_f64 v[202:203], v[46:47], v[180:181]
	s_waitcnt vmcnt(28)
	v_fmac_f64_e32 v[202:203], v[48:49], v[182:183]
	v_add_f64 v[236:237], v[200:201], v[202:203]
	buffer_load_dword v202, off, s[0:3], 0 offset:664
	buffer_load_dword v204, off, s[0:3], 0 offset:656
	;; [unrolled: 1-line block ×12, first 2 shown]
	ds_read_b128 v[54:57], v1 offset:1312
	buffer_load_dword v223, off, s[0:3], 0 offset:716
	buffer_load_dword v222, off, s[0:3], 0 offset:712
	;; [unrolled: 1-line block ×4, first 2 shown]
	s_waitcnt lgkmcnt(1)
	v_mul_f64 v[4:5], v[50:51], v[150:151]
	buffer_load_dword v226, off, s[0:3], 0 offset:728
	buffer_load_dword v228, off, s[0:3], 0 offset:720
	;; [unrolled: 1-line block ×8, first 2 shown]
	v_fmac_f64_e32 v[4:5], v[52:53], v[154:155]
	v_add_f64 v[4:5], v[236:237], v[4:5]
	buffer_load_dword v208, off, s[0:3], 0 offset:760
	buffer_load_dword v236, off, s[0:3], 0 offset:752
	;; [unrolled: 1-line block ×4, first 2 shown]
	v_fma_f64 v[108:109], v[206:207], v[82:83], -v[58:59]
	s_waitcnt vmcnt(50) lgkmcnt(0)
	v_mul_f64 v[58:59], v[54:55], v[184:185]
	s_waitcnt vmcnt(48)
	v_fmac_f64_e32 v[58:59], v[56:57], v[186:187]
	v_add_f64 v[4:5], v[4:5], v[58:59]
	ds_read_b128 v[58:61], v1 offset:1328
	v_mul_f64 v[62:63], v[240:241], v[64:65]
	v_fma_f64 v[240:241], v[238:239], v[66:67], -v[62:63]
	ds_read_b128 v[62:65], v1 offset:1344
	v_mul_f64 v[66:67], v[244:245], v[70:71]
	v_fma_f64 v[206:207], v[242:243], v[72:73], -v[66:67]
	ds_read_b128 v[66:69], v1 offset:1360
	ds_read_b128 v[74:77], v1 offset:1392
	s_waitcnt lgkmcnt(3)
	v_mul_f64 v[82:83], v[58:59], v[158:159]
	v_fmac_f64_e32 v[82:83], v[60:61], v[162:163]
	s_waitcnt vmcnt(42) lgkmcnt(2)
	v_mul_f64 v[70:71], v[62:63], v[188:189]
	v_add_f64 v[4:5], v[4:5], v[82:83]
	s_waitcnt vmcnt(40)
	v_fmac_f64_e32 v[70:71], v[64:65], v[190:191]
	v_add_f64 v[4:5], v[4:5], v[70:71]
	s_waitcnt lgkmcnt(1)
	v_mul_f64 v[70:71], v[66:67], v[166:167]
	v_fmac_f64_e32 v[70:71], v[68:69], v[170:171]
	v_add_f64 v[4:5], v[4:5], v[70:71]
	ds_read_b128 v[70:73], v1 offset:1376
	ds_read_b128 v[78:81], v1 offset:1408
	;; [unrolled: 1-line block ×4, first 2 shown]
	v_mul_f64 v[100:101], v[100:101], v[102:103]
	s_waitcnt vmcnt(34) lgkmcnt(3)
	v_mul_f64 v[82:83], v[70:71], v[192:193]
	s_waitcnt vmcnt(32)
	v_fmac_f64_e32 v[82:83], v[72:73], v[194:195]
	v_add_f64 v[4:5], v[4:5], v[82:83]
	v_mul_f64 v[82:83], v[74:75], v[174:175]
	v_fmac_f64_e32 v[82:83], v[76:77], v[178:179]
	v_add_f64 v[4:5], v[4:5], v[82:83]
	v_mul_f64 v[102:103], v[122:123], v[106:107]
	v_fma_f64 v[238:239], v[98:99], v[104:105], -v[100:101]
	ds_read_b128 v[98:101], v1 offset:1488
	v_fma_f64 v[102:103], v[120:121], v[234:235], -v[102:103]
	v_accvgpr_write_b32 a153, v103
	v_accvgpr_write_b32 a152, v102
	ds_read_b128 v[102:105], v1 offset:1504
	ds_read_b128 v[118:121], v1 offset:1520
	v_add_f64 v[2:3], v[2:3], 0
	v_add_f64 v[2:3], v[2:3], v[94:95]
	;; [unrolled: 1-line block ×7, first 2 shown]
	ds_read_b128 v[86:89], v1 offset:1440
	v_add_f64 v[2:3], v[2:3], v[248:249]
	v_add_f64 v[2:3], v[2:3], v[252:253]
	;; [unrolled: 1-line block ×3, first 2 shown]
	v_accvgpr_read_b32 v94, a148
	v_add_f64 v[252:253], v[2:3], v[238:239]
	v_accvgpr_read_b32 v2, a152
	v_accvgpr_read_b32 v95, a149
	;; [unrolled: 1-line block ×3, first 2 shown]
	v_mul_f64 v[94:95], v[126:127], v[94:95]
	v_add_f64 v[2:3], v[252:253], v[2:3]
	v_fma_f64 v[94:95], v[124:125], v[254:255], -v[94:95]
	v_mul_f64 v[8:9], v[8:9], v[140:141]
	v_add_f64 v[2:3], v[2:3], v[94:95]
	v_fma_f64 v[6:7], v[6:7], v[144:145], -v[8:9]
	v_accvgpr_read_b32 v8, a150
	v_add_f64 v[2:3], v[2:3], v[6:7]
	s_waitcnt vmcnt(30) lgkmcnt(6)
	v_mul_f64 v[82:83], v[78:79], v[196:197]
	v_mul_f64 v[6:7], v[12:13], v[214:215]
	s_waitcnt vmcnt(28)
	v_fmac_f64_e32 v[82:83], v[80:81], v[198:199]
	v_add_f64 v[4:5], v[4:5], v[82:83]
	ds_read_b128 v[82:85], v1 offset:1424
	v_accvgpr_read_b32 v9, a151
	v_fma_f64 v[6:7], v[10:11], v[8:9], -v[6:7]
	s_waitcnt vmcnt(9) lgkmcnt(4)
	v_mul_f64 v[106:107], v[98:99], v[226:227]
	s_waitcnt vmcnt(8)
	v_fmac_f64_e32 v[106:107], v[100:101], v[228:229]
	s_waitcnt lgkmcnt(0)
	v_mul_f64 v[110:111], v[82:83], v[202:203]
	v_fmac_f64_e32 v[110:111], v[84:85], v[204:205]
	v_add_f64 v[4:5], v[4:5], v[110:111]
	v_mul_f64 v[110:111], v[86:87], v[216:217]
	v_fmac_f64_e32 v[110:111], v[88:89], v[220:221]
	v_add_f64 v[4:5], v[4:5], v[110:111]
	;; [unrolled: 3-line block ×4, first 2 shown]
	v_add_f64 v[4:5], v[4:5], v[106:107]
	s_waitcnt vmcnt(6)
	v_mul_f64 v[106:107], v[102:103], v[230:231]
	s_waitcnt vmcnt(4)
	v_fmac_f64_e32 v[106:107], v[104:105], v[232:233]
	v_add_f64 v[4:5], v[4:5], v[106:107]
	s_waitcnt vmcnt(1)
	v_mul_f64 v[106:107], v[118:119], v[208:209]
	s_waitcnt vmcnt(0)
	v_fmac_f64_e32 v[106:107], v[120:121], v[236:237]
	v_add_f64 v[4:5], v[4:5], v[106:107]
	buffer_load_dword v107, off, s[0:3], 0 offset:780
	buffer_load_dword v106, off, s[0:3], 0 offset:776
	;; [unrolled: 1-line block ×4, first 2 shown]
	ds_read_b128 v[110:113], v1 offset:1536
	buffer_load_dword v242, off, s[0:3], 0 offset:792
	buffer_load_dword v243, off, s[0:3], 0 offset:796
	;; [unrolled: 1-line block ×4, first 2 shown]
	v_add_f64 v[2:3], v[2:3], v[6:7]
	v_mul_f64 v[6:7], v[16:17], v[148:149]
	v_fma_f64 v[6:7], v[14:15], v[152:153], -v[6:7]
	v_add_f64 v[2:3], v[2:3], v[6:7]
	v_mul_f64 v[6:7], v[20:21], v[128:129]
	v_fma_f64 v[6:7], v[18:19], v[130:131], -v[6:7]
	;; [unrolled: 3-line block ×24, first 2 shown]
	v_add_f64 v[2:3], v[2:3], v[6:7]
	s_waitcnt vmcnt(6) lgkmcnt(0)
	v_mul_f64 v[114:115], v[110:111], v[106:107]
	v_mul_f64 v[6:7], v[112:113], v[106:107]
	s_waitcnt vmcnt(4)
	v_fmac_f64_e32 v[114:115], v[112:113], v[234:235]
	v_add_f64 v[4:5], v[4:5], v[114:115]
	ds_read_b128 v[114:117], v1 offset:1552
	buffer_load_dword v248, off, s[0:3], 0 offset:128
	buffer_load_dword v249, off, s[0:3], 0 offset:132
	;; [unrolled: 1-line block ×4, first 2 shown]
	v_fma_f64 v[6:7], v[110:111], v[234:235], -v[6:7]
	v_add_f64 v[2:3], v[2:3], v[6:7]
	s_waitcnt vmcnt(6) lgkmcnt(0)
	v_mul_f64 v[6:7], v[116:117], v[242:243]
	v_mul_f64 v[122:123], v[114:115], v[242:243]
	s_waitcnt vmcnt(4)
	v_fma_f64 v[6:7], v[114:115], v[244:245], -v[6:7]
	v_fmac_f64_e32 v[122:123], v[116:117], v[244:245]
	v_add_f64 v[2:3], v[2:3], v[6:7]
	v_add_f64 v[4:5], v[4:5], v[122:123]
	s_waitcnt vmcnt(2)
	v_add_f64 v[2:3], v[248:249], -v[2:3]
	s_waitcnt vmcnt(0)
	v_add_f64 v[4:5], v[246:247], -v[4:5]
	buffer_store_dword v3, off, s[0:3], 0 offset:132
	buffer_store_dword v2, off, s[0:3], 0 offset:128
	;; [unrolled: 1-line block ×4, first 2 shown]
	s_and_saveexec_b64 s[4:5], vcc
	s_cbranch_execz .LBB112_295
; %bb.294:
	v_accvgpr_read_b32 v0, a140
	buffer_load_dword v2, v0, s[0:3], 0 offen
	buffer_load_dword v3, v0, s[0:3], 0 offen offset:4
	buffer_load_dword v4, v0, s[0:3], 0 offen offset:8
	;; [unrolled: 1-line block ×3, first 2 shown]
	v_accvgpr_read_b32 v0, a147
	buffer_store_dword v1, off, s[0:3], 0 offset:112
	buffer_store_dword v1, off, s[0:3], 0 offset:116
	;; [unrolled: 1-line block ×4, first 2 shown]
	s_waitcnt vmcnt(4)
	ds_write_b128 v0, v[2:5]
.LBB112_295:
	s_or_b64 exec, exec, s[4:5]
	s_waitcnt lgkmcnt(0)
	; wave barrier
	s_waitcnt lgkmcnt(0)
	buffer_load_dword v58, off, s[0:3], 0 offset:128
	buffer_load_dword v59, off, s[0:3], 0 offset:132
	;; [unrolled: 1-line block ×42, first 2 shown]
	ds_read_b128 v[110:113], v1 offset:896
	ds_read_b128 v[114:117], v1 offset:912
	;; [unrolled: 1-line block ×10, first 2 shown]
	buffer_load_dword v223, off, s[0:3], 0 offset:276
	buffer_load_dword v222, off, s[0:3], 0 offset:272
	ds_read_b128 v[90:93], v1 offset:1056
	buffer_load_dword v105, off, s[0:3], 0 offset:332
	buffer_load_dword v104, off, s[0:3], 0 offset:328
	buffer_load_dword v107, off, s[0:3], 0 offset:324
	buffer_load_dword v106, off, s[0:3], 0 offset:320
	buffer_load_dword v109, off, s[0:3], 0 offset:316
	buffer_load_dword v108, off, s[0:3], 0 offset:312
	s_waitcnt vmcnt(46) lgkmcnt(10)
	v_mul_f64 v[2:3], v[110:111], v[60:61]
	v_fmac_f64_e32 v[2:3], v[112:113], v[58:59]
	v_add_f64 v[2:3], v[2:3], 0
	v_mul_f64 v[60:61], v[112:113], v[60:61]
	s_waitcnt vmcnt(42) lgkmcnt(9)
	v_mul_f64 v[4:5], v[114:115], v[62:63]
	v_fmac_f64_e32 v[4:5], v[116:117], v[56:57]
	v_add_f64 v[2:3], v[2:3], v[4:5]
	buffer_load_dword v225, off, s[0:3], 0 offset:308
	buffer_load_dword v224, off, s[0:3], 0 offset:304
	;; [unrolled: 1-line block ×4, first 2 shown]
	s_waitcnt vmcnt(44) lgkmcnt(8)
	v_mul_f64 v[6:7], v[206:207], v[54:55]
	s_waitcnt vmcnt(42) lgkmcnt(6)
	v_mul_f64 v[10:11], v[232:233], v[64:65]
	s_waitcnt vmcnt(40)
	v_fmac_f64_e32 v[10:11], v[234:235], v[66:67]
	v_mul_f64 v[54:55], v[208:209], v[54:55]
	s_waitcnt vmcnt(38)
	v_mul_f64 v[8:9], v[210:211], v[68:69]
	s_waitcnt vmcnt(36) lgkmcnt(4)
	v_mul_f64 v[14:15], v[240:241], v[70:71]
	s_waitcnt vmcnt(34)
	v_fmac_f64_e32 v[14:15], v[242:243], v[72:73]
	s_waitcnt vmcnt(32)
	v_mul_f64 v[12:13], v[236:237], v[74:75]
	s_waitcnt vmcnt(30) lgkmcnt(2)
	v_mul_f64 v[18:19], v[248:249], v[78:79]
	v_mul_f64 v[78:79], v[250:251], v[78:79]
	s_waitcnt vmcnt(27)
	v_mul_f64 v[16:17], v[244:245], v[76:77]
	s_waitcnt vmcnt(25) lgkmcnt(1)
	v_mul_f64 v[20:21], v[82:83], v[86:87]
	s_waitcnt vmcnt(23)
	v_fmac_f64_e32 v[6:7], v[208:209], v[100:101]
	v_add_f64 v[2:3], v[2:3], v[6:7]
	s_waitcnt vmcnt(21)
	v_fmac_f64_e32 v[8:9], v[212:213], v[98:99]
	v_add_f64 v[2:3], v[2:3], v[8:9]
	;; [unrolled: 3-line block ×3, first 2 shown]
	v_add_f64 v[2:3], v[2:3], v[12:13]
	s_waitcnt vmcnt(17)
	v_fmac_f64_e32 v[16:17], v[246:247], v[88:89]
	v_add_f64 v[2:3], v[2:3], v[14:15]
	s_waitcnt vmcnt(16)
	v_fmac_f64_e32 v[18:19], v[250:251], v[80:81]
	v_add_f64 v[2:3], v[2:3], v[16:17]
	v_add_f64 v[2:3], v[2:3], v[18:19]
	v_fma_f64 v[54:55], v[206:207], v[100:101], -v[54:55]
	s_waitcnt vmcnt(10)
	v_fmac_f64_e32 v[20:21], v[84:85], v[222:223]
	v_add_f64 v[2:3], v[2:3], v[20:21]
	v_fma_f64 v[248:249], v[248:249], v[80:81], -v[78:79]
	v_mul_f64 v[84:85], v[84:85], v[86:87]
	v_fma_f64 v[250:251], v[82:83], v[222:223], -v[84:85]
	s_waitcnt vmcnt(0)
	v_pk_mov_b32 v[18:19], v[4:5], v[4:5] op_sel:[0,1]
	buffer_load_dword v5, off, s[0:3], 0 offset:356
	buffer_load_dword v4, off, s[0:3], 0 offset:352
	v_accvgpr_write_b32 a149, v19
	v_accvgpr_write_b32 a148, v18
	s_waitcnt vmcnt(0)
	v_pk_mov_b32 v[22:23], v[4:5], v[4:5] op_sel:[0,1]
	buffer_load_dword v137, off, s[0:3], 0 offset:348
	buffer_load_dword v136, off, s[0:3], 0 offset:344
	;; [unrolled: 1-line block ×6, first 2 shown]
	v_accvgpr_write_b32 a151, v23
	v_accvgpr_write_b32 a150, v22
	s_waitcnt vmcnt(0)
	v_pk_mov_b32 v[26:27], v[4:5], v[4:5] op_sel:[0,1]
	buffer_load_dword v5, off, s[0:3], 0 offset:388
	buffer_load_dword v4, off, s[0:3], 0 offset:384
	v_accvgpr_write_b32 a153, v27
	v_accvgpr_write_b32 a152, v26
	s_waitcnt vmcnt(0)
	v_pk_mov_b32 v[28:29], v[4:5], v[4:5] op_sel:[0,1]
	buffer_load_dword v145, off, s[0:3], 0 offset:380
	buffer_load_dword v144, off, s[0:3], 0 offset:376
	;; [unrolled: 1-line block ×60, first 2 shown]
	ds_read_b128 v[252:255], v1 offset:1072
	ds_read_b128 v[118:121], v1 offset:1088
	;; [unrolled: 1-line block ×5, first 2 shown]
	v_accvgpr_write_b32 a155, v29
	s_waitcnt lgkmcnt(3)
	v_mul_f64 v[8:9], v[118:119], v[104:105]
	v_fmac_f64_e32 v[8:9], v[120:121], v[106:107]
	s_waitcnt lgkmcnt(2)
	v_mul_f64 v[12:13], v[126:127], v[136:137]
	v_fmac_f64_e32 v[12:13], v[128:129], v[140:141]
	;; [unrolled: 3-line block ×3, first 2 shown]
	v_accvgpr_write_b32 a154, v28
	v_mul_f64 v[104:105], v[120:121], v[104:105]
	s_waitcnt vmcnt(52)
	v_pk_mov_b32 v[34:35], v[4:5], v[4:5] op_sel:[0,1]
	v_mul_f64 v[4:5], v[90:91], v[96:97]
	v_fmac_f64_e32 v[4:5], v[92:93], v[102:103]
	v_add_f64 v[2:3], v[2:3], v[4:5]
	v_mul_f64 v[4:5], v[252:253], v[108:109]
	v_fmac_f64_e32 v[4:5], v[254:255], v[224:225]
	v_add_f64 v[6:7], v[2:3], v[4:5]
	v_add_f64 v[10:11], v[6:7], v[8:9]
	;; [unrolled: 1-line block ×4, first 2 shown]
	ds_read_b128 v[14:17], v1 offset:1152
	s_waitcnt lgkmcnt(1)
	v_mul_f64 v[20:21], v[122:123], v[144:145]
	v_fmac_f64_e32 v[20:21], v[124:125], v[148:149]
	v_add_f64 v[22:23], v[18:19], v[20:21]
	ds_read_b128 v[18:21], v1 offset:1168
	s_waitcnt lgkmcnt(1)
	v_mul_f64 v[24:25], v[14:15], v[26:27]
	v_fmac_f64_e32 v[24:25], v[16:17], v[28:29]
	v_add_f64 v[26:27], v[22:23], v[24:25]
	ds_read_b128 v[22:25], v1 offset:1184
	s_waitcnt vmcnt(50) lgkmcnt(1)
	v_mul_f64 v[28:29], v[18:19], v[152:153]
	s_waitcnt vmcnt(48)
	v_fmac_f64_e32 v[28:29], v[20:21], v[156:157]
	v_add_f64 v[30:31], v[26:27], v[28:29]
	ds_read_b128 v[26:29], v1 offset:1200
	s_waitcnt lgkmcnt(1)
	v_mul_f64 v[32:33], v[22:23], v[214:215]
	v_fmac_f64_e32 v[32:33], v[24:25], v[34:35]
	v_accvgpr_write_b32 a157, v35
	v_accvgpr_write_b32 a156, v34
	v_add_f64 v[34:35], v[30:31], v[32:33]
	ds_read_b128 v[30:33], v1 offset:1216
	s_waitcnt vmcnt(42) lgkmcnt(1)
	v_mul_f64 v[36:37], v[26:27], v[160:161]
	s_waitcnt vmcnt(40)
	v_fmac_f64_e32 v[36:37], v[28:29], v[164:165]
	v_add_f64 v[38:39], v[34:35], v[36:37]
	ds_read_b128 v[34:37], v1 offset:1232
	s_waitcnt lgkmcnt(1)
	v_mul_f64 v[40:41], v[30:31], v[132:133]
	v_fmac_f64_e32 v[40:41], v[32:33], v[134:135]
	v_add_f64 v[42:43], v[38:39], v[40:41]
	ds_read_b128 v[38:41], v1 offset:1248
	s_waitcnt vmcnt(34) lgkmcnt(1)
	v_mul_f64 v[44:45], v[34:35], v[168:169]
	s_waitcnt vmcnt(32)
	v_fmac_f64_e32 v[44:45], v[36:37], v[172:173]
	v_add_f64 v[46:47], v[42:43], v[44:45]
	ds_read_b128 v[42:45], v1 offset:1264
	s_waitcnt lgkmcnt(1)
	v_mul_f64 v[48:49], v[38:39], v[138:139]
	v_fmac_f64_e32 v[48:49], v[40:41], v[142:143]
	v_add_f64 v[50:51], v[46:47], v[48:49]
	ds_read_b128 v[46:49], v1 offset:1280
	s_waitcnt vmcnt(26) lgkmcnt(1)
	v_mul_f64 v[52:53], v[42:43], v[176:177]
	s_waitcnt vmcnt(24)
	v_fmac_f64_e32 v[52:53], v[44:45], v[178:179]
	v_add_f64 v[2:3], v[50:51], v[52:53]
	ds_read_b128 v[50:53], v1 offset:1296
	buffer_load_dword v13, off, s[0:3], 0 offset:636
	buffer_load_dword v12, off, s[0:3], 0 offset:632
	;; [unrolled: 1-line block ×20, first 2 shown]
	s_waitcnt lgkmcnt(1)
	v_mul_f64 v[4:5], v[46:47], v[146:147]
	v_fma_f64 v[6:7], v[110:111], v[58:59], -v[60:61]
	v_mul_f64 v[58:59], v[116:117], v[62:63]
	v_fmac_f64_e32 v[4:5], v[48:49], v[150:151]
	v_fma_f64 v[226:227], v[114:115], v[56:57], -v[58:59]
	v_mul_f64 v[56:57], v[212:213], v[68:69]
	v_add_f64 v[58:59], v[2:3], v[4:5]
	v_mul_f64 v[2:3], v[234:235], v[64:65]
	v_fma_f64 v[56:57], v[210:211], v[98:99], -v[56:57]
	buffer_load_dword v206, off, s[0:3], 0 offset:712
	buffer_load_dword v210, off, s[0:3], 0 offset:704
	;; [unrolled: 1-line block ×12, first 2 shown]
	v_fma_f64 v[2:3], v[232:233], v[66:67], -v[2:3]
	buffer_load_dword v233, off, s[0:3], 0 offset:764
	buffer_load_dword v232, off, s[0:3], 0 offset:760
	;; [unrolled: 1-line block ×4, first 2 shown]
	ds_read_b128 v[8:11], v1 offset:1312
	s_waitcnt vmcnt(54) lgkmcnt(1)
	v_mul_f64 v[4:5], v[50:51], v[180:181]
	s_waitcnt vmcnt(52)
	v_fmac_f64_e32 v[4:5], v[52:53], v[182:183]
	v_add_f64 v[4:5], v[58:59], v[4:5]
	v_mul_f64 v[58:59], v[238:239], v[74:75]
	v_fma_f64 v[94:95], v[236:237], v[94:95], -v[58:59]
	ds_read_b128 v[58:61], v1 offset:1328
	s_waitcnt lgkmcnt(1)
	v_mul_f64 v[62:63], v[8:9], v[154:155]
	v_fmac_f64_e32 v[62:63], v[10:11], v[158:159]
	v_add_f64 v[4:5], v[4:5], v[62:63]
	ds_read_b128 v[62:65], v1 offset:1344
	v_mul_f64 v[66:67], v[242:243], v[70:71]
	s_waitcnt vmcnt(46) lgkmcnt(1)
	v_mul_f64 v[70:71], v[58:59], v[184:185]
	v_fma_f64 v[240:241], v[240:241], v[72:73], -v[66:67]
	ds_read_b128 v[66:69], v1 offset:1360
	s_waitcnt vmcnt(44)
	v_fmac_f64_e32 v[70:71], v[60:61], v[186:187]
	v_add_f64 v[4:5], v[4:5], v[70:71]
	v_mul_f64 v[70:71], v[246:247], v[76:77]
	v_fma_f64 v[246:247], v[244:245], v[88:89], -v[70:71]
	ds_read_b128 v[70:73], v1 offset:1376
	ds_read_b128 v[78:81], v1 offset:1408
	s_waitcnt lgkmcnt(3)
	v_mul_f64 v[74:75], v[62:63], v[162:163]
	v_fmac_f64_e32 v[74:75], v[64:65], v[166:167]
	v_add_f64 v[4:5], v[4:5], v[74:75]
	s_waitcnt vmcnt(38) lgkmcnt(2)
	v_mul_f64 v[74:75], v[66:67], v[188:189]
	s_waitcnt vmcnt(36)
	v_fmac_f64_e32 v[74:75], v[68:69], v[190:191]
	v_add_f64 v[4:5], v[4:5], v[74:75]
	s_waitcnt lgkmcnt(1)
	v_mul_f64 v[74:75], v[70:71], v[170:171]
	v_fmac_f64_e32 v[74:75], v[72:73], v[174:175]
	v_add_f64 v[4:5], v[4:5], v[74:75]
	ds_read_b128 v[74:77], v1 offset:1392
	ds_read_b128 v[82:85], v1 offset:1424
	v_mul_f64 v[92:93], v[92:93], v[96:97]
	v_fma_f64 v[102:103], v[90:91], v[102:103], -v[92:93]
	v_add_f64 v[6:7], v[6:7], 0
	v_add_f64 v[6:7], v[6:7], v[226:227]
	;; [unrolled: 1-line block ×3, first 2 shown]
	ds_read_b128 v[98:101], v1 offset:1472
	v_add_f64 v[6:7], v[6:7], v[56:57]
	v_add_f64 v[2:3], v[6:7], v[2:3]
	;; [unrolled: 1-line block ×7, first 2 shown]
	v_mul_f64 v[6:7], v[128:129], v[136:137]
	v_fma_f64 v[6:7], v[126:127], v[140:141], -v[6:7]
	ds_read_b128 v[90:93], v1 offset:1456
	s_waitcnt vmcnt(25) lgkmcnt(2)
	v_mul_f64 v[96:97], v[82:83], v[202:203]
	s_waitcnt vmcnt(23)
	v_fmac_f64_e32 v[96:97], v[84:85], v[218:219]
	v_mul_f64 v[88:89], v[74:75], v[12:13]
	v_fmac_f64_e32 v[88:89], v[76:77], v[130:131]
	v_mul_f64 v[86:87], v[78:79], v[198:199]
	v_add_f64 v[4:5], v[4:5], v[88:89]
	v_fmac_f64_e32 v[86:87], v[80:81], v[200:201]
	v_add_f64 v[4:5], v[4:5], v[86:87]
	ds_read_b128 v[86:89], v1 offset:1440
	v_add_f64 v[4:5], v[4:5], v[96:97]
	s_waitcnt vmcnt(18) lgkmcnt(1)
	v_mul_f64 v[110:111], v[90:91], v[204:205]
	s_waitcnt vmcnt(16)
	v_fmac_f64_e32 v[110:111], v[92:93], v[220:221]
	s_waitcnt lgkmcnt(0)
	v_mul_f64 v[96:97], v[86:87], v[196:197]
	v_fmac_f64_e32 v[96:97], v[88:89], v[216:217]
	v_add_f64 v[4:5], v[4:5], v[96:97]
	v_mul_f64 v[96:97], v[254:255], v[108:109]
	v_fma_f64 v[96:97], v[252:253], v[224:225], -v[96:97]
	ds_read_b128 v[222:225], v1 offset:1488
	v_fma_f64 v[252:253], v[118:119], v[106:107], -v[104:105]
	ds_read_b128 v[118:121], v1 offset:1504
	ds_read_b128 v[106:109], v1 offset:1520
	buffer_load_dword v236, off, s[0:3], 0 offset:776
	buffer_load_dword v237, off, s[0:3], 0 offset:780
	;; [unrolled: 1-line block ×4, first 2 shown]
	v_add_f64 v[4:5], v[4:5], v[110:111]
	ds_read_b128 v[110:113], v1 offset:1536
	buffer_load_dword v243, off, s[0:3], 0 offset:796
	buffer_load_dword v242, off, s[0:3], 0 offset:792
	;; [unrolled: 1-line block ×4, first 2 shown]
	ds_read_b128 v[114:117], v1 offset:1552
	buffer_load_dword v248, off, s[0:3], 0 offset:112
	buffer_load_dword v249, off, s[0:3], 0 offset:116
	;; [unrolled: 1-line block ×4, first 2 shown]
	v_add_f64 v[254:255], v[2:3], v[102:103]
	v_add_f64 v[2:3], v[254:255], v[96:97]
	v_accvgpr_read_b32 v0, a148
	v_add_f64 v[2:3], v[2:3], v[252:253]
	v_accvgpr_read_b32 v1, a149
	v_add_f64 v[2:3], v[2:3], v[6:7]
	v_mul_f64 v[6:7], v[194:195], v[0:1]
	v_accvgpr_read_b32 v0, a150
	v_accvgpr_read_b32 v1, a151
	v_fma_f64 v[6:7], v[192:193], v[0:1], -v[6:7]
	v_add_f64 v[2:3], v[2:3], v[6:7]
	v_mul_f64 v[6:7], v[124:125], v[144:145]
	v_accvgpr_read_b32 v0, a152
	v_fma_f64 v[6:7], v[122:123], v[148:149], -v[6:7]
	v_accvgpr_read_b32 v1, a153
	v_add_f64 v[2:3], v[2:3], v[6:7]
	v_mul_f64 v[6:7], v[16:17], v[0:1]
	v_accvgpr_read_b32 v0, a154
	v_accvgpr_read_b32 v1, a155
	v_fma_f64 v[6:7], v[14:15], v[0:1], -v[6:7]
	v_add_f64 v[2:3], v[2:3], v[6:7]
	v_mul_f64 v[6:7], v[20:21], v[152:153]
	v_fma_f64 v[6:7], v[18:19], v[156:157], -v[6:7]
	v_accvgpr_read_b32 v0, a156
	v_add_f64 v[2:3], v[2:3], v[6:7]
	v_mul_f64 v[6:7], v[24:25], v[214:215]
	v_accvgpr_read_b32 v1, a157
	v_fma_f64 v[6:7], v[22:23], v[0:1], -v[6:7]
	v_add_f64 v[2:3], v[2:3], v[6:7]
	v_mul_f64 v[6:7], v[28:29], v[160:161]
	v_fma_f64 v[6:7], v[26:27], v[164:165], -v[6:7]
	v_add_f64 v[2:3], v[2:3], v[6:7]
	v_mul_f64 v[6:7], v[32:33], v[132:133]
	;; [unrolled: 3-line block ×17, first 2 shown]
	v_fma_f64 v[6:7], v[90:91], v[220:221], -v[6:7]
	v_add_f64 v[2:3], v[2:3], v[6:7]
	s_waitcnt vmcnt(25)
	v_mul_f64 v[6:7], v[100:101], v[206:207]
	v_mul_f64 v[104:105], v[98:99], v[206:207]
	s_waitcnt vmcnt(24)
	v_fma_f64 v[6:7], v[98:99], v[210:211], -v[6:7]
	v_fmac_f64_e32 v[104:105], v[100:101], v[210:211]
	v_add_f64 v[2:3], v[2:3], v[6:7]
	s_waitcnt vmcnt(21) lgkmcnt(4)
	v_mul_f64 v[6:7], v[224:225], v[228:229]
	v_add_f64 v[4:5], v[4:5], v[104:105]
	v_mul_f64 v[104:105], v[222:223], v[228:229]
	s_waitcnt vmcnt(19)
	v_fma_f64 v[6:7], v[222:223], v[230:231], -v[6:7]
	v_fmac_f64_e32 v[104:105], v[224:225], v[230:231]
	v_add_f64 v[2:3], v[2:3], v[6:7]
	s_waitcnt vmcnt(17) lgkmcnt(3)
	v_mul_f64 v[6:7], v[120:121], v[208:209]
	v_add_f64 v[4:5], v[4:5], v[104:105]
	;; [unrolled: 8-line block ×5, first 2 shown]
	v_mul_f64 v[104:105], v[114:115], v[242:243]
	s_waitcnt vmcnt(4)
	v_fma_f64 v[6:7], v[114:115], v[244:245], -v[6:7]
	v_fmac_f64_e32 v[104:105], v[116:117], v[244:245]
	v_add_f64 v[2:3], v[2:3], v[6:7]
	v_accvgpr_read_b32 v0, a146
	v_add_f64 v[4:5], v[4:5], v[104:105]
	s_waitcnt vmcnt(2)
	v_add_f64 v[2:3], v[248:249], -v[2:3]
	v_cmp_lt_u32_e32 vcc, 5, v0
	s_waitcnt vmcnt(0)
	v_add_f64 v[4:5], v[246:247], -v[4:5]
	buffer_store_dword v3, off, s[0:3], 0 offset:116
	buffer_store_dword v2, off, s[0:3], 0 offset:112
	;; [unrolled: 1-line block ×4, first 2 shown]
	s_and_saveexec_b64 s[4:5], vcc
	s_cbranch_execz .LBB112_297
; %bb.296:
	v_accvgpr_read_b32 v0, a141
	buffer_load_dword v2, v0, s[0:3], 0 offen
	buffer_load_dword v3, v0, s[0:3], 0 offen offset:4
	buffer_load_dword v4, v0, s[0:3], 0 offen offset:8
	;; [unrolled: 1-line block ×3, first 2 shown]
	v_mov_b32_e32 v0, 0
	v_accvgpr_read_b32 v1, a147
	buffer_store_dword v0, off, s[0:3], 0 offset:96
	buffer_store_dword v0, off, s[0:3], 0 offset:100
	;; [unrolled: 1-line block ×4, first 2 shown]
	s_waitcnt vmcnt(4)
	ds_write_b128 v1, v[2:5]
.LBB112_297:
	s_or_b64 exec, exec, s[4:5]
	s_waitcnt lgkmcnt(0)
	; wave barrier
	s_waitcnt lgkmcnt(0)
	buffer_load_dword v50, off, s[0:3], 0 offset:112
	buffer_load_dword v51, off, s[0:3], 0 offset:116
	;; [unrolled: 1-line block ×54, first 2 shown]
	v_mov_b32_e32 v1, 0
	ds_read_b128 v[102:105], v1 offset:880
	ds_read_b128 v[106:109], v1 offset:896
	ds_read_b128 v[110:113], v1 offset:912
	ds_read_b128 v[114:117], v1 offset:928
	ds_read_b128 v[206:209], v1 offset:944
	ds_read_b128 v[210:213], v1 offset:960
	ds_read_b128 v[234:237], v1 offset:976
	ds_read_b128 v[238:241], v1 offset:992
	ds_read_b128 v[242:245], v1 offset:1008
	v_accvgpr_read_b32 v0, a146
	v_cmp_lt_u32_e32 vcc, 4, v0
	s_waitcnt vmcnt(46) lgkmcnt(7)
	v_mul_f64 v[4:5], v[106:107], v[58:59]
	v_fmac_f64_e32 v[4:5], v[108:109], v[52:53]
	s_waitcnt vmcnt(44) lgkmcnt(6)
	v_mul_f64 v[6:7], v[110:111], v[204:205]
	s_waitcnt vmcnt(42) lgkmcnt(4)
	v_mul_f64 v[10:11], v[206:207], v[62:63]
	s_waitcnt vmcnt(40)
	v_fmac_f64_e32 v[10:11], v[208:209], v[60:61]
	s_waitcnt vmcnt(38)
	v_mul_f64 v[8:9], v[114:115], v[64:65]
	s_waitcnt vmcnt(36) lgkmcnt(2)
	v_mul_f64 v[14:15], v[234:235], v[66:67]
	s_waitcnt vmcnt(34)
	v_fmac_f64_e32 v[14:15], v[236:237], v[70:71]
	s_waitcnt vmcnt(32)
	;; [unrolled: 6-line block ×3, first 2 shown]
	v_fmac_f64_e32 v[8:9], v[116:117], v[80:81]
	s_waitcnt vmcnt(24)
	v_fmac_f64_e32 v[12:13], v[212:213], v[78:79]
	s_waitcnt vmcnt(22)
	;; [unrolled: 2-line block ×3, first 2 shown]
	v_pk_mov_b32 v[18:19], v[2:3], v[2:3] op_sel:[0,1]
	v_mul_f64 v[2:3], v[102:103], v[56:57]
	v_fmac_f64_e32 v[2:3], v[104:105], v[50:51]
	v_add_f64 v[2:3], v[2:3], 0
	v_add_f64 v[2:3], v[2:3], v[4:5]
	buffer_load_dword v5, off, s[0:3], 0 offset:340
	buffer_load_dword v4, off, s[0:3], 0 offset:336
	v_add_f64 v[2:3], v[2:3], v[6:7]
	v_add_f64 v[2:3], v[2:3], v[8:9]
	;; [unrolled: 1-line block ×5, first 2 shown]
	s_waitcnt lgkmcnt(0)
	v_mul_f64 v[6:7], v[242:243], v[74:75]
	v_add_f64 v[2:3], v[2:3], v[16:17]
	v_fmac_f64_e32 v[6:7], v[244:245], v[84:85]
	v_add_f64 v[2:3], v[2:3], v[6:7]
	v_accvgpr_write_b32 a149, v19
	v_accvgpr_write_b32 a148, v18
	v_mul_f64 v[74:75], v[244:245], v[74:75]
	s_waitcnt vmcnt(0)
	v_pk_mov_b32 v[12:13], v[4:5], v[4:5] op_sel:[0,1]
	buffer_load_dword v55, off, s[0:3], 0 offset:332
	buffer_load_dword v54, off, s[0:3], 0 offset:328
	;; [unrolled: 1-line block ×6, first 2 shown]
	v_accvgpr_write_b32 a151, v13
	v_accvgpr_write_b32 a150, v12
	s_waitcnt vmcnt(0)
	v_pk_mov_b32 v[20:21], v[4:5], v[4:5] op_sel:[0,1]
	buffer_load_dword v5, off, s[0:3], 0 offset:372
	buffer_load_dword v4, off, s[0:3], 0 offset:368
	;; [unrolled: 1-line block ×54, first 2 shown]
	ds_read_b128 v[246:249], v1 offset:1024
	ds_read_b128 v[250:253], v1 offset:1040
	;; [unrolled: 1-line block ×6, first 2 shown]
	s_waitcnt lgkmcnt(5)
	v_mul_f64 v[6:7], v[246:247], v[90:91]
	v_fmac_f64_e32 v[6:7], v[248:249], v[92:93]
	v_add_f64 v[2:3], v[2:3], v[6:7]
	s_waitcnt lgkmcnt(4)
	v_mul_f64 v[6:7], v[250:251], v[86:87]
	v_fmac_f64_e32 v[6:7], v[252:253], v[88:89]
	v_add_f64 v[2:3], v[2:3], v[6:7]
	;; [unrolled: 4-line block ×4, first 2 shown]
	s_waitcnt lgkmcnt(1)
	v_mul_f64 v[6:7], v[218:219], v[54:55]
	v_fmac_f64_e32 v[6:7], v[220:221], v[200:201]
	s_waitcnt lgkmcnt(0)
	v_mul_f64 v[10:11], v[126:127], v[18:19]
	v_add_f64 v[2:3], v[2:3], v[6:7]
	ds_read_b128 v[130:133], v1 offset:1120
	v_fmac_f64_e32 v[10:11], v[128:129], v[12:13]
	v_add_f64 v[2:3], v[2:3], v[10:11]
	ds_read_b128 v[10:13], v1 offset:1136
	v_accvgpr_write_b32 a153, v21
	v_accvgpr_write_b32 a152, v20
	s_waitcnt vmcnt(52)
	v_accvgpr_write_b32 a155, v5
	s_waitcnt vmcnt(50) lgkmcnt(1)
	v_mul_f64 v[14:15], v[130:131], v[140:141]
	s_waitcnt lgkmcnt(0)
	v_mul_f64 v[18:19], v[10:11], v[20:21]
	s_waitcnt vmcnt(48)
	v_fmac_f64_e32 v[14:15], v[132:133], v[144:145]
	v_add_f64 v[2:3], v[2:3], v[14:15]
	ds_read_b128 v[14:17], v1 offset:1152
	v_fmac_f64_e32 v[18:19], v[12:13], v[4:5]
	v_add_f64 v[2:3], v[2:3], v[18:19]
	ds_read_b128 v[18:21], v1 offset:1168
	v_accvgpr_write_b32 a154, v4
	s_waitcnt vmcnt(42) lgkmcnt(1)
	v_mul_f64 v[22:23], v[14:15], v[148:149]
	s_waitcnt vmcnt(40)
	v_fmac_f64_e32 v[22:23], v[16:17], v[152:153]
	v_add_f64 v[2:3], v[2:3], v[22:23]
	s_waitcnt lgkmcnt(0)
	v_mul_f64 v[26:27], v[18:19], v[254:255]
	ds_read_b128 v[22:25], v1 offset:1184
	v_fmac_f64_e32 v[26:27], v[20:21], v[8:9]
	v_add_f64 v[2:3], v[2:3], v[26:27]
	ds_read_b128 v[26:29], v1 offset:1200
	v_mul_f64 v[4:5], v[104:105], v[56:57]
	s_waitcnt vmcnt(34) lgkmcnt(1)
	v_mul_f64 v[30:31], v[22:23], v[156:157]
	s_waitcnt vmcnt(32)
	v_fmac_f64_e32 v[30:31], v[24:25], v[160:161]
	v_add_f64 v[2:3], v[2:3], v[30:31]
	s_waitcnt lgkmcnt(0)
	v_mul_f64 v[34:35], v[26:27], v[214:215]
	ds_read_b128 v[30:33], v1 offset:1216
	v_fmac_f64_e32 v[34:35], v[28:29], v[134:135]
	v_add_f64 v[2:3], v[2:3], v[34:35]
	ds_read_b128 v[34:37], v1 offset:1232
	v_mul_f64 v[6:7], v[108:109], v[58:59]
	s_waitcnt vmcnt(26) lgkmcnt(1)
	v_mul_f64 v[38:39], v[30:31], v[164:165]
	s_waitcnt vmcnt(24)
	v_fmac_f64_e32 v[38:39], v[32:33], v[166:167]
	v_add_f64 v[2:3], v[2:3], v[38:39]
	s_waitcnt lgkmcnt(0)
	v_mul_f64 v[42:43], v[34:35], v[136:137]
	v_fmac_f64_e32 v[42:43], v[36:37], v[138:139]
	ds_read_b128 v[38:41], v1 offset:1248
	v_add_f64 v[2:3], v[2:3], v[42:43]
	ds_read_b128 v[42:45], v1 offset:1264
	buffer_load_dword v181, off, s[0:3], 0 offset:604
	buffer_load_dword v183, off, s[0:3], 0 offset:588
	;; [unrolled: 1-line block ×8, first 2 shown]
	v_fma_f64 v[4:5], v[102:103], v[50:51], -v[4:5]
	s_waitcnt vmcnt(26) lgkmcnt(1)
	v_mul_f64 v[46:47], v[38:39], v[168:169]
	s_waitcnt vmcnt(24)
	v_fmac_f64_e32 v[46:47], v[40:41], v[170:171]
	v_add_f64 v[2:3], v[2:3], v[46:47]
	ds_read_b128 v[46:49], v1 offset:1280
	buffer_load_dword v189, off, s[0:3], 0 offset:620
	buffer_load_dword v188, off, s[0:3], 0 offset:616
	;; [unrolled: 1-line block ×4, first 2 shown]
	s_waitcnt lgkmcnt(1)
	v_mul_f64 v[192:193], v[42:43], v[142:143]
	v_fmac_f64_e32 v[192:193], v[44:45], v[146:147]
	v_add_f64 v[2:3], v[2:3], v[192:193]
	buffer_load_dword v193, off, s[0:3], 0 offset:636
	buffer_load_dword v192, off, s[0:3], 0 offset:632
	;; [unrolled: 1-line block ×12, first 2 shown]
	v_fma_f64 v[102:103], v[106:107], v[52:53], -v[6:7]
	v_mul_f64 v[6:7], v[112:113], v[204:205]
	v_fma_f64 v[104:105], v[110:111], v[82:83], -v[6:7]
	buffer_load_dword v205, off, s[0:3], 0 offset:684
	buffer_load_dword v204, off, s[0:3], 0 offset:680
	;; [unrolled: 1-line block ×4, first 2 shown]
	v_mul_f64 v[6:7], v[116:117], v[64:65]
	v_fma_f64 v[106:107], v[114:115], v[80:81], -v[6:7]
	buffer_load_dword v7, off, s[0:3], 0 offset:700
	buffer_load_dword v6, off, s[0:3], 0 offset:696
	buffer_load_dword v223, off, s[0:3], 0 offset:692
	buffer_load_dword v222, off, s[0:3], 0 offset:688
	v_mul_f64 v[50:51], v[208:209], v[62:63]
	buffer_load_dword v209, off, s[0:3], 0 offset:732
	buffer_load_dword v225, off, s[0:3], 0 offset:716
	buffer_load_dword v224, off, s[0:3], 0 offset:712
	buffer_load_dword v231, off, s[0:3], 0 offset:708
	buffer_load_dword v230, off, s[0:3], 0 offset:704
	buffer_load_dword v208, off, s[0:3], 0 offset:728
	buffer_load_dword v229, off, s[0:3], 0 offset:724
	buffer_load_dword v228, off, s[0:3], 0 offset:720
	buffer_load_dword v227, off, s[0:3], 0 offset:748
	buffer_load_dword v226, off, s[0:3], 0 offset:744
	buffer_load_dword v233, off, s[0:3], 0 offset:740
	buffer_load_dword v232, off, s[0:3], 0 offset:736
	v_fma_f64 v[108:109], v[206:207], v[60:61], -v[50:51]
	ds_read_b128 v[50:53], v1 offset:1296
	v_mul_f64 v[60:61], v[212:213], v[76:77]
	v_fma_f64 v[206:207], v[210:211], v[78:79], -v[60:61]
	ds_read_b128 v[210:213], v1 offset:1312
	s_waitcnt vmcnt(54) lgkmcnt(2)
	v_mul_f64 v[58:59], v[46:47], v[172:173]
	s_waitcnt vmcnt(52)
	v_fmac_f64_e32 v[58:59], v[48:49], v[174:175]
	v_add_f64 v[2:3], v[2:3], v[58:59]
	s_waitcnt lgkmcnt(1)
	v_mul_f64 v[58:59], v[50:51], v[150:151]
	v_fmac_f64_e32 v[58:59], v[52:53], v[154:155]
	v_add_f64 v[2:3], v[2:3], v[58:59]
	s_waitcnt vmcnt(46) lgkmcnt(0)
	v_mul_f64 v[58:59], v[210:211], v[176:177]
	s_waitcnt vmcnt(44)
	v_fmac_f64_e32 v[58:59], v[212:213], v[178:179]
	v_add_f64 v[2:3], v[2:3], v[58:59]
	ds_read_b128 v[58:61], v1 offset:1328
	v_mul_f64 v[62:63], v[236:237], v[66:67]
	v_fma_f64 v[234:235], v[234:235], v[70:71], -v[62:63]
	ds_read_b128 v[62:65], v1 offset:1344
	v_mul_f64 v[66:67], v[240:241], v[68:69]
	v_fma_f64 v[240:241], v[238:239], v[72:73], -v[66:67]
	ds_read_b128 v[66:69], v1 offset:1360
	s_waitcnt lgkmcnt(2)
	v_mul_f64 v[70:71], v[58:59], v[158:159]
	v_fmac_f64_e32 v[70:71], v[60:61], v[162:163]
	v_add_f64 v[2:3], v[2:3], v[70:71]
	v_fma_f64 v[236:237], v[242:243], v[84:85], -v[74:75]
	ds_read_b128 v[74:77], v1 offset:1392
	v_mul_f64 v[78:79], v[248:249], v[90:91]
	v_fma_f64 v[246:247], v[246:247], v[92:93], -v[78:79]
	v_mul_f64 v[86:87], v[252:253], v[86:87]
	v_fma_f64 v[248:249], v[250:251], v[88:89], -v[86:87]
	;; [unrolled: 2-line block ×4, first 2 shown]
	v_accvgpr_write_b32 a157, v55
	v_accvgpr_write_b32 a156, v54
	v_add_f64 v[4:5], v[4:5], 0
	v_add_f64 v[4:5], v[4:5], v[102:103]
	;; [unrolled: 1-line block ×9, first 2 shown]
	ds_read_b128 v[78:81], v1 offset:1408
	v_add_f64 v[4:5], v[4:5], v[246:247]
	v_add_f64 v[4:5], v[4:5], v[248:249]
	v_accvgpr_read_b32 v102, a148
	v_accvgpr_read_b32 v103, a149
	;; [unrolled: 1-line block ×3, first 2 shown]
	v_mul_f64 v[102:103], v[128:129], v[102:103]
	v_accvgpr_read_b32 v105, a151
	s_waitcnt vmcnt(41) lgkmcnt(3)
	v_mul_f64 v[70:71], v[62:63], v[182:183]
	v_fma_f64 v[102:103], v[126:127], v[104:105], -v[102:103]
	s_waitcnt vmcnt(39)
	v_fmac_f64_e32 v[70:71], v[64:65], v[186:187]
	v_add_f64 v[2:3], v[2:3], v[70:71]
	s_waitcnt vmcnt(38) lgkmcnt(2)
	v_mul_f64 v[70:71], v[66:67], v[180:181]
	s_waitcnt vmcnt(36)
	v_fmac_f64_e32 v[70:71], v[68:69], v[184:185]
	v_add_f64 v[2:3], v[2:3], v[70:71]
	ds_read_b128 v[70:73], v1 offset:1376
	ds_read_b128 v[86:89], v1 offset:1440
	ds_read_b128 v[94:97], v1 offset:1472
	s_waitcnt vmcnt(34) lgkmcnt(2)
	v_mul_f64 v[82:83], v[70:71], v[188:189]
	s_waitcnt vmcnt(32)
	v_fmac_f64_e32 v[82:83], v[72:73], v[190:191]
	v_add_f64 v[2:3], v[2:3], v[82:83]
	s_waitcnt vmcnt(30)
	v_mul_f64 v[82:83], v[74:75], v[192:193]
	s_waitcnt vmcnt(28)
	v_fmac_f64_e32 v[82:83], v[76:77], v[196:197]
	v_add_f64 v[2:3], v[2:3], v[82:83]
	s_waitcnt vmcnt(26)
	v_mul_f64 v[82:83], v[78:79], v[194:195]
	s_waitcnt vmcnt(24)
	v_fmac_f64_e32 v[82:83], v[80:81], v[198:199]
	v_add_f64 v[2:3], v[2:3], v[82:83]
	ds_read_b128 v[82:85], v1 offset:1424
	s_waitcnt vmcnt(9) lgkmcnt(1)
	v_mul_f64 v[54:55], v[94:95], v[224:225]
	s_waitcnt vmcnt(7)
	v_fmac_f64_e32 v[54:55], v[96:97], v[230:231]
	s_waitcnt lgkmcnt(0)
	v_mul_f64 v[90:91], v[82:83], v[56:57]
	v_fmac_f64_e32 v[90:91], v[84:85], v[202:203]
	v_add_f64 v[110:111], v[2:3], v[90:91]
	v_mul_f64 v[90:91], v[120:121], v[98:99]
	v_fma_f64 v[252:253], v[118:119], v[100:101], -v[90:91]
	ds_read_b128 v[90:93], v1 offset:1456
	v_mul_f64 v[98:99], v[86:87], v[204:205]
	v_fmac_f64_e32 v[98:99], v[88:89], v[216:217]
	v_add_f64 v[98:99], v[110:111], v[98:99]
	ds_read_b128 v[118:121], v1 offset:1504
	s_waitcnt lgkmcnt(1)
	v_mul_f64 v[100:101], v[90:91], v[6:7]
	v_fmac_f64_e32 v[100:101], v[92:93], v[222:223]
	v_add_f64 v[110:111], v[98:99], v[100:101]
	ds_read_b128 v[98:101], v1 offset:1488
	v_add_f64 v[54:55], v[110:111], v[54:55]
	buffer_load_dword v2, off, s[0:3], 0 offset:760
	v_add_f64 v[4:5], v[4:5], v[252:253]
	v_add_f64 v[252:253], v[4:5], v[250:251]
	s_waitcnt vmcnt(7) lgkmcnt(0)
	v_mul_f64 v[110:111], v[98:99], v[208:209]
	s_waitcnt vmcnt(5)
	v_fmac_f64_e32 v[110:111], v[100:101], v[228:229]
	v_add_f64 v[54:55], v[54:55], v[110:111]
	s_waitcnt vmcnt(3)
	v_mul_f64 v[110:111], v[118:119], v[226:227]
	s_waitcnt vmcnt(1)
	v_fmac_f64_e32 v[110:111], v[120:121], v[232:233]
	v_add_f64 v[110:111], v[54:55], v[110:111]
	buffer_load_dword v54, off, s[0:3], 0 offset:752
	buffer_load_dword v3, off, s[0:3], 0 offset:764
	;; [unrolled: 1-line block ×3, first 2 shown]
	ds_read_b128 v[122:125], v1 offset:1520
	buffer_load_dword v219, off, s[0:3], 0 offset:780
	buffer_load_dword v218, off, s[0:3], 0 offset:776
	;; [unrolled: 1-line block ×4, first 2 shown]
	v_accvgpr_read_b32 v4, a156
	v_accvgpr_read_b32 v5, a157
	v_add_f64 v[4:5], v[252:253], v[4:5]
	v_add_f64 v[4:5], v[4:5], v[102:103]
	v_mul_f64 v[102:103], v[132:133], v[140:141]
	v_fma_f64 v[102:103], v[130:131], v[144:145], -v[102:103]
	v_add_f64 v[4:5], v[4:5], v[102:103]
	v_accvgpr_read_b32 v102, a152
	v_accvgpr_read_b32 v103, a153
	v_mul_f64 v[12:13], v[12:13], v[102:103]
	v_accvgpr_read_b32 v102, a154
	v_accvgpr_read_b32 v103, a155
	v_fma_f64 v[10:11], v[10:11], v[102:103], -v[12:13]
	v_add_f64 v[4:5], v[4:5], v[10:11]
	v_mul_f64 v[10:11], v[16:17], v[148:149]
	v_fma_f64 v[10:11], v[14:15], v[152:153], -v[10:11]
	v_add_f64 v[4:5], v[4:5], v[10:11]
	v_mul_f64 v[10:11], v[20:21], v[254:255]
	;; [unrolled: 3-line block ×19, first 2 shown]
	v_fma_f64 v[8:9], v[86:87], v[216:217], -v[8:9]
	v_mul_f64 v[6:7], v[92:93], v[6:7]
	v_add_f64 v[4:5], v[4:5], v[8:9]
	v_fma_f64 v[6:7], v[90:91], v[222:223], -v[6:7]
	v_add_f64 v[4:5], v[4:5], v[6:7]
	v_mul_f64 v[6:7], v[96:97], v[224:225]
	v_fma_f64 v[6:7], v[94:95], v[230:231], -v[6:7]
	s_waitcnt vmcnt(5) lgkmcnt(0)
	v_mul_f64 v[112:113], v[122:123], v[2:3]
	s_waitcnt vmcnt(4)
	v_fmac_f64_e32 v[112:113], v[124:125], v[54:55]
	v_add_f64 v[114:115], v[110:111], v[112:113]
	ds_read_b128 v[110:113], v1 offset:1536
	buffer_load_dword v242, off, s[0:3], 0 offset:792
	buffer_load_dword v243, off, s[0:3], 0 offset:796
	buffer_load_dword v244, off, s[0:3], 0 offset:784
	buffer_load_dword v245, off, s[0:3], 0 offset:788
	v_add_f64 v[4:5], v[4:5], v[6:7]
	v_mul_f64 v[6:7], v[100:101], v[208:209]
	v_fma_f64 v[6:7], v[98:99], v[228:229], -v[6:7]
	s_waitcnt vmcnt(6) lgkmcnt(0)
	v_mul_f64 v[116:117], v[110:111], v[218:219]
	s_waitcnt vmcnt(4)
	v_fmac_f64_e32 v[116:117], v[112:113], v[238:239]
	v_add_f64 v[200:201], v[114:115], v[116:117]
	ds_read_b128 v[114:117], v1 offset:1552
	buffer_load_dword v248, off, s[0:3], 0 offset:96
	buffer_load_dword v249, off, s[0:3], 0 offset:100
	;; [unrolled: 1-line block ×4, first 2 shown]
	v_add_f64 v[4:5], v[4:5], v[6:7]
	v_mul_f64 v[6:7], v[120:121], v[226:227]
	v_fma_f64 v[6:7], v[118:119], v[232:233], -v[6:7]
	v_mul_f64 v[2:3], v[124:125], v[2:3]
	v_add_f64 v[4:5], v[4:5], v[6:7]
	v_fma_f64 v[2:3], v[122:123], v[54:55], -v[2:3]
	v_add_f64 v[2:3], v[4:5], v[2:3]
	v_mul_f64 v[4:5], v[112:113], v[218:219]
	v_fma_f64 v[4:5], v[110:111], v[238:239], -v[4:5]
	v_add_f64 v[2:3], v[2:3], v[4:5]
	s_waitcnt vmcnt(6) lgkmcnt(0)
	v_mul_f64 v[4:5], v[116:117], v[242:243]
	v_mul_f64 v[220:221], v[114:115], v[242:243]
	s_waitcnt vmcnt(4)
	v_fma_f64 v[4:5], v[114:115], v[244:245], -v[4:5]
	v_fmac_f64_e32 v[220:221], v[116:117], v[244:245]
	v_add_f64 v[2:3], v[2:3], v[4:5]
	v_add_f64 v[200:201], v[200:201], v[220:221]
	s_waitcnt vmcnt(2)
	v_add_f64 v[2:3], v[248:249], -v[2:3]
	s_waitcnt vmcnt(0)
	v_add_f64 v[4:5], v[246:247], -v[200:201]
	buffer_store_dword v3, off, s[0:3], 0 offset:100
	buffer_store_dword v2, off, s[0:3], 0 offset:96
	;; [unrolled: 1-line block ×4, first 2 shown]
	s_and_saveexec_b64 s[4:5], vcc
	s_cbranch_execz .LBB112_299
; %bb.298:
	v_accvgpr_read_b32 v0, a142
	buffer_load_dword v2, v0, s[0:3], 0 offen
	buffer_load_dword v3, v0, s[0:3], 0 offen offset:4
	buffer_load_dword v4, v0, s[0:3], 0 offen offset:8
	;; [unrolled: 1-line block ×3, first 2 shown]
	v_accvgpr_read_b32 v0, a147
	buffer_store_dword v1, off, s[0:3], 0 offset:80
	buffer_store_dword v1, off, s[0:3], 0 offset:84
	;; [unrolled: 1-line block ×4, first 2 shown]
	s_waitcnt vmcnt(4)
	ds_write_b128 v0, v[2:5]
.LBB112_299:
	s_or_b64 exec, exec, s[4:5]
	s_waitcnt lgkmcnt(0)
	; wave barrier
	s_waitcnt lgkmcnt(0)
	buffer_load_dword v186, off, s[0:3], 0 offset:96
	buffer_load_dword v187, off, s[0:3], 0 offset:100
	;; [unrolled: 1-line block ×36, first 2 shown]
	ds_read_b128 v[82:85], v1 offset:864
	ds_read_b128 v[78:81], v1 offset:880
	;; [unrolled: 1-line block ×9, first 2 shown]
	buffer_load_dword v235, off, s[0:3], 0 offset:268
	buffer_load_dword v234, off, s[0:3], 0 offset:264
	;; [unrolled: 1-line block ×19, first 2 shown]
	s_waitcnt vmcnt(51) lgkmcnt(8)
	v_mul_f64 v[2:3], v[82:83], v[194:195]
	v_fmac_f64_e32 v[2:3], v[84:85], v[186:187]
	v_add_f64 v[2:3], v[2:3], 0
	s_waitcnt vmcnt(47) lgkmcnt(7)
	v_mul_f64 v[4:5], v[78:79], v[198:199]
	v_fmac_f64_e32 v[4:5], v[80:81], v[196:197]
	v_add_f64 v[2:3], v[2:3], v[4:5]
	buffer_load_dword v244, off, s[0:3], 0 offset:320
	buffer_load_dword v99, off, s[0:3], 0 offset:316
	buffer_load_dword v98, off, s[0:3], 0 offset:312
	buffer_load_dword v101, off, s[0:3], 0 offset:308
	buffer_load_dword v100, off, s[0:3], 0 offset:304
	buffer_load_dword v5, off, s[0:3], 0 offset:364
	buffer_load_dword v4, off, s[0:3], 0 offset:360
	s_waitcnt vmcnt(52) lgkmcnt(6)
	v_mul_f64 v[6:7], v[74:75], v[202:203]
	s_waitcnt vmcnt(50) lgkmcnt(4)
	v_mul_f64 v[10:11], v[62:63], v[222:223]
	s_waitcnt vmcnt(48)
	v_fmac_f64_e32 v[10:11], v[64:65], v[224:225]
	v_mul_f64 v[80:81], v[80:81], v[198:199]
	s_waitcnt vmcnt(46)
	v_mul_f64 v[8:9], v[70:71], v[204:205]
	v_fma_f64 v[78:79], v[78:79], v[196:197], -v[80:81]
	s_waitcnt vmcnt(44) lgkmcnt(2)
	v_mul_f64 v[14:15], v[54:55], v[104:105]
	v_mul_f64 v[64:65], v[64:65], v[222:223]
	s_waitcnt vmcnt(42)
	v_fmac_f64_e32 v[14:15], v[56:57], v[108:109]
	v_fma_f64 v[222:223], v[62:63], v[224:225], -v[64:65]
	s_waitcnt vmcnt(40)
	v_mul_f64 v[12:13], v[50:51], v[112:113]
	s_waitcnt vmcnt(38) lgkmcnt(1)
	v_mul_f64 v[16:17], v[58:59], v[106:107]
	s_waitcnt vmcnt(36)
	v_fmac_f64_e32 v[6:7], v[76:77], v[200:201]
	v_add_f64 v[2:3], v[2:3], v[6:7]
	s_waitcnt vmcnt(34)
	v_fmac_f64_e32 v[8:9], v[72:73], v[116:117]
	v_add_f64 v[2:3], v[2:3], v[8:9]
	;; [unrolled: 3-line block ×3, first 2 shown]
	v_add_f64 v[2:3], v[2:3], v[12:13]
	s_waitcnt vmcnt(30)
	v_fmac_f64_e32 v[16:17], v[60:61], v[110:111]
	v_add_f64 v[2:3], v[2:3], v[14:15]
	v_add_f64 v[2:3], v[2:3], v[16:17]
	v_mul_f64 v[76:77], v[76:77], v[202:203]
	v_fma_f64 v[80:81], v[74:75], v[200:201], -v[76:77]
	v_mul_f64 v[72:73], v[72:73], v[204:205]
	v_mul_f64 v[52:53], v[52:53], v[112:113]
	;; [unrolled: 1-line block ×3, first 2 shown]
	v_fma_f64 v[116:117], v[70:71], v[116:117], -v[72:73]
	s_waitcnt vmcnt(0)
	v_pk_mov_b32 v[18:19], v[4:5], v[4:5] op_sel:[0,1]
	buffer_load_dword v5, off, s[0:3], 0 offset:356
	buffer_load_dword v4, off, s[0:3], 0 offset:352
	v_accvgpr_write_b32 a149, v19
	v_accvgpr_write_b32 a148, v18
	s_waitcnt vmcnt(0)
	v_pk_mov_b32 v[20:21], v[4:5], v[4:5] op_sel:[0,1]
	buffer_load_dword v137, off, s[0:3], 0 offset:348
	buffer_load_dword v136, off, s[0:3], 0 offset:344
	;; [unrolled: 1-line block ×6, first 2 shown]
	v_accvgpr_write_b32 a151, v21
	v_accvgpr_write_b32 a150, v20
	s_waitcnt vmcnt(0)
	v_pk_mov_b32 v[26:27], v[4:5], v[4:5] op_sel:[0,1]
	buffer_load_dword v5, off, s[0:3], 0 offset:388
	buffer_load_dword v4, off, s[0:3], 0 offset:384
	v_accvgpr_write_b32 a153, v27
	v_accvgpr_write_b32 a152, v26
	s_waitcnt vmcnt(0)
	v_pk_mov_b32 v[28:29], v[4:5], v[4:5] op_sel:[0,1]
	buffer_load_dword v145, off, s[0:3], 0 offset:380
	buffer_load_dword v144, off, s[0:3], 0 offset:376
	buffer_load_dword v149, off, s[0:3], 0 offset:372
	buffer_load_dword v148, off, s[0:3], 0 offset:368
	buffer_load_dword v5, off, s[0:3], 0 offset:428
	buffer_load_dword v4, off, s[0:3], 0 offset:424
	v_accvgpr_write_b32 a155, v29
	v_accvgpr_write_b32 a154, v28
	s_waitcnt vmcnt(0)
	v_pk_mov_b32 v[34:35], v[4:5], v[4:5] op_sel:[0,1]
	buffer_load_dword v255, off, s[0:3], 0 offset:420
	buffer_load_dword v254, off, s[0:3], 0 offset:416
	;; [unrolled: 1-line block ×38, first 2 shown]
	ds_read_b128 v[208:211], v1 offset:1008
	ds_read_b128 v[212:215], v1 offset:1024
	;; [unrolled: 1-line block ×9, first 2 shown]
	v_accvgpr_write_b32 a157, v35
	s_waitcnt lgkmcnt(3)
	v_mul_f64 v[8:9], v[94:95], v[242:243]
	v_fmac_f64_e32 v[8:9], v[96:97], v[244:245]
	s_waitcnt lgkmcnt(2)
	v_mul_f64 v[12:13], v[130:131], v[136:137]
	v_fmac_f64_e32 v[12:13], v[132:133], v[140:141]
	;; [unrolled: 3-line block ×3, first 2 shown]
	v_accvgpr_write_b32 a156, v34
	v_mul_f64 v[70:71], v[210:211], v[238:239]
	v_mul_f64 v[96:97], v[96:97], v[242:243]
	s_waitcnt vmcnt(30)
	v_pk_mov_b32 v[42:43], v[4:5], v[4:5] op_sel:[0,1]
	v_mul_f64 v[4:5], v[66:67], v[102:103]
	v_fmac_f64_e32 v[4:5], v[68:69], v[206:207]
	v_add_f64 v[2:3], v[2:3], v[4:5]
	v_mul_f64 v[4:5], v[208:209], v[238:239]
	v_fmac_f64_e32 v[4:5], v[210:211], v[240:241]
	v_add_f64 v[2:3], v[2:3], v[4:5]
	;; [unrolled: 3-line block ×6, first 2 shown]
	v_add_f64 v[10:11], v[6:7], v[8:9]
	v_add_f64 v[14:15], v[10:11], v[12:13]
	;; [unrolled: 1-line block ×3, first 2 shown]
	ds_read_b128 v[14:17], v1 offset:1152
	s_waitcnt lgkmcnt(1)
	v_mul_f64 v[20:21], v[122:123], v[144:145]
	v_fmac_f64_e32 v[20:21], v[124:125], v[148:149]
	v_add_f64 v[22:23], v[18:19], v[20:21]
	ds_read_b128 v[18:21], v1 offset:1168
	s_waitcnt lgkmcnt(1)
	v_mul_f64 v[24:25], v[14:15], v[26:27]
	v_fmac_f64_e32 v[24:25], v[16:17], v[28:29]
	v_add_f64 v[26:27], v[22:23], v[24:25]
	;; [unrolled: 5-line block ×4, first 2 shown]
	ds_read_b128 v[30:33], v1 offset:1216
	s_waitcnt vmcnt(26) lgkmcnt(1)
	v_mul_f64 v[36:37], v[26:27], v[160:161]
	s_waitcnt vmcnt(24)
	v_fmac_f64_e32 v[36:37], v[28:29], v[162:163]
	v_add_f64 v[38:39], v[34:35], v[36:37]
	ds_read_b128 v[34:37], v1 offset:1232
	s_waitcnt lgkmcnt(1)
	v_mul_f64 v[40:41], v[30:31], v[42:43]
	v_accvgpr_write_b32 a159, v43
	v_fmac_f64_e32 v[40:41], v[32:33], v[134:135]
	v_accvgpr_write_b32 a158, v42
	v_add_f64 v[42:43], v[38:39], v[40:41]
	ds_read_b128 v[38:41], v1 offset:1248
	s_waitcnt vmcnt(18) lgkmcnt(1)
	v_mul_f64 v[44:45], v[34:35], v[164:165]
	s_waitcnt vmcnt(16)
	v_fmac_f64_e32 v[44:45], v[36:37], v[166:167]
	v_add_f64 v[46:47], v[42:43], v[44:45]
	ds_read_b128 v[42:45], v1 offset:1264
	buffer_load_dword v177, off, s[0:3], 0 offset:572
	buffer_load_dword v176, off, s[0:3], 0 offset:568
	;; [unrolled: 1-line block ×4, first 2 shown]
	s_waitcnt lgkmcnt(1)
	v_mul_f64 v[48:49], v[38:39], v[138:139]
	v_fmac_f64_e32 v[48:49], v[40:41], v[142:143]
	v_add_f64 v[180:181], v[46:47], v[48:49]
	ds_read_b128 v[46:49], v1 offset:1280
	buffer_load_dword v183, off, s[0:3], 0 offset:588
	buffer_load_dword v182, off, s[0:3], 0 offset:584
	;; [unrolled: 1-line block ×4, first 2 shown]
	s_waitcnt vmcnt(18) lgkmcnt(1)
	v_mul_f64 v[188:189], v[42:43], v[168:169]
	s_waitcnt vmcnt(16)
	v_fmac_f64_e32 v[188:189], v[44:45], v[170:171]
	v_add_f64 v[2:3], v[180:181], v[188:189]
	buffer_load_dword v181, off, s[0:3], 0 offset:620
	buffer_load_dword v189, off, s[0:3], 0 offset:604
	;; [unrolled: 1-line block ×8, first 2 shown]
	v_mul_f64 v[4:5], v[84:85], v[194:195]
	v_fma_f64 v[10:11], v[82:83], v[186:187], -v[4:5]
	buffer_load_dword v186, off, s[0:3], 0 offset:648
	buffer_load_dword v195, off, s[0:3], 0 offset:636
	;; [unrolled: 1-line block ×20, first 2 shown]
	s_waitcnt lgkmcnt(0)
	v_mul_f64 v[8:9], v[46:47], v[146:147]
	v_fmac_f64_e32 v[8:9], v[48:49], v[150:151]
	v_fma_f64 v[6:7], v[50:51], v[114:115], -v[52:53]
	buffer_load_dword v225, off, s[0:3], 0 offset:716
	buffer_load_dword v224, off, s[0:3], 0 offset:712
	;; [unrolled: 1-line block ×12, first 2 shown]
	v_add_f64 v[2:3], v[2:3], v[8:9]
	ds_read_b128 v[50:53], v1 offset:1296
	v_mul_f64 v[8:9], v[56:57], v[104:105]
	v_fma_f64 v[8:9], v[54:55], v[108:109], -v[8:9]
	ds_read_b128 v[54:57], v1 offset:1312
	v_fma_f64 v[4:5], v[58:59], v[110:111], -v[60:61]
	ds_read_b128 v[58:61], v1 offset:1328
	s_waitcnt vmcnt(50) lgkmcnt(2)
	v_mul_f64 v[62:63], v[50:51], v[172:173]
	s_waitcnt vmcnt(48)
	v_fmac_f64_e32 v[62:63], v[52:53], v[174:175]
	s_waitcnt lgkmcnt(1)
	v_mul_f64 v[12:13], v[54:55], v[154:155]
	v_add_f64 v[2:3], v[2:3], v[62:63]
	ds_read_b128 v[62:65], v1 offset:1344
	v_fmac_f64_e32 v[12:13], v[56:57], v[158:159]
	v_add_f64 v[2:3], v[2:3], v[12:13]
	v_fma_f64 v[240:241], v[208:209], v[240:241], -v[70:71]
	v_mul_f64 v[82:83], v[214:215], v[234:235]
	v_mul_f64 v[88:89], v[88:89], v[246:247]
	v_fma_f64 v[246:247], v[86:87], v[248:249], -v[88:89]
	ds_read_b128 v[86:89], v1 offset:1456
	v_mul_f64 v[92:93], v[92:93], v[98:99]
	v_add_f64 v[10:11], v[10:11], 0
	v_add_f64 v[10:11], v[10:11], v[78:79]
	;; [unrolled: 1-line block ×8, first 2 shown]
	v_mul_f64 v[6:7], v[132:133], v[136:137]
	v_fma_f64 v[6:7], v[130:131], v[140:141], -v[6:7]
	ds_read_b128 v[70:73], v1 offset:1376
	ds_read_b128 v[208:211], v1 offset:1440
	s_waitcnt vmcnt(46) lgkmcnt(4)
	v_mul_f64 v[12:13], v[58:59], v[176:177]
	s_waitcnt vmcnt(44)
	v_fmac_f64_e32 v[12:13], v[60:61], v[178:179]
	v_add_f64 v[2:3], v[2:3], v[12:13]
	v_mul_f64 v[12:13], v[68:69], v[102:103]
	v_fma_f64 v[12:13], v[66:67], v[206:207], -v[12:13]
	ds_read_b128 v[66:69], v1 offset:1360
	s_waitcnt vmcnt(42) lgkmcnt(4)
	v_mul_f64 v[74:75], v[62:63], v[182:183]
	s_waitcnt vmcnt(40)
	v_fmac_f64_e32 v[74:75], v[64:65], v[184:185]
	v_add_f64 v[2:3], v[2:3], v[74:75]
	v_fma_f64 v[206:207], v[212:213], v[236:237], -v[82:83]
	s_waitcnt vmcnt(37) lgkmcnt(0)
	v_mul_f64 v[74:75], v[66:67], v[188:189]
	s_waitcnt vmcnt(35)
	v_fmac_f64_e32 v[74:75], v[68:69], v[192:193]
	v_add_f64 v[2:3], v[2:3], v[74:75]
	s_waitcnt vmcnt(34)
	v_mul_f64 v[74:75], v[70:71], v[180:181]
	s_waitcnt vmcnt(32)
	v_fmac_f64_e32 v[74:75], v[72:73], v[190:191]
	v_add_f64 v[2:3], v[2:3], v[74:75]
	ds_read_b128 v[74:77], v1 offset:1392
	ds_read_b128 v[212:215], v1 offset:1408
	v_add_f64 v[4:5], v[4:5], v[12:13]
	v_add_f64 v[4:5], v[4:5], v[240:241]
	;; [unrolled: 1-line block ×3, first 2 shown]
	s_waitcnt vmcnt(29) lgkmcnt(1)
	v_mul_f64 v[82:83], v[74:75], v[194:195]
	s_waitcnt vmcnt(27)
	v_fmac_f64_e32 v[82:83], v[76:77], v[198:199]
	v_add_f64 v[2:3], v[2:3], v[82:83]
	v_mul_f64 v[82:83], v[120:121], v[250:251]
	v_fma_f64 v[118:119], v[118:119], v[252:253], -v[82:83]
	ds_read_b128 v[82:85], v1 offset:1424
	s_waitcnt vmcnt(25) lgkmcnt(1)
	v_mul_f64 v[102:103], v[212:213], v[186:187]
	s_waitcnt vmcnt(24)
	v_fmac_f64_e32 v[102:103], v[214:215], v[196:197]
	v_add_f64 v[2:3], v[2:3], v[102:103]
	v_fma_f64 v[250:251], v[90:91], v[100:101], -v[92:93]
	s_waitcnt vmcnt(21) lgkmcnt(0)
	v_mul_f64 v[102:103], v[82:83], v[202:203]
	s_waitcnt vmcnt(19)
	v_fmac_f64_e32 v[102:103], v[84:85], v[218:219]
	v_add_f64 v[2:3], v[2:3], v[102:103]
	s_waitcnt vmcnt(18)
	v_mul_f64 v[102:103], v[208:209], v[200:201]
	s_waitcnt vmcnt(16)
	v_fmac_f64_e32 v[102:103], v[210:211], v[216:217]
	v_add_f64 v[2:3], v[2:3], v[102:103]
	ds_read_b128 v[98:101], v1 offset:1472
	s_waitcnt vmcnt(14)
	v_mul_f64 v[102:103], v[86:87], v[204:205]
	s_waitcnt vmcnt(12)
	v_fmac_f64_e32 v[102:103], v[88:89], v[220:221]
	v_add_f64 v[2:3], v[2:3], v[102:103]
	ds_read_b128 v[90:93], v1 offset:1488
	ds_read_b128 v[102:105], v1 offset:1504
	buffer_load_dword v121, off, s[0:3], 0 offset:764
	buffer_load_dword v120, off, s[0:3], 0 offset:760
	;; [unrolled: 1-line block ×4, first 2 shown]
	ds_read_b128 v[106:109], v1 offset:1520
	buffer_load_dword v236, off, s[0:3], 0 offset:776
	buffer_load_dword v237, off, s[0:3], 0 offset:780
	;; [unrolled: 1-line block ×4, first 2 shown]
	v_fma_f64 v[252:253], v[94:95], v[244:245], -v[96:97]
	ds_read_b128 v[110:113], v1 offset:1536
	buffer_load_dword v243, off, s[0:3], 0 offset:796
	buffer_load_dword v242, off, s[0:3], 0 offset:792
	;; [unrolled: 1-line block ×4, first 2 shown]
	s_waitcnt vmcnt(22) lgkmcnt(4)
	v_mul_f64 v[94:95], v[98:99], v[224:225]
	s_waitcnt vmcnt(20)
	v_fmac_f64_e32 v[94:95], v[100:101], v[226:227]
	v_add_f64 v[2:3], v[2:3], v[94:95]
	s_waitcnt vmcnt(17) lgkmcnt(3)
	v_mul_f64 v[94:95], v[90:91], v[230:231]
	s_waitcnt vmcnt(15)
	v_fmac_f64_e32 v[94:95], v[92:93], v[232:233]
	v_add_f64 v[2:3], v[2:3], v[94:95]
	;; [unrolled: 5-line block ×3, first 2 shown]
	v_add_f64 v[4:5], v[4:5], v[118:119]
	v_add_f64 v[118:119], v[4:5], v[246:247]
	;; [unrolled: 1-line block ×5, first 2 shown]
	s_waitcnt vmcnt(10) lgkmcnt(1)
	v_mul_f64 v[94:95], v[106:107], v[120:121]
	s_waitcnt vmcnt(8)
	v_fmac_f64_e32 v[94:95], v[108:109], v[234:235]
	v_add_f64 v[2:3], v[2:3], v[94:95]
	s_waitcnt vmcnt(6) lgkmcnt(0)
	v_mul_f64 v[94:95], v[110:111], v[236:237]
	s_waitcnt vmcnt(4)
	v_fmac_f64_e32 v[94:95], v[112:113], v[238:239]
	v_add_f64 v[2:3], v[2:3], v[94:95]
	ds_read_b128 v[94:97], v1 offset:1552
	v_accvgpr_read_b32 v0, a148
	v_accvgpr_read_b32 v1, a149
	v_mul_f64 v[6:7], v[128:129], v[0:1]
	v_accvgpr_read_b32 v0, a150
	s_waitcnt vmcnt(2) lgkmcnt(0)
	v_mul_f64 v[248:249], v[94:95], v[242:243]
	s_waitcnt vmcnt(0)
	v_fmac_f64_e32 v[248:249], v[96:97], v[244:245]
	v_add_f64 v[2:3], v[2:3], v[248:249]
	buffer_load_dword v248, off, s[0:3], 0 offset:80
	buffer_load_dword v249, off, s[0:3], 0 offset:84
	;; [unrolled: 1-line block ×4, first 2 shown]
	v_accvgpr_read_b32 v1, a151
	v_fma_f64 v[6:7], v[126:127], v[0:1], -v[6:7]
	v_add_f64 v[4:5], v[4:5], v[6:7]
	v_mul_f64 v[6:7], v[124:125], v[144:145]
	v_accvgpr_read_b32 v0, a152
	v_fma_f64 v[6:7], v[122:123], v[148:149], -v[6:7]
	v_accvgpr_read_b32 v1, a153
	v_add_f64 v[4:5], v[4:5], v[6:7]
	v_mul_f64 v[6:7], v[16:17], v[0:1]
	v_accvgpr_read_b32 v0, a154
	v_accvgpr_read_b32 v1, a155
	v_fma_f64 v[6:7], v[14:15], v[0:1], -v[6:7]
	v_add_f64 v[4:5], v[4:5], v[6:7]
	v_mul_f64 v[6:7], v[20:21], v[152:153]
	v_accvgpr_read_b32 v0, a156
	v_fma_f64 v[6:7], v[18:19], v[156:157], -v[6:7]
	v_accvgpr_read_b32 v1, a157
	v_add_f64 v[4:5], v[4:5], v[6:7]
	v_mul_f64 v[6:7], v[24:25], v[0:1]
	v_fma_f64 v[6:7], v[22:23], v[254:255], -v[6:7]
	v_add_f64 v[4:5], v[4:5], v[6:7]
	v_mul_f64 v[6:7], v[28:29], v[160:161]
	v_accvgpr_read_b32 v0, a158
	v_fma_f64 v[6:7], v[26:27], v[162:163], -v[6:7]
	v_accvgpr_read_b32 v1, a159
	v_add_f64 v[4:5], v[4:5], v[6:7]
	v_mul_f64 v[6:7], v[32:33], v[0:1]
	v_fma_f64 v[6:7], v[30:31], v[134:135], -v[6:7]
	v_add_f64 v[4:5], v[4:5], v[6:7]
	v_mul_f64 v[6:7], v[36:37], v[164:165]
	v_fma_f64 v[6:7], v[34:35], v[166:167], -v[6:7]
	v_add_f64 v[4:5], v[4:5], v[6:7]
	v_mul_f64 v[6:7], v[40:41], v[138:139]
	v_fma_f64 v[6:7], v[38:39], v[142:143], -v[6:7]
	v_add_f64 v[4:5], v[4:5], v[6:7]
	v_mul_f64 v[6:7], v[44:45], v[168:169]
	v_fma_f64 v[6:7], v[42:43], v[170:171], -v[6:7]
	v_add_f64 v[4:5], v[4:5], v[6:7]
	v_mul_f64 v[6:7], v[48:49], v[146:147]
	v_fma_f64 v[6:7], v[46:47], v[150:151], -v[6:7]
	v_add_f64 v[4:5], v[4:5], v[6:7]
	v_mul_f64 v[6:7], v[52:53], v[172:173]
	v_fma_f64 v[6:7], v[50:51], v[174:175], -v[6:7]
	v_add_f64 v[4:5], v[4:5], v[6:7]
	v_mul_f64 v[6:7], v[56:57], v[154:155]
	v_fma_f64 v[6:7], v[54:55], v[158:159], -v[6:7]
	v_add_f64 v[4:5], v[4:5], v[6:7]
	v_mul_f64 v[6:7], v[60:61], v[176:177]
	v_fma_f64 v[6:7], v[58:59], v[178:179], -v[6:7]
	v_add_f64 v[4:5], v[4:5], v[6:7]
	v_mul_f64 v[6:7], v[64:65], v[182:183]
	v_fma_f64 v[6:7], v[62:63], v[184:185], -v[6:7]
	v_add_f64 v[4:5], v[4:5], v[6:7]
	v_mul_f64 v[6:7], v[68:69], v[188:189]
	v_fma_f64 v[6:7], v[66:67], v[192:193], -v[6:7]
	v_add_f64 v[4:5], v[4:5], v[6:7]
	v_mul_f64 v[6:7], v[72:73], v[180:181]
	v_fma_f64 v[6:7], v[70:71], v[190:191], -v[6:7]
	v_add_f64 v[4:5], v[4:5], v[6:7]
	v_mul_f64 v[6:7], v[76:77], v[194:195]
	v_fma_f64 v[6:7], v[74:75], v[198:199], -v[6:7]
	v_add_f64 v[4:5], v[4:5], v[6:7]
	v_mul_f64 v[6:7], v[214:215], v[186:187]
	v_fma_f64 v[6:7], v[212:213], v[196:197], -v[6:7]
	v_add_f64 v[4:5], v[4:5], v[6:7]
	v_mul_f64 v[6:7], v[84:85], v[202:203]
	v_fma_f64 v[6:7], v[82:83], v[218:219], -v[6:7]
	v_add_f64 v[4:5], v[4:5], v[6:7]
	v_mul_f64 v[6:7], v[210:211], v[200:201]
	v_fma_f64 v[6:7], v[208:209], v[216:217], -v[6:7]
	v_add_f64 v[4:5], v[4:5], v[6:7]
	v_mul_f64 v[6:7], v[88:89], v[204:205]
	v_fma_f64 v[6:7], v[86:87], v[220:221], -v[6:7]
	v_add_f64 v[4:5], v[4:5], v[6:7]
	v_mul_f64 v[6:7], v[100:101], v[224:225]
	v_fma_f64 v[6:7], v[98:99], v[226:227], -v[6:7]
	v_add_f64 v[4:5], v[4:5], v[6:7]
	v_mul_f64 v[6:7], v[92:93], v[230:231]
	v_fma_f64 v[6:7], v[90:91], v[232:233], -v[6:7]
	v_add_f64 v[4:5], v[4:5], v[6:7]
	v_mul_f64 v[6:7], v[104:105], v[114:115]
	v_fma_f64 v[6:7], v[102:103], v[228:229], -v[6:7]
	v_add_f64 v[4:5], v[4:5], v[6:7]
	v_mul_f64 v[6:7], v[108:109], v[120:121]
	v_fma_f64 v[6:7], v[106:107], v[234:235], -v[6:7]
	v_add_f64 v[4:5], v[4:5], v[6:7]
	v_mul_f64 v[6:7], v[112:113], v[236:237]
	v_fma_f64 v[6:7], v[110:111], v[238:239], -v[6:7]
	v_add_f64 v[4:5], v[4:5], v[6:7]
	v_mul_f64 v[6:7], v[96:97], v[242:243]
	v_fma_f64 v[6:7], v[94:95], v[244:245], -v[6:7]
	v_add_f64 v[4:5], v[4:5], v[6:7]
	v_accvgpr_read_b32 v0, a146
	s_waitcnt vmcnt(2)
	v_add_f64 v[4:5], v[248:249], -v[4:5]
	v_cmp_lt_u32_e32 vcc, 3, v0
	s_waitcnt vmcnt(0)
	v_add_f64 v[2:3], v[246:247], -v[2:3]
	buffer_store_dword v5, off, s[0:3], 0 offset:84
	buffer_store_dword v4, off, s[0:3], 0 offset:80
	;; [unrolled: 1-line block ×4, first 2 shown]
	s_and_saveexec_b64 s[4:5], vcc
	s_cbranch_execz .LBB112_301
; %bb.300:
	v_accvgpr_read_b32 v0, a143
	buffer_load_dword v2, v0, s[0:3], 0 offen
	buffer_load_dword v3, v0, s[0:3], 0 offen offset:4
	buffer_load_dword v4, v0, s[0:3], 0 offen offset:8
	;; [unrolled: 1-line block ×3, first 2 shown]
	v_mov_b32_e32 v0, 0
	v_accvgpr_read_b32 v1, a147
	buffer_store_dword v0, off, s[0:3], 0 offset:64
	buffer_store_dword v0, off, s[0:3], 0 offset:68
	;; [unrolled: 1-line block ×4, first 2 shown]
	s_waitcnt vmcnt(4)
	ds_write_b128 v1, v[2:5]
.LBB112_301:
	s_or_b64 exec, exec, s[4:5]
	s_waitcnt lgkmcnt(0)
	; wave barrier
	s_waitcnt lgkmcnt(0)
	buffer_load_dword v56, off, s[0:3], 0 offset:80
	buffer_load_dword v57, off, s[0:3], 0 offset:84
	;; [unrolled: 1-line block ×36, first 2 shown]
	v_mov_b32_e32 v124, 0
	buffer_load_dword v87, off, s[0:3], 0 offset:252
	buffer_load_dword v86, off, s[0:3], 0 offset:248
	;; [unrolled: 1-line block ×18, first 2 shown]
	ds_read_b128 v[110:113], v124 offset:848
	ds_read_b128 v[114:117], v124 offset:864
	;; [unrolled: 1-line block ×9, first 2 shown]
	s_waitcnt vmcnt(50) lgkmcnt(8)
	v_mul_f64 v[2:3], v[110:111], v[58:59]
	v_fmac_f64_e32 v[2:3], v[112:113], v[56:57]
	v_add_f64 v[2:3], v[2:3], 0
	s_waitcnt vmcnt(46) lgkmcnt(7)
	v_mul_f64 v[4:5], v[114:115], v[54:55]
	v_fmac_f64_e32 v[4:5], v[116:117], v[52:53]
	v_add_f64 v[2:3], v[2:3], v[4:5]
	buffer_load_dword v105, off, s[0:3], 0 offset:308
	buffer_load_dword v104, off, s[0:3], 0 offset:304
	;; [unrolled: 1-line block ×8, first 2 shown]
	s_waitcnt vmcnt(52) lgkmcnt(6)
	v_mul_f64 v[6:7], v[196:197], v[50:51]
	s_waitcnt vmcnt(50) lgkmcnt(4)
	v_mul_f64 v[10:11], v[204:205], v[60:61]
	s_waitcnt vmcnt(48)
	v_fmac_f64_e32 v[10:11], v[206:207], v[62:63]
	v_mul_f64 v[50:51], v[198:199], v[50:51]
	s_waitcnt vmcnt(46)
	v_mul_f64 v[8:9], v[200:201], v[64:65]
	v_mul_f64 v[54:55], v[116:117], v[54:55]
	s_waitcnt vmcnt(44) lgkmcnt(2)
	v_mul_f64 v[14:15], v[212:213], v[74:75]
	s_waitcnt vmcnt(42)
	v_fmac_f64_e32 v[14:15], v[214:215], v[72:73]
	s_waitcnt vmcnt(40)
	v_mul_f64 v[12:13], v[208:209], v[76:77]
	s_waitcnt vmcnt(38) lgkmcnt(1)
	v_mul_f64 v[16:17], v[232:233], v[68:69]
	s_waitcnt vmcnt(36)
	v_fmac_f64_e32 v[6:7], v[198:199], v[82:83]
	v_add_f64 v[2:3], v[2:3], v[6:7]
	s_waitcnt vmcnt(34)
	v_fmac_f64_e32 v[8:9], v[202:203], v[80:81]
	v_add_f64 v[2:3], v[2:3], v[8:9]
	s_waitcnt vmcnt(32)
	v_fmac_f64_e32 v[12:13], v[210:211], v[78:79]
	v_add_f64 v[2:3], v[2:3], v[10:11]
	v_add_f64 v[2:3], v[2:3], v[12:13]
	v_add_f64 v[2:3], v[2:3], v[14:15]
	s_waitcnt vmcnt(30)
	v_fmac_f64_e32 v[16:17], v[234:235], v[70:71]
	v_add_f64 v[2:3], v[2:3], v[16:17]
	s_waitcnt vmcnt(0)
	v_pk_mov_b32 v[14:15], v[4:5], v[4:5] op_sel:[0,1]
	buffer_load_dword v5, off, s[0:3], 0 offset:340
	buffer_load_dword v4, off, s[0:3], 0 offset:336
	v_accvgpr_write_b32 a149, v15
	v_accvgpr_write_b32 a148, v14
	s_waitcnt vmcnt(0)
	v_pk_mov_b32 v[18:19], v[4:5], v[4:5] op_sel:[0,1]
	buffer_load_dword v107, off, s[0:3], 0 offset:332
	buffer_load_dword v106, off, s[0:3], 0 offset:328
	;; [unrolled: 1-line block ×6, first 2 shown]
	v_accvgpr_write_b32 a151, v19
	v_accvgpr_write_b32 a150, v18
	s_waitcnt vmcnt(0)
	v_pk_mov_b32 v[22:23], v[4:5], v[4:5] op_sel:[0,1]
	buffer_load_dword v5, off, s[0:3], 0 offset:372
	buffer_load_dword v4, off, s[0:3], 0 offset:368
	v_accvgpr_write_b32 a153, v23
	v_accvgpr_write_b32 a152, v22
	s_waitcnt vmcnt(0)
	v_pk_mov_b32 v[24:25], v[4:5], v[4:5] op_sel:[0,1]
	buffer_load_dword v141, off, s[0:3], 0 offset:364
	buffer_load_dword v140, off, s[0:3], 0 offset:360
	;; [unrolled: 1-line block ×6, first 2 shown]
	v_accvgpr_write_b32 a155, v25
	v_accvgpr_write_b32 a154, v24
	s_waitcnt vmcnt(0)
	v_pk_mov_b32 v[30:31], v[4:5], v[4:5] op_sel:[0,1]
	buffer_load_dword v5, off, s[0:3], 0 offset:404
	buffer_load_dword v4, off, s[0:3], 0 offset:400
	v_accvgpr_write_b32 a157, v31
	v_accvgpr_write_b32 a156, v30
	s_waitcnt vmcnt(0)
	v_pk_mov_b32 v[32:33], v[4:5], v[4:5] op_sel:[0,1]
	buffer_load_dword v149, off, s[0:3], 0 offset:396
	buffer_load_dword v148, off, s[0:3], 0 offset:392
	;; [unrolled: 1-line block ×36, first 2 shown]
	ds_read_b128 v[240:243], v124 offset:992
	ds_read_b128 v[244:247], v124 offset:1008
	;; [unrolled: 1-line block ×9, first 2 shown]
	v_accvgpr_write_b32 a159, v33
	v_accvgpr_write_b32 a158, v32
	s_waitcnt lgkmcnt(2)
	v_mul_f64 v[8:9], v[224:225], v[106:107]
	v_fmac_f64_e32 v[8:9], v[226:227], v[108:109]
	s_waitcnt lgkmcnt(1)
	v_mul_f64 v[12:13], v[130:131], v[14:15]
	v_fmac_f64_e32 v[12:13], v[132:133], v[18:19]
	s_waitcnt vmcnt(30)
	v_pk_mov_b32 v[38:39], v[4:5], v[4:5] op_sel:[0,1]
	v_mul_f64 v[4:5], v[236:237], v[66:67]
	v_fmac_f64_e32 v[4:5], v[238:239], v[84:85]
	v_add_f64 v[2:3], v[2:3], v[4:5]
	v_mul_f64 v[4:5], v[240:241], v[90:91]
	v_fmac_f64_e32 v[4:5], v[242:243], v[92:93]
	v_add_f64 v[2:3], v[2:3], v[4:5]
	;; [unrolled: 3-line block ×7, first 2 shown]
	v_add_f64 v[10:11], v[6:7], v[8:9]
	v_add_f64 v[14:15], v[10:11], v[12:13]
	ds_read_b128 v[10:13], v124 offset:1136
	s_waitcnt lgkmcnt(1)
	v_mul_f64 v[16:17], v[126:127], v[140:141]
	v_fmac_f64_e32 v[16:17], v[128:129], v[144:145]
	v_add_f64 v[18:19], v[14:15], v[16:17]
	ds_read_b128 v[14:17], v124 offset:1152
	s_waitcnt lgkmcnt(1)
	v_mul_f64 v[20:21], v[10:11], v[22:23]
	v_fmac_f64_e32 v[20:21], v[12:13], v[24:25]
	;; [unrolled: 5-line block ×4, first 2 shown]
	v_add_f64 v[30:31], v[26:27], v[28:29]
	ds_read_b128 v[26:29], v124 offset:1200
	s_waitcnt vmcnt(26) lgkmcnt(1)
	v_mul_f64 v[32:33], v[22:23], v[156:157]
	s_waitcnt vmcnt(24)
	v_fmac_f64_e32 v[32:33], v[24:25], v[158:159]
	v_add_f64 v[34:35], v[30:31], v[32:33]
	ds_read_b128 v[30:33], v124 offset:1216
	s_waitcnt lgkmcnt(1)
	v_mul_f64 v[36:37], v[26:27], v[38:39]
	v_accvgpr_write_b32 a161, v39
	v_fmac_f64_e32 v[36:37], v[28:29], v[134:135]
	v_accvgpr_write_b32 a160, v38
	v_add_f64 v[38:39], v[34:35], v[36:37]
	ds_read_b128 v[34:37], v124 offset:1232
	s_waitcnt vmcnt(18) lgkmcnt(1)
	v_mul_f64 v[40:41], v[30:31], v[160:161]
	s_waitcnt vmcnt(16)
	v_fmac_f64_e32 v[40:41], v[32:33], v[162:163]
	v_add_f64 v[42:43], v[38:39], v[40:41]
	ds_read_b128 v[38:41], v124 offset:1248
	s_waitcnt lgkmcnt(1)
	v_mul_f64 v[44:45], v[34:35], v[136:137]
	v_fmac_f64_e32 v[44:45], v[36:37], v[138:139]
	v_add_f64 v[46:47], v[42:43], v[44:45]
	ds_read_b128 v[42:45], v124 offset:1264
	s_waitcnt vmcnt(10) lgkmcnt(1)
	v_mul_f64 v[48:49], v[38:39], v[164:165]
	s_waitcnt vmcnt(8)
	v_fmac_f64_e32 v[48:49], v[40:41], v[166:167]
	v_add_f64 v[174:175], v[46:47], v[48:49]
	ds_read_b128 v[46:49], v124 offset:1280
	buffer_load_dword v173, off, s[0:3], 0 offset:556
	buffer_load_dword v172, off, s[0:3], 0 offset:552
	;; [unrolled: 1-line block ×4, first 2 shown]
	s_waitcnt lgkmcnt(1)
	v_mul_f64 v[178:179], v[42:43], v[142:143]
	v_fmac_f64_e32 v[178:179], v[44:45], v[146:147]
	v_add_f64 v[2:3], v[174:175], v[178:179]
	buffer_load_dword v179, off, s[0:3], 0 offset:572
	buffer_load_dword v178, off, s[0:3], 0 offset:568
	;; [unrolled: 1-line block ×20, first 2 shown]
	v_mul_f64 v[4:5], v[112:113], v[58:59]
	v_fma_f64 v[112:113], v[196:197], v[82:83], -v[50:51]
	buffer_load_dword v197, off, s[0:3], 0 offset:652
	buffer_load_dword v196, off, s[0:3], 0 offset:648
	;; [unrolled: 1-line block ×4, first 2 shown]
	v_mul_f64 v[50:51], v[202:203], v[64:65]
	v_fma_f64 v[6:7], v[110:111], v[56:57], -v[4:5]
	v_fma_f64 v[110:111], v[114:115], v[52:53], -v[54:55]
	;; [unrolled: 1-line block ×3, first 2 shown]
	buffer_load_dword v201, off, s[0:3], 0 offset:668
	buffer_load_dword v200, off, s[0:3], 0 offset:664
	;; [unrolled: 1-line block ×8, first 2 shown]
	v_mul_f64 v[54:55], v[210:211], v[76:77]
	v_mul_f64 v[50:51], v[206:207], v[60:61]
	v_fma_f64 v[116:117], v[208:209], v[78:79], -v[54:55]
	v_mul_f64 v[54:55], v[214:215], v[74:75]
	v_fma_f64 v[206:207], v[204:205], v[62:63], -v[50:51]
	ds_read_b128 v[50:53], v124 offset:1296
	v_fma_f64 v[4:5], v[212:213], v[72:73], -v[54:55]
	v_mul_f64 v[54:55], v[234:235], v[68:69]
	buffer_load_dword v211, off, s[0:3], 0 offset:700
	buffer_load_dword v210, off, s[0:3], 0 offset:696
	buffer_load_dword v215, off, s[0:3], 0 offset:692
	buffer_load_dword v214, off, s[0:3], 0 offset:688
	buffer_load_dword v208, off, s[0:3], 0 offset:728
	buffer_load_dword v229, off, s[0:3], 0 offset:716
	buffer_load_dword v228, off, s[0:3], 0 offset:712
	buffer_load_dword v231, off, s[0:3], 0 offset:708
	buffer_load_dword v230, off, s[0:3], 0 offset:704
	buffer_load_dword v212, off, s[0:3], 0 offset:720
	buffer_load_dword v209, off, s[0:3], 0 offset:732
	buffer_load_dword v213, off, s[0:3], 0 offset:724
	v_fma_f64 v[234:235], v[232:233], v[70:71], -v[54:55]
	buffer_load_dword v233, off, s[0:3], 0 offset:748
	buffer_load_dword v232, off, s[0:3], 0 offset:744
	;; [unrolled: 1-line block ×4, first 2 shown]
	ds_read_b128 v[54:57], v124 offset:1312
	ds_read_b128 v[58:61], v124 offset:1328
	s_waitcnt vmcnt(54) lgkmcnt(3)
	v_mul_f64 v[8:9], v[46:47], v[168:169]
	s_waitcnt vmcnt(52)
	v_fmac_f64_e32 v[8:9], v[48:49], v[170:171]
	v_add_f64 v[2:3], v[2:3], v[8:9]
	s_waitcnt lgkmcnt(2)
	v_mul_f64 v[8:9], v[50:51], v[150:151]
	v_fmac_f64_e32 v[8:9], v[52:53], v[154:155]
	v_add_f64 v[2:3], v[2:3], v[8:9]
	v_mul_f64 v[8:9], v[238:239], v[66:67]
	v_mul_f64 v[70:71], v[246:247], v[86:87]
	v_fma_f64 v[8:9], v[236:237], v[84:85], -v[8:9]
	v_fma_f64 v[236:237], v[244:245], v[88:89], -v[70:71]
	ds_read_b128 v[70:73], v124 offset:1376
	v_mul_f64 v[82:83], v[254:255], v[96:97]
	ds_read_b128 v[86:89], v124 offset:1440
	v_mul_f64 v[0:1], v[120:121], v[0:1]
	v_add_f64 v[6:7], v[6:7], 0
	v_add_f64 v[6:7], v[6:7], v[110:111]
	v_add_f64 v[6:7], v[6:7], v[112:113]
	v_add_f64 v[6:7], v[6:7], v[114:115]
	v_add_f64 v[6:7], v[6:7], v[206:207]
	v_add_f64 v[6:7], v[6:7], v[116:117]
	v_add_f64 v[4:5], v[6:7], v[4:5]
	v_add_f64 v[4:5], v[4:5], v[234:235]
	v_add_f64 v[4:5], v[4:5], v[8:9]
	v_accvgpr_read_b32 v6, a148
	v_accvgpr_read_b32 v7, a149
	;; [unrolled: 1-line block ×3, first 2 shown]
	v_mul_f64 v[6:7], v[132:133], v[6:7]
	v_accvgpr_read_b32 v9, a151
	v_fma_f64 v[6:7], v[130:131], v[8:9], -v[6:7]
	v_accvgpr_read_b32 v8, a154
	v_accvgpr_read_b32 v9, a155
	s_waitcnt vmcnt(50) lgkmcnt(3)
	v_mul_f64 v[62:63], v[54:55], v[172:173]
	s_waitcnt vmcnt(48)
	v_fmac_f64_e32 v[62:63], v[56:57], v[176:177]
	v_add_f64 v[2:3], v[2:3], v[62:63]
	v_mul_f64 v[62:63], v[242:243], v[90:91]
	v_fma_f64 v[242:243], v[240:241], v[92:93], -v[62:63]
	ds_read_b128 v[62:65], v124 offset:1344
	s_waitcnt vmcnt(46) lgkmcnt(3)
	v_mul_f64 v[66:67], v[58:59], v[178:179]
	s_waitcnt vmcnt(44)
	v_fmac_f64_e32 v[66:67], v[60:61], v[180:181]
	v_add_f64 v[2:3], v[2:3], v[66:67]
	ds_read_b128 v[66:69], v124 offset:1360
	s_waitcnt vmcnt(41) lgkmcnt(1)
	v_mul_f64 v[74:75], v[62:63], v[184:185]
	s_waitcnt vmcnt(39)
	v_fmac_f64_e32 v[74:75], v[64:65], v[188:189]
	v_add_f64 v[2:3], v[2:3], v[74:75]
	v_mul_f64 v[74:75], v[250:251], v[100:101]
	v_fma_f64 v[248:249], v[248:249], v[102:103], -v[74:75]
	ds_read_b128 v[74:77], v124 offset:1392
	s_waitcnt vmcnt(38) lgkmcnt(1)
	v_mul_f64 v[78:79], v[66:67], v[174:175]
	s_waitcnt vmcnt(36)
	v_fmac_f64_e32 v[78:79], v[68:69], v[186:187]
	v_add_f64 v[2:3], v[2:3], v[78:79]
	s_waitcnt vmcnt(33)
	v_mul_f64 v[78:79], v[70:71], v[192:193]
	s_waitcnt vmcnt(31)
	v_fmac_f64_e32 v[78:79], v[72:73], v[194:195]
	v_add_f64 v[2:3], v[2:3], v[78:79]
	s_waitcnt vmcnt(29) lgkmcnt(0)
	v_mul_f64 v[78:79], v[74:75], v[182:183]
	s_waitcnt vmcnt(28)
	v_fmac_f64_e32 v[78:79], v[76:77], v[190:191]
	v_add_f64 v[2:3], v[2:3], v[78:79]
	ds_read_b128 v[78:81], v124 offset:1408
	v_fma_f64 v[250:251], v[252:253], v[98:99], -v[82:83]
	ds_read_b128 v[82:85], v124 offset:1424
	v_fma_f64 v[252:253], v[118:119], v[122:123], -v[0:1]
	v_mul_f64 v[98:99], v[226:227], v[106:107]
	s_waitcnt vmcnt(26) lgkmcnt(1)
	v_mul_f64 v[90:91], v[78:79], v[196:197]
	s_waitcnt vmcnt(24)
	v_fmac_f64_e32 v[90:91], v[80:81], v[198:199]
	v_add_f64 v[0:1], v[2:3], v[90:91]
	s_waitcnt vmcnt(22) lgkmcnt(0)
	v_mul_f64 v[2:3], v[82:83], v[200:201]
	s_waitcnt vmcnt(20)
	v_fmac_f64_e32 v[2:3], v[84:85], v[216:217]
	v_add_f64 v[0:1], v[0:1], v[2:3]
	ds_read_b128 v[90:93], v124 offset:1456
	s_waitcnt vmcnt(18)
	v_mul_f64 v[2:3], v[86:87], v[202:203]
	s_waitcnt vmcnt(16)
	v_fmac_f64_e32 v[2:3], v[88:89], v[218:219]
	v_add_f64 v[0:1], v[0:1], v[2:3]
	v_mul_f64 v[2:3], v[222:223], v[94:95]
	v_fma_f64 v[254:255], v[220:221], v[104:105], -v[2:3]
	ds_read_b128 v[94:97], v124 offset:1472
	v_fma_f64 v[120:121], v[224:225], v[108:109], -v[98:99]
	ds_read_b128 v[98:101], v124 offset:1488
	ds_read_b128 v[102:105], v124 offset:1504
	buffer_load_dword v118, off, s[0:3], 0 offset:760
	buffer_load_dword v119, off, s[0:3], 0 offset:764
	;; [unrolled: 1-line block ×4, first 2 shown]
	ds_read_b128 v[106:109], v124 offset:1520
	buffer_load_dword v239, off, s[0:3], 0 offset:780
	buffer_load_dword v238, off, s[0:3], 0 offset:776
	buffer_load_dword v241, off, s[0:3], 0 offset:772
	buffer_load_dword v240, off, s[0:3], 0 offset:768
	s_waitcnt vmcnt(22) lgkmcnt(4)
	v_mul_f64 v[2:3], v[90:91], v[210:211]
	s_waitcnt vmcnt(20)
	v_fmac_f64_e32 v[2:3], v[92:93], v[214:215]
	v_add_f64 v[0:1], v[0:1], v[2:3]
	s_waitcnt vmcnt(17) lgkmcnt(3)
	v_mul_f64 v[2:3], v[94:95], v[228:229]
	s_waitcnt vmcnt(15)
	v_fmac_f64_e32 v[2:3], v[96:97], v[230:231]
	v_add_f64 v[0:1], v[0:1], v[2:3]
	;; [unrolled: 5-line block ×4, first 2 shown]
	v_add_f64 v[4:5], v[4:5], v[242:243]
	v_add_f64 v[4:5], v[4:5], v[236:237]
	;; [unrolled: 1-line block ×8, first 2 shown]
	v_mul_f64 v[6:7], v[128:129], v[140:141]
	v_fma_f64 v[6:7], v[126:127], v[144:145], -v[6:7]
	v_add_f64 v[4:5], v[4:5], v[6:7]
	v_accvgpr_read_b32 v6, a152
	v_accvgpr_read_b32 v7, a153
	v_mul_f64 v[6:7], v[12:13], v[6:7]
	v_fma_f64 v[6:7], v[10:11], v[8:9], -v[6:7]
	v_add_f64 v[4:5], v[4:5], v[6:7]
	v_mul_f64 v[6:7], v[16:17], v[148:149]
	v_fma_f64 v[6:7], v[14:15], v[152:153], -v[6:7]
	v_add_f64 v[4:5], v[4:5], v[6:7]
	v_accvgpr_read_b32 v6, a156
	v_accvgpr_read_b32 v7, a157
	;; [unrolled: 1-line block ×3, first 2 shown]
	v_mul_f64 v[6:7], v[20:21], v[6:7]
	v_accvgpr_read_b32 v9, a159
	v_fma_f64 v[6:7], v[18:19], v[8:9], -v[6:7]
	v_add_f64 v[4:5], v[4:5], v[6:7]
	v_mul_f64 v[6:7], v[24:25], v[156:157]
	v_fma_f64 v[6:7], v[22:23], v[158:159], -v[6:7]
	v_add_f64 v[4:5], v[4:5], v[6:7]
	v_accvgpr_read_b32 v6, a160
	v_accvgpr_read_b32 v7, a161
	v_mul_f64 v[6:7], v[28:29], v[6:7]
	v_fma_f64 v[6:7], v[26:27], v[134:135], -v[6:7]
	v_add_f64 v[4:5], v[4:5], v[6:7]
	v_mul_f64 v[6:7], v[32:33], v[160:161]
	v_fma_f64 v[6:7], v[30:31], v[162:163], -v[6:7]
	v_add_f64 v[4:5], v[4:5], v[6:7]
	;; [unrolled: 3-line block ×10, first 2 shown]
	v_mul_f64 v[6:7], v[68:69], v[174:175]
	v_fma_f64 v[6:7], v[66:67], v[186:187], -v[6:7]
	s_waitcnt vmcnt(6) lgkmcnt(0)
	v_mul_f64 v[2:3], v[106:107], v[118:119]
	v_add_f64 v[4:5], v[4:5], v[6:7]
	s_waitcnt vmcnt(4)
	v_fmac_f64_e32 v[2:3], v[108:109], v[224:225]
	v_add_f64 v[122:123], v[0:1], v[2:3]
	ds_read_b128 v[0:3], v124 offset:1536
	buffer_load_dword v244, off, s[0:3], 0 offset:792
	buffer_load_dword v245, off, s[0:3], 0 offset:796
	;; [unrolled: 1-line block ×4, first 2 shown]
	v_mul_f64 v[6:7], v[72:73], v[192:193]
	v_fma_f64 v[6:7], v[70:71], v[194:195], -v[6:7]
	v_add_f64 v[4:5], v[4:5], v[6:7]
	s_waitcnt vmcnt(6) lgkmcnt(0)
	v_mul_f64 v[220:221], v[0:1], v[238:239]
	s_waitcnt vmcnt(4)
	v_fmac_f64_e32 v[220:221], v[2:3], v[240:241]
	v_add_f64 v[122:123], v[122:123], v[220:221]
	ds_read_b128 v[220:223], v124 offset:1552
	buffer_load_dword v250, off, s[0:3], 0 offset:64
	buffer_load_dword v251, off, s[0:3], 0 offset:68
	;; [unrolled: 1-line block ×4, first 2 shown]
	v_mul_f64 v[6:7], v[76:77], v[182:183]
	v_fma_f64 v[6:7], v[74:75], v[190:191], -v[6:7]
	v_add_f64 v[4:5], v[4:5], v[6:7]
	v_mul_f64 v[6:7], v[80:81], v[196:197]
	v_fma_f64 v[6:7], v[78:79], v[198:199], -v[6:7]
	v_add_f64 v[4:5], v[4:5], v[6:7]
	;; [unrolled: 3-line block ×8, first 2 shown]
	v_mul_f64 v[6:7], v[108:109], v[118:119]
	v_fma_f64 v[6:7], v[106:107], v[224:225], -v[6:7]
	v_mul_f64 v[2:3], v[2:3], v[238:239]
	v_add_f64 v[4:5], v[4:5], v[6:7]
	v_fma_f64 v[0:1], v[0:1], v[240:241], -v[2:3]
	v_add_f64 v[0:1], v[4:5], v[0:1]
	s_waitcnt vmcnt(6) lgkmcnt(0)
	v_mul_f64 v[2:3], v[222:223], v[244:245]
	v_mul_f64 v[226:227], v[220:221], v[244:245]
	s_waitcnt vmcnt(4)
	v_fma_f64 v[2:3], v[220:221], v[246:247], -v[2:3]
	v_fmac_f64_e32 v[226:227], v[222:223], v[246:247]
	v_add_f64 v[0:1], v[0:1], v[2:3]
	v_add_f64 v[122:123], v[122:123], v[226:227]
	s_waitcnt vmcnt(2)
	v_add_f64 v[0:1], v[250:251], -v[0:1]
	s_waitcnt vmcnt(0)
	v_add_f64 v[2:3], v[248:249], -v[122:123]
	buffer_store_dword v1, off, s[0:3], 0 offset:68
	buffer_store_dword v0, off, s[0:3], 0 offset:64
	;; [unrolled: 1-line block ×4, first 2 shown]
	v_accvgpr_read_b32 v0, a146
	v_cmp_lt_u32_e32 vcc, 2, v0
	s_and_saveexec_b64 s[4:5], vcc
	s_cbranch_execz .LBB112_303
; %bb.302:
	v_accvgpr_read_b32 v0, a144
	buffer_load_dword v2, v0, s[0:3], 0 offen
	buffer_load_dword v3, v0, s[0:3], 0 offen offset:4
	buffer_load_dword v4, v0, s[0:3], 0 offen offset:8
	;; [unrolled: 1-line block ×3, first 2 shown]
	v_accvgpr_read_b32 v0, a147
	buffer_store_dword v124, off, s[0:3], 0 offset:48
	buffer_store_dword v124, off, s[0:3], 0 offset:52
	;; [unrolled: 1-line block ×4, first 2 shown]
	s_waitcnt vmcnt(4)
	ds_write_b128 v0, v[2:5]
.LBB112_303:
	s_or_b64 exec, exec, s[4:5]
	s_waitcnt lgkmcnt(0)
	; wave barrier
	s_waitcnt lgkmcnt(0)
	buffer_load_dword v60, off, s[0:3], 0 offset:64
	buffer_load_dword v61, off, s[0:3], 0 offset:68
	;; [unrolled: 1-line block ×42, first 2 shown]
	ds_read_b128 v[114:117], v124 offset:832
	ds_read_b128 v[182:185], v124 offset:848
	;; [unrolled: 1-line block ×10, first 2 shown]
	buffer_load_dword v255, off, s[0:3], 0 offset:212
	buffer_load_dword v254, off, s[0:3], 0 offset:208
	ds_read_b128 v[62:65], v124 offset:992
	buffer_load_dword v101, off, s[0:3], 0 offset:268
	buffer_load_dword v100, off, s[0:3], 0 offset:264
	;; [unrolled: 1-line block ×6, first 2 shown]
	s_waitcnt vmcnt(46) lgkmcnt(10)
	v_mul_f64 v[0:1], v[114:115], v[66:67]
	v_fmac_f64_e32 v[0:1], v[116:117], v[60:61]
	v_add_f64 v[0:1], v[0:1], 0
	s_waitcnt vmcnt(42) lgkmcnt(9)
	v_mul_f64 v[2:3], v[182:183], v[58:59]
	v_fmac_f64_e32 v[2:3], v[184:185], v[50:51]
	s_waitcnt vmcnt(40) lgkmcnt(8)
	v_mul_f64 v[4:5], v[186:187], v[52:53]
	v_add_f64 v[0:1], v[0:1], v[2:3]
	s_waitcnt vmcnt(38) lgkmcnt(6)
	v_mul_f64 v[8:9], v[198:199], v[68:69]
	v_mul_f64 v[58:59], v[184:185], v[58:59]
	s_waitcnt vmcnt(36)
	v_fmac_f64_e32 v[8:9], v[200:201], v[70:71]
	s_waitcnt vmcnt(34)
	v_mul_f64 v[6:7], v[194:195], v[72:73]
	s_waitcnt vmcnt(32) lgkmcnt(4)
	v_mul_f64 v[12:13], v[206:207], v[74:75]
	s_waitcnt vmcnt(30)
	v_fmac_f64_e32 v[12:13], v[208:209], v[76:77]
	s_waitcnt vmcnt(28)
	v_mul_f64 v[10:11], v[202:203], v[218:219]
	s_waitcnt vmcnt(26) lgkmcnt(2)
	v_mul_f64 v[16:17], v[234:235], v[82:83]
	s_waitcnt vmcnt(23)
	v_mul_f64 v[14:15], v[210:211], v[86:87]
	s_waitcnt vmcnt(21) lgkmcnt(1)
	v_mul_f64 v[18:19], v[54:55], v[80:81]
	s_waitcnt vmcnt(19)
	v_fmac_f64_e32 v[4:5], v[188:189], v[96:97]
	v_add_f64 v[0:1], v[0:1], v[4:5]
	s_waitcnt vmcnt(17)
	v_fmac_f64_e32 v[6:7], v[196:197], v[92:93]
	v_add_f64 v[0:1], v[0:1], v[6:7]
	;; [unrolled: 3-line block ×3, first 2 shown]
	v_add_f64 v[0:1], v[0:1], v[10:11]
	s_waitcnt vmcnt(13)
	v_fmac_f64_e32 v[14:15], v[212:213], v[88:89]
	v_add_f64 v[0:1], v[0:1], v[12:13]
	s_waitcnt vmcnt(12)
	v_fmac_f64_e32 v[16:17], v[236:237], v[84:85]
	v_add_f64 v[0:1], v[0:1], v[14:15]
	v_add_f64 v[6:7], v[0:1], v[16:17]
	buffer_load_dword v1, off, s[0:3], 0 offset:244
	buffer_load_dword v0, off, s[0:3], 0 offset:240
	;; [unrolled: 1-line block ×20, first 2 shown]
	s_waitcnt vmcnt(26)
	v_fmac_f64_e32 v[18:19], v[56:57], v[254:255]
	v_add_f64 v[6:7], v[6:7], v[18:19]
	v_mul_f64 v[56:57], v[56:57], v[80:81]
	v_fma_f64 v[254:255], v[54:55], v[254:255], -v[56:57]
	s_waitcnt vmcnt(0)
	v_pk_mov_b32 v[20:21], v[8:9], v[8:9] op_sel:[0,1]
	buffer_load_dword v9, off, s[0:3], 0 offset:356
	buffer_load_dword v8, off, s[0:3], 0 offset:352
	v_accvgpr_write_b32 a153, v21
	v_accvgpr_write_b32 a152, v20
	s_waitcnt vmcnt(0)
	v_pk_mov_b32 v[22:23], v[8:9], v[8:9] op_sel:[0,1]
	buffer_load_dword v9, off, s[0:3], 0 offset:348
	buffer_load_dword v8, off, s[0:3], 0 offset:344
	v_accvgpr_write_b32 a155, v23
	v_accvgpr_write_b32 a154, v22
	;; [unrolled: 6-line block ×5, first 2 shown]
	s_waitcnt vmcnt(0)
	v_pk_mov_b32 v[28:29], v[8:9], v[8:9] op_sel:[0,1]
	buffer_load_dword v145, off, s[0:3], 0 offset:380
	buffer_load_dword v144, off, s[0:3], 0 offset:376
	;; [unrolled: 1-line block ×6, first 2 shown]
	v_accvgpr_write_b32 a159, v29
	v_accvgpr_write_b32 a158, v28
	s_waitcnt vmcnt(0)
	v_pk_mov_b32 v[34:35], v[8:9], v[8:9] op_sel:[0,1]
	buffer_load_dword v9, off, s[0:3], 0 offset:420
	buffer_load_dword v8, off, s[0:3], 0 offset:416
	v_accvgpr_write_b32 a161, v35
	v_accvgpr_write_b32 a160, v34
	s_waitcnt vmcnt(0)
	v_pk_mov_b32 v[36:37], v[8:9], v[8:9] op_sel:[0,1]
	buffer_load_dword v153, off, s[0:3], 0 offset:412
	buffer_load_dword v152, off, s[0:3], 0 offset:408
	;; [unrolled: 1-line block ×36, first 2 shown]
	ds_read_b128 v[238:241], v124 offset:1008
	ds_read_b128 v[242:245], v124 offset:1024
	;; [unrolled: 1-line block ×10, first 2 shown]
	v_accvgpr_write_b32 a163, v37
	s_waitcnt lgkmcnt(3)
	v_mul_f64 v[12:13], v[138:139], v[14:15]
	v_fmac_f64_e32 v[12:13], v[140:141], v[16:17]
	s_waitcnt lgkmcnt(2)
	v_mul_f64 v[16:17], v[134:135], v[20:21]
	v_fmac_f64_e32 v[16:17], v[136:137], v[22:23]
	;; [unrolled: 3-line block ×4, first 2 shown]
	v_accvgpr_write_b32 a162, v36
	s_waitcnt vmcnt(30)
	v_pk_mov_b32 v[42:43], v[8:9], v[8:9] op_sel:[0,1]
	v_mul_f64 v[8:9], v[62:63], v[94:95]
	v_fmac_f64_e32 v[8:9], v[64:65], v[98:99]
	v_add_f64 v[6:7], v[6:7], v[8:9]
	v_mul_f64 v[8:9], v[238:239], v[104:105]
	v_fmac_f64_e32 v[8:9], v[240:241], v[0:1]
	v_add_f64 v[6:7], v[6:7], v[8:9]
	;; [unrolled: 3-line block ×7, first 2 shown]
	v_add_f64 v[14:15], v[10:11], v[12:13]
	v_add_f64 v[18:19], v[14:15], v[16:17]
	;; [unrolled: 1-line block ×3, first 2 shown]
	ds_read_b128 v[18:21], v124 offset:1168
	v_add_f64 v[26:27], v[22:23], v[24:25]
	ds_read_b128 v[22:25], v124 offset:1184
	v_accvgpr_write_b32 a165, v43
	v_accvgpr_write_b32 a164, v42
	s_waitcnt lgkmcnt(1)
	v_mul_f64 v[28:29], v[18:19], v[152:153]
	v_fmac_f64_e32 v[28:29], v[20:21], v[156:157]
	v_add_f64 v[30:31], v[26:27], v[28:29]
	ds_read_b128 v[26:29], v124 offset:1200
	s_waitcnt lgkmcnt(1)
	v_mul_f64 v[32:33], v[22:23], v[34:35]
	v_fmac_f64_e32 v[32:33], v[24:25], v[36:37]
	v_add_f64 v[34:35], v[30:31], v[32:33]
	ds_read_b128 v[30:33], v124 offset:1216
	s_waitcnt vmcnt(26) lgkmcnt(1)
	v_mul_f64 v[36:37], v[26:27], v[160:161]
	s_waitcnt vmcnt(24)
	v_fmac_f64_e32 v[36:37], v[28:29], v[162:163]
	v_add_f64 v[38:39], v[34:35], v[36:37]
	ds_read_b128 v[34:37], v124 offset:1232
	s_waitcnt lgkmcnt(1)
	v_mul_f64 v[40:41], v[30:31], v[42:43]
	v_fmac_f64_e32 v[40:41], v[32:33], v[214:215]
	v_add_f64 v[46:47], v[38:39], v[40:41]
	ds_read_b128 v[38:41], v124 offset:1248
	ds_read_b128 v[42:45], v124 offset:1264
	s_waitcnt vmcnt(18) lgkmcnt(2)
	v_mul_f64 v[48:49], v[34:35], v[164:165]
	s_waitcnt vmcnt(16)
	v_fmac_f64_e32 v[48:49], v[36:37], v[166:167]
	v_add_f64 v[46:47], v[46:47], v[48:49]
	s_waitcnt lgkmcnt(1)
	v_mul_f64 v[48:49], v[38:39], v[122:123]
	v_fmac_f64_e32 v[48:49], v[40:41], v[142:143]
	v_add_f64 v[46:47], v[46:47], v[48:49]
	s_waitcnt vmcnt(10) lgkmcnt(0)
	v_mul_f64 v[48:49], v[42:43], v[168:169]
	s_waitcnt vmcnt(8)
	v_fmac_f64_e32 v[48:49], v[44:45], v[170:171]
	v_add_f64 v[6:7], v[46:47], v[48:49]
	ds_read_b128 v[46:49], v124 offset:1280
	buffer_load_dword v177, off, s[0:3], 0 offset:572
	buffer_load_dword v176, off, s[0:3], 0 offset:568
	;; [unrolled: 1-line block ×5, first 2 shown]
	v_mul_f64 v[8:9], v[116:117], v[66:67]
	v_fma_f64 v[10:11], v[114:115], v[60:61], -v[8:9]
	v_fma_f64 v[114:115], v[182:183], v[50:51], -v[58:59]
	buffer_load_dword v182, off, s[0:3], 0 offset:576
	buffer_load_dword v179, off, s[0:3], 0 offset:588
	;; [unrolled: 1-line block ×3, first 2 shown]
	v_mul_f64 v[50:51], v[188:189], v[52:53]
	v_fma_f64 v[116:117], v[186:187], v[96:97], -v[50:51]
	buffer_load_dword v187, off, s[0:3], 0 offset:604
	buffer_load_dword v186, off, s[0:3], 0 offset:600
	;; [unrolled: 1-line block ×8, first 2 shown]
	v_mul_f64 v[50:51], v[196:197], v[72:73]
	v_fma_f64 v[92:93], v[194:195], v[92:93], -v[50:51]
	buffer_load_dword v184, off, s[0:3], 0 offset:648
	buffer_load_dword v197, off, s[0:3], 0 offset:636
	;; [unrolled: 1-line block ×8, first 2 shown]
	v_mul_f64 v[50:51], v[200:201], v[68:69]
	v_fma_f64 v[220:221], v[198:199], v[70:71], -v[50:51]
	v_mul_f64 v[50:51], v[204:205], v[218:219]
	v_fma_f64 v[204:205], v[202:203], v[90:91], -v[50:51]
	buffer_load_dword v219, off, s[0:3], 0 offset:668
	buffer_load_dword v218, off, s[0:3], 0 offset:664
	;; [unrolled: 1-line block ×4, first 2 shown]
	v_mul_f64 v[50:51], v[208:209], v[74:75]
	buffer_load_dword v200, off, s[0:3], 0 offset:680
	buffer_load_dword v208, off, s[0:3], 0 offset:672
	;; [unrolled: 1-line block ×4, first 2 shown]
	v_fma_f64 v[206:207], v[206:207], v[76:77], -v[50:51]
	v_mul_f64 v[50:51], v[212:213], v[86:87]
	v_fma_f64 v[202:203], v[210:211], v[88:89], -v[50:51]
	buffer_load_dword v199, off, s[0:3], 0 offset:716
	buffer_load_dword v211, off, s[0:3], 0 offset:700
	;; [unrolled: 1-line block ×12, first 2 shown]
	ds_read_b128 v[50:53], v124 offset:1296
	v_mul_f64 v[58:59], v[236:237], v[82:83]
	v_fma_f64 v[8:9], v[234:235], v[84:85], -v[58:59]
	buffer_load_dword v234, off, s[0:3], 0 offset:744
	buffer_load_dword v236, off, s[0:3], 0 offset:736
	;; [unrolled: 1-line block ×4, first 2 shown]
	ds_read_b128 v[54:57], v124 offset:1312
	ds_read_b128 v[58:61], v124 offset:1328
	s_waitcnt lgkmcnt(3)
	v_mul_f64 v[12:13], v[46:47], v[146:147]
	v_fmac_f64_e32 v[12:13], v[48:49], v[150:151]
	v_add_f64 v[6:7], v[6:7], v[12:13]
	s_waitcnt vmcnt(50) lgkmcnt(2)
	v_mul_f64 v[12:13], v[50:51], v[172:173]
	s_waitcnt vmcnt(48)
	v_fmac_f64_e32 v[12:13], v[52:53], v[174:175]
	v_add_f64 v[6:7], v[6:7], v[12:13]
	s_waitcnt lgkmcnt(1)
	v_mul_f64 v[12:13], v[54:55], v[154:155]
	v_fmac_f64_e32 v[12:13], v[56:57], v[158:159]
	v_add_f64 v[6:7], v[6:7], v[12:13]
	v_mul_f64 v[12:13], v[64:65], v[94:95]
	v_fma_f64 v[12:13], v[62:63], v[98:99], -v[12:13]
	ds_read_b128 v[62:65], v124 offset:1344
	ds_read_b128 v[70:73], v124 offset:1376
	;; [unrolled: 1-line block ×4, first 2 shown]
	v_mul_f64 v[4:5], v[120:121], v[4:5]
	ds_read_b128 v[94:97], v124 offset:1472
	v_add_f64 v[10:11], v[10:11], 0
	v_add_f64 v[10:11], v[10:11], v[114:115]
	;; [unrolled: 1-line block ×11, first 2 shown]
	ds_read_b128 v[82:85], v124 offset:1424
	s_waitcnt vmcnt(46) lgkmcnt(6)
	v_mul_f64 v[66:67], v[58:59], v[176:177]
	s_waitcnt vmcnt(44)
	v_fmac_f64_e32 v[66:67], v[60:61], v[180:181]
	v_add_f64 v[6:7], v[6:7], v[66:67]
	v_mul_f64 v[66:67], v[240:241], v[104:105]
	v_fma_f64 v[0:1], v[238:239], v[0:1], -v[66:67]
	ds_read_b128 v[66:69], v124 offset:1360
	s_waitcnt vmcnt(41) lgkmcnt(6)
	v_mul_f64 v[14:15], v[62:63], v[178:179]
	s_waitcnt vmcnt(40)
	v_fmac_f64_e32 v[14:15], v[64:65], v[182:183]
	v_add_f64 v[6:7], v[6:7], v[14:15]
	v_mul_f64 v[14:15], v[244:245], v[100:101]
	v_fma_f64 v[98:99], v[242:243], v[102:103], -v[14:15]
	s_waitcnt vmcnt(38) lgkmcnt(0)
	v_mul_f64 v[14:15], v[66:67], v[186:187]
	s_waitcnt vmcnt(36)
	v_fmac_f64_e32 v[14:15], v[68:69], v[190:191]
	v_add_f64 v[6:7], v[6:7], v[14:15]
	v_mul_f64 v[14:15], v[248:249], v[226:227]
	v_fma_f64 v[2:3], v[246:247], v[2:3], -v[14:15]
	ds_read_b128 v[14:17], v124 offset:1408
	s_waitcnt vmcnt(34)
	v_mul_f64 v[80:81], v[70:71], v[188:189]
	s_waitcnt vmcnt(32)
	v_fmac_f64_e32 v[80:81], v[72:73], v[192:193]
	v_add_f64 v[6:7], v[6:7], v[80:81]
	s_waitcnt vmcnt(29)
	v_mul_f64 v[80:81], v[74:75], v[196:197]
	s_waitcnt vmcnt(27)
	v_fmac_f64_e32 v[80:81], v[76:77], v[216:217]
	v_add_f64 v[6:7], v[6:7], v[80:81]
	s_waitcnt vmcnt(25) lgkmcnt(0)
	v_mul_f64 v[80:81], v[14:15], v[184:185]
	s_waitcnt vmcnt(24)
	v_fmac_f64_e32 v[80:81], v[16:17], v[194:195]
	v_add_f64 v[6:7], v[6:7], v[80:81]
	v_mul_f64 v[80:81], v[252:253], v[110:111]
	v_fma_f64 v[100:101], v[250:251], v[112:113], -v[80:81]
	s_waitcnt vmcnt(22)
	v_mul_f64 v[80:81], v[82:83], v[218:219]
	s_waitcnt vmcnt(20)
	v_fmac_f64_e32 v[80:81], v[84:85], v[90:91]
	v_add_f64 v[6:7], v[6:7], v[80:81]
	v_fma_f64 v[252:253], v[118:119], v[78:79], -v[4:5]
	ds_read_b128 v[78:81], v124 offset:1456
	s_waitcnt vmcnt(17)
	v_mul_f64 v[4:5], v[86:87], v[200:201]
	s_waitcnt vmcnt(16)
	v_fmac_f64_e32 v[4:5], v[88:89], v[208:209]
	v_add_f64 v[4:5], v[6:7], v[4:5]
	v_mul_f64 v[6:7], v[224:225], v[106:107]
	ds_read_b128 v[224:227], v124 offset:1488
	ds_read_b128 v[102:105], v124 offset:1504
	buffer_load_dword v121, off, s[0:3], 0 offset:764
	buffer_load_dword v120, off, s[0:3], 0 offset:760
	buffer_load_dword v239, off, s[0:3], 0 offset:756
	buffer_load_dword v238, off, s[0:3], 0 offset:752
	v_fma_f64 v[222:223], v[222:223], v[108:109], -v[6:7]
	ds_read_b128 v[106:109], v124 offset:1520
	buffer_load_dword v240, off, s[0:3], 0 offset:776
	buffer_load_dword v241, off, s[0:3], 0 offset:780
	;; [unrolled: 1-line block ×4, first 2 shown]
	s_waitcnt vmcnt(21) lgkmcnt(3)
	v_mul_f64 v[6:7], v[78:79], v[210:211]
	s_waitcnt vmcnt(19)
	v_fmac_f64_e32 v[6:7], v[80:81], v[230:231]
	v_add_f64 v[4:5], v[4:5], v[6:7]
	s_waitcnt vmcnt(18)
	v_mul_f64 v[6:7], v[94:95], v[198:199]
	s_waitcnt vmcnt(16)
	v_fmac_f64_e32 v[6:7], v[96:97], v[228:229]
	v_add_f64 v[4:5], v[4:5], v[6:7]
	s_waitcnt vmcnt(14) lgkmcnt(2)
	v_mul_f64 v[6:7], v[224:225], v[212:213]
	s_waitcnt vmcnt(12)
	v_fmac_f64_e32 v[6:7], v[226:227], v[232:233]
	ds_read_b128 v[110:113], v124 offset:1536
	v_add_f64 v[4:5], v[4:5], v[6:7]
	s_waitcnt vmcnt(9) lgkmcnt(2)
	v_mul_f64 v[6:7], v[102:103], v[234:235]
	s_waitcnt vmcnt(8)
	v_fmac_f64_e32 v[6:7], v[104:105], v[236:237]
	v_add_f64 v[4:5], v[4:5], v[6:7]
	buffer_load_dword v245, off, s[0:3], 0 offset:796
	buffer_load_dword v244, off, s[0:3], 0 offset:792
	;; [unrolled: 1-line block ×4, first 2 shown]
	v_add_f64 v[0:1], v[8:9], v[0:1]
	v_add_f64 v[0:1], v[0:1], v[98:99]
	;; [unrolled: 1-line block ×3, first 2 shown]
	v_accvgpr_read_b32 v2, a148
	v_add_f64 v[206:207], v[0:1], v[100:101]
	v_accvgpr_read_b32 v3, a149
	v_accvgpr_read_b32 v8, a150
	v_add_f64 v[0:1], v[206:207], v[252:253]
	v_mul_f64 v[2:3], v[140:141], v[2:3]
	v_accvgpr_read_b32 v9, a151
	v_add_f64 v[0:1], v[0:1], v[222:223]
	v_fma_f64 v[2:3], v[138:139], v[8:9], -v[2:3]
	v_add_f64 v[0:1], v[0:1], v[2:3]
	v_accvgpr_read_b32 v2, a152
	v_accvgpr_read_b32 v3, a153
	v_accvgpr_read_b32 v8, a154
	v_mul_f64 v[2:3], v[136:137], v[2:3]
	v_accvgpr_read_b32 v9, a155
	v_fma_f64 v[2:3], v[134:135], v[8:9], -v[2:3]
	v_add_f64 v[0:1], v[0:1], v[2:3]
	v_mul_f64 v[2:3], v[132:133], v[144:145]
	v_fma_f64 v[2:3], v[130:131], v[148:149], -v[2:3]
	v_add_f64 v[0:1], v[0:1], v[2:3]
	v_accvgpr_read_b32 v2, a156
	v_accvgpr_read_b32 v3, a157
	v_accvgpr_read_b32 v8, a158
	v_mul_f64 v[2:3], v[128:129], v[2:3]
	v_accvgpr_read_b32 v9, a159
	v_fma_f64 v[2:3], v[126:127], v[8:9], -v[2:3]
	v_add_f64 v[0:1], v[0:1], v[2:3]
	v_mul_f64 v[2:3], v[20:21], v[152:153]
	;; [unrolled: 10-line block ×3, first 2 shown]
	v_fma_f64 v[2:3], v[26:27], v[162:163], -v[2:3]
	v_add_f64 v[0:1], v[0:1], v[2:3]
	v_accvgpr_read_b32 v2, a164
	v_accvgpr_read_b32 v3, a165
	v_mul_f64 v[2:3], v[32:33], v[2:3]
	v_fma_f64 v[2:3], v[30:31], v[214:215], -v[2:3]
	v_add_f64 v[0:1], v[0:1], v[2:3]
	v_mul_f64 v[2:3], v[36:37], v[164:165]
	v_fma_f64 v[2:3], v[34:35], v[166:167], -v[2:3]
	v_add_f64 v[0:1], v[0:1], v[2:3]
	;; [unrolled: 3-line block ×5, first 2 shown]
	s_waitcnt vmcnt(10) lgkmcnt(1)
	v_mul_f64 v[6:7], v[106:107], v[120:121]
	v_mul_f64 v[2:3], v[52:53], v[172:173]
	s_waitcnt vmcnt(8)
	v_fmac_f64_e32 v[6:7], v[108:109], v[238:239]
	v_add_f64 v[4:5], v[4:5], v[6:7]
	s_waitcnt vmcnt(6) lgkmcnt(0)
	v_mul_f64 v[6:7], v[110:111], v[240:241]
	s_waitcnt vmcnt(4)
	v_fmac_f64_e32 v[6:7], v[112:113], v[242:243]
	v_add_f64 v[118:119], v[4:5], v[6:7]
	ds_read_b128 v[4:7], v124 offset:1552
	buffer_load_dword v250, off, s[0:3], 0 offset:48
	buffer_load_dword v251, off, s[0:3], 0 offset:52
	;; [unrolled: 1-line block ×4, first 2 shown]
	v_fma_f64 v[2:3], v[50:51], v[174:175], -v[2:3]
	v_add_f64 v[0:1], v[0:1], v[2:3]
	v_mul_f64 v[2:3], v[56:57], v[154:155]
	v_fma_f64 v[2:3], v[54:55], v[158:159], -v[2:3]
	v_add_f64 v[0:1], v[0:1], v[2:3]
	v_mul_f64 v[2:3], v[60:61], v[176:177]
	v_fma_f64 v[2:3], v[58:59], v[180:181], -v[2:3]
	v_add_f64 v[0:1], v[0:1], v[2:3]
	v_mul_f64 v[2:3], v[64:65], v[178:179]
	v_fma_f64 v[2:3], v[62:63], v[182:183], -v[2:3]
	v_add_f64 v[0:1], v[0:1], v[2:3]
	v_mul_f64 v[2:3], v[68:69], v[186:187]
	v_fma_f64 v[2:3], v[66:67], v[190:191], -v[2:3]
	v_add_f64 v[0:1], v[0:1], v[2:3]
	v_mul_f64 v[2:3], v[72:73], v[188:189]
	v_fma_f64 v[2:3], v[70:71], v[192:193], -v[2:3]
	v_add_f64 v[0:1], v[0:1], v[2:3]
	v_mul_f64 v[2:3], v[76:77], v[196:197]
	v_fma_f64 v[2:3], v[74:75], v[216:217], -v[2:3]
	v_add_f64 v[0:1], v[0:1], v[2:3]
	v_mul_f64 v[2:3], v[16:17], v[184:185]
	v_fma_f64 v[2:3], v[14:15], v[194:195], -v[2:3]
	v_add_f64 v[0:1], v[0:1], v[2:3]
	v_mul_f64 v[2:3], v[84:85], v[218:219]
	v_fma_f64 v[2:3], v[82:83], v[90:91], -v[2:3]
	v_add_f64 v[0:1], v[0:1], v[2:3]
	v_mul_f64 v[2:3], v[88:89], v[200:201]
	v_fma_f64 v[2:3], v[86:87], v[208:209], -v[2:3]
	v_add_f64 v[0:1], v[0:1], v[2:3]
	v_mul_f64 v[2:3], v[80:81], v[210:211]
	v_fma_f64 v[2:3], v[78:79], v[230:231], -v[2:3]
	v_add_f64 v[0:1], v[0:1], v[2:3]
	v_mul_f64 v[2:3], v[96:97], v[198:199]
	v_fma_f64 v[2:3], v[94:95], v[228:229], -v[2:3]
	v_add_f64 v[0:1], v[0:1], v[2:3]
	v_mul_f64 v[2:3], v[226:227], v[212:213]
	v_fma_f64 v[2:3], v[224:225], v[232:233], -v[2:3]
	v_add_f64 v[0:1], v[0:1], v[2:3]
	v_mul_f64 v[2:3], v[104:105], v[234:235]
	v_fma_f64 v[2:3], v[102:103], v[236:237], -v[2:3]
	v_add_f64 v[0:1], v[0:1], v[2:3]
	v_mul_f64 v[2:3], v[108:109], v[120:121]
	v_fma_f64 v[2:3], v[106:107], v[238:239], -v[2:3]
	v_add_f64 v[0:1], v[0:1], v[2:3]
	v_mul_f64 v[2:3], v[112:113], v[240:241]
	v_fma_f64 v[2:3], v[110:111], v[242:243], -v[2:3]
	v_add_f64 v[0:1], v[0:1], v[2:3]
	s_waitcnt vmcnt(6) lgkmcnt(0)
	v_mul_f64 v[2:3], v[6:7], v[244:245]
	v_mul_f64 v[124:125], v[4:5], v[244:245]
	s_waitcnt vmcnt(4)
	v_fma_f64 v[2:3], v[4:5], v[246:247], -v[2:3]
	v_fmac_f64_e32 v[124:125], v[6:7], v[246:247]
	v_add_f64 v[0:1], v[0:1], v[2:3]
	v_add_f64 v[118:119], v[118:119], v[124:125]
	s_waitcnt vmcnt(2)
	v_add_f64 v[0:1], v[250:251], -v[0:1]
	s_waitcnt vmcnt(0)
	v_add_f64 v[2:3], v[248:249], -v[118:119]
	buffer_store_dword v1, off, s[0:3], 0 offset:52
	buffer_store_dword v0, off, s[0:3], 0 offset:48
	;; [unrolled: 1-line block ×4, first 2 shown]
	v_accvgpr_read_b32 v0, a146
	v_cmp_lt_u32_e32 vcc, 1, v0
	s_and_saveexec_b64 s[4:5], vcc
	s_cbranch_execz .LBB112_305
; %bb.304:
	v_accvgpr_read_b32 v0, a145
	buffer_load_dword v2, v0, s[0:3], 0 offen
	buffer_load_dword v3, v0, s[0:3], 0 offen offset:4
	buffer_load_dword v4, v0, s[0:3], 0 offen offset:8
	buffer_load_dword v5, v0, s[0:3], 0 offen offset:12
	v_mov_b32_e32 v0, 0
	v_accvgpr_read_b32 v1, a147
	buffer_store_dword v0, off, s[0:3], 0 offset:32
	buffer_store_dword v0, off, s[0:3], 0 offset:36
	;; [unrolled: 1-line block ×4, first 2 shown]
	s_waitcnt vmcnt(4)
	ds_write_b128 v1, v[2:5]
.LBB112_305:
	s_or_b64 exec, exec, s[4:5]
	s_waitcnt lgkmcnt(0)
	; wave barrier
	s_waitcnt lgkmcnt(0)
	buffer_load_dword v48, off, s[0:3], 0 offset:48
	buffer_load_dword v49, off, s[0:3], 0 offset:52
	;; [unrolled: 1-line block ×42, first 2 shown]
	v_mov_b32_e32 v206, 0
	buffer_load_dword v99, off, s[0:3], 0 offset:196
	buffer_load_dword v98, off, s[0:3], 0 offset:192
	;; [unrolled: 1-line block ×7, first 2 shown]
	ds_read_b128 v[112:115], v206 offset:816
	ds_read_b128 v[116:119], v206 offset:832
	;; [unrolled: 1-line block ×11, first 2 shown]
	s_waitcnt vmcnt(45) lgkmcnt(10)
	v_mul_f64 v[0:1], v[112:113], v[52:53]
	v_fmac_f64_e32 v[0:1], v[114:115], v[48:49]
	v_add_f64 v[0:1], v[0:1], 0
	s_waitcnt vmcnt(41) lgkmcnt(9)
	v_mul_f64 v[2:3], v[116:117], v[54:55]
	v_fmac_f64_e32 v[2:3], v[118:119], v[50:51]
	s_waitcnt vmcnt(39) lgkmcnt(8)
	v_mul_f64 v[4:5], v[140:141], v[46:47]
	v_add_f64 v[0:1], v[0:1], v[2:3]
	s_waitcnt vmcnt(37) lgkmcnt(6)
	v_mul_f64 v[8:9], v[150:151], v[62:63]
	v_mul_f64 v[46:47], v[142:143], v[46:47]
	s_waitcnt vmcnt(35)
	v_fmac_f64_e32 v[8:9], v[152:153], v[56:57]
	s_waitcnt vmcnt(33)
	v_mul_f64 v[6:7], v[144:145], v[64:65]
	s_waitcnt vmcnt(31) lgkmcnt(4)
	v_mul_f64 v[12:13], v[160:161], v[66:67]
	s_waitcnt vmcnt(29)
	v_fmac_f64_e32 v[12:13], v[162:163], v[68:69]
	s_waitcnt vmcnt(27)
	v_mul_f64 v[10:11], v[156:157], v[70:71]
	s_waitcnt vmcnt(25) lgkmcnt(2)
	v_mul_f64 v[16:17], v[174:175], v[76:77]
	s_waitcnt vmcnt(22)
	v_mul_f64 v[14:15], v[164:165], v[78:79]
	s_waitcnt vmcnt(20) lgkmcnt(1)
	v_mul_f64 v[18:19], v[180:181], v[72:73]
	s_waitcnt vmcnt(18)
	v_fmac_f64_e32 v[4:5], v[142:143], v[90:91]
	v_add_f64 v[0:1], v[0:1], v[4:5]
	s_waitcnt vmcnt(16)
	v_fmac_f64_e32 v[6:7], v[146:147], v[88:89]
	v_add_f64 v[0:1], v[0:1], v[6:7]
	s_waitcnt vmcnt(14)
	v_fmac_f64_e32 v[10:11], v[158:159], v[82:83]
	v_add_f64 v[0:1], v[0:1], v[8:9]
	v_add_f64 v[0:1], v[0:1], v[10:11]
	s_waitcnt vmcnt(12)
	v_fmac_f64_e32 v[14:15], v[166:167], v[80:81]
	v_add_f64 v[0:1], v[0:1], v[12:13]
	s_waitcnt vmcnt(11)
	v_fmac_f64_e32 v[16:17], v[176:177], v[178:179]
	v_add_f64 v[0:1], v[0:1], v[14:15]
	v_add_f64 v[2:3], v[0:1], v[16:17]
	buffer_load_dword v96, off, s[0:3], 0 offset:232
	buffer_load_dword v205, off, s[0:3], 0 offset:228
	;; [unrolled: 1-line block ×21, first 2 shown]
	s_waitcnt vmcnt(26)
	v_fmac_f64_e32 v[18:19], v[182:183], v[98:99]
	v_add_f64 v[2:3], v[2:3], v[18:19]
	v_fma_f64 v[90:91], v[140:141], v[90:91], -v[46:47]
	v_mul_f64 v[46:47], v[146:147], v[64:65]
	s_waitcnt vmcnt(0)
	v_pk_mov_b32 v[8:9], v[4:5], v[4:5] op_sel:[0,1]
	buffer_load_dword v5, off, s[0:3], 0 offset:340
	buffer_load_dword v4, off, s[0:3], 0 offset:336
	v_accvgpr_write_b32 a149, v9
	v_accvgpr_write_b32 a148, v8
	s_waitcnt vmcnt(0)
	v_pk_mov_b32 v[12:13], v[4:5], v[4:5] op_sel:[0,1]
	buffer_load_dword v105, off, s[0:3], 0 offset:332
	buffer_load_dword v104, off, s[0:3], 0 offset:328
	buffer_load_dword v107, off, s[0:3], 0 offset:324
	buffer_load_dword v106, off, s[0:3], 0 offset:320
	buffer_load_dword v5, off, s[0:3], 0 offset:380
	buffer_load_dword v4, off, s[0:3], 0 offset:376
	v_accvgpr_write_b32 a151, v13
	v_accvgpr_write_b32 a150, v12
	s_waitcnt vmcnt(0)
	v_pk_mov_b32 v[16:17], v[4:5], v[4:5] op_sel:[0,1]
	buffer_load_dword v5, off, s[0:3], 0 offset:372
	buffer_load_dword v4, off, s[0:3], 0 offset:368
	v_accvgpr_write_b32 a153, v17
	v_accvgpr_write_b32 a152, v16
	s_waitcnt vmcnt(0)
	v_pk_mov_b32 v[22:23], v[4:5], v[4:5] op_sel:[0,1]
	buffer_load_dword v237, off, s[0:3], 0 offset:364
	buffer_load_dword v236, off, s[0:3], 0 offset:360
	buffer_load_dword v241, off, s[0:3], 0 offset:356
	buffer_load_dword v240, off, s[0:3], 0 offset:352
	buffer_load_dword v5, off, s[0:3], 0 offset:412
	buffer_load_dword v4, off, s[0:3], 0 offset:408
	v_accvgpr_write_b32 a155, v23
	v_accvgpr_write_b32 a154, v22
	;; [unrolled: 16-line block ×3, first 2 shown]
	s_waitcnt vmcnt(0)
	v_pk_mov_b32 v[36:37], v[4:5], v[4:5] op_sel:[0,1]
	buffer_load_dword v5, off, s[0:3], 0 offset:436
	buffer_load_dword v4, off, s[0:3], 0 offset:432
	;; [unrolled: 1-line block ×30, first 2 shown]
	ds_read_b128 v[184:187], v206 offset:992
	ds_read_b128 v[188:191], v206 offset:1008
	ds_read_b128 v[192:195], v206 offset:1024
	ds_read_b128 v[196:199], v206 offset:1040
	ds_read_b128 v[200:203], v206 offset:1056
	ds_read_b128 v[208:211], v206 offset:1072
	ds_read_b128 v[212:215], v206 offset:1088
	ds_read_b128 v[216:219], v206 offset:1104
	ds_read_b128 v[220:223], v206 offset:1120
	ds_read_b128 v[224:227], v206 offset:1136
	ds_read_b128 v[228:231], v206 offset:1152
	ds_read_b128 v[232:235], v206 offset:1168
	s_waitcnt lgkmcnt(4)
	v_mul_f64 v[10:11], v[216:217], v[8:9]
	v_fmac_f64_e32 v[10:11], v[218:219], v[12:13]
	s_waitcnt lgkmcnt(3)
	v_mul_f64 v[14:15], v[220:221], v[236:237]
	v_fmac_f64_e32 v[14:15], v[222:223], v[240:241]
	;; [unrolled: 3-line block ×5, first 2 shown]
	v_accvgpr_write_b32 a161, v37
	v_accvgpr_write_b32 a160, v36
	s_waitcnt vmcnt(28)
	v_accvgpr_write_b32 a163, v5
	v_accvgpr_write_b32 a162, v4
	s_waitcnt vmcnt(20)
	v_pk_mov_b32 v[44:45], v[6:7], v[6:7] op_sel:[0,1]
	v_mul_f64 v[6:7], v[58:59], v[84:85]
	v_fmac_f64_e32 v[6:7], v[60:61], v[86:87]
	v_add_f64 v[2:3], v[2:3], v[6:7]
	v_mul_f64 v[6:7], v[184:185], v[96:97]
	v_fmac_f64_e32 v[6:7], v[186:187], v[204:205]
	v_add_f64 v[2:3], v[2:3], v[6:7]
	v_mul_f64 v[6:7], v[188:189], v[92:93]
	v_fmac_f64_e32 v[6:7], v[190:191], v[94:95]
	v_add_f64 v[2:3], v[2:3], v[6:7]
	v_mul_f64 v[6:7], v[192:193], v[132:133]
	v_fmac_f64_e32 v[6:7], v[194:195], v[134:135]
	v_add_f64 v[2:3], v[2:3], v[6:7]
	v_mul_f64 v[6:7], v[196:197], v[108:109]
	v_fmac_f64_e32 v[6:7], v[198:199], v[110:111]
	v_add_f64 v[2:3], v[2:3], v[6:7]
	v_mul_f64 v[6:7], v[200:201], v[0:1]
	v_fmac_f64_e32 v[6:7], v[202:203], v[74:75]
	v_add_f64 v[2:3], v[2:3], v[6:7]
	v_mul_f64 v[6:7], v[208:209], v[100:101]
	v_fmac_f64_e32 v[6:7], v[210:211], v[102:103]
	v_add_f64 v[2:3], v[2:3], v[6:7]
	v_mul_f64 v[6:7], v[212:213], v[104:105]
	v_fmac_f64_e32 v[6:7], v[214:215], v[106:107]
	v_add_f64 v[2:3], v[2:3], v[6:7]
	v_add_f64 v[2:3], v[2:3], v[10:11]
	v_add_f64 v[2:3], v[2:3], v[14:15]
	;; [unrolled: 1-line block ×4, first 2 shown]
	ds_read_b128 v[22:25], v206 offset:1184
	v_add_f64 v[2:3], v[2:3], v[26:27]
	ds_read_b128 v[26:29], v206 offset:1200
	v_accvgpr_write_b32 a165, v45
	v_accvgpr_write_b32 a164, v44
	s_waitcnt lgkmcnt(1)
	v_mul_f64 v[30:31], v[22:23], v[252:253]
	v_fmac_f64_e32 v[30:31], v[24:25], v[254:255]
	s_waitcnt lgkmcnt(0)
	v_mul_f64 v[34:35], v[26:27], v[36:37]
	v_add_f64 v[2:3], v[2:3], v[30:31]
	ds_read_b128 v[30:33], v206 offset:1216
	v_fmac_f64_e32 v[34:35], v[28:29], v[4:5]
	v_add_f64 v[2:3], v[2:3], v[34:35]
	ds_read_b128 v[34:37], v206 offset:1232
	v_mul_f64 v[6:7], v[118:119], v[54:55]
	s_waitcnt vmcnt(18) lgkmcnt(1)
	v_mul_f64 v[38:39], v[30:31], v[120:121]
	s_waitcnt vmcnt(16)
	v_fmac_f64_e32 v[38:39], v[32:33], v[122:123]
	v_add_f64 v[2:3], v[2:3], v[38:39]
	s_waitcnt lgkmcnt(0)
	v_mul_f64 v[42:43], v[34:35], v[20:21]
	v_fmac_f64_e32 v[42:43], v[36:37], v[44:45]
	ds_read_b128 v[38:41], v206 offset:1248
	v_add_f64 v[2:3], v[2:3], v[42:43]
	ds_read_b128 v[42:45], v206 offset:1264
	buffer_load_dword v19, off, s[0:3], 0 offset:556
	buffer_load_dword v18, off, s[0:3], 0 offset:552
	;; [unrolled: 1-line block ×8, first 2 shown]
	v_mul_f64 v[4:5], v[114:115], v[52:53]
	v_fma_f64 v[12:13], v[112:113], v[48:49], -v[4:5]
	v_fma_f64 v[112:113], v[144:145], v[88:89], -v[46:47]
	buffer_load_dword v141, off, s[0:3], 0 offset:604
	buffer_load_dword v145, off, s[0:3], 0 offset:588
	;; [unrolled: 1-line block ×8, first 2 shown]
	v_mul_f64 v[46:47], v[152:153], v[62:63]
	v_fma_f64 v[114:115], v[150:151], v[56:57], -v[46:47]
	buffer_load_dword v142, off, s[0:3], 0 offset:632
	buffer_load_dword v153, off, s[0:3], 0 offset:620
	;; [unrolled: 1-line block ×8, first 2 shown]
	v_fma_f64 v[168:169], v[116:117], v[50:51], -v[6:7]
	v_mul_f64 v[50:51], v[158:159], v[70:71]
	ds_read_b128 v[46:49], v206 offset:1280
	v_fma_f64 v[116:117], v[156:157], v[82:83], -v[50:51]
	buffer_load_dword v157, off, s[0:3], 0 offset:652
	buffer_load_dword v156, off, s[0:3], 0 offset:648
	;; [unrolled: 1-line block ×4, first 2 shown]
	v_mul_f64 v[50:51], v[162:163], v[66:67]
	v_fma_f64 v[10:11], v[160:161], v[68:69], -v[50:51]
	buffer_load_dword v160, off, s[0:3], 0 offset:664
	buffer_load_dword v162, off, s[0:3], 0 offset:656
	;; [unrolled: 1-line block ×4, first 2 shown]
	v_mul_f64 v[50:51], v[166:167], v[78:79]
	v_fma_f64 v[8:9], v[164:165], v[80:81], -v[50:51]
	v_mul_f64 v[50:51], v[176:177], v[76:77]
	buffer_load_dword v167, off, s[0:3], 0 offset:684
	buffer_load_dword v166, off, s[0:3], 0 offset:680
	;; [unrolled: 1-line block ×8, first 2 shown]
	v_fma_f64 v[6:7], v[174:175], v[178:179], -v[50:51]
	buffer_load_dword v164, off, s[0:3], 0 offset:728
	buffer_load_dword v177, off, s[0:3], 0 offset:716
	;; [unrolled: 1-line block ×8, first 2 shown]
	s_waitcnt vmcnt(58) lgkmcnt(2)
	v_mul_f64 v[52:53], v[38:39], v[124:125]
	s_waitcnt vmcnt(56)
	v_fmac_f64_e32 v[52:53], v[40:41], v[126:127]
	v_mul_f64 v[50:51], v[182:183], v[72:73]
	v_add_f64 v[2:3], v[2:3], v[52:53]
	v_fma_f64 v[180:181], v[180:181], v[98:99], -v[50:51]
	ds_read_b128 v[50:53], v206 offset:1296
	s_waitcnt lgkmcnt(2)
	v_mul_f64 v[54:55], v[42:43], v[238:239]
	v_fmac_f64_e32 v[54:55], v[44:45], v[242:243]
	v_add_f64 v[2:3], v[2:3], v[54:55]
	s_waitcnt vmcnt(50) lgkmcnt(1)
	v_mul_f64 v[54:55], v[46:47], v[128:129]
	s_waitcnt vmcnt(48)
	v_fmac_f64_e32 v[54:55], v[48:49], v[130:131]
	v_mul_f64 v[60:61], v[60:61], v[84:85]
	v_add_f64 v[2:3], v[2:3], v[54:55]
	v_fma_f64 v[182:183], v[58:59], v[86:87], -v[60:61]
	ds_read_b128 v[58:61], v206 offset:1328
	s_waitcnt lgkmcnt(1)
	v_mul_f64 v[54:55], v[50:51], v[246:247]
	v_fmac_f64_e32 v[54:55], v[52:53], v[250:251]
	v_add_f64 v[2:3], v[2:3], v[54:55]
	ds_read_b128 v[54:57], v206 offset:1312
	v_mul_f64 v[70:71], v[190:191], v[92:93]
	v_fma_f64 v[92:93], v[188:189], v[94:95], -v[70:71]
	ds_read_b128 v[70:73], v206 offset:1376
	v_mul_f64 v[80:81], v[194:195], v[132:133]
	v_fma_f64 v[4:5], v[192:193], v[134:135], -v[80:81]
	;; [unrolled: 3-line block ×4, first 2 shown]
	v_mul_f64 v[94:95], v[210:211], v[100:101]
	v_mul_f64 v[98:99], v[214:215], v[104:105]
	v_fma_f64 v[202:203], v[212:213], v[106:107], -v[98:99]
	ds_read_b128 v[98:101], v206 offset:1488
	ds_read_b128 v[14:17], v206 offset:1456
	s_waitcnt vmcnt(46) lgkmcnt(5)
	v_mul_f64 v[62:63], v[54:55], v[18:19]
	s_waitcnt vmcnt(44)
	v_fmac_f64_e32 v[62:63], v[56:57], v[138:139]
	v_add_f64 v[2:3], v[2:3], v[62:63]
	v_mul_f64 v[62:63], v[186:187], v[96:97]
	v_fma_f64 v[204:205], v[184:185], v[204:205], -v[62:63]
	ds_read_b128 v[62:65], v206 offset:1344
	s_waitcnt vmcnt(41)
	v_mul_f64 v[66:67], v[58:59], v[118:119]
	s_waitcnt vmcnt(40)
	v_fmac_f64_e32 v[66:67], v[60:61], v[136:137]
	v_add_f64 v[2:3], v[2:3], v[66:67]
	ds_read_b128 v[66:69], v206 offset:1360
	s_waitcnt vmcnt(37) lgkmcnt(1)
	v_mul_f64 v[78:79], v[62:63], v[144:145]
	s_waitcnt vmcnt(35)
	v_fmac_f64_e32 v[78:79], v[64:65], v[146:147]
	v_add_f64 v[2:3], v[2:3], v[78:79]
	s_waitcnt vmcnt(34) lgkmcnt(0)
	v_mul_f64 v[78:79], v[66:67], v[140:141]
	s_waitcnt vmcnt(32)
	v_fmac_f64_e32 v[78:79], v[68:69], v[148:149]
	v_add_f64 v[2:3], v[2:3], v[78:79]
	s_waitcnt vmcnt(29)
	v_mul_f64 v[78:79], v[70:71], v[152:153]
	s_waitcnt vmcnt(27)
	v_fmac_f64_e32 v[78:79], v[72:73], v[154:155]
	v_add_f64 v[2:3], v[2:3], v[78:79]
	s_waitcnt vmcnt(25)
	v_mul_f64 v[78:79], v[132:133], v[142:143]
	s_waitcnt vmcnt(24)
	v_fmac_f64_e32 v[78:79], v[134:135], v[150:151]
	v_add_f64 v[2:3], v[2:3], v[78:79]
	ds_read_b128 v[78:81], v206 offset:1408
	s_waitcnt vmcnt(17)
	v_mul_f64 v[0:1], v[82:83], v[160:161]
	s_waitcnt vmcnt(16)
	v_fmac_f64_e32 v[0:1], v[84:85], v[162:163]
	s_waitcnt lgkmcnt(0)
	v_mul_f64 v[86:87], v[78:79], v[156:157]
	v_fmac_f64_e32 v[86:87], v[80:81], v[158:159]
	v_add_f64 v[2:3], v[2:3], v[86:87]
	ds_read_b128 v[86:89], v206 offset:1440
	v_add_f64 v[74:75], v[2:3], v[0:1]
	v_fma_f64 v[0:1], v[208:209], v[102:103], -v[94:95]
	ds_read_b128 v[94:97], v206 offset:1472
	s_waitcnt vmcnt(14) lgkmcnt(1)
	v_mul_f64 v[2:3], v[86:87], v[166:167]
	s_waitcnt vmcnt(12)
	v_fmac_f64_e32 v[2:3], v[88:89], v[170:171]
	v_add_f64 v[2:3], v[74:75], v[2:3]
	s_waitcnt vmcnt(10)
	v_mul_f64 v[74:75], v[14:15], v[76:77]
	s_waitcnt vmcnt(8)
	v_fmac_f64_e32 v[74:75], v[16:17], v[172:173]
	v_add_f64 v[2:3], v[2:3], v[74:75]
	s_waitcnt vmcnt(5) lgkmcnt(0)
	v_mul_f64 v[74:75], v[94:95], v[176:177]
	s_waitcnt vmcnt(3)
	v_fmac_f64_e32 v[74:75], v[96:97], v[178:179]
	v_add_f64 v[2:3], v[2:3], v[74:75]
	s_waitcnt vmcnt(1)
	v_mul_f64 v[74:75], v[98:99], v[164:165]
	s_waitcnt vmcnt(0)
	v_fmac_f64_e32 v[74:75], v[100:101], v[174:175]
	v_add_f64 v[2:3], v[2:3], v[74:75]
	buffer_load_dword v75, off, s[0:3], 0 offset:748
	buffer_load_dword v74, off, s[0:3], 0 offset:744
	buffer_load_dword v111, off, s[0:3], 0 offset:740
	buffer_load_dword v110, off, s[0:3], 0 offset:736
	ds_read_b128 v[102:105], v206 offset:1504
	buffer_load_dword v184, off, s[0:3], 0 offset:760
	buffer_load_dword v185, off, s[0:3], 0 offset:764
	;; [unrolled: 1-line block ×4, first 2 shown]
	s_waitcnt vmcnt(6) lgkmcnt(0)
	v_mul_f64 v[106:107], v[102:103], v[74:75]
	s_waitcnt vmcnt(4)
	v_fmac_f64_e32 v[106:107], v[104:105], v[110:111]
	v_add_f64 v[2:3], v[2:3], v[106:107]
	ds_read_b128 v[106:109], v206 offset:1520
	s_waitcnt vmcnt(2) lgkmcnt(0)
	v_mul_f64 v[188:189], v[106:107], v[184:185]
	s_waitcnt vmcnt(0)
	v_fmac_f64_e32 v[188:189], v[108:109], v[186:187]
	v_add_f64 v[2:3], v[2:3], v[188:189]
	buffer_load_dword v189, off, s[0:3], 0 offset:780
	buffer_load_dword v188, off, s[0:3], 0 offset:776
	;; [unrolled: 1-line block ×4, first 2 shown]
	ds_read_b128 v[208:211], v206 offset:1536
	buffer_load_dword v194, off, s[0:3], 0 offset:792
	buffer_load_dword v195, off, s[0:3], 0 offset:796
	;; [unrolled: 1-line block ×4, first 2 shown]
	ds_read_b128 v[212:215], v206 offset:1552
	s_waitcnt vmcnt(6) lgkmcnt(1)
	v_mul_f64 v[192:193], v[208:209], v[188:189]
	s_waitcnt vmcnt(4)
	v_fmac_f64_e32 v[192:193], v[210:211], v[190:191]
	v_add_f64 v[2:3], v[2:3], v[192:193]
	s_waitcnt vmcnt(2) lgkmcnt(0)
	v_mul_f64 v[192:193], v[212:213], v[194:195]
	s_waitcnt vmcnt(0)
	v_fmac_f64_e32 v[192:193], v[214:215], v[196:197]
	v_add_f64 v[192:193], v[2:3], v[192:193]
	v_add_f64 v[2:3], v[12:13], 0
	;; [unrolled: 1-line block ×17, first 2 shown]
	buffer_load_dword v200, off, s[0:3], 0 offset:32
	buffer_load_dword v201, off, s[0:3], 0 offset:36
	;; [unrolled: 1-line block ×4, first 2 shown]
	v_add_f64 v[204:205], v[2:3], v[0:1]
	v_accvgpr_read_b32 v2, a148
	v_accvgpr_read_b32 v3, a149
	;; [unrolled: 1-line block ×3, first 2 shown]
	v_mul_f64 v[2:3], v[218:219], v[2:3]
	v_accvgpr_read_b32 v5, a151
	v_add_f64 v[0:1], v[204:205], v[202:203]
	v_fma_f64 v[2:3], v[216:217], v[4:5], -v[2:3]
	v_add_f64 v[0:1], v[0:1], v[2:3]
	v_mul_f64 v[2:3], v[222:223], v[236:237]
	v_fma_f64 v[2:3], v[220:221], v[240:241], -v[2:3]
	v_add_f64 v[0:1], v[0:1], v[2:3]
	v_accvgpr_read_b32 v2, a152
	v_accvgpr_read_b32 v3, a153
	v_accvgpr_read_b32 v4, a154
	v_mul_f64 v[2:3], v[226:227], v[2:3]
	v_accvgpr_read_b32 v5, a155
	v_fma_f64 v[2:3], v[224:225], v[4:5], -v[2:3]
	v_add_f64 v[0:1], v[0:1], v[2:3]
	v_mul_f64 v[2:3], v[230:231], v[244:245]
	v_fma_f64 v[2:3], v[228:229], v[248:249], -v[2:3]
	v_add_f64 v[0:1], v[0:1], v[2:3]
	v_accvgpr_read_b32 v2, a156
	v_accvgpr_read_b32 v3, a157
	v_accvgpr_read_b32 v4, a158
	v_mul_f64 v[2:3], v[234:235], v[2:3]
	v_accvgpr_read_b32 v5, a159
	;; [unrolled: 10-line block ×3, first 2 shown]
	v_fma_f64 v[2:3], v[26:27], v[4:5], -v[2:3]
	v_add_f64 v[0:1], v[0:1], v[2:3]
	v_mul_f64 v[2:3], v[32:33], v[120:121]
	v_fma_f64 v[2:3], v[30:31], v[122:123], -v[2:3]
	v_accvgpr_read_b32 v4, a164
	v_add_f64 v[0:1], v[0:1], v[2:3]
	v_mul_f64 v[2:3], v[36:37], v[20:21]
	v_accvgpr_read_b32 v5, a165
	v_fma_f64 v[2:3], v[34:35], v[4:5], -v[2:3]
	v_add_f64 v[0:1], v[0:1], v[2:3]
	v_mul_f64 v[2:3], v[40:41], v[124:125]
	v_fma_f64 v[2:3], v[38:39], v[126:127], -v[2:3]
	v_add_f64 v[0:1], v[0:1], v[2:3]
	v_mul_f64 v[2:3], v[44:45], v[238:239]
	;; [unrolled: 3-line block ×20, first 2 shown]
	v_fma_f64 v[2:3], v[212:213], v[196:197], -v[2:3]
	v_add_f64 v[0:1], v[0:1], v[2:3]
	s_waitcnt vmcnt(2)
	v_add_f64 v[0:1], v[200:201], -v[0:1]
	s_waitcnt vmcnt(0)
	v_add_f64 v[2:3], v[198:199], -v[192:193]
	buffer_store_dword v1, off, s[0:3], 0 offset:36
	buffer_store_dword v0, off, s[0:3], 0 offset:32
	;; [unrolled: 1-line block ×4, first 2 shown]
	v_accvgpr_read_b32 v0, a146
	v_cmp_ne_u32_e32 vcc, 0, v0
	s_and_saveexec_b64 s[4:5], vcc
	s_cbranch_execz .LBB112_307
; %bb.306:
	buffer_load_dword v0, off, s[0:3], 0 offset:16
	buffer_load_dword v1, off, s[0:3], 0 offset:20
	;; [unrolled: 1-line block ×4, first 2 shown]
	v_accvgpr_read_b32 v4, a147
	buffer_store_dword v206, off, s[0:3], 0 offset:16
	buffer_store_dword v206, off, s[0:3], 0 offset:20
	;; [unrolled: 1-line block ×4, first 2 shown]
	s_waitcnt vmcnt(4)
	ds_write_b128 v4, v[0:3]
.LBB112_307:
	s_or_b64 exec, exec, s[4:5]
	s_waitcnt lgkmcnt(0)
	; wave barrier
	s_waitcnt lgkmcnt(0)
	buffer_load_dword v46, off, s[0:3], 0 offset:32
	buffer_load_dword v47, off, s[0:3], 0 offset:36
	;; [unrolled: 1-line block ×42, first 2 shown]
	ds_read_b128 v[110:113], v206 offset:800
	ds_read_b128 v[132:135], v206 offset:816
	;; [unrolled: 1-line block ×10, first 2 shown]
	buffer_load_dword v115, off, s[0:3], 0 offset:180
	buffer_load_dword v114, off, s[0:3], 0 offset:176
	ds_read_b128 v[48:51], v206 offset:960
	buffer_load_dword v91, off, s[0:3], 0 offset:236
	buffer_load_dword v90, off, s[0:3], 0 offset:232
	;; [unrolled: 1-line block ×6, first 2 shown]
	s_and_b64 vcc, exec, s[16:17]
	s_waitcnt vmcnt(46) lgkmcnt(10)
	v_mul_f64 v[0:1], v[110:111], v[56:57]
	v_fmac_f64_e32 v[0:1], v[112:113], v[46:47]
	v_add_f64 v[0:1], v[0:1], 0
	v_mul_f64 v[56:57], v[112:113], v[56:57]
	s_waitcnt vmcnt(42) lgkmcnt(9)
	v_mul_f64 v[2:3], v[132:133], v[44:45]
	v_fmac_f64_e32 v[2:3], v[134:135], v[40:41]
	s_waitcnt vmcnt(40) lgkmcnt(8)
	v_mul_f64 v[4:5], v[136:137], v[42:43]
	v_add_f64 v[0:1], v[0:1], v[2:3]
	s_waitcnt vmcnt(38) lgkmcnt(6)
	v_mul_f64 v[8:9], v[146:147], v[60:61]
	v_mul_f64 v[44:45], v[134:135], v[44:45]
	s_waitcnt vmcnt(36)
	v_fmac_f64_e32 v[8:9], v[148:149], v[58:59]
	v_fma_f64 v[172:173], v[132:133], v[40:41], -v[44:45]
	s_waitcnt vmcnt(34)
	v_mul_f64 v[6:7], v[142:143], v[62:63]
	v_mul_f64 v[40:41], v[138:139], v[42:43]
	s_waitcnt vmcnt(32) lgkmcnt(4)
	v_mul_f64 v[12:13], v[158:159], v[64:65]
	v_mul_f64 v[44:45], v[144:145], v[62:63]
	s_waitcnt vmcnt(30)
	v_fmac_f64_e32 v[12:13], v[160:161], v[66:67]
	s_waitcnt vmcnt(28)
	v_mul_f64 v[10:11], v[154:155], v[68:69]
	s_waitcnt vmcnt(26) lgkmcnt(2)
	v_mul_f64 v[16:17], v[166:167], v[170:171]
	s_waitcnt vmcnt(23)
	v_mul_f64 v[14:15], v[162:163], v[76:77]
	s_waitcnt vmcnt(21) lgkmcnt(1)
	v_mul_f64 v[18:19], v[52:53], v[70:71]
	s_waitcnt vmcnt(19)
	v_fmac_f64_e32 v[4:5], v[138:139], v[84:85]
	v_add_f64 v[0:1], v[0:1], v[4:5]
	s_waitcnt vmcnt(17)
	v_fmac_f64_e32 v[6:7], v[144:145], v[82:83]
	v_add_f64 v[0:1], v[0:1], v[6:7]
	;; [unrolled: 3-line block ×3, first 2 shown]
	v_add_f64 v[0:1], v[0:1], v[10:11]
	s_waitcnt vmcnt(13)
	v_fmac_f64_e32 v[14:15], v[164:165], v[78:79]
	v_add_f64 v[0:1], v[0:1], v[12:13]
	s_waitcnt vmcnt(12)
	v_fmac_f64_e32 v[16:17], v[168:169], v[74:75]
	v_add_f64 v[0:1], v[0:1], v[14:15]
	v_add_f64 v[4:5], v[0:1], v[16:17]
	buffer_load_dword v119, off, s[0:3], 0 offset:212
	buffer_load_dword v118, off, s[0:3], 0 offset:208
	buffer_load_dword v109, off, s[0:3], 0 offset:268
	buffer_load_dword v108, off, s[0:3], 0 offset:264
	buffer_load_dword v213, off, s[0:3], 0 offset:260
	buffer_load_dword v212, off, s[0:3], 0 offset:256
	buffer_load_dword v215, off, s[0:3], 0 offset:252
	buffer_load_dword v214, off, s[0:3], 0 offset:248
	buffer_load_dword v1, off, s[0:3], 0 offset:244
	buffer_load_dword v0, off, s[0:3], 0 offset:240
	buffer_load_dword v101, off, s[0:3], 0 offset:300
	buffer_load_dword v100, off, s[0:3], 0 offset:296
	buffer_load_dword v105, off, s[0:3], 0 offset:292
	buffer_load_dword v104, off, s[0:3], 0 offset:288
	buffer_load_dword v3, off, s[0:3], 0 offset:284
	buffer_load_dword v2, off, s[0:3], 0 offset:280
	buffer_load_dword v73, off, s[0:3], 0 offset:276
	buffer_load_dword v72, off, s[0:3], 0 offset:272
	buffer_load_dword v97, off, s[0:3], 0 offset:332
	buffer_load_dword v96, off, s[0:3], 0 offset:328
	buffer_load_dword v99, off, s[0:3], 0 offset:324
	buffer_load_dword v98, off, s[0:3], 0 offset:320
	buffer_load_dword v103, off, s[0:3], 0 offset:316
	buffer_load_dword v102, off, s[0:3], 0 offset:312
	buffer_load_dword v107, off, s[0:3], 0 offset:308
	buffer_load_dword v106, off, s[0:3], 0 offset:304
	buffer_load_dword v7, off, s[0:3], 0 offset:364
	buffer_load_dword v6, off, s[0:3], 0 offset:360
	s_waitcnt vmcnt(34)
	v_fmac_f64_e32 v[18:19], v[54:55], v[114:115]
	v_add_f64 v[4:5], v[4:5], v[18:19]
	v_fma_f64 v[84:85], v[136:137], v[84:85], -v[40:41]
	s_waitcnt vmcnt(0)
	v_pk_mov_b32 v[16:17], v[6:7], v[6:7] op_sel:[0,1]
	buffer_load_dword v7, off, s[0:3], 0 offset:356
	buffer_load_dword v6, off, s[0:3], 0 offset:352
	v_accvgpr_write_b32 a149, v17
	v_accvgpr_write_b32 a148, v16
	s_waitcnt vmcnt(0)
	v_pk_mov_b32 v[20:21], v[6:7], v[6:7] op_sel:[0,1]
	buffer_load_dword v7, off, s[0:3], 0 offset:348
	buffer_load_dword v6, off, s[0:3], 0 offset:344
	v_accvgpr_write_b32 a151, v21
	v_accvgpr_write_b32 a150, v20
	s_waitcnt vmcnt(0)
	v_pk_mov_b32 v[12:13], v[6:7], v[6:7] op_sel:[0,1]
	buffer_load_dword v235, off, s[0:3], 0 offset:340
	buffer_load_dword v234, off, s[0:3], 0 offset:336
	buffer_load_dword v7, off, s[0:3], 0 offset:396
	buffer_load_dword v6, off, s[0:3], 0 offset:392
	v_accvgpr_write_b32 a147, v13
	v_accvgpr_write_b32 a146, v12
	s_waitcnt vmcnt(0)
	v_pk_mov_b32 v[24:25], v[6:7], v[6:7] op_sel:[0,1]
	buffer_load_dword v7, off, s[0:3], 0 offset:388
	buffer_load_dword v6, off, s[0:3], 0 offset:384
	v_accvgpr_write_b32 a153, v25
	v_accvgpr_write_b32 a152, v24
	s_waitcnt vmcnt(0)
	v_pk_mov_b32 v[26:27], v[6:7], v[6:7] op_sel:[0,1]
	buffer_load_dword v239, off, s[0:3], 0 offset:380
	buffer_load_dword v238, off, s[0:3], 0 offset:376
	buffer_load_dword v243, off, s[0:3], 0 offset:372
	buffer_load_dword v242, off, s[0:3], 0 offset:368
	buffer_load_dword v7, off, s[0:3], 0 offset:428
	buffer_load_dword v6, off, s[0:3], 0 offset:424
	v_accvgpr_write_b32 a155, v27
	v_accvgpr_write_b32 a154, v26
	s_waitcnt vmcnt(0)
	v_pk_mov_b32 v[32:33], v[6:7], v[6:7] op_sel:[0,1]
	buffer_load_dword v7, off, s[0:3], 0 offset:420
	buffer_load_dword v6, off, s[0:3], 0 offset:416
	v_accvgpr_write_b32 a157, v33
	v_accvgpr_write_b32 a156, v32
	s_waitcnt vmcnt(0)
	v_pk_mov_b32 v[34:35], v[6:7], v[6:7] op_sel:[0,1]
	buffer_load_dword v247, off, s[0:3], 0 offset:412
	buffer_load_dword v246, off, s[0:3], 0 offset:408
	;; [unrolled: 16-line block ×3, first 2 shown]
	buffer_load_dword v253, off, s[0:3], 0 offset:436
	buffer_load_dword v252, off, s[0:3], 0 offset:432
	;; [unrolled: 1-line block ×18, first 2 shown]
	ds_read_b128 v[178:181], v206 offset:976
	ds_read_b128 v[182:185], v206 offset:992
	;; [unrolled: 1-line block ×13, first 2 shown]
	s_waitcnt lgkmcnt(4)
	v_mul_f64 v[10:11], v[228:229], v[12:13]
	v_fmac_f64_e32 v[10:11], v[230:231], v[234:235]
	s_waitcnt lgkmcnt(3)
	v_mul_f64 v[14:15], v[224:225], v[16:17]
	v_fmac_f64_e32 v[14:15], v[226:227], v[20:21]
	;; [unrolled: 3-line block ×4, first 2 shown]
	v_accvgpr_write_b32 a163, v39
	v_accvgpr_write_b32 a162, v38
	s_waitcnt vmcnt(14)
	v_pk_mov_b32 v[150:151], v[6:7], v[6:7] op_sel:[0,1]
	v_mul_f64 v[6:7], v[48:49], v[86:87]
	v_fmac_f64_e32 v[6:7], v[50:51], v[88:89]
	v_add_f64 v[4:5], v[4:5], v[6:7]
	v_mul_f64 v[6:7], v[178:179], v[94:95]
	v_fmac_f64_e32 v[6:7], v[180:181], v[118:119]
	v_add_f64 v[4:5], v[4:5], v[6:7]
	;; [unrolled: 3-line block ×9, first 2 shown]
	v_add_f64 v[12:13], v[8:9], v[10:11]
	v_add_f64 v[16:17], v[12:13], v[14:15]
	;; [unrolled: 1-line block ×4, first 2 shown]
	ds_read_b128 v[20:23], v206 offset:1184
	s_waitcnt lgkmcnt(1)
	v_mul_f64 v[26:27], v[120:121], v[246:247]
	v_fmac_f64_e32 v[26:27], v[122:123], v[248:249]
	v_add_f64 v[28:29], v[24:25], v[26:27]
	ds_read_b128 v[24:27], v206 offset:1200
	s_waitcnt lgkmcnt(1)
	v_mul_f64 v[30:31], v[20:21], v[32:33]
	v_fmac_f64_e32 v[30:31], v[22:23], v[34:35]
	v_add_f64 v[32:33], v[28:29], v[30:31]
	;; [unrolled: 5-line block ×3, first 2 shown]
	ds_read_b128 v[32:35], v206 offset:1232
	s_waitcnt lgkmcnt(1)
	v_mul_f64 v[128:129], v[28:29], v[36:37]
	v_fmac_f64_e32 v[128:129], v[30:31], v[38:39]
	ds_read_b128 v[36:39], v206 offset:1248
	v_add_f64 v[126:127], v[126:127], v[128:129]
	s_waitcnt vmcnt(10) lgkmcnt(1)
	v_mul_f64 v[128:129], v[32:33], v[254:255]
	s_waitcnt vmcnt(8)
	v_fmac_f64_e32 v[128:129], v[34:35], v[232:233]
	v_add_f64 v[130:131], v[126:127], v[128:129]
	buffer_load_dword v127, off, s[0:3], 0 offset:540
	buffer_load_dword v126, off, s[0:3], 0 offset:536
	;; [unrolled: 1-line block ×4, first 2 shown]
	s_waitcnt lgkmcnt(0)
	v_mul_f64 v[140:141], v[36:37], v[150:151]
	v_fmac_f64_e32 v[140:141], v[38:39], v[236:237]
	v_add_f64 v[6:7], v[130:131], v[140:141]
	buffer_load_dword v130, off, s[0:3], 0 offset:552
	buffer_load_dword v134, off, s[0:3], 0 offset:544
	;; [unrolled: 1-line block ×12, first 2 shown]
	v_fma_f64 v[16:17], v[110:111], v[46:47], -v[56:57]
	ds_read_b128 v[40:43], v206 offset:1264
	v_fma_f64 v[110:111], v[142:143], v[82:83], -v[44:45]
	v_mul_f64 v[44:45], v[148:149], v[60:61]
	buffer_load_dword v143, off, s[0:3], 0 offset:604
	buffer_load_dword v142, off, s[0:3], 0 offset:600
	;; [unrolled: 1-line block ×4, first 2 shown]
	v_fma_f64 v[12:13], v[146:147], v[58:59], -v[44:45]
	buffer_load_dword v146, off, s[0:3], 0 offset:616
	v_accvgpr_write_b32 a165, v151
	v_accvgpr_write_b32 a164, v150
	buffer_load_dword v148, off, s[0:3], 0 offset:608
	buffer_load_dword v147, off, s[0:3], 0 offset:620
	;; [unrolled: 1-line block ×7, first 2 shown]
	v_mul_f64 v[44:45], v[160:161], v[64:65]
	v_mul_f64 v[10:11], v[156:157], v[68:69]
	v_fma_f64 v[8:9], v[158:159], v[66:67], -v[44:45]
	buffer_load_dword v156, off, s[0:3], 0 offset:648
	buffer_load_dword v158, off, s[0:3], 0 offset:640
	;; [unrolled: 1-line block ×4, first 2 shown]
	v_mul_f64 v[14:15], v[164:165], v[76:77]
	v_fma_f64 v[10:11], v[154:155], v[80:81], -v[10:11]
	v_fma_f64 v[14:15], v[162:163], v[78:79], -v[14:15]
	buffer_load_dword v155, off, s[0:3], 0 offset:684
	buffer_load_dword v161, off, s[0:3], 0 offset:668
	buffer_load_dword v160, off, s[0:3], 0 offset:664
	buffer_load_dword v165, off, s[0:3], 0 offset:660
	buffer_load_dword v164, off, s[0:3], 0 offset:656
	buffer_load_dword v154, off, s[0:3], 0 offset:680
	buffer_load_dword v163, off, s[0:3], 0 offset:676
	buffer_load_dword v162, off, s[0:3], 0 offset:672
	v_mul_f64 v[44:45], v[168:169], v[170:171]
	v_fma_f64 v[4:5], v[166:167], v[74:75], -v[44:45]
	buffer_load_dword v167, off, s[0:3], 0 offset:700
	buffer_load_dword v166, off, s[0:3], 0 offset:696
	;; [unrolled: 1-line block ×4, first 2 shown]
	ds_read_b128 v[44:47], v206 offset:1280
	buffer_load_dword v170, off, s[0:3], 0 offset:712
	buffer_load_dword v74, off, s[0:3], 0 offset:704
	;; [unrolled: 1-line block ×8, first 2 shown]
	v_mul_f64 v[50:51], v[50:51], v[86:87]
	v_fma_f64 v[86:87], v[48:49], v[88:89], -v[50:51]
	ds_read_b128 v[48:51], v206 offset:1296
	s_waitcnt vmcnt(54) lgkmcnt(2)
	v_mul_f64 v[56:57], v[40:41], v[116:117]
	v_mul_f64 v[18:19], v[54:55], v[70:71]
	s_waitcnt vmcnt(52)
	v_fmac_f64_e32 v[56:57], v[42:43], v[124:125]
	v_fma_f64 v[18:19], v[52:53], v[114:115], -v[18:19]
	s_waitcnt lgkmcnt(1)
	v_mul_f64 v[52:53], v[44:45], v[240:241]
	v_add_f64 v[6:7], v[6:7], v[56:57]
	v_fmac_f64_e32 v[52:53], v[46:47], v[244:245]
	v_mul_f64 v[56:57], v[180:181], v[94:95]
	v_add_f64 v[6:7], v[6:7], v[52:53]
	v_fma_f64 v[118:119], v[178:179], v[118:119], -v[56:57]
	ds_read_b128 v[56:59], v206 offset:1328
	v_mul_f64 v[60:61], v[184:185], v[90:91]
	v_fma_f64 v[178:179], v[182:183], v[92:93], -v[60:61]
	v_mul_f64 v[68:69], v[188:189], v[214:215]
	v_fma_f64 v[0:1], v[186:187], v[0:1], -v[68:69]
	v_mul_f64 v[78:79], v[192:193], v[108:109]
	v_fma_f64 v[108:109], v[190:191], v[212:213], -v[78:79]
	ds_read_b128 v[212:215], v206 offset:1392
	ds_read_b128 v[80:83], v206 offset:1424
	;; [unrolled: 1-line block ×3, first 2 shown]
	v_mul_f64 v[88:89], v[200:201], v[100:101]
	v_mul_f64 v[2:3], v[196:197], v[2:3]
	v_fma_f64 v[190:191], v[198:199], v[104:105], -v[88:89]
	v_fma_f64 v[2:3], v[194:195], v[72:73], -v[2:3]
	ds_read_b128 v[88:91], v206 offset:1456
	ds_read_b128 v[92:95], v206 offset:1472
	v_add_f64 v[16:17], v[16:17], 0
	v_add_f64 v[16:17], v[16:17], v[172:173]
	v_add_f64 v[16:17], v[16:17], v[84:85]
	v_add_f64 v[16:17], v[16:17], v[110:111]
	ds_read_b128 v[68:71], v206 offset:1376
	v_add_f64 v[12:13], v[16:17], v[12:13]
	v_add_f64 v[10:11], v[12:13], v[10:11]
	;; [unrolled: 1-line block ×10, first 2 shown]
	ds_read_b128 v[196:199], v206 offset:1440
	v_add_f64 v[0:1], v[0:1], v[108:109]
	v_add_f64 v[0:1], v[0:1], v[2:3]
	v_accvgpr_read_b32 v8, a146
	s_waitcnt vmcnt(50) lgkmcnt(8)
	v_mul_f64 v[52:53], v[48:49], v[126:127]
	v_accvgpr_read_b32 v9, a147
	s_waitcnt vmcnt(48)
	v_fmac_f64_e32 v[52:53], v[50:51], v[128:129]
	v_add_f64 v[6:7], v[6:7], v[52:53]
	ds_read_b128 v[52:55], v206 offset:1312
	v_mul_f64 v[8:9], v[230:231], v[8:9]
	v_fma_f64 v[8:9], v[228:229], v[234:235], -v[8:9]
	v_accvgpr_read_b32 v10, a150
	v_accvgpr_read_b32 v11, a151
	s_waitcnt vmcnt(45) lgkmcnt(0)
	v_mul_f64 v[64:65], v[52:53], v[130:131]
	s_waitcnt vmcnt(44)
	v_fmac_f64_e32 v[64:65], v[54:55], v[134:135]
	v_add_f64 v[6:7], v[6:7], v[64:65]
	s_waitcnt vmcnt(41)
	v_mul_f64 v[64:65], v[56:57], v[136:137]
	s_waitcnt vmcnt(39)
	v_fmac_f64_e32 v[64:65], v[58:59], v[140:141]
	v_add_f64 v[6:7], v[6:7], v[64:65]
	s_waitcnt vmcnt(38)
	v_mul_f64 v[64:65], v[60:61], v[132:133]
	s_waitcnt vmcnt(36)
	v_fmac_f64_e32 v[64:65], v[62:63], v[138:139]
	v_add_f64 v[6:7], v[6:7], v[64:65]
	ds_read_b128 v[64:67], v206 offset:1360
	s_waitcnt vmcnt(34) lgkmcnt(0)
	v_mul_f64 v[76:77], v[64:65], v[142:143]
	s_waitcnt vmcnt(32)
	v_fmac_f64_e32 v[76:77], v[66:67], v[144:145]
	v_add_f64 v[6:7], v[6:7], v[76:77]
	s_waitcnt vmcnt(29)
	v_mul_f64 v[76:77], v[68:69], v[146:147]
	s_waitcnt vmcnt(28)
	v_fmac_f64_e32 v[76:77], v[70:71], v[148:149]
	v_add_f64 v[6:7], v[6:7], v[76:77]
	s_waitcnt vmcnt(26)
	v_mul_f64 v[76:77], v[212:213], v[150:151]
	s_waitcnt vmcnt(24)
	v_fmac_f64_e32 v[76:77], v[214:215], v[152:153]
	v_add_f64 v[6:7], v[6:7], v[76:77]
	ds_read_b128 v[76:79], v206 offset:1408
	s_waitcnt vmcnt(21) lgkmcnt(0)
	v_mul_f64 v[72:73], v[76:77], v[156:157]
	s_waitcnt vmcnt(20)
	v_fmac_f64_e32 v[72:73], v[78:79], v[158:159]
	v_add_f64 v[6:7], v[6:7], v[72:73]
	s_waitcnt vmcnt(17)
	v_mul_f64 v[72:73], v[80:81], v[160:161]
	s_waitcnt vmcnt(15)
	v_fmac_f64_e32 v[72:73], v[82:83], v[164:165]
	v_add_f64 v[6:7], v[6:7], v[72:73]
	s_waitcnt vmcnt(14)
	v_mul_f64 v[72:73], v[196:197], v[154:155]
	s_waitcnt vmcnt(12)
	v_fmac_f64_e32 v[72:73], v[198:199], v[162:163]
	v_add_f64 v[6:7], v[6:7], v[72:73]
	v_mul_f64 v[72:73], v[204:205], v[102:103]
	v_fma_f64 v[200:201], v[202:203], v[106:107], -v[72:73]
	s_waitcnt vmcnt(10)
	v_mul_f64 v[72:73], v[88:89], v[166:167]
	s_waitcnt vmcnt(8)
	v_fmac_f64_e32 v[72:73], v[90:91], v[168:169]
	v_add_f64 v[6:7], v[6:7], v[72:73]
	v_mul_f64 v[72:73], v[210:211], v[96:97]
	v_fma_f64 v[202:203], v[208:209], v[98:99], -v[72:73]
	s_waitcnt vmcnt(5)
	v_mul_f64 v[72:73], v[92:93], v[170:171]
	s_waitcnt vmcnt(4)
	v_fmac_f64_e32 v[72:73], v[94:95], v[74:75]
	v_add_f64 v[72:73], v[6:7], v[72:73]
	buffer_load_dword v6, off, s[0:3], 0 offset:744
	ds_read_b128 v[96:99], v206 offset:1488
	buffer_load_dword v180, off, s[0:3], 0 offset:736
	buffer_load_dword v7, off, s[0:3], 0 offset:748
	;; [unrolled: 1-line block ×3, first 2 shown]
	s_waitcnt vmcnt(6) lgkmcnt(0)
	v_mul_f64 v[100:101], v[96:97], v[174:175]
	s_waitcnt vmcnt(4)
	v_fmac_f64_e32 v[100:101], v[98:99], v[176:177]
	v_add_f64 v[72:73], v[72:73], v[100:101]
	ds_read_b128 v[100:103], v206 offset:1504
	buffer_load_dword v183, off, s[0:3], 0 offset:764
	buffer_load_dword v182, off, s[0:3], 0 offset:760
	;; [unrolled: 1-line block ×4, first 2 shown]
	s_waitcnt vmcnt(5) lgkmcnt(0)
	v_mul_f64 v[104:105], v[100:101], v[6:7]
	s_waitcnt vmcnt(4)
	v_fmac_f64_e32 v[104:105], v[102:103], v[180:181]
	v_add_f64 v[72:73], v[72:73], v[104:105]
	ds_read_b128 v[104:107], v206 offset:1520
	buffer_load_dword v186, off, s[0:3], 0 offset:776
	buffer_load_dword v187, off, s[0:3], 0 offset:780
	;; [unrolled: 1-line block ×4, first 2 shown]
	ds_read_b128 v[208:211], v206 offset:1536
	buffer_load_dword v193, off, s[0:3], 0 offset:796
	buffer_load_dword v192, off, s[0:3], 0 offset:792
	;; [unrolled: 1-line block ×4, first 2 shown]
	v_mul_f64 v[6:7], v[102:103], v[6:7]
	s_waitcnt vmcnt(10) lgkmcnt(1)
	v_mul_f64 v[112:113], v[104:105], v[182:183]
	s_waitcnt vmcnt(8)
	v_fmac_f64_e32 v[112:113], v[106:107], v[184:185]
	v_add_f64 v[72:73], v[72:73], v[112:113]
	v_fma_f64 v[6:7], v[100:101], v[180:181], -v[6:7]
	s_waitcnt vmcnt(6) lgkmcnt(0)
	v_mul_f64 v[112:113], v[208:209], v[186:187]
	s_waitcnt vmcnt(4)
	v_fmac_f64_e32 v[112:113], v[210:211], v[188:189]
	v_add_f64 v[72:73], v[72:73], v[112:113]
	ds_read_b128 v[112:115], v206 offset:1552
	buffer_load_dword v2, off, s[0:3], 0 offset:16
	buffer_load_dword v3, off, s[0:3], 0 offset:20
	s_waitcnt vmcnt(4) lgkmcnt(0)
	v_mul_f64 v[204:205], v[112:113], v[192:193]
	s_waitcnt vmcnt(2)
	v_fmac_f64_e32 v[204:205], v[114:115], v[194:195]
	v_add_f64 v[72:73], v[72:73], v[204:205]
	v_add_f64 v[204:205], v[0:1], v[190:191]
	buffer_load_dword v0, off, s[0:3], 0 offset:24
	buffer_load_dword v1, off, s[0:3], 0 offset:28
	v_add_f64 v[4:5], v[204:205], v[200:201]
	v_add_f64 v[4:5], v[4:5], v[202:203]
	;; [unrolled: 1-line block ×3, first 2 shown]
	v_accvgpr_read_b32 v8, a148
	v_accvgpr_read_b32 v9, a149
	v_mul_f64 v[8:9], v[226:227], v[8:9]
	v_fma_f64 v[8:9], v[224:225], v[10:11], -v[8:9]
	v_add_f64 v[4:5], v[4:5], v[8:9]
	v_mul_f64 v[8:9], v[222:223], v[238:239]
	v_fma_f64 v[8:9], v[220:221], v[242:243], -v[8:9]
	v_add_f64 v[4:5], v[4:5], v[8:9]
	v_accvgpr_read_b32 v8, a152
	v_accvgpr_read_b32 v9, a153
	v_accvgpr_read_b32 v10, a154
	v_mul_f64 v[8:9], v[218:219], v[8:9]
	v_accvgpr_read_b32 v11, a155
	v_fma_f64 v[8:9], v[216:217], v[10:11], -v[8:9]
	v_add_f64 v[4:5], v[4:5], v[8:9]
	v_mul_f64 v[8:9], v[122:123], v[246:247]
	v_fma_f64 v[8:9], v[120:121], v[248:249], -v[8:9]
	v_add_f64 v[4:5], v[4:5], v[8:9]
	v_accvgpr_read_b32 v8, a156
	v_accvgpr_read_b32 v9, a157
	v_accvgpr_read_b32 v10, a158
	v_mul_f64 v[8:9], v[22:23], v[8:9]
	v_accvgpr_read_b32 v11, a159
	;; [unrolled: 10-line block ×3, first 2 shown]
	v_fma_f64 v[8:9], v[28:29], v[10:11], -v[8:9]
	v_add_f64 v[4:5], v[4:5], v[8:9]
	v_mul_f64 v[8:9], v[34:35], v[254:255]
	v_fma_f64 v[8:9], v[32:33], v[232:233], -v[8:9]
	v_add_f64 v[4:5], v[4:5], v[8:9]
	v_accvgpr_read_b32 v8, a164
	v_accvgpr_read_b32 v9, a165
	v_mul_f64 v[8:9], v[38:39], v[8:9]
	v_fma_f64 v[8:9], v[36:37], v[236:237], -v[8:9]
	v_add_f64 v[4:5], v[4:5], v[8:9]
	v_mul_f64 v[8:9], v[42:43], v[116:117]
	v_fma_f64 v[8:9], v[40:41], v[124:125], -v[8:9]
	v_add_f64 v[4:5], v[4:5], v[8:9]
	v_mul_f64 v[8:9], v[46:47], v[240:241]
	v_fma_f64 v[8:9], v[44:45], v[244:245], -v[8:9]
	v_add_f64 v[4:5], v[4:5], v[8:9]
	v_mul_f64 v[8:9], v[50:51], v[126:127]
	v_fma_f64 v[8:9], v[48:49], v[128:129], -v[8:9]
	v_add_f64 v[4:5], v[4:5], v[8:9]
	v_mul_f64 v[8:9], v[54:55], v[130:131]
	v_fma_f64 v[8:9], v[52:53], v[134:135], -v[8:9]
	v_add_f64 v[4:5], v[4:5], v[8:9]
	v_mul_f64 v[8:9], v[58:59], v[136:137]
	v_fma_f64 v[8:9], v[56:57], v[140:141], -v[8:9]
	v_add_f64 v[4:5], v[4:5], v[8:9]
	v_mul_f64 v[8:9], v[62:63], v[132:133]
	v_fma_f64 v[8:9], v[60:61], v[138:139], -v[8:9]
	v_add_f64 v[4:5], v[4:5], v[8:9]
	v_mul_f64 v[8:9], v[66:67], v[142:143]
	v_fma_f64 v[8:9], v[64:65], v[144:145], -v[8:9]
	v_add_f64 v[4:5], v[4:5], v[8:9]
	v_mul_f64 v[8:9], v[70:71], v[146:147]
	v_fma_f64 v[8:9], v[68:69], v[148:149], -v[8:9]
	v_add_f64 v[4:5], v[4:5], v[8:9]
	v_mul_f64 v[8:9], v[214:215], v[150:151]
	v_fma_f64 v[8:9], v[212:213], v[152:153], -v[8:9]
	v_add_f64 v[4:5], v[4:5], v[8:9]
	v_mul_f64 v[8:9], v[78:79], v[156:157]
	v_fma_f64 v[8:9], v[76:77], v[158:159], -v[8:9]
	v_add_f64 v[4:5], v[4:5], v[8:9]
	v_mul_f64 v[8:9], v[82:83], v[160:161]
	v_fma_f64 v[8:9], v[80:81], v[164:165], -v[8:9]
	v_add_f64 v[4:5], v[4:5], v[8:9]
	v_mul_f64 v[8:9], v[198:199], v[154:155]
	v_fma_f64 v[8:9], v[196:197], v[162:163], -v[8:9]
	v_add_f64 v[4:5], v[4:5], v[8:9]
	v_mul_f64 v[8:9], v[90:91], v[166:167]
	v_fma_f64 v[8:9], v[88:89], v[168:169], -v[8:9]
	v_add_f64 v[4:5], v[4:5], v[8:9]
	v_mul_f64 v[8:9], v[94:95], v[170:171]
	v_fma_f64 v[8:9], v[92:93], v[74:75], -v[8:9]
	v_add_f64 v[4:5], v[4:5], v[8:9]
	v_mul_f64 v[8:9], v[98:99], v[174:175]
	v_fma_f64 v[8:9], v[96:97], v[176:177], -v[8:9]
	v_add_f64 v[4:5], v[4:5], v[8:9]
	v_add_f64 v[4:5], v[4:5], v[6:7]
	v_mul_f64 v[6:7], v[106:107], v[182:183]
	v_fma_f64 v[6:7], v[104:105], v[184:185], -v[6:7]
	v_add_f64 v[4:5], v[4:5], v[6:7]
	v_mul_f64 v[6:7], v[210:211], v[186:187]
	v_fma_f64 v[6:7], v[208:209], v[188:189], -v[6:7]
	;; [unrolled: 3-line block ×3, first 2 shown]
	v_add_f64 v[4:5], v[4:5], v[6:7]
	s_waitcnt vmcnt(2)
	v_add_f64 v[2:3], v[2:3], -v[4:5]
	s_waitcnt vmcnt(0)
	v_add_f64 v[0:1], v[0:1], -v[72:73]
	buffer_store_dword v3, off, s[0:3], 0 offset:20
	buffer_store_dword v2, off, s[0:3], 0 offset:16
	;; [unrolled: 1-line block ×4, first 2 shown]
	s_cbranch_vccz .LBB112_405
; %bb.308:
	v_pk_mov_b32 v[0:1], s[10:11], s[10:11] op_sel:[0,1]
	flat_load_dword v0, v[0:1] offset:188
	s_waitcnt vmcnt(0) lgkmcnt(0)
	v_add_u32_e32 v0, -1, v0
	v_cmp_ne_u32_e32 vcc, 47, v0
	s_and_saveexec_b64 s[4:5], vcc
	s_cbranch_execz .LBB112_310
; %bb.309:
	v_mov_b32_e32 v1, 16
	v_accvgpr_read_b32 v9, a99
	v_lshl_add_u32 v0, v0, 4, v1
	buffer_load_dword v1, v9, s[0:3], 0 offen offset:4
	buffer_load_dword v2, v9, s[0:3], 0 offen offset:8
	buffer_load_dword v3, v9, s[0:3], 0 offen offset:12
	buffer_load_dword v4, v0, s[0:3], 0 offen
	buffer_load_dword v5, v0, s[0:3], 0 offen offset:4
	buffer_load_dword v6, v0, s[0:3], 0 offen offset:8
	buffer_load_dword v7, v0, s[0:3], 0 offen offset:12
	buffer_load_dword v8, v9, s[0:3], 0 offen
	s_waitcnt vmcnt(4)
	buffer_store_dword v4, v9, s[0:3], 0 offen
	s_waitcnt vmcnt(4)
	buffer_store_dword v5, v9, s[0:3], 0 offen offset:4
	s_waitcnt vmcnt(4)
	buffer_store_dword v6, v9, s[0:3], 0 offen offset:8
	s_waitcnt vmcnt(4)
	buffer_store_dword v7, v9, s[0:3], 0 offen offset:12
	buffer_store_dword v3, v0, s[0:3], 0 offen offset:12
	buffer_store_dword v2, v0, s[0:3], 0 offen offset:8
	buffer_store_dword v1, v0, s[0:3], 0 offen offset:4
	s_waitcnt vmcnt(7)
	buffer_store_dword v8, v0, s[0:3], 0 offen
.LBB112_310:
	s_or_b64 exec, exec, s[4:5]
	v_pk_mov_b32 v[0:1], s[10:11], s[10:11] op_sel:[0,1]
	flat_load_dword v0, v[0:1] offset:184
	s_waitcnt vmcnt(0) lgkmcnt(0)
	v_add_u32_e32 v0, -1, v0
	v_cmp_ne_u32_e32 vcc, 46, v0
	s_and_saveexec_b64 s[4:5], vcc
	s_cbranch_execz .LBB112_312
; %bb.311:
	v_mov_b32_e32 v1, 16
	v_accvgpr_read_b32 v9, a100
	v_lshl_add_u32 v0, v0, 4, v1
	buffer_load_dword v1, v9, s[0:3], 0 offen offset:4
	buffer_load_dword v2, v9, s[0:3], 0 offen offset:8
	buffer_load_dword v3, v9, s[0:3], 0 offen offset:12
	buffer_load_dword v4, v0, s[0:3], 0 offen
	buffer_load_dword v5, v0, s[0:3], 0 offen offset:4
	buffer_load_dword v6, v0, s[0:3], 0 offen offset:8
	buffer_load_dword v7, v0, s[0:3], 0 offen offset:12
	buffer_load_dword v8, v9, s[0:3], 0 offen
	s_waitcnt vmcnt(4)
	buffer_store_dword v4, v9, s[0:3], 0 offen
	s_waitcnt vmcnt(4)
	buffer_store_dword v5, v9, s[0:3], 0 offen offset:4
	s_waitcnt vmcnt(4)
	buffer_store_dword v6, v9, s[0:3], 0 offen offset:8
	s_waitcnt vmcnt(4)
	buffer_store_dword v7, v9, s[0:3], 0 offen offset:12
	buffer_store_dword v3, v0, s[0:3], 0 offen offset:12
	buffer_store_dword v2, v0, s[0:3], 0 offen offset:8
	buffer_store_dword v1, v0, s[0:3], 0 offen offset:4
	s_waitcnt vmcnt(7)
	buffer_store_dword v8, v0, s[0:3], 0 offen
.LBB112_312:
	s_or_b64 exec, exec, s[4:5]
	;; [unrolled: 34-line block ×47, first 2 shown]
	v_pk_mov_b32 v[0:1], s[10:11], s[10:11] op_sel:[0,1]
	flat_load_dword v0, v[0:1]
	s_waitcnt vmcnt(0) lgkmcnt(0)
	v_add_u32_e32 v0, -1, v0
	v_cmp_ne_u32_e32 vcc, 0, v0
	s_and_saveexec_b64 s[4:5], vcc
	s_cbranch_execz .LBB112_404
; %bb.403:
	v_mov_b32_e32 v1, 16
	v_lshl_add_u32 v0, v0, 4, v1
	buffer_load_dword v1, v0, s[0:3], 0 offen
	buffer_load_dword v2, v0, s[0:3], 0 offen offset:4
	buffer_load_dword v3, v0, s[0:3], 0 offen offset:8
	;; [unrolled: 1-line block ×3, first 2 shown]
	buffer_load_dword v5, off, s[0:3], 0 offset:28
	buffer_load_dword v6, off, s[0:3], 0 offset:24
	;; [unrolled: 1-line block ×4, first 2 shown]
	s_waitcnt vmcnt(7)
	buffer_store_dword v1, off, s[0:3], 0 offset:16
	s_waitcnt vmcnt(7)
	buffer_store_dword v2, off, s[0:3], 0 offset:20
	;; [unrolled: 2-line block ×4, first 2 shown]
	s_waitcnt vmcnt(7)
	buffer_store_dword v5, v0, s[0:3], 0 offen offset:12
	s_waitcnt vmcnt(7)
	buffer_store_dword v6, v0, s[0:3], 0 offen offset:8
	;; [unrolled: 2-line block ×3, first 2 shown]
	s_waitcnt vmcnt(7)
	buffer_store_dword v8, v0, s[0:3], 0 offen
.LBB112_404:
	s_or_b64 exec, exec, s[4:5]
.LBB112_405:
	buffer_load_dword v0, off, s[0:3], 0 offset:16
	buffer_load_dword v1, off, s[0:3], 0 offset:20
	;; [unrolled: 1-line block ×4, first 2 shown]
	v_accvgpr_read_b32 v5, a1
	v_accvgpr_read_b32 v4, a0
	s_waitcnt vmcnt(0)
	global_store_dwordx4 v[4:5], v[0:3], off
	s_nop 0
	v_accvgpr_read_b32 v3, a145
	buffer_load_dword v0, v3, s[0:3], 0 offen
	buffer_load_dword v1, v3, s[0:3], 0 offen offset:4
	buffer_load_dword v2, v3, s[0:3], 0 offen offset:8
	s_nop 0
	buffer_load_dword v3, v3, s[0:3], 0 offen offset:12
	v_accvgpr_read_b32 v5, a3
	v_accvgpr_read_b32 v4, a2
	s_waitcnt vmcnt(0)
	global_store_dwordx4 v[4:5], v[0:3], off
	s_nop 0
	v_accvgpr_read_b32 v3, a144
	buffer_load_dword v0, v3, s[0:3], 0 offen
	buffer_load_dword v1, v3, s[0:3], 0 offen offset:4
	buffer_load_dword v2, v3, s[0:3], 0 offen offset:8
	s_nop 0
	buffer_load_dword v3, v3, s[0:3], 0 offen offset:12
	;; [unrolled: 11-line block ×7, first 2 shown]
	v_accvgpr_read_b32 v4, a8
	v_accvgpr_read_b32 v5, a9
	s_waitcnt vmcnt(0)
	global_store_dwordx4 v[4:5], v[0:3], off
	v_accvgpr_read_b32 v4, a138
	buffer_load_dword v0, v4, s[0:3], 0 offen
	buffer_load_dword v1, v4, s[0:3], 0 offen offset:4
	buffer_load_dword v2, v4, s[0:3], 0 offen offset:8
	buffer_load_dword v3, v4, s[0:3], 0 offen offset:12
	v_accvgpr_read_b32 v4, a16
	v_accvgpr_read_b32 v5, a17
	s_waitcnt vmcnt(0)
	global_store_dwordx4 v[4:5], v[0:3], off
	v_accvgpr_read_b32 v4, a137
	buffer_load_dword v0, v4, s[0:3], 0 offen
	buffer_load_dword v1, v4, s[0:3], 0 offen offset:4
	buffer_load_dword v2, v4, s[0:3], 0 offen offset:8
	buffer_load_dword v3, v4, s[0:3], 0 offen offset:12
	;; [unrolled: 9-line block ×41, first 2 shown]
	v_accvgpr_read_b32 v4, a58
	v_accvgpr_read_b32 v5, a59
	s_waitcnt vmcnt(0)
	global_store_dwordx4 v[4:5], v[0:3], off
	s_endpgm
	.section	.rodata,"a",@progbits
	.p2align	6, 0x0
	.amdhsa_kernel _ZN9rocsolver6v33100L18getri_kernel_smallILi49E19rocblas_complex_numIdEPKPS3_EEvT1_iilPiilS8_bb
		.amdhsa_group_segment_fixed_size 1576
		.amdhsa_private_segment_fixed_size 816
		.amdhsa_kernarg_size 60
		.amdhsa_user_sgpr_count 8
		.amdhsa_user_sgpr_private_segment_buffer 1
		.amdhsa_user_sgpr_dispatch_ptr 0
		.amdhsa_user_sgpr_queue_ptr 0
		.amdhsa_user_sgpr_kernarg_segment_ptr 1
		.amdhsa_user_sgpr_dispatch_id 0
		.amdhsa_user_sgpr_flat_scratch_init 1
		.amdhsa_user_sgpr_kernarg_preload_length 0
		.amdhsa_user_sgpr_kernarg_preload_offset 0
		.amdhsa_user_sgpr_private_segment_size 0
		.amdhsa_uses_dynamic_stack 0
		.amdhsa_system_sgpr_private_segment_wavefront_offset 1
		.amdhsa_system_sgpr_workgroup_id_x 1
		.amdhsa_system_sgpr_workgroup_id_y 0
		.amdhsa_system_sgpr_workgroup_id_z 0
		.amdhsa_system_sgpr_workgroup_info 0
		.amdhsa_system_vgpr_workitem_id 0
		.amdhsa_next_free_vgpr 422
		.amdhsa_next_free_sgpr 22
		.amdhsa_accum_offset 256
		.amdhsa_reserve_vcc 1
		.amdhsa_reserve_flat_scratch 1
		.amdhsa_float_round_mode_32 0
		.amdhsa_float_round_mode_16_64 0
		.amdhsa_float_denorm_mode_32 3
		.amdhsa_float_denorm_mode_16_64 3
		.amdhsa_dx10_clamp 1
		.amdhsa_ieee_mode 1
		.amdhsa_fp16_overflow 0
		.amdhsa_tg_split 0
		.amdhsa_exception_fp_ieee_invalid_op 0
		.amdhsa_exception_fp_denorm_src 0
		.amdhsa_exception_fp_ieee_div_zero 0
		.amdhsa_exception_fp_ieee_overflow 0
		.amdhsa_exception_fp_ieee_underflow 0
		.amdhsa_exception_fp_ieee_inexact 0
		.amdhsa_exception_int_div_zero 0
	.end_amdhsa_kernel
	.section	.text._ZN9rocsolver6v33100L18getri_kernel_smallILi49E19rocblas_complex_numIdEPKPS3_EEvT1_iilPiilS8_bb,"axG",@progbits,_ZN9rocsolver6v33100L18getri_kernel_smallILi49E19rocblas_complex_numIdEPKPS3_EEvT1_iilPiilS8_bb,comdat
.Lfunc_end112:
	.size	_ZN9rocsolver6v33100L18getri_kernel_smallILi49E19rocblas_complex_numIdEPKPS3_EEvT1_iilPiilS8_bb, .Lfunc_end112-_ZN9rocsolver6v33100L18getri_kernel_smallILi49E19rocblas_complex_numIdEPKPS3_EEvT1_iilPiilS8_bb
                                        ; -- End function
	.section	.AMDGPU.csdata,"",@progbits
; Kernel info:
; codeLenInByte = 152524
; NumSgprs: 28
; NumVgprs: 256
; NumAgprs: 166
; TotalNumVgprs: 422
; ScratchSize: 816
; MemoryBound: 0
; FloatMode: 240
; IeeeMode: 1
; LDSByteSize: 1576 bytes/workgroup (compile time only)
; SGPRBlocks: 3
; VGPRBlocks: 52
; NumSGPRsForWavesPerEU: 28
; NumVGPRsForWavesPerEU: 422
; AccumOffset: 256
; Occupancy: 1
; WaveLimiterHint : 1
; COMPUTE_PGM_RSRC2:SCRATCH_EN: 1
; COMPUTE_PGM_RSRC2:USER_SGPR: 8
; COMPUTE_PGM_RSRC2:TRAP_HANDLER: 0
; COMPUTE_PGM_RSRC2:TGID_X_EN: 1
; COMPUTE_PGM_RSRC2:TGID_Y_EN: 0
; COMPUTE_PGM_RSRC2:TGID_Z_EN: 0
; COMPUTE_PGM_RSRC2:TIDIG_COMP_CNT: 0
; COMPUTE_PGM_RSRC3_GFX90A:ACCUM_OFFSET: 63
; COMPUTE_PGM_RSRC3_GFX90A:TG_SPLIT: 0
	.section	.text._ZN9rocsolver6v33100L18getri_kernel_smallILi50E19rocblas_complex_numIdEPKPS3_EEvT1_iilPiilS8_bb,"axG",@progbits,_ZN9rocsolver6v33100L18getri_kernel_smallILi50E19rocblas_complex_numIdEPKPS3_EEvT1_iilPiilS8_bb,comdat
	.globl	_ZN9rocsolver6v33100L18getri_kernel_smallILi50E19rocblas_complex_numIdEPKPS3_EEvT1_iilPiilS8_bb ; -- Begin function _ZN9rocsolver6v33100L18getri_kernel_smallILi50E19rocblas_complex_numIdEPKPS3_EEvT1_iilPiilS8_bb
	.p2align	8
	.type	_ZN9rocsolver6v33100L18getri_kernel_smallILi50E19rocblas_complex_numIdEPKPS3_EEvT1_iilPiilS8_bb,@function
_ZN9rocsolver6v33100L18getri_kernel_smallILi50E19rocblas_complex_numIdEPKPS3_EEvT1_iilPiilS8_bb: ; @_ZN9rocsolver6v33100L18getri_kernel_smallILi50E19rocblas_complex_numIdEPKPS3_EEvT1_iilPiilS8_bb
; %bb.0:
	s_add_u32 flat_scratch_lo, s6, s9
	s_addc_u32 flat_scratch_hi, s7, 0
	s_add_u32 s0, s0, s9
	v_mov_b32_e32 v254, v0
	s_addc_u32 s1, s1, 0
	v_cmp_gt_u32_e32 vcc, 50, v254
	s_and_saveexec_b64 s[6:7], vcc
	s_cbranch_execz .LBB113_214
; %bb.1:
	s_load_dword s18, s[4:5], 0x38
	s_load_dwordx2 s[6:7], s[4:5], 0x0
	s_load_dwordx4 s[12:15], s[4:5], 0x28
	s_waitcnt lgkmcnt(0)
	s_bitcmp1_b32 s18, 8
	s_cselect_b64 s[16:17], -1, 0
	s_ashr_i32 s9, s8, 31
	s_lshl_b64 s[10:11], s[8:9], 3
	s_add_u32 s6, s6, s10
	s_addc_u32 s7, s7, s11
	s_load_dwordx2 s[6:7], s[6:7], 0x0
	s_bfe_u32 s10, s18, 0x10008
	s_cmp_eq_u32 s10, 0
                                        ; implicit-def: $sgpr10_sgpr11
	s_cbranch_scc1 .LBB113_3
; %bb.2:
	s_load_dword s10, s[4:5], 0x20
	s_load_dwordx2 s[20:21], s[4:5], 0x18
	s_mul_i32 s11, s8, s13
	s_mul_hi_u32 s13, s8, s12
	s_add_i32 s13, s13, s11
	s_mul_i32 s19, s9, s12
	s_add_i32 s13, s13, s19
	s_mul_i32 s12, s8, s12
	s_waitcnt lgkmcnt(0)
	s_ashr_i32 s11, s10, 31
	s_lshl_b64 s[12:13], s[12:13], 2
	s_add_u32 s12, s20, s12
	s_addc_u32 s13, s21, s13
	s_lshl_b64 s[10:11], s[10:11], 2
	s_add_u32 s10, s12, s10
	s_addc_u32 s11, s13, s11
.LBB113_3:
	s_load_dwordx2 s[4:5], s[4:5], 0x8
	v_lshlrev_b32_e32 v1, 4, v254
	s_waitcnt lgkmcnt(0)
	s_ashr_i32 s13, s4, 31
	s_mov_b32 s12, s4
	s_lshl_b64 s[12:13], s[12:13], 4
	s_add_u32 s6, s6, s12
	s_addc_u32 s7, s7, s13
	s_add_i32 s4, s5, s5
	v_add_u32_e32 v2, s4, v254
	v_ashrrev_i32_e32 v3, 31, v2
	v_add_u32_e32 v4, s5, v2
	v_lshlrev_b64 v[2:3], 4, v[2:3]
	v_mov_b32_e32 v0, s7
	v_add_co_u32_e32 v2, vcc, s6, v2
	v_addc_co_u32_e32 v3, vcc, v0, v3, vcc
	global_load_dwordx4 v[6:9], v1, s[6:7]
	global_load_dwordx4 v[58:61], v[2:3], off
	v_add_co_u32_e32 v22, vcc, s6, v1
	s_mov_b32 s12, s5
	s_ashr_i32 s13, s5, 31
	v_addc_co_u32_e32 v23, vcc, 0, v0, vcc
	s_lshl_b64 s[12:13], s[12:13], 4
	v_mov_b32_e32 v0, s13
	v_add_co_u32_e32 v20, vcc, s12, v22
	v_addc_co_u32_e32 v21, vcc, v23, v0, vcc
	global_load_dwordx4 v[54:57], v[20:21], off
	v_accvgpr_write_b32 a49, v3
	v_ashrrev_i32_e32 v5, 31, v4
	v_accvgpr_write_b32 a48, v2
	v_lshlrev_b64 v[2:3], 4, v[4:5]
	v_add_u32_e32 v10, s5, v4
	v_mov_b32_e32 v0, s7
	v_add_co_u32_e32 v4, vcc, s6, v2
	v_addc_co_u32_e32 v5, vcc, v0, v3, vcc
	v_ashrrev_i32_e32 v11, 31, v10
	global_load_dwordx4 v[62:65], v[4:5], off
	v_lshlrev_b64 v[2:3], 4, v[10:11]
	v_add_co_u32_e32 v2, vcc, s6, v2
	v_add_u32_e32 v12, s5, v10
	v_addc_co_u32_e32 v3, vcc, v0, v3, vcc
	global_load_dwordx4 v[66:69], v[2:3], off
	v_accvgpr_write_b32 a55, v3
	v_ashrrev_i32_e32 v13, 31, v12
	v_accvgpr_write_b32 a63, v5
	v_accvgpr_write_b32 a54, v2
	v_lshlrev_b64 v[2:3], 4, v[12:13]
	v_accvgpr_write_b32 a62, v4
	v_add_co_u32_e32 v4, vcc, s6, v2
	v_add_u32_e32 v14, s5, v12
	v_addc_co_u32_e32 v5, vcc, v0, v3, vcc
	v_ashrrev_i32_e32 v15, 31, v14
	global_load_dwordx4 v[70:73], v[4:5], off
	v_lshlrev_b64 v[2:3], 4, v[14:15]
	v_add_co_u32_e32 v2, vcc, s6, v2
	v_add_u32_e32 v16, s5, v14
	v_addc_co_u32_e32 v3, vcc, v0, v3, vcc
	global_load_dwordx4 v[74:77], v[2:3], off
	v_accvgpr_write_b32 a41, v3
	v_ashrrev_i32_e32 v17, 31, v16
	v_accvgpr_write_b32 a57, v5
	v_accvgpr_write_b32 a40, v2
	v_lshlrev_b64 v[2:3], 4, v[16:17]
	v_accvgpr_write_b32 a56, v4
	v_add_co_u32_e32 v4, vcc, s6, v2
	v_add_u32_e32 v18, s5, v16
	v_addc_co_u32_e32 v5, vcc, v0, v3, vcc
	v_ashrrev_i32_e32 v19, 31, v18
	global_load_dwordx4 v[78:81], v[4:5], off
	v_lshlrev_b64 v[2:3], 4, v[18:19]
	v_add_co_u32_e32 v2, vcc, s6, v2
	v_addc_co_u32_e32 v3, vcc, v0, v3, vcc
	global_load_dwordx4 v[10:13], v[2:3], off
	v_add_u32_e32 v82, s5, v18
	v_add_u32_e32 v84, s5, v82
	;; [unrolled: 1-line block ×34, first 2 shown]
	v_accvgpr_write_b32 a87, v23
	v_add_u32_e32 v24, s5, v26
	v_accvgpr_write_b32 a86, v22
	v_accvgpr_write_b32 a77, v21
	v_add_u32_e32 v22, s5, v24
	v_accvgpr_write_b32 a76, v20
	v_add_u32_e32 v20, s5, v22
	v_add_u32_e32 v18, s5, v20
	;; [unrolled: 1-line block ×3, first 2 shown]
	v_accvgpr_write_b32 a35, v3
	v_add_u32_e32 v14, s5, v16
	v_accvgpr_write_b32 a34, v2
	v_add_u32_e32 v2, s5, v14
	v_ashrrev_i32_e32 v3, 31, v2
	v_lshlrev_b64 v[2:3], 4, v[2:3]
	v_add_co_u32_e32 v2, vcc, s6, v2
	v_accvgpr_write_b32 a43, v5
	v_addc_co_u32_e32 v3, vcc, v0, v3, vcc
	v_accvgpr_write_b32 a0, v2
	v_ashrrev_i32_e32 v83, 31, v82
	v_accvgpr_write_b32 a42, v4
	v_accvgpr_write_b32 a1, v3
	global_load_dwordx4 v[2:5], v[2:3], off
	s_waitcnt vmcnt(9)
	buffer_store_dword v9, off, s[0:3], 0 offset:28
	buffer_store_dword v8, off, s[0:3], 0 offset:24
	;; [unrolled: 1-line block ×4, first 2 shown]
	s_waitcnt vmcnt(11)
	buffer_store_dword v57, off, s[0:3], 0 offset:44
	buffer_store_dword v56, off, s[0:3], 0 offset:40
	;; [unrolled: 1-line block ×8, first 2 shown]
	s_waitcnt vmcnt(18)
	buffer_store_dword v65, off, s[0:3], 0 offset:76
	buffer_store_dword v64, off, s[0:3], 0 offset:72
	buffer_store_dword v63, off, s[0:3], 0 offset:68
	buffer_store_dword v62, off, s[0:3], 0 offset:64
	s_waitcnt vmcnt(21)
	buffer_store_dword v69, off, s[0:3], 0 offset:92
	buffer_store_dword v68, off, s[0:3], 0 offset:88
	buffer_store_dword v67, off, s[0:3], 0 offset:84
	buffer_store_dword v66, off, s[0:3], 0 offset:80
	;; [unrolled: 5-line block ×5, first 2 shown]
	s_waitcnt vmcnt(33)
	buffer_store_dword v13, off, s[0:3], 0 offset:156
	v_lshlrev_b64 v[6:7], 4, v[82:83]
	v_add_co_u32_e32 v8, vcc, s6, v6
	v_addc_co_u32_e32 v9, vcc, v0, v7, vcc
	v_ashrrev_i32_e32 v85, 31, v84
	global_load_dwordx4 v[54:57], v[8:9], off
	v_lshlrev_b64 v[6:7], 4, v[84:85]
	v_add_co_u32_e32 v6, vcc, s6, v6
	v_addc_co_u32_e32 v7, vcc, v0, v7, vcc
	global_load_dwordx4 v[58:61], v[6:7], off
	v_accvgpr_write_b32 a95, v7
	v_ashrrev_i32_e32 v87, 31, v86
	v_accvgpr_write_b32 a99, v9
	v_accvgpr_write_b32 a94, v6
	v_lshlrev_b64 v[6:7], 4, v[86:87]
	v_accvgpr_write_b32 a98, v8
	v_add_co_u32_e32 v8, vcc, s6, v6
	v_addc_co_u32_e32 v9, vcc, v0, v7, vcc
	v_ashrrev_i32_e32 v89, 31, v88
	global_load_dwordx4 v[62:65], v[8:9], off
	v_lshlrev_b64 v[6:7], 4, v[88:89]
	v_add_co_u32_e32 v6, vcc, s6, v6
	v_addc_co_u32_e32 v7, vcc, v0, v7, vcc
	global_load_dwordx4 v[66:69], v[6:7], off
	v_accvgpr_write_b32 a91, v7
	v_ashrrev_i32_e32 v91, 31, v90
	v_accvgpr_write_b32 a97, v9
	v_accvgpr_write_b32 a90, v6
	v_lshlrev_b64 v[6:7], 4, v[90:91]
	v_accvgpr_write_b32 a96, v8
	v_add_co_u32_e32 v8, vcc, s6, v6
	v_addc_co_u32_e32 v9, vcc, v0, v7, vcc
	v_ashrrev_i32_e32 v93, 31, v92
	global_load_dwordx4 v[70:73], v[8:9], off
	v_lshlrev_b64 v[6:7], 4, v[92:93]
	v_add_co_u32_e32 v6, vcc, s6, v6
	v_addc_co_u32_e32 v7, vcc, v0, v7, vcc
	global_load_dwordx4 v[74:77], v[6:7], off
	v_accvgpr_write_b32 a83, v7
	v_ashrrev_i32_e32 v95, 31, v94
	v_accvgpr_write_b32 a93, v9
	v_accvgpr_write_b32 a82, v6
	v_lshlrev_b64 v[6:7], 4, v[94:95]
	v_accvgpr_write_b32 a92, v8
	v_add_co_u32_e32 v8, vcc, s6, v6
	v_addc_co_u32_e32 v9, vcc, v0, v7, vcc
	v_ashrrev_i32_e32 v97, 31, v96
	global_load_dwordx4 v[78:81], v[8:9], off
	v_lshlrev_b64 v[6:7], 4, v[96:97]
	v_add_co_u32_e32 v6, vcc, s6, v6
	v_addc_co_u32_e32 v7, vcc, v0, v7, vcc
	global_load_dwordx4 v[82:85], v[6:7], off
	v_accvgpr_write_b32 a73, v7
	v_ashrrev_i32_e32 v99, 31, v98
	v_accvgpr_write_b32 a85, v9
	v_accvgpr_write_b32 a72, v6
	v_lshlrev_b64 v[6:7], 4, v[98:99]
	v_accvgpr_write_b32 a84, v8
	v_add_co_u32_e32 v8, vcc, s6, v6
	v_addc_co_u32_e32 v9, vcc, v0, v7, vcc
	v_ashrrev_i32_e32 v101, 31, v100
	global_load_dwordx4 v[86:89], v[8:9], off
	v_lshlrev_b64 v[6:7], 4, v[100:101]
	v_add_co_u32_e32 v6, vcc, s6, v6
	v_addc_co_u32_e32 v7, vcc, v0, v7, vcc
	global_load_dwordx4 v[90:93], v[6:7], off
	v_accvgpr_write_b32 a65, v7
	v_ashrrev_i32_e32 v103, 31, v102
	v_accvgpr_write_b32 a75, v9
	v_accvgpr_write_b32 a64, v6
	v_lshlrev_b64 v[6:7], 4, v[102:103]
	v_accvgpr_write_b32 a74, v8
	v_add_co_u32_e32 v8, vcc, s6, v6
	v_addc_co_u32_e32 v9, vcc, v0, v7, vcc
	v_ashrrev_i32_e32 v105, 31, v104
	global_load_dwordx4 v[94:97], v[8:9], off
	v_lshlrev_b64 v[6:7], 4, v[104:105]
	v_add_co_u32_e32 v6, vcc, s6, v6
	v_addc_co_u32_e32 v7, vcc, v0, v7, vcc
	global_load_dwordx4 v[98:101], v[6:7], off
	v_accvgpr_write_b32 a51, v7
	v_ashrrev_i32_e32 v107, 31, v106
	v_accvgpr_write_b32 a67, v9
	v_accvgpr_write_b32 a50, v6
	v_lshlrev_b64 v[6:7], 4, v[106:107]
	v_accvgpr_write_b32 a66, v8
	v_add_co_u32_e32 v8, vcc, s6, v6
	v_addc_co_u32_e32 v9, vcc, v0, v7, vcc
	v_ashrrev_i32_e32 v109, 31, v108
	global_load_dwordx4 v[102:105], v[8:9], off
	v_lshlrev_b64 v[6:7], 4, v[108:109]
	v_add_co_u32_e32 v6, vcc, s6, v6
	v_addc_co_u32_e32 v7, vcc, v0, v7, vcc
	global_load_dwordx4 v[106:109], v[6:7], off
	v_accvgpr_write_b32 a37, v7
	v_ashrrev_i32_e32 v111, 31, v110
	v_accvgpr_write_b32 a53, v9
	v_accvgpr_write_b32 a36, v6
	v_lshlrev_b64 v[6:7], 4, v[110:111]
	v_accvgpr_write_b32 a52, v8
	v_add_co_u32_e32 v8, vcc, s6, v6
	v_addc_co_u32_e32 v9, vcc, v0, v7, vcc
	v_ashrrev_i32_e32 v113, 31, v112
	v_lshlrev_b64 v[6:7], 4, v[112:113]
	global_load_dwordx4 v[110:113], v[8:9], off
	v_add_co_u32_e32 v6, vcc, s6, v6
	v_addc_co_u32_e32 v7, vcc, v0, v7, vcc
	global_load_dwordx4 v[114:117], v[6:7], off
	v_accvgpr_write_b32 a27, v7
	v_ashrrev_i32_e32 v119, 31, v118
	v_accvgpr_write_b32 a39, v9
	v_accvgpr_write_b32 a26, v6
	v_lshlrev_b64 v[6:7], 4, v[118:119]
	v_accvgpr_write_b32 a38, v8
	v_add_co_u32_e32 v8, vcc, s6, v6
	v_addc_co_u32_e32 v9, vcc, v0, v7, vcc
	v_ashrrev_i32_e32 v121, 31, v120
	v_lshlrev_b64 v[6:7], 4, v[120:121]
	global_load_dwordx4 v[118:121], v[8:9], off
	v_add_co_u32_e32 v6, vcc, s6, v6
	v_addc_co_u32_e32 v7, vcc, v0, v7, vcc
	global_load_dwordx4 v[122:125], v[6:7], off
	v_accvgpr_write_b32 a19, v7
	v_ashrrev_i32_e32 v127, 31, v126
	v_accvgpr_write_b32 a29, v9
	v_accvgpr_write_b32 a18, v6
	v_lshlrev_b64 v[6:7], 4, v[126:127]
	v_accvgpr_write_b32 a28, v8
	v_add_co_u32_e32 v8, vcc, s6, v6
	v_addc_co_u32_e32 v9, vcc, v0, v7, vcc
	v_ashrrev_i32_e32 v129, 31, v128
	v_lshlrev_b64 v[6:7], 4, v[128:129]
	global_load_dwordx4 v[126:129], v[8:9], off
	v_add_co_u32_e32 v6, vcc, s6, v6
	v_addc_co_u32_e32 v7, vcc, v0, v7, vcc
	v_accvgpr_write_b32 a21, v9
	v_accvgpr_write_b32 a13, v7
	;; [unrolled: 1-line block ×4, first 2 shown]
	global_load_dwordx4 v[6:9], v[6:7], off
	v_ashrrev_i32_e32 v53, 31, v52
	buffer_store_dword v12, off, s[0:3], 0 offset:152
	buffer_store_dword v11, off, s[0:3], 0 offset:148
	buffer_store_dword v10, off, s[0:3], 0 offset:144
	s_waitcnt vmcnt(22)
	buffer_store_dword v54, off, s[0:3], 0 offset:160
	buffer_store_dword v55, off, s[0:3], 0 offset:164
	buffer_store_dword v56, off, s[0:3], 0 offset:168
	buffer_store_dword v57, off, s[0:3], 0 offset:172
	s_waitcnt vmcnt(25)
	buffer_store_dword v58, off, s[0:3], 0 offset:176
	;; [unrolled: 5-line block ×15, first 2 shown]
	buffer_store_dword v112, off, s[0:3], 0 offset:392
	buffer_store_dword v111, off, s[0:3], 0 offset:388
	;; [unrolled: 1-line block ×11, first 2 shown]
	s_waitcnt vmcnt(62)
	buffer_store_dword v125, off, s[0:3], 0 offset:444
	buffer_store_dword v124, off, s[0:3], 0 offset:440
	;; [unrolled: 1-line block ×9, first 2 shown]
	v_lshlrev_b64 v[10:11], 4, v[52:53]
	v_add_co_u32_e32 v12, vcc, s6, v10
	v_ashrrev_i32_e32 v51, 31, v50
	v_addc_co_u32_e32 v13, vcc, v0, v11, vcc
	v_lshlrev_b64 v[10:11], 4, v[50:51]
	v_add_co_u32_e32 v50, vcc, s6, v10
	v_accvgpr_write_b32 a89, v13
	v_addc_co_u32_e32 v51, vcc, v0, v11, vcc
	v_accvgpr_write_b32 a88, v12
	global_load_dwordx4 v[10:13], v[12:13], off
	v_accvgpr_write_b32 a79, v51
	v_ashrrev_i32_e32 v49, 31, v48
	v_accvgpr_write_b32 a78, v50
	global_load_dwordx4 v[50:53], v[50:51], off
	v_lshlrev_b64 v[48:49], 4, v[48:49]
	v_add_co_u32_e32 v48, vcc, s6, v48
	v_ashrrev_i32_e32 v47, 31, v46
	v_addc_co_u32_e32 v49, vcc, v0, v49, vcc
	v_lshlrev_b64 v[46:47], 4, v[46:47]
	v_add_co_u32_e32 v54, vcc, s6, v46
	v_accvgpr_write_b32 a81, v49
	v_addc_co_u32_e32 v55, vcc, v0, v47, vcc
	v_accvgpr_write_b32 a80, v48
	global_load_dwordx4 v[46:49], v[48:49], off
	v_accvgpr_write_b32 a69, v55
	v_ashrrev_i32_e32 v45, 31, v44
	v_accvgpr_write_b32 a68, v54
	global_load_dwordx4 v[54:57], v[54:55], off
	;; [unrolled: 14-line block ×8, first 2 shown]
	v_lshlrev_b64 v[20:21], 4, v[20:21]
	v_add_co_u32_e32 v20, vcc, s6, v20
	v_ashrrev_i32_e32 v19, 31, v18
	v_addc_co_u32_e32 v21, vcc, v0, v21, vcc
	v_lshlrev_b64 v[18:19], 4, v[18:19]
	v_add_co_u32_e32 v82, vcc, s6, v18
	v_accvgpr_write_b32 a10, v20
	v_addc_co_u32_e32 v83, vcc, v0, v19, vcc
	v_accvgpr_write_b32 a11, v21
	global_load_dwordx4 v[18:21], v[20:21], off
	v_accvgpr_write_b32 a4, v82
	v_accvgpr_write_b32 a5, v83
	global_load_dwordx4 v[82:85], v[82:83], off
	v_ashrrev_i32_e32 v17, 31, v16
	v_lshlrev_b64 v[16:17], 4, v[16:17]
	v_add_co_u32_e32 v16, vcc, s6, v16
	v_addc_co_u32_e32 v17, vcc, v0, v17, vcc
	v_ashrrev_i32_e32 v15, 31, v14
	v_accvgpr_write_b32 a6, v16
	v_lshlrev_b64 v[86:87], 4, v[14:15]
	v_accvgpr_write_b32 a7, v17
	global_load_dwordx4 v[14:17], v[16:17], off
	v_add_co_u32_e32 v86, vcc, s6, v86
	v_addc_co_u32_e32 v87, vcc, v0, v87, vcc
	v_accvgpr_write_b32 a2, v86
	v_accvgpr_write_b32 a3, v87
	global_load_dwordx4 v[86:89], v[86:87], off
	v_mov_b32_e32 v0, 16
	buffer_store_dword v8, off, s[0:3], 0 offset:472
	buffer_store_dword v7, off, s[0:3], 0 offset:468
	buffer_store_dword v6, off, s[0:3], 0 offset:464
	s_waitcnt vmcnt(22)
	buffer_store_dword v13, off, s[0:3], 0 offset:492
	buffer_store_dword v12, off, s[0:3], 0 offset:488
	buffer_store_dword v11, off, s[0:3], 0 offset:484
	buffer_store_dword v10, off, s[0:3], 0 offset:480
	s_waitcnt vmcnt(25)
	buffer_store_dword v53, off, s[0:3], 0 offset:508
	;; [unrolled: 5-line block ×15, first 2 shown]
	buffer_store_dword v24, off, s[0:3], 0 offset:712
	buffer_store_dword v23, off, s[0:3], 0 offset:708
	;; [unrolled: 1-line block ×11, first 2 shown]
	s_waitcnt vmcnt(62)
	buffer_store_dword v85, off, s[0:3], 0 offset:764
	buffer_store_dword v84, off, s[0:3], 0 offset:760
	;; [unrolled: 1-line block ×16, first 2 shown]
	v_add_u32_e32 v2, 16, v0
	v_accvgpr_write_b32 a148, v2
	v_add_u32_e32 v2, 32, v0
	v_accvgpr_write_b32 a147, v2
	;; [unrolled: 2-line block ×47, first 2 shown]
	v_add_u32_e32 v2, 0x300, v0
	v_add_u32_e32 v0, 0x310, v0
	v_accvgpr_write_b32 a101, v2
	v_accvgpr_write_b32 a100, v0
	s_bitcmp0_b32 s18, 0
	s_mov_b64 s[6:7], -1
	s_cbranch_scc1 .LBB113_212
; %bb.4:
	v_cmp_eq_u32_e64 s[4:5], 0, v254
	s_and_saveexec_b64 s[6:7], s[4:5]
	s_cbranch_execz .LBB113_6
; %bb.5:
	v_mov_b32_e32 v0, 0
	ds_write_b32 v0, v0 offset:1600
.LBB113_6:
	s_or_b64 exec, exec, s[6:7]
	v_mov_b32_e32 v0, 16
	v_lshl_add_u32 v12, v254, 4, v0
	s_waitcnt lgkmcnt(0)
	; wave barrier
	s_waitcnt lgkmcnt(0)
	buffer_load_dword v2, v12, s[0:3], 0 offen
	buffer_load_dword v3, v12, s[0:3], 0 offen offset:4
	buffer_load_dword v4, v12, s[0:3], 0 offen offset:8
	;; [unrolled: 1-line block ×3, first 2 shown]
	s_waitcnt vmcnt(2)
	v_cmp_eq_f64_e32 vcc, 0, v[2:3]
	s_waitcnt vmcnt(0)
	v_cmp_eq_f64_e64 s[6:7], 0, v[4:5]
	s_and_b64 s[6:7], vcc, s[6:7]
	s_and_saveexec_b64 s[12:13], s[6:7]
	s_cbranch_execz .LBB113_10
; %bb.7:
	v_mov_b32_e32 v2, 0
	ds_read_b32 v0, v2 offset:1600
	v_add_u32_e32 v3, 1, v254
	s_waitcnt lgkmcnt(0)
	v_readfirstlane_b32 s6, v0
	s_cmp_eq_u32 s6, 0
	s_cselect_b64 s[18:19], -1, 0
	v_cmp_gt_i32_e32 vcc, s6, v3
	s_or_b64 s[18:19], s[18:19], vcc
	s_and_b64 exec, exec, s[18:19]
	s_cbranch_execz .LBB113_10
; %bb.8:
	s_mov_b64 s[18:19], 0
	v_mov_b32_e32 v4, s6
.LBB113_9:                              ; =>This Inner Loop Header: Depth=1
	ds_cmpst_rtn_b32 v4, v2, v4, v3 offset:1600
	s_waitcnt lgkmcnt(0)
	v_cmp_ne_u32_e32 vcc, 0, v4
	v_cmp_le_i32_e64 s[6:7], v4, v3
	s_and_b64 s[6:7], vcc, s[6:7]
	s_and_b64 s[6:7], exec, s[6:7]
	s_or_b64 s[18:19], s[6:7], s[18:19]
	s_andn2_b64 exec, exec, s[18:19]
	s_cbranch_execnz .LBB113_9
.LBB113_10:
	s_or_b64 exec, exec, s[12:13]
	v_mov_b32_e32 v3, 0
	s_waitcnt lgkmcnt(0)
	; wave barrier
	ds_read_b32 v2, v3 offset:1600
	s_and_saveexec_b64 s[6:7], s[4:5]
	s_cbranch_execz .LBB113_12
; %bb.11:
	s_lshl_b64 s[12:13], s[8:9], 2
	s_add_u32 s12, s14, s12
	s_addc_u32 s13, s15, s13
	s_waitcnt lgkmcnt(0)
	global_store_dword v3, v2, s[12:13]
.LBB113_12:
	s_or_b64 exec, exec, s[6:7]
	s_waitcnt lgkmcnt(0)
	v_cmp_ne_u32_e32 vcc, 0, v2
	s_mov_b64 s[6:7], 0
	s_cbranch_vccnz .LBB113_212
; %bb.13:
	buffer_load_dword v7, v12, s[0:3], 0 offen offset:4
	buffer_load_dword v6, v12, s[0:3], 0 offen
	buffer_load_dword v9, v12, s[0:3], 0 offen offset:12
	buffer_load_dword v8, v12, s[0:3], 0 offen offset:8
                                        ; implicit-def: $vgpr10_vgpr11
	s_waitcnt vmcnt(3)
	v_xor_b32_e32 v0, 0x80000000, v7
	s_waitcnt vmcnt(2)
	v_cmp_gt_f64_e32 vcc, 0, v[6:7]
	s_waitcnt vmcnt(1)
	v_xor_b32_e32 v4, 0x80000000, v9
	v_cndmask_b32_e32 v3, v7, v0, vcc
	s_waitcnt vmcnt(0)
	v_cmp_gt_f64_e32 vcc, 0, v[8:9]
	v_mov_b32_e32 v2, v6
	v_cndmask_b32_e32 v5, v9, v4, vcc
	v_mov_b32_e32 v4, v8
	v_cmp_ngt_f64_e32 vcc, v[2:3], v[4:5]
                                        ; implicit-def: $vgpr4_vgpr5
	s_and_saveexec_b64 s[6:7], vcc
	s_xor_b64 s[6:7], exec, s[6:7]
	s_cbranch_execz .LBB113_15
; %bb.14:
	v_div_scale_f64 v[2:3], s[12:13], v[8:9], v[8:9], v[6:7]
	v_rcp_f64_e32 v[4:5], v[2:3]
	v_div_scale_f64 v[10:11], vcc, v[6:7], v[8:9], v[6:7]
	v_fma_f64 v[14:15], -v[2:3], v[4:5], 1.0
	v_fmac_f64_e32 v[4:5], v[4:5], v[14:15]
	v_fma_f64 v[14:15], -v[2:3], v[4:5], 1.0
	v_fmac_f64_e32 v[4:5], v[4:5], v[14:15]
	v_mul_f64 v[14:15], v[10:11], v[4:5]
	v_fma_f64 v[2:3], -v[2:3], v[14:15], v[10:11]
	v_div_fmas_f64 v[2:3], v[2:3], v[4:5], v[14:15]
	v_div_fixup_f64 v[2:3], v[2:3], v[8:9], v[6:7]
	v_fmac_f64_e32 v[8:9], v[6:7], v[2:3]
	v_div_scale_f64 v[4:5], s[12:13], v[8:9], v[8:9], 1.0
	v_rcp_f64_e32 v[6:7], v[4:5]
	v_fma_f64 v[10:11], -v[4:5], v[6:7], 1.0
	v_fmac_f64_e32 v[6:7], v[6:7], v[10:11]
	v_fma_f64 v[10:11], -v[4:5], v[6:7], 1.0
	v_fmac_f64_e32 v[6:7], v[6:7], v[10:11]
	v_div_scale_f64 v[10:11], vcc, 1.0, v[8:9], 1.0
	v_mul_f64 v[14:15], v[10:11], v[6:7]
	v_fma_f64 v[4:5], -v[4:5], v[14:15], v[10:11]
	s_nop 1
	v_div_fmas_f64 v[4:5], v[4:5], v[6:7], v[14:15]
	v_div_fixup_f64 v[4:5], v[4:5], v[8:9], 1.0
	v_mul_f64 v[10:11], v[2:3], v[4:5]
	v_xor_b32_e32 v5, 0x80000000, v5
	v_xor_b32_e32 v3, 0x80000000, v11
	v_mov_b32_e32 v2, v10
                                        ; implicit-def: $vgpr6_vgpr7
                                        ; implicit-def: $vgpr8_vgpr9
.LBB113_15:
	s_andn2_saveexec_b64 s[6:7], s[6:7]
	s_cbranch_execz .LBB113_17
; %bb.16:
	v_div_scale_f64 v[2:3], s[12:13], v[6:7], v[6:7], v[8:9]
	v_rcp_f64_e32 v[4:5], v[2:3]
	v_div_scale_f64 v[10:11], vcc, v[8:9], v[6:7], v[8:9]
	v_fma_f64 v[14:15], -v[2:3], v[4:5], 1.0
	v_fmac_f64_e32 v[4:5], v[4:5], v[14:15]
	v_fma_f64 v[14:15], -v[2:3], v[4:5], 1.0
	v_fmac_f64_e32 v[4:5], v[4:5], v[14:15]
	v_mul_f64 v[14:15], v[10:11], v[4:5]
	v_fma_f64 v[2:3], -v[2:3], v[14:15], v[10:11]
	v_div_fmas_f64 v[2:3], v[2:3], v[4:5], v[14:15]
	v_div_fixup_f64 v[4:5], v[2:3], v[6:7], v[8:9]
	v_fmac_f64_e32 v[6:7], v[8:9], v[4:5]
	v_div_scale_f64 v[2:3], s[12:13], v[6:7], v[6:7], 1.0
	v_rcp_f64_e32 v[8:9], v[2:3]
	v_fma_f64 v[10:11], -v[2:3], v[8:9], 1.0
	v_fmac_f64_e32 v[8:9], v[8:9], v[10:11]
	v_fma_f64 v[10:11], -v[2:3], v[8:9], 1.0
	v_fmac_f64_e32 v[8:9], v[8:9], v[10:11]
	v_div_scale_f64 v[10:11], vcc, 1.0, v[6:7], 1.0
	v_mul_f64 v[14:15], v[10:11], v[8:9]
	v_fma_f64 v[2:3], -v[2:3], v[14:15], v[10:11]
	s_nop 1
	v_div_fmas_f64 v[2:3], v[2:3], v[8:9], v[14:15]
	v_div_fixup_f64 v[10:11], v[2:3], v[6:7], 1.0
	v_xor_b32_e32 v3, 0x80000000, v11
	v_mov_b32_e32 v2, v10
	v_mul_f64 v[4:5], v[4:5], -v[10:11]
.LBB113_17:
	s_or_b64 exec, exec, s[6:7]
	buffer_store_dword v11, v12, s[0:3], 0 offen offset:4
	buffer_store_dword v10, v12, s[0:3], 0 offen
	buffer_store_dword v5, v12, s[0:3], 0 offen offset:12
	buffer_store_dword v4, v12, s[0:3], 0 offen offset:8
	v_accvgpr_read_b32 v0, a148
	buffer_load_dword v11, v0, s[0:3], 0 offen offset:12
	buffer_load_dword v10, v0, s[0:3], 0 offen offset:8
	buffer_load_dword v9, v0, s[0:3], 0 offen offset:4
	buffer_load_dword v8, v0, s[0:3], 0 offen
	v_xor_b32_e32 v5, 0x80000000, v5
	v_add_u32_e32 v6, 0x320, v1
	ds_write_b128 v1, v[2:5]
	s_waitcnt vmcnt(0)
	ds_write_b128 v1, v[8:11] offset:800
	s_waitcnt lgkmcnt(0)
	; wave barrier
	s_waitcnt lgkmcnt(0)
	s_and_saveexec_b64 s[6:7], s[4:5]
	s_cbranch_execz .LBB113_19
; %bb.18:
	ds_read_b128 v[2:5], v6
	buffer_load_dword v8, v12, s[0:3], 0 offen
	buffer_load_dword v9, v12, s[0:3], 0 offen offset:4
	buffer_load_dword v10, v12, s[0:3], 0 offen offset:8
	;; [unrolled: 1-line block ×3, first 2 shown]
	v_mov_b32_e32 v0, 0
	s_waitcnt vmcnt(0) lgkmcnt(0)
	v_mul_f64 v[14:15], v[4:5], v[10:11]
	v_fma_f64 v[14:15], v[2:3], v[8:9], -v[14:15]
	v_mul_f64 v[2:3], v[2:3], v[10:11]
	v_fmac_f64_e32 v[2:3], v[4:5], v[8:9]
	v_add_f64 v[10:11], v[2:3], 0
	ds_read_b128 v[2:5], v0 offset:16
	v_add_f64 v[8:9], v[14:15], 0
	s_waitcnt lgkmcnt(0)
	v_mul_f64 v[14:15], v[10:11], v[4:5]
	v_fma_f64 v[14:15], v[8:9], v[2:3], -v[14:15]
	v_mul_f64 v[4:5], v[8:9], v[4:5]
	v_fmac_f64_e32 v[4:5], v[10:11], v[2:3]
	buffer_store_dword v14, off, s[0:3], 0 offset:32
	buffer_store_dword v15, off, s[0:3], 0 offset:36
	;; [unrolled: 1-line block ×4, first 2 shown]
.LBB113_19:
	s_or_b64 exec, exec, s[6:7]
	v_accvgpr_read_b32 v0, a147
	s_waitcnt lgkmcnt(0)
	; wave barrier
	buffer_load_dword v2, v0, s[0:3], 0 offen
	buffer_load_dword v3, v0, s[0:3], 0 offen offset:4
	buffer_load_dword v4, v0, s[0:3], 0 offen offset:8
	;; [unrolled: 1-line block ×3, first 2 shown]
	v_cmp_gt_u32_e32 vcc, 2, v254
	s_waitcnt vmcnt(0)
	ds_write_b128 v6, v[2:5]
	s_waitcnt lgkmcnt(0)
	; wave barrier
	s_waitcnt lgkmcnt(0)
	s_and_saveexec_b64 s[6:7], vcc
	s_cbranch_execz .LBB113_23
; %bb.20:
	buffer_load_dword v8, v12, s[0:3], 0 offen offset:8
	buffer_load_dword v9, v12, s[0:3], 0 offen offset:12
	buffer_load_dword v10, v12, s[0:3], 0 offen
	buffer_load_dword v11, v12, s[0:3], 0 offen offset:4
	ds_read_b128 v[2:5], v6
	s_waitcnt vmcnt(2) lgkmcnt(0)
	v_mul_f64 v[12:13], v[4:5], v[8:9]
	v_mul_f64 v[8:9], v[2:3], v[8:9]
	s_waitcnt vmcnt(0)
	v_fma_f64 v[2:3], v[2:3], v[10:11], -v[12:13]
	v_fmac_f64_e32 v[8:9], v[4:5], v[10:11]
	v_add_f64 v[4:5], v[2:3], 0
	v_add_f64 v[2:3], v[8:9], 0
	s_and_saveexec_b64 s[12:13], s[4:5]
	s_cbranch_execz .LBB113_22
; %bb.21:
	buffer_load_dword v12, off, s[0:3], 0 offset:40
	buffer_load_dword v13, off, s[0:3], 0 offset:44
	;; [unrolled: 1-line block ×4, first 2 shown]
	v_mov_b32_e32 v0, 0
	ds_read_b128 v[8:11], v0 offset:816
	s_waitcnt vmcnt(2) lgkmcnt(0)
	v_mul_f64 v[16:17], v[8:9], v[12:13]
	v_mul_f64 v[12:13], v[10:11], v[12:13]
	s_waitcnt vmcnt(0)
	v_fmac_f64_e32 v[16:17], v[10:11], v[14:15]
	v_fma_f64 v[8:9], v[8:9], v[14:15], -v[12:13]
	v_add_f64 v[2:3], v[2:3], v[16:17]
	v_add_f64 v[4:5], v[4:5], v[8:9]
.LBB113_22:
	s_or_b64 exec, exec, s[12:13]
	v_mov_b32_e32 v0, 0
	ds_read_b128 v[8:11], v0 offset:32
	s_waitcnt lgkmcnt(0)
	v_mul_f64 v[12:13], v[2:3], v[10:11]
	v_mul_f64 v[10:11], v[4:5], v[10:11]
	v_fma_f64 v[4:5], v[4:5], v[8:9], -v[12:13]
	v_fmac_f64_e32 v[10:11], v[2:3], v[8:9]
	buffer_store_dword v5, off, s[0:3], 0 offset:52
	buffer_store_dword v4, off, s[0:3], 0 offset:48
	;; [unrolled: 1-line block ×4, first 2 shown]
.LBB113_23:
	s_or_b64 exec, exec, s[6:7]
	v_accvgpr_read_b32 v0, a146
	s_waitcnt lgkmcnt(0)
	; wave barrier
	buffer_load_dword v2, v0, s[0:3], 0 offen
	buffer_load_dword v3, v0, s[0:3], 0 offen offset:4
	buffer_load_dword v4, v0, s[0:3], 0 offen offset:8
	;; [unrolled: 1-line block ×3, first 2 shown]
	v_cmp_gt_u32_e32 vcc, 3, v254
	v_add_u32_e32 v7, -1, v254
	s_waitcnt vmcnt(0)
	ds_write_b128 v6, v[2:5]
	s_waitcnt lgkmcnt(0)
	; wave barrier
	s_waitcnt lgkmcnt(0)
	s_and_saveexec_b64 s[4:5], vcc
	s_cbranch_execz .LBB113_27
; %bb.24:
	v_pk_mov_b32 v[2:3], 0, 0
	v_add_u32_e32 v8, -1, v254
	v_add_u32_e32 v9, 0x320, v1
	v_add_u32_e32 v10, 16, v1
	s_mov_b64 s[6:7], 0
	v_pk_mov_b32 v[4:5], v[2:3], v[2:3] op_sel:[0,1]
.LBB113_25:                             ; =>This Inner Loop Header: Depth=1
	buffer_load_dword v16, v10, s[0:3], 0 offen offset:8
	buffer_load_dword v17, v10, s[0:3], 0 offen offset:12
	buffer_load_dword v18, v10, s[0:3], 0 offen
	buffer_load_dword v19, v10, s[0:3], 0 offen offset:4
	ds_read_b128 v[12:15], v9
	v_add_u32_e32 v8, 1, v8
	v_cmp_lt_u32_e32 vcc, 1, v8
	v_add_u32_e32 v9, 16, v9
	v_add_u32_e32 v10, 16, v10
	s_or_b64 s[6:7], vcc, s[6:7]
	s_waitcnt vmcnt(2) lgkmcnt(0)
	v_mul_f64 v[20:21], v[14:15], v[16:17]
	v_mul_f64 v[16:17], v[12:13], v[16:17]
	s_waitcnt vmcnt(0)
	v_fma_f64 v[12:13], v[12:13], v[18:19], -v[20:21]
	v_fmac_f64_e32 v[16:17], v[14:15], v[18:19]
	v_add_f64 v[4:5], v[4:5], v[12:13]
	v_add_f64 v[2:3], v[2:3], v[16:17]
	s_andn2_b64 exec, exec, s[6:7]
	s_cbranch_execnz .LBB113_25
; %bb.26:
	s_or_b64 exec, exec, s[6:7]
	v_mov_b32_e32 v0, 0
	ds_read_b128 v[8:11], v0 offset:48
	s_waitcnt lgkmcnt(0)
	v_mul_f64 v[12:13], v[2:3], v[10:11]
	v_mul_f64 v[10:11], v[4:5], v[10:11]
	v_fma_f64 v[4:5], v[4:5], v[8:9], -v[12:13]
	v_fmac_f64_e32 v[10:11], v[2:3], v[8:9]
	buffer_store_dword v5, off, s[0:3], 0 offset:68
	buffer_store_dword v4, off, s[0:3], 0 offset:64
	buffer_store_dword v11, off, s[0:3], 0 offset:76
	buffer_store_dword v10, off, s[0:3], 0 offset:72
.LBB113_27:
	s_or_b64 exec, exec, s[4:5]
	v_accvgpr_read_b32 v0, a145
	s_waitcnt lgkmcnt(0)
	; wave barrier
	buffer_load_dword v2, v0, s[0:3], 0 offen
	buffer_load_dword v3, v0, s[0:3], 0 offen offset:4
	buffer_load_dword v4, v0, s[0:3], 0 offen offset:8
	buffer_load_dword v5, v0, s[0:3], 0 offen offset:12
	v_cmp_gt_u32_e32 vcc, 4, v254
	s_waitcnt vmcnt(0)
	ds_write_b128 v6, v[2:5]
	s_waitcnt lgkmcnt(0)
	; wave barrier
	s_waitcnt lgkmcnt(0)
	s_and_saveexec_b64 s[4:5], vcc
	s_cbranch_execz .LBB113_31
; %bb.28:
	v_pk_mov_b32 v[2:3], 0, 0
	v_add_u32_e32 v8, -1, v254
	v_add_u32_e32 v9, 0x320, v1
	v_add_u32_e32 v10, 16, v1
	s_mov_b64 s[6:7], 0
	v_pk_mov_b32 v[4:5], v[2:3], v[2:3] op_sel:[0,1]
.LBB113_29:                             ; =>This Inner Loop Header: Depth=1
	buffer_load_dword v16, v10, s[0:3], 0 offen offset:8
	buffer_load_dword v17, v10, s[0:3], 0 offen offset:12
	buffer_load_dword v18, v10, s[0:3], 0 offen
	buffer_load_dword v19, v10, s[0:3], 0 offen offset:4
	ds_read_b128 v[12:15], v9
	v_add_u32_e32 v8, 1, v8
	v_cmp_lt_u32_e32 vcc, 2, v8
	v_add_u32_e32 v9, 16, v9
	v_add_u32_e32 v10, 16, v10
	s_or_b64 s[6:7], vcc, s[6:7]
	s_waitcnt vmcnt(2) lgkmcnt(0)
	v_mul_f64 v[20:21], v[14:15], v[16:17]
	v_mul_f64 v[16:17], v[12:13], v[16:17]
	s_waitcnt vmcnt(0)
	v_fma_f64 v[12:13], v[12:13], v[18:19], -v[20:21]
	v_fmac_f64_e32 v[16:17], v[14:15], v[18:19]
	v_add_f64 v[4:5], v[4:5], v[12:13]
	v_add_f64 v[2:3], v[2:3], v[16:17]
	s_andn2_b64 exec, exec, s[6:7]
	s_cbranch_execnz .LBB113_29
; %bb.30:
	s_or_b64 exec, exec, s[6:7]
	v_mov_b32_e32 v0, 0
	ds_read_b128 v[8:11], v0 offset:64
	s_waitcnt lgkmcnt(0)
	v_mul_f64 v[12:13], v[2:3], v[10:11]
	v_mul_f64 v[10:11], v[4:5], v[10:11]
	v_fma_f64 v[4:5], v[4:5], v[8:9], -v[12:13]
	v_fmac_f64_e32 v[10:11], v[2:3], v[8:9]
	buffer_store_dword v5, off, s[0:3], 0 offset:84
	buffer_store_dword v4, off, s[0:3], 0 offset:80
	buffer_store_dword v11, off, s[0:3], 0 offset:92
	buffer_store_dword v10, off, s[0:3], 0 offset:88
.LBB113_31:
	s_or_b64 exec, exec, s[4:5]
	v_accvgpr_read_b32 v0, a144
	s_waitcnt lgkmcnt(0)
	; wave barrier
	buffer_load_dword v2, v0, s[0:3], 0 offen
	buffer_load_dword v3, v0, s[0:3], 0 offen offset:4
	buffer_load_dword v4, v0, s[0:3], 0 offen offset:8
	buffer_load_dword v5, v0, s[0:3], 0 offen offset:12
	v_cmp_gt_u32_e32 vcc, 5, v254
	;; [unrolled: 58-line block ×19, first 2 shown]
	s_waitcnt vmcnt(0)
	ds_write_b128 v6, v[2:5]
	s_waitcnt lgkmcnt(0)
	; wave barrier
	s_waitcnt lgkmcnt(0)
	s_and_saveexec_b64 s[4:5], vcc
	s_cbranch_execz .LBB113_103
; %bb.100:
	v_pk_mov_b32 v[2:3], 0, 0
	v_add_u32_e32 v8, -1, v254
	v_add_u32_e32 v9, 0x320, v1
	v_add_u32_e32 v10, 16, v1
	s_mov_b64 s[6:7], 0
	v_pk_mov_b32 v[4:5], v[2:3], v[2:3] op_sel:[0,1]
.LBB113_101:                            ; =>This Inner Loop Header: Depth=1
	buffer_load_dword v16, v10, s[0:3], 0 offen offset:8
	buffer_load_dword v17, v10, s[0:3], 0 offen offset:12
	buffer_load_dword v18, v10, s[0:3], 0 offen
	buffer_load_dword v19, v10, s[0:3], 0 offen offset:4
	ds_read_b128 v[12:15], v9
	v_add_u32_e32 v8, 1, v8
	v_cmp_lt_u32_e32 vcc, 20, v8
	v_add_u32_e32 v9, 16, v9
	v_add_u32_e32 v10, 16, v10
	s_or_b64 s[6:7], vcc, s[6:7]
	s_waitcnt vmcnt(2) lgkmcnt(0)
	v_mul_f64 v[20:21], v[14:15], v[16:17]
	v_mul_f64 v[16:17], v[12:13], v[16:17]
	s_waitcnt vmcnt(0)
	v_fma_f64 v[12:13], v[12:13], v[18:19], -v[20:21]
	v_fmac_f64_e32 v[16:17], v[14:15], v[18:19]
	v_add_f64 v[4:5], v[4:5], v[12:13]
	v_add_f64 v[2:3], v[2:3], v[16:17]
	s_andn2_b64 exec, exec, s[6:7]
	s_cbranch_execnz .LBB113_101
; %bb.102:
	s_or_b64 exec, exec, s[6:7]
	v_mov_b32_e32 v0, 0
	ds_read_b128 v[8:11], v0 offset:352
	s_waitcnt lgkmcnt(0)
	v_mul_f64 v[12:13], v[2:3], v[10:11]
	v_mul_f64 v[10:11], v[4:5], v[10:11]
	v_fma_f64 v[4:5], v[4:5], v[8:9], -v[12:13]
	v_fmac_f64_e32 v[10:11], v[2:3], v[8:9]
	buffer_store_dword v5, off, s[0:3], 0 offset:372
	buffer_store_dword v4, off, s[0:3], 0 offset:368
	buffer_store_dword v11, off, s[0:3], 0 offset:380
	buffer_store_dword v10, off, s[0:3], 0 offset:376
.LBB113_103:
	s_or_b64 exec, exec, s[4:5]
	v_accvgpr_read_b32 v0, a126
	s_waitcnt lgkmcnt(0)
	; wave barrier
	buffer_load_dword v2, v0, s[0:3], 0 offen
	buffer_load_dword v3, v0, s[0:3], 0 offen offset:4
	buffer_load_dword v4, v0, s[0:3], 0 offen offset:8
	buffer_load_dword v5, v0, s[0:3], 0 offen offset:12
	v_cmp_gt_u32_e32 vcc, 23, v254
	s_waitcnt vmcnt(0)
	ds_write_b128 v6, v[2:5]
	s_waitcnt lgkmcnt(0)
	; wave barrier
	s_waitcnt lgkmcnt(0)
	s_and_saveexec_b64 s[4:5], vcc
	s_cbranch_execz .LBB113_107
; %bb.104:
	v_pk_mov_b32 v[2:3], 0, 0
	v_add_u32_e32 v8, -1, v254
	v_add_u32_e32 v9, 0x320, v1
	v_add_u32_e32 v10, 16, v1
	s_mov_b64 s[6:7], 0
	v_pk_mov_b32 v[4:5], v[2:3], v[2:3] op_sel:[0,1]
.LBB113_105:                            ; =>This Inner Loop Header: Depth=1
	buffer_load_dword v16, v10, s[0:3], 0 offen offset:8
	buffer_load_dword v17, v10, s[0:3], 0 offen offset:12
	buffer_load_dword v18, v10, s[0:3], 0 offen
	buffer_load_dword v19, v10, s[0:3], 0 offen offset:4
	ds_read_b128 v[12:15], v9
	v_add_u32_e32 v8, 1, v8
	v_cmp_lt_u32_e32 vcc, 21, v8
	v_add_u32_e32 v9, 16, v9
	v_add_u32_e32 v10, 16, v10
	s_or_b64 s[6:7], vcc, s[6:7]
	s_waitcnt vmcnt(2) lgkmcnt(0)
	v_mul_f64 v[20:21], v[14:15], v[16:17]
	v_mul_f64 v[16:17], v[12:13], v[16:17]
	s_waitcnt vmcnt(0)
	v_fma_f64 v[12:13], v[12:13], v[18:19], -v[20:21]
	v_fmac_f64_e32 v[16:17], v[14:15], v[18:19]
	v_add_f64 v[4:5], v[4:5], v[12:13]
	v_add_f64 v[2:3], v[2:3], v[16:17]
	s_andn2_b64 exec, exec, s[6:7]
	s_cbranch_execnz .LBB113_105
; %bb.106:
	s_or_b64 exec, exec, s[6:7]
	v_mov_b32_e32 v0, 0
	ds_read_b128 v[8:11], v0 offset:368
	s_waitcnt lgkmcnt(0)
	v_mul_f64 v[12:13], v[2:3], v[10:11]
	v_mul_f64 v[10:11], v[4:5], v[10:11]
	v_fma_f64 v[4:5], v[4:5], v[8:9], -v[12:13]
	v_fmac_f64_e32 v[10:11], v[2:3], v[8:9]
	buffer_store_dword v5, off, s[0:3], 0 offset:388
	buffer_store_dword v4, off, s[0:3], 0 offset:384
	buffer_store_dword v11, off, s[0:3], 0 offset:396
	buffer_store_dword v10, off, s[0:3], 0 offset:392
.LBB113_107:
	s_or_b64 exec, exec, s[4:5]
	v_accvgpr_read_b32 v0, a125
	s_waitcnt lgkmcnt(0)
	; wave barrier
	buffer_load_dword v2, v0, s[0:3], 0 offen
	buffer_load_dword v3, v0, s[0:3], 0 offen offset:4
	buffer_load_dword v4, v0, s[0:3], 0 offen offset:8
	buffer_load_dword v5, v0, s[0:3], 0 offen offset:12
	v_cmp_gt_u32_e32 vcc, 24, v254
	;; [unrolled: 58-line block ×26, first 2 shown]
	s_waitcnt vmcnt(0)
	ds_write_b128 v6, v[2:5]
	s_waitcnt lgkmcnt(0)
	; wave barrier
	s_waitcnt lgkmcnt(0)
	s_and_saveexec_b64 s[4:5], vcc
	s_cbranch_execz .LBB113_207
; %bb.204:
	v_pk_mov_b32 v[2:3], 0, 0
	v_add_u32_e32 v8, -1, v254
	v_add_u32_e32 v9, 0x320, v1
	v_add_u32_e32 v10, 16, v1
	s_mov_b64 s[6:7], 0
	v_pk_mov_b32 v[4:5], v[2:3], v[2:3] op_sel:[0,1]
.LBB113_205:                            ; =>This Inner Loop Header: Depth=1
	buffer_load_dword v16, v10, s[0:3], 0 offen offset:8
	buffer_load_dword v17, v10, s[0:3], 0 offen offset:12
	buffer_load_dword v18, v10, s[0:3], 0 offen
	buffer_load_dword v19, v10, s[0:3], 0 offen offset:4
	ds_read_b128 v[12:15], v9
	v_add_u32_e32 v8, 1, v8
	v_cmp_lt_u32_e32 vcc, 46, v8
	v_add_u32_e32 v9, 16, v9
	v_add_u32_e32 v10, 16, v10
	s_or_b64 s[6:7], vcc, s[6:7]
	s_waitcnt vmcnt(2) lgkmcnt(0)
	v_mul_f64 v[20:21], v[14:15], v[16:17]
	v_mul_f64 v[16:17], v[12:13], v[16:17]
	s_waitcnt vmcnt(0)
	v_fma_f64 v[12:13], v[12:13], v[18:19], -v[20:21]
	v_fmac_f64_e32 v[16:17], v[14:15], v[18:19]
	v_add_f64 v[4:5], v[4:5], v[12:13]
	v_add_f64 v[2:3], v[2:3], v[16:17]
	s_andn2_b64 exec, exec, s[6:7]
	s_cbranch_execnz .LBB113_205
; %bb.206:
	s_or_b64 exec, exec, s[6:7]
	v_mov_b32_e32 v0, 0
	ds_read_b128 v[8:11], v0 offset:768
	s_waitcnt lgkmcnt(0)
	v_mul_f64 v[12:13], v[2:3], v[10:11]
	v_mul_f64 v[10:11], v[4:5], v[10:11]
	v_fma_f64 v[4:5], v[4:5], v[8:9], -v[12:13]
	v_fmac_f64_e32 v[10:11], v[2:3], v[8:9]
	buffer_store_dword v5, off, s[0:3], 0 offset:788
	buffer_store_dword v4, off, s[0:3], 0 offset:784
	;; [unrolled: 1-line block ×4, first 2 shown]
.LBB113_207:
	s_or_b64 exec, exec, s[4:5]
	v_accvgpr_read_b32 v0, a100
	s_waitcnt lgkmcnt(0)
	; wave barrier
	buffer_load_dword v2, v0, s[0:3], 0 offen
	buffer_load_dword v3, v0, s[0:3], 0 offen offset:4
	buffer_load_dword v4, v0, s[0:3], 0 offen offset:8
	buffer_load_dword v5, v0, s[0:3], 0 offen offset:12
	v_cmp_ne_u32_e32 vcc, 49, v254
	s_waitcnt vmcnt(0)
	ds_write_b128 v6, v[2:5]
	s_waitcnt lgkmcnt(0)
	; wave barrier
	s_waitcnt lgkmcnt(0)
	s_and_saveexec_b64 s[4:5], vcc
	s_cbranch_execz .LBB113_211
; %bb.208:
	v_pk_mov_b32 v[2:3], 0, 0
	v_add_u32_e32 v6, 0x320, v1
	v_add_u32_e32 v1, 16, v1
	s_mov_b64 s[6:7], 0
	v_pk_mov_b32 v[4:5], v[2:3], v[2:3] op_sel:[0,1]
.LBB113_209:                            ; =>This Inner Loop Header: Depth=1
	buffer_load_dword v12, v1, s[0:3], 0 offen offset:8
	buffer_load_dword v13, v1, s[0:3], 0 offen offset:12
	buffer_load_dword v14, v1, s[0:3], 0 offen
	buffer_load_dword v15, v1, s[0:3], 0 offen offset:4
	ds_read_b128 v[8:11], v6
	v_add_u32_e32 v7, 1, v7
	v_cmp_lt_u32_e32 vcc, 47, v7
	v_add_u32_e32 v6, 16, v6
	v_add_u32_e32 v1, 16, v1
	s_or_b64 s[6:7], vcc, s[6:7]
	s_waitcnt vmcnt(2) lgkmcnt(0)
	v_mul_f64 v[16:17], v[10:11], v[12:13]
	v_mul_f64 v[12:13], v[8:9], v[12:13]
	s_waitcnt vmcnt(0)
	v_fma_f64 v[8:9], v[8:9], v[14:15], -v[16:17]
	v_fmac_f64_e32 v[12:13], v[10:11], v[14:15]
	v_add_f64 v[4:5], v[4:5], v[8:9]
	v_add_f64 v[2:3], v[2:3], v[12:13]
	s_andn2_b64 exec, exec, s[6:7]
	s_cbranch_execnz .LBB113_209
; %bb.210:
	s_or_b64 exec, exec, s[6:7]
	v_mov_b32_e32 v0, 0
	ds_read_b128 v[6:9], v0 offset:784
	s_waitcnt lgkmcnt(0)
	v_mul_f64 v[10:11], v[2:3], v[8:9]
	v_mul_f64 v[8:9], v[4:5], v[8:9]
	v_fma_f64 v[4:5], v[4:5], v[6:7], -v[10:11]
	v_fmac_f64_e32 v[8:9], v[2:3], v[6:7]
	buffer_store_dword v5, off, s[0:3], 0 offset:804
	buffer_store_dword v4, off, s[0:3], 0 offset:800
	;; [unrolled: 1-line block ×4, first 2 shown]
.LBB113_211:
	s_or_b64 exec, exec, s[4:5]
	s_mov_b64 s[6:7], -1
	s_waitcnt lgkmcnt(0)
	; wave barrier
.LBB113_212:
	s_and_b64 vcc, exec, s[6:7]
	s_cbranch_vccz .LBB113_214
; %bb.213:
	s_lshl_b64 s[4:5], s[8:9], 2
	s_add_u32 s4, s14, s4
	s_addc_u32 s5, s15, s5
	v_mov_b32_e32 v0, 0
	global_load_dword v0, v0, s[4:5]
	s_waitcnt vmcnt(0)
	v_cmp_ne_u32_e32 vcc, 0, v0
	s_cbranch_vccz .LBB113_215
.LBB113_214:
	s_endpgm
.LBB113_215:
	v_mov_b32_e32 v0, 0x320
	v_lshl_add_u32 v0, v254, 4, v0
	v_accvgpr_write_b32 a150, v0
	v_cmp_eq_u32_e32 vcc, 49, v254
	s_and_saveexec_b64 s[4:5], vcc
	s_cbranch_execz .LBB113_217
; %bb.216:
	v_accvgpr_read_b32 v0, a101
	buffer_load_dword v2, v0, s[0:3], 0 offen
	buffer_load_dword v3, v0, s[0:3], 0 offen offset:4
	buffer_load_dword v4, v0, s[0:3], 0 offen offset:8
	;; [unrolled: 1-line block ×3, first 2 shown]
	v_mov_b32_e32 v0, 0
	v_accvgpr_read_b32 v1, a150
	buffer_store_dword v0, off, s[0:3], 0 offset:784
	buffer_store_dword v0, off, s[0:3], 0 offset:788
	buffer_store_dword v0, off, s[0:3], 0 offset:792
	buffer_store_dword v0, off, s[0:3], 0 offset:796
	s_waitcnt vmcnt(4)
	ds_write_b128 v1, v[2:5]
.LBB113_217:
	s_or_b64 exec, exec, s[4:5]
	s_waitcnt lgkmcnt(0)
	; wave barrier
	s_waitcnt lgkmcnt(0)
	buffer_load_dword v6, off, s[0:3], 0 offset:808
	buffer_load_dword v7, off, s[0:3], 0 offset:812
	;; [unrolled: 1-line block ×8, first 2 shown]
	v_mov_b32_e32 v1, 0
	ds_read_b128 v[2:5], v1 offset:1584
	v_cmp_lt_u32_e32 vcc, 47, v254
	s_waitcnt vmcnt(6) lgkmcnt(0)
	v_mul_f64 v[14:15], v[2:3], v[6:7]
	v_mul_f64 v[6:7], v[4:5], v[6:7]
	s_waitcnt vmcnt(4)
	v_fma_f64 v[2:3], v[2:3], v[8:9], -v[6:7]
	v_fmac_f64_e32 v[14:15], v[4:5], v[8:9]
	v_add_f64 v[2:3], v[2:3], 0
	v_add_f64 v[4:5], v[14:15], 0
	s_waitcnt vmcnt(2)
	v_add_f64 v[2:3], v[10:11], -v[2:3]
	s_waitcnt vmcnt(0)
	v_add_f64 v[4:5], v[12:13], -v[4:5]
	buffer_store_dword v2, off, s[0:3], 0 offset:784
	buffer_store_dword v3, off, s[0:3], 0 offset:788
	;; [unrolled: 1-line block ×4, first 2 shown]
	s_and_saveexec_b64 s[4:5], vcc
	s_cbranch_execz .LBB113_219
; %bb.218:
	v_accvgpr_read_b32 v0, a102
	buffer_load_dword v2, v0, s[0:3], 0 offen
	buffer_load_dword v3, v0, s[0:3], 0 offen offset:4
	buffer_load_dword v4, v0, s[0:3], 0 offen offset:8
	;; [unrolled: 1-line block ×3, first 2 shown]
	v_accvgpr_read_b32 v0, a150
	buffer_store_dword v1, off, s[0:3], 0 offset:768
	buffer_store_dword v1, off, s[0:3], 0 offset:772
	;; [unrolled: 1-line block ×4, first 2 shown]
	s_waitcnt vmcnt(4)
	ds_write_b128 v0, v[2:5]
.LBB113_219:
	s_or_b64 exec, exec, s[4:5]
	s_waitcnt lgkmcnt(0)
	; wave barrier
	s_waitcnt lgkmcnt(0)
	buffer_load_dword v10, off, s[0:3], 0 offset:792
	buffer_load_dword v11, off, s[0:3], 0 offset:796
	buffer_load_dword v12, off, s[0:3], 0 offset:808
	buffer_load_dword v13, off, s[0:3], 0 offset:812
	buffer_load_dword v14, off, s[0:3], 0 offset:784
	buffer_load_dword v15, off, s[0:3], 0 offset:788
	buffer_load_dword v16, off, s[0:3], 0 offset:800
	buffer_load_dword v17, off, s[0:3], 0 offset:804
	buffer_load_dword v18, off, s[0:3], 0 offset:768
	buffer_load_dword v19, off, s[0:3], 0 offset:772
	buffer_load_dword v20, off, s[0:3], 0 offset:776
	buffer_load_dword v21, off, s[0:3], 0 offset:780
	ds_read_b128 v[2:5], v1 offset:1568
	ds_read_b128 v[6:9], v1 offset:1584
	v_cmp_lt_u32_e32 vcc, 46, v254
	s_waitcnt vmcnt(10) lgkmcnt(1)
	v_mul_f64 v[22:23], v[2:3], v[10:11]
	v_mul_f64 v[10:11], v[4:5], v[10:11]
	s_waitcnt vmcnt(8) lgkmcnt(0)
	v_mul_f64 v[24:25], v[6:7], v[12:13]
	v_mul_f64 v[12:13], v[8:9], v[12:13]
	s_waitcnt vmcnt(6)
	v_fma_f64 v[2:3], v[2:3], v[14:15], -v[10:11]
	v_fmac_f64_e32 v[22:23], v[4:5], v[14:15]
	s_waitcnt vmcnt(4)
	v_fma_f64 v[4:5], v[6:7], v[16:17], -v[12:13]
	v_add_f64 v[2:3], v[2:3], 0
	v_fmac_f64_e32 v[24:25], v[8:9], v[16:17]
	v_add_f64 v[6:7], v[22:23], 0
	v_add_f64 v[2:3], v[2:3], v[4:5]
	;; [unrolled: 1-line block ×3, first 2 shown]
	s_waitcnt vmcnt(2)
	v_add_f64 v[2:3], v[18:19], -v[2:3]
	s_waitcnt vmcnt(0)
	v_add_f64 v[4:5], v[20:21], -v[6:7]
	buffer_store_dword v2, off, s[0:3], 0 offset:768
	buffer_store_dword v3, off, s[0:3], 0 offset:772
	;; [unrolled: 1-line block ×4, first 2 shown]
	s_and_saveexec_b64 s[4:5], vcc
	s_cbranch_execz .LBB113_221
; %bb.220:
	v_accvgpr_read_b32 v0, a103
	buffer_load_dword v2, v0, s[0:3], 0 offen
	buffer_load_dword v3, v0, s[0:3], 0 offen offset:4
	buffer_load_dword v4, v0, s[0:3], 0 offen offset:8
	;; [unrolled: 1-line block ×3, first 2 shown]
	v_mov_b32_e32 v0, 0
	v_accvgpr_read_b32 v1, a150
	buffer_store_dword v0, off, s[0:3], 0 offset:752
	buffer_store_dword v0, off, s[0:3], 0 offset:756
	;; [unrolled: 1-line block ×4, first 2 shown]
	s_waitcnt vmcnt(4)
	ds_write_b128 v1, v[2:5]
.LBB113_221:
	s_or_b64 exec, exec, s[4:5]
	s_waitcnt lgkmcnt(0)
	; wave barrier
	s_waitcnt lgkmcnt(0)
	buffer_load_dword v14, off, s[0:3], 0 offset:776
	buffer_load_dword v15, off, s[0:3], 0 offset:780
	;; [unrolled: 1-line block ×16, first 2 shown]
	v_mov_b32_e32 v1, 0
	ds_read_b128 v[2:5], v1 offset:1552
	ds_read_b128 v[6:9], v1 offset:1568
	;; [unrolled: 1-line block ×3, first 2 shown]
	v_cmp_lt_u32_e32 vcc, 45, v254
	s_waitcnt vmcnt(14) lgkmcnt(2)
	v_mul_f64 v[30:31], v[2:3], v[14:15]
	v_mul_f64 v[14:15], v[4:5], v[14:15]
	s_waitcnt vmcnt(12) lgkmcnt(1)
	v_mul_f64 v[32:33], v[6:7], v[16:17]
	v_mul_f64 v[16:17], v[8:9], v[16:17]
	;; [unrolled: 3-line block ×3, first 2 shown]
	s_waitcnt vmcnt(8)
	v_fma_f64 v[2:3], v[2:3], v[20:21], -v[14:15]
	v_fmac_f64_e32 v[30:31], v[4:5], v[20:21]
	s_waitcnt vmcnt(6)
	v_fma_f64 v[4:5], v[6:7], v[22:23], -v[16:17]
	v_add_f64 v[2:3], v[2:3], 0
	v_fmac_f64_e32 v[32:33], v[8:9], v[22:23]
	s_waitcnt vmcnt(4)
	v_fma_f64 v[6:7], v[10:11], v[24:25], -v[18:19]
	v_add_f64 v[8:9], v[30:31], 0
	v_add_f64 v[2:3], v[2:3], v[4:5]
	v_fmac_f64_e32 v[34:35], v[12:13], v[24:25]
	v_add_f64 v[8:9], v[8:9], v[32:33]
	v_add_f64 v[2:3], v[2:3], v[6:7]
	;; [unrolled: 1-line block ×3, first 2 shown]
	s_waitcnt vmcnt(2)
	v_add_f64 v[2:3], v[26:27], -v[2:3]
	s_waitcnt vmcnt(0)
	v_add_f64 v[4:5], v[28:29], -v[4:5]
	buffer_store_dword v2, off, s[0:3], 0 offset:752
	buffer_store_dword v3, off, s[0:3], 0 offset:756
	;; [unrolled: 1-line block ×4, first 2 shown]
	s_and_saveexec_b64 s[4:5], vcc
	s_cbranch_execz .LBB113_223
; %bb.222:
	v_accvgpr_read_b32 v0, a104
	buffer_load_dword v2, v0, s[0:3], 0 offen
	buffer_load_dword v3, v0, s[0:3], 0 offen offset:4
	buffer_load_dword v4, v0, s[0:3], 0 offen offset:8
	;; [unrolled: 1-line block ×3, first 2 shown]
	v_accvgpr_read_b32 v0, a150
	buffer_store_dword v1, off, s[0:3], 0 offset:736
	buffer_store_dword v1, off, s[0:3], 0 offset:740
	;; [unrolled: 1-line block ×4, first 2 shown]
	s_waitcnt vmcnt(4)
	ds_write_b128 v0, v[2:5]
.LBB113_223:
	s_or_b64 exec, exec, s[4:5]
	s_waitcnt lgkmcnt(0)
	; wave barrier
	s_waitcnt lgkmcnt(0)
	buffer_load_dword v18, off, s[0:3], 0 offset:760
	buffer_load_dword v19, off, s[0:3], 0 offset:764
	;; [unrolled: 1-line block ×20, first 2 shown]
	ds_read_b128 v[2:5], v1 offset:1536
	ds_read_b128 v[6:9], v1 offset:1552
	;; [unrolled: 1-line block ×4, first 2 shown]
	v_cmp_lt_u32_e32 vcc, 44, v254
	s_waitcnt vmcnt(18) lgkmcnt(3)
	v_mul_f64 v[38:39], v[2:3], v[18:19]
	v_mul_f64 v[18:19], v[4:5], v[18:19]
	s_waitcnt vmcnt(16) lgkmcnt(2)
	v_mul_f64 v[40:41], v[6:7], v[20:21]
	v_mul_f64 v[20:21], v[8:9], v[20:21]
	;; [unrolled: 3-line block ×4, first 2 shown]
	s_waitcnt vmcnt(10)
	v_fma_f64 v[2:3], v[2:3], v[26:27], -v[18:19]
	v_fmac_f64_e32 v[38:39], v[4:5], v[26:27]
	s_waitcnt vmcnt(8)
	v_fma_f64 v[4:5], v[6:7], v[28:29], -v[20:21]
	v_add_f64 v[2:3], v[2:3], 0
	v_fmac_f64_e32 v[40:41], v[8:9], v[28:29]
	s_waitcnt vmcnt(6)
	v_fma_f64 v[6:7], v[10:11], v[30:31], -v[22:23]
	v_add_f64 v[10:11], v[38:39], 0
	v_add_f64 v[2:3], v[2:3], v[4:5]
	v_fmac_f64_e32 v[42:43], v[12:13], v[30:31]
	s_waitcnt vmcnt(4)
	v_fma_f64 v[8:9], v[14:15], v[32:33], -v[24:25]
	v_add_f64 v[10:11], v[10:11], v[40:41]
	v_add_f64 v[2:3], v[2:3], v[6:7]
	v_fmac_f64_e32 v[44:45], v[16:17], v[32:33]
	v_add_f64 v[4:5], v[10:11], v[42:43]
	v_add_f64 v[2:3], v[2:3], v[8:9]
	;; [unrolled: 1-line block ×3, first 2 shown]
	s_waitcnt vmcnt(2)
	v_add_f64 v[2:3], v[34:35], -v[2:3]
	s_waitcnt vmcnt(0)
	v_add_f64 v[4:5], v[36:37], -v[4:5]
	buffer_store_dword v2, off, s[0:3], 0 offset:736
	buffer_store_dword v3, off, s[0:3], 0 offset:740
	;; [unrolled: 1-line block ×4, first 2 shown]
	s_and_saveexec_b64 s[4:5], vcc
	s_cbranch_execz .LBB113_225
; %bb.224:
	v_accvgpr_read_b32 v0, a105
	buffer_load_dword v2, v0, s[0:3], 0 offen
	buffer_load_dword v3, v0, s[0:3], 0 offen offset:4
	buffer_load_dword v4, v0, s[0:3], 0 offen offset:8
	;; [unrolled: 1-line block ×3, first 2 shown]
	v_mov_b32_e32 v0, 0
	v_accvgpr_read_b32 v1, a150
	buffer_store_dword v0, off, s[0:3], 0 offset:720
	buffer_store_dword v0, off, s[0:3], 0 offset:724
	buffer_store_dword v0, off, s[0:3], 0 offset:728
	buffer_store_dword v0, off, s[0:3], 0 offset:732
	s_waitcnt vmcnt(4)
	ds_write_b128 v1, v[2:5]
.LBB113_225:
	s_or_b64 exec, exec, s[4:5]
	s_waitcnt lgkmcnt(0)
	; wave barrier
	s_waitcnt lgkmcnt(0)
	buffer_load_dword v22, off, s[0:3], 0 offset:744
	buffer_load_dword v23, off, s[0:3], 0 offset:748
	;; [unrolled: 1-line block ×24, first 2 shown]
	v_mov_b32_e32 v1, 0
	ds_read_b128 v[2:5], v1 offset:1520
	ds_read_b128 v[6:9], v1 offset:1536
	;; [unrolled: 1-line block ×5, first 2 shown]
	v_cmp_lt_u32_e32 vcc, 43, v254
	s_waitcnt vmcnt(22) lgkmcnt(4)
	v_mul_f64 v[46:47], v[2:3], v[22:23]
	v_mul_f64 v[22:23], v[4:5], v[22:23]
	s_waitcnt vmcnt(20) lgkmcnt(3)
	v_mul_f64 v[48:49], v[6:7], v[24:25]
	v_mul_f64 v[24:25], v[8:9], v[24:25]
	;; [unrolled: 3-line block ×4, first 2 shown]
	s_waitcnt vmcnt(13) lgkmcnt(0)
	v_mul_f64 v[54:55], v[18:19], v[28:29]
	s_waitcnt vmcnt(11)
	v_fma_f64 v[2:3], v[2:3], v[34:35], -v[22:23]
	v_fmac_f64_e32 v[46:47], v[4:5], v[34:35]
	s_waitcnt vmcnt(9)
	v_fma_f64 v[4:5], v[6:7], v[36:37], -v[24:25]
	v_add_f64 v[2:3], v[2:3], 0
	v_fmac_f64_e32 v[48:49], v[8:9], v[36:37]
	s_waitcnt vmcnt(7)
	v_fmac_f64_e32 v[50:51], v[12:13], v[38:39]
	v_fma_f64 v[6:7], v[10:11], v[38:39], -v[26:27]
	v_add_f64 v[12:13], v[46:47], 0
	v_add_f64 v[2:3], v[2:3], v[4:5]
	v_mul_f64 v[28:29], v[20:21], v[28:29]
	s_waitcnt vmcnt(5)
	v_fma_f64 v[8:9], v[14:15], v[40:41], -v[32:33]
	v_add_f64 v[12:13], v[12:13], v[48:49]
	v_add_f64 v[2:3], v[2:3], v[6:7]
	v_fmac_f64_e32 v[52:53], v[16:17], v[40:41]
	s_waitcnt vmcnt(4)
	v_fma_f64 v[10:11], v[18:19], v[30:31], -v[28:29]
	v_add_f64 v[4:5], v[12:13], v[50:51]
	v_add_f64 v[2:3], v[2:3], v[8:9]
	v_fmac_f64_e32 v[54:55], v[20:21], v[30:31]
	v_add_f64 v[4:5], v[4:5], v[52:53]
	v_add_f64 v[2:3], v[2:3], v[10:11]
	;; [unrolled: 1-line block ×3, first 2 shown]
	s_waitcnt vmcnt(2)
	v_add_f64 v[2:3], v[42:43], -v[2:3]
	s_waitcnt vmcnt(0)
	v_add_f64 v[4:5], v[44:45], -v[4:5]
	buffer_store_dword v3, off, s[0:3], 0 offset:724
	buffer_store_dword v2, off, s[0:3], 0 offset:720
	;; [unrolled: 1-line block ×4, first 2 shown]
	s_and_saveexec_b64 s[4:5], vcc
	s_cbranch_execz .LBB113_227
; %bb.226:
	v_accvgpr_read_b32 v0, a106
	buffer_load_dword v2, v0, s[0:3], 0 offen
	buffer_load_dword v3, v0, s[0:3], 0 offen offset:4
	buffer_load_dword v4, v0, s[0:3], 0 offen offset:8
	;; [unrolled: 1-line block ×3, first 2 shown]
	v_accvgpr_read_b32 v0, a150
	buffer_store_dword v1, off, s[0:3], 0 offset:704
	buffer_store_dword v1, off, s[0:3], 0 offset:708
	;; [unrolled: 1-line block ×4, first 2 shown]
	s_waitcnt vmcnt(4)
	ds_write_b128 v0, v[2:5]
.LBB113_227:
	s_or_b64 exec, exec, s[4:5]
	s_waitcnt lgkmcnt(0)
	; wave barrier
	s_waitcnt lgkmcnt(0)
	buffer_load_dword v26, off, s[0:3], 0 offset:728
	buffer_load_dword v27, off, s[0:3], 0 offset:732
	;; [unrolled: 1-line block ×28, first 2 shown]
	ds_read_b128 v[2:5], v1 offset:1504
	ds_read_b128 v[6:9], v1 offset:1520
	;; [unrolled: 1-line block ×6, first 2 shown]
	v_cmp_lt_u32_e32 vcc, 42, v254
	s_waitcnt vmcnt(26) lgkmcnt(5)
	v_mul_f64 v[54:55], v[2:3], v[26:27]
	v_mul_f64 v[26:27], v[4:5], v[26:27]
	s_waitcnt vmcnt(24) lgkmcnt(4)
	v_mul_f64 v[56:57], v[6:7], v[28:29]
	v_mul_f64 v[28:29], v[8:9], v[28:29]
	;; [unrolled: 3-line block ×4, first 2 shown]
	s_waitcnt vmcnt(17)
	v_mul_f64 v[60:61], v[14:15], v[36:37]
	v_mul_f64 v[36:37], v[16:17], v[36:37]
	s_waitcnt vmcnt(15) lgkmcnt(0)
	v_mul_f64 v[64:65], v[22:23], v[38:39]
	v_mul_f64 v[38:39], v[24:25], v[38:39]
	s_waitcnt vmcnt(14)
	v_fmac_f64_e32 v[62:63], v[20:21], v[34:35]
	s_waitcnt vmcnt(12)
	v_fma_f64 v[2:3], v[2:3], v[40:41], -v[26:27]
	v_fmac_f64_e32 v[54:55], v[4:5], v[40:41]
	s_waitcnt vmcnt(10)
	v_fma_f64 v[4:5], v[6:7], v[42:43], -v[28:29]
	v_add_f64 v[2:3], v[2:3], 0
	v_fmac_f64_e32 v[56:57], v[8:9], v[42:43]
	s_waitcnt vmcnt(8)
	v_fma_f64 v[6:7], v[10:11], v[44:45], -v[30:31]
	s_waitcnt vmcnt(6)
	v_fma_f64 v[8:9], v[14:15], v[46:47], -v[36:37]
	v_add_f64 v[14:15], v[54:55], 0
	v_add_f64 v[2:3], v[2:3], v[4:5]
	v_fmac_f64_e32 v[58:59], v[12:13], v[44:45]
	v_add_f64 v[14:15], v[14:15], v[56:57]
	v_add_f64 v[2:3], v[2:3], v[6:7]
	v_fmac_f64_e32 v[60:61], v[16:17], v[46:47]
	v_fma_f64 v[10:11], v[18:19], v[34:35], -v[32:33]
	v_add_f64 v[4:5], v[14:15], v[58:59]
	v_add_f64 v[2:3], v[2:3], v[8:9]
	s_waitcnt vmcnt(4)
	v_fma_f64 v[12:13], v[22:23], v[48:49], -v[38:39]
	v_add_f64 v[4:5], v[4:5], v[60:61]
	v_add_f64 v[2:3], v[2:3], v[10:11]
	v_fmac_f64_e32 v[64:65], v[24:25], v[48:49]
	v_add_f64 v[4:5], v[4:5], v[62:63]
	v_add_f64 v[2:3], v[2:3], v[12:13]
	;; [unrolled: 1-line block ×3, first 2 shown]
	s_waitcnt vmcnt(2)
	v_add_f64 v[2:3], v[50:51], -v[2:3]
	s_waitcnt vmcnt(0)
	v_add_f64 v[4:5], v[52:53], -v[4:5]
	buffer_store_dword v3, off, s[0:3], 0 offset:708
	buffer_store_dword v2, off, s[0:3], 0 offset:704
	;; [unrolled: 1-line block ×4, first 2 shown]
	s_and_saveexec_b64 s[4:5], vcc
	s_cbranch_execz .LBB113_229
; %bb.228:
	v_accvgpr_read_b32 v0, a107
	buffer_load_dword v2, v0, s[0:3], 0 offen
	buffer_load_dword v3, v0, s[0:3], 0 offen offset:4
	buffer_load_dword v4, v0, s[0:3], 0 offen offset:8
	buffer_load_dword v5, v0, s[0:3], 0 offen offset:12
	v_mov_b32_e32 v0, 0
	v_accvgpr_read_b32 v1, a150
	buffer_store_dword v0, off, s[0:3], 0 offset:688
	buffer_store_dword v0, off, s[0:3], 0 offset:692
	;; [unrolled: 1-line block ×4, first 2 shown]
	s_waitcnt vmcnt(4)
	ds_write_b128 v1, v[2:5]
.LBB113_229:
	s_or_b64 exec, exec, s[4:5]
	s_waitcnt lgkmcnt(0)
	; wave barrier
	s_waitcnt lgkmcnt(0)
	buffer_load_dword v30, off, s[0:3], 0 offset:712
	buffer_load_dword v31, off, s[0:3], 0 offset:716
	;; [unrolled: 1-line block ×32, first 2 shown]
	v_mov_b32_e32 v1, 0
	ds_read_b128 v[2:5], v1 offset:1488
	ds_read_b128 v[6:9], v1 offset:1504
	;; [unrolled: 1-line block ×7, first 2 shown]
	v_cmp_lt_u32_e32 vcc, 41, v254
	s_waitcnt vmcnt(30) lgkmcnt(6)
	v_mul_f64 v[62:63], v[2:3], v[30:31]
	v_mul_f64 v[30:31], v[4:5], v[30:31]
	s_waitcnt vmcnt(28) lgkmcnt(5)
	v_mul_f64 v[64:65], v[6:7], v[32:33]
	v_mul_f64 v[32:33], v[8:9], v[32:33]
	;; [unrolled: 3-line block ×4, first 2 shown]
	s_waitcnt vmcnt(21)
	v_mul_f64 v[68:69], v[14:15], v[40:41]
	v_mul_f64 v[40:41], v[16:17], v[40:41]
	s_waitcnt vmcnt(17) lgkmcnt(1)
	v_mul_f64 v[72:73], v[22:23], v[46:47]
	v_mul_f64 v[46:47], v[24:25], v[46:47]
	s_waitcnt vmcnt(16) lgkmcnt(0)
	v_mul_f64 v[74:75], v[26:27], v[42:43]
	v_mul_f64 v[42:43], v[28:29], v[42:43]
	s_waitcnt vmcnt(13)
	v_fma_f64 v[2:3], v[2:3], v[48:49], -v[30:31]
	v_fmac_f64_e32 v[62:63], v[4:5], v[48:49]
	s_waitcnt vmcnt(11)
	v_fma_f64 v[4:5], v[6:7], v[50:51], -v[32:33]
	v_add_f64 v[2:3], v[2:3], 0
	v_fmac_f64_e32 v[64:65], v[8:9], v[50:51]
	s_waitcnt vmcnt(9)
	v_fma_f64 v[6:7], v[10:11], v[52:53], -v[34:35]
	s_waitcnt vmcnt(7)
	v_fmac_f64_e32 v[68:69], v[16:17], v[54:55]
	v_add_f64 v[16:17], v[62:63], 0
	v_add_f64 v[2:3], v[2:3], v[4:5]
	v_fmac_f64_e32 v[66:67], v[12:13], v[52:53]
	v_fma_f64 v[8:9], v[14:15], v[54:55], -v[40:41]
	v_add_f64 v[16:17], v[16:17], v[64:65]
	v_add_f64 v[2:3], v[2:3], v[6:7]
	v_fma_f64 v[10:11], v[18:19], v[38:39], -v[36:37]
	v_add_f64 v[4:5], v[16:17], v[66:67]
	v_add_f64 v[2:3], v[2:3], v[8:9]
	v_fmac_f64_e32 v[70:71], v[20:21], v[38:39]
	s_waitcnt vmcnt(5)
	v_fma_f64 v[12:13], v[22:23], v[56:57], -v[46:47]
	v_add_f64 v[4:5], v[4:5], v[68:69]
	v_add_f64 v[2:3], v[2:3], v[10:11]
	v_fmac_f64_e32 v[72:73], v[24:25], v[56:57]
	s_waitcnt vmcnt(4)
	v_fma_f64 v[14:15], v[26:27], v[44:45], -v[42:43]
	v_add_f64 v[4:5], v[4:5], v[70:71]
	v_add_f64 v[2:3], v[2:3], v[12:13]
	v_fmac_f64_e32 v[74:75], v[28:29], v[44:45]
	v_add_f64 v[4:5], v[4:5], v[72:73]
	v_add_f64 v[2:3], v[2:3], v[14:15]
	;; [unrolled: 1-line block ×3, first 2 shown]
	s_waitcnt vmcnt(2)
	v_add_f64 v[2:3], v[58:59], -v[2:3]
	s_waitcnt vmcnt(0)
	v_add_f64 v[4:5], v[60:61], -v[4:5]
	buffer_store_dword v3, off, s[0:3], 0 offset:692
	buffer_store_dword v2, off, s[0:3], 0 offset:688
	;; [unrolled: 1-line block ×4, first 2 shown]
	s_and_saveexec_b64 s[4:5], vcc
	s_cbranch_execz .LBB113_231
; %bb.230:
	v_accvgpr_read_b32 v0, a108
	buffer_load_dword v2, v0, s[0:3], 0 offen
	buffer_load_dword v3, v0, s[0:3], 0 offen offset:4
	buffer_load_dword v4, v0, s[0:3], 0 offen offset:8
	;; [unrolled: 1-line block ×3, first 2 shown]
	v_accvgpr_read_b32 v0, a150
	buffer_store_dword v1, off, s[0:3], 0 offset:672
	buffer_store_dword v1, off, s[0:3], 0 offset:676
	;; [unrolled: 1-line block ×4, first 2 shown]
	s_waitcnt vmcnt(4)
	ds_write_b128 v0, v[2:5]
.LBB113_231:
	s_or_b64 exec, exec, s[4:5]
	s_waitcnt lgkmcnt(0)
	; wave barrier
	s_waitcnt lgkmcnt(0)
	buffer_load_dword v34, off, s[0:3], 0 offset:696
	buffer_load_dword v35, off, s[0:3], 0 offset:700
	;; [unrolled: 1-line block ×36, first 2 shown]
	ds_read_b128 v[2:5], v1 offset:1472
	ds_read_b128 v[6:9], v1 offset:1488
	;; [unrolled: 1-line block ×8, first 2 shown]
	v_cmp_lt_u32_e32 vcc, 40, v254
	s_waitcnt vmcnt(34) lgkmcnt(7)
	v_mul_f64 v[70:71], v[2:3], v[34:35]
	v_mul_f64 v[34:35], v[4:5], v[34:35]
	s_waitcnt vmcnt(32) lgkmcnt(6)
	v_mul_f64 v[72:73], v[6:7], v[36:37]
	v_mul_f64 v[36:37], v[8:9], v[36:37]
	;; [unrolled: 3-line block ×4, first 2 shown]
	s_waitcnt vmcnt(25)
	v_mul_f64 v[76:77], v[14:15], v[44:45]
	v_mul_f64 v[44:45], v[16:17], v[44:45]
	s_waitcnt vmcnt(23) lgkmcnt(1)
	v_mul_f64 v[82:83], v[26:27], v[46:47]
	v_mul_f64 v[46:47], v[28:29], v[46:47]
	s_waitcnt vmcnt(20)
	v_mul_f64 v[80:81], v[22:23], v[50:51]
	v_mul_f64 v[50:51], v[24:25], v[50:51]
	s_waitcnt vmcnt(18) lgkmcnt(0)
	v_mul_f64 v[84:85], v[30:31], v[52:53]
	s_waitcnt vmcnt(17)
	v_fmac_f64_e32 v[78:79], v[20:21], v[42:43]
	s_waitcnt vmcnt(16)
	v_fmac_f64_e32 v[82:83], v[28:29], v[48:49]
	s_waitcnt vmcnt(14)
	v_fma_f64 v[2:3], v[2:3], v[54:55], -v[34:35]
	v_fmac_f64_e32 v[70:71], v[4:5], v[54:55]
	s_waitcnt vmcnt(12)
	v_fma_f64 v[4:5], v[6:7], v[56:57], -v[36:37]
	v_add_f64 v[2:3], v[2:3], 0
	v_fmac_f64_e32 v[72:73], v[8:9], v[56:57]
	s_waitcnt vmcnt(10)
	v_fma_f64 v[6:7], v[10:11], v[58:59], -v[38:39]
	s_waitcnt vmcnt(8)
	v_fmac_f64_e32 v[76:77], v[16:17], v[60:61]
	v_add_f64 v[16:17], v[70:71], 0
	v_add_f64 v[2:3], v[2:3], v[4:5]
	v_fmac_f64_e32 v[74:75], v[12:13], v[58:59]
	v_fma_f64 v[8:9], v[14:15], v[60:61], -v[44:45]
	v_add_f64 v[16:17], v[16:17], v[72:73]
	v_add_f64 v[2:3], v[2:3], v[6:7]
	v_fma_f64 v[10:11], v[18:19], v[42:43], -v[40:41]
	v_add_f64 v[4:5], v[16:17], v[74:75]
	v_add_f64 v[2:3], v[2:3], v[8:9]
	s_waitcnt vmcnt(6)
	v_fma_f64 v[12:13], v[22:23], v[62:63], -v[50:51]
	v_add_f64 v[4:5], v[4:5], v[76:77]
	v_add_f64 v[2:3], v[2:3], v[10:11]
	v_fmac_f64_e32 v[80:81], v[24:25], v[62:63]
	v_fma_f64 v[14:15], v[26:27], v[48:49], -v[46:47]
	v_add_f64 v[4:5], v[4:5], v[78:79]
	v_add_f64 v[2:3], v[2:3], v[12:13]
	v_mul_f64 v[6:7], v[32:33], v[52:53]
	v_add_f64 v[4:5], v[4:5], v[80:81]
	v_add_f64 v[2:3], v[2:3], v[14:15]
	s_waitcnt vmcnt(4)
	v_fma_f64 v[6:7], v[30:31], v[64:65], -v[6:7]
	v_fmac_f64_e32 v[84:85], v[32:33], v[64:65]
	v_add_f64 v[4:5], v[4:5], v[82:83]
	v_add_f64 v[2:3], v[2:3], v[6:7]
	;; [unrolled: 1-line block ×3, first 2 shown]
	s_waitcnt vmcnt(2)
	v_add_f64 v[2:3], v[66:67], -v[2:3]
	s_waitcnt vmcnt(0)
	v_add_f64 v[4:5], v[68:69], -v[4:5]
	buffer_store_dword v3, off, s[0:3], 0 offset:676
	buffer_store_dword v2, off, s[0:3], 0 offset:672
	;; [unrolled: 1-line block ×4, first 2 shown]
	s_and_saveexec_b64 s[4:5], vcc
	s_cbranch_execz .LBB113_233
; %bb.232:
	v_accvgpr_read_b32 v0, a109
	buffer_load_dword v2, v0, s[0:3], 0 offen
	buffer_load_dword v3, v0, s[0:3], 0 offen offset:4
	buffer_load_dword v4, v0, s[0:3], 0 offen offset:8
	;; [unrolled: 1-line block ×3, first 2 shown]
	v_mov_b32_e32 v0, 0
	v_accvgpr_read_b32 v1, a150
	buffer_store_dword v0, off, s[0:3], 0 offset:656
	buffer_store_dword v0, off, s[0:3], 0 offset:660
	;; [unrolled: 1-line block ×4, first 2 shown]
	s_waitcnt vmcnt(4)
	ds_write_b128 v1, v[2:5]
.LBB113_233:
	s_or_b64 exec, exec, s[4:5]
	s_waitcnt lgkmcnt(0)
	; wave barrier
	s_waitcnt lgkmcnt(0)
	buffer_load_dword v38, off, s[0:3], 0 offset:680
	buffer_load_dword v39, off, s[0:3], 0 offset:684
	;; [unrolled: 1-line block ×40, first 2 shown]
	v_mov_b32_e32 v1, 0
	ds_read_b128 v[2:5], v1 offset:1456
	ds_read_b128 v[6:9], v1 offset:1472
	;; [unrolled: 1-line block ×9, first 2 shown]
	v_cmp_lt_u32_e32 vcc, 39, v254
	s_waitcnt vmcnt(38) lgkmcnt(8)
	v_mul_f64 v[78:79], v[2:3], v[38:39]
	v_mul_f64 v[38:39], v[4:5], v[38:39]
	s_waitcnt vmcnt(36) lgkmcnt(7)
	v_mul_f64 v[80:81], v[6:7], v[40:41]
	v_mul_f64 v[40:41], v[8:9], v[40:41]
	;; [unrolled: 3-line block ×3, first 2 shown]
	s_waitcnt vmcnt(32) lgkmcnt(4)
	v_mul_f64 v[86:87], v[18:19], v[44:45]
	s_waitcnt vmcnt(30)
	v_fmac_f64_e32 v[86:87], v[20:21], v[46:47]
	s_waitcnt vmcnt(28)
	v_mul_f64 v[84:85], v[14:15], v[48:49]
	v_mul_f64 v[48:49], v[16:17], v[48:49]
	s_waitcnt vmcnt(26) lgkmcnt(2)
	v_mul_f64 v[90:91], v[26:27], v[50:51]
	s_waitcnt vmcnt(24)
	v_fmac_f64_e32 v[90:91], v[28:29], v[52:53]
	s_waitcnt vmcnt(22)
	v_mul_f64 v[88:89], v[22:23], v[54:55]
	s_waitcnt vmcnt(18) lgkmcnt(1)
	v_mul_f64 v[92:93], v[30:31], v[60:61]
	s_waitcnt vmcnt(17) lgkmcnt(0)
	v_mul_f64 v[94:95], v[34:35], v[56:57]
	s_waitcnt vmcnt(15)
	v_fma_f64 v[2:3], v[2:3], v[62:63], -v[38:39]
	v_fmac_f64_e32 v[78:79], v[4:5], v[62:63]
	s_waitcnt vmcnt(13)
	v_fma_f64 v[4:5], v[6:7], v[64:65], -v[40:41]
	v_add_f64 v[2:3], v[2:3], 0
	s_waitcnt vmcnt(11)
	v_fma_f64 v[6:7], v[10:11], v[66:67], -v[42:43]
	v_add_f64 v[2:3], v[2:3], v[4:5]
	v_fmac_f64_e32 v[80:81], v[8:9], v[64:65]
	s_waitcnt vmcnt(9)
	v_fma_f64 v[8:9], v[14:15], v[68:69], -v[48:49]
	v_add_f64 v[2:3], v[2:3], v[6:7]
	v_mul_f64 v[6:7], v[20:21], v[44:45]
	v_add_f64 v[2:3], v[2:3], v[8:9]
	v_fma_f64 v[6:7], v[18:19], v[46:47], -v[6:7]
	v_add_f64 v[2:3], v[2:3], v[6:7]
	v_mul_f64 v[6:7], v[24:25], v[54:55]
	v_add_f64 v[10:11], v[78:79], 0
	s_waitcnt vmcnt(7)
	v_fma_f64 v[6:7], v[22:23], v[70:71], -v[6:7]
	v_fmac_f64_e32 v[82:83], v[12:13], v[66:67]
	v_add_f64 v[10:11], v[10:11], v[80:81]
	v_add_f64 v[2:3], v[2:3], v[6:7]
	v_mul_f64 v[6:7], v[28:29], v[50:51]
	v_fmac_f64_e32 v[84:85], v[16:17], v[68:69]
	v_add_f64 v[4:5], v[10:11], v[82:83]
	v_fma_f64 v[6:7], v[26:27], v[52:53], -v[6:7]
	v_add_f64 v[4:5], v[4:5], v[84:85]
	v_add_f64 v[2:3], v[2:3], v[6:7]
	v_mul_f64 v[6:7], v[32:33], v[60:61]
	v_fmac_f64_e32 v[88:89], v[24:25], v[70:71]
	v_add_f64 v[4:5], v[4:5], v[86:87]
	s_waitcnt vmcnt(5)
	v_fma_f64 v[6:7], v[30:31], v[72:73], -v[6:7]
	v_add_f64 v[4:5], v[4:5], v[88:89]
	v_add_f64 v[2:3], v[2:3], v[6:7]
	v_mul_f64 v[6:7], v[36:37], v[56:57]
	v_fmac_f64_e32 v[92:93], v[32:33], v[72:73]
	v_add_f64 v[4:5], v[4:5], v[90:91]
	s_waitcnt vmcnt(4)
	v_fma_f64 v[6:7], v[34:35], v[58:59], -v[6:7]
	v_fmac_f64_e32 v[94:95], v[36:37], v[58:59]
	v_add_f64 v[4:5], v[4:5], v[92:93]
	v_add_f64 v[2:3], v[2:3], v[6:7]
	;; [unrolled: 1-line block ×3, first 2 shown]
	s_waitcnt vmcnt(2)
	v_add_f64 v[2:3], v[74:75], -v[2:3]
	s_waitcnt vmcnt(0)
	v_add_f64 v[4:5], v[76:77], -v[4:5]
	buffer_store_dword v3, off, s[0:3], 0 offset:660
	buffer_store_dword v2, off, s[0:3], 0 offset:656
	;; [unrolled: 1-line block ×4, first 2 shown]
	s_and_saveexec_b64 s[4:5], vcc
	s_cbranch_execz .LBB113_235
; %bb.234:
	v_accvgpr_read_b32 v0, a110
	buffer_load_dword v2, v0, s[0:3], 0 offen
	buffer_load_dword v3, v0, s[0:3], 0 offen offset:4
	buffer_load_dword v4, v0, s[0:3], 0 offen offset:8
	;; [unrolled: 1-line block ×3, first 2 shown]
	v_accvgpr_read_b32 v0, a150
	buffer_store_dword v1, off, s[0:3], 0 offset:640
	buffer_store_dword v1, off, s[0:3], 0 offset:644
	;; [unrolled: 1-line block ×4, first 2 shown]
	s_waitcnt vmcnt(4)
	ds_write_b128 v0, v[2:5]
.LBB113_235:
	s_or_b64 exec, exec, s[4:5]
	s_waitcnt lgkmcnt(0)
	; wave barrier
	s_waitcnt lgkmcnt(0)
	ds_read_b128 v[18:21], v1 offset:1440
	ds_read_b128 v[10:13], v1 offset:1456
	;; [unrolled: 1-line block ×4, first 2 shown]
	buffer_load_dword v44, off, s[0:3], 0 offset:640
	buffer_load_dword v45, off, s[0:3], 0 offset:644
	;; [unrolled: 1-line block ×20, first 2 shown]
	v_cmp_lt_u32_e32 vcc, 38, v254
	s_waitcnt vmcnt(12) lgkmcnt(3)
	v_mul_f64 v[14:15], v[18:19], v[62:63]
	v_fmac_f64_e32 v[14:15], v[20:21], v[58:59]
	v_add_f64 v[14:15], v[14:15], 0
	v_mul_f64 v[20:21], v[20:21], v[62:63]
	s_waitcnt vmcnt(8) lgkmcnt(2)
	v_mul_f64 v[16:17], v[10:11], v[60:61]
	v_fmac_f64_e32 v[16:17], v[12:13], v[56:57]
	v_add_f64 v[14:15], v[14:15], v[16:17]
	v_fma_f64 v[18:19], v[18:19], v[58:59], -v[20:21]
	s_waitcnt vmcnt(4) lgkmcnt(1)
	v_mul_f64 v[16:17], v[6:7], v[48:49]
	v_fmac_f64_e32 v[16:17], v[8:9], v[46:47]
	v_add_f64 v[14:15], v[14:15], v[16:17]
	s_waitcnt vmcnt(0) lgkmcnt(0)
	v_mul_f64 v[16:17], v[2:3], v[52:53]
	v_fmac_f64_e32 v[16:17], v[4:5], v[50:51]
	v_add_f64 v[22:23], v[14:15], v[16:17]
	ds_read_b128 v[14:17], v1 offset:1504
	buffer_load_dword v55, off, s[0:3], 0 offset:724
	buffer_load_dword v54, off, s[0:3], 0 offset:720
	;; [unrolled: 1-line block ×4, first 2 shown]
	v_mul_f64 v[12:13], v[12:13], v[60:61]
	v_add_f64 v[18:19], v[18:19], 0
	v_fma_f64 v[10:11], v[10:11], v[56:57], -v[12:13]
	v_mul_f64 v[8:9], v[8:9], v[48:49]
	v_add_f64 v[10:11], v[18:19], v[10:11]
	v_fma_f64 v[6:7], v[6:7], v[46:47], -v[8:9]
	;; [unrolled: 3-line block ×3, first 2 shown]
	v_add_f64 v[2:3], v[6:7], v[2:3]
	s_waitcnt vmcnt(0) lgkmcnt(0)
	v_mul_f64 v[24:25], v[14:15], v[64:65]
	v_fmac_f64_e32 v[24:25], v[16:17], v[54:55]
	v_add_f64 v[26:27], v[22:23], v[24:25]
	ds_read_b128 v[22:25], v1 offset:1520
	buffer_load_dword v67, off, s[0:3], 0 offset:740
	buffer_load_dword v66, off, s[0:3], 0 offset:736
	buffer_load_dword v69, off, s[0:3], 0 offset:748
	buffer_load_dword v68, off, s[0:3], 0 offset:744
	v_mul_f64 v[4:5], v[16:17], v[64:65]
	v_fma_f64 v[4:5], v[14:15], v[54:55], -v[4:5]
	v_add_f64 v[2:3], v[2:3], v[4:5]
	s_waitcnt vmcnt(0) lgkmcnt(0)
	v_mul_f64 v[28:29], v[22:23], v[68:69]
	v_fmac_f64_e32 v[28:29], v[24:25], v[66:67]
	v_add_f64 v[30:31], v[26:27], v[28:29]
	ds_read_b128 v[26:29], v1 offset:1536
	buffer_load_dword v71, off, s[0:3], 0 offset:756
	buffer_load_dword v70, off, s[0:3], 0 offset:752
	buffer_load_dword v73, off, s[0:3], 0 offset:764
	buffer_load_dword v72, off, s[0:3], 0 offset:760
	v_mul_f64 v[4:5], v[24:25], v[68:69]
	v_fma_f64 v[4:5], v[22:23], v[66:67], -v[4:5]
	;; [unrolled: 12-line block ×5, first 2 shown]
	v_add_f64 v[2:3], v[2:3], v[4:5]
	s_waitcnt vmcnt(0) lgkmcnt(0)
	v_mul_f64 v[4:5], v[40:41], v[86:87]
	v_mul_f64 v[88:89], v[38:39], v[86:87]
	v_fma_f64 v[4:5], v[38:39], v[82:83], -v[4:5]
	v_fmac_f64_e32 v[88:89], v[40:41], v[82:83]
	v_add_f64 v[2:3], v[2:3], v[4:5]
	v_add_f64 v[84:85], v[84:85], v[88:89]
	v_add_f64 v[2:3], v[44:45], -v[2:3]
	v_add_f64 v[4:5], v[42:43], -v[84:85]
	buffer_store_dword v3, off, s[0:3], 0 offset:644
	buffer_store_dword v2, off, s[0:3], 0 offset:640
	buffer_store_dword v5, off, s[0:3], 0 offset:652
	buffer_store_dword v4, off, s[0:3], 0 offset:648
	s_and_saveexec_b64 s[4:5], vcc
	s_cbranch_execz .LBB113_237
; %bb.236:
	v_accvgpr_read_b32 v0, a111
	buffer_load_dword v2, v0, s[0:3], 0 offen
	buffer_load_dword v3, v0, s[0:3], 0 offen offset:4
	buffer_load_dword v4, v0, s[0:3], 0 offen offset:8
	;; [unrolled: 1-line block ×3, first 2 shown]
	v_mov_b32_e32 v0, 0
	v_accvgpr_read_b32 v1, a150
	buffer_store_dword v0, off, s[0:3], 0 offset:624
	buffer_store_dword v0, off, s[0:3], 0 offset:628
	;; [unrolled: 1-line block ×4, first 2 shown]
	s_waitcnt vmcnt(4)
	ds_write_b128 v1, v[2:5]
.LBB113_237:
	s_or_b64 exec, exec, s[4:5]
	v_mov_b32_e32 v1, 0
	s_waitcnt lgkmcnt(0)
	; wave barrier
	s_waitcnt lgkmcnt(0)
	ds_read_b128 v[14:17], v1 offset:1424
	ds_read_b128 v[10:13], v1 offset:1440
	;; [unrolled: 1-line block ×4, first 2 shown]
	buffer_load_dword v48, off, s[0:3], 0 offset:624
	buffer_load_dword v49, off, s[0:3], 0 offset:628
	;; [unrolled: 1-line block ×20, first 2 shown]
	v_cmp_lt_u32_e32 vcc, 37, v254
	s_waitcnt vmcnt(12) lgkmcnt(3)
	v_mul_f64 v[18:19], v[14:15], v[56:57]
	v_fmac_f64_e32 v[18:19], v[16:17], v[50:51]
	v_add_f64 v[18:19], v[18:19], 0
	v_mul_f64 v[16:17], v[16:17], v[56:57]
	s_waitcnt vmcnt(8) lgkmcnt(2)
	v_mul_f64 v[20:21], v[10:11], v[58:59]
	v_fmac_f64_e32 v[20:21], v[12:13], v[52:53]
	v_add_f64 v[18:19], v[18:19], v[20:21]
	v_fma_f64 v[14:15], v[14:15], v[50:51], -v[16:17]
	s_waitcnt vmcnt(4) lgkmcnt(1)
	v_mul_f64 v[20:21], v[6:7], v[60:61]
	v_fmac_f64_e32 v[20:21], v[8:9], v[54:55]
	v_add_f64 v[18:19], v[18:19], v[20:21]
	s_waitcnt vmcnt(0) lgkmcnt(0)
	v_mul_f64 v[20:21], v[2:3], v[64:65]
	v_fmac_f64_e32 v[20:21], v[4:5], v[62:63]
	v_add_f64 v[22:23], v[18:19], v[20:21]
	ds_read_b128 v[18:21], v1 offset:1488
	buffer_load_dword v67, off, s[0:3], 0 offset:708
	buffer_load_dword v66, off, s[0:3], 0 offset:704
	;; [unrolled: 1-line block ×4, first 2 shown]
	v_mul_f64 v[12:13], v[12:13], v[58:59]
	v_add_f64 v[14:15], v[14:15], 0
	v_fma_f64 v[10:11], v[10:11], v[52:53], -v[12:13]
	v_mul_f64 v[8:9], v[8:9], v[60:61]
	v_add_f64 v[10:11], v[14:15], v[10:11]
	v_fma_f64 v[6:7], v[6:7], v[54:55], -v[8:9]
	;; [unrolled: 3-line block ×3, first 2 shown]
	v_add_f64 v[2:3], v[6:7], v[2:3]
	s_waitcnt vmcnt(0) lgkmcnt(0)
	v_mul_f64 v[24:25], v[18:19], v[68:69]
	v_fmac_f64_e32 v[24:25], v[20:21], v[66:67]
	v_add_f64 v[26:27], v[22:23], v[24:25]
	ds_read_b128 v[22:25], v1 offset:1504
	buffer_load_dword v71, off, s[0:3], 0 offset:724
	buffer_load_dword v70, off, s[0:3], 0 offset:720
	buffer_load_dword v73, off, s[0:3], 0 offset:732
	buffer_load_dword v72, off, s[0:3], 0 offset:728
	v_mul_f64 v[4:5], v[20:21], v[68:69]
	v_fma_f64 v[4:5], v[18:19], v[66:67], -v[4:5]
	v_add_f64 v[2:3], v[2:3], v[4:5]
	s_waitcnt vmcnt(0) lgkmcnt(0)
	v_mul_f64 v[28:29], v[22:23], v[72:73]
	v_fmac_f64_e32 v[28:29], v[24:25], v[70:71]
	v_add_f64 v[30:31], v[26:27], v[28:29]
	ds_read_b128 v[26:29], v1 offset:1520
	buffer_load_dword v75, off, s[0:3], 0 offset:740
	buffer_load_dword v74, off, s[0:3], 0 offset:736
	buffer_load_dword v77, off, s[0:3], 0 offset:748
	buffer_load_dword v76, off, s[0:3], 0 offset:744
	v_mul_f64 v[4:5], v[24:25], v[72:73]
	v_fma_f64 v[4:5], v[22:23], v[70:71], -v[4:5]
	;; [unrolled: 12-line block ×6, first 2 shown]
	v_add_f64 v[2:3], v[2:3], v[4:5]
	s_waitcnt vmcnt(0) lgkmcnt(0)
	v_mul_f64 v[4:5], v[44:45], v[92:93]
	v_mul_f64 v[96:97], v[42:43], v[92:93]
	v_fma_f64 v[4:5], v[42:43], v[90:91], -v[4:5]
	v_fmac_f64_e32 v[96:97], v[44:45], v[90:91]
	v_add_f64 v[2:3], v[2:3], v[4:5]
	v_add_f64 v[94:95], v[94:95], v[96:97]
	v_add_f64 v[2:3], v[48:49], -v[2:3]
	v_add_f64 v[4:5], v[46:47], -v[94:95]
	buffer_store_dword v3, off, s[0:3], 0 offset:628
	buffer_store_dword v2, off, s[0:3], 0 offset:624
	;; [unrolled: 1-line block ×4, first 2 shown]
	s_and_saveexec_b64 s[4:5], vcc
	s_cbranch_execz .LBB113_239
; %bb.238:
	v_accvgpr_read_b32 v0, a112
	buffer_load_dword v2, v0, s[0:3], 0 offen
	buffer_load_dword v3, v0, s[0:3], 0 offen offset:4
	buffer_load_dword v4, v0, s[0:3], 0 offen offset:8
	;; [unrolled: 1-line block ×3, first 2 shown]
	v_accvgpr_read_b32 v0, a150
	buffer_store_dword v1, off, s[0:3], 0 offset:608
	buffer_store_dword v1, off, s[0:3], 0 offset:612
	;; [unrolled: 1-line block ×4, first 2 shown]
	s_waitcnt vmcnt(4)
	ds_write_b128 v0, v[2:5]
.LBB113_239:
	s_or_b64 exec, exec, s[4:5]
	s_waitcnt lgkmcnt(0)
	; wave barrier
	s_waitcnt lgkmcnt(0)
	ds_read_b128 v[14:17], v1 offset:1408
	ds_read_b128 v[10:13], v1 offset:1424
	;; [unrolled: 1-line block ×4, first 2 shown]
	buffer_load_dword v48, off, s[0:3], 0 offset:608
	buffer_load_dword v49, off, s[0:3], 0 offset:612
	;; [unrolled: 1-line block ×20, first 2 shown]
	v_cmp_lt_u32_e32 vcc, 36, v254
	s_waitcnt vmcnt(12) lgkmcnt(3)
	v_mul_f64 v[18:19], v[14:15], v[56:57]
	v_fmac_f64_e32 v[18:19], v[16:17], v[50:51]
	v_add_f64 v[18:19], v[18:19], 0
	v_mul_f64 v[16:17], v[16:17], v[56:57]
	s_waitcnt vmcnt(8) lgkmcnt(2)
	v_mul_f64 v[20:21], v[10:11], v[58:59]
	v_fmac_f64_e32 v[20:21], v[12:13], v[52:53]
	v_add_f64 v[18:19], v[18:19], v[20:21]
	v_fma_f64 v[14:15], v[14:15], v[50:51], -v[16:17]
	s_waitcnt vmcnt(4) lgkmcnt(1)
	v_mul_f64 v[20:21], v[6:7], v[60:61]
	v_fmac_f64_e32 v[20:21], v[8:9], v[54:55]
	v_add_f64 v[18:19], v[18:19], v[20:21]
	s_waitcnt vmcnt(0) lgkmcnt(0)
	v_mul_f64 v[20:21], v[2:3], v[64:65]
	v_fmac_f64_e32 v[20:21], v[4:5], v[62:63]
	v_add_f64 v[22:23], v[18:19], v[20:21]
	ds_read_b128 v[18:21], v1 offset:1472
	buffer_load_dword v67, off, s[0:3], 0 offset:692
	buffer_load_dword v66, off, s[0:3], 0 offset:688
	;; [unrolled: 1-line block ×4, first 2 shown]
	v_mul_f64 v[12:13], v[12:13], v[58:59]
	v_add_f64 v[14:15], v[14:15], 0
	v_fma_f64 v[10:11], v[10:11], v[52:53], -v[12:13]
	v_mul_f64 v[8:9], v[8:9], v[60:61]
	v_add_f64 v[10:11], v[14:15], v[10:11]
	v_fma_f64 v[6:7], v[6:7], v[54:55], -v[8:9]
	;; [unrolled: 3-line block ×3, first 2 shown]
	v_add_f64 v[2:3], v[6:7], v[2:3]
	s_waitcnt vmcnt(0) lgkmcnt(0)
	v_mul_f64 v[24:25], v[18:19], v[68:69]
	v_fmac_f64_e32 v[24:25], v[20:21], v[66:67]
	v_add_f64 v[26:27], v[22:23], v[24:25]
	ds_read_b128 v[22:25], v1 offset:1488
	buffer_load_dword v71, off, s[0:3], 0 offset:708
	buffer_load_dword v70, off, s[0:3], 0 offset:704
	buffer_load_dword v73, off, s[0:3], 0 offset:716
	buffer_load_dword v72, off, s[0:3], 0 offset:712
	v_mul_f64 v[4:5], v[20:21], v[68:69]
	v_fma_f64 v[4:5], v[18:19], v[66:67], -v[4:5]
	v_add_f64 v[2:3], v[2:3], v[4:5]
	s_waitcnt vmcnt(0) lgkmcnt(0)
	v_mul_f64 v[28:29], v[22:23], v[72:73]
	v_fmac_f64_e32 v[28:29], v[24:25], v[70:71]
	v_add_f64 v[30:31], v[26:27], v[28:29]
	ds_read_b128 v[26:29], v1 offset:1504
	buffer_load_dword v75, off, s[0:3], 0 offset:724
	buffer_load_dword v74, off, s[0:3], 0 offset:720
	buffer_load_dword v77, off, s[0:3], 0 offset:732
	buffer_load_dword v76, off, s[0:3], 0 offset:728
	v_mul_f64 v[4:5], v[24:25], v[72:73]
	v_fma_f64 v[4:5], v[22:23], v[70:71], -v[4:5]
	;; [unrolled: 12-line block ×7, first 2 shown]
	v_add_f64 v[2:3], v[2:3], v[4:5]
	s_waitcnt vmcnt(0) lgkmcnt(0)
	v_mul_f64 v[4:5], v[96:97], v[102:103]
	v_mul_f64 v[104:105], v[94:95], v[102:103]
	v_fma_f64 v[4:5], v[94:95], v[100:101], -v[4:5]
	v_fmac_f64_e32 v[104:105], v[96:97], v[100:101]
	v_add_f64 v[2:3], v[2:3], v[4:5]
	v_add_f64 v[98:99], v[98:99], v[104:105]
	v_add_f64 v[2:3], v[48:49], -v[2:3]
	v_add_f64 v[4:5], v[46:47], -v[98:99]
	buffer_store_dword v3, off, s[0:3], 0 offset:612
	buffer_store_dword v2, off, s[0:3], 0 offset:608
	;; [unrolled: 1-line block ×4, first 2 shown]
	s_and_saveexec_b64 s[4:5], vcc
	s_cbranch_execz .LBB113_241
; %bb.240:
	v_accvgpr_read_b32 v0, a113
	buffer_load_dword v2, v0, s[0:3], 0 offen
	buffer_load_dword v3, v0, s[0:3], 0 offen offset:4
	buffer_load_dword v4, v0, s[0:3], 0 offen offset:8
	;; [unrolled: 1-line block ×3, first 2 shown]
	v_mov_b32_e32 v0, 0
	v_accvgpr_read_b32 v1, a150
	buffer_store_dword v0, off, s[0:3], 0 offset:592
	buffer_store_dword v0, off, s[0:3], 0 offset:596
	;; [unrolled: 1-line block ×4, first 2 shown]
	s_waitcnt vmcnt(4)
	ds_write_b128 v1, v[2:5]
.LBB113_241:
	s_or_b64 exec, exec, s[4:5]
	s_waitcnt lgkmcnt(0)
	; wave barrier
	s_waitcnt lgkmcnt(0)
	buffer_load_dword v2, off, s[0:3], 0 offset:608
	buffer_load_dword v3, off, s[0:3], 0 offset:612
	;; [unrolled: 1-line block ×56, first 2 shown]
	v_mov_b32_e32 v1, 0
	ds_read_b128 v[30:33], v1 offset:1392
	ds_read_b128 v[34:37], v1 offset:1408
	;; [unrolled: 1-line block ×9, first 2 shown]
	v_cmp_lt_u32_e32 vcc, 35, v254
	s_waitcnt vmcnt(52) lgkmcnt(8)
	v_mul_f64 v[62:63], v[30:31], v[6:7]
	v_fmac_f64_e32 v[62:63], v[32:33], v[2:3]
	v_mul_f64 v[6:7], v[32:33], v[6:7]
	v_add_f64 v[62:63], v[62:63], 0
	s_waitcnt vmcnt(48) lgkmcnt(7)
	v_mul_f64 v[64:65], v[34:35], v[8:9]
	v_fmac_f64_e32 v[64:65], v[36:37], v[4:5]
	s_waitcnt vmcnt(46) lgkmcnt(6)
	v_mul_f64 v[66:67], v[38:39], v[10:11]
	v_fma_f64 v[2:3], v[30:31], v[2:3], -v[6:7]
	v_mul_f64 v[6:7], v[36:37], v[8:9]
	s_waitcnt vmcnt(44) lgkmcnt(5)
	v_mul_f64 v[68:69], v[42:43], v[12:13]
	v_add_f64 v[62:63], v[62:63], v[64:65]
	v_add_f64 v[2:3], v[2:3], 0
	v_fma_f64 v[4:5], v[34:35], v[4:5], -v[6:7]
	v_add_f64 v[2:3], v[2:3], v[4:5]
	v_mul_f64 v[4:5], v[40:41], v[10:11]
	s_waitcnt vmcnt(37) lgkmcnt(4)
	v_mul_f64 v[70:71], v[46:47], v[20:21]
	s_waitcnt lgkmcnt(3)
	v_mul_f64 v[72:73], v[50:51], v[18:19]
	s_waitcnt vmcnt(35)
	v_fmac_f64_e32 v[70:71], v[48:49], v[22:23]
	s_waitcnt lgkmcnt(2)
	v_mul_f64 v[74:75], v[54:55], v[14:15]
	s_waitcnt vmcnt(33)
	v_fmac_f64_e32 v[66:67], v[40:41], v[28:29]
	v_add_f64 v[62:63], v[62:63], v[66:67]
	s_waitcnt vmcnt(31)
	v_fmac_f64_e32 v[68:69], v[44:45], v[26:27]
	v_add_f64 v[62:63], v[62:63], v[68:69]
	v_fma_f64 v[4:5], v[38:39], v[28:29], -v[4:5]
	s_waitcnt vmcnt(29)
	v_fmac_f64_e32 v[72:73], v[52:53], v[24:25]
	v_add_f64 v[62:63], v[62:63], v[70:71]
	v_add_f64 v[2:3], v[2:3], v[4:5]
	v_mul_f64 v[4:5], v[44:45], v[12:13]
	s_waitcnt vmcnt(28)
	v_fmac_f64_e32 v[74:75], v[56:57], v[16:17]
	v_add_f64 v[62:63], v[62:63], v[72:73]
	v_fma_f64 v[4:5], v[42:43], v[26:27], -v[4:5]
	v_add_f64 v[66:67], v[62:63], v[74:75]
	ds_read_b128 v[62:65], v1 offset:1520
	s_waitcnt vmcnt(24) lgkmcnt(2)
	v_mul_f64 v[68:69], v[58:59], v[86:87]
	v_add_f64 v[2:3], v[2:3], v[4:5]
	v_mul_f64 v[4:5], v[48:49], v[20:21]
	s_waitcnt vmcnt(22)
	v_fmac_f64_e32 v[68:69], v[60:61], v[88:89]
	v_fma_f64 v[4:5], v[46:47], v[22:23], -v[4:5]
	v_add_f64 v[70:71], v[66:67], v[68:69]
	ds_read_b128 v[66:69], v1 offset:1536
	v_add_f64 v[2:3], v[2:3], v[4:5]
	v_mul_f64 v[4:5], v[52:53], v[18:19]
	v_fma_f64 v[4:5], v[50:51], v[24:25], -v[4:5]
	v_add_f64 v[2:3], v[2:3], v[4:5]
	v_mul_f64 v[4:5], v[56:57], v[14:15]
	s_waitcnt vmcnt(21) lgkmcnt(1)
	v_mul_f64 v[72:73], v[62:63], v[82:83]
	v_fma_f64 v[4:5], v[54:55], v[16:17], -v[4:5]
	s_waitcnt vmcnt(20)
	v_fmac_f64_e32 v[72:73], v[64:65], v[84:85]
	v_add_f64 v[2:3], v[2:3], v[4:5]
	v_mul_f64 v[4:5], v[60:61], v[86:87]
	v_add_f64 v[74:75], v[70:71], v[72:73]
	ds_read_b128 v[70:73], v1 offset:1552
	s_waitcnt vmcnt(16) lgkmcnt(1)
	v_mul_f64 v[76:77], v[66:67], v[94:95]
	v_fma_f64 v[4:5], v[58:59], v[88:89], -v[4:5]
	s_waitcnt vmcnt(14)
	v_fmac_f64_e32 v[76:77], v[68:69], v[96:97]
	v_add_f64 v[2:3], v[2:3], v[4:5]
	v_mul_f64 v[4:5], v[64:65], v[82:83]
	v_add_f64 v[110:111], v[74:75], v[76:77]
	ds_read_b128 v[74:77], v1 offset:1568
	v_fma_f64 v[4:5], v[62:63], v[84:85], -v[4:5]
	v_add_f64 v[2:3], v[2:3], v[4:5]
	v_mul_f64 v[4:5], v[68:69], v[94:95]
	v_fma_f64 v[4:5], v[66:67], v[96:97], -v[4:5]
	v_add_f64 v[2:3], v[2:3], v[4:5]
	s_waitcnt vmcnt(13) lgkmcnt(1)
	v_mul_f64 v[4:5], v[72:73], v[90:91]
	v_mul_f64 v[112:113], v[70:71], v[90:91]
	s_waitcnt vmcnt(12)
	v_fma_f64 v[4:5], v[70:71], v[92:93], -v[4:5]
	v_fmac_f64_e32 v[112:113], v[72:73], v[92:93]
	v_add_f64 v[2:3], v[2:3], v[4:5]
	s_waitcnt vmcnt(8) lgkmcnt(0)
	v_mul_f64 v[4:5], v[76:77], v[102:103]
	v_add_f64 v[110:111], v[110:111], v[112:113]
	v_mul_f64 v[112:113], v[74:75], v[102:103]
	s_waitcnt vmcnt(6)
	v_fma_f64 v[4:5], v[74:75], v[104:105], -v[4:5]
	v_fmac_f64_e32 v[112:113], v[76:77], v[104:105]
	v_add_f64 v[2:3], v[2:3], v[4:5]
	s_waitcnt vmcnt(5)
	v_mul_f64 v[4:5], v[80:81], v[98:99]
	v_add_f64 v[110:111], v[110:111], v[112:113]
	v_mul_f64 v[112:113], v[78:79], v[98:99]
	s_waitcnt vmcnt(4)
	v_fma_f64 v[4:5], v[78:79], v[100:101], -v[4:5]
	v_fmac_f64_e32 v[112:113], v[80:81], v[100:101]
	v_add_f64 v[2:3], v[2:3], v[4:5]
	v_add_f64 v[110:111], v[110:111], v[112:113]
	s_waitcnt vmcnt(2)
	v_add_f64 v[2:3], v[106:107], -v[2:3]
	s_waitcnt vmcnt(0)
	v_add_f64 v[4:5], v[108:109], -v[110:111]
	buffer_store_dword v3, off, s[0:3], 0 offset:596
	buffer_store_dword v2, off, s[0:3], 0 offset:592
	;; [unrolled: 1-line block ×4, first 2 shown]
	s_and_saveexec_b64 s[4:5], vcc
	s_cbranch_execz .LBB113_243
; %bb.242:
	v_accvgpr_read_b32 v0, a114
	buffer_load_dword v2, v0, s[0:3], 0 offen
	buffer_load_dword v3, v0, s[0:3], 0 offen offset:4
	buffer_load_dword v4, v0, s[0:3], 0 offen offset:8
	;; [unrolled: 1-line block ×3, first 2 shown]
	v_accvgpr_read_b32 v0, a150
	buffer_store_dword v1, off, s[0:3], 0 offset:576
	buffer_store_dword v1, off, s[0:3], 0 offset:580
	;; [unrolled: 1-line block ×4, first 2 shown]
	s_waitcnt vmcnt(4)
	ds_write_b128 v0, v[2:5]
.LBB113_243:
	s_or_b64 exec, exec, s[4:5]
	s_waitcnt lgkmcnt(0)
	; wave barrier
	s_waitcnt lgkmcnt(0)
	buffer_load_dword v2, off, s[0:3], 0 offset:592
	buffer_load_dword v3, off, s[0:3], 0 offset:596
	;; [unrolled: 1-line block ×60, first 2 shown]
	ds_read_b128 v[30:33], v1 offset:1376
	ds_read_b128 v[34:37], v1 offset:1392
	;; [unrolled: 1-line block ×8, first 2 shown]
	v_cmp_lt_u32_e32 vcc, 34, v254
	ds_read_b128 v[82:85], v1 offset:1584
	s_waitcnt vmcnt(56) lgkmcnt(8)
	v_mul_f64 v[62:63], v[30:31], v[6:7]
	v_fmac_f64_e32 v[62:63], v[32:33], v[2:3]
	v_add_f64 v[62:63], v[62:63], 0
	v_mul_f64 v[6:7], v[32:33], v[6:7]
	s_waitcnt vmcnt(52) lgkmcnt(7)
	v_mul_f64 v[64:65], v[34:35], v[8:9]
	v_fmac_f64_e32 v[64:65], v[36:37], v[4:5]
	s_waitcnt vmcnt(50) lgkmcnt(6)
	v_mul_f64 v[66:67], v[38:39], v[10:11]
	v_add_f64 v[62:63], v[62:63], v[64:65]
	s_waitcnt vmcnt(48) lgkmcnt(4)
	v_mul_f64 v[70:71], v[46:47], v[12:13]
	v_fma_f64 v[2:3], v[30:31], v[2:3], -v[6:7]
	s_waitcnt vmcnt(46)
	v_fmac_f64_e32 v[70:71], v[48:49], v[14:15]
	v_mul_f64 v[6:7], v[36:37], v[8:9]
	s_waitcnt vmcnt(44)
	v_mul_f64 v[68:69], v[42:43], v[16:17]
	v_add_f64 v[2:3], v[2:3], 0
	v_fma_f64 v[4:5], v[34:35], v[4:5], -v[6:7]
	v_add_f64 v[2:3], v[2:3], v[4:5]
	s_waitcnt vmcnt(40) lgkmcnt(3)
	v_mul_f64 v[72:73], v[50:51], v[22:23]
	v_mul_f64 v[4:5], v[40:41], v[10:11]
	s_waitcnt vmcnt(38)
	v_fmac_f64_e32 v[66:67], v[40:41], v[28:29]
	v_add_f64 v[62:63], v[62:63], v[66:67]
	s_waitcnt vmcnt(36)
	v_fmac_f64_e32 v[68:69], v[44:45], v[26:27]
	v_add_f64 v[62:63], v[62:63], v[68:69]
	;; [unrolled: 3-line block ×3, first 2 shown]
	s_waitcnt vmcnt(33) lgkmcnt(2)
	v_mul_f64 v[64:65], v[54:55], v[18:19]
	v_add_f64 v[62:63], v[62:63], v[72:73]
	s_waitcnt vmcnt(32)
	v_fmac_f64_e32 v[64:65], v[56:57], v[20:21]
	v_add_f64 v[66:67], v[62:63], v[64:65]
	ds_read_b128 v[62:65], v1 offset:1504
	v_fma_f64 v[4:5], v[38:39], v[28:29], -v[4:5]
	v_add_f64 v[2:3], v[2:3], v[4:5]
	v_mul_f64 v[4:5], v[44:45], v[16:17]
	v_fma_f64 v[4:5], v[42:43], v[26:27], -v[4:5]
	s_waitcnt vmcnt(28) lgkmcnt(2)
	v_mul_f64 v[68:69], v[58:59], v[90:91]
	v_add_f64 v[2:3], v[2:3], v[4:5]
	v_mul_f64 v[4:5], v[48:49], v[12:13]
	s_waitcnt vmcnt(26)
	v_fmac_f64_e32 v[68:69], v[60:61], v[92:93]
	v_fma_f64 v[4:5], v[46:47], v[14:15], -v[4:5]
	v_add_f64 v[70:71], v[66:67], v[68:69]
	ds_read_b128 v[66:69], v1 offset:1520
	s_waitcnt vmcnt(25) lgkmcnt(1)
	v_mul_f64 v[72:73], v[62:63], v[86:87]
	v_add_f64 v[2:3], v[2:3], v[4:5]
	v_mul_f64 v[4:5], v[52:53], v[22:23]
	s_waitcnt vmcnt(24)
	v_fmac_f64_e32 v[72:73], v[64:65], v[88:89]
	v_fma_f64 v[4:5], v[50:51], v[24:25], -v[4:5]
	v_add_f64 v[74:75], v[70:71], v[72:73]
	ds_read_b128 v[70:73], v1 offset:1536
	v_add_f64 v[2:3], v[2:3], v[4:5]
	v_mul_f64 v[4:5], v[56:57], v[18:19]
	v_fma_f64 v[4:5], v[54:55], v[20:21], -v[4:5]
	v_add_f64 v[2:3], v[2:3], v[4:5]
	v_mul_f64 v[4:5], v[60:61], v[90:91]
	s_waitcnt vmcnt(20) lgkmcnt(1)
	v_mul_f64 v[76:77], v[66:67], v[98:99]
	v_fma_f64 v[4:5], v[58:59], v[92:93], -v[4:5]
	s_waitcnt vmcnt(18)
	v_fmac_f64_e32 v[76:77], v[68:69], v[100:101]
	v_add_f64 v[2:3], v[2:3], v[4:5]
	v_mul_f64 v[4:5], v[64:65], v[86:87]
	v_add_f64 v[78:79], v[74:75], v[76:77]
	ds_read_b128 v[74:77], v1 offset:1552
	s_waitcnt vmcnt(17) lgkmcnt(1)
	v_mul_f64 v[80:81], v[70:71], v[94:95]
	v_fma_f64 v[4:5], v[62:63], v[88:89], -v[4:5]
	s_waitcnt vmcnt(16)
	v_fmac_f64_e32 v[80:81], v[72:73], v[96:97]
	v_add_f64 v[2:3], v[2:3], v[4:5]
	v_mul_f64 v[4:5], v[68:69], v[98:99]
	v_add_f64 v[118:119], v[78:79], v[80:81]
	ds_read_b128 v[78:81], v1 offset:1568
	v_fma_f64 v[4:5], v[66:67], v[100:101], -v[4:5]
	v_add_f64 v[2:3], v[2:3], v[4:5]
	v_mul_f64 v[4:5], v[72:73], v[94:95]
	v_fma_f64 v[4:5], v[70:71], v[96:97], -v[4:5]
	v_add_f64 v[2:3], v[2:3], v[4:5]
	s_waitcnt vmcnt(12) lgkmcnt(1)
	v_mul_f64 v[4:5], v[76:77], v[106:107]
	v_mul_f64 v[120:121], v[74:75], v[106:107]
	s_waitcnt vmcnt(10)
	v_fma_f64 v[4:5], v[74:75], v[108:109], -v[4:5]
	v_fmac_f64_e32 v[120:121], v[76:77], v[108:109]
	v_add_f64 v[2:3], v[2:3], v[4:5]
	s_waitcnt vmcnt(9) lgkmcnt(0)
	v_mul_f64 v[4:5], v[80:81], v[102:103]
	v_add_f64 v[118:119], v[118:119], v[120:121]
	v_mul_f64 v[120:121], v[78:79], v[102:103]
	s_waitcnt vmcnt(8)
	v_fma_f64 v[4:5], v[78:79], v[104:105], -v[4:5]
	v_fmac_f64_e32 v[120:121], v[80:81], v[104:105]
	v_add_f64 v[2:3], v[2:3], v[4:5]
	s_waitcnt vmcnt(6)
	v_mul_f64 v[4:5], v[84:85], v[110:111]
	v_add_f64 v[118:119], v[118:119], v[120:121]
	v_mul_f64 v[120:121], v[82:83], v[110:111]
	s_waitcnt vmcnt(4)
	v_fma_f64 v[4:5], v[82:83], v[112:113], -v[4:5]
	v_fmac_f64_e32 v[120:121], v[84:85], v[112:113]
	v_add_f64 v[2:3], v[2:3], v[4:5]
	v_add_f64 v[118:119], v[118:119], v[120:121]
	s_waitcnt vmcnt(2)
	v_add_f64 v[2:3], v[114:115], -v[2:3]
	s_waitcnt vmcnt(0)
	v_add_f64 v[4:5], v[116:117], -v[118:119]
	buffer_store_dword v3, off, s[0:3], 0 offset:580
	buffer_store_dword v2, off, s[0:3], 0 offset:576
	;; [unrolled: 1-line block ×4, first 2 shown]
	s_and_saveexec_b64 s[4:5], vcc
	s_cbranch_execz .LBB113_245
; %bb.244:
	v_accvgpr_read_b32 v0, a115
	buffer_load_dword v2, v0, s[0:3], 0 offen
	buffer_load_dword v3, v0, s[0:3], 0 offen offset:4
	buffer_load_dword v4, v0, s[0:3], 0 offen offset:8
	;; [unrolled: 1-line block ×3, first 2 shown]
	v_mov_b32_e32 v0, 0
	v_accvgpr_read_b32 v1, a150
	buffer_store_dword v0, off, s[0:3], 0 offset:560
	buffer_store_dword v0, off, s[0:3], 0 offset:564
	;; [unrolled: 1-line block ×4, first 2 shown]
	s_waitcnt vmcnt(4)
	ds_write_b128 v1, v[2:5]
.LBB113_245:
	s_or_b64 exec, exec, s[4:5]
	s_waitcnt lgkmcnt(0)
	; wave barrier
	s_waitcnt lgkmcnt(0)
	buffer_load_dword v2, off, s[0:3], 0 offset:576
	buffer_load_dword v3, off, s[0:3], 0 offset:580
	;; [unrolled: 1-line block ×64, first 2 shown]
	v_mov_b32_e32 v1, 0
	ds_read_b128 v[38:41], v1 offset:1360
	ds_read_b128 v[42:45], v1 offset:1376
	;; [unrolled: 1-line block ×7, first 2 shown]
	v_cmp_lt_u32_e32 vcc, 33, v254
	s_waitcnt vmcnt(60) lgkmcnt(6)
	v_mul_f64 v[62:63], v[38:39], v[4:5]
	v_fmac_f64_e32 v[62:63], v[40:41], v[2:3]
	s_waitcnt vmcnt(58) lgkmcnt(5)
	v_mul_f64 v[64:65], v[42:43], v[6:7]
	v_add_f64 v[62:63], v[62:63], 0
	s_waitcnt vmcnt(56) lgkmcnt(4)
	v_mul_f64 v[66:67], v[46:47], v[8:9]
	v_mul_f64 v[4:5], v[40:41], v[4:5]
	s_waitcnt vmcnt(54) lgkmcnt(2)
	v_mul_f64 v[70:71], v[54:55], v[10:11]
	v_fma_f64 v[2:3], v[38:39], v[2:3], -v[4:5]
	v_mul_f64 v[4:5], v[44:45], v[6:7]
	s_waitcnt vmcnt(51)
	v_mul_f64 v[68:69], v[50:51], v[14:15]
	v_add_f64 v[2:3], v[2:3], 0
	s_waitcnt vmcnt(49)
	v_fmac_f64_e32 v[64:65], v[44:45], v[20:21]
	v_add_f64 v[62:63], v[62:63], v[64:65]
	s_waitcnt vmcnt(47)
	v_fmac_f64_e32 v[66:67], v[48:49], v[18:19]
	;; [unrolled: 3-line block ×4, first 2 shown]
	v_add_f64 v[66:67], v[62:63], v[70:71]
	ds_read_b128 v[62:65], v1 offset:1456
	s_waitcnt vmcnt(40) lgkmcnt(2)
	v_mul_f64 v[68:69], v[58:59], v[26:27]
	v_fma_f64 v[4:5], v[42:43], v[20:21], -v[4:5]
	s_waitcnt vmcnt(38)
	v_fmac_f64_e32 v[68:69], v[60:61], v[28:29]
	v_add_f64 v[70:71], v[66:67], v[68:69]
	ds_read_b128 v[66:69], v1 offset:1472
	s_waitcnt vmcnt(37) lgkmcnt(1)
	v_mul_f64 v[72:73], v[62:63], v[22:23]
	s_waitcnt vmcnt(36)
	v_fmac_f64_e32 v[72:73], v[64:65], v[24:25]
	v_add_f64 v[2:3], v[2:3], v[4:5]
	v_mul_f64 v[4:5], v[48:49], v[8:9]
	v_add_f64 v[74:75], v[70:71], v[72:73]
	ds_read_b128 v[70:73], v1 offset:1488
	s_waitcnt vmcnt(32) lgkmcnt(1)
	v_mul_f64 v[76:77], v[66:67], v[34:35]
	v_fma_f64 v[4:5], v[46:47], v[18:19], -v[4:5]
	s_waitcnt vmcnt(30)
	v_fmac_f64_e32 v[76:77], v[68:69], v[36:37]
	v_add_f64 v[2:3], v[2:3], v[4:5]
	v_mul_f64 v[4:5], v[52:53], v[14:15]
	v_add_f64 v[78:79], v[74:75], v[76:77]
	ds_read_b128 v[74:77], v1 offset:1504
	v_fma_f64 v[4:5], v[50:51], v[16:17], -v[4:5]
	v_add_f64 v[2:3], v[2:3], v[4:5]
	v_mul_f64 v[4:5], v[56:57], v[10:11]
	v_fma_f64 v[4:5], v[54:55], v[12:13], -v[4:5]
	s_waitcnt vmcnt(29) lgkmcnt(1)
	v_mul_f64 v[80:81], v[70:71], v[30:31]
	v_add_f64 v[2:3], v[2:3], v[4:5]
	v_mul_f64 v[4:5], v[60:61], v[26:27]
	s_waitcnt vmcnt(28)
	v_fmac_f64_e32 v[80:81], v[72:73], v[32:33]
	v_fma_f64 v[4:5], v[58:59], v[28:29], -v[4:5]
	v_add_f64 v[82:83], v[78:79], v[80:81]
	ds_read_b128 v[78:81], v1 offset:1520
	s_waitcnt vmcnt(24) lgkmcnt(1)
	v_mul_f64 v[84:85], v[74:75], v[102:103]
	v_add_f64 v[2:3], v[2:3], v[4:5]
	v_mul_f64 v[4:5], v[64:65], v[22:23]
	s_waitcnt vmcnt(22)
	v_fmac_f64_e32 v[84:85], v[76:77], v[104:105]
	v_fma_f64 v[4:5], v[62:63], v[24:25], -v[4:5]
	v_add_f64 v[86:87], v[82:83], v[84:85]
	ds_read_b128 v[82:85], v1 offset:1536
	v_add_f64 v[2:3], v[2:3], v[4:5]
	v_mul_f64 v[4:5], v[68:69], v[34:35]
	v_fma_f64 v[4:5], v[66:67], v[36:37], -v[4:5]
	v_add_f64 v[2:3], v[2:3], v[4:5]
	v_mul_f64 v[4:5], v[72:73], v[30:31]
	s_waitcnt vmcnt(21) lgkmcnt(1)
	v_mul_f64 v[88:89], v[78:79], v[98:99]
	v_fma_f64 v[4:5], v[70:71], v[32:33], -v[4:5]
	s_waitcnt vmcnt(20)
	v_fmac_f64_e32 v[88:89], v[80:81], v[100:101]
	v_add_f64 v[2:3], v[2:3], v[4:5]
	v_mul_f64 v[4:5], v[76:77], v[102:103]
	v_add_f64 v[90:91], v[86:87], v[88:89]
	ds_read_b128 v[86:89], v1 offset:1552
	s_waitcnt vmcnt(16) lgkmcnt(1)
	v_mul_f64 v[92:93], v[82:83], v[110:111]
	v_fma_f64 v[4:5], v[74:75], v[104:105], -v[4:5]
	s_waitcnt vmcnt(14)
	v_fmac_f64_e32 v[92:93], v[84:85], v[112:113]
	v_add_f64 v[2:3], v[2:3], v[4:5]
	v_mul_f64 v[4:5], v[80:81], v[98:99]
	v_add_f64 v[126:127], v[90:91], v[92:93]
	ds_read_b128 v[90:93], v1 offset:1568
	v_fma_f64 v[4:5], v[78:79], v[100:101], -v[4:5]
	v_add_f64 v[2:3], v[2:3], v[4:5]
	v_mul_f64 v[4:5], v[84:85], v[110:111]
	v_fma_f64 v[4:5], v[82:83], v[112:113], -v[4:5]
	v_add_f64 v[2:3], v[2:3], v[4:5]
	s_waitcnt vmcnt(13) lgkmcnt(1)
	v_mul_f64 v[4:5], v[88:89], v[106:107]
	v_mul_f64 v[128:129], v[86:87], v[106:107]
	s_waitcnt vmcnt(12)
	v_fma_f64 v[4:5], v[86:87], v[108:109], -v[4:5]
	v_fmac_f64_e32 v[128:129], v[88:89], v[108:109]
	v_add_f64 v[2:3], v[2:3], v[4:5]
	s_waitcnt vmcnt(8) lgkmcnt(0)
	v_mul_f64 v[4:5], v[92:93], v[118:119]
	v_add_f64 v[126:127], v[126:127], v[128:129]
	v_mul_f64 v[128:129], v[90:91], v[118:119]
	s_waitcnt vmcnt(6)
	v_fma_f64 v[4:5], v[90:91], v[120:121], -v[4:5]
	v_fmac_f64_e32 v[128:129], v[92:93], v[120:121]
	v_add_f64 v[2:3], v[2:3], v[4:5]
	s_waitcnt vmcnt(5)
	v_mul_f64 v[4:5], v[96:97], v[114:115]
	v_add_f64 v[126:127], v[126:127], v[128:129]
	v_mul_f64 v[128:129], v[94:95], v[114:115]
	s_waitcnt vmcnt(4)
	v_fma_f64 v[4:5], v[94:95], v[116:117], -v[4:5]
	v_fmac_f64_e32 v[128:129], v[96:97], v[116:117]
	v_add_f64 v[2:3], v[2:3], v[4:5]
	v_add_f64 v[126:127], v[126:127], v[128:129]
	s_waitcnt vmcnt(2)
	v_add_f64 v[2:3], v[122:123], -v[2:3]
	s_waitcnt vmcnt(0)
	v_add_f64 v[4:5], v[124:125], -v[126:127]
	buffer_store_dword v3, off, s[0:3], 0 offset:564
	buffer_store_dword v2, off, s[0:3], 0 offset:560
	;; [unrolled: 1-line block ×4, first 2 shown]
	s_and_saveexec_b64 s[4:5], vcc
	s_cbranch_execz .LBB113_247
; %bb.246:
	v_accvgpr_read_b32 v0, a116
	buffer_load_dword v2, v0, s[0:3], 0 offen
	buffer_load_dword v3, v0, s[0:3], 0 offen offset:4
	buffer_load_dword v4, v0, s[0:3], 0 offen offset:8
	;; [unrolled: 1-line block ×3, first 2 shown]
	v_accvgpr_read_b32 v0, a150
	buffer_store_dword v1, off, s[0:3], 0 offset:544
	buffer_store_dword v1, off, s[0:3], 0 offset:548
	;; [unrolled: 1-line block ×4, first 2 shown]
	s_waitcnt vmcnt(4)
	ds_write_b128 v0, v[2:5]
.LBB113_247:
	s_or_b64 exec, exec, s[4:5]
	s_waitcnt lgkmcnt(0)
	; wave barrier
	s_waitcnt lgkmcnt(0)
	buffer_load_dword v2, off, s[0:3], 0 offset:560
	buffer_load_dword v3, off, s[0:3], 0 offset:564
	;; [unrolled: 1-line block ×64, first 2 shown]
	ds_read_b128 v[46:49], v1 offset:1344
	ds_read_b128 v[50:53], v1 offset:1360
	ds_read_b128 v[54:57], v1 offset:1376
	ds_read_b128 v[58:61], v1 offset:1392
	buffer_load_dword v130, off, s[0:3], 0 offset:544
	buffer_load_dword v131, off, s[0:3], 0 offset:548
	;; [unrolled: 1-line block ×4, first 2 shown]
	v_cmp_lt_u32_e32 vcc, 32, v254
	ds_read_b128 v[106:109], v1 offset:1584
	s_waitcnt vmcnt(62) lgkmcnt(4)
	v_mul_f64 v[62:63], v[46:47], v[4:5]
	v_fmac_f64_e32 v[62:63], v[48:49], v[2:3]
	v_add_f64 v[62:63], v[62:63], 0
	s_waitcnt lgkmcnt(2)
	v_mul_f64 v[66:67], v[54:55], v[6:7]
	v_mul_f64 v[4:5], v[48:49], v[4:5]
	v_fma_f64 v[2:3], v[46:47], v[2:3], -v[4:5]
	s_waitcnt vmcnt(58) lgkmcnt(1)
	v_mul_f64 v[68:69], v[58:59], v[12:13]
	v_add_f64 v[2:3], v[2:3], 0
	s_waitcnt vmcnt(56)
	v_mul_f64 v[64:65], v[50:51], v[18:19]
	v_mul_f64 v[4:5], v[52:53], v[18:19]
	s_waitcnt vmcnt(53)
	v_fmac_f64_e32 v[66:67], v[56:57], v[16:17]
	s_waitcnt vmcnt(52)
	v_fmac_f64_e32 v[64:65], v[52:53], v[20:21]
	v_add_f64 v[70:71], v[62:63], v[64:65]
	ds_read_b128 v[62:65], v1 offset:1408
	v_add_f64 v[66:67], v[70:71], v[66:67]
	s_waitcnt vmcnt(50)
	v_fmac_f64_e32 v[68:69], v[60:61], v[14:15]
	v_add_f64 v[70:71], v[66:67], v[68:69]
	ds_read_b128 v[66:69], v1 offset:1424
	s_waitcnt vmcnt(49) lgkmcnt(1)
	v_mul_f64 v[72:73], v[62:63], v[8:9]
	s_waitcnt vmcnt(48)
	v_fmac_f64_e32 v[72:73], v[64:65], v[10:11]
	v_add_f64 v[74:75], v[70:71], v[72:73]
	ds_read_b128 v[70:73], v1 offset:1440
	s_waitcnt vmcnt(44) lgkmcnt(1)
	v_mul_f64 v[76:77], v[66:67], v[26:27]
	;; [unrolled: 6-line block ×3, first 2 shown]
	s_waitcnt vmcnt(40)
	v_fmac_f64_e32 v[80:81], v[72:73], v[24:25]
	v_add_f64 v[82:83], v[78:79], v[80:81]
	ds_read_b128 v[78:81], v1 offset:1472
	v_fma_f64 v[4:5], v[50:51], v[20:21], -v[4:5]
	v_add_f64 v[2:3], v[2:3], v[4:5]
	v_mul_f64 v[4:5], v[56:57], v[6:7]
	s_waitcnt vmcnt(36) lgkmcnt(1)
	v_mul_f64 v[84:85], v[74:75], v[34:35]
	v_fma_f64 v[4:5], v[54:55], v[16:17], -v[4:5]
	s_waitcnt vmcnt(34)
	v_fmac_f64_e32 v[84:85], v[76:77], v[36:37]
	v_add_f64 v[2:3], v[2:3], v[4:5]
	v_mul_f64 v[4:5], v[60:61], v[12:13]
	v_add_f64 v[86:87], v[82:83], v[84:85]
	ds_read_b128 v[82:85], v1 offset:1488
	s_waitcnt vmcnt(33) lgkmcnt(1)
	v_mul_f64 v[88:89], v[78:79], v[30:31]
	v_fma_f64 v[4:5], v[58:59], v[14:15], -v[4:5]
	s_waitcnt vmcnt(32)
	v_fmac_f64_e32 v[88:89], v[80:81], v[32:33]
	v_add_f64 v[2:3], v[2:3], v[4:5]
	v_mul_f64 v[4:5], v[64:65], v[8:9]
	v_add_f64 v[90:91], v[86:87], v[88:89]
	ds_read_b128 v[86:89], v1 offset:1504
	v_fma_f64 v[4:5], v[62:63], v[10:11], -v[4:5]
	v_add_f64 v[2:3], v[2:3], v[4:5]
	v_mul_f64 v[4:5], v[68:69], v[26:27]
	v_fma_f64 v[4:5], v[66:67], v[28:29], -v[4:5]
	s_waitcnt vmcnt(28) lgkmcnt(1)
	v_mul_f64 v[92:93], v[82:83], v[42:43]
	v_add_f64 v[2:3], v[2:3], v[4:5]
	v_mul_f64 v[4:5], v[72:73], v[22:23]
	s_waitcnt vmcnt(26)
	v_fmac_f64_e32 v[92:93], v[84:85], v[44:45]
	v_fma_f64 v[4:5], v[70:71], v[24:25], -v[4:5]
	v_add_f64 v[94:95], v[90:91], v[92:93]
	ds_read_b128 v[90:93], v1 offset:1520
	s_waitcnt vmcnt(25) lgkmcnt(1)
	v_mul_f64 v[96:97], v[86:87], v[38:39]
	v_add_f64 v[2:3], v[2:3], v[4:5]
	v_mul_f64 v[4:5], v[76:77], v[34:35]
	s_waitcnt vmcnt(24)
	v_fmac_f64_e32 v[96:97], v[88:89], v[40:41]
	v_fma_f64 v[4:5], v[74:75], v[36:37], -v[4:5]
	v_add_f64 v[98:99], v[94:95], v[96:97]
	ds_read_b128 v[94:97], v1 offset:1536
	v_add_f64 v[2:3], v[2:3], v[4:5]
	v_mul_f64 v[4:5], v[80:81], v[30:31]
	v_fma_f64 v[4:5], v[78:79], v[32:33], -v[4:5]
	v_add_f64 v[2:3], v[2:3], v[4:5]
	v_mul_f64 v[4:5], v[84:85], v[42:43]
	s_waitcnt vmcnt(20) lgkmcnt(1)
	v_mul_f64 v[100:101], v[90:91], v[114:115]
	v_fma_f64 v[4:5], v[82:83], v[44:45], -v[4:5]
	s_waitcnt vmcnt(18)
	v_fmac_f64_e32 v[100:101], v[92:93], v[116:117]
	v_add_f64 v[2:3], v[2:3], v[4:5]
	v_mul_f64 v[4:5], v[88:89], v[38:39]
	v_add_f64 v[102:103], v[98:99], v[100:101]
	ds_read_b128 v[98:101], v1 offset:1552
	s_waitcnt vmcnt(17) lgkmcnt(1)
	v_mul_f64 v[104:105], v[94:95], v[110:111]
	v_fma_f64 v[4:5], v[86:87], v[40:41], -v[4:5]
	s_waitcnt vmcnt(16)
	v_fmac_f64_e32 v[104:105], v[96:97], v[112:113]
	v_add_f64 v[2:3], v[2:3], v[4:5]
	v_mul_f64 v[4:5], v[92:93], v[114:115]
	v_add_f64 v[134:135], v[102:103], v[104:105]
	ds_read_b128 v[102:105], v1 offset:1568
	v_fma_f64 v[4:5], v[90:91], v[116:117], -v[4:5]
	v_add_f64 v[2:3], v[2:3], v[4:5]
	v_mul_f64 v[4:5], v[96:97], v[110:111]
	v_fma_f64 v[4:5], v[94:95], v[112:113], -v[4:5]
	v_add_f64 v[2:3], v[2:3], v[4:5]
	s_waitcnt vmcnt(12) lgkmcnt(1)
	v_mul_f64 v[4:5], v[100:101], v[122:123]
	v_mul_f64 v[136:137], v[98:99], v[122:123]
	s_waitcnt vmcnt(10)
	v_fma_f64 v[4:5], v[98:99], v[124:125], -v[4:5]
	v_fmac_f64_e32 v[136:137], v[100:101], v[124:125]
	v_add_f64 v[2:3], v[2:3], v[4:5]
	s_waitcnt vmcnt(9) lgkmcnt(0)
	v_mul_f64 v[4:5], v[104:105], v[118:119]
	v_add_f64 v[134:135], v[134:135], v[136:137]
	v_mul_f64 v[136:137], v[102:103], v[118:119]
	s_waitcnt vmcnt(8)
	v_fma_f64 v[4:5], v[102:103], v[120:121], -v[4:5]
	v_fmac_f64_e32 v[136:137], v[104:105], v[120:121]
	v_add_f64 v[2:3], v[2:3], v[4:5]
	s_waitcnt vmcnt(6)
	v_mul_f64 v[4:5], v[108:109], v[126:127]
	v_add_f64 v[134:135], v[134:135], v[136:137]
	v_mul_f64 v[136:137], v[106:107], v[126:127]
	s_waitcnt vmcnt(4)
	v_fma_f64 v[4:5], v[106:107], v[128:129], -v[4:5]
	v_fmac_f64_e32 v[136:137], v[108:109], v[128:129]
	v_add_f64 v[2:3], v[2:3], v[4:5]
	v_add_f64 v[134:135], v[134:135], v[136:137]
	s_waitcnt vmcnt(2)
	v_add_f64 v[2:3], v[130:131], -v[2:3]
	s_waitcnt vmcnt(0)
	v_add_f64 v[4:5], v[132:133], -v[134:135]
	buffer_store_dword v3, off, s[0:3], 0 offset:548
	buffer_store_dword v2, off, s[0:3], 0 offset:544
	;; [unrolled: 1-line block ×4, first 2 shown]
	s_and_saveexec_b64 s[4:5], vcc
	s_cbranch_execz .LBB113_249
; %bb.248:
	v_accvgpr_read_b32 v0, a117
	buffer_load_dword v2, v0, s[0:3], 0 offen
	buffer_load_dword v3, v0, s[0:3], 0 offen offset:4
	buffer_load_dword v4, v0, s[0:3], 0 offen offset:8
	;; [unrolled: 1-line block ×3, first 2 shown]
	v_mov_b32_e32 v0, 0
	v_accvgpr_read_b32 v1, a150
	buffer_store_dword v0, off, s[0:3], 0 offset:528
	buffer_store_dword v0, off, s[0:3], 0 offset:532
	;; [unrolled: 1-line block ×4, first 2 shown]
	s_waitcnt vmcnt(4)
	ds_write_b128 v1, v[2:5]
.LBB113_249:
	s_or_b64 exec, exec, s[4:5]
	s_waitcnt lgkmcnt(0)
	; wave barrier
	s_waitcnt lgkmcnt(0)
	buffer_load_dword v2, off, s[0:3], 0 offset:544
	buffer_load_dword v3, off, s[0:3], 0 offset:548
	;; [unrolled: 1-line block ×68, first 2 shown]
	v_mov_b32_e32 v1, 0
	buffer_load_dword v138, off, s[0:3], 0 offset:528
	buffer_load_dword v139, off, s[0:3], 0 offset:532
	;; [unrolled: 1-line block ×3, first 2 shown]
	ds_read_b128 v[46:49], v1 offset:1328
	ds_read_b128 v[50:53], v1 offset:1344
	buffer_load_dword v141, off, s[0:3], 0 offset:540
	ds_read_b128 v[54:57], v1 offset:1360
	ds_read_b128 v[58:61], v1 offset:1376
	ds_read_b128 v[110:113], v1 offset:1584
	v_cmp_lt_u32_e32 vcc, 31, v254
	s_waitcnt vmcnt(62) lgkmcnt(4)
	v_mul_f64 v[62:63], v[46:47], v[6:7]
	v_fmac_f64_e32 v[62:63], v[48:49], v[2:3]
	v_add_f64 v[62:63], v[62:63], 0
	v_mul_f64 v[6:7], v[48:49], v[6:7]
	s_waitcnt lgkmcnt(3)
	v_mul_f64 v[64:65], v[50:51], v[10:11]
	v_fmac_f64_e32 v[64:65], v[52:53], v[4:5]
	v_add_f64 v[62:63], v[62:63], v[64:65]
	v_fma_f64 v[2:3], v[46:47], v[2:3], -v[6:7]
	s_waitcnt vmcnt(60) lgkmcnt(2)
	v_mul_f64 v[64:65], v[54:55], v[12:13]
	v_fmac_f64_e32 v[64:65], v[56:57], v[8:9]
	v_add_f64 v[66:67], v[62:63], v[64:65]
	ds_read_b128 v[62:65], v1 offset:1392
	s_waitcnt vmcnt(56) lgkmcnt(2)
	v_mul_f64 v[68:69], v[58:59], v[18:19]
	v_mul_f64 v[6:7], v[52:53], v[10:11]
	s_waitcnt vmcnt(54)
	v_fmac_f64_e32 v[68:69], v[60:61], v[20:21]
	v_add_f64 v[70:71], v[66:67], v[68:69]
	ds_read_b128 v[66:69], v1 offset:1408
	s_waitcnt vmcnt(53) lgkmcnt(1)
	v_mul_f64 v[72:73], v[62:63], v[14:15]
	s_waitcnt vmcnt(52)
	v_fmac_f64_e32 v[72:73], v[64:65], v[16:17]
	v_add_f64 v[74:75], v[70:71], v[72:73]
	ds_read_b128 v[70:73], v1 offset:1424
	s_waitcnt vmcnt(48) lgkmcnt(1)
	;; [unrolled: 6-line block ×4, first 2 shown]
	v_mul_f64 v[84:85], v[74:75], v[34:35]
	s_waitcnt vmcnt(38)
	v_fmac_f64_e32 v[84:85], v[76:77], v[36:37]
	v_add_f64 v[2:3], v[2:3], 0
	v_fma_f64 v[4:5], v[50:51], v[4:5], -v[6:7]
	v_add_f64 v[86:87], v[82:83], v[84:85]
	ds_read_b128 v[82:85], v1 offset:1472
	v_add_f64 v[2:3], v[2:3], v[4:5]
	v_mul_f64 v[4:5], v[56:57], v[12:13]
	v_fma_f64 v[4:5], v[54:55], v[8:9], -v[4:5]
	v_add_f64 v[2:3], v[2:3], v[4:5]
	v_mul_f64 v[4:5], v[60:61], v[18:19]
	s_waitcnt vmcnt(37) lgkmcnt(1)
	v_mul_f64 v[88:89], v[78:79], v[30:31]
	v_fma_f64 v[4:5], v[58:59], v[20:21], -v[4:5]
	s_waitcnt vmcnt(36)
	v_fmac_f64_e32 v[88:89], v[80:81], v[32:33]
	v_add_f64 v[2:3], v[2:3], v[4:5]
	v_mul_f64 v[4:5], v[64:65], v[14:15]
	v_add_f64 v[90:91], v[86:87], v[88:89]
	ds_read_b128 v[86:89], v1 offset:1488
	s_waitcnt vmcnt(32) lgkmcnt(1)
	v_mul_f64 v[92:93], v[82:83], v[42:43]
	v_fma_f64 v[4:5], v[62:63], v[16:17], -v[4:5]
	s_waitcnt vmcnt(30)
	v_fmac_f64_e32 v[92:93], v[84:85], v[44:45]
	v_add_f64 v[2:3], v[2:3], v[4:5]
	v_mul_f64 v[4:5], v[68:69], v[26:27]
	v_add_f64 v[94:95], v[90:91], v[92:93]
	ds_read_b128 v[90:93], v1 offset:1504
	v_fma_f64 v[4:5], v[66:67], v[28:29], -v[4:5]
	v_add_f64 v[2:3], v[2:3], v[4:5]
	v_mul_f64 v[4:5], v[72:73], v[22:23]
	v_fma_f64 v[4:5], v[70:71], v[24:25], -v[4:5]
	s_waitcnt vmcnt(29) lgkmcnt(1)
	v_mul_f64 v[96:97], v[86:87], v[38:39]
	v_add_f64 v[2:3], v[2:3], v[4:5]
	v_mul_f64 v[4:5], v[76:77], v[34:35]
	s_waitcnt vmcnt(28)
	v_fmac_f64_e32 v[96:97], v[88:89], v[40:41]
	v_fma_f64 v[4:5], v[74:75], v[36:37], -v[4:5]
	v_add_f64 v[98:99], v[94:95], v[96:97]
	ds_read_b128 v[94:97], v1 offset:1520
	s_waitcnt vmcnt(24) lgkmcnt(1)
	v_mul_f64 v[100:101], v[90:91], v[118:119]
	v_add_f64 v[2:3], v[2:3], v[4:5]
	v_mul_f64 v[4:5], v[80:81], v[30:31]
	s_waitcnt vmcnt(22)
	v_fmac_f64_e32 v[100:101], v[92:93], v[120:121]
	v_fma_f64 v[4:5], v[78:79], v[32:33], -v[4:5]
	v_add_f64 v[102:103], v[98:99], v[100:101]
	ds_read_b128 v[98:101], v1 offset:1536
	v_add_f64 v[2:3], v[2:3], v[4:5]
	v_mul_f64 v[4:5], v[84:85], v[42:43]
	v_fma_f64 v[4:5], v[82:83], v[44:45], -v[4:5]
	v_add_f64 v[2:3], v[2:3], v[4:5]
	v_mul_f64 v[4:5], v[88:89], v[38:39]
	s_waitcnt vmcnt(21) lgkmcnt(1)
	v_mul_f64 v[104:105], v[94:95], v[114:115]
	v_fma_f64 v[4:5], v[86:87], v[40:41], -v[4:5]
	s_waitcnt vmcnt(20)
	v_fmac_f64_e32 v[104:105], v[96:97], v[116:117]
	v_add_f64 v[2:3], v[2:3], v[4:5]
	v_mul_f64 v[4:5], v[92:93], v[118:119]
	v_add_f64 v[106:107], v[102:103], v[104:105]
	ds_read_b128 v[102:105], v1 offset:1552
	s_waitcnt vmcnt(16) lgkmcnt(1)
	v_mul_f64 v[108:109], v[98:99], v[126:127]
	v_fma_f64 v[4:5], v[90:91], v[120:121], -v[4:5]
	s_waitcnt vmcnt(14)
	v_fmac_f64_e32 v[108:109], v[100:101], v[128:129]
	v_add_f64 v[2:3], v[2:3], v[4:5]
	v_mul_f64 v[4:5], v[96:97], v[114:115]
	v_add_f64 v[142:143], v[106:107], v[108:109]
	ds_read_b128 v[106:109], v1 offset:1568
	v_fma_f64 v[4:5], v[94:95], v[116:117], -v[4:5]
	v_add_f64 v[2:3], v[2:3], v[4:5]
	v_mul_f64 v[4:5], v[100:101], v[126:127]
	v_fma_f64 v[4:5], v[98:99], v[128:129], -v[4:5]
	v_add_f64 v[2:3], v[2:3], v[4:5]
	s_waitcnt vmcnt(13) lgkmcnt(1)
	v_mul_f64 v[4:5], v[104:105], v[122:123]
	v_mul_f64 v[144:145], v[102:103], v[122:123]
	s_waitcnt vmcnt(12)
	v_fma_f64 v[4:5], v[102:103], v[124:125], -v[4:5]
	v_fmac_f64_e32 v[144:145], v[104:105], v[124:125]
	v_add_f64 v[2:3], v[2:3], v[4:5]
	s_waitcnt vmcnt(8) lgkmcnt(0)
	v_mul_f64 v[4:5], v[108:109], v[134:135]
	v_add_f64 v[142:143], v[142:143], v[144:145]
	v_mul_f64 v[144:145], v[106:107], v[134:135]
	s_waitcnt vmcnt(6)
	v_fma_f64 v[4:5], v[106:107], v[136:137], -v[4:5]
	v_fmac_f64_e32 v[144:145], v[108:109], v[136:137]
	v_add_f64 v[2:3], v[2:3], v[4:5]
	s_waitcnt vmcnt(5)
	v_mul_f64 v[4:5], v[112:113], v[130:131]
	v_add_f64 v[142:143], v[142:143], v[144:145]
	v_mul_f64 v[144:145], v[110:111], v[130:131]
	s_waitcnt vmcnt(4)
	v_fma_f64 v[4:5], v[110:111], v[132:133], -v[4:5]
	v_fmac_f64_e32 v[144:145], v[112:113], v[132:133]
	v_add_f64 v[2:3], v[2:3], v[4:5]
	v_add_f64 v[142:143], v[142:143], v[144:145]
	s_waitcnt vmcnt(2)
	v_add_f64 v[2:3], v[138:139], -v[2:3]
	s_waitcnt vmcnt(0)
	v_add_f64 v[4:5], v[140:141], -v[142:143]
	buffer_store_dword v3, off, s[0:3], 0 offset:532
	buffer_store_dword v2, off, s[0:3], 0 offset:528
	;; [unrolled: 1-line block ×4, first 2 shown]
	s_and_saveexec_b64 s[4:5], vcc
	s_cbranch_execz .LBB113_251
; %bb.250:
	v_accvgpr_read_b32 v0, a118
	buffer_load_dword v2, v0, s[0:3], 0 offen
	buffer_load_dword v3, v0, s[0:3], 0 offen offset:4
	buffer_load_dword v4, v0, s[0:3], 0 offen offset:8
	;; [unrolled: 1-line block ×3, first 2 shown]
	v_accvgpr_read_b32 v0, a150
	buffer_store_dword v1, off, s[0:3], 0 offset:512
	buffer_store_dword v1, off, s[0:3], 0 offset:516
	;; [unrolled: 1-line block ×4, first 2 shown]
	s_waitcnt vmcnt(4)
	ds_write_b128 v0, v[2:5]
.LBB113_251:
	s_or_b64 exec, exec, s[4:5]
	s_waitcnt lgkmcnt(0)
	; wave barrier
	s_waitcnt lgkmcnt(0)
	buffer_load_dword v2, off, s[0:3], 0 offset:528
	buffer_load_dword v3, off, s[0:3], 0 offset:532
	;; [unrolled: 1-line block ×72, first 2 shown]
	ds_read_b128 v[52:55], v1 offset:1312
	buffer_load_dword v146, off, s[0:3], 0 offset:512
	buffer_load_dword v147, off, s[0:3], 0 offset:516
	;; [unrolled: 1-line block ×4, first 2 shown]
	ds_read_b128 v[56:59], v1 offset:1328
	ds_read_b128 v[60:63], v1 offset:1344
	;; [unrolled: 1-line block ×3, first 2 shown]
	v_cmp_lt_u32_e32 vcc, 30, v254
	ds_read_b128 v[120:123], v1 offset:1584
	s_waitcnt vmcnt(62) lgkmcnt(4)
	v_mul_f64 v[68:69], v[52:53], v[8:9]
	v_fmac_f64_e32 v[68:69], v[54:55], v[2:3]
	v_add_f64 v[68:69], v[68:69], 0
	v_mul_f64 v[8:9], v[54:55], v[8:9]
	s_waitcnt lgkmcnt(3)
	v_mul_f64 v[70:71], v[56:57], v[10:11]
	v_fmac_f64_e32 v[70:71], v[58:59], v[4:5]
	v_add_f64 v[68:69], v[68:69], v[70:71]
	v_fma_f64 v[2:3], v[52:53], v[2:3], -v[8:9]
	s_waitcnt lgkmcnt(2)
	v_mul_f64 v[70:71], v[60:61], v[12:13]
	v_fmac_f64_e32 v[70:71], v[62:63], v[6:7]
	v_add_f64 v[72:73], v[68:69], v[70:71]
	ds_read_b128 v[68:71], v1 offset:1376
	s_waitcnt vmcnt(60) lgkmcnt(2)
	v_mul_f64 v[74:75], v[64:65], v[18:19]
	v_mul_f64 v[8:9], v[58:59], v[10:11]
	s_waitcnt vmcnt(58)
	v_fmac_f64_e32 v[74:75], v[66:67], v[20:21]
	v_add_f64 v[76:77], v[72:73], v[74:75]
	ds_read_b128 v[72:75], v1 offset:1392
	s_waitcnt vmcnt(57) lgkmcnt(1)
	v_mul_f64 v[78:79], v[68:69], v[14:15]
	s_waitcnt vmcnt(56)
	v_fmac_f64_e32 v[78:79], v[70:71], v[16:17]
	v_add_f64 v[80:81], v[76:77], v[78:79]
	ds_read_b128 v[76:79], v1 offset:1408
	s_waitcnt vmcnt(52) lgkmcnt(1)
	;; [unrolled: 6-line block ×4, first 2 shown]
	v_mul_f64 v[90:91], v[80:81], v[34:35]
	s_waitcnt vmcnt(42)
	v_fmac_f64_e32 v[90:91], v[82:83], v[36:37]
	v_add_f64 v[2:3], v[2:3], 0
	v_fma_f64 v[4:5], v[56:57], v[4:5], -v[8:9]
	v_add_f64 v[92:93], v[88:89], v[90:91]
	ds_read_b128 v[88:91], v1 offset:1456
	s_waitcnt vmcnt(41) lgkmcnt(1)
	v_mul_f64 v[94:95], v[84:85], v[30:31]
	v_add_f64 v[2:3], v[2:3], v[4:5]
	v_mul_f64 v[4:5], v[62:63], v[12:13]
	s_waitcnt vmcnt(40)
	v_fmac_f64_e32 v[94:95], v[86:87], v[32:33]
	v_fma_f64 v[4:5], v[60:61], v[6:7], -v[4:5]
	v_add_f64 v[96:97], v[92:93], v[94:95]
	ds_read_b128 v[92:95], v1 offset:1472
	v_add_f64 v[2:3], v[2:3], v[4:5]
	v_mul_f64 v[4:5], v[66:67], v[18:19]
	v_fma_f64 v[4:5], v[64:65], v[20:21], -v[4:5]
	v_add_f64 v[2:3], v[2:3], v[4:5]
	v_mul_f64 v[4:5], v[70:71], v[14:15]
	s_waitcnt vmcnt(36) lgkmcnt(1)
	v_mul_f64 v[98:99], v[88:89], v[42:43]
	v_fma_f64 v[4:5], v[68:69], v[16:17], -v[4:5]
	s_waitcnt vmcnt(34)
	v_fmac_f64_e32 v[98:99], v[90:91], v[44:45]
	v_add_f64 v[2:3], v[2:3], v[4:5]
	v_mul_f64 v[4:5], v[74:75], v[26:27]
	v_add_f64 v[100:101], v[96:97], v[98:99]
	ds_read_b128 v[96:99], v1 offset:1488
	s_waitcnt vmcnt(33) lgkmcnt(1)
	v_mul_f64 v[102:103], v[92:93], v[38:39]
	v_fma_f64 v[4:5], v[72:73], v[28:29], -v[4:5]
	s_waitcnt vmcnt(32)
	v_fmac_f64_e32 v[102:103], v[94:95], v[40:41]
	v_add_f64 v[2:3], v[2:3], v[4:5]
	v_mul_f64 v[4:5], v[78:79], v[22:23]
	v_add_f64 v[104:105], v[100:101], v[102:103]
	ds_read_b128 v[100:103], v1 offset:1504
	v_fma_f64 v[4:5], v[76:77], v[24:25], -v[4:5]
	v_add_f64 v[2:3], v[2:3], v[4:5]
	v_mul_f64 v[4:5], v[82:83], v[34:35]
	v_fma_f64 v[4:5], v[80:81], v[36:37], -v[4:5]
	s_waitcnt vmcnt(28) lgkmcnt(1)
	v_mul_f64 v[106:107], v[96:97], v[50:51]
	v_add_f64 v[2:3], v[2:3], v[4:5]
	v_mul_f64 v[4:5], v[86:87], v[30:31]
	s_waitcnt vmcnt(26)
	v_fmac_f64_e32 v[106:107], v[98:99], v[124:125]
	v_fma_f64 v[4:5], v[84:85], v[32:33], -v[4:5]
	v_add_f64 v[108:109], v[104:105], v[106:107]
	ds_read_b128 v[104:107], v1 offset:1520
	s_waitcnt vmcnt(25) lgkmcnt(1)
	v_mul_f64 v[110:111], v[100:101], v[46:47]
	v_add_f64 v[2:3], v[2:3], v[4:5]
	v_mul_f64 v[4:5], v[90:91], v[42:43]
	s_waitcnt vmcnt(24)
	v_fmac_f64_e32 v[110:111], v[102:103], v[48:49]
	v_fma_f64 v[4:5], v[88:89], v[44:45], -v[4:5]
	v_add_f64 v[112:113], v[108:109], v[110:111]
	ds_read_b128 v[108:111], v1 offset:1536
	v_add_f64 v[2:3], v[2:3], v[4:5]
	v_mul_f64 v[4:5], v[94:95], v[38:39]
	v_fma_f64 v[4:5], v[92:93], v[40:41], -v[4:5]
	v_add_f64 v[2:3], v[2:3], v[4:5]
	v_mul_f64 v[4:5], v[98:99], v[50:51]
	s_waitcnt vmcnt(20) lgkmcnt(1)
	v_mul_f64 v[114:115], v[104:105], v[130:131]
	v_fma_f64 v[4:5], v[96:97], v[124:125], -v[4:5]
	s_waitcnt vmcnt(18)
	v_fmac_f64_e32 v[114:115], v[106:107], v[132:133]
	v_add_f64 v[2:3], v[2:3], v[4:5]
	v_mul_f64 v[4:5], v[102:103], v[46:47]
	v_add_f64 v[116:117], v[112:113], v[114:115]
	ds_read_b128 v[112:115], v1 offset:1552
	s_waitcnt vmcnt(17) lgkmcnt(1)
	v_mul_f64 v[118:119], v[108:109], v[126:127]
	v_fma_f64 v[4:5], v[100:101], v[48:49], -v[4:5]
	s_waitcnt vmcnt(16)
	v_fmac_f64_e32 v[118:119], v[110:111], v[128:129]
	v_add_f64 v[2:3], v[2:3], v[4:5]
	v_mul_f64 v[4:5], v[106:107], v[130:131]
	v_add_f64 v[150:151], v[116:117], v[118:119]
	ds_read_b128 v[116:119], v1 offset:1568
	v_fma_f64 v[4:5], v[104:105], v[132:133], -v[4:5]
	v_add_f64 v[2:3], v[2:3], v[4:5]
	v_mul_f64 v[4:5], v[110:111], v[126:127]
	v_fma_f64 v[4:5], v[108:109], v[128:129], -v[4:5]
	v_add_f64 v[2:3], v[2:3], v[4:5]
	s_waitcnt vmcnt(12) lgkmcnt(1)
	v_mul_f64 v[4:5], v[114:115], v[138:139]
	v_mul_f64 v[152:153], v[112:113], v[138:139]
	s_waitcnt vmcnt(10)
	v_fma_f64 v[4:5], v[112:113], v[140:141], -v[4:5]
	v_fmac_f64_e32 v[152:153], v[114:115], v[140:141]
	v_add_f64 v[2:3], v[2:3], v[4:5]
	s_waitcnt vmcnt(9) lgkmcnt(0)
	v_mul_f64 v[4:5], v[118:119], v[134:135]
	v_add_f64 v[150:151], v[150:151], v[152:153]
	v_mul_f64 v[152:153], v[116:117], v[134:135]
	s_waitcnt vmcnt(8)
	v_fma_f64 v[4:5], v[116:117], v[136:137], -v[4:5]
	v_fmac_f64_e32 v[152:153], v[118:119], v[136:137]
	v_add_f64 v[2:3], v[2:3], v[4:5]
	s_waitcnt vmcnt(6)
	v_mul_f64 v[4:5], v[122:123], v[142:143]
	v_add_f64 v[150:151], v[150:151], v[152:153]
	v_mul_f64 v[152:153], v[120:121], v[142:143]
	s_waitcnt vmcnt(4)
	v_fma_f64 v[4:5], v[120:121], v[144:145], -v[4:5]
	v_fmac_f64_e32 v[152:153], v[122:123], v[144:145]
	v_add_f64 v[2:3], v[2:3], v[4:5]
	v_add_f64 v[150:151], v[150:151], v[152:153]
	s_waitcnt vmcnt(2)
	v_add_f64 v[2:3], v[146:147], -v[2:3]
	s_waitcnt vmcnt(0)
	v_add_f64 v[4:5], v[148:149], -v[150:151]
	buffer_store_dword v3, off, s[0:3], 0 offset:516
	buffer_store_dword v2, off, s[0:3], 0 offset:512
	;; [unrolled: 1-line block ×4, first 2 shown]
	s_and_saveexec_b64 s[4:5], vcc
	s_cbranch_execz .LBB113_253
; %bb.252:
	v_accvgpr_read_b32 v0, a119
	buffer_load_dword v2, v0, s[0:3], 0 offen
	buffer_load_dword v3, v0, s[0:3], 0 offen offset:4
	buffer_load_dword v4, v0, s[0:3], 0 offen offset:8
	;; [unrolled: 1-line block ×3, first 2 shown]
	v_mov_b32_e32 v0, 0
	v_accvgpr_read_b32 v1, a150
	buffer_store_dword v0, off, s[0:3], 0 offset:496
	buffer_store_dword v0, off, s[0:3], 0 offset:500
	;; [unrolled: 1-line block ×4, first 2 shown]
	s_waitcnt vmcnt(4)
	ds_write_b128 v1, v[2:5]
.LBB113_253:
	s_or_b64 exec, exec, s[4:5]
	s_waitcnt lgkmcnt(0)
	; wave barrier
	s_waitcnt lgkmcnt(0)
	buffer_load_dword v2, off, s[0:3], 0 offset:512
	buffer_load_dword v3, off, s[0:3], 0 offset:516
	;; [unrolled: 1-line block ×76, first 2 shown]
	v_mov_b32_e32 v1, 0
	ds_read_b128 v[54:57], v1 offset:1296
	buffer_load_dword v154, off, s[0:3], 0 offset:496
	buffer_load_dword v155, off, s[0:3], 0 offset:500
	;; [unrolled: 1-line block ×4, first 2 shown]
	ds_read_b128 v[58:61], v1 offset:1312
	ds_read_b128 v[62:65], v1 offset:1328
	;; [unrolled: 1-line block ×4, first 2 shown]
	v_cmp_lt_u32_e32 vcc, 29, v254
	s_waitcnt vmcnt(62) lgkmcnt(4)
	v_mul_f64 v[70:71], v[54:55], v[8:9]
	v_fmac_f64_e32 v[70:71], v[56:57], v[2:3]
	v_add_f64 v[70:71], v[70:71], 0
	v_mul_f64 v[8:9], v[56:57], v[8:9]
	s_waitcnt lgkmcnt(3)
	v_mul_f64 v[72:73], v[58:59], v[10:11]
	v_fmac_f64_e32 v[72:73], v[60:61], v[4:5]
	v_add_f64 v[70:71], v[70:71], v[72:73]
	v_fma_f64 v[2:3], v[54:55], v[2:3], -v[8:9]
	s_waitcnt lgkmcnt(2)
	v_mul_f64 v[72:73], v[62:63], v[12:13]
	v_fmac_f64_e32 v[72:73], v[64:65], v[6:7]
	v_add_f64 v[74:75], v[70:71], v[72:73]
	ds_read_b128 v[70:73], v1 offset:1360
	s_waitcnt lgkmcnt(2)
	v_mul_f64 v[76:77], v[66:67], v[18:19]
	v_mul_f64 v[8:9], v[60:61], v[10:11]
	v_fmac_f64_e32 v[76:77], v[68:69], v[20:21]
	v_add_f64 v[78:79], v[74:75], v[76:77]
	ds_read_b128 v[74:77], v1 offset:1376
	s_waitcnt vmcnt(61) lgkmcnt(1)
	v_mul_f64 v[80:81], v[70:71], v[14:15]
	s_waitcnt vmcnt(60)
	v_fmac_f64_e32 v[80:81], v[72:73], v[16:17]
	v_add_f64 v[82:83], v[78:79], v[80:81]
	ds_read_b128 v[78:81], v1 offset:1392
	s_waitcnt vmcnt(56) lgkmcnt(1)
	v_mul_f64 v[84:85], v[74:75], v[26:27]
	s_waitcnt vmcnt(54)
	;; [unrolled: 6-line block ×4, first 2 shown]
	v_fmac_f64_e32 v[92:93], v[84:85], v[36:37]
	v_add_f64 v[94:95], v[90:91], v[92:93]
	ds_read_b128 v[90:93], v1 offset:1440
	v_add_f64 v[2:3], v[2:3], 0
	v_fma_f64 v[4:5], v[58:59], v[4:5], -v[8:9]
	s_waitcnt vmcnt(45) lgkmcnt(1)
	v_mul_f64 v[96:97], v[86:87], v[30:31]
	v_add_f64 v[2:3], v[2:3], v[4:5]
	v_mul_f64 v[4:5], v[64:65], v[12:13]
	s_waitcnt vmcnt(44)
	v_fmac_f64_e32 v[96:97], v[88:89], v[32:33]
	v_fma_f64 v[4:5], v[62:63], v[6:7], -v[4:5]
	v_add_f64 v[98:99], v[94:95], v[96:97]
	ds_read_b128 v[94:97], v1 offset:1456
	s_waitcnt vmcnt(40) lgkmcnt(1)
	v_mul_f64 v[100:101], v[90:91], v[42:43]
	v_add_f64 v[2:3], v[2:3], v[4:5]
	v_mul_f64 v[4:5], v[68:69], v[18:19]
	s_waitcnt vmcnt(38)
	v_fmac_f64_e32 v[100:101], v[92:93], v[44:45]
	v_fma_f64 v[4:5], v[66:67], v[20:21], -v[4:5]
	v_add_f64 v[102:103], v[98:99], v[100:101]
	ds_read_b128 v[98:101], v1 offset:1472
	v_add_f64 v[2:3], v[2:3], v[4:5]
	v_mul_f64 v[4:5], v[72:73], v[14:15]
	v_fma_f64 v[4:5], v[70:71], v[16:17], -v[4:5]
	v_add_f64 v[2:3], v[2:3], v[4:5]
	v_mul_f64 v[4:5], v[76:77], v[26:27]
	s_waitcnt vmcnt(37) lgkmcnt(1)
	v_mul_f64 v[104:105], v[94:95], v[38:39]
	v_fma_f64 v[4:5], v[74:75], v[28:29], -v[4:5]
	s_waitcnt vmcnt(36)
	v_fmac_f64_e32 v[104:105], v[96:97], v[40:41]
	v_add_f64 v[2:3], v[2:3], v[4:5]
	v_mul_f64 v[4:5], v[80:81], v[22:23]
	v_add_f64 v[106:107], v[102:103], v[104:105]
	ds_read_b128 v[102:105], v1 offset:1488
	s_waitcnt vmcnt(32) lgkmcnt(1)
	v_mul_f64 v[108:109], v[98:99], v[50:51]
	v_fma_f64 v[4:5], v[78:79], v[24:25], -v[4:5]
	s_waitcnt vmcnt(30)
	v_fmac_f64_e32 v[108:109], v[100:101], v[52:53]
	v_add_f64 v[2:3], v[2:3], v[4:5]
	v_mul_f64 v[4:5], v[84:85], v[34:35]
	v_add_f64 v[110:111], v[106:107], v[108:109]
	ds_read_b128 v[106:109], v1 offset:1504
	v_fma_f64 v[4:5], v[82:83], v[36:37], -v[4:5]
	v_add_f64 v[2:3], v[2:3], v[4:5]
	v_mul_f64 v[4:5], v[88:89], v[30:31]
	v_fma_f64 v[4:5], v[86:87], v[32:33], -v[4:5]
	s_waitcnt vmcnt(29) lgkmcnt(1)
	v_mul_f64 v[112:113], v[102:103], v[46:47]
	v_add_f64 v[2:3], v[2:3], v[4:5]
	v_mul_f64 v[4:5], v[92:93], v[42:43]
	s_waitcnt vmcnt(28)
	v_fmac_f64_e32 v[112:113], v[104:105], v[48:49]
	v_fma_f64 v[4:5], v[90:91], v[44:45], -v[4:5]
	v_add_f64 v[114:115], v[110:111], v[112:113]
	ds_read_b128 v[110:113], v1 offset:1520
	s_waitcnt vmcnt(24) lgkmcnt(1)
	v_mul_f64 v[116:117], v[106:107], v[134:135]
	v_add_f64 v[2:3], v[2:3], v[4:5]
	v_mul_f64 v[4:5], v[96:97], v[38:39]
	s_waitcnt vmcnt(22)
	v_fmac_f64_e32 v[116:117], v[108:109], v[136:137]
	v_fma_f64 v[4:5], v[94:95], v[40:41], -v[4:5]
	v_add_f64 v[118:119], v[114:115], v[116:117]
	ds_read_b128 v[114:117], v1 offset:1536
	v_add_f64 v[2:3], v[2:3], v[4:5]
	v_mul_f64 v[4:5], v[100:101], v[50:51]
	v_fma_f64 v[4:5], v[98:99], v[52:53], -v[4:5]
	v_add_f64 v[2:3], v[2:3], v[4:5]
	v_mul_f64 v[4:5], v[104:105], v[46:47]
	s_waitcnt vmcnt(21) lgkmcnt(1)
	v_mul_f64 v[120:121], v[110:111], v[130:131]
	v_fma_f64 v[4:5], v[102:103], v[48:49], -v[4:5]
	s_waitcnt vmcnt(20)
	v_fmac_f64_e32 v[120:121], v[112:113], v[132:133]
	v_add_f64 v[2:3], v[2:3], v[4:5]
	v_mul_f64 v[4:5], v[108:109], v[134:135]
	v_add_f64 v[122:123], v[118:119], v[120:121]
	ds_read_b128 v[118:121], v1 offset:1552
	s_waitcnt vmcnt(16) lgkmcnt(1)
	v_mul_f64 v[124:125], v[114:115], v[142:143]
	v_fma_f64 v[4:5], v[106:107], v[136:137], -v[4:5]
	s_waitcnt vmcnt(14)
	v_fmac_f64_e32 v[124:125], v[116:117], v[144:145]
	v_add_f64 v[2:3], v[2:3], v[4:5]
	v_mul_f64 v[4:5], v[112:113], v[130:131]
	v_add_f64 v[158:159], v[122:123], v[124:125]
	ds_read_b128 v[122:125], v1 offset:1568
	v_fma_f64 v[4:5], v[110:111], v[132:133], -v[4:5]
	v_add_f64 v[2:3], v[2:3], v[4:5]
	v_mul_f64 v[4:5], v[116:117], v[142:143]
	v_fma_f64 v[4:5], v[114:115], v[144:145], -v[4:5]
	v_add_f64 v[2:3], v[2:3], v[4:5]
	s_waitcnt vmcnt(13) lgkmcnt(1)
	v_mul_f64 v[4:5], v[120:121], v[138:139]
	v_mul_f64 v[160:161], v[118:119], v[138:139]
	s_waitcnt vmcnt(12)
	v_fma_f64 v[4:5], v[118:119], v[140:141], -v[4:5]
	v_fmac_f64_e32 v[160:161], v[120:121], v[140:141]
	v_add_f64 v[2:3], v[2:3], v[4:5]
	s_waitcnt vmcnt(8) lgkmcnt(0)
	v_mul_f64 v[4:5], v[124:125], v[150:151]
	v_add_f64 v[158:159], v[158:159], v[160:161]
	v_mul_f64 v[160:161], v[122:123], v[150:151]
	s_waitcnt vmcnt(6)
	v_fma_f64 v[4:5], v[122:123], v[152:153], -v[4:5]
	v_fmac_f64_e32 v[160:161], v[124:125], v[152:153]
	v_add_f64 v[2:3], v[2:3], v[4:5]
	s_waitcnt vmcnt(5)
	v_mul_f64 v[4:5], v[128:129], v[146:147]
	v_add_f64 v[158:159], v[158:159], v[160:161]
	v_mul_f64 v[160:161], v[126:127], v[146:147]
	s_waitcnt vmcnt(4)
	v_fma_f64 v[4:5], v[126:127], v[148:149], -v[4:5]
	v_fmac_f64_e32 v[160:161], v[128:129], v[148:149]
	v_add_f64 v[2:3], v[2:3], v[4:5]
	v_add_f64 v[158:159], v[158:159], v[160:161]
	s_waitcnt vmcnt(2)
	v_add_f64 v[2:3], v[154:155], -v[2:3]
	s_waitcnt vmcnt(0)
	v_add_f64 v[4:5], v[156:157], -v[158:159]
	buffer_store_dword v3, off, s[0:3], 0 offset:500
	buffer_store_dword v2, off, s[0:3], 0 offset:496
	;; [unrolled: 1-line block ×4, first 2 shown]
	s_and_saveexec_b64 s[4:5], vcc
	s_cbranch_execz .LBB113_255
; %bb.254:
	v_accvgpr_read_b32 v0, a120
	buffer_load_dword v2, v0, s[0:3], 0 offen
	buffer_load_dword v3, v0, s[0:3], 0 offen offset:4
	buffer_load_dword v4, v0, s[0:3], 0 offen offset:8
	;; [unrolled: 1-line block ×3, first 2 shown]
	v_accvgpr_read_b32 v0, a150
	buffer_store_dword v1, off, s[0:3], 0 offset:480
	buffer_store_dword v1, off, s[0:3], 0 offset:484
	;; [unrolled: 1-line block ×4, first 2 shown]
	s_waitcnt vmcnt(4)
	ds_write_b128 v0, v[2:5]
.LBB113_255:
	s_or_b64 exec, exec, s[4:5]
	s_waitcnt lgkmcnt(0)
	; wave barrier
	s_waitcnt lgkmcnt(0)
	buffer_load_dword v2, off, s[0:3], 0 offset:496
	buffer_load_dword v3, off, s[0:3], 0 offset:500
	buffer_load_dword v8, off, s[0:3], 0 offset:504
	buffer_load_dword v9, off, s[0:3], 0 offset:508
	buffer_load_dword v4, off, s[0:3], 0 offset:512
	buffer_load_dword v5, off, s[0:3], 0 offset:516
	buffer_load_dword v10, off, s[0:3], 0 offset:520
	buffer_load_dword v11, off, s[0:3], 0 offset:524
	buffer_load_dword v6, off, s[0:3], 0 offset:528
	buffer_load_dword v7, off, s[0:3], 0 offset:532
	buffer_load_dword v12, off, s[0:3], 0 offset:536
	buffer_load_dword v13, off, s[0:3], 0 offset:540
	buffer_load_dword v15, off, s[0:3], 0 offset:572
	buffer_load_dword v14, off, s[0:3], 0 offset:568
	buffer_load_dword v17, off, s[0:3], 0 offset:564
	buffer_load_dword v16, off, s[0:3], 0 offset:560
	buffer_load_dword v19, off, s[0:3], 0 offset:556
	buffer_load_dword v18, off, s[0:3], 0 offset:552
	buffer_load_dword v21, off, s[0:3], 0 offset:548
	buffer_load_dword v20, off, s[0:3], 0 offset:544
	buffer_load_dword v23, off, s[0:3], 0 offset:604
	buffer_load_dword v22, off, s[0:3], 0 offset:600
	buffer_load_dword v25, off, s[0:3], 0 offset:596
	buffer_load_dword v24, off, s[0:3], 0 offset:592
	buffer_load_dword v27, off, s[0:3], 0 offset:588
	buffer_load_dword v26, off, s[0:3], 0 offset:584
	buffer_load_dword v29, off, s[0:3], 0 offset:580
	buffer_load_dword v28, off, s[0:3], 0 offset:576
	buffer_load_dword v31, off, s[0:3], 0 offset:636
	buffer_load_dword v30, off, s[0:3], 0 offset:632
	buffer_load_dword v33, off, s[0:3], 0 offset:628
	buffer_load_dword v32, off, s[0:3], 0 offset:624
	buffer_load_dword v35, off, s[0:3], 0 offset:620
	buffer_load_dword v34, off, s[0:3], 0 offset:616
	buffer_load_dword v37, off, s[0:3], 0 offset:612
	buffer_load_dword v36, off, s[0:3], 0 offset:608
	buffer_load_dword v39, off, s[0:3], 0 offset:668
	buffer_load_dword v38, off, s[0:3], 0 offset:664
	buffer_load_dword v41, off, s[0:3], 0 offset:660
	buffer_load_dword v40, off, s[0:3], 0 offset:656
	buffer_load_dword v43, off, s[0:3], 0 offset:652
	buffer_load_dword v42, off, s[0:3], 0 offset:648
	buffer_load_dword v45, off, s[0:3], 0 offset:644
	buffer_load_dword v44, off, s[0:3], 0 offset:640
	buffer_load_dword v47, off, s[0:3], 0 offset:700
	buffer_load_dword v46, off, s[0:3], 0 offset:696
	buffer_load_dword v49, off, s[0:3], 0 offset:692
	buffer_load_dword v48, off, s[0:3], 0 offset:688
	buffer_load_dword v51, off, s[0:3], 0 offset:684
	buffer_load_dword v50, off, s[0:3], 0 offset:680
	buffer_load_dword v53, off, s[0:3], 0 offset:676
	buffer_load_dword v52, off, s[0:3], 0 offset:672
	buffer_load_dword v135, off, s[0:3], 0 offset:732
	buffer_load_dword v134, off, s[0:3], 0 offset:728
	buffer_load_dword v137, off, s[0:3], 0 offset:724
	buffer_load_dword v136, off, s[0:3], 0 offset:720
	buffer_load_dword v139, off, s[0:3], 0 offset:716
	buffer_load_dword v138, off, s[0:3], 0 offset:712
	buffer_load_dword v141, off, s[0:3], 0 offset:708
	buffer_load_dword v140, off, s[0:3], 0 offset:704
	buffer_load_dword v143, off, s[0:3], 0 offset:764
	buffer_load_dword v142, off, s[0:3], 0 offset:760
	buffer_load_dword v145, off, s[0:3], 0 offset:756
	buffer_load_dword v144, off, s[0:3], 0 offset:752
	buffer_load_dword v147, off, s[0:3], 0 offset:748
	buffer_load_dword v146, off, s[0:3], 0 offset:744
	buffer_load_dword v149, off, s[0:3], 0 offset:740
	buffer_load_dword v148, off, s[0:3], 0 offset:736
	buffer_load_dword v151, off, s[0:3], 0 offset:796
	buffer_load_dword v150, off, s[0:3], 0 offset:792
	buffer_load_dword v153, off, s[0:3], 0 offset:788
	buffer_load_dword v152, off, s[0:3], 0 offset:784
	buffer_load_dword v155, off, s[0:3], 0 offset:780
	buffer_load_dword v154, off, s[0:3], 0 offset:776
	buffer_load_dword v157, off, s[0:3], 0 offset:772
	buffer_load_dword v156, off, s[0:3], 0 offset:768
	ds_read_b128 v[54:57], v1 offset:1280
	buffer_load_dword v159, off, s[0:3], 0 offset:812
	buffer_load_dword v158, off, s[0:3], 0 offset:808
	buffer_load_dword v161, off, s[0:3], 0 offset:804
	buffer_load_dword v160, off, s[0:3], 0 offset:800
	buffer_load_dword v162, off, s[0:3], 0 offset:480
	buffer_load_dword v163, off, s[0:3], 0 offset:484
	buffer_load_dword v164, off, s[0:3], 0 offset:488
	buffer_load_dword v165, off, s[0:3], 0 offset:492
	ds_read_b128 v[58:61], v1 offset:1296
	ds_read_b128 v[62:65], v1 offset:1312
	;; [unrolled: 1-line block ×3, first 2 shown]
	v_cmp_lt_u32_e32 vcc, 28, v254
	ds_read_b128 v[130:133], v1 offset:1584
	s_waitcnt vmcnt(62) lgkmcnt(4)
	v_mul_f64 v[70:71], v[54:55], v[8:9]
	v_fmac_f64_e32 v[70:71], v[56:57], v[2:3]
	v_add_f64 v[70:71], v[70:71], 0
	v_mul_f64 v[8:9], v[56:57], v[8:9]
	s_waitcnt lgkmcnt(3)
	v_mul_f64 v[72:73], v[58:59], v[10:11]
	v_fmac_f64_e32 v[72:73], v[60:61], v[4:5]
	v_add_f64 v[70:71], v[70:71], v[72:73]
	v_fma_f64 v[2:3], v[54:55], v[2:3], -v[8:9]
	s_waitcnt lgkmcnt(2)
	v_mul_f64 v[72:73], v[62:63], v[12:13]
	v_fmac_f64_e32 v[72:73], v[64:65], v[6:7]
	v_add_f64 v[74:75], v[70:71], v[72:73]
	ds_read_b128 v[70:73], v1 offset:1344
	v_mul_f64 v[8:9], v[60:61], v[10:11]
	v_add_f64 v[2:3], v[2:3], 0
	s_waitcnt lgkmcnt(2)
	v_mul_f64 v[76:77], v[66:67], v[18:19]
	v_fma_f64 v[4:5], v[58:59], v[4:5], -v[8:9]
	v_fmac_f64_e32 v[76:77], v[68:69], v[20:21]
	v_add_f64 v[78:79], v[74:75], v[76:77]
	ds_read_b128 v[74:77], v1 offset:1360
	s_waitcnt lgkmcnt(1)
	v_mul_f64 v[80:81], v[70:71], v[14:15]
	v_fmac_f64_e32 v[80:81], v[72:73], v[16:17]
	v_add_f64 v[82:83], v[78:79], v[80:81]
	ds_read_b128 v[78:81], v1 offset:1376
	s_waitcnt vmcnt(58) lgkmcnt(1)
	v_mul_f64 v[84:85], v[74:75], v[26:27]
	s_waitcnt vmcnt(56)
	v_fmac_f64_e32 v[84:85], v[76:77], v[28:29]
	v_add_f64 v[86:87], v[82:83], v[84:85]
	ds_read_b128 v[82:85], v1 offset:1392
	s_waitcnt lgkmcnt(1)
	v_mul_f64 v[88:89], v[78:79], v[22:23]
	v_fmac_f64_e32 v[88:89], v[80:81], v[24:25]
	v_add_f64 v[90:91], v[86:87], v[88:89]
	ds_read_b128 v[86:89], v1 offset:1408
	s_waitcnt vmcnt(50) lgkmcnt(1)
	v_mul_f64 v[92:93], v[82:83], v[34:35]
	s_waitcnt vmcnt(48)
	v_fmac_f64_e32 v[92:93], v[84:85], v[36:37]
	v_add_f64 v[94:95], v[90:91], v[92:93]
	ds_read_b128 v[90:93], v1 offset:1424
	s_waitcnt lgkmcnt(1)
	v_mul_f64 v[96:97], v[86:87], v[30:31]
	v_fmac_f64_e32 v[96:97], v[88:89], v[32:33]
	v_add_f64 v[98:99], v[94:95], v[96:97]
	ds_read_b128 v[94:97], v1 offset:1440
	v_add_f64 v[2:3], v[2:3], v[4:5]
	v_mul_f64 v[4:5], v[64:65], v[12:13]
	v_fma_f64 v[4:5], v[62:63], v[6:7], -v[4:5]
	s_waitcnt vmcnt(42) lgkmcnt(1)
	v_mul_f64 v[100:101], v[90:91], v[42:43]
	v_add_f64 v[2:3], v[2:3], v[4:5]
	v_mul_f64 v[4:5], v[68:69], v[18:19]
	s_waitcnt vmcnt(40)
	v_fmac_f64_e32 v[100:101], v[92:93], v[44:45]
	v_fma_f64 v[4:5], v[66:67], v[20:21], -v[4:5]
	v_add_f64 v[102:103], v[98:99], v[100:101]
	ds_read_b128 v[98:101], v1 offset:1456
	s_waitcnt lgkmcnt(1)
	v_mul_f64 v[104:105], v[94:95], v[38:39]
	v_add_f64 v[2:3], v[2:3], v[4:5]
	v_mul_f64 v[4:5], v[72:73], v[14:15]
	v_fmac_f64_e32 v[104:105], v[96:97], v[40:41]
	v_fma_f64 v[4:5], v[70:71], v[16:17], -v[4:5]
	v_add_f64 v[106:107], v[102:103], v[104:105]
	ds_read_b128 v[102:105], v1 offset:1472
	v_add_f64 v[2:3], v[2:3], v[4:5]
	v_mul_f64 v[4:5], v[76:77], v[26:27]
	v_fma_f64 v[4:5], v[74:75], v[28:29], -v[4:5]
	v_add_f64 v[2:3], v[2:3], v[4:5]
	v_mul_f64 v[4:5], v[80:81], v[22:23]
	s_waitcnt vmcnt(34) lgkmcnt(1)
	v_mul_f64 v[108:109], v[98:99], v[50:51]
	v_fma_f64 v[4:5], v[78:79], v[24:25], -v[4:5]
	s_waitcnt vmcnt(32)
	v_fmac_f64_e32 v[108:109], v[100:101], v[52:53]
	v_add_f64 v[2:3], v[2:3], v[4:5]
	v_mul_f64 v[4:5], v[84:85], v[34:35]
	v_add_f64 v[110:111], v[106:107], v[108:109]
	ds_read_b128 v[106:109], v1 offset:1488
	s_waitcnt lgkmcnt(1)
	v_mul_f64 v[112:113], v[102:103], v[46:47]
	v_fma_f64 v[4:5], v[82:83], v[36:37], -v[4:5]
	v_fmac_f64_e32 v[112:113], v[104:105], v[48:49]
	v_add_f64 v[2:3], v[2:3], v[4:5]
	v_mul_f64 v[4:5], v[88:89], v[30:31]
	v_add_f64 v[114:115], v[110:111], v[112:113]
	ds_read_b128 v[110:113], v1 offset:1504
	v_fma_f64 v[4:5], v[86:87], v[32:33], -v[4:5]
	v_add_f64 v[2:3], v[2:3], v[4:5]
	v_mul_f64 v[4:5], v[92:93], v[42:43]
	v_fma_f64 v[4:5], v[90:91], v[44:45], -v[4:5]
	s_waitcnt vmcnt(26) lgkmcnt(1)
	v_mul_f64 v[116:117], v[106:107], v[138:139]
	v_add_f64 v[2:3], v[2:3], v[4:5]
	v_mul_f64 v[4:5], v[96:97], v[38:39]
	s_waitcnt vmcnt(24)
	v_fmac_f64_e32 v[116:117], v[108:109], v[140:141]
	v_fma_f64 v[4:5], v[94:95], v[40:41], -v[4:5]
	v_add_f64 v[118:119], v[114:115], v[116:117]
	ds_read_b128 v[114:117], v1 offset:1520
	s_waitcnt lgkmcnt(1)
	v_mul_f64 v[120:121], v[110:111], v[134:135]
	v_add_f64 v[2:3], v[2:3], v[4:5]
	v_mul_f64 v[4:5], v[100:101], v[50:51]
	v_fmac_f64_e32 v[120:121], v[112:113], v[136:137]
	v_fma_f64 v[4:5], v[98:99], v[52:53], -v[4:5]
	v_add_f64 v[122:123], v[118:119], v[120:121]
	ds_read_b128 v[118:121], v1 offset:1536
	v_add_f64 v[2:3], v[2:3], v[4:5]
	v_mul_f64 v[4:5], v[104:105], v[46:47]
	v_fma_f64 v[4:5], v[102:103], v[48:49], -v[4:5]
	v_add_f64 v[2:3], v[2:3], v[4:5]
	v_mul_f64 v[4:5], v[108:109], v[138:139]
	s_waitcnt vmcnt(18) lgkmcnt(1)
	v_mul_f64 v[124:125], v[114:115], v[146:147]
	v_fma_f64 v[4:5], v[106:107], v[140:141], -v[4:5]
	s_waitcnt vmcnt(16)
	v_fmac_f64_e32 v[124:125], v[116:117], v[148:149]
	v_add_f64 v[2:3], v[2:3], v[4:5]
	v_mul_f64 v[4:5], v[112:113], v[134:135]
	v_add_f64 v[126:127], v[122:123], v[124:125]
	ds_read_b128 v[122:125], v1 offset:1552
	s_waitcnt lgkmcnt(1)
	v_mul_f64 v[128:129], v[118:119], v[142:143]
	v_fma_f64 v[4:5], v[110:111], v[136:137], -v[4:5]
	v_fmac_f64_e32 v[128:129], v[120:121], v[144:145]
	v_add_f64 v[2:3], v[2:3], v[4:5]
	v_mul_f64 v[4:5], v[116:117], v[146:147]
	v_add_f64 v[166:167], v[126:127], v[128:129]
	ds_read_b128 v[126:129], v1 offset:1568
	v_fma_f64 v[4:5], v[114:115], v[148:149], -v[4:5]
	v_add_f64 v[2:3], v[2:3], v[4:5]
	v_mul_f64 v[4:5], v[120:121], v[142:143]
	v_fma_f64 v[4:5], v[118:119], v[144:145], -v[4:5]
	v_add_f64 v[2:3], v[2:3], v[4:5]
	s_waitcnt vmcnt(10) lgkmcnt(1)
	v_mul_f64 v[4:5], v[124:125], v[154:155]
	v_mul_f64 v[168:169], v[122:123], v[154:155]
	s_waitcnt vmcnt(8)
	v_fma_f64 v[4:5], v[122:123], v[156:157], -v[4:5]
	v_fmac_f64_e32 v[168:169], v[124:125], v[156:157]
	v_add_f64 v[2:3], v[2:3], v[4:5]
	s_waitcnt lgkmcnt(0)
	v_mul_f64 v[4:5], v[128:129], v[150:151]
	v_add_f64 v[166:167], v[166:167], v[168:169]
	v_mul_f64 v[168:169], v[126:127], v[150:151]
	v_fma_f64 v[4:5], v[126:127], v[152:153], -v[4:5]
	v_fmac_f64_e32 v[168:169], v[128:129], v[152:153]
	v_add_f64 v[2:3], v[2:3], v[4:5]
	s_waitcnt vmcnt(6)
	v_mul_f64 v[4:5], v[132:133], v[158:159]
	v_add_f64 v[166:167], v[166:167], v[168:169]
	v_mul_f64 v[168:169], v[130:131], v[158:159]
	s_waitcnt vmcnt(4)
	v_fma_f64 v[4:5], v[130:131], v[160:161], -v[4:5]
	v_fmac_f64_e32 v[168:169], v[132:133], v[160:161]
	v_add_f64 v[2:3], v[2:3], v[4:5]
	v_add_f64 v[166:167], v[166:167], v[168:169]
	s_waitcnt vmcnt(2)
	v_add_f64 v[2:3], v[162:163], -v[2:3]
	s_waitcnt vmcnt(0)
	v_add_f64 v[4:5], v[164:165], -v[166:167]
	buffer_store_dword v3, off, s[0:3], 0 offset:484
	buffer_store_dword v2, off, s[0:3], 0 offset:480
	buffer_store_dword v5, off, s[0:3], 0 offset:492
	buffer_store_dword v4, off, s[0:3], 0 offset:488
	s_and_saveexec_b64 s[4:5], vcc
	s_cbranch_execz .LBB113_257
; %bb.256:
	v_accvgpr_read_b32 v0, a121
	buffer_load_dword v2, v0, s[0:3], 0 offen
	buffer_load_dword v3, v0, s[0:3], 0 offen offset:4
	buffer_load_dword v4, v0, s[0:3], 0 offen offset:8
	;; [unrolled: 1-line block ×3, first 2 shown]
	v_mov_b32_e32 v0, 0
	v_accvgpr_read_b32 v1, a150
	buffer_store_dword v0, off, s[0:3], 0 offset:464
	buffer_store_dword v0, off, s[0:3], 0 offset:468
	buffer_store_dword v0, off, s[0:3], 0 offset:472
	buffer_store_dword v0, off, s[0:3], 0 offset:476
	s_waitcnt vmcnt(4)
	ds_write_b128 v1, v[2:5]
.LBB113_257:
	s_or_b64 exec, exec, s[4:5]
	s_waitcnt lgkmcnt(0)
	; wave barrier
	s_waitcnt lgkmcnt(0)
	buffer_load_dword v4, off, s[0:3], 0 offset:464
	buffer_load_dword v5, off, s[0:3], 0 offset:468
	;; [unrolled: 1-line block ×84, first 2 shown]
	v_mov_b32_e32 v1, 0
	ds_read_b128 v[66:69], v1 offset:1264
	buffer_load_dword v171, off, s[0:3], 0 offset:812
	buffer_load_dword v170, off, s[0:3], 0 offset:808
	;; [unrolled: 1-line block ×4, first 2 shown]
	ds_read_b128 v[70:73], v1 offset:1280
	ds_read_b128 v[74:77], v1 offset:1296
	;; [unrolled: 1-line block ×4, first 2 shown]
	v_cmp_lt_u32_e32 vcc, 27, v254
	s_waitcnt vmcnt(62) lgkmcnt(4)
	v_mul_f64 v[82:83], v[66:67], v[12:13]
	v_fmac_f64_e32 v[82:83], v[68:69], v[6:7]
	s_waitcnt lgkmcnt(3)
	v_mul_f64 v[84:85], v[70:71], v[14:15]
	v_add_f64 v[82:83], v[82:83], 0
	v_fmac_f64_e32 v[84:85], v[72:73], v[8:9]
	v_add_f64 v[82:83], v[82:83], v[84:85]
	s_waitcnt lgkmcnt(2)
	v_mul_f64 v[84:85], v[74:75], v[16:17]
	v_fmac_f64_e32 v[84:85], v[76:77], v[10:11]
	v_add_f64 v[86:87], v[82:83], v[84:85]
	ds_read_b128 v[82:85], v1 offset:1328
	v_mul_f64 v[12:13], v[68:69], v[12:13]
	s_waitcnt lgkmcnt(2)
	v_mul_f64 v[88:89], v[78:79], v[22:23]
	v_fma_f64 v[6:7], v[66:67], v[6:7], -v[12:13]
	v_fmac_f64_e32 v[88:89], v[80:81], v[24:25]
	v_add_f64 v[90:91], v[86:87], v[88:89]
	ds_read_b128 v[86:89], v1 offset:1344
	s_waitcnt lgkmcnt(1)
	v_mul_f64 v[92:93], v[82:83], v[18:19]
	v_fmac_f64_e32 v[92:93], v[84:85], v[20:21]
	v_add_f64 v[94:95], v[90:91], v[92:93]
	ds_read_b128 v[90:93], v1 offset:1360
	s_waitcnt vmcnt(58) lgkmcnt(1)
	v_mul_f64 v[96:97], v[86:87], v[30:31]
	s_waitcnt vmcnt(56)
	v_fmac_f64_e32 v[96:97], v[88:89], v[32:33]
	v_add_f64 v[98:99], v[94:95], v[96:97]
	ds_read_b128 v[94:97], v1 offset:1376
	s_waitcnt lgkmcnt(1)
	v_mul_f64 v[100:101], v[90:91], v[26:27]
	v_fmac_f64_e32 v[100:101], v[92:93], v[28:29]
	v_add_f64 v[102:103], v[98:99], v[100:101]
	ds_read_b128 v[98:101], v1 offset:1392
	s_waitcnt vmcnt(50) lgkmcnt(1)
	v_mul_f64 v[104:105], v[94:95], v[38:39]
	s_waitcnt vmcnt(48)
	v_fmac_f64_e32 v[104:105], v[96:97], v[40:41]
	v_add_f64 v[106:107], v[102:103], v[104:105]
	ds_read_b128 v[102:105], v1 offset:1408
	s_waitcnt lgkmcnt(1)
	v_mul_f64 v[108:109], v[98:99], v[34:35]
	v_fmac_f64_e32 v[108:109], v[100:101], v[36:37]
	v_mul_f64 v[12:13], v[72:73], v[14:15]
	v_add_f64 v[110:111], v[106:107], v[108:109]
	ds_read_b128 v[106:109], v1 offset:1424
	s_waitcnt vmcnt(42) lgkmcnt(1)
	v_mul_f64 v[112:113], v[102:103], v[46:47]
	v_add_f64 v[6:7], v[6:7], 0
	v_fma_f64 v[8:9], v[70:71], v[8:9], -v[12:13]
	s_waitcnt vmcnt(40)
	v_fmac_f64_e32 v[112:113], v[104:105], v[48:49]
	v_add_f64 v[6:7], v[6:7], v[8:9]
	v_mul_f64 v[8:9], v[76:77], v[16:17]
	v_add_f64 v[114:115], v[110:111], v[112:113]
	ds_read_b128 v[110:113], v1 offset:1440
	v_fma_f64 v[8:9], v[74:75], v[10:11], -v[8:9]
	v_add_f64 v[6:7], v[6:7], v[8:9]
	v_mul_f64 v[8:9], v[80:81], v[22:23]
	v_fma_f64 v[8:9], v[78:79], v[24:25], -v[8:9]
	s_waitcnt lgkmcnt(1)
	v_mul_f64 v[116:117], v[106:107], v[42:43]
	v_add_f64 v[6:7], v[6:7], v[8:9]
	v_mul_f64 v[8:9], v[84:85], v[18:19]
	v_fmac_f64_e32 v[116:117], v[108:109], v[44:45]
	v_fma_f64 v[8:9], v[82:83], v[20:21], -v[8:9]
	v_add_f64 v[118:119], v[114:115], v[116:117]
	ds_read_b128 v[114:117], v1 offset:1456
	s_waitcnt vmcnt(34) lgkmcnt(1)
	v_mul_f64 v[120:121], v[110:111], v[54:55]
	v_add_f64 v[6:7], v[6:7], v[8:9]
	v_mul_f64 v[8:9], v[88:89], v[30:31]
	s_waitcnt vmcnt(32)
	v_fmac_f64_e32 v[120:121], v[112:113], v[56:57]
	v_fma_f64 v[8:9], v[86:87], v[32:33], -v[8:9]
	v_add_f64 v[122:123], v[118:119], v[120:121]
	ds_read_b128 v[118:121], v1 offset:1472
	v_add_f64 v[6:7], v[6:7], v[8:9]
	v_mul_f64 v[8:9], v[92:93], v[26:27]
	v_fma_f64 v[8:9], v[90:91], v[28:29], -v[8:9]
	v_add_f64 v[6:7], v[6:7], v[8:9]
	v_mul_f64 v[8:9], v[96:97], v[38:39]
	s_waitcnt lgkmcnt(1)
	v_mul_f64 v[124:125], v[114:115], v[50:51]
	v_fma_f64 v[8:9], v[94:95], v[40:41], -v[8:9]
	v_fmac_f64_e32 v[124:125], v[116:117], v[52:53]
	v_add_f64 v[6:7], v[6:7], v[8:9]
	v_mul_f64 v[8:9], v[100:101], v[34:35]
	v_add_f64 v[126:127], v[122:123], v[124:125]
	ds_read_b128 v[122:125], v1 offset:1488
	s_waitcnt vmcnt(26) lgkmcnt(1)
	v_mul_f64 v[128:129], v[118:119], v[62:63]
	v_fma_f64 v[8:9], v[98:99], v[36:37], -v[8:9]
	s_waitcnt vmcnt(24)
	v_fmac_f64_e32 v[128:129], v[120:121], v[64:65]
	v_add_f64 v[6:7], v[6:7], v[8:9]
	v_mul_f64 v[8:9], v[104:105], v[46:47]
	v_add_f64 v[130:131], v[126:127], v[128:129]
	ds_read_b128 v[126:129], v1 offset:1504
	v_fma_f64 v[8:9], v[102:103], v[48:49], -v[8:9]
	v_add_f64 v[6:7], v[6:7], v[8:9]
	v_mul_f64 v[8:9], v[108:109], v[42:43]
	v_fma_f64 v[8:9], v[106:107], v[44:45], -v[8:9]
	s_waitcnt lgkmcnt(1)
	v_mul_f64 v[132:133], v[122:123], v[58:59]
	v_add_f64 v[6:7], v[6:7], v[8:9]
	v_mul_f64 v[8:9], v[112:113], v[54:55]
	v_fmac_f64_e32 v[132:133], v[124:125], v[60:61]
	v_fma_f64 v[8:9], v[110:111], v[56:57], -v[8:9]
	v_add_f64 v[134:135], v[130:131], v[132:133]
	ds_read_b128 v[130:133], v1 offset:1520
	s_waitcnt vmcnt(18) lgkmcnt(1)
	v_mul_f64 v[136:137], v[126:127], v[154:155]
	v_add_f64 v[6:7], v[6:7], v[8:9]
	v_mul_f64 v[8:9], v[116:117], v[50:51]
	s_waitcnt vmcnt(16)
	v_fmac_f64_e32 v[136:137], v[128:129], v[156:157]
	v_fma_f64 v[8:9], v[114:115], v[52:53], -v[8:9]
	v_add_f64 v[138:139], v[134:135], v[136:137]
	ds_read_b128 v[134:137], v1 offset:1536
	v_add_f64 v[6:7], v[6:7], v[8:9]
	v_mul_f64 v[8:9], v[120:121], v[62:63]
	v_fma_f64 v[8:9], v[118:119], v[64:65], -v[8:9]
	v_add_f64 v[6:7], v[6:7], v[8:9]
	v_mul_f64 v[8:9], v[124:125], v[58:59]
	s_waitcnt lgkmcnt(1)
	v_mul_f64 v[140:141], v[130:131], v[150:151]
	v_fma_f64 v[8:9], v[122:123], v[60:61], -v[8:9]
	v_fmac_f64_e32 v[140:141], v[132:133], v[152:153]
	v_add_f64 v[6:7], v[6:7], v[8:9]
	v_mul_f64 v[8:9], v[128:129], v[154:155]
	v_add_f64 v[142:143], v[138:139], v[140:141]
	ds_read_b128 v[138:141], v1 offset:1552
	s_waitcnt vmcnt(10) lgkmcnt(1)
	v_mul_f64 v[144:145], v[134:135], v[162:163]
	v_fma_f64 v[8:9], v[126:127], v[156:157], -v[8:9]
	s_waitcnt vmcnt(8)
	v_fmac_f64_e32 v[144:145], v[136:137], v[164:165]
	v_add_f64 v[6:7], v[6:7], v[8:9]
	v_mul_f64 v[8:9], v[132:133], v[150:151]
	v_add_f64 v[174:175], v[142:143], v[144:145]
	ds_read_b128 v[142:145], v1 offset:1568
	v_fma_f64 v[8:9], v[130:131], v[152:153], -v[8:9]
	v_add_f64 v[6:7], v[6:7], v[8:9]
	v_mul_f64 v[8:9], v[136:137], v[162:163]
	v_fma_f64 v[8:9], v[134:135], v[164:165], -v[8:9]
	v_add_f64 v[6:7], v[6:7], v[8:9]
	s_waitcnt lgkmcnt(1)
	v_mul_f64 v[8:9], v[140:141], v[158:159]
	v_mul_f64 v[176:177], v[138:139], v[158:159]
	v_fma_f64 v[8:9], v[138:139], v[160:161], -v[8:9]
	v_fmac_f64_e32 v[176:177], v[140:141], v[160:161]
	v_add_f64 v[6:7], v[6:7], v[8:9]
	s_waitcnt vmcnt(6) lgkmcnt(0)
	v_mul_f64 v[8:9], v[144:145], v[166:167]
	v_add_f64 v[174:175], v[174:175], v[176:177]
	v_mul_f64 v[176:177], v[142:143], v[166:167]
	s_waitcnt vmcnt(4)
	v_fma_f64 v[8:9], v[142:143], v[168:169], -v[8:9]
	v_fmac_f64_e32 v[176:177], v[144:145], v[168:169]
	v_add_f64 v[6:7], v[6:7], v[8:9]
	s_waitcnt vmcnt(2)
	v_mul_f64 v[8:9], v[148:149], v[170:171]
	v_add_f64 v[174:175], v[174:175], v[176:177]
	v_mul_f64 v[176:177], v[146:147], v[170:171]
	s_waitcnt vmcnt(0)
	v_fma_f64 v[8:9], v[146:147], v[172:173], -v[8:9]
	v_fmac_f64_e32 v[176:177], v[148:149], v[172:173]
	v_add_f64 v[6:7], v[6:7], v[8:9]
	v_add_f64 v[174:175], v[174:175], v[176:177]
	v_add_f64 v[4:5], v[4:5], -v[6:7]
	v_add_f64 v[2:3], v[2:3], -v[174:175]
	buffer_store_dword v5, off, s[0:3], 0 offset:468
	buffer_store_dword v4, off, s[0:3], 0 offset:464
	;; [unrolled: 1-line block ×4, first 2 shown]
	s_and_saveexec_b64 s[4:5], vcc
	s_cbranch_execz .LBB113_259
; %bb.258:
	v_accvgpr_read_b32 v0, a122
	buffer_load_dword v2, v0, s[0:3], 0 offen
	buffer_load_dword v3, v0, s[0:3], 0 offen offset:4
	buffer_load_dword v4, v0, s[0:3], 0 offen offset:8
	;; [unrolled: 1-line block ×3, first 2 shown]
	v_accvgpr_read_b32 v0, a150
	buffer_store_dword v1, off, s[0:3], 0 offset:448
	buffer_store_dword v1, off, s[0:3], 0 offset:452
	;; [unrolled: 1-line block ×4, first 2 shown]
	s_waitcnt vmcnt(4)
	ds_write_b128 v0, v[2:5]
.LBB113_259:
	s_or_b64 exec, exec, s[4:5]
	s_waitcnt lgkmcnt(0)
	; wave barrier
	s_waitcnt lgkmcnt(0)
	ds_read_b128 v[14:17], v1 offset:1248
	ds_read_b128 v[10:13], v1 offset:1264
	;; [unrolled: 1-line block ×4, first 2 shown]
	buffer_load_dword v20, off, s[0:3], 0 offset:448
	buffer_load_dword v21, off, s[0:3], 0 offset:452
	;; [unrolled: 1-line block ×92, first 2 shown]
	s_waitcnt vmcnt(62) lgkmcnt(3)
	v_mul_f64 v[86:87], v[14:15], v[28:29]
	v_fmac_f64_e32 v[86:87], v[16:17], v[22:23]
	s_waitcnt lgkmcnt(2)
	v_mul_f64 v[88:89], v[10:11], v[30:31]
	v_add_f64 v[86:87], v[86:87], 0
	v_fmac_f64_e32 v[88:89], v[12:13], v[24:25]
	v_add_f64 v[86:87], v[86:87], v[88:89]
	s_waitcnt lgkmcnt(1)
	v_mul_f64 v[88:89], v[6:7], v[32:33]
	v_fmac_f64_e32 v[88:89], v[8:9], v[26:27]
	v_add_f64 v[90:91], v[86:87], v[88:89]
	ds_read_b128 v[86:89], v1 offset:1312
	v_mul_f64 v[16:17], v[16:17], v[28:29]
	v_fma_f64 v[14:15], v[14:15], v[22:23], -v[16:17]
	s_waitcnt lgkmcnt(1)
	v_mul_f64 v[92:93], v[2:3], v[38:39]
	v_mul_f64 v[12:13], v[12:13], v[30:31]
	v_fmac_f64_e32 v[92:93], v[4:5], v[40:41]
	v_add_f64 v[94:95], v[90:91], v[92:93]
	ds_read_b128 v[90:93], v1 offset:1328
	s_waitcnt lgkmcnt(1)
	v_mul_f64 v[96:97], v[86:87], v[34:35]
	v_fmac_f64_e32 v[96:97], v[88:89], v[36:37]
	v_add_f64 v[98:99], v[94:95], v[96:97]
	ds_read_b128 v[94:97], v1 offset:1344
	s_waitcnt lgkmcnt(1)
	v_mul_f64 v[100:101], v[90:91], v[46:47]
	s_waitcnt vmcnt(60)
	v_fmac_f64_e32 v[100:101], v[92:93], v[48:49]
	v_add_f64 v[102:103], v[98:99], v[100:101]
	ds_read_b128 v[98:101], v1 offset:1360
	s_waitcnt lgkmcnt(1)
	v_mul_f64 v[104:105], v[94:95], v[42:43]
	v_fmac_f64_e32 v[104:105], v[96:97], v[44:45]
	v_add_f64 v[106:107], v[102:103], v[104:105]
	ds_read_b128 v[102:105], v1 offset:1376
	s_waitcnt vmcnt(54) lgkmcnt(1)
	v_mul_f64 v[108:109], v[98:99], v[54:55]
	s_waitcnt vmcnt(52)
	v_fmac_f64_e32 v[108:109], v[100:101], v[56:57]
	v_add_f64 v[110:111], v[106:107], v[108:109]
	ds_read_b128 v[106:109], v1 offset:1392
	s_waitcnt lgkmcnt(1)
	v_mul_f64 v[112:113], v[102:103], v[50:51]
	v_fmac_f64_e32 v[112:113], v[104:105], v[52:53]
	v_add_f64 v[114:115], v[110:111], v[112:113]
	ds_read_b128 v[110:113], v1 offset:1408
	s_waitcnt vmcnt(46) lgkmcnt(1)
	v_mul_f64 v[116:117], v[106:107], v[62:63]
	s_waitcnt vmcnt(44)
	v_fmac_f64_e32 v[116:117], v[108:109], v[64:65]
	v_add_f64 v[118:119], v[114:115], v[116:117]
	ds_read_b128 v[114:117], v1 offset:1424
	s_waitcnt lgkmcnt(1)
	v_mul_f64 v[120:121], v[110:111], v[58:59]
	v_fmac_f64_e32 v[120:121], v[112:113], v[60:61]
	v_add_f64 v[14:15], v[14:15], 0
	v_fma_f64 v[10:11], v[10:11], v[24:25], -v[12:13]
	v_mul_f64 v[8:9], v[8:9], v[32:33]
	v_add_f64 v[122:123], v[118:119], v[120:121]
	ds_read_b128 v[118:121], v1 offset:1440
	v_add_f64 v[10:11], v[14:15], v[10:11]
	v_fma_f64 v[6:7], v[6:7], v[26:27], -v[8:9]
	v_mul_f64 v[4:5], v[4:5], v[38:39]
	v_add_f64 v[6:7], v[10:11], v[6:7]
	v_fma_f64 v[2:3], v[2:3], v[40:41], -v[4:5]
	v_mul_f64 v[4:5], v[88:89], v[34:35]
	v_add_f64 v[2:3], v[6:7], v[2:3]
	v_fma_f64 v[4:5], v[86:87], v[36:37], -v[4:5]
	s_waitcnt vmcnt(38) lgkmcnt(1)
	v_mul_f64 v[124:125], v[114:115], v[70:71]
	v_add_f64 v[2:3], v[2:3], v[4:5]
	v_mul_f64 v[4:5], v[92:93], v[46:47]
	s_waitcnt vmcnt(36)
	v_fmac_f64_e32 v[124:125], v[116:117], v[72:73]
	v_fma_f64 v[4:5], v[90:91], v[48:49], -v[4:5]
	v_add_f64 v[126:127], v[122:123], v[124:125]
	ds_read_b128 v[122:125], v1 offset:1456
	s_waitcnt lgkmcnt(1)
	v_mul_f64 v[128:129], v[118:119], v[66:67]
	v_add_f64 v[2:3], v[2:3], v[4:5]
	v_mul_f64 v[4:5], v[96:97], v[42:43]
	v_fmac_f64_e32 v[128:129], v[120:121], v[68:69]
	v_fma_f64 v[4:5], v[94:95], v[44:45], -v[4:5]
	v_add_f64 v[130:131], v[126:127], v[128:129]
	ds_read_b128 v[126:129], v1 offset:1472
	v_add_f64 v[2:3], v[2:3], v[4:5]
	v_mul_f64 v[4:5], v[100:101], v[54:55]
	v_fma_f64 v[4:5], v[98:99], v[56:57], -v[4:5]
	v_add_f64 v[2:3], v[2:3], v[4:5]
	v_mul_f64 v[4:5], v[104:105], v[50:51]
	s_waitcnt vmcnt(30) lgkmcnt(1)
	v_mul_f64 v[132:133], v[122:123], v[78:79]
	v_fma_f64 v[4:5], v[102:103], v[52:53], -v[4:5]
	s_waitcnt vmcnt(28)
	v_fmac_f64_e32 v[132:133], v[124:125], v[80:81]
	v_add_f64 v[2:3], v[2:3], v[4:5]
	v_mul_f64 v[4:5], v[108:109], v[62:63]
	v_add_f64 v[134:135], v[130:131], v[132:133]
	ds_read_b128 v[130:133], v1 offset:1488
	s_waitcnt lgkmcnt(1)
	v_mul_f64 v[136:137], v[126:127], v[74:75]
	v_fma_f64 v[4:5], v[106:107], v[64:65], -v[4:5]
	v_fmac_f64_e32 v[136:137], v[128:129], v[76:77]
	v_add_f64 v[2:3], v[2:3], v[4:5]
	v_mul_f64 v[4:5], v[112:113], v[58:59]
	v_add_f64 v[138:139], v[134:135], v[136:137]
	ds_read_b128 v[134:137], v1 offset:1504
	v_fma_f64 v[4:5], v[110:111], v[60:61], -v[4:5]
	v_add_f64 v[2:3], v[2:3], v[4:5]
	v_mul_f64 v[4:5], v[116:117], v[70:71]
	v_fma_f64 v[4:5], v[114:115], v[72:73], -v[4:5]
	s_waitcnt vmcnt(22) lgkmcnt(1)
	v_mul_f64 v[140:141], v[130:131], v[158:159]
	v_add_f64 v[2:3], v[2:3], v[4:5]
	v_mul_f64 v[4:5], v[120:121], v[66:67]
	s_waitcnt vmcnt(20)
	v_fmac_f64_e32 v[140:141], v[132:133], v[160:161]
	v_fma_f64 v[4:5], v[118:119], v[68:69], -v[4:5]
	v_add_f64 v[142:143], v[138:139], v[140:141]
	ds_read_b128 v[138:141], v1 offset:1520
	s_waitcnt lgkmcnt(1)
	v_mul_f64 v[144:145], v[134:135], v[82:83]
	v_add_f64 v[2:3], v[2:3], v[4:5]
	v_mul_f64 v[4:5], v[124:125], v[78:79]
	v_fmac_f64_e32 v[144:145], v[136:137], v[84:85]
	v_fma_f64 v[4:5], v[122:123], v[80:81], -v[4:5]
	v_add_f64 v[146:147], v[142:143], v[144:145]
	ds_read_b128 v[142:145], v1 offset:1536
	v_add_f64 v[2:3], v[2:3], v[4:5]
	v_mul_f64 v[4:5], v[128:129], v[74:75]
	v_fma_f64 v[4:5], v[126:127], v[76:77], -v[4:5]
	v_add_f64 v[2:3], v[2:3], v[4:5]
	v_mul_f64 v[4:5], v[132:133], v[158:159]
	s_waitcnt vmcnt(14) lgkmcnt(1)
	v_mul_f64 v[148:149], v[138:139], v[166:167]
	v_fma_f64 v[4:5], v[130:131], v[160:161], -v[4:5]
	s_waitcnt vmcnt(12)
	v_fmac_f64_e32 v[148:149], v[140:141], v[168:169]
	v_add_f64 v[2:3], v[2:3], v[4:5]
	v_mul_f64 v[4:5], v[136:137], v[82:83]
	v_add_f64 v[150:151], v[146:147], v[148:149]
	ds_read_b128 v[146:149], v1 offset:1552
	s_waitcnt lgkmcnt(1)
	v_mul_f64 v[152:153], v[142:143], v[162:163]
	v_fma_f64 v[4:5], v[134:135], v[84:85], -v[4:5]
	v_fmac_f64_e32 v[152:153], v[144:145], v[164:165]
	v_add_f64 v[2:3], v[2:3], v[4:5]
	v_mul_f64 v[4:5], v[140:141], v[166:167]
	v_add_f64 v[182:183], v[150:151], v[152:153]
	ds_read_b128 v[150:153], v1 offset:1568
	ds_read_b128 v[154:157], v1 offset:1584
	v_fma_f64 v[4:5], v[138:139], v[168:169], -v[4:5]
	v_add_f64 v[2:3], v[2:3], v[4:5]
	v_mul_f64 v[4:5], v[144:145], v[162:163]
	v_fma_f64 v[4:5], v[142:143], v[164:165], -v[4:5]
	v_add_f64 v[2:3], v[2:3], v[4:5]
	s_waitcnt vmcnt(6) lgkmcnt(2)
	v_mul_f64 v[4:5], v[148:149], v[174:175]
	v_mul_f64 v[184:185], v[146:147], v[174:175]
	s_waitcnt vmcnt(4)
	v_fma_f64 v[4:5], v[146:147], v[176:177], -v[4:5]
	v_fmac_f64_e32 v[184:185], v[148:149], v[176:177]
	v_add_f64 v[2:3], v[2:3], v[4:5]
	s_waitcnt lgkmcnt(1)
	v_mul_f64 v[4:5], v[152:153], v[170:171]
	v_add_f64 v[182:183], v[182:183], v[184:185]
	v_mul_f64 v[184:185], v[150:151], v[170:171]
	v_fma_f64 v[4:5], v[150:151], v[172:173], -v[4:5]
	v_fmac_f64_e32 v[184:185], v[152:153], v[172:173]
	v_add_f64 v[2:3], v[2:3], v[4:5]
	s_waitcnt vmcnt(2) lgkmcnt(0)
	v_mul_f64 v[4:5], v[156:157], v[178:179]
	v_add_f64 v[182:183], v[182:183], v[184:185]
	v_mul_f64 v[184:185], v[154:155], v[178:179]
	s_waitcnt vmcnt(0)
	v_fma_f64 v[4:5], v[154:155], v[180:181], -v[4:5]
	v_fmac_f64_e32 v[184:185], v[156:157], v[180:181]
	v_add_f64 v[2:3], v[2:3], v[4:5]
	v_add_f64 v[182:183], v[182:183], v[184:185]
	v_add_f64 v[2:3], v[20:21], -v[2:3]
	v_cmp_lt_u32_e32 vcc, 26, v254
	v_add_f64 v[4:5], v[18:19], -v[182:183]
	buffer_store_dword v3, off, s[0:3], 0 offset:452
	buffer_store_dword v2, off, s[0:3], 0 offset:448
	;; [unrolled: 1-line block ×4, first 2 shown]
	s_and_saveexec_b64 s[4:5], vcc
	s_cbranch_execz .LBB113_261
; %bb.260:
	v_accvgpr_read_b32 v0, a123
	buffer_load_dword v2, v0, s[0:3], 0 offen
	buffer_load_dword v3, v0, s[0:3], 0 offen offset:4
	buffer_load_dword v4, v0, s[0:3], 0 offen offset:8
	;; [unrolled: 1-line block ×3, first 2 shown]
	v_mov_b32_e32 v0, 0
	v_accvgpr_read_b32 v1, a150
	buffer_store_dword v0, off, s[0:3], 0 offset:432
	buffer_store_dword v0, off, s[0:3], 0 offset:436
	;; [unrolled: 1-line block ×4, first 2 shown]
	s_waitcnt vmcnt(4)
	ds_write_b128 v1, v[2:5]
.LBB113_261:
	s_or_b64 exec, exec, s[4:5]
	s_waitcnt lgkmcnt(0)
	; wave barrier
	s_waitcnt lgkmcnt(0)
	buffer_load_dword v9, off, s[0:3], 0 offset:460
	buffer_load_dword v6, off, s[0:3], 0 offset:472
	;; [unrolled: 1-line block ×64, first 2 shown]
	v_mov_b32_e32 v1, 0
	ds_read_b128 v[74:77], v1 offset:1232
	ds_read_b128 v[78:81], v1 offset:1248
	buffer_load_dword v67, off, s[0:3], 0 offset:716
	buffer_load_dword v66, off, s[0:3], 0 offset:712
	;; [unrolled: 1-line block ×8, first 2 shown]
	ds_read_b128 v[82:85], v1 offset:1264
	ds_read_b128 v[86:89], v1 offset:1280
	buffer_load_dword v167, off, s[0:3], 0 offset:748
	buffer_load_dword v166, off, s[0:3], 0 offset:744
	;; [unrolled: 1-line block ×24, first 2 shown]
	ds_read_b128 v[162:165], v1 offset:1584
	v_cmp_lt_u32_e32 vcc, 25, v254
	s_waitcnt vmcnt(62) lgkmcnt(1)
	v_mul_f64 v[96:97], v[86:87], v[22:23]
	v_fmac_f64_e32 v[96:97], v[88:89], v[24:25]
	v_mul_f64 v[92:93], v[78:79], v[6:7]
	v_mul_f64 v[90:91], v[74:75], v[8:9]
	v_mul_f64 v[8:9], v[76:77], v[8:9]
	v_fmac_f64_e32 v[90:91], v[76:77], v[10:11]
	v_add_f64 v[90:91], v[90:91], 0
	v_fma_f64 v[8:9], v[74:75], v[10:11], -v[8:9]
	v_mul_f64 v[6:7], v[80:81], v[6:7]
	v_add_f64 v[8:9], v[8:9], 0
	v_fmac_f64_e32 v[92:93], v[80:81], v[14:15]
	v_add_f64 v[90:91], v[90:91], v[92:93]
	v_mul_f64 v[92:93], v[82:83], v[16:17]
	v_fmac_f64_e32 v[92:93], v[84:85], v[12:13]
	v_add_f64 v[94:95], v[90:91], v[92:93]
	ds_read_b128 v[90:93], v1 offset:1296
	v_add_f64 v[98:99], v[94:95], v[96:97]
	ds_read_b128 v[94:97], v1 offset:1312
	v_fma_f64 v[6:7], v[78:79], v[14:15], -v[6:7]
	v_add_f64 v[6:7], v[8:9], v[6:7]
	s_waitcnt lgkmcnt(1)
	v_mul_f64 v[100:101], v[90:91], v[18:19]
	v_fmac_f64_e32 v[100:101], v[92:93], v[20:21]
	v_add_f64 v[102:103], v[98:99], v[100:101]
	ds_read_b128 v[98:101], v1 offset:1328
	s_waitcnt lgkmcnt(1)
	v_mul_f64 v[104:105], v[94:95], v[30:31]
	v_fmac_f64_e32 v[104:105], v[96:97], v[32:33]
	v_add_f64 v[106:107], v[102:103], v[104:105]
	ds_read_b128 v[102:105], v1 offset:1344
	;; [unrolled: 5-line block ×3, first 2 shown]
	s_waitcnt vmcnt(58) lgkmcnt(1)
	v_mul_f64 v[112:113], v[102:103], v[38:39]
	s_waitcnt vmcnt(56)
	v_fmac_f64_e32 v[112:113], v[104:105], v[40:41]
	v_add_f64 v[114:115], v[110:111], v[112:113]
	ds_read_b128 v[110:113], v1 offset:1376
	s_waitcnt lgkmcnt(1)
	v_mul_f64 v[116:117], v[106:107], v[34:35]
	v_fmac_f64_e32 v[116:117], v[108:109], v[36:37]
	v_add_f64 v[118:119], v[114:115], v[116:117]
	ds_read_b128 v[114:117], v1 offset:1392
	s_waitcnt vmcnt(50) lgkmcnt(1)
	v_mul_f64 v[120:121], v[110:111], v[46:47]
	s_waitcnt vmcnt(48)
	v_fmac_f64_e32 v[120:121], v[112:113], v[48:49]
	v_add_f64 v[122:123], v[118:119], v[120:121]
	ds_read_b128 v[118:121], v1 offset:1408
	v_mul_f64 v[8:9], v[84:85], v[16:17]
	s_waitcnt lgkmcnt(1)
	v_mul_f64 v[124:125], v[114:115], v[42:43]
	v_fma_f64 v[8:9], v[82:83], v[12:13], -v[8:9]
	v_fmac_f64_e32 v[124:125], v[116:117], v[44:45]
	v_add_f64 v[6:7], v[6:7], v[8:9]
	v_mul_f64 v[8:9], v[88:89], v[22:23]
	v_add_f64 v[126:127], v[122:123], v[124:125]
	ds_read_b128 v[122:125], v1 offset:1424
	s_waitcnt vmcnt(42) lgkmcnt(1)
	v_mul_f64 v[128:129], v[118:119], v[54:55]
	v_fma_f64 v[8:9], v[86:87], v[24:25], -v[8:9]
	s_waitcnt vmcnt(40)
	v_fmac_f64_e32 v[128:129], v[120:121], v[56:57]
	v_add_f64 v[6:7], v[6:7], v[8:9]
	v_mul_f64 v[8:9], v[92:93], v[18:19]
	v_add_f64 v[130:131], v[126:127], v[128:129]
	ds_read_b128 v[126:129], v1 offset:1440
	v_fma_f64 v[8:9], v[90:91], v[20:21], -v[8:9]
	v_add_f64 v[6:7], v[6:7], v[8:9]
	v_mul_f64 v[8:9], v[96:97], v[30:31]
	v_fma_f64 v[8:9], v[94:95], v[32:33], -v[8:9]
	s_waitcnt lgkmcnt(1)
	v_mul_f64 v[132:133], v[122:123], v[50:51]
	v_add_f64 v[6:7], v[6:7], v[8:9]
	v_mul_f64 v[8:9], v[100:101], v[26:27]
	v_fmac_f64_e32 v[132:133], v[124:125], v[52:53]
	v_fma_f64 v[8:9], v[98:99], v[28:29], -v[8:9]
	v_add_f64 v[134:135], v[130:131], v[132:133]
	ds_read_b128 v[130:133], v1 offset:1456
	s_waitcnt vmcnt(34) lgkmcnt(1)
	v_mul_f64 v[136:137], v[126:127], v[62:63]
	v_add_f64 v[6:7], v[6:7], v[8:9]
	v_mul_f64 v[8:9], v[104:105], v[38:39]
	s_waitcnt vmcnt(32)
	v_fmac_f64_e32 v[136:137], v[128:129], v[64:65]
	v_fma_f64 v[8:9], v[102:103], v[40:41], -v[8:9]
	v_add_f64 v[138:139], v[134:135], v[136:137]
	ds_read_b128 v[134:137], v1 offset:1472
	v_add_f64 v[6:7], v[6:7], v[8:9]
	v_mul_f64 v[8:9], v[108:109], v[34:35]
	v_fma_f64 v[8:9], v[106:107], v[36:37], -v[8:9]
	v_add_f64 v[6:7], v[6:7], v[8:9]
	v_mul_f64 v[8:9], v[112:113], v[46:47]
	s_waitcnt lgkmcnt(1)
	v_mul_f64 v[140:141], v[130:131], v[58:59]
	v_fma_f64 v[8:9], v[110:111], v[48:49], -v[8:9]
	v_fmac_f64_e32 v[140:141], v[132:133], v[60:61]
	v_add_f64 v[6:7], v[6:7], v[8:9]
	v_mul_f64 v[8:9], v[116:117], v[42:43]
	v_add_f64 v[142:143], v[138:139], v[140:141]
	ds_read_b128 v[138:141], v1 offset:1488
	s_waitcnt vmcnt(26) lgkmcnt(1)
	v_mul_f64 v[144:145], v[134:135], v[70:71]
	v_fma_f64 v[8:9], v[114:115], v[44:45], -v[8:9]
	s_waitcnt vmcnt(24)
	v_fmac_f64_e32 v[144:145], v[136:137], v[72:73]
	v_add_f64 v[6:7], v[6:7], v[8:9]
	v_mul_f64 v[8:9], v[120:121], v[54:55]
	v_add_f64 v[146:147], v[142:143], v[144:145]
	ds_read_b128 v[142:145], v1 offset:1504
	v_fma_f64 v[8:9], v[118:119], v[56:57], -v[8:9]
	v_add_f64 v[6:7], v[6:7], v[8:9]
	v_mul_f64 v[8:9], v[124:125], v[50:51]
	v_fma_f64 v[8:9], v[122:123], v[52:53], -v[8:9]
	s_waitcnt lgkmcnt(1)
	v_mul_f64 v[148:149], v[138:139], v[66:67]
	v_add_f64 v[6:7], v[6:7], v[8:9]
	v_mul_f64 v[8:9], v[128:129], v[62:63]
	v_fmac_f64_e32 v[148:149], v[140:141], v[68:69]
	v_fma_f64 v[8:9], v[126:127], v[64:65], -v[8:9]
	v_add_f64 v[150:151], v[146:147], v[148:149]
	ds_read_b128 v[146:149], v1 offset:1520
	s_waitcnt vmcnt(18) lgkmcnt(1)
	v_mul_f64 v[152:153], v[142:143], v[170:171]
	v_add_f64 v[6:7], v[6:7], v[8:9]
	v_mul_f64 v[8:9], v[132:133], v[58:59]
	s_waitcnt vmcnt(16)
	v_fmac_f64_e32 v[152:153], v[144:145], v[172:173]
	v_fma_f64 v[8:9], v[130:131], v[60:61], -v[8:9]
	v_add_f64 v[154:155], v[150:151], v[152:153]
	ds_read_b128 v[150:153], v1 offset:1536
	v_add_f64 v[6:7], v[6:7], v[8:9]
	v_mul_f64 v[8:9], v[136:137], v[70:71]
	v_fma_f64 v[8:9], v[134:135], v[72:73], -v[8:9]
	v_add_f64 v[6:7], v[6:7], v[8:9]
	v_mul_f64 v[8:9], v[140:141], v[66:67]
	s_waitcnt lgkmcnt(1)
	v_mul_f64 v[156:157], v[146:147], v[166:167]
	v_fma_f64 v[8:9], v[138:139], v[68:69], -v[8:9]
	v_fmac_f64_e32 v[156:157], v[148:149], v[168:169]
	v_add_f64 v[6:7], v[6:7], v[8:9]
	v_mul_f64 v[8:9], v[144:145], v[170:171]
	v_add_f64 v[158:159], v[154:155], v[156:157]
	ds_read_b128 v[154:157], v1 offset:1552
	s_waitcnt vmcnt(10) lgkmcnt(1)
	v_mul_f64 v[160:161], v[150:151], v[178:179]
	v_fma_f64 v[8:9], v[142:143], v[172:173], -v[8:9]
	s_waitcnt vmcnt(8)
	v_fmac_f64_e32 v[160:161], v[152:153], v[180:181]
	v_add_f64 v[6:7], v[6:7], v[8:9]
	v_mul_f64 v[8:9], v[148:149], v[166:167]
	v_add_f64 v[190:191], v[158:159], v[160:161]
	ds_read_b128 v[158:161], v1 offset:1568
	v_fma_f64 v[8:9], v[146:147], v[168:169], -v[8:9]
	v_add_f64 v[6:7], v[6:7], v[8:9]
	v_mul_f64 v[8:9], v[152:153], v[178:179]
	v_fma_f64 v[8:9], v[150:151], v[180:181], -v[8:9]
	v_add_f64 v[6:7], v[6:7], v[8:9]
	s_waitcnt lgkmcnt(1)
	v_mul_f64 v[8:9], v[156:157], v[174:175]
	v_mul_f64 v[192:193], v[154:155], v[174:175]
	v_fma_f64 v[8:9], v[154:155], v[176:177], -v[8:9]
	v_fmac_f64_e32 v[192:193], v[156:157], v[176:177]
	v_add_f64 v[6:7], v[6:7], v[8:9]
	s_waitcnt vmcnt(2) lgkmcnt(0)
	v_mul_f64 v[8:9], v[160:161], v[186:187]
	v_add_f64 v[190:191], v[190:191], v[192:193]
	v_mul_f64 v[192:193], v[158:159], v[186:187]
	s_waitcnt vmcnt(0)
	v_fma_f64 v[8:9], v[158:159], v[188:189], -v[8:9]
	v_fmac_f64_e32 v[192:193], v[160:161], v[188:189]
	v_add_f64 v[6:7], v[6:7], v[8:9]
	v_mul_f64 v[8:9], v[164:165], v[182:183]
	v_add_f64 v[190:191], v[190:191], v[192:193]
	v_mul_f64 v[192:193], v[162:163], v[182:183]
	v_fma_f64 v[8:9], v[162:163], v[184:185], -v[8:9]
	v_fmac_f64_e32 v[192:193], v[164:165], v[184:185]
	v_add_f64 v[6:7], v[6:7], v[8:9]
	v_add_f64 v[190:191], v[190:191], v[192:193]
	v_add_f64 v[4:5], v[4:5], -v[6:7]
	v_add_f64 v[2:3], v[2:3], -v[190:191]
	buffer_store_dword v5, off, s[0:3], 0 offset:436
	buffer_store_dword v4, off, s[0:3], 0 offset:432
	;; [unrolled: 1-line block ×4, first 2 shown]
	s_and_saveexec_b64 s[4:5], vcc
	s_cbranch_execz .LBB113_263
; %bb.262:
	v_accvgpr_read_b32 v0, a124
	buffer_load_dword v2, v0, s[0:3], 0 offen
	buffer_load_dword v3, v0, s[0:3], 0 offen offset:4
	buffer_load_dword v4, v0, s[0:3], 0 offen offset:8
	;; [unrolled: 1-line block ×3, first 2 shown]
	v_accvgpr_read_b32 v0, a150
	buffer_store_dword v1, off, s[0:3], 0 offset:416
	buffer_store_dword v1, off, s[0:3], 0 offset:420
	;; [unrolled: 1-line block ×4, first 2 shown]
	s_waitcnt vmcnt(4)
	ds_write_b128 v0, v[2:5]
.LBB113_263:
	s_or_b64 exec, exec, s[4:5]
	s_waitcnt lgkmcnt(0)
	; wave barrier
	s_waitcnt lgkmcnt(0)
	buffer_load_dword v22, off, s[0:3], 0 offset:432
	buffer_load_dword v23, off, s[0:3], 0 offset:436
	;; [unrolled: 1-line block ×16, first 2 shown]
	ds_read_b128 v[2:5], v1 offset:1216
	ds_read_b128 v[6:9], v1 offset:1232
	;; [unrolled: 1-line block ×4, first 2 shown]
	buffer_load_dword v35, off, s[0:3], 0 offset:508
	buffer_load_dword v34, off, s[0:3], 0 offset:504
	;; [unrolled: 1-line block ×48, first 2 shown]
	v_cmp_lt_u32_e32 vcc, 24, v254
	s_waitcnt vmcnt(42) lgkmcnt(0)
	v_mul_f64 v[104:105], v[14:15], v[38:39]
	s_waitcnt vmcnt(40)
	v_fmac_f64_e32 v[104:105], v[16:17], v[40:41]
	v_mul_f64 v[82:83], v[2:3], v[24:25]
	v_fmac_f64_e32 v[82:83], v[4:5], v[22:23]
	v_add_f64 v[82:83], v[82:83], 0
	v_mul_f64 v[4:5], v[4:5], v[24:25]
	v_mul_f64 v[84:85], v[6:7], v[32:33]
	v_fma_f64 v[2:3], v[2:3], v[22:23], -v[4:5]
	v_mul_f64 v[98:99], v[10:11], v[26:27]
	v_fmac_f64_e32 v[98:99], v[12:13], v[30:31]
	v_fmac_f64_e32 v[84:85], v[8:9], v[28:29]
	v_add_f64 v[100:101], v[82:83], v[84:85]
	buffer_load_dword v83, off, s[0:3], 0 offset:700
	buffer_load_dword v82, off, s[0:3], 0 offset:696
	;; [unrolled: 1-line block ×32, first 2 shown]
	v_add_f64 v[102:103], v[100:101], v[98:99]
	ds_read_b128 v[98:101], v1 offset:1280
	buffer_load_dword v195, off, s[0:3], 0 offset:812
	buffer_load_dword v194, off, s[0:3], 0 offset:808
	;; [unrolled: 1-line block ×4, first 2 shown]
	v_add_f64 v[106:107], v[102:103], v[104:105]
	ds_read_b128 v[102:105], v1 offset:1296
	v_mul_f64 v[4:5], v[8:9], v[32:33]
	s_waitcnt lgkmcnt(1)
	v_mul_f64 v[108:109], v[98:99], v[34:35]
	v_fmac_f64_e32 v[108:109], v[100:101], v[36:37]
	v_add_f64 v[110:111], v[106:107], v[108:109]
	ds_read_b128 v[106:109], v1 offset:1312
	s_waitcnt vmcnt(62) lgkmcnt(1)
	v_mul_f64 v[112:113], v[102:103], v[46:47]
	v_fmac_f64_e32 v[112:113], v[104:105], v[48:49]
	v_add_f64 v[114:115], v[110:111], v[112:113]
	ds_read_b128 v[110:113], v1 offset:1328
	s_waitcnt lgkmcnt(1)
	v_mul_f64 v[116:117], v[106:107], v[42:43]
	v_fmac_f64_e32 v[116:117], v[108:109], v[44:45]
	v_add_f64 v[118:119], v[114:115], v[116:117]
	ds_read_b128 v[114:117], v1 offset:1344
	s_waitcnt lgkmcnt(1)
	v_mul_f64 v[120:121], v[110:111], v[54:55]
	s_waitcnt vmcnt(60)
	v_fmac_f64_e32 v[120:121], v[112:113], v[56:57]
	v_add_f64 v[122:123], v[118:119], v[120:121]
	ds_read_b128 v[118:121], v1 offset:1360
	s_waitcnt lgkmcnt(1)
	v_mul_f64 v[124:125], v[114:115], v[50:51]
	v_fmac_f64_e32 v[124:125], v[116:117], v[52:53]
	v_add_f64 v[126:127], v[122:123], v[124:125]
	ds_read_b128 v[122:125], v1 offset:1376
	s_waitcnt vmcnt(54) lgkmcnt(1)
	v_mul_f64 v[128:129], v[118:119], v[62:63]
	s_waitcnt vmcnt(52)
	v_fmac_f64_e32 v[128:129], v[120:121], v[64:65]
	v_add_f64 v[130:131], v[126:127], v[128:129]
	ds_read_b128 v[126:129], v1 offset:1392
	s_waitcnt lgkmcnt(1)
	v_mul_f64 v[132:133], v[122:123], v[58:59]
	v_fmac_f64_e32 v[132:133], v[124:125], v[60:61]
	v_add_f64 v[2:3], v[2:3], 0
	v_fma_f64 v[4:5], v[6:7], v[28:29], -v[4:5]
	v_add_f64 v[134:135], v[130:131], v[132:133]
	ds_read_b128 v[130:133], v1 offset:1408
	v_add_f64 v[2:3], v[2:3], v[4:5]
	v_mul_f64 v[4:5], v[12:13], v[26:27]
	v_fma_f64 v[4:5], v[10:11], v[30:31], -v[4:5]
	v_add_f64 v[2:3], v[2:3], v[4:5]
	v_mul_f64 v[4:5], v[16:17], v[38:39]
	s_waitcnt vmcnt(46) lgkmcnt(1)
	v_mul_f64 v[136:137], v[126:127], v[70:71]
	v_fma_f64 v[4:5], v[14:15], v[40:41], -v[4:5]
	s_waitcnt vmcnt(44)
	v_fmac_f64_e32 v[136:137], v[128:129], v[72:73]
	v_add_f64 v[2:3], v[2:3], v[4:5]
	v_mul_f64 v[4:5], v[100:101], v[34:35]
	v_add_f64 v[138:139], v[134:135], v[136:137]
	ds_read_b128 v[134:137], v1 offset:1424
	s_waitcnt lgkmcnt(1)
	v_mul_f64 v[140:141], v[130:131], v[66:67]
	v_fma_f64 v[4:5], v[98:99], v[36:37], -v[4:5]
	v_fmac_f64_e32 v[140:141], v[132:133], v[68:69]
	v_add_f64 v[2:3], v[2:3], v[4:5]
	v_mul_f64 v[4:5], v[104:105], v[46:47]
	v_add_f64 v[142:143], v[138:139], v[140:141]
	ds_read_b128 v[138:141], v1 offset:1440
	v_fma_f64 v[4:5], v[102:103], v[48:49], -v[4:5]
	v_add_f64 v[2:3], v[2:3], v[4:5]
	v_mul_f64 v[4:5], v[108:109], v[42:43]
	v_fma_f64 v[4:5], v[106:107], v[44:45], -v[4:5]
	s_waitcnt vmcnt(38) lgkmcnt(1)
	v_mul_f64 v[144:145], v[134:135], v[78:79]
	v_add_f64 v[2:3], v[2:3], v[4:5]
	v_mul_f64 v[4:5], v[112:113], v[54:55]
	s_waitcnt vmcnt(36)
	v_fmac_f64_e32 v[144:145], v[136:137], v[80:81]
	v_fma_f64 v[4:5], v[110:111], v[56:57], -v[4:5]
	v_add_f64 v[146:147], v[142:143], v[144:145]
	ds_read_b128 v[142:145], v1 offset:1456
	s_waitcnt lgkmcnt(1)
	v_mul_f64 v[148:149], v[138:139], v[74:75]
	v_add_f64 v[2:3], v[2:3], v[4:5]
	v_mul_f64 v[4:5], v[116:117], v[50:51]
	v_fmac_f64_e32 v[148:149], v[140:141], v[76:77]
	v_fma_f64 v[4:5], v[114:115], v[52:53], -v[4:5]
	v_add_f64 v[150:151], v[146:147], v[148:149]
	ds_read_b128 v[146:149], v1 offset:1472
	v_add_f64 v[2:3], v[2:3], v[4:5]
	v_mul_f64 v[4:5], v[120:121], v[62:63]
	v_fma_f64 v[4:5], v[118:119], v[64:65], -v[4:5]
	v_add_f64 v[2:3], v[2:3], v[4:5]
	v_mul_f64 v[4:5], v[124:125], v[58:59]
	s_waitcnt vmcnt(30) lgkmcnt(1)
	v_mul_f64 v[152:153], v[142:143], v[86:87]
	v_fma_f64 v[4:5], v[122:123], v[60:61], -v[4:5]
	s_waitcnt vmcnt(28)
	v_fmac_f64_e32 v[152:153], v[144:145], v[88:89]
	v_add_f64 v[2:3], v[2:3], v[4:5]
	v_mul_f64 v[4:5], v[128:129], v[70:71]
	v_add_f64 v[154:155], v[150:151], v[152:153]
	ds_read_b128 v[150:153], v1 offset:1488
	s_waitcnt lgkmcnt(1)
	v_mul_f64 v[156:157], v[146:147], v[82:83]
	v_fma_f64 v[4:5], v[126:127], v[72:73], -v[4:5]
	v_fmac_f64_e32 v[156:157], v[148:149], v[84:85]
	v_add_f64 v[2:3], v[2:3], v[4:5]
	v_mul_f64 v[4:5], v[132:133], v[66:67]
	v_add_f64 v[158:159], v[154:155], v[156:157]
	ds_read_b128 v[154:157], v1 offset:1504
	v_fma_f64 v[4:5], v[130:131], v[68:69], -v[4:5]
	v_add_f64 v[2:3], v[2:3], v[4:5]
	v_mul_f64 v[4:5], v[136:137], v[78:79]
	v_fma_f64 v[4:5], v[134:135], v[80:81], -v[4:5]
	s_waitcnt vmcnt(22) lgkmcnt(1)
	v_mul_f64 v[160:161], v[150:151], v[94:95]
	v_add_f64 v[2:3], v[2:3], v[4:5]
	v_mul_f64 v[4:5], v[140:141], v[74:75]
	s_waitcnt vmcnt(20)
	v_fmac_f64_e32 v[160:161], v[152:153], v[96:97]
	v_fma_f64 v[4:5], v[138:139], v[76:77], -v[4:5]
	v_add_f64 v[162:163], v[158:159], v[160:161]
	ds_read_b128 v[158:161], v1 offset:1520
	s_waitcnt lgkmcnt(1)
	v_mul_f64 v[164:165], v[154:155], v[90:91]
	v_add_f64 v[2:3], v[2:3], v[4:5]
	v_mul_f64 v[4:5], v[144:145], v[86:87]
	v_fmac_f64_e32 v[164:165], v[156:157], v[92:93]
	v_fma_f64 v[4:5], v[142:143], v[88:89], -v[4:5]
	v_add_f64 v[166:167], v[162:163], v[164:165]
	ds_read_b128 v[162:165], v1 offset:1536
	v_add_f64 v[2:3], v[2:3], v[4:5]
	v_mul_f64 v[4:5], v[148:149], v[82:83]
	v_fma_f64 v[4:5], v[146:147], v[84:85], -v[4:5]
	v_add_f64 v[2:3], v[2:3], v[4:5]
	v_mul_f64 v[4:5], v[152:153], v[94:95]
	s_waitcnt vmcnt(14) lgkmcnt(1)
	v_mul_f64 v[168:169], v[158:159], v[182:183]
	v_fma_f64 v[4:5], v[150:151], v[96:97], -v[4:5]
	s_waitcnt vmcnt(12)
	v_fmac_f64_e32 v[168:169], v[160:161], v[184:185]
	v_add_f64 v[2:3], v[2:3], v[4:5]
	v_mul_f64 v[4:5], v[156:157], v[90:91]
	v_add_f64 v[170:171], v[166:167], v[168:169]
	ds_read_b128 v[166:169], v1 offset:1552
	s_waitcnt lgkmcnt(1)
	v_mul_f64 v[172:173], v[162:163], v[178:179]
	v_fma_f64 v[4:5], v[154:155], v[92:93], -v[4:5]
	v_fmac_f64_e32 v[172:173], v[164:165], v[180:181]
	v_add_f64 v[2:3], v[2:3], v[4:5]
	v_mul_f64 v[4:5], v[160:161], v[182:183]
	v_add_f64 v[198:199], v[170:171], v[172:173]
	ds_read_b128 v[170:173], v1 offset:1568
	v_fma_f64 v[4:5], v[158:159], v[184:185], -v[4:5]
	v_add_f64 v[2:3], v[2:3], v[4:5]
	v_mul_f64 v[4:5], v[164:165], v[178:179]
	ds_read_b128 v[174:177], v1 offset:1584
	v_fma_f64 v[4:5], v[162:163], v[180:181], -v[4:5]
	v_add_f64 v[2:3], v[2:3], v[4:5]
	s_waitcnt vmcnt(6) lgkmcnt(2)
	v_mul_f64 v[4:5], v[168:169], v[190:191]
	v_mul_f64 v[200:201], v[166:167], v[190:191]
	s_waitcnt vmcnt(4)
	v_fma_f64 v[4:5], v[166:167], v[192:193], -v[4:5]
	v_fmac_f64_e32 v[200:201], v[168:169], v[192:193]
	v_add_f64 v[2:3], v[2:3], v[4:5]
	s_waitcnt lgkmcnt(1)
	v_mul_f64 v[4:5], v[172:173], v[186:187]
	v_add_f64 v[198:199], v[198:199], v[200:201]
	v_mul_f64 v[200:201], v[170:171], v[186:187]
	v_fma_f64 v[4:5], v[170:171], v[188:189], -v[4:5]
	v_fmac_f64_e32 v[200:201], v[172:173], v[188:189]
	v_add_f64 v[2:3], v[2:3], v[4:5]
	s_waitcnt vmcnt(2) lgkmcnt(0)
	v_mul_f64 v[4:5], v[176:177], v[194:195]
	v_add_f64 v[198:199], v[198:199], v[200:201]
	v_mul_f64 v[200:201], v[174:175], v[194:195]
	s_waitcnt vmcnt(0)
	v_fma_f64 v[4:5], v[174:175], v[196:197], -v[4:5]
	v_fmac_f64_e32 v[200:201], v[176:177], v[196:197]
	v_add_f64 v[2:3], v[2:3], v[4:5]
	v_add_f64 v[198:199], v[198:199], v[200:201]
	v_add_f64 v[2:3], v[20:21], -v[2:3]
	v_add_f64 v[4:5], v[18:19], -v[198:199]
	buffer_store_dword v3, off, s[0:3], 0 offset:420
	buffer_store_dword v2, off, s[0:3], 0 offset:416
	;; [unrolled: 1-line block ×4, first 2 shown]
	s_and_saveexec_b64 s[4:5], vcc
	s_cbranch_execz .LBB113_265
; %bb.264:
	v_accvgpr_read_b32 v0, a125
	buffer_load_dword v2, v0, s[0:3], 0 offen
	buffer_load_dword v3, v0, s[0:3], 0 offen offset:4
	buffer_load_dword v4, v0, s[0:3], 0 offen offset:8
	;; [unrolled: 1-line block ×3, first 2 shown]
	v_mov_b32_e32 v0, 0
	v_accvgpr_read_b32 v1, a150
	buffer_store_dword v0, off, s[0:3], 0 offset:400
	buffer_store_dword v0, off, s[0:3], 0 offset:404
	;; [unrolled: 1-line block ×4, first 2 shown]
	s_waitcnt vmcnt(4)
	ds_write_b128 v1, v[2:5]
.LBB113_265:
	s_or_b64 exec, exec, s[4:5]
	s_waitcnt lgkmcnt(0)
	; wave barrier
	s_waitcnt lgkmcnt(0)
	buffer_load_dword v22, off, s[0:3], 0 offset:416
	buffer_load_dword v23, off, s[0:3], 0 offset:420
	buffer_load_dword v26, off, s[0:3], 0 offset:424
	buffer_load_dword v27, off, s[0:3], 0 offset:428
	buffer_load_dword v24, off, s[0:3], 0 offset:432
	buffer_load_dword v25, off, s[0:3], 0 offset:436
	buffer_load_dword v28, off, s[0:3], 0 offset:440
	buffer_load_dword v29, off, s[0:3], 0 offset:444
	buffer_load_dword v30, off, s[0:3], 0 offset:456
	buffer_load_dword v31, off, s[0:3], 0 offset:460
	buffer_load_dword v37, off, s[0:3], 0 offset:492
	buffer_load_dword v39, off, s[0:3], 0 offset:484
	buffer_load_dword v41, off, s[0:3], 0 offset:476
	buffer_load_dword v40, off, s[0:3], 0 offset:472
	buffer_load_dword v44, off, s[0:3], 0 offset:448
	buffer_load_dword v45, off, s[0:3], 0 offset:452
	buffer_load_dword v43, off, s[0:3], 0 offset:468
	buffer_load_dword v42, off, s[0:3], 0 offset:464
	buffer_load_dword v36, off, s[0:3], 0 offset:488
	buffer_load_dword v38, off, s[0:3], 0 offset:480
	buffer_load_dword v34, off, s[0:3], 0 offset:400
	buffer_load_dword v35, off, s[0:3], 0 offset:404
	buffer_load_dword v32, off, s[0:3], 0 offset:408
	buffer_load_dword v33, off, s[0:3], 0 offset:412
	buffer_load_dword v47, off, s[0:3], 0 offset:524
	buffer_load_dword v46, off, s[0:3], 0 offset:520
	buffer_load_dword v49, off, s[0:3], 0 offset:516
	buffer_load_dword v48, off, s[0:3], 0 offset:512
	buffer_load_dword v51, off, s[0:3], 0 offset:508
	buffer_load_dword v50, off, s[0:3], 0 offset:504
	buffer_load_dword v53, off, s[0:3], 0 offset:500
	buffer_load_dword v52, off, s[0:3], 0 offset:496
	buffer_load_dword v55, off, s[0:3], 0 offset:556
	buffer_load_dword v54, off, s[0:3], 0 offset:552
	buffer_load_dword v57, off, s[0:3], 0 offset:548
	buffer_load_dword v56, off, s[0:3], 0 offset:544
	buffer_load_dword v59, off, s[0:3], 0 offset:540
	buffer_load_dword v58, off, s[0:3], 0 offset:536
	buffer_load_dword v61, off, s[0:3], 0 offset:532
	buffer_load_dword v60, off, s[0:3], 0 offset:528
	buffer_load_dword v63, off, s[0:3], 0 offset:588
	buffer_load_dword v62, off, s[0:3], 0 offset:584
	buffer_load_dword v65, off, s[0:3], 0 offset:580
	buffer_load_dword v64, off, s[0:3], 0 offset:576
	buffer_load_dword v67, off, s[0:3], 0 offset:572
	buffer_load_dword v66, off, s[0:3], 0 offset:568
	buffer_load_dword v69, off, s[0:3], 0 offset:564
	buffer_load_dword v68, off, s[0:3], 0 offset:560
	buffer_load_dword v71, off, s[0:3], 0 offset:620
	buffer_load_dword v70, off, s[0:3], 0 offset:616
	buffer_load_dword v73, off, s[0:3], 0 offset:612
	buffer_load_dword v72, off, s[0:3], 0 offset:608
	buffer_load_dword v75, off, s[0:3], 0 offset:604
	buffer_load_dword v74, off, s[0:3], 0 offset:600
	buffer_load_dword v77, off, s[0:3], 0 offset:596
	buffer_load_dword v76, off, s[0:3], 0 offset:592
	buffer_load_dword v79, off, s[0:3], 0 offset:652
	buffer_load_dword v78, off, s[0:3], 0 offset:648
	buffer_load_dword v81, off, s[0:3], 0 offset:644
	buffer_load_dword v80, off, s[0:3], 0 offset:640
	buffer_load_dword v83, off, s[0:3], 0 offset:636
	buffer_load_dword v82, off, s[0:3], 0 offset:632
	buffer_load_dword v85, off, s[0:3], 0 offset:628
	buffer_load_dword v84, off, s[0:3], 0 offset:624
	v_mov_b32_e32 v1, 0
	ds_read_b128 v[18:21], v1 offset:1200
	ds_read_b128 v[14:17], v1 offset:1216
	;; [unrolled: 1-line block ×5, first 2 shown]
	v_cmp_lt_u32_e32 vcc, 23, v254
	s_waitcnt vmcnt(60) lgkmcnt(4)
	v_mul_f64 v[86:87], v[18:19], v[26:27]
	v_fmac_f64_e32 v[86:87], v[20:21], v[22:23]
	v_add_f64 v[86:87], v[86:87], 0
	v_mul_f64 v[20:21], v[20:21], v[26:27]
	s_waitcnt vmcnt(56) lgkmcnt(3)
	v_mul_f64 v[88:89], v[14:15], v[28:29]
	v_fmac_f64_e32 v[88:89], v[16:17], v[24:25]
	s_waitcnt vmcnt(54) lgkmcnt(2)
	v_mul_f64 v[90:91], v[10:11], v[30:31]
	v_add_f64 v[86:87], v[86:87], v[88:89]
	v_fma_f64 v[18:19], v[18:19], v[22:23], -v[20:21]
	v_mul_f64 v[16:17], v[16:17], v[28:29]
	s_waitcnt vmcnt(50) lgkmcnt(1)
	v_mul_f64 v[102:103], v[6:7], v[40:41]
	v_add_f64 v[18:19], v[18:19], 0
	s_waitcnt vmcnt(48)
	v_fmac_f64_e32 v[90:91], v[12:13], v[44:45]
	v_add_f64 v[104:105], v[86:87], v[90:91]
	buffer_load_dword v87, off, s[0:3], 0 offset:684
	buffer_load_dword v86, off, s[0:3], 0 offset:680
	;; [unrolled: 1-line block ×40, first 2 shown]
	s_waitcnt vmcnt(62)
	v_fmac_f64_e32 v[102:103], v[8:9], v[42:43]
	v_add_f64 v[106:107], v[104:105], v[102:103]
	ds_read_b128 v[102:105], v1 offset:1280
	s_waitcnt lgkmcnt(1)
	v_mul_f64 v[108:109], v[2:3], v[36:37]
	v_fmac_f64_e32 v[108:109], v[4:5], v[38:39]
	v_add_f64 v[110:111], v[106:107], v[108:109]
	ds_read_b128 v[106:109], v1 offset:1296
	s_waitcnt lgkmcnt(1)
	v_mul_f64 v[112:113], v[102:103], v[50:51]
	;; [unrolled: 5-line block ×5, first 2 shown]
	v_fmac_f64_e32 v[124:125], v[116:117], v[56:57]
	v_add_f64 v[126:127], v[122:123], v[124:125]
	ds_read_b128 v[122:125], v1 offset:1360
	s_waitcnt vmcnt(58) lgkmcnt(1)
	v_mul_f64 v[128:129], v[118:119], v[66:67]
	s_waitcnt vmcnt(56)
	v_fmac_f64_e32 v[128:129], v[120:121], v[68:69]
	v_add_f64 v[130:131], v[126:127], v[128:129]
	ds_read_b128 v[126:129], v1 offset:1376
	s_waitcnt lgkmcnt(1)
	v_mul_f64 v[132:133], v[122:123], v[62:63]
	v_fmac_f64_e32 v[132:133], v[124:125], v[64:65]
	v_add_f64 v[134:135], v[130:131], v[132:133]
	ds_read_b128 v[130:133], v1 offset:1392
	s_waitcnt vmcnt(50) lgkmcnt(1)
	v_mul_f64 v[136:137], v[126:127], v[74:75]
	s_waitcnt vmcnt(48)
	v_fmac_f64_e32 v[136:137], v[128:129], v[76:77]
	v_add_f64 v[138:139], v[134:135], v[136:137]
	ds_read_b128 v[134:137], v1 offset:1408
	v_fma_f64 v[14:15], v[14:15], v[24:25], -v[16:17]
	v_mul_f64 v[12:13], v[12:13], v[30:31]
	v_add_f64 v[14:15], v[18:19], v[14:15]
	v_fma_f64 v[10:11], v[10:11], v[44:45], -v[12:13]
	v_mul_f64 v[8:9], v[8:9], v[40:41]
	s_waitcnt lgkmcnt(1)
	v_mul_f64 v[140:141], v[130:131], v[70:71]
	v_add_f64 v[10:11], v[14:15], v[10:11]
	v_fma_f64 v[6:7], v[6:7], v[42:43], -v[8:9]
	v_mul_f64 v[4:5], v[4:5], v[36:37]
	v_fmac_f64_e32 v[140:141], v[132:133], v[72:73]
	v_add_f64 v[6:7], v[10:11], v[6:7]
	v_fma_f64 v[2:3], v[2:3], v[38:39], -v[4:5]
	v_mul_f64 v[4:5], v[104:105], v[50:51]
	v_add_f64 v[142:143], v[138:139], v[140:141]
	ds_read_b128 v[138:141], v1 offset:1424
	s_waitcnt vmcnt(42) lgkmcnt(1)
	v_mul_f64 v[144:145], v[134:135], v[82:83]
	v_add_f64 v[2:3], v[6:7], v[2:3]
	v_fma_f64 v[4:5], v[102:103], v[52:53], -v[4:5]
	s_waitcnt vmcnt(40)
	v_fmac_f64_e32 v[144:145], v[136:137], v[84:85]
	v_add_f64 v[2:3], v[2:3], v[4:5]
	v_mul_f64 v[4:5], v[108:109], v[46:47]
	v_add_f64 v[146:147], v[142:143], v[144:145]
	ds_read_b128 v[142:145], v1 offset:1440
	v_fma_f64 v[4:5], v[106:107], v[48:49], -v[4:5]
	v_add_f64 v[2:3], v[2:3], v[4:5]
	v_mul_f64 v[4:5], v[112:113], v[58:59]
	v_fma_f64 v[4:5], v[110:111], v[60:61], -v[4:5]
	s_waitcnt lgkmcnt(1)
	v_mul_f64 v[148:149], v[138:139], v[78:79]
	v_add_f64 v[2:3], v[2:3], v[4:5]
	v_mul_f64 v[4:5], v[116:117], v[54:55]
	v_fmac_f64_e32 v[148:149], v[140:141], v[80:81]
	v_fma_f64 v[4:5], v[114:115], v[56:57], -v[4:5]
	v_add_f64 v[150:151], v[146:147], v[148:149]
	ds_read_b128 v[146:149], v1 offset:1456
	s_waitcnt vmcnt(34) lgkmcnt(1)
	v_mul_f64 v[152:153], v[142:143], v[90:91]
	v_add_f64 v[2:3], v[2:3], v[4:5]
	v_mul_f64 v[4:5], v[120:121], v[66:67]
	s_waitcnt vmcnt(32)
	v_fmac_f64_e32 v[152:153], v[144:145], v[92:93]
	v_fma_f64 v[4:5], v[118:119], v[68:69], -v[4:5]
	v_add_f64 v[154:155], v[150:151], v[152:153]
	ds_read_b128 v[150:153], v1 offset:1472
	v_add_f64 v[2:3], v[2:3], v[4:5]
	v_mul_f64 v[4:5], v[124:125], v[62:63]
	v_fma_f64 v[4:5], v[122:123], v[64:65], -v[4:5]
	v_add_f64 v[2:3], v[2:3], v[4:5]
	v_mul_f64 v[4:5], v[128:129], v[74:75]
	s_waitcnt lgkmcnt(1)
	v_mul_f64 v[156:157], v[146:147], v[86:87]
	v_fma_f64 v[4:5], v[126:127], v[76:77], -v[4:5]
	v_fmac_f64_e32 v[156:157], v[148:149], v[88:89]
	v_add_f64 v[2:3], v[2:3], v[4:5]
	v_mul_f64 v[4:5], v[132:133], v[70:71]
	v_add_f64 v[158:159], v[154:155], v[156:157]
	ds_read_b128 v[154:157], v1 offset:1488
	s_waitcnt vmcnt(26) lgkmcnt(1)
	v_mul_f64 v[160:161], v[150:151], v[98:99]
	v_fma_f64 v[4:5], v[130:131], v[72:73], -v[4:5]
	s_waitcnt vmcnt(24)
	v_fmac_f64_e32 v[160:161], v[152:153], v[100:101]
	v_add_f64 v[2:3], v[2:3], v[4:5]
	v_mul_f64 v[4:5], v[136:137], v[82:83]
	v_add_f64 v[162:163], v[158:159], v[160:161]
	ds_read_b128 v[158:161], v1 offset:1504
	v_fma_f64 v[4:5], v[134:135], v[84:85], -v[4:5]
	v_add_f64 v[2:3], v[2:3], v[4:5]
	v_mul_f64 v[4:5], v[140:141], v[78:79]
	v_fma_f64 v[4:5], v[138:139], v[80:81], -v[4:5]
	s_waitcnt lgkmcnt(1)
	v_mul_f64 v[164:165], v[154:155], v[94:95]
	v_add_f64 v[2:3], v[2:3], v[4:5]
	v_mul_f64 v[4:5], v[144:145], v[90:91]
	v_fmac_f64_e32 v[164:165], v[156:157], v[96:97]
	v_fma_f64 v[4:5], v[142:143], v[92:93], -v[4:5]
	v_add_f64 v[166:167], v[162:163], v[164:165]
	ds_read_b128 v[162:165], v1 offset:1520
	s_waitcnt vmcnt(18) lgkmcnt(1)
	v_mul_f64 v[168:169], v[158:159], v[186:187]
	v_add_f64 v[2:3], v[2:3], v[4:5]
	v_mul_f64 v[4:5], v[148:149], v[86:87]
	s_waitcnt vmcnt(16)
	v_fmac_f64_e32 v[168:169], v[160:161], v[188:189]
	v_fma_f64 v[4:5], v[146:147], v[88:89], -v[4:5]
	v_add_f64 v[170:171], v[166:167], v[168:169]
	ds_read_b128 v[166:169], v1 offset:1536
	v_add_f64 v[2:3], v[2:3], v[4:5]
	v_mul_f64 v[4:5], v[152:153], v[98:99]
	v_fma_f64 v[4:5], v[150:151], v[100:101], -v[4:5]
	v_add_f64 v[2:3], v[2:3], v[4:5]
	v_mul_f64 v[4:5], v[156:157], v[94:95]
	s_waitcnt lgkmcnt(1)
	v_mul_f64 v[172:173], v[162:163], v[182:183]
	v_fma_f64 v[4:5], v[154:155], v[96:97], -v[4:5]
	v_fmac_f64_e32 v[172:173], v[164:165], v[184:185]
	v_add_f64 v[2:3], v[2:3], v[4:5]
	v_mul_f64 v[4:5], v[160:161], v[186:187]
	v_add_f64 v[174:175], v[170:171], v[172:173]
	ds_read_b128 v[170:173], v1 offset:1552
	s_waitcnt vmcnt(10) lgkmcnt(1)
	v_mul_f64 v[176:177], v[166:167], v[194:195]
	v_fma_f64 v[4:5], v[158:159], v[188:189], -v[4:5]
	s_waitcnt vmcnt(8)
	v_fmac_f64_e32 v[176:177], v[168:169], v[196:197]
	v_add_f64 v[2:3], v[2:3], v[4:5]
	v_mul_f64 v[4:5], v[164:165], v[182:183]
	v_add_f64 v[206:207], v[174:175], v[176:177]
	ds_read_b128 v[174:177], v1 offset:1568
	ds_read_b128 v[178:181], v1 offset:1584
	v_fma_f64 v[4:5], v[162:163], v[184:185], -v[4:5]
	v_add_f64 v[2:3], v[2:3], v[4:5]
	v_mul_f64 v[4:5], v[168:169], v[194:195]
	v_fma_f64 v[4:5], v[166:167], v[196:197], -v[4:5]
	v_add_f64 v[2:3], v[2:3], v[4:5]
	s_waitcnt lgkmcnt(2)
	v_mul_f64 v[4:5], v[172:173], v[190:191]
	v_mul_f64 v[208:209], v[170:171], v[190:191]
	v_fma_f64 v[4:5], v[170:171], v[192:193], -v[4:5]
	v_fmac_f64_e32 v[208:209], v[172:173], v[192:193]
	v_add_f64 v[2:3], v[2:3], v[4:5]
	s_waitcnt vmcnt(2) lgkmcnt(1)
	v_mul_f64 v[4:5], v[176:177], v[202:203]
	v_add_f64 v[206:207], v[206:207], v[208:209]
	v_mul_f64 v[208:209], v[174:175], v[202:203]
	s_waitcnt vmcnt(0)
	v_fma_f64 v[4:5], v[174:175], v[204:205], -v[4:5]
	v_fmac_f64_e32 v[208:209], v[176:177], v[204:205]
	v_add_f64 v[2:3], v[2:3], v[4:5]
	s_waitcnt lgkmcnt(0)
	v_mul_f64 v[4:5], v[180:181], v[198:199]
	v_add_f64 v[206:207], v[206:207], v[208:209]
	v_mul_f64 v[208:209], v[178:179], v[198:199]
	v_fma_f64 v[4:5], v[178:179], v[200:201], -v[4:5]
	v_fmac_f64_e32 v[208:209], v[180:181], v[200:201]
	v_add_f64 v[2:3], v[2:3], v[4:5]
	v_add_f64 v[206:207], v[206:207], v[208:209]
	v_add_f64 v[2:3], v[34:35], -v[2:3]
	v_add_f64 v[4:5], v[32:33], -v[206:207]
	buffer_store_dword v3, off, s[0:3], 0 offset:404
	buffer_store_dword v2, off, s[0:3], 0 offset:400
	;; [unrolled: 1-line block ×4, first 2 shown]
	s_and_saveexec_b64 s[4:5], vcc
	s_cbranch_execz .LBB113_267
; %bb.266:
	v_accvgpr_read_b32 v0, a126
	buffer_load_dword v2, v0, s[0:3], 0 offen
	buffer_load_dword v3, v0, s[0:3], 0 offen offset:4
	buffer_load_dword v4, v0, s[0:3], 0 offen offset:8
	;; [unrolled: 1-line block ×3, first 2 shown]
	v_accvgpr_read_b32 v0, a150
	buffer_store_dword v1, off, s[0:3], 0 offset:384
	buffer_store_dword v1, off, s[0:3], 0 offset:388
	;; [unrolled: 1-line block ×4, first 2 shown]
	s_waitcnt vmcnt(4)
	ds_write_b128 v0, v[2:5]
.LBB113_267:
	s_or_b64 exec, exec, s[4:5]
	s_waitcnt lgkmcnt(0)
	; wave barrier
	s_waitcnt lgkmcnt(0)
	buffer_load_dword v26, off, s[0:3], 0 offset:400
	buffer_load_dword v27, off, s[0:3], 0 offset:404
	;; [unrolled: 1-line block ×24, first 2 shown]
	ds_read_b128 v[22:25], v1 offset:1184
	ds_read_b128 v[18:21], v1 offset:1200
	ds_read_b128 v[10:13], v1 offset:1216
	ds_read_b128 v[6:9], v1 offset:1232
	ds_read_b128 v[2:5], v1 offset:1248
	ds_read_b128 v[14:17], v1 offset:1264
	buffer_load_dword v51, off, s[0:3], 0 offset:508
	buffer_load_dword v50, off, s[0:3], 0 offset:504
	buffer_load_dword v53, off, s[0:3], 0 offset:500
	buffer_load_dword v52, off, s[0:3], 0 offset:496
	buffer_load_dword v55, off, s[0:3], 0 offset:492
	buffer_load_dword v54, off, s[0:3], 0 offset:488
	buffer_load_dword v57, off, s[0:3], 0 offset:484
	buffer_load_dword v56, off, s[0:3], 0 offset:480
	buffer_load_dword v59, off, s[0:3], 0 offset:540
	buffer_load_dword v58, off, s[0:3], 0 offset:536
	buffer_load_dword v61, off, s[0:3], 0 offset:532
	buffer_load_dword v60, off, s[0:3], 0 offset:528
	buffer_load_dword v63, off, s[0:3], 0 offset:524
	buffer_load_dword v62, off, s[0:3], 0 offset:520
	buffer_load_dword v65, off, s[0:3], 0 offset:516
	buffer_load_dword v64, off, s[0:3], 0 offset:512
	buffer_load_dword v67, off, s[0:3], 0 offset:572
	buffer_load_dword v66, off, s[0:3], 0 offset:568
	buffer_load_dword v69, off, s[0:3], 0 offset:564
	buffer_load_dword v68, off, s[0:3], 0 offset:560
	buffer_load_dword v71, off, s[0:3], 0 offset:556
	buffer_load_dword v70, off, s[0:3], 0 offset:552
	buffer_load_dword v73, off, s[0:3], 0 offset:548
	buffer_load_dword v72, off, s[0:3], 0 offset:544
	buffer_load_dword v75, off, s[0:3], 0 offset:604
	buffer_load_dword v74, off, s[0:3], 0 offset:600
	buffer_load_dword v77, off, s[0:3], 0 offset:596
	buffer_load_dword v76, off, s[0:3], 0 offset:592
	buffer_load_dword v79, off, s[0:3], 0 offset:588
	buffer_load_dword v78, off, s[0:3], 0 offset:584
	buffer_load_dword v81, off, s[0:3], 0 offset:580
	buffer_load_dword v80, off, s[0:3], 0 offset:576
	buffer_load_dword v83, off, s[0:3], 0 offset:636
	buffer_load_dword v82, off, s[0:3], 0 offset:632
	buffer_load_dword v85, off, s[0:3], 0 offset:628
	buffer_load_dword v84, off, s[0:3], 0 offset:624
	buffer_load_dword v87, off, s[0:3], 0 offset:620
	buffer_load_dword v86, off, s[0:3], 0 offset:616
	buffer_load_dword v89, off, s[0:3], 0 offset:612
	buffer_load_dword v88, off, s[0:3], 0 offset:608
	v_cmp_lt_u32_e32 vcc, 22, v254
	s_waitcnt vmcnt(34) lgkmcnt(0)
	v_mul_f64 v[120:121], v[14:15], v[54:55]
	s_waitcnt vmcnt(32)
	v_fmac_f64_e32 v[120:121], v[16:17], v[56:57]
	v_mul_f64 v[90:91], v[22:23], v[28:29]
	v_fmac_f64_e32 v[90:91], v[24:25], v[26:27]
	v_mul_f64 v[92:93], v[18:19], v[30:31]
	v_add_f64 v[90:91], v[90:91], 0
	v_mul_f64 v[94:95], v[10:11], v[32:33]
	v_mul_f64 v[24:25], v[24:25], v[28:29]
	;; [unrolled: 1-line block ×3, first 2 shown]
	v_fma_f64 v[22:23], v[22:23], v[26:27], -v[24:25]
	v_add_f64 v[22:23], v[22:23], 0
	v_mul_f64 v[96:97], v[6:7], v[42:43]
	v_fmac_f64_e32 v[92:93], v[20:21], v[48:49]
	v_add_f64 v[90:91], v[90:91], v[92:93]
	v_fmac_f64_e32 v[94:95], v[12:13], v[46:47]
	v_add_f64 v[90:91], v[90:91], v[94:95]
	;; [unrolled: 2-line block ×3, first 2 shown]
	buffer_load_dword v91, off, s[0:3], 0 offset:668
	buffer_load_dword v90, off, s[0:3], 0 offset:664
	buffer_load_dword v93, off, s[0:3], 0 offset:660
	buffer_load_dword v92, off, s[0:3], 0 offset:656
	buffer_load_dword v95, off, s[0:3], 0 offset:652
	buffer_load_dword v94, off, s[0:3], 0 offset:648
	buffer_load_dword v97, off, s[0:3], 0 offset:644
	buffer_load_dword v96, off, s[0:3], 0 offset:640
	buffer_load_dword v99, off, s[0:3], 0 offset:700
	buffer_load_dword v98, off, s[0:3], 0 offset:696
	buffer_load_dword v101, off, s[0:3], 0 offset:692
	buffer_load_dword v100, off, s[0:3], 0 offset:688
	buffer_load_dword v103, off, s[0:3], 0 offset:684
	buffer_load_dword v102, off, s[0:3], 0 offset:680
	buffer_load_dword v105, off, s[0:3], 0 offset:676
	buffer_load_dword v104, off, s[0:3], 0 offset:672
	buffer_load_dword v107, off, s[0:3], 0 offset:732
	buffer_load_dword v106, off, s[0:3], 0 offset:728
	buffer_load_dword v109, off, s[0:3], 0 offset:724
	buffer_load_dword v108, off, s[0:3], 0 offset:720
	buffer_load_dword v111, off, s[0:3], 0 offset:716
	buffer_load_dword v110, off, s[0:3], 0 offset:712
	buffer_load_dword v113, off, s[0:3], 0 offset:708
	buffer_load_dword v112, off, s[0:3], 0 offset:704
	buffer_load_dword v195, off, s[0:3], 0 offset:764
	buffer_load_dword v194, off, s[0:3], 0 offset:760
	buffer_load_dword v197, off, s[0:3], 0 offset:756
	buffer_load_dword v196, off, s[0:3], 0 offset:752
	buffer_load_dword v199, off, s[0:3], 0 offset:748
	buffer_load_dword v198, off, s[0:3], 0 offset:744
	buffer_load_dword v201, off, s[0:3], 0 offset:740
	buffer_load_dword v200, off, s[0:3], 0 offset:736
	buffer_load_dword v203, off, s[0:3], 0 offset:796
	buffer_load_dword v202, off, s[0:3], 0 offset:792
	buffer_load_dword v205, off, s[0:3], 0 offset:788
	buffer_load_dword v204, off, s[0:3], 0 offset:784
	buffer_load_dword v207, off, s[0:3], 0 offset:780
	buffer_load_dword v206, off, s[0:3], 0 offset:776
	buffer_load_dword v209, off, s[0:3], 0 offset:772
	buffer_load_dword v208, off, s[0:3], 0 offset:768
	v_fmac_f64_e32 v[114:115], v[4:5], v[40:41]
	v_add_f64 v[118:119], v[116:117], v[114:115]
	ds_read_b128 v[114:117], v1 offset:1280
	buffer_load_dword v211, off, s[0:3], 0 offset:812
	buffer_load_dword v210, off, s[0:3], 0 offset:808
	;; [unrolled: 1-line block ×4, first 2 shown]
	v_add_f64 v[122:123], v[118:119], v[120:121]
	ds_read_b128 v[118:121], v1 offset:1296
	v_mul_f64 v[20:21], v[20:21], v[30:31]
	s_waitcnt lgkmcnt(1)
	v_mul_f64 v[124:125], v[114:115], v[50:51]
	v_fmac_f64_e32 v[124:125], v[116:117], v[52:53]
	v_add_f64 v[126:127], v[122:123], v[124:125]
	ds_read_b128 v[122:125], v1 offset:1312
	s_waitcnt vmcnt(62) lgkmcnt(1)
	v_mul_f64 v[128:129], v[118:119], v[62:63]
	v_fmac_f64_e32 v[128:129], v[120:121], v[64:65]
	v_add_f64 v[130:131], v[126:127], v[128:129]
	ds_read_b128 v[126:129], v1 offset:1328
	s_waitcnt lgkmcnt(1)
	v_mul_f64 v[132:133], v[122:123], v[58:59]
	v_fmac_f64_e32 v[132:133], v[124:125], v[60:61]
	v_add_f64 v[134:135], v[130:131], v[132:133]
	ds_read_b128 v[130:133], v1 offset:1344
	s_waitcnt lgkmcnt(1)
	v_mul_f64 v[136:137], v[126:127], v[70:71]
	s_waitcnt vmcnt(60)
	v_fmac_f64_e32 v[136:137], v[128:129], v[72:73]
	v_add_f64 v[138:139], v[134:135], v[136:137]
	ds_read_b128 v[134:137], v1 offset:1360
	s_waitcnt lgkmcnt(1)
	v_mul_f64 v[140:141], v[130:131], v[66:67]
	v_fmac_f64_e32 v[140:141], v[132:133], v[68:69]
	v_add_f64 v[142:143], v[138:139], v[140:141]
	ds_read_b128 v[138:141], v1 offset:1376
	s_waitcnt vmcnt(54) lgkmcnt(1)
	v_mul_f64 v[144:145], v[134:135], v[78:79]
	s_waitcnt vmcnt(52)
	v_fmac_f64_e32 v[144:145], v[136:137], v[80:81]
	v_add_f64 v[146:147], v[142:143], v[144:145]
	ds_read_b128 v[142:145], v1 offset:1392
	s_waitcnt lgkmcnt(1)
	v_mul_f64 v[148:149], v[138:139], v[74:75]
	v_fmac_f64_e32 v[148:149], v[140:141], v[76:77]
	v_fma_f64 v[18:19], v[18:19], v[48:49], -v[20:21]
	v_mul_f64 v[12:13], v[12:13], v[32:33]
	v_add_f64 v[150:151], v[146:147], v[148:149]
	ds_read_b128 v[146:149], v1 offset:1408
	v_add_f64 v[18:19], v[22:23], v[18:19]
	v_fma_f64 v[10:11], v[10:11], v[46:47], -v[12:13]
	v_mul_f64 v[8:9], v[8:9], v[42:43]
	v_add_f64 v[10:11], v[18:19], v[10:11]
	v_fma_f64 v[6:7], v[6:7], v[44:45], -v[8:9]
	v_mul_f64 v[4:5], v[4:5], v[38:39]
	;; [unrolled: 3-line block ×3, first 2 shown]
	s_waitcnt vmcnt(46) lgkmcnt(1)
	v_mul_f64 v[152:153], v[142:143], v[86:87]
	v_add_f64 v[2:3], v[6:7], v[2:3]
	v_fma_f64 v[4:5], v[14:15], v[56:57], -v[4:5]
	s_waitcnt vmcnt(44)
	v_fmac_f64_e32 v[152:153], v[144:145], v[88:89]
	v_add_f64 v[2:3], v[2:3], v[4:5]
	v_mul_f64 v[4:5], v[116:117], v[50:51]
	v_add_f64 v[154:155], v[150:151], v[152:153]
	ds_read_b128 v[150:153], v1 offset:1424
	s_waitcnt lgkmcnt(1)
	v_mul_f64 v[156:157], v[146:147], v[82:83]
	v_fma_f64 v[4:5], v[114:115], v[52:53], -v[4:5]
	v_fmac_f64_e32 v[156:157], v[148:149], v[84:85]
	v_add_f64 v[2:3], v[2:3], v[4:5]
	v_mul_f64 v[4:5], v[120:121], v[62:63]
	v_add_f64 v[158:159], v[154:155], v[156:157]
	ds_read_b128 v[154:157], v1 offset:1440
	v_fma_f64 v[4:5], v[118:119], v[64:65], -v[4:5]
	v_add_f64 v[2:3], v[2:3], v[4:5]
	v_mul_f64 v[4:5], v[124:125], v[58:59]
	v_fma_f64 v[4:5], v[122:123], v[60:61], -v[4:5]
	s_waitcnt vmcnt(38) lgkmcnt(1)
	v_mul_f64 v[160:161], v[150:151], v[94:95]
	v_add_f64 v[2:3], v[2:3], v[4:5]
	v_mul_f64 v[4:5], v[128:129], v[70:71]
	s_waitcnt vmcnt(36)
	v_fmac_f64_e32 v[160:161], v[152:153], v[96:97]
	v_fma_f64 v[4:5], v[126:127], v[72:73], -v[4:5]
	v_add_f64 v[162:163], v[158:159], v[160:161]
	ds_read_b128 v[158:161], v1 offset:1456
	s_waitcnt lgkmcnt(1)
	v_mul_f64 v[164:165], v[154:155], v[90:91]
	v_add_f64 v[2:3], v[2:3], v[4:5]
	v_mul_f64 v[4:5], v[132:133], v[66:67]
	v_fmac_f64_e32 v[164:165], v[156:157], v[92:93]
	v_fma_f64 v[4:5], v[130:131], v[68:69], -v[4:5]
	v_add_f64 v[166:167], v[162:163], v[164:165]
	ds_read_b128 v[162:165], v1 offset:1472
	v_add_f64 v[2:3], v[2:3], v[4:5]
	v_mul_f64 v[4:5], v[136:137], v[78:79]
	v_fma_f64 v[4:5], v[134:135], v[80:81], -v[4:5]
	v_add_f64 v[2:3], v[2:3], v[4:5]
	v_mul_f64 v[4:5], v[140:141], v[74:75]
	s_waitcnt vmcnt(30) lgkmcnt(1)
	v_mul_f64 v[168:169], v[158:159], v[102:103]
	v_fma_f64 v[4:5], v[138:139], v[76:77], -v[4:5]
	s_waitcnt vmcnt(28)
	v_fmac_f64_e32 v[168:169], v[160:161], v[104:105]
	v_add_f64 v[2:3], v[2:3], v[4:5]
	v_mul_f64 v[4:5], v[144:145], v[86:87]
	v_add_f64 v[170:171], v[166:167], v[168:169]
	ds_read_b128 v[166:169], v1 offset:1488
	s_waitcnt lgkmcnt(1)
	v_mul_f64 v[172:173], v[162:163], v[98:99]
	v_fma_f64 v[4:5], v[142:143], v[88:89], -v[4:5]
	v_fmac_f64_e32 v[172:173], v[164:165], v[100:101]
	v_add_f64 v[2:3], v[2:3], v[4:5]
	v_mul_f64 v[4:5], v[148:149], v[82:83]
	v_add_f64 v[174:175], v[170:171], v[172:173]
	ds_read_b128 v[170:173], v1 offset:1504
	v_fma_f64 v[4:5], v[146:147], v[84:85], -v[4:5]
	v_add_f64 v[2:3], v[2:3], v[4:5]
	v_mul_f64 v[4:5], v[152:153], v[94:95]
	v_fma_f64 v[4:5], v[150:151], v[96:97], -v[4:5]
	s_waitcnt vmcnt(22) lgkmcnt(1)
	v_mul_f64 v[176:177], v[166:167], v[110:111]
	v_add_f64 v[2:3], v[2:3], v[4:5]
	v_mul_f64 v[4:5], v[156:157], v[90:91]
	s_waitcnt vmcnt(20)
	v_fmac_f64_e32 v[176:177], v[168:169], v[112:113]
	v_fma_f64 v[4:5], v[154:155], v[92:93], -v[4:5]
	v_add_f64 v[178:179], v[174:175], v[176:177]
	ds_read_b128 v[174:177], v1 offset:1520
	s_waitcnt lgkmcnt(1)
	v_mul_f64 v[180:181], v[170:171], v[106:107]
	v_add_f64 v[2:3], v[2:3], v[4:5]
	v_mul_f64 v[4:5], v[160:161], v[102:103]
	v_fmac_f64_e32 v[180:181], v[172:173], v[108:109]
	v_fma_f64 v[4:5], v[158:159], v[104:105], -v[4:5]
	v_add_f64 v[182:183], v[178:179], v[180:181]
	ds_read_b128 v[178:181], v1 offset:1536
	v_add_f64 v[2:3], v[2:3], v[4:5]
	v_mul_f64 v[4:5], v[164:165], v[98:99]
	v_fma_f64 v[4:5], v[162:163], v[100:101], -v[4:5]
	v_add_f64 v[2:3], v[2:3], v[4:5]
	v_mul_f64 v[4:5], v[168:169], v[110:111]
	s_waitcnt vmcnt(14) lgkmcnt(1)
	v_mul_f64 v[184:185], v[174:175], v[198:199]
	v_fma_f64 v[4:5], v[166:167], v[112:113], -v[4:5]
	s_waitcnt vmcnt(12)
	v_fmac_f64_e32 v[184:185], v[176:177], v[200:201]
	v_add_f64 v[2:3], v[2:3], v[4:5]
	v_mul_f64 v[4:5], v[172:173], v[106:107]
	v_add_f64 v[186:187], v[182:183], v[184:185]
	ds_read_b128 v[182:185], v1 offset:1552
	s_waitcnt lgkmcnt(1)
	v_mul_f64 v[188:189], v[178:179], v[194:195]
	v_fma_f64 v[4:5], v[170:171], v[108:109], -v[4:5]
	v_fmac_f64_e32 v[188:189], v[180:181], v[196:197]
	v_add_f64 v[2:3], v[2:3], v[4:5]
	v_mul_f64 v[4:5], v[176:177], v[198:199]
	v_add_f64 v[214:215], v[186:187], v[188:189]
	ds_read_b128 v[186:189], v1 offset:1568
	v_fma_f64 v[4:5], v[174:175], v[200:201], -v[4:5]
	v_add_f64 v[2:3], v[2:3], v[4:5]
	v_mul_f64 v[4:5], v[180:181], v[194:195]
	ds_read_b128 v[190:193], v1 offset:1584
	v_fma_f64 v[4:5], v[178:179], v[196:197], -v[4:5]
	v_add_f64 v[2:3], v[2:3], v[4:5]
	s_waitcnt vmcnt(6) lgkmcnt(2)
	v_mul_f64 v[4:5], v[184:185], v[206:207]
	v_mul_f64 v[216:217], v[182:183], v[206:207]
	s_waitcnt vmcnt(4)
	v_fma_f64 v[4:5], v[182:183], v[208:209], -v[4:5]
	v_fmac_f64_e32 v[216:217], v[184:185], v[208:209]
	v_add_f64 v[2:3], v[2:3], v[4:5]
	s_waitcnt lgkmcnt(1)
	v_mul_f64 v[4:5], v[188:189], v[202:203]
	v_add_f64 v[214:215], v[214:215], v[216:217]
	v_mul_f64 v[216:217], v[186:187], v[202:203]
	v_fma_f64 v[4:5], v[186:187], v[204:205], -v[4:5]
	v_fmac_f64_e32 v[216:217], v[188:189], v[204:205]
	v_add_f64 v[2:3], v[2:3], v[4:5]
	s_waitcnt vmcnt(2) lgkmcnt(0)
	v_mul_f64 v[4:5], v[192:193], v[210:211]
	v_add_f64 v[214:215], v[214:215], v[216:217]
	v_mul_f64 v[216:217], v[190:191], v[210:211]
	s_waitcnt vmcnt(0)
	v_fma_f64 v[4:5], v[190:191], v[212:213], -v[4:5]
	v_fmac_f64_e32 v[216:217], v[192:193], v[212:213]
	v_add_f64 v[2:3], v[2:3], v[4:5]
	v_add_f64 v[214:215], v[214:215], v[216:217]
	v_add_f64 v[2:3], v[36:37], -v[2:3]
	v_add_f64 v[4:5], v[34:35], -v[214:215]
	buffer_store_dword v3, off, s[0:3], 0 offset:388
	buffer_store_dword v2, off, s[0:3], 0 offset:384
	;; [unrolled: 1-line block ×4, first 2 shown]
	s_and_saveexec_b64 s[4:5], vcc
	s_cbranch_execz .LBB113_269
; %bb.268:
	v_accvgpr_read_b32 v0, a127
	buffer_load_dword v2, v0, s[0:3], 0 offen
	buffer_load_dword v3, v0, s[0:3], 0 offen offset:4
	buffer_load_dword v4, v0, s[0:3], 0 offen offset:8
	;; [unrolled: 1-line block ×3, first 2 shown]
	v_mov_b32_e32 v0, 0
	v_accvgpr_read_b32 v1, a150
	buffer_store_dword v0, off, s[0:3], 0 offset:368
	buffer_store_dword v0, off, s[0:3], 0 offset:372
	buffer_store_dword v0, off, s[0:3], 0 offset:376
	buffer_store_dword v0, off, s[0:3], 0 offset:380
	s_waitcnt vmcnt(4)
	ds_write_b128 v1, v[2:5]
.LBB113_269:
	s_or_b64 exec, exec, s[4:5]
	s_waitcnt lgkmcnt(0)
	; wave barrier
	s_waitcnt lgkmcnt(0)
	buffer_load_dword v30, off, s[0:3], 0 offset:384
	buffer_load_dword v31, off, s[0:3], 0 offset:388
	;; [unrolled: 1-line block ×56, first 2 shown]
	v_mov_b32_e32 v1, 0
	ds_read_b128 v[26:29], v1 offset:1168
	ds_read_b128 v[22:25], v1 offset:1184
	;; [unrolled: 1-line block ×7, first 2 shown]
	v_cmp_lt_u32_e32 vcc, 21, v254
	s_waitcnt vmcnt(52) lgkmcnt(6)
	v_mul_f64 v[86:87], v[26:27], v[34:35]
	v_fmac_f64_e32 v[86:87], v[28:29], v[30:31]
	v_add_f64 v[86:87], v[86:87], 0
	v_mul_f64 v[28:29], v[28:29], v[34:35]
	s_waitcnt vmcnt(48) lgkmcnt(5)
	v_mul_f64 v[88:89], v[22:23], v[36:37]
	v_fmac_f64_e32 v[88:89], v[24:25], v[32:33]
	s_waitcnt vmcnt(46) lgkmcnt(4)
	v_mul_f64 v[90:91], v[18:19], v[38:39]
	v_add_f64 v[86:87], v[86:87], v[88:89]
	s_waitcnt vmcnt(44) lgkmcnt(2)
	v_mul_f64 v[94:95], v[10:11], v[40:41]
	v_fma_f64 v[26:27], v[26:27], v[30:31], -v[28:29]
	s_waitcnt vmcnt(42)
	v_fmac_f64_e32 v[94:95], v[12:13], v[42:43]
	v_mul_f64 v[24:25], v[24:25], v[36:37]
	s_waitcnt vmcnt(40)
	v_mul_f64 v[92:93], v[14:15], v[48:49]
	v_add_f64 v[26:27], v[26:27], 0
	v_fma_f64 v[22:23], v[22:23], v[32:33], -v[24:25]
	v_add_f64 v[22:23], v[26:27], v[22:23]
	s_waitcnt vmcnt(36) lgkmcnt(1)
	v_mul_f64 v[110:111], v[6:7], v[54:55]
	v_mul_f64 v[12:13], v[12:13], v[40:41]
	s_waitcnt vmcnt(34)
	v_fmac_f64_e32 v[90:91], v[20:21], v[60:61]
	v_add_f64 v[86:87], v[86:87], v[90:91]
	s_waitcnt vmcnt(32)
	v_fmac_f64_e32 v[92:93], v[16:17], v[58:59]
	v_add_f64 v[86:87], v[86:87], v[92:93]
	v_add_f64 v[116:117], v[86:87], v[94:95]
	buffer_load_dword v87, off, s[0:3], 0 offset:620
	buffer_load_dword v86, off, s[0:3], 0 offset:616
	buffer_load_dword v89, off, s[0:3], 0 offset:612
	buffer_load_dword v88, off, s[0:3], 0 offset:608
	buffer_load_dword v91, off, s[0:3], 0 offset:604
	buffer_load_dword v90, off, s[0:3], 0 offset:600
	buffer_load_dword v93, off, s[0:3], 0 offset:596
	buffer_load_dword v92, off, s[0:3], 0 offset:592
	buffer_load_dword v95, off, s[0:3], 0 offset:652
	buffer_load_dword v94, off, s[0:3], 0 offset:648
	buffer_load_dword v97, off, s[0:3], 0 offset:644
	buffer_load_dword v96, off, s[0:3], 0 offset:640
	buffer_load_dword v99, off, s[0:3], 0 offset:636
	buffer_load_dword v98, off, s[0:3], 0 offset:632
	buffer_load_dword v101, off, s[0:3], 0 offset:628
	buffer_load_dword v100, off, s[0:3], 0 offset:624
	buffer_load_dword v103, off, s[0:3], 0 offset:684
	buffer_load_dword v102, off, s[0:3], 0 offset:680
	buffer_load_dword v105, off, s[0:3], 0 offset:676
	buffer_load_dword v104, off, s[0:3], 0 offset:672
	buffer_load_dword v107, off, s[0:3], 0 offset:668
	buffer_load_dword v106, off, s[0:3], 0 offset:664
	buffer_load_dword v109, off, s[0:3], 0 offset:660
	buffer_load_dword v108, off, s[0:3], 0 offset:656
	buffer_load_dword v113, off, s[0:3], 0 offset:716
	buffer_load_dword v112, off, s[0:3], 0 offset:712
	buffer_load_dword v115, off, s[0:3], 0 offset:708
	buffer_load_dword v114, off, s[0:3], 0 offset:704
	buffer_load_dword v119, off, s[0:3], 0 offset:700
	buffer_load_dword v118, off, s[0:3], 0 offset:696
	buffer_load_dword v121, off, s[0:3], 0 offset:692
	buffer_load_dword v120, off, s[0:3], 0 offset:688
	buffer_load_dword v123, off, s[0:3], 0 offset:748
	buffer_load_dword v122, off, s[0:3], 0 offset:744
	buffer_load_dword v205, off, s[0:3], 0 offset:740
	buffer_load_dword v204, off, s[0:3], 0 offset:736
	buffer_load_dword v207, off, s[0:3], 0 offset:732
	buffer_load_dword v206, off, s[0:3], 0 offset:728
	buffer_load_dword v209, off, s[0:3], 0 offset:724
	buffer_load_dword v208, off, s[0:3], 0 offset:720
	buffer_load_dword v211, off, s[0:3], 0 offset:780
	buffer_load_dword v210, off, s[0:3], 0 offset:776
	buffer_load_dword v213, off, s[0:3], 0 offset:772
	buffer_load_dword v212, off, s[0:3], 0 offset:768
	buffer_load_dword v215, off, s[0:3], 0 offset:764
	buffer_load_dword v214, off, s[0:3], 0 offset:760
	buffer_load_dword v217, off, s[0:3], 0 offset:756
	buffer_load_dword v216, off, s[0:3], 0 offset:752
	buffer_load_dword v219, off, s[0:3], 0 offset:812
	buffer_load_dword v218, off, s[0:3], 0 offset:808
	buffer_load_dword v221, off, s[0:3], 0 offset:804
	buffer_load_dword v220, off, s[0:3], 0 offset:800
	buffer_load_dword v223, off, s[0:3], 0 offset:796
	buffer_load_dword v222, off, s[0:3], 0 offset:792
	buffer_load_dword v225, off, s[0:3], 0 offset:788
	buffer_load_dword v224, off, s[0:3], 0 offset:784
	ds_read_b128 v[124:127], v1 offset:1280
	ds_read_b128 v[128:131], v1 offset:1296
	v_mul_f64 v[20:21], v[20:21], v[38:39]
	v_fma_f64 v[18:19], v[18:19], v[60:61], -v[20:21]
	v_mul_f64 v[16:17], v[16:17], v[48:49]
	s_waitcnt vmcnt(62)
	v_fmac_f64_e32 v[110:111], v[8:9], v[56:57]
	v_add_f64 v[18:19], v[22:23], v[18:19]
	v_fma_f64 v[14:15], v[14:15], v[58:59], -v[16:17]
	v_add_f64 v[110:111], v[116:117], v[110:111]
	s_waitcnt lgkmcnt(2)
	v_mul_f64 v[116:117], v[2:3], v[50:51]
	v_add_f64 v[14:15], v[18:19], v[14:15]
	v_fma_f64 v[10:11], v[10:11], v[42:43], -v[12:13]
	v_mul_f64 v[8:9], v[8:9], v[54:55]
	v_fmac_f64_e32 v[116:117], v[4:5], v[52:53]
	ds_read_b128 v[132:135], v1 offset:1312
	ds_read_b128 v[136:139], v1 offset:1328
	v_add_f64 v[10:11], v[14:15], v[10:11]
	v_fma_f64 v[6:7], v[6:7], v[56:57], -v[8:9]
	v_mul_f64 v[4:5], v[4:5], v[50:51]
	v_add_f64 v[6:7], v[10:11], v[6:7]
	v_fma_f64 v[2:3], v[2:3], v[52:53], -v[4:5]
	s_waitcnt lgkmcnt(3)
	v_mul_f64 v[4:5], v[126:127], v[66:67]
	v_add_f64 v[110:111], v[110:111], v[116:117]
	v_mul_f64 v[116:117], v[124:125], v[66:67]
	v_add_f64 v[2:3], v[6:7], v[2:3]
	v_fma_f64 v[4:5], v[124:125], v[68:69], -v[4:5]
	v_fmac_f64_e32 v[116:117], v[126:127], v[68:69]
	v_add_f64 v[2:3], v[2:3], v[4:5]
	s_waitcnt lgkmcnt(2)
	v_mul_f64 v[4:5], v[130:131], v[62:63]
	v_add_f64 v[110:111], v[110:111], v[116:117]
	v_mul_f64 v[116:117], v[128:129], v[62:63]
	ds_read_b128 v[140:143], v1 offset:1344
	ds_read_b128 v[144:147], v1 offset:1360
	v_fma_f64 v[4:5], v[128:129], v[64:65], -v[4:5]
	v_fmac_f64_e32 v[116:117], v[130:131], v[64:65]
	v_add_f64 v[2:3], v[2:3], v[4:5]
	s_waitcnt lgkmcnt(3)
	v_mul_f64 v[4:5], v[134:135], v[74:75]
	v_add_f64 v[110:111], v[110:111], v[116:117]
	v_mul_f64 v[116:117], v[132:133], v[74:75]
	v_fma_f64 v[4:5], v[132:133], v[76:77], -v[4:5]
	v_fmac_f64_e32 v[116:117], v[134:135], v[76:77]
	v_add_f64 v[2:3], v[2:3], v[4:5]
	s_waitcnt lgkmcnt(2)
	v_mul_f64 v[4:5], v[138:139], v[70:71]
	v_add_f64 v[110:111], v[110:111], v[116:117]
	v_mul_f64 v[116:117], v[136:137], v[70:71]
	ds_read_b128 v[148:151], v1 offset:1376
	ds_read_b128 v[152:155], v1 offset:1392
	v_fma_f64 v[4:5], v[136:137], v[72:73], -v[4:5]
	v_fmac_f64_e32 v[116:117], v[138:139], v[72:73]
	v_add_f64 v[2:3], v[2:3], v[4:5]
	s_waitcnt vmcnt(58) lgkmcnt(3)
	v_mul_f64 v[4:5], v[142:143], v[82:83]
	v_add_f64 v[110:111], v[110:111], v[116:117]
	v_mul_f64 v[116:117], v[140:141], v[82:83]
	s_waitcnt vmcnt(56)
	v_fma_f64 v[4:5], v[140:141], v[84:85], -v[4:5]
	v_fmac_f64_e32 v[116:117], v[142:143], v[84:85]
	v_add_f64 v[2:3], v[2:3], v[4:5]
	s_waitcnt lgkmcnt(2)
	v_mul_f64 v[4:5], v[146:147], v[78:79]
	v_add_f64 v[110:111], v[110:111], v[116:117]
	v_mul_f64 v[116:117], v[144:145], v[78:79]
	ds_read_b128 v[156:159], v1 offset:1408
	ds_read_b128 v[160:163], v1 offset:1424
	v_fma_f64 v[4:5], v[144:145], v[80:81], -v[4:5]
	v_fmac_f64_e32 v[116:117], v[146:147], v[80:81]
	v_add_f64 v[2:3], v[2:3], v[4:5]
	s_waitcnt vmcnt(50) lgkmcnt(3)
	v_mul_f64 v[4:5], v[150:151], v[90:91]
	v_add_f64 v[110:111], v[110:111], v[116:117]
	v_mul_f64 v[116:117], v[148:149], v[90:91]
	s_waitcnt vmcnt(48)
	v_fma_f64 v[4:5], v[148:149], v[92:93], -v[4:5]
	v_fmac_f64_e32 v[116:117], v[150:151], v[92:93]
	v_add_f64 v[2:3], v[2:3], v[4:5]
	s_waitcnt lgkmcnt(2)
	v_mul_f64 v[4:5], v[154:155], v[86:87]
	v_add_f64 v[110:111], v[110:111], v[116:117]
	v_mul_f64 v[116:117], v[152:153], v[86:87]
	ds_read_b128 v[164:167], v1 offset:1440
	ds_read_b128 v[168:171], v1 offset:1456
	v_fma_f64 v[4:5], v[152:153], v[88:89], -v[4:5]
	v_fmac_f64_e32 v[116:117], v[154:155], v[88:89]
	v_add_f64 v[2:3], v[2:3], v[4:5]
	s_waitcnt vmcnt(42) lgkmcnt(3)
	v_mul_f64 v[4:5], v[158:159], v[98:99]
	v_add_f64 v[110:111], v[110:111], v[116:117]
	v_mul_f64 v[116:117], v[156:157], v[98:99]
	s_waitcnt vmcnt(40)
	v_fma_f64 v[4:5], v[156:157], v[100:101], -v[4:5]
	v_fmac_f64_e32 v[116:117], v[158:159], v[100:101]
	v_add_f64 v[2:3], v[2:3], v[4:5]
	s_waitcnt lgkmcnt(2)
	v_mul_f64 v[4:5], v[162:163], v[94:95]
	v_add_f64 v[110:111], v[110:111], v[116:117]
	v_mul_f64 v[116:117], v[160:161], v[94:95]
	ds_read_b128 v[172:175], v1 offset:1472
	ds_read_b128 v[176:179], v1 offset:1488
	v_fma_f64 v[4:5], v[160:161], v[96:97], -v[4:5]
	v_fmac_f64_e32 v[116:117], v[162:163], v[96:97]
	v_add_f64 v[2:3], v[2:3], v[4:5]
	s_waitcnt vmcnt(34) lgkmcnt(3)
	v_mul_f64 v[4:5], v[166:167], v[106:107]
	v_add_f64 v[110:111], v[110:111], v[116:117]
	v_mul_f64 v[116:117], v[164:165], v[106:107]
	s_waitcnt vmcnt(32)
	v_fma_f64 v[4:5], v[164:165], v[108:109], -v[4:5]
	v_fmac_f64_e32 v[116:117], v[166:167], v[108:109]
	v_add_f64 v[2:3], v[2:3], v[4:5]
	s_waitcnt lgkmcnt(2)
	v_mul_f64 v[4:5], v[170:171], v[102:103]
	v_add_f64 v[110:111], v[110:111], v[116:117]
	v_mul_f64 v[116:117], v[168:169], v[102:103]
	ds_read_b128 v[180:183], v1 offset:1504
	ds_read_b128 v[184:187], v1 offset:1520
	v_fma_f64 v[4:5], v[168:169], v[104:105], -v[4:5]
	v_fmac_f64_e32 v[116:117], v[170:171], v[104:105]
	v_add_f64 v[2:3], v[2:3], v[4:5]
	s_waitcnt vmcnt(26) lgkmcnt(3)
	v_mul_f64 v[4:5], v[174:175], v[118:119]
	v_add_f64 v[110:111], v[110:111], v[116:117]
	v_mul_f64 v[116:117], v[172:173], v[118:119]
	s_waitcnt vmcnt(24)
	v_fma_f64 v[4:5], v[172:173], v[120:121], -v[4:5]
	v_fmac_f64_e32 v[116:117], v[174:175], v[120:121]
	v_add_f64 v[2:3], v[2:3], v[4:5]
	s_waitcnt lgkmcnt(2)
	v_mul_f64 v[4:5], v[178:179], v[112:113]
	v_add_f64 v[110:111], v[110:111], v[116:117]
	v_mul_f64 v[116:117], v[176:177], v[112:113]
	ds_read_b128 v[188:191], v1 offset:1536
	ds_read_b128 v[192:195], v1 offset:1552
	v_fma_f64 v[4:5], v[176:177], v[114:115], -v[4:5]
	v_fmac_f64_e32 v[116:117], v[178:179], v[114:115]
	v_add_f64 v[2:3], v[2:3], v[4:5]
	s_waitcnt vmcnt(18) lgkmcnt(3)
	v_mul_f64 v[4:5], v[182:183], v[206:207]
	v_add_f64 v[110:111], v[110:111], v[116:117]
	v_mul_f64 v[116:117], v[180:181], v[206:207]
	s_waitcnt vmcnt(16)
	v_fma_f64 v[4:5], v[180:181], v[208:209], -v[4:5]
	v_fmac_f64_e32 v[116:117], v[182:183], v[208:209]
	v_add_f64 v[2:3], v[2:3], v[4:5]
	s_waitcnt lgkmcnt(2)
	v_mul_f64 v[4:5], v[186:187], v[122:123]
	v_add_f64 v[110:111], v[110:111], v[116:117]
	v_mul_f64 v[116:117], v[184:185], v[122:123]
	ds_read_b128 v[196:199], v1 offset:1568
	ds_read_b128 v[200:203], v1 offset:1584
	v_fma_f64 v[4:5], v[184:185], v[204:205], -v[4:5]
	v_fmac_f64_e32 v[116:117], v[186:187], v[204:205]
	v_add_f64 v[2:3], v[2:3], v[4:5]
	s_waitcnt vmcnt(10) lgkmcnt(3)
	v_mul_f64 v[4:5], v[190:191], v[214:215]
	v_add_f64 v[110:111], v[110:111], v[116:117]
	v_mul_f64 v[116:117], v[188:189], v[214:215]
	s_waitcnt vmcnt(8)
	v_fma_f64 v[4:5], v[188:189], v[216:217], -v[4:5]
	v_fmac_f64_e32 v[116:117], v[190:191], v[216:217]
	v_add_f64 v[2:3], v[2:3], v[4:5]
	s_waitcnt lgkmcnt(2)
	v_mul_f64 v[4:5], v[194:195], v[210:211]
	v_add_f64 v[110:111], v[110:111], v[116:117]
	v_mul_f64 v[116:117], v[192:193], v[210:211]
	v_fma_f64 v[4:5], v[192:193], v[212:213], -v[4:5]
	v_fmac_f64_e32 v[116:117], v[194:195], v[212:213]
	v_add_f64 v[2:3], v[2:3], v[4:5]
	s_waitcnt vmcnt(2) lgkmcnt(1)
	v_mul_f64 v[4:5], v[198:199], v[222:223]
	v_add_f64 v[110:111], v[110:111], v[116:117]
	v_mul_f64 v[116:117], v[196:197], v[222:223]
	s_waitcnt vmcnt(0)
	v_fma_f64 v[4:5], v[196:197], v[224:225], -v[4:5]
	v_fmac_f64_e32 v[116:117], v[198:199], v[224:225]
	v_add_f64 v[2:3], v[2:3], v[4:5]
	s_waitcnt lgkmcnt(0)
	v_mul_f64 v[4:5], v[202:203], v[218:219]
	v_add_f64 v[110:111], v[110:111], v[116:117]
	v_mul_f64 v[116:117], v[200:201], v[218:219]
	v_fma_f64 v[4:5], v[200:201], v[220:221], -v[4:5]
	v_fmac_f64_e32 v[116:117], v[202:203], v[220:221]
	v_add_f64 v[2:3], v[2:3], v[4:5]
	v_add_f64 v[110:111], v[110:111], v[116:117]
	v_add_f64 v[2:3], v[46:47], -v[2:3]
	v_add_f64 v[4:5], v[44:45], -v[110:111]
	buffer_store_dword v3, off, s[0:3], 0 offset:372
	buffer_store_dword v2, off, s[0:3], 0 offset:368
	;; [unrolled: 1-line block ×4, first 2 shown]
	s_and_saveexec_b64 s[4:5], vcc
	s_cbranch_execz .LBB113_271
; %bb.270:
	v_accvgpr_read_b32 v0, a128
	buffer_load_dword v2, v0, s[0:3], 0 offen
	buffer_load_dword v3, v0, s[0:3], 0 offen offset:4
	buffer_load_dword v4, v0, s[0:3], 0 offen offset:8
	;; [unrolled: 1-line block ×3, first 2 shown]
	v_accvgpr_read_b32 v0, a150
	buffer_store_dword v1, off, s[0:3], 0 offset:352
	buffer_store_dword v1, off, s[0:3], 0 offset:356
	;; [unrolled: 1-line block ×4, first 2 shown]
	s_waitcnt vmcnt(4)
	ds_write_b128 v0, v[2:5]
.LBB113_271:
	s_or_b64 exec, exec, s[4:5]
	s_waitcnt lgkmcnt(0)
	; wave barrier
	s_waitcnt lgkmcnt(0)
	buffer_load_dword v34, off, s[0:3], 0 offset:368
	buffer_load_dword v35, off, s[0:3], 0 offset:372
	;; [unrolled: 1-line block ×32, first 2 shown]
	ds_read_b128 v[30:33], v1 offset:1152
	ds_read_b128 v[26:29], v1 offset:1168
	;; [unrolled: 1-line block ×8, first 2 shown]
	buffer_load_dword v67, off, s[0:3], 0 offset:508
	buffer_load_dword v66, off, s[0:3], 0 offset:504
	;; [unrolled: 1-line block ×24, first 2 shown]
	v_cmp_lt_u32_e32 vcc, 20, v254
	s_waitcnt vmcnt(52) lgkmcnt(7)
	v_mul_f64 v[90:91], v[30:31], v[38:39]
	v_fmac_f64_e32 v[90:91], v[32:33], v[34:35]
	v_add_f64 v[90:91], v[90:91], 0
	v_mul_f64 v[32:33], v[32:33], v[38:39]
	s_waitcnt vmcnt(48) lgkmcnt(6)
	v_mul_f64 v[92:93], v[26:27], v[40:41]
	v_fmac_f64_e32 v[92:93], v[28:29], v[36:37]
	s_waitcnt vmcnt(46) lgkmcnt(5)
	v_mul_f64 v[94:95], v[22:23], v[42:43]
	v_add_f64 v[90:91], v[90:91], v[92:93]
	s_waitcnt vmcnt(44) lgkmcnt(4)
	v_mul_f64 v[96:97], v[18:19], v[48:49]
	v_fma_f64 v[30:31], v[30:31], v[34:35], -v[32:33]
	s_waitcnt vmcnt(42) lgkmcnt(1)
	v_mul_f64 v[122:123], v[2:3], v[50:51]
	v_mul_f64 v[28:29], v[28:29], v[40:41]
	s_waitcnt vmcnt(18) lgkmcnt(0)
	v_mul_f64 v[136:137], v[14:15], v[70:71]
	v_mul_f64 v[100:101], v[6:7], v[54:55]
	s_waitcnt vmcnt(16)
	v_fmac_f64_e32 v[136:137], v[16:17], v[72:73]
	v_mul_f64 v[98:99], v[10:11], v[56:57]
	v_add_f64 v[30:31], v[30:31], 0
	v_fmac_f64_e32 v[98:99], v[12:13], v[58:59]
	v_fma_f64 v[26:27], v[26:27], v[36:37], -v[28:29]
	v_fmac_f64_e32 v[94:95], v[24:25], v[64:65]
	v_add_f64 v[90:91], v[90:91], v[94:95]
	v_fmac_f64_e32 v[96:97], v[20:21], v[62:63]
	v_add_f64 v[90:91], v[90:91], v[96:97]
	;; [unrolled: 2-line block ×3, first 2 shown]
	v_add_f64 v[124:125], v[90:91], v[100:101]
	buffer_load_dword v91, off, s[0:3], 0 offset:604
	buffer_load_dword v90, off, s[0:3], 0 offset:600
	;; [unrolled: 1-line block ×56, first 2 shown]
	v_fmac_f64_e32 v[122:123], v[4:5], v[52:53]
	v_add_f64 v[134:135], v[124:125], v[122:123]
	ds_read_b128 v[122:125], v1 offset:1280
	buffer_load_dword v227, off, s[0:3], 0 offset:812
	buffer_load_dword v226, off, s[0:3], 0 offset:808
	;; [unrolled: 1-line block ×4, first 2 shown]
	v_add_f64 v[138:139], v[134:135], v[136:137]
	ds_read_b128 v[134:137], v1 offset:1296
	v_mul_f64 v[24:25], v[24:25], v[42:43]
	s_waitcnt lgkmcnt(1)
	v_mul_f64 v[140:141], v[122:123], v[66:67]
	v_fmac_f64_e32 v[140:141], v[124:125], v[68:69]
	v_add_f64 v[142:143], v[138:139], v[140:141]
	ds_read_b128 v[138:141], v1 offset:1312
	s_waitcnt vmcnt(62) lgkmcnt(1)
	v_mul_f64 v[144:145], v[134:135], v[78:79]
	v_fmac_f64_e32 v[144:145], v[136:137], v[80:81]
	v_add_f64 v[146:147], v[142:143], v[144:145]
	ds_read_b128 v[142:145], v1 offset:1328
	s_waitcnt lgkmcnt(1)
	v_mul_f64 v[148:149], v[138:139], v[74:75]
	v_fmac_f64_e32 v[148:149], v[140:141], v[76:77]
	v_add_f64 v[150:151], v[146:147], v[148:149]
	ds_read_b128 v[146:149], v1 offset:1344
	s_waitcnt lgkmcnt(1)
	v_mul_f64 v[152:153], v[142:143], v[86:87]
	s_waitcnt vmcnt(60)
	v_fmac_f64_e32 v[152:153], v[144:145], v[88:89]
	v_add_f64 v[154:155], v[150:151], v[152:153]
	ds_read_b128 v[150:153], v1 offset:1360
	s_waitcnt lgkmcnt(1)
	v_mul_f64 v[156:157], v[146:147], v[82:83]
	v_fmac_f64_e32 v[156:157], v[148:149], v[84:85]
	v_add_f64 v[158:159], v[154:155], v[156:157]
	ds_read_b128 v[154:157], v1 offset:1376
	v_add_f64 v[26:27], v[30:31], v[26:27]
	v_fma_f64 v[22:23], v[22:23], v[64:65], -v[24:25]
	s_waitcnt vmcnt(54) lgkmcnt(1)
	v_mul_f64 v[160:161], v[150:151], v[94:95]
	v_mul_f64 v[20:21], v[20:21], v[48:49]
	s_waitcnt vmcnt(52)
	v_fmac_f64_e32 v[160:161], v[152:153], v[96:97]
	v_add_f64 v[162:163], v[158:159], v[160:161]
	ds_read_b128 v[158:161], v1 offset:1392
	s_waitcnt lgkmcnt(1)
	v_mul_f64 v[164:165], v[154:155], v[90:91]
	v_fmac_f64_e32 v[164:165], v[156:157], v[92:93]
	v_add_f64 v[22:23], v[26:27], v[22:23]
	v_fma_f64 v[18:19], v[18:19], v[62:63], -v[20:21]
	v_mul_f64 v[12:13], v[12:13], v[56:57]
	v_add_f64 v[166:167], v[162:163], v[164:165]
	ds_read_b128 v[162:165], v1 offset:1408
	v_add_f64 v[18:19], v[22:23], v[18:19]
	v_fma_f64 v[10:11], v[10:11], v[58:59], -v[12:13]
	v_mul_f64 v[8:9], v[8:9], v[54:55]
	v_add_f64 v[10:11], v[18:19], v[10:11]
	v_fma_f64 v[6:7], v[6:7], v[60:61], -v[8:9]
	v_mul_f64 v[4:5], v[4:5], v[50:51]
	;; [unrolled: 3-line block ×3, first 2 shown]
	s_waitcnt vmcnt(46) lgkmcnt(1)
	v_mul_f64 v[168:169], v[158:159], v[102:103]
	v_add_f64 v[2:3], v[6:7], v[2:3]
	v_fma_f64 v[4:5], v[14:15], v[72:73], -v[4:5]
	s_waitcnt vmcnt(44)
	v_fmac_f64_e32 v[168:169], v[160:161], v[104:105]
	v_add_f64 v[2:3], v[2:3], v[4:5]
	v_mul_f64 v[4:5], v[124:125], v[66:67]
	v_add_f64 v[170:171], v[166:167], v[168:169]
	ds_read_b128 v[166:169], v1 offset:1424
	s_waitcnt lgkmcnt(1)
	v_mul_f64 v[172:173], v[162:163], v[98:99]
	v_fma_f64 v[4:5], v[122:123], v[68:69], -v[4:5]
	v_fmac_f64_e32 v[172:173], v[164:165], v[100:101]
	v_add_f64 v[2:3], v[2:3], v[4:5]
	v_mul_f64 v[4:5], v[136:137], v[78:79]
	v_add_f64 v[174:175], v[170:171], v[172:173]
	ds_read_b128 v[170:173], v1 offset:1440
	v_fma_f64 v[4:5], v[134:135], v[80:81], -v[4:5]
	v_add_f64 v[2:3], v[2:3], v[4:5]
	v_mul_f64 v[4:5], v[140:141], v[74:75]
	v_fma_f64 v[4:5], v[138:139], v[76:77], -v[4:5]
	s_waitcnt vmcnt(38) lgkmcnt(1)
	v_mul_f64 v[176:177], v[166:167], v[110:111]
	v_add_f64 v[2:3], v[2:3], v[4:5]
	v_mul_f64 v[4:5], v[144:145], v[86:87]
	s_waitcnt vmcnt(36)
	v_fmac_f64_e32 v[176:177], v[168:169], v[112:113]
	v_fma_f64 v[4:5], v[142:143], v[88:89], -v[4:5]
	v_add_f64 v[178:179], v[174:175], v[176:177]
	ds_read_b128 v[174:177], v1 offset:1456
	s_waitcnt lgkmcnt(1)
	v_mul_f64 v[180:181], v[170:171], v[106:107]
	v_add_f64 v[2:3], v[2:3], v[4:5]
	v_mul_f64 v[4:5], v[148:149], v[82:83]
	v_fmac_f64_e32 v[180:181], v[172:173], v[108:109]
	v_fma_f64 v[4:5], v[146:147], v[84:85], -v[4:5]
	v_add_f64 v[182:183], v[178:179], v[180:181]
	ds_read_b128 v[178:181], v1 offset:1472
	v_add_f64 v[2:3], v[2:3], v[4:5]
	v_mul_f64 v[4:5], v[152:153], v[94:95]
	v_fma_f64 v[4:5], v[150:151], v[96:97], -v[4:5]
	v_add_f64 v[2:3], v[2:3], v[4:5]
	v_mul_f64 v[4:5], v[156:157], v[90:91]
	s_waitcnt vmcnt(30) lgkmcnt(1)
	v_mul_f64 v[184:185], v[174:175], v[118:119]
	v_fma_f64 v[4:5], v[154:155], v[92:93], -v[4:5]
	s_waitcnt vmcnt(28)
	v_fmac_f64_e32 v[184:185], v[176:177], v[120:121]
	v_add_f64 v[2:3], v[2:3], v[4:5]
	v_mul_f64 v[4:5], v[160:161], v[102:103]
	v_add_f64 v[186:187], v[182:183], v[184:185]
	ds_read_b128 v[182:185], v1 offset:1488
	s_waitcnt lgkmcnt(1)
	v_mul_f64 v[188:189], v[178:179], v[114:115]
	v_fma_f64 v[4:5], v[158:159], v[104:105], -v[4:5]
	v_fmac_f64_e32 v[188:189], v[180:181], v[116:117]
	v_add_f64 v[2:3], v[2:3], v[4:5]
	v_mul_f64 v[4:5], v[164:165], v[98:99]
	v_add_f64 v[190:191], v[186:187], v[188:189]
	ds_read_b128 v[186:189], v1 offset:1504
	v_fma_f64 v[4:5], v[162:163], v[100:101], -v[4:5]
	v_add_f64 v[2:3], v[2:3], v[4:5]
	v_mul_f64 v[4:5], v[168:169], v[110:111]
	v_fma_f64 v[4:5], v[166:167], v[112:113], -v[4:5]
	s_waitcnt vmcnt(22) lgkmcnt(1)
	v_mul_f64 v[192:193], v[182:183], v[130:131]
	v_add_f64 v[2:3], v[2:3], v[4:5]
	v_mul_f64 v[4:5], v[172:173], v[106:107]
	s_waitcnt vmcnt(20)
	v_fmac_f64_e32 v[192:193], v[184:185], v[132:133]
	v_fma_f64 v[4:5], v[170:171], v[108:109], -v[4:5]
	v_add_f64 v[194:195], v[190:191], v[192:193]
	ds_read_b128 v[190:193], v1 offset:1520
	s_waitcnt lgkmcnt(1)
	v_mul_f64 v[196:197], v[186:187], v[126:127]
	v_add_f64 v[2:3], v[2:3], v[4:5]
	v_mul_f64 v[4:5], v[176:177], v[118:119]
	v_fmac_f64_e32 v[196:197], v[188:189], v[128:129]
	v_fma_f64 v[4:5], v[174:175], v[120:121], -v[4:5]
	v_add_f64 v[198:199], v[194:195], v[196:197]
	ds_read_b128 v[194:197], v1 offset:1536
	v_add_f64 v[2:3], v[2:3], v[4:5]
	v_mul_f64 v[4:5], v[180:181], v[114:115]
	v_fma_f64 v[4:5], v[178:179], v[116:117], -v[4:5]
	v_add_f64 v[2:3], v[2:3], v[4:5]
	v_mul_f64 v[4:5], v[184:185], v[130:131]
	s_waitcnt vmcnt(14) lgkmcnt(1)
	v_mul_f64 v[200:201], v[190:191], v[210:211]
	v_fma_f64 v[4:5], v[182:183], v[132:133], -v[4:5]
	s_waitcnt vmcnt(12)
	v_fmac_f64_e32 v[200:201], v[192:193], v[212:213]
	v_add_f64 v[2:3], v[2:3], v[4:5]
	v_mul_f64 v[4:5], v[188:189], v[126:127]
	v_add_f64 v[206:207], v[198:199], v[200:201]
	ds_read_b128 v[198:201], v1 offset:1552
	s_waitcnt lgkmcnt(1)
	v_mul_f64 v[208:209], v[194:195], v[202:203]
	v_fma_f64 v[4:5], v[186:187], v[128:129], -v[4:5]
	v_fmac_f64_e32 v[208:209], v[196:197], v[204:205]
	v_add_f64 v[2:3], v[2:3], v[4:5]
	v_mul_f64 v[4:5], v[192:193], v[210:211]
	v_add_f64 v[230:231], v[206:207], v[208:209]
	ds_read_b128 v[206:209], v1 offset:1568
	v_fma_f64 v[4:5], v[190:191], v[212:213], -v[4:5]
	v_add_f64 v[2:3], v[2:3], v[4:5]
	v_mul_f64 v[4:5], v[196:197], v[202:203]
	ds_read_b128 v[218:221], v1 offset:1584
	v_fma_f64 v[4:5], v[194:195], v[204:205], -v[4:5]
	v_add_f64 v[2:3], v[2:3], v[4:5]
	s_waitcnt vmcnt(6) lgkmcnt(2)
	v_mul_f64 v[4:5], v[200:201], v[222:223]
	v_mul_f64 v[232:233], v[198:199], v[222:223]
	s_waitcnt vmcnt(4)
	v_fma_f64 v[4:5], v[198:199], v[224:225], -v[4:5]
	v_fmac_f64_e32 v[232:233], v[200:201], v[224:225]
	v_add_f64 v[2:3], v[2:3], v[4:5]
	s_waitcnt lgkmcnt(1)
	v_mul_f64 v[4:5], v[208:209], v[214:215]
	v_add_f64 v[230:231], v[230:231], v[232:233]
	v_mul_f64 v[232:233], v[206:207], v[214:215]
	v_fma_f64 v[4:5], v[206:207], v[216:217], -v[4:5]
	v_fmac_f64_e32 v[232:233], v[208:209], v[216:217]
	v_add_f64 v[2:3], v[2:3], v[4:5]
	s_waitcnt vmcnt(2) lgkmcnt(0)
	v_mul_f64 v[4:5], v[220:221], v[226:227]
	v_add_f64 v[230:231], v[230:231], v[232:233]
	v_mul_f64 v[232:233], v[218:219], v[226:227]
	s_waitcnt vmcnt(0)
	v_fma_f64 v[4:5], v[218:219], v[228:229], -v[4:5]
	v_fmac_f64_e32 v[232:233], v[220:221], v[228:229]
	v_add_f64 v[2:3], v[2:3], v[4:5]
	v_add_f64 v[230:231], v[230:231], v[232:233]
	v_add_f64 v[2:3], v[46:47], -v[2:3]
	v_add_f64 v[4:5], v[44:45], -v[230:231]
	buffer_store_dword v3, off, s[0:3], 0 offset:356
	buffer_store_dword v2, off, s[0:3], 0 offset:352
	;; [unrolled: 1-line block ×4, first 2 shown]
	s_and_saveexec_b64 s[4:5], vcc
	s_cbranch_execz .LBB113_273
; %bb.272:
	v_accvgpr_read_b32 v0, a129
	buffer_load_dword v2, v0, s[0:3], 0 offen
	buffer_load_dword v3, v0, s[0:3], 0 offen offset:4
	buffer_load_dword v4, v0, s[0:3], 0 offen offset:8
	;; [unrolled: 1-line block ×3, first 2 shown]
	v_mov_b32_e32 v0, 0
	v_accvgpr_read_b32 v1, a150
	buffer_store_dword v0, off, s[0:3], 0 offset:336
	buffer_store_dword v0, off, s[0:3], 0 offset:340
	;; [unrolled: 1-line block ×4, first 2 shown]
	s_waitcnt vmcnt(4)
	ds_write_b128 v1, v[2:5]
.LBB113_273:
	s_or_b64 exec, exec, s[4:5]
	s_waitcnt lgkmcnt(0)
	; wave barrier
	s_waitcnt lgkmcnt(0)
	buffer_load_dword v38, off, s[0:3], 0 offset:352
	buffer_load_dword v39, off, s[0:3], 0 offset:356
	;; [unrolled: 1-line block ×48, first 2 shown]
	v_mov_b32_e32 v1, 0
	ds_read_b128 v[34:37], v1 offset:1136
	ds_read_b128 v[30:33], v1 offset:1152
	;; [unrolled: 1-line block ×9, first 2 shown]
	v_cmp_lt_u32_e32 vcc, 19, v254
	s_waitcnt vmcnt(44) lgkmcnt(8)
	v_mul_f64 v[86:87], v[34:35], v[42:43]
	v_fmac_f64_e32 v[86:87], v[36:37], v[38:39]
	v_add_f64 v[86:87], v[86:87], 0
	v_mul_f64 v[36:37], v[36:37], v[42:43]
	s_waitcnt vmcnt(40) lgkmcnt(7)
	v_mul_f64 v[88:89], v[30:31], v[44:45]
	v_fmac_f64_e32 v[88:89], v[32:33], v[40:41]
	s_waitcnt vmcnt(38) lgkmcnt(6)
	v_mul_f64 v[90:91], v[26:27], v[46:47]
	v_add_f64 v[86:87], v[86:87], v[88:89]
	s_waitcnt vmcnt(36) lgkmcnt(4)
	v_mul_f64 v[94:95], v[18:19], v[48:49]
	v_fma_f64 v[34:35], v[34:35], v[38:39], -v[36:37]
	s_waitcnt vmcnt(34)
	v_fmac_f64_e32 v[94:95], v[20:21], v[50:51]
	v_mul_f64 v[32:33], v[32:33], v[44:45]
	s_waitcnt vmcnt(32)
	v_mul_f64 v[92:93], v[22:23], v[52:53]
	v_add_f64 v[34:35], v[34:35], 0
	s_waitcnt vmcnt(30) lgkmcnt(2)
	v_mul_f64 v[98:99], v[10:11], v[54:55]
	v_fma_f64 v[30:31], v[30:31], v[40:41], -v[32:33]
	s_waitcnt vmcnt(28)
	v_fmac_f64_e32 v[98:99], v[12:13], v[56:57]
	v_add_f64 v[30:31], v[34:35], v[30:31]
	s_waitcnt vmcnt(26)
	v_mul_f64 v[96:97], v[14:15], v[58:59]
	v_mul_f64 v[20:21], v[20:21], v[48:49]
	v_fma_f64 v[18:19], v[18:19], v[50:51], -v[20:21]
	v_mul_f64 v[12:13], v[12:13], v[54:55]
	s_waitcnt vmcnt(22) lgkmcnt(1)
	v_mul_f64 v[110:111], v[6:7], v[68:69]
	v_fma_f64 v[10:11], v[10:11], v[56:57], -v[12:13]
	s_waitcnt vmcnt(20)
	v_fmac_f64_e32 v[90:91], v[28:29], v[76:77]
	v_add_f64 v[86:87], v[86:87], v[90:91]
	s_waitcnt vmcnt(18)
	v_fmac_f64_e32 v[92:93], v[24:25], v[74:75]
	v_add_f64 v[86:87], v[86:87], v[92:93]
	;; [unrolled: 3-line block ×3, first 2 shown]
	v_add_f64 v[86:87], v[86:87], v[96:97]
	v_add_f64 v[112:113], v[86:87], v[98:99]
	buffer_load_dword v87, off, s[0:3], 0 offset:556
	buffer_load_dword v86, off, s[0:3], 0 offset:552
	;; [unrolled: 1-line block ×72, first 2 shown]
	s_waitcnt vmcnt(62)
	v_fmac_f64_e32 v[110:111], v[8:9], v[70:71]
	v_add_f64 v[142:143], v[112:113], v[110:111]
	ds_read_b128 v[110:113], v1 offset:1280
	s_waitcnt lgkmcnt(1)
	v_mul_f64 v[144:145], v[2:3], v[64:65]
	v_fmac_f64_e32 v[144:145], v[4:5], v[66:67]
	v_add_f64 v[146:147], v[142:143], v[144:145]
	ds_read_b128 v[142:145], v1 offset:1296
	s_waitcnt lgkmcnt(1)
	v_mul_f64 v[148:149], v[110:111], v[82:83]
	;; [unrolled: 5-line block ×5, first 2 shown]
	v_fmac_f64_e32 v[160:161], v[152:153], v[88:89]
	v_add_f64 v[162:163], v[158:159], v[160:161]
	ds_read_b128 v[158:161], v1 offset:1360
	s_waitcnt vmcnt(58) lgkmcnt(1)
	v_mul_f64 v[164:165], v[154:155], v[98:99]
	s_waitcnt vmcnt(56)
	v_fmac_f64_e32 v[164:165], v[156:157], v[100:101]
	v_add_f64 v[166:167], v[162:163], v[164:165]
	ds_read_b128 v[162:165], v1 offset:1376
	s_waitcnt lgkmcnt(1)
	v_mul_f64 v[168:169], v[158:159], v[94:95]
	v_fmac_f64_e32 v[168:169], v[160:161], v[96:97]
	v_mul_f64 v[28:29], v[28:29], v[46:47]
	v_add_f64 v[170:171], v[166:167], v[168:169]
	ds_read_b128 v[166:169], v1 offset:1392
	s_waitcnt vmcnt(50) lgkmcnt(1)
	v_mul_f64 v[172:173], v[162:163], v[106:107]
	v_fma_f64 v[26:27], v[26:27], v[76:77], -v[28:29]
	v_mul_f64 v[24:25], v[24:25], v[52:53]
	s_waitcnt vmcnt(48)
	v_fmac_f64_e32 v[172:173], v[164:165], v[108:109]
	v_add_f64 v[26:27], v[30:31], v[26:27]
	v_fma_f64 v[22:23], v[22:23], v[74:75], -v[24:25]
	v_add_f64 v[174:175], v[170:171], v[172:173]
	ds_read_b128 v[170:173], v1 offset:1408
	v_add_f64 v[22:23], v[26:27], v[22:23]
	v_mul_f64 v[16:17], v[16:17], v[58:59]
	v_add_f64 v[18:19], v[22:23], v[18:19]
	v_fma_f64 v[14:15], v[14:15], v[72:73], -v[16:17]
	v_add_f64 v[14:15], v[18:19], v[14:15]
	v_mul_f64 v[8:9], v[8:9], v[68:69]
	s_waitcnt lgkmcnt(1)
	v_mul_f64 v[176:177], v[166:167], v[102:103]
	v_add_f64 v[10:11], v[14:15], v[10:11]
	v_fma_f64 v[6:7], v[6:7], v[70:71], -v[8:9]
	v_mul_f64 v[4:5], v[4:5], v[64:65]
	v_fmac_f64_e32 v[176:177], v[168:169], v[104:105]
	v_add_f64 v[6:7], v[10:11], v[6:7]
	v_fma_f64 v[2:3], v[2:3], v[66:67], -v[4:5]
	v_mul_f64 v[4:5], v[112:113], v[82:83]
	v_add_f64 v[178:179], v[174:175], v[176:177]
	ds_read_b128 v[174:177], v1 offset:1424
	s_waitcnt vmcnt(42) lgkmcnt(1)
	v_mul_f64 v[180:181], v[170:171], v[118:119]
	v_add_f64 v[2:3], v[6:7], v[2:3]
	v_fma_f64 v[4:5], v[110:111], v[84:85], -v[4:5]
	s_waitcnt vmcnt(40)
	v_fmac_f64_e32 v[180:181], v[172:173], v[120:121]
	v_add_f64 v[2:3], v[2:3], v[4:5]
	v_mul_f64 v[4:5], v[144:145], v[78:79]
	v_add_f64 v[182:183], v[178:179], v[180:181]
	ds_read_b128 v[178:181], v1 offset:1440
	v_fma_f64 v[4:5], v[142:143], v[80:81], -v[4:5]
	v_add_f64 v[2:3], v[2:3], v[4:5]
	v_mul_f64 v[4:5], v[148:149], v[90:91]
	v_fma_f64 v[4:5], v[146:147], v[92:93], -v[4:5]
	s_waitcnt lgkmcnt(1)
	v_mul_f64 v[184:185], v[174:175], v[114:115]
	v_add_f64 v[2:3], v[2:3], v[4:5]
	v_mul_f64 v[4:5], v[152:153], v[86:87]
	v_fmac_f64_e32 v[184:185], v[176:177], v[116:117]
	v_fma_f64 v[4:5], v[150:151], v[88:89], -v[4:5]
	v_add_f64 v[186:187], v[182:183], v[184:185]
	ds_read_b128 v[182:185], v1 offset:1456
	s_waitcnt vmcnt(34) lgkmcnt(1)
	v_mul_f64 v[188:189], v[178:179], v[126:127]
	v_add_f64 v[2:3], v[2:3], v[4:5]
	v_mul_f64 v[4:5], v[156:157], v[98:99]
	s_waitcnt vmcnt(32)
	v_fmac_f64_e32 v[188:189], v[180:181], v[128:129]
	v_fma_f64 v[4:5], v[154:155], v[100:101], -v[4:5]
	v_add_f64 v[190:191], v[186:187], v[188:189]
	ds_read_b128 v[186:189], v1 offset:1472
	v_add_f64 v[2:3], v[2:3], v[4:5]
	v_mul_f64 v[4:5], v[160:161], v[94:95]
	v_fma_f64 v[4:5], v[158:159], v[96:97], -v[4:5]
	v_add_f64 v[2:3], v[2:3], v[4:5]
	v_mul_f64 v[4:5], v[164:165], v[106:107]
	s_waitcnt lgkmcnt(1)
	v_mul_f64 v[192:193], v[182:183], v[122:123]
	v_fma_f64 v[4:5], v[162:163], v[108:109], -v[4:5]
	v_fmac_f64_e32 v[192:193], v[184:185], v[124:125]
	v_add_f64 v[2:3], v[2:3], v[4:5]
	v_mul_f64 v[4:5], v[168:169], v[102:103]
	v_add_f64 v[194:195], v[190:191], v[192:193]
	ds_read_b128 v[190:193], v1 offset:1488
	s_waitcnt vmcnt(26) lgkmcnt(1)
	v_mul_f64 v[196:197], v[186:187], v[134:135]
	v_fma_f64 v[4:5], v[166:167], v[104:105], -v[4:5]
	s_waitcnt vmcnt(24)
	v_fmac_f64_e32 v[196:197], v[188:189], v[136:137]
	v_add_f64 v[2:3], v[2:3], v[4:5]
	v_mul_f64 v[4:5], v[172:173], v[118:119]
	v_add_f64 v[198:199], v[194:195], v[196:197]
	ds_read_b128 v[194:197], v1 offset:1504
	v_fma_f64 v[4:5], v[170:171], v[120:121], -v[4:5]
	v_add_f64 v[2:3], v[2:3], v[4:5]
	v_mul_f64 v[4:5], v[176:177], v[114:115]
	v_fma_f64 v[4:5], v[174:175], v[116:117], -v[4:5]
	s_waitcnt lgkmcnt(1)
	v_mul_f64 v[200:201], v[190:191], v[130:131]
	v_add_f64 v[2:3], v[2:3], v[4:5]
	v_mul_f64 v[4:5], v[180:181], v[126:127]
	v_fmac_f64_e32 v[200:201], v[192:193], v[132:133]
	v_fma_f64 v[4:5], v[178:179], v[128:129], -v[4:5]
	v_add_f64 v[206:207], v[198:199], v[200:201]
	ds_read_b128 v[198:201], v1 offset:1520
	s_waitcnt vmcnt(18) lgkmcnt(1)
	v_mul_f64 v[208:209], v[194:195], v[202:203]
	v_add_f64 v[2:3], v[2:3], v[4:5]
	v_mul_f64 v[4:5], v[184:185], v[122:123]
	s_waitcnt vmcnt(16)
	v_fmac_f64_e32 v[208:209], v[196:197], v[204:205]
	v_fma_f64 v[4:5], v[182:183], v[124:125], -v[4:5]
	v_add_f64 v[218:219], v[206:207], v[208:209]
	ds_read_b128 v[206:209], v1 offset:1536
	v_add_f64 v[2:3], v[2:3], v[4:5]
	v_mul_f64 v[4:5], v[188:189], v[134:135]
	v_fma_f64 v[4:5], v[186:187], v[136:137], -v[4:5]
	v_add_f64 v[2:3], v[2:3], v[4:5]
	v_mul_f64 v[4:5], v[192:193], v[130:131]
	s_waitcnt lgkmcnt(1)
	v_mul_f64 v[220:221], v[198:199], v[138:139]
	v_fma_f64 v[4:5], v[190:191], v[132:133], -v[4:5]
	v_fmac_f64_e32 v[220:221], v[200:201], v[140:141]
	v_add_f64 v[2:3], v[2:3], v[4:5]
	v_mul_f64 v[4:5], v[196:197], v[202:203]
	v_add_f64 v[222:223], v[218:219], v[220:221]
	ds_read_b128 v[218:221], v1 offset:1552
	s_waitcnt vmcnt(10) lgkmcnt(1)
	v_mul_f64 v[224:225], v[206:207], v[214:215]
	v_fma_f64 v[4:5], v[194:195], v[204:205], -v[4:5]
	s_waitcnt vmcnt(8)
	v_fmac_f64_e32 v[224:225], v[208:209], v[216:217]
	v_add_f64 v[2:3], v[2:3], v[4:5]
	v_mul_f64 v[4:5], v[200:201], v[138:139]
	v_add_f64 v[238:239], v[222:223], v[224:225]
	ds_read_b128 v[222:225], v1 offset:1568
	ds_read_b128 v[226:229], v1 offset:1584
	v_fma_f64 v[4:5], v[198:199], v[140:141], -v[4:5]
	v_add_f64 v[2:3], v[2:3], v[4:5]
	v_mul_f64 v[4:5], v[208:209], v[214:215]
	v_fma_f64 v[4:5], v[206:207], v[216:217], -v[4:5]
	v_add_f64 v[2:3], v[2:3], v[4:5]
	s_waitcnt lgkmcnt(2)
	v_mul_f64 v[4:5], v[220:221], v[210:211]
	v_mul_f64 v[240:241], v[218:219], v[210:211]
	v_fma_f64 v[4:5], v[218:219], v[212:213], -v[4:5]
	v_fmac_f64_e32 v[240:241], v[220:221], v[212:213]
	v_add_f64 v[2:3], v[2:3], v[4:5]
	s_waitcnt vmcnt(2) lgkmcnt(1)
	v_mul_f64 v[4:5], v[224:225], v[234:235]
	v_add_f64 v[238:239], v[238:239], v[240:241]
	v_mul_f64 v[240:241], v[222:223], v[234:235]
	s_waitcnt vmcnt(0)
	v_fma_f64 v[4:5], v[222:223], v[236:237], -v[4:5]
	v_fmac_f64_e32 v[240:241], v[224:225], v[236:237]
	v_add_f64 v[2:3], v[2:3], v[4:5]
	s_waitcnt lgkmcnt(0)
	v_mul_f64 v[4:5], v[228:229], v[230:231]
	v_add_f64 v[238:239], v[238:239], v[240:241]
	v_mul_f64 v[240:241], v[226:227], v[230:231]
	v_fma_f64 v[4:5], v[226:227], v[232:233], -v[4:5]
	v_fmac_f64_e32 v[240:241], v[228:229], v[232:233]
	v_add_f64 v[2:3], v[2:3], v[4:5]
	v_add_f64 v[238:239], v[238:239], v[240:241]
	v_add_f64 v[2:3], v[62:63], -v[2:3]
	v_add_f64 v[4:5], v[60:61], -v[238:239]
	buffer_store_dword v3, off, s[0:3], 0 offset:340
	buffer_store_dword v2, off, s[0:3], 0 offset:336
	;; [unrolled: 1-line block ×4, first 2 shown]
	s_and_saveexec_b64 s[4:5], vcc
	s_cbranch_execz .LBB113_275
; %bb.274:
	v_accvgpr_read_b32 v0, a130
	buffer_load_dword v2, v0, s[0:3], 0 offen
	buffer_load_dword v3, v0, s[0:3], 0 offen offset:4
	buffer_load_dword v4, v0, s[0:3], 0 offen offset:8
	;; [unrolled: 1-line block ×3, first 2 shown]
	v_accvgpr_read_b32 v0, a150
	buffer_store_dword v1, off, s[0:3], 0 offset:320
	buffer_store_dword v1, off, s[0:3], 0 offset:324
	;; [unrolled: 1-line block ×4, first 2 shown]
	s_waitcnt vmcnt(4)
	ds_write_b128 v0, v[2:5]
.LBB113_275:
	s_or_b64 exec, exec, s[4:5]
	s_waitcnt lgkmcnt(0)
	; wave barrier
	s_waitcnt lgkmcnt(0)
	buffer_load_dword v48, off, s[0:3], 0 offset:336
	buffer_load_dword v49, off, s[0:3], 0 offset:340
	;; [unrolled: 1-line block ×40, first 2 shown]
	ds_read_b128 v[38:41], v1 offset:1120
	ds_read_b128 v[34:37], v1 offset:1136
	;; [unrolled: 1-line block ×10, first 2 shown]
	buffer_load_dword v83, off, s[0:3], 0 offset:508
	buffer_load_dword v82, off, s[0:3], 0 offset:504
	;; [unrolled: 1-line block ×8, first 2 shown]
	v_cmp_lt_u32_e32 vcc, 18, v254
	s_waitcnt vmcnt(44) lgkmcnt(9)
	v_mul_f64 v[90:91], v[38:39], v[50:51]
	v_fmac_f64_e32 v[90:91], v[40:41], v[48:49]
	v_add_f64 v[90:91], v[90:91], 0
	v_mul_f64 v[40:41], v[40:41], v[50:51]
	s_waitcnt vmcnt(40) lgkmcnt(8)
	v_mul_f64 v[92:93], v[34:35], v[44:45]
	v_fmac_f64_e32 v[92:93], v[36:37], v[42:43]
	s_waitcnt vmcnt(38) lgkmcnt(7)
	v_mul_f64 v[94:95], v[30:31], v[46:47]
	v_add_f64 v[90:91], v[90:91], v[92:93]
	s_waitcnt vmcnt(36) lgkmcnt(5)
	v_mul_f64 v[98:99], v[22:23], v[52:53]
	v_mul_f64 v[36:37], v[36:37], v[44:45]
	s_waitcnt vmcnt(34)
	v_fmac_f64_e32 v[98:99], v[24:25], v[54:55]
	v_fma_f64 v[34:35], v[34:35], v[42:43], -v[36:37]
	s_waitcnt vmcnt(32)
	v_mul_f64 v[96:97], v[26:27], v[56:57]
	v_mul_f64 v[24:25], v[24:25], v[52:53]
	s_waitcnt vmcnt(30) lgkmcnt(4)
	v_mul_f64 v[100:101], v[18:19], v[62:63]
	v_fma_f64 v[22:23], v[22:23], v[54:55], -v[24:25]
	s_waitcnt vmcnt(28) lgkmcnt(1)
	v_mul_f64 v[122:123], v[2:3], v[64:65]
	s_waitcnt vmcnt(25)
	v_mul_f64 v[104:105], v[6:7], v[68:69]
	s_waitcnt vmcnt(23)
	;; [unrolled: 2-line block ×3, first 2 shown]
	v_fmac_f64_e32 v[102:103], v[12:13], v[72:73]
	v_mul_f64 v[12:13], v[12:13], v[70:71]
	s_waitcnt vmcnt(19)
	v_fmac_f64_e32 v[94:95], v[32:33], v[80:81]
	v_add_f64 v[90:91], v[90:91], v[94:95]
	s_waitcnt vmcnt(17)
	v_fmac_f64_e32 v[96:97], v[28:29], v[78:79]
	v_add_f64 v[90:91], v[90:91], v[96:97]
	;; [unrolled: 3-line block ×3, first 2 shown]
	v_add_f64 v[90:91], v[90:91], v[100:101]
	s_waitcnt vmcnt(13)
	v_fmac_f64_e32 v[104:105], v[8:9], v[74:75]
	v_add_f64 v[90:91], v[90:91], v[102:103]
	v_add_f64 v[124:125], v[90:91], v[104:105]
	buffer_load_dword v91, off, s[0:3], 0 offset:540
	buffer_load_dword v90, off, s[0:3], 0 offset:536
	;; [unrolled: 1-line block ×72, first 2 shown]
	s_waitcnt vmcnt(62)
	v_fmac_f64_e32 v[122:123], v[4:5], v[66:67]
	v_add_f64 v[150:151], v[124:125], v[122:123]
	ds_read_b128 v[122:125], v1 offset:1280
	s_waitcnt lgkmcnt(1)
	v_mul_f64 v[152:153], v[14:15], v[86:87]
	v_fmac_f64_e32 v[152:153], v[16:17], v[88:89]
	buffer_load_dword v235, off, s[0:3], 0 offset:812
	buffer_load_dword v234, off, s[0:3], 0 offset:808
	;; [unrolled: 1-line block ×4, first 2 shown]
	v_add_f64 v[154:155], v[150:151], v[152:153]
	s_waitcnt lgkmcnt(0)
	v_mul_f64 v[156:157], v[122:123], v[82:83]
	ds_read_b128 v[150:153], v1 offset:1296
	v_fmac_f64_e32 v[156:157], v[124:125], v[84:85]
	v_add_f64 v[158:159], v[154:155], v[156:157]
	ds_read_b128 v[154:157], v1 offset:1312
	v_mul_f64 v[32:33], v[32:33], v[46:47]
	s_waitcnt lgkmcnt(1)
	v_mul_f64 v[160:161], v[150:151], v[94:95]
	v_fma_f64 v[30:31], v[30:31], v[80:81], -v[32:33]
	v_fmac_f64_e32 v[160:161], v[152:153], v[96:97]
	s_waitcnt lgkmcnt(0)
	v_mul_f64 v[164:165], v[154:155], v[90:91]
	v_add_f64 v[162:163], v[158:159], v[160:161]
	ds_read_b128 v[158:161], v1 offset:1328
	v_fmac_f64_e32 v[164:165], v[156:157], v[92:93]
	v_add_f64 v[166:167], v[162:163], v[164:165]
	ds_read_b128 v[162:165], v1 offset:1344
	v_mul_f64 v[28:29], v[28:29], v[56:57]
	s_waitcnt vmcnt(62) lgkmcnt(1)
	v_mul_f64 v[168:169], v[158:159], v[102:103]
	s_waitcnt vmcnt(60)
	v_fmac_f64_e32 v[168:169], v[160:161], v[104:105]
	v_add_f64 v[170:171], v[166:167], v[168:169]
	s_waitcnt lgkmcnt(0)
	v_mul_f64 v[172:173], v[162:163], v[98:99]
	ds_read_b128 v[166:169], v1 offset:1360
	v_fmac_f64_e32 v[172:173], v[164:165], v[100:101]
	v_add_f64 v[174:175], v[170:171], v[172:173]
	ds_read_b128 v[170:173], v1 offset:1376
	v_fma_f64 v[26:27], v[26:27], v[78:79], -v[28:29]
	s_waitcnt vmcnt(54) lgkmcnt(1)
	v_mul_f64 v[176:177], v[166:167], v[110:111]
	s_waitcnt vmcnt(52)
	v_fmac_f64_e32 v[176:177], v[168:169], v[112:113]
	v_add_f64 v[178:179], v[174:175], v[176:177]
	s_waitcnt lgkmcnt(0)
	v_mul_f64 v[180:181], v[170:171], v[106:107]
	ds_read_b128 v[174:177], v1 offset:1392
	v_fmac_f64_e32 v[180:181], v[172:173], v[108:109]
	v_add_f64 v[182:183], v[178:179], v[180:181]
	ds_read_b128 v[178:181], v1 offset:1408
	v_mul_f64 v[20:21], v[20:21], v[62:63]
	s_waitcnt vmcnt(46) lgkmcnt(1)
	v_mul_f64 v[184:185], v[174:175], v[118:119]
	s_waitcnt vmcnt(44)
	v_fmac_f64_e32 v[184:185], v[176:177], v[120:121]
	v_add_f64 v[186:187], v[182:183], v[184:185]
	s_waitcnt lgkmcnt(0)
	v_mul_f64 v[188:189], v[178:179], v[114:115]
	ds_read_b128 v[182:185], v1 offset:1424
	v_fmac_f64_e32 v[188:189], v[180:181], v[116:117]
	v_add_f64 v[190:191], v[186:187], v[188:189]
	ds_read_b128 v[186:189], v1 offset:1440
	v_fma_f64 v[18:19], v[18:19], v[76:77], -v[20:21]
	s_waitcnt vmcnt(38) lgkmcnt(1)
	v_mul_f64 v[192:193], v[182:183], v[130:131]
	s_waitcnt vmcnt(36)
	v_fmac_f64_e32 v[192:193], v[184:185], v[132:133]
	v_add_f64 v[194:195], v[190:191], v[192:193]
	s_waitcnt lgkmcnt(0)
	v_mul_f64 v[196:197], v[186:187], v[126:127]
	ds_read_b128 v[190:193], v1 offset:1456
	v_fmac_f64_e32 v[196:197], v[188:189], v[128:129]
	v_add_f64 v[198:199], v[194:195], v[196:197]
	ds_read_b128 v[194:197], v1 offset:1472
	v_fma_f64 v[10:11], v[10:11], v[72:73], -v[12:13]
	s_waitcnt vmcnt(30) lgkmcnt(1)
	v_mul_f64 v[200:201], v[190:191], v[138:139]
	s_waitcnt vmcnt(28)
	v_fmac_f64_e32 v[200:201], v[192:193], v[140:141]
	v_add_f64 v[206:207], v[198:199], v[200:201]
	s_waitcnt lgkmcnt(0)
	v_mul_f64 v[208:209], v[194:195], v[134:135]
	ds_read_b128 v[198:201], v1 offset:1488
	v_fmac_f64_e32 v[208:209], v[196:197], v[136:137]
	v_add_f64 v[218:219], v[206:207], v[208:209]
	ds_read_b128 v[206:209], v1 offset:1504
	v_mul_f64 v[8:9], v[8:9], v[68:69]
	s_waitcnt vmcnt(22) lgkmcnt(1)
	v_mul_f64 v[220:221], v[198:199], v[146:147]
	s_waitcnt vmcnt(20)
	v_fmac_f64_e32 v[220:221], v[200:201], v[148:149]
	v_add_f64 v[222:223], v[218:219], v[220:221]
	s_waitcnt lgkmcnt(0)
	v_mul_f64 v[224:225], v[206:207], v[142:143]
	ds_read_b128 v[218:221], v1 offset:1520
	v_fmac_f64_e32 v[224:225], v[208:209], v[144:145]
	v_add_f64 v[226:227], v[222:223], v[224:225]
	ds_read_b128 v[222:225], v1 offset:1536
	v_fma_f64 v[6:7], v[6:7], v[74:75], -v[8:9]
	s_waitcnt vmcnt(14) lgkmcnt(1)
	v_mul_f64 v[228:229], v[218:219], v[210:211]
	s_waitcnt vmcnt(12)
	v_fmac_f64_e32 v[228:229], v[220:221], v[212:213]
	v_add_f64 v[238:239], v[226:227], v[228:229]
	s_waitcnt lgkmcnt(0)
	v_mul_f64 v[240:241], v[222:223], v[202:203]
	v_fmac_f64_e32 v[240:241], v[224:225], v[204:205]
	v_add_f64 v[238:239], v[238:239], v[240:241]
	v_fma_f64 v[240:241], v[38:39], v[48:49], -v[40:41]
	v_add_f64 v[240:241], v[240:241], 0
	v_add_f64 v[34:35], v[240:241], v[34:35]
	v_add_f64 v[30:31], v[34:35], v[30:31]
	v_add_f64 v[26:27], v[30:31], v[26:27]
	v_add_f64 v[22:23], v[26:27], v[22:23]
	v_add_f64 v[18:19], v[22:23], v[18:19]
	v_add_f64 v[10:11], v[18:19], v[10:11]
	v_mul_f64 v[4:5], v[4:5], v[64:65]
	v_add_f64 v[6:7], v[10:11], v[6:7]
	v_fma_f64 v[2:3], v[2:3], v[66:67], -v[4:5]
	v_mul_f64 v[4:5], v[16:17], v[86:87]
	v_add_f64 v[2:3], v[6:7], v[2:3]
	v_fma_f64 v[4:5], v[14:15], v[88:89], -v[4:5]
	v_add_f64 v[2:3], v[2:3], v[4:5]
	v_mul_f64 v[4:5], v[124:125], v[82:83]
	v_fma_f64 v[4:5], v[122:123], v[84:85], -v[4:5]
	v_add_f64 v[2:3], v[2:3], v[4:5]
	v_mul_f64 v[4:5], v[152:153], v[94:95]
	;; [unrolled: 3-line block ×15, first 2 shown]
	ds_read_b128 v[226:229], v1 offset:1552
	ds_read_b128 v[38:41], v1 offset:1568
	v_fma_f64 v[4:5], v[206:207], v[144:145], -v[4:5]
	v_add_f64 v[2:3], v[2:3], v[4:5]
	v_mul_f64 v[4:5], v[220:221], v[210:211]
	v_fma_f64 v[4:5], v[218:219], v[212:213], -v[4:5]
	v_add_f64 v[2:3], v[2:3], v[4:5]
	v_mul_f64 v[4:5], v[224:225], v[202:203]
	ds_read_b128 v[48:51], v1 offset:1584
	v_fma_f64 v[4:5], v[222:223], v[204:205], -v[4:5]
	v_add_f64 v[2:3], v[2:3], v[4:5]
	s_waitcnt vmcnt(6) lgkmcnt(2)
	v_mul_f64 v[4:5], v[228:229], v[230:231]
	v_mul_f64 v[242:243], v[226:227], v[230:231]
	s_waitcnt vmcnt(4)
	v_fma_f64 v[4:5], v[226:227], v[232:233], -v[4:5]
	v_fmac_f64_e32 v[242:243], v[228:229], v[232:233]
	v_add_f64 v[2:3], v[2:3], v[4:5]
	s_waitcnt lgkmcnt(1)
	v_mul_f64 v[4:5], v[40:41], v[214:215]
	v_add_f64 v[238:239], v[238:239], v[242:243]
	v_mul_f64 v[242:243], v[38:39], v[214:215]
	v_fma_f64 v[4:5], v[38:39], v[216:217], -v[4:5]
	v_fmac_f64_e32 v[242:243], v[40:41], v[216:217]
	v_add_f64 v[2:3], v[2:3], v[4:5]
	s_waitcnt vmcnt(2) lgkmcnt(0)
	v_mul_f64 v[4:5], v[50:51], v[234:235]
	v_add_f64 v[238:239], v[238:239], v[242:243]
	v_mul_f64 v[242:243], v[48:49], v[234:235]
	s_waitcnt vmcnt(0)
	v_fma_f64 v[4:5], v[48:49], v[236:237], -v[4:5]
	v_fmac_f64_e32 v[242:243], v[50:51], v[236:237]
	v_add_f64 v[2:3], v[2:3], v[4:5]
	v_add_f64 v[238:239], v[238:239], v[242:243]
	v_add_f64 v[2:3], v[60:61], -v[2:3]
	v_add_f64 v[4:5], v[58:59], -v[238:239]
	buffer_store_dword v3, off, s[0:3], 0 offset:324
	buffer_store_dword v2, off, s[0:3], 0 offset:320
	;; [unrolled: 1-line block ×4, first 2 shown]
	s_and_saveexec_b64 s[4:5], vcc
	s_cbranch_execz .LBB113_277
; %bb.276:
	v_accvgpr_read_b32 v0, a131
	buffer_load_dword v2, v0, s[0:3], 0 offen
	buffer_load_dword v3, v0, s[0:3], 0 offen offset:4
	buffer_load_dword v4, v0, s[0:3], 0 offen offset:8
	;; [unrolled: 1-line block ×3, first 2 shown]
	v_mov_b32_e32 v0, 0
	v_accvgpr_read_b32 v1, a150
	buffer_store_dword v0, off, s[0:3], 0 offset:304
	buffer_store_dword v0, off, s[0:3], 0 offset:308
	buffer_store_dword v0, off, s[0:3], 0 offset:312
	buffer_store_dword v0, off, s[0:3], 0 offset:316
	s_waitcnt vmcnt(4)
	ds_write_b128 v1, v[2:5]
.LBB113_277:
	s_or_b64 exec, exec, s[4:5]
	s_waitcnt lgkmcnt(0)
	; wave barrier
	s_waitcnt lgkmcnt(0)
	buffer_load_dword v106, off, s[0:3], 0 offset:320
	buffer_load_dword v107, off, s[0:3], 0 offset:324
	;; [unrolled: 1-line block ×49, first 2 shown]
	v_mov_b32_e32 v1, 0
	ds_read_b128 v[110:113], v1 offset:1104
	ds_read_b128 v[250:253], v1 offset:1120
	;; [unrolled: 1-line block ×10, first 2 shown]
	buffer_load_dword v158, off, s[0:3], 0 offset:512
	buffer_load_dword v173, off, s[0:3], 0 offset:508
	;; [unrolled: 1-line block ×69, first 2 shown]
	v_accvgpr_write_b32 a149, v254
	v_cmp_lt_u32_e32 vcc, 17, v254
	s_waitcnt vmcnt(62) lgkmcnt(9)
	v_mul_f64 v[34:35], v[110:111], v[108:109]
	v_fmac_f64_e32 v[34:35], v[112:113], v[106:107]
	v_add_f64 v[34:35], v[34:35], 0
	v_mul_f64 v[108:109], v[112:113], v[108:109]
	s_waitcnt lgkmcnt(8)
	v_mul_f64 v[36:37], v[250:251], v[116:117]
	v_fmac_f64_e32 v[36:37], v[252:253], v[114:115]
	s_waitcnt lgkmcnt(7)
	v_mul_f64 v[38:39], v[30:31], v[118:119]
	v_add_f64 v[34:35], v[34:35], v[36:37]
	s_waitcnt lgkmcnt(5)
	v_mul_f64 v[42:43], v[22:23], v[120:121]
	v_mul_f64 v[116:117], v[252:253], v[116:117]
	v_fmac_f64_e32 v[42:43], v[24:25], v[122:123]
	v_fma_f64 v[248:249], v[110:111], v[106:107], -v[108:109]
	v_mul_f64 v[40:41], v[26:27], v[124:125]
	v_fma_f64 v[250:251], v[250:251], v[114:115], -v[116:117]
	s_waitcnt lgkmcnt(3)
	v_mul_f64 v[46:47], v[14:15], v[126:127]
	v_mul_f64 v[24:25], v[24:25], v[120:121]
	v_fmac_f64_e32 v[46:47], v[16:17], v[128:129]
	v_fma_f64 v[22:23], v[22:23], v[122:123], -v[24:25]
	v_mul_f64 v[44:45], v[18:19], v[130:131]
	v_mul_f64 v[16:17], v[16:17], v[126:127]
	s_waitcnt lgkmcnt(1)
	v_mul_f64 v[50:51], v[6:7], v[132:133]
	v_fma_f64 v[14:15], v[14:15], v[128:129], -v[16:17]
	v_fmac_f64_e32 v[50:51], v[8:9], v[134:135]
	v_mul_f64 v[8:9], v[8:9], v[132:133]
	v_mul_f64 v[48:49], v[10:11], v[140:141]
	v_fma_f64 v[6:7], v[6:7], v[134:135], -v[8:9]
	s_waitcnt lgkmcnt(0)
	v_mul_f64 v[52:53], v[2:3], v[136:137]
	v_fmac_f64_e32 v[38:39], v[32:33], v[152:153]
	v_add_f64 v[34:35], v[34:35], v[38:39]
	v_fmac_f64_e32 v[40:41], v[28:29], v[150:151]
	v_add_f64 v[34:35], v[34:35], v[40:41]
	;; [unrolled: 2-line block ×3, first 2 shown]
	v_add_f64 v[34:35], v[34:35], v[44:45]
	v_fmac_f64_e32 v[48:49], v[12:13], v[146:147]
	v_add_f64 v[34:35], v[34:35], v[46:47]
	v_add_f64 v[34:35], v[34:35], v[48:49]
	v_fmac_f64_e32 v[52:53], v[4:5], v[144:145]
	v_add_f64 v[34:35], v[34:35], v[50:51]
	v_add_f64 v[42:43], v[34:35], v[52:53]
	ds_read_b128 v[38:41], v1 offset:1264
	ds_read_b128 v[34:37], v1 offset:1280
	buffer_load_dword v231, off, s[0:3], 0 offset:812
	buffer_load_dword v230, off, s[0:3], 0 offset:808
	;; [unrolled: 1-line block ×8, first 2 shown]
	ds_read_b128 v[110:113], v1 offset:1552
	ds_read_b128 v[106:109], v1 offset:1568
	s_waitcnt lgkmcnt(3)
	v_mul_f64 v[44:45], v[38:39], v[142:143]
	v_fmac_f64_e32 v[44:45], v[40:41], v[154:155]
	v_add_f64 v[46:47], v[42:43], v[44:45]
	ds_read_b128 v[42:45], v1 offset:1296
	s_waitcnt lgkmcnt(3)
	v_mul_f64 v[48:49], v[34:35], v[172:173]
	v_fmac_f64_e32 v[48:49], v[36:37], v[176:177]
	v_add_f64 v[50:51], v[46:47], v[48:49]
	;; [unrolled: 5-line block ×3, first 2 shown]
	ds_read_b128 v[50:53], v1 offset:1328
	s_waitcnt vmcnt(62) lgkmcnt(1)
	v_mul_f64 v[56:57], v[46:47], v[180:181]
	v_fmac_f64_e32 v[56:57], v[48:49], v[184:185]
	v_add_f64 v[58:59], v[54:55], v[56:57]
	ds_read_b128 v[54:57], v1 offset:1344
	s_waitcnt lgkmcnt(1)
	v_mul_f64 v[60:61], v[50:51], v[160:161]
	v_fmac_f64_e32 v[60:61], v[52:53], v[162:163]
	v_add_f64 v[62:63], v[58:59], v[60:61]
	ds_read_b128 v[58:61], v1 offset:1360
	s_waitcnt vmcnt(58) lgkmcnt(1)
	v_mul_f64 v[64:65], v[54:55], v[188:189]
	s_waitcnt vmcnt(56)
	v_fmac_f64_e32 v[64:65], v[56:57], v[192:193]
	v_add_f64 v[66:67], v[62:63], v[64:65]
	ds_read_b128 v[62:65], v1 offset:1376
	s_waitcnt lgkmcnt(1)
	v_mul_f64 v[68:69], v[58:59], v[164:165]
	v_fmac_f64_e32 v[68:69], v[60:61], v[166:167]
	v_add_f64 v[70:71], v[66:67], v[68:69]
	ds_read_b128 v[66:69], v1 offset:1392
	s_waitcnt vmcnt(50) lgkmcnt(1)
	v_mul_f64 v[72:73], v[62:63], v[196:197]
	s_waitcnt vmcnt(48)
	;; [unrolled: 11-line block ×5, first 2 shown]
	v_fmac_f64_e32 v[96:97], v[88:89], v[228:229]
	v_add_f64 v[98:99], v[94:95], v[96:97]
	ds_read_b128 v[94:97], v1 offset:1504
	s_waitcnt lgkmcnt(1)
	v_mul_f64 v[100:101], v[90:91], v[190:191]
	v_fmac_f64_e32 v[100:101], v[92:93], v[194:195]
	v_add_f64 v[204:205], v[98:99], v[100:101]
	ds_read_b128 v[98:101], v1 offset:1520
	ds_read_b128 v[102:105], v1 offset:1536
	;; [unrolled: 1-line block ×3, first 2 shown]
	buffer_load_dword v252, off, s[0:3], 0 offset:312
	buffer_load_dword v253, off, s[0:3], 0 offset:316
	s_waitcnt vmcnt(20) lgkmcnt(3)
	v_mul_f64 v[210:211], v[94:95], v[232:233]
	s_waitcnt vmcnt(18)
	v_fmac_f64_e32 v[210:211], v[96:97], v[236:237]
	v_add_f64 v[204:205], v[204:205], v[210:211]
	s_waitcnt lgkmcnt(2)
	v_mul_f64 v[210:211], v[98:99], v[198:199]
	v_fmac_f64_e32 v[210:211], v[100:101], v[202:203]
	v_add_f64 v[204:205], v[204:205], v[210:211]
	s_waitcnt vmcnt(12) lgkmcnt(1)
	v_mul_f64 v[210:211], v[102:103], v[238:239]
	s_waitcnt vmcnt(10)
	v_fmac_f64_e32 v[210:211], v[104:105], v[240:241]
	v_add_f64 v[204:205], v[204:205], v[210:211]
	v_mul_f64 v[210:211], v[110:111], v[208:209]
	v_fmac_f64_e32 v[210:211], v[112:113], v[220:221]
	v_add_f64 v[204:205], v[204:205], v[210:211]
	s_waitcnt vmcnt(4)
	v_mul_f64 v[210:211], v[106:107], v[242:243]
	v_mul_f64 v[32:33], v[32:33], v[118:119]
	s_waitcnt vmcnt(2)
	v_fmac_f64_e32 v[210:211], v[108:109], v[244:245]
	v_add_f64 v[204:205], v[204:205], v[210:211]
	s_waitcnt lgkmcnt(0)
	v_mul_f64 v[210:211], v[114:115], v[230:231]
	v_fmac_f64_e32 v[210:211], v[116:117], v[234:235]
	v_add_f64 v[246:247], v[204:205], v[210:211]
	v_add_f64 v[204:205], v[248:249], 0
	;; [unrolled: 1-line block ×3, first 2 shown]
	v_fma_f64 v[30:31], v[30:31], v[152:153], -v[32:33]
	v_mul_f64 v[28:29], v[28:29], v[124:125]
	v_add_f64 v[30:31], v[204:205], v[30:31]
	v_fma_f64 v[26:27], v[26:27], v[150:151], -v[28:29]
	v_add_f64 v[26:27], v[30:31], v[26:27]
	v_mul_f64 v[20:21], v[20:21], v[130:131]
	v_add_f64 v[22:23], v[26:27], v[22:23]
	v_fma_f64 v[18:19], v[18:19], v[148:149], -v[20:21]
	v_add_f64 v[18:19], v[22:23], v[18:19]
	v_mul_f64 v[12:13], v[12:13], v[140:141]
	v_add_f64 v[14:15], v[18:19], v[14:15]
	v_fma_f64 v[10:11], v[10:11], v[146:147], -v[12:13]
	v_add_f64 v[10:11], v[14:15], v[10:11]
	v_mul_f64 v[4:5], v[4:5], v[136:137]
	v_add_f64 v[6:7], v[10:11], v[6:7]
	v_fma_f64 v[2:3], v[2:3], v[144:145], -v[4:5]
	v_mul_f64 v[4:5], v[40:41], v[142:143]
	v_add_f64 v[2:3], v[6:7], v[2:3]
	v_fma_f64 v[4:5], v[38:39], v[154:155], -v[4:5]
	v_add_f64 v[2:3], v[2:3], v[4:5]
	v_mul_f64 v[4:5], v[36:37], v[172:173]
	v_fma_f64 v[4:5], v[34:35], v[176:177], -v[4:5]
	v_add_f64 v[2:3], v[2:3], v[4:5]
	v_mul_f64 v[4:5], v[44:45], v[156:157]
	;; [unrolled: 3-line block ×20, first 2 shown]
	v_fma_f64 v[4:5], v[114:115], v[234:235], -v[4:5]
	v_add_f64 v[2:3], v[2:3], v[4:5]
	v_add_f64 v[2:3], v[138:139], -v[2:3]
	s_waitcnt vmcnt(0)
	v_add_f64 v[4:5], v[252:253], -v[246:247]
	buffer_store_dword v3, off, s[0:3], 0 offset:308
	buffer_store_dword v2, off, s[0:3], 0 offset:304
	;; [unrolled: 1-line block ×4, first 2 shown]
	s_and_saveexec_b64 s[4:5], vcc
	s_cbranch_execz .LBB113_279
; %bb.278:
	v_accvgpr_read_b32 v0, a132
	buffer_load_dword v2, v0, s[0:3], 0 offen
	buffer_load_dword v3, v0, s[0:3], 0 offen offset:4
	buffer_load_dword v4, v0, s[0:3], 0 offen offset:8
	;; [unrolled: 1-line block ×3, first 2 shown]
	v_accvgpr_read_b32 v0, a150
	buffer_store_dword v1, off, s[0:3], 0 offset:288
	buffer_store_dword v1, off, s[0:3], 0 offset:292
	;; [unrolled: 1-line block ×4, first 2 shown]
	s_waitcnt vmcnt(4)
	ds_write_b128 v0, v[2:5]
.LBB113_279:
	s_or_b64 exec, exec, s[4:5]
	s_waitcnt lgkmcnt(0)
	; wave barrier
	s_waitcnt lgkmcnt(0)
	buffer_load_dword v112, off, s[0:3], 0 offset:304
	buffer_load_dword v113, off, s[0:3], 0 offset:308
	;; [unrolled: 1-line block ×36, first 2 shown]
	ds_read_b128 v[102:105], v1 offset:1088
	ds_read_b128 v[106:109], v1 offset:1104
	;; [unrolled: 1-line block ×9, first 2 shown]
	buffer_load_dword v143, off, s[0:3], 0 offset:476
	buffer_load_dword v142, off, s[0:3], 0 offset:472
	;; [unrolled: 1-line block ×78, first 2 shown]
	v_accvgpr_read_b32 v216, a149
	v_cmp_lt_u32_e32 vcc, 16, v216
	s_waitcnt vmcnt(62) lgkmcnt(8)
	v_mul_f64 v[26:27], v[102:103], v[246:247]
	v_fmac_f64_e32 v[26:27], v[104:105], v[112:113]
	v_add_f64 v[26:27], v[26:27], 0
	v_mul_f64 v[104:105], v[104:105], v[246:247]
	s_waitcnt lgkmcnt(7)
	v_mul_f64 v[28:29], v[106:107], v[248:249]
	v_fmac_f64_e32 v[28:29], v[108:109], v[110:111]
	s_waitcnt lgkmcnt(6)
	v_mul_f64 v[30:31], v[114:115], v[244:245]
	v_add_f64 v[26:27], v[26:27], v[28:29]
	s_waitcnt lgkmcnt(4)
	v_mul_f64 v[34:35], v[18:19], v[118:119]
	v_fma_f64 v[246:247], v[102:103], v[112:113], -v[104:105]
	v_fmac_f64_e32 v[34:35], v[20:21], v[120:121]
	v_mul_f64 v[108:109], v[108:109], v[248:249]
	v_mul_f64 v[32:33], v[22:23], v[122:123]
	v_fma_f64 v[248:249], v[106:107], v[110:111], -v[108:109]
	s_waitcnt lgkmcnt(2)
	v_mul_f64 v[38:39], v[10:11], v[124:125]
	v_mul_f64 v[20:21], v[20:21], v[118:119]
	v_fmac_f64_e32 v[38:39], v[12:13], v[126:127]
	v_fma_f64 v[18:19], v[18:19], v[120:121], -v[20:21]
	v_mul_f64 v[36:37], v[14:15], v[130:131]
	v_mul_f64 v[12:13], v[12:13], v[124:125]
	s_waitcnt lgkmcnt(1)
	v_mul_f64 v[40:41], v[6:7], v[128:129]
	v_fma_f64 v[10:11], v[10:11], v[126:127], -v[12:13]
	v_fmac_f64_e32 v[30:31], v[116:117], v[250:251]
	v_add_f64 v[26:27], v[26:27], v[30:31]
	v_fmac_f64_e32 v[32:33], v[24:25], v[138:139]
	v_add_f64 v[26:27], v[26:27], v[32:33]
	;; [unrolled: 2-line block ×3, first 2 shown]
	v_add_f64 v[26:27], v[26:27], v[36:37]
	v_fmac_f64_e32 v[40:41], v[8:9], v[134:135]
	v_add_f64 v[30:31], v[26:27], v[38:39]
	v_add_f64 v[30:31], v[30:31], v[40:41]
	s_waitcnt lgkmcnt(0)
	v_mul_f64 v[32:33], v[2:3], v[132:133]
	v_fmac_f64_e32 v[32:33], v[4:5], v[140:141]
	ds_read_b128 v[26:29], v1 offset:1232
	v_add_f64 v[34:35], v[30:31], v[32:33]
	ds_read_b128 v[30:33], v1 offset:1248
	buffer_load_dword v231, off, s[0:3], 0 offset:740
	buffer_load_dword v230, off, s[0:3], 0 offset:736
	v_mul_f64 v[116:117], v[116:117], v[244:245]
	s_waitcnt lgkmcnt(1)
	v_mul_f64 v[36:37], v[26:27], v[146:147]
	v_fmac_f64_e32 v[36:37], v[28:29], v[148:149]
	v_add_f64 v[38:39], v[34:35], v[36:37]
	ds_read_b128 v[34:37], v1 offset:1264
	s_waitcnt lgkmcnt(1)
	v_mul_f64 v[40:41], v[30:31], v[142:143]
	v_fmac_f64_e32 v[40:41], v[32:33], v[144:145]
	v_add_f64 v[42:43], v[38:39], v[40:41]
	ds_read_b128 v[38:41], v1 offset:1280
	;; [unrolled: 5-line block ×4, first 2 shown]
	buffer_load_dword v233, off, s[0:3], 0 offset:796
	buffer_load_dword v235, off, s[0:3], 0 offset:780
	;; [unrolled: 1-line block ×12, first 2 shown]
	s_waitcnt vmcnt(62) lgkmcnt(1)
	v_mul_f64 v[52:53], v[42:43], v[174:175]
	v_fmac_f64_e32 v[52:53], v[44:45], v[178:179]
	v_add_f64 v[54:55], v[50:51], v[52:53]
	ds_read_b128 v[50:53], v1 offset:1328
	s_waitcnt lgkmcnt(1)
	v_mul_f64 v[56:57], v[46:47], v[154:155]
	v_fmac_f64_e32 v[56:57], v[48:49], v[156:157]
	v_add_f64 v[58:59], v[54:55], v[56:57]
	ds_read_b128 v[54:57], v1 offset:1344
	s_waitcnt lgkmcnt(1)
	v_mul_f64 v[60:61], v[50:51], v[182:183]
	s_waitcnt vmcnt(60)
	v_fmac_f64_e32 v[60:61], v[52:53], v[186:187]
	v_add_f64 v[62:63], v[58:59], v[60:61]
	ds_read_b128 v[58:61], v1 offset:1360
	s_waitcnt lgkmcnt(1)
	v_mul_f64 v[64:65], v[54:55], v[162:163]
	v_fmac_f64_e32 v[64:65], v[56:57], v[164:165]
	v_add_f64 v[66:67], v[62:63], v[64:65]
	ds_read_b128 v[62:65], v1 offset:1376
	s_waitcnt vmcnt(54) lgkmcnt(1)
	v_mul_f64 v[68:69], v[58:59], v[190:191]
	s_waitcnt vmcnt(52)
	v_fmac_f64_e32 v[68:69], v[60:61], v[194:195]
	v_add_f64 v[70:71], v[66:67], v[68:69]
	ds_read_b128 v[66:69], v1 offset:1392
	s_waitcnt lgkmcnt(1)
	v_mul_f64 v[72:73], v[62:63], v[166:167]
	v_fmac_f64_e32 v[72:73], v[64:65], v[168:169]
	v_add_f64 v[74:75], v[70:71], v[72:73]
	ds_read_b128 v[70:73], v1 offset:1408
	s_waitcnt vmcnt(46) lgkmcnt(1)
	;; [unrolled: 11-line block ×4, first 2 shown]
	v_mul_f64 v[92:93], v[82:83], v[220:221]
	s_waitcnt vmcnt(28)
	v_fmac_f64_e32 v[92:93], v[84:85], v[222:223]
	v_add_f64 v[98:99], v[90:91], v[92:93]
	ds_read_b128 v[90:93], v1 offset:1488
	ds_read_b128 v[94:97], v1 offset:1504
	s_waitcnt lgkmcnt(2)
	v_mul_f64 v[100:101], v[86:87], v[184:185]
	v_fmac_f64_e32 v[100:101], v[88:89], v[188:189]
	v_add_f64 v[98:99], v[98:99], v[100:101]
	s_waitcnt vmcnt(22) lgkmcnt(1)
	v_mul_f64 v[100:101], v[90:91], v[224:225]
	s_waitcnt vmcnt(20)
	v_fmac_f64_e32 v[100:101], v[92:93], v[226:227]
	v_add_f64 v[98:99], v[98:99], v[100:101]
	s_waitcnt lgkmcnt(0)
	v_mul_f64 v[100:101], v[94:95], v[192:193]
	v_fmac_f64_e32 v[100:101], v[96:97], v[196:197]
	v_add_f64 v[204:205], v[98:99], v[100:101]
	ds_read_b128 v[98:101], v1 offset:1520
	ds_read_b128 v[102:105], v1 offset:1536
	;; [unrolled: 1-line block ×3, first 2 shown]
	v_fma_f64 v[250:251], v[114:115], v[250:251], -v[116:117]
	ds_read_b128 v[114:117], v1 offset:1584
	s_waitcnt vmcnt(14) lgkmcnt(3)
	v_mul_f64 v[112:113], v[98:99], v[228:229]
	s_waitcnt lgkmcnt(2)
	v_mul_f64 v[110:111], v[102:103], v[200:201]
	s_waitcnt vmcnt(12)
	v_fmac_f64_e32 v[112:113], v[100:101], v[230:231]
	v_add_f64 v[112:113], v[204:205], v[112:113]
	v_fmac_f64_e32 v[110:111], v[104:105], v[206:207]
	v_add_f64 v[204:205], v[112:113], v[110:111]
	ds_read_b128 v[110:113], v1 offset:1568
	buffer_load_dword v254, off, s[0:3], 0 offset:288
	buffer_load_dword v255, off, s[0:3], 0 offset:292
	;; [unrolled: 1-line block ×4, first 2 shown]
	v_mul_f64 v[24:25], v[24:25], v[122:123]
	v_fma_f64 v[22:23], v[22:23], v[138:139], -v[24:25]
	v_mul_f64 v[16:17], v[16:17], v[130:131]
	s_waitcnt vmcnt(13) lgkmcnt(2)
	v_mul_f64 v[210:211], v[106:107], v[234:235]
	v_fma_f64 v[14:15], v[14:15], v[136:137], -v[16:17]
	s_waitcnt vmcnt(11)
	v_fmac_f64_e32 v[210:211], v[108:109], v[240:241]
	v_add_f64 v[204:205], v[204:205], v[210:211]
	s_waitcnt vmcnt(10) lgkmcnt(0)
	v_mul_f64 v[210:211], v[110:111], v[232:233]
	s_waitcnt vmcnt(8)
	v_fmac_f64_e32 v[210:211], v[112:113], v[238:239]
	v_add_f64 v[204:205], v[204:205], v[210:211]
	s_waitcnt vmcnt(6)
	v_mul_f64 v[210:211], v[114:115], v[236:237]
	v_mul_f64 v[8:9], v[8:9], v[128:129]
	s_waitcnt vmcnt(4)
	v_fmac_f64_e32 v[210:211], v[116:117], v[242:243]
	v_add_f64 v[244:245], v[204:205], v[210:211]
	v_add_f64 v[204:205], v[246:247], 0
	;; [unrolled: 1-line block ×8, first 2 shown]
	v_fma_f64 v[6:7], v[6:7], v[134:135], -v[8:9]
	v_mul_f64 v[4:5], v[4:5], v[132:133]
	v_add_f64 v[6:7], v[10:11], v[6:7]
	v_fma_f64 v[2:3], v[2:3], v[140:141], -v[4:5]
	v_mul_f64 v[4:5], v[28:29], v[146:147]
	v_add_f64 v[2:3], v[6:7], v[2:3]
	v_fma_f64 v[4:5], v[26:27], v[148:149], -v[4:5]
	v_add_f64 v[2:3], v[2:3], v[4:5]
	v_mul_f64 v[4:5], v[32:33], v[142:143]
	v_fma_f64 v[4:5], v[30:31], v[144:145], -v[4:5]
	v_add_f64 v[2:3], v[2:3], v[4:5]
	v_mul_f64 v[4:5], v[36:37], v[158:159]
	;; [unrolled: 3-line block ×22, first 2 shown]
	v_fma_f64 v[4:5], v[114:115], v[242:243], -v[4:5]
	v_add_f64 v[2:3], v[2:3], v[4:5]
	s_waitcnt vmcnt(2)
	v_add_f64 v[2:3], v[254:255], -v[2:3]
	s_waitcnt vmcnt(0)
	v_add_f64 v[4:5], v[252:253], -v[244:245]
	buffer_store_dword v3, off, s[0:3], 0 offset:292
	buffer_store_dword v2, off, s[0:3], 0 offset:288
	;; [unrolled: 1-line block ×4, first 2 shown]
	s_and_saveexec_b64 s[4:5], vcc
	s_cbranch_execz .LBB113_281
; %bb.280:
	v_accvgpr_read_b32 v0, a133
	buffer_load_dword v2, v0, s[0:3], 0 offen
	buffer_load_dword v3, v0, s[0:3], 0 offen offset:4
	buffer_load_dword v4, v0, s[0:3], 0 offen offset:8
	;; [unrolled: 1-line block ×3, first 2 shown]
	v_mov_b32_e32 v0, 0
	v_accvgpr_read_b32 v1, a150
	buffer_store_dword v0, off, s[0:3], 0 offset:272
	buffer_store_dword v0, off, s[0:3], 0 offset:276
	;; [unrolled: 1-line block ×4, first 2 shown]
	s_waitcnt vmcnt(4)
	ds_write_b128 v1, v[2:5]
.LBB113_281:
	s_or_b64 exec, exec, s[4:5]
	s_waitcnt lgkmcnt(0)
	; wave barrier
	s_waitcnt lgkmcnt(0)
	buffer_load_dword v94, off, s[0:3], 0 offset:288
	buffer_load_dword v95, off, s[0:3], 0 offset:292
	;; [unrolled: 1-line block ×52, first 2 shown]
	v_mov_b32_e32 v1, 0
	ds_read_b128 v[102:105], v1 offset:1072
	ds_read_b128 v[114:117], v1 offset:1088
	;; [unrolled: 1-line block ×10, first 2 shown]
	v_cmp_lt_u32_e32 vcc, 15, v216
	s_waitcnt vmcnt(48) lgkmcnt(9)
	v_mul_f64 v[26:27], v[102:103], v[96:97]
	v_fmac_f64_e32 v[26:27], v[104:105], v[94:95]
	v_add_f64 v[26:27], v[26:27], 0
	v_mul_f64 v[96:97], v[104:105], v[96:97]
	s_waitcnt vmcnt(44) lgkmcnt(8)
	v_mul_f64 v[28:29], v[114:115], v[100:101]
	v_fmac_f64_e32 v[28:29], v[116:117], v[98:99]
	s_waitcnt vmcnt(42) lgkmcnt(7)
	v_mul_f64 v[30:31], v[244:245], v[106:107]
	v_add_f64 v[26:27], v[26:27], v[28:29]
	s_waitcnt vmcnt(40) lgkmcnt(5)
	v_mul_f64 v[34:35], v[22:23], v[120:121]
	v_fma_f64 v[210:211], v[102:103], v[94:95], -v[96:97]
	s_waitcnt vmcnt(38)
	v_fmac_f64_e32 v[34:35], v[24:25], v[124:125]
	v_mul_f64 v[100:101], v[116:117], v[100:101]
	s_waitcnt vmcnt(36)
	v_mul_f64 v[32:33], v[250:251], v[110:111]
	v_fma_f64 v[212:213], v[114:115], v[98:99], -v[100:101]
	s_waitcnt vmcnt(34) lgkmcnt(3)
	v_mul_f64 v[38:39], v[14:15], v[118:119]
	v_mul_f64 v[106:107], v[246:247], v[106:107]
	s_waitcnt vmcnt(32)
	v_fmac_f64_e32 v[38:39], v[16:17], v[122:123]
	v_mul_f64 v[110:111], v[252:253], v[110:111]
	s_waitcnt vmcnt(30)
	v_mul_f64 v[36:37], v[18:19], v[130:131]
	v_mul_f64 v[24:25], v[24:25], v[120:121]
	v_fma_f64 v[22:23], v[22:23], v[124:125], -v[24:25]
	s_waitcnt vmcnt(27) lgkmcnt(2)
	v_mul_f64 v[40:41], v[10:11], v[128:129]
	s_waitcnt vmcnt(26) lgkmcnt(1)
	v_mul_f64 v[42:43], v[6:7], v[126:127]
	v_mul_f64 v[16:17], v[16:17], v[118:119]
	s_waitcnt vmcnt(24)
	v_fmac_f64_e32 v[30:31], v[246:247], v[108:109]
	v_add_f64 v[26:27], v[26:27], v[30:31]
	s_waitcnt vmcnt(22)
	v_fmac_f64_e32 v[32:33], v[252:253], v[112:113]
	v_add_f64 v[26:27], v[26:27], v[32:33]
	;; [unrolled: 3-line block ×3, first 2 shown]
	v_add_f64 v[26:27], v[26:27], v[36:37]
	s_waitcnt vmcnt(18)
	v_fmac_f64_e32 v[40:41], v[12:13], v[132:133]
	v_add_f64 v[26:27], v[26:27], v[38:39]
	v_add_f64 v[26:27], v[26:27], v[40:41]
	s_waitcnt vmcnt(16)
	v_fmac_f64_e32 v[42:43], v[8:9], v[138:139]
	v_add_f64 v[34:35], v[26:27], v[42:43]
	ds_read_b128 v[26:29], v1 offset:1232
	ds_read_b128 v[30:33], v1 offset:1248
	buffer_load_dword v155, off, s[0:3], 0 offset:524
	buffer_load_dword v154, off, s[0:3], 0 offset:520
	;; [unrolled: 1-line block ×56, first 2 shown]
	s_waitcnt vmcnt(62) lgkmcnt(2)
	v_mul_f64 v[36:37], v[2:3], v[142:143]
	v_fmac_f64_e32 v[36:37], v[4:5], v[144:145]
	v_add_f64 v[34:35], v[34:35], v[36:37]
	s_waitcnt lgkmcnt(1)
	v_mul_f64 v[36:37], v[26:27], v[136:137]
	v_fmac_f64_e32 v[36:37], v[28:29], v[140:141]
	v_add_f64 v[34:35], v[34:35], v[36:37]
	s_waitcnt lgkmcnt(0)
	v_mul_f64 v[36:37], v[30:31], v[146:147]
	s_waitcnt vmcnt(60)
	v_fmac_f64_e32 v[36:37], v[32:33], v[150:151]
	v_add_f64 v[42:43], v[34:35], v[36:37]
	ds_read_b128 v[34:37], v1 offset:1264
	buffer_load_dword v199, off, s[0:3], 0 offset:748
	buffer_load_dword v198, off, s[0:3], 0 offset:744
	;; [unrolled: 1-line block ×16, first 2 shown]
	ds_read_b128 v[38:41], v1 offset:1280
	buffer_load_dword v231, off, s[0:3], 0 offset:812
	buffer_load_dword v230, off, s[0:3], 0 offset:808
	;; [unrolled: 1-line block ×8, first 2 shown]
	ds_read_b128 v[98:101], v1 offset:1520
	s_waitcnt vmcnt(62) lgkmcnt(2)
	v_mul_f64 v[44:45], v[34:35], v[148:149]
	v_fmac_f64_e32 v[44:45], v[36:37], v[152:153]
	v_add_f64 v[46:47], v[42:43], v[44:45]
	ds_read_b128 v[42:45], v1 offset:1296
	v_fma_f64 v[248:249], v[244:245], v[108:109], -v[106:107]
	ds_read_b128 v[106:109], v1 offset:1552
	v_fma_f64 v[246:247], v[250:251], v[112:113], -v[110:111]
	v_mul_f64 v[20:21], v[20:21], v[130:131]
	v_fma_f64 v[18:19], v[18:19], v[134:135], -v[20:21]
	v_fma_f64 v[14:15], v[14:15], v[122:123], -v[16:17]
	v_mul_f64 v[12:13], v[12:13], v[128:129]
	v_fma_f64 v[10:11], v[10:11], v[132:133], -v[12:13]
	v_mul_f64 v[8:9], v[8:9], v[126:127]
	;; [unrolled: 2-line block ×3, first 2 shown]
	s_waitcnt lgkmcnt(3)
	v_mul_f64 v[48:49], v[38:39], v[170:171]
	v_fma_f64 v[2:3], v[2:3], v[144:145], -v[4:5]
	v_fmac_f64_e32 v[48:49], v[40:41], v[174:175]
	v_add_f64 v[50:51], v[46:47], v[48:49]
	ds_read_b128 v[46:49], v1 offset:1312
	s_waitcnt lgkmcnt(2)
	v_mul_f64 v[52:53], v[42:43], v[154:155]
	v_fmac_f64_e32 v[52:53], v[44:45], v[156:157]
	v_add_f64 v[54:55], v[50:51], v[52:53]
	ds_read_b128 v[50:53], v1 offset:1328
	s_waitcnt lgkmcnt(1)
	v_mul_f64 v[56:57], v[46:47], v[178:179]
	;; [unrolled: 5-line block ×3, first 2 shown]
	v_fmac_f64_e32 v[60:61], v[52:53], v[160:161]
	v_add_f64 v[62:63], v[58:59], v[60:61]
	ds_read_b128 v[58:61], v1 offset:1360
	s_waitcnt vmcnt(58) lgkmcnt(1)
	v_mul_f64 v[64:65], v[54:55], v[186:187]
	s_waitcnt vmcnt(56)
	v_fmac_f64_e32 v[64:65], v[56:57], v[190:191]
	v_add_f64 v[66:67], v[62:63], v[64:65]
	ds_read_b128 v[62:65], v1 offset:1376
	s_waitcnt lgkmcnt(1)
	v_mul_f64 v[68:69], v[58:59], v[162:163]
	v_fmac_f64_e32 v[68:69], v[60:61], v[164:165]
	v_add_f64 v[70:71], v[66:67], v[68:69]
	ds_read_b128 v[66:69], v1 offset:1392
	s_waitcnt vmcnt(50) lgkmcnt(1)
	v_mul_f64 v[72:73], v[62:63], v[194:195]
	s_waitcnt vmcnt(48)
	v_fmac_f64_e32 v[72:73], v[64:65], v[196:197]
	v_add_f64 v[74:75], v[70:71], v[72:73]
	ds_read_b128 v[70:73], v1 offset:1408
	s_waitcnt lgkmcnt(1)
	v_mul_f64 v[76:77], v[66:67], v[166:167]
	;; [unrolled: 11-line block ×3, first 2 shown]
	v_fmac_f64_e32 v[84:85], v[76:77], v[176:177]
	v_add_f64 v[90:91], v[82:83], v[84:85]
	ds_read_b128 v[82:85], v1 offset:1456
	ds_read_b128 v[86:89], v1 offset:1472
	s_waitcnt vmcnt(34) lgkmcnt(2)
	v_mul_f64 v[92:93], v[78:79], v[218:219]
	s_waitcnt vmcnt(32)
	v_fmac_f64_e32 v[92:93], v[80:81], v[224:225]
	v_add_f64 v[90:91], v[90:91], v[92:93]
	s_waitcnt lgkmcnt(1)
	v_mul_f64 v[92:93], v[82:83], v[180:181]
	v_fmac_f64_e32 v[92:93], v[84:85], v[184:185]
	v_add_f64 v[90:91], v[90:91], v[92:93]
	s_waitcnt vmcnt(27) lgkmcnt(0)
	v_mul_f64 v[92:93], v[86:87], v[222:223]
	s_waitcnt vmcnt(25)
	v_fmac_f64_e32 v[92:93], v[88:89], v[226:227]
	v_add_f64 v[204:205], v[90:91], v[92:93]
	ds_read_b128 v[90:93], v1 offset:1488
	ds_read_b128 v[94:97], v1 offset:1504
	ds_read_b128 v[110:113], v1 offset:1568
	v_mul_f64 v[4:5], v[28:29], v[136:137]
	v_fma_f64 v[4:5], v[26:27], v[140:141], -v[4:5]
	s_waitcnt lgkmcnt(2)
	v_mul_f64 v[102:103], v[90:91], v[188:189]
	s_waitcnt vmcnt(24)
	v_fmac_f64_e32 v[102:103], v[92:93], v[192:193]
	s_waitcnt vmcnt(18) lgkmcnt(1)
	v_mul_f64 v[104:105], v[94:95], v[228:229]
	v_add_f64 v[102:103], v[204:205], v[102:103]
	s_waitcnt vmcnt(16)
	v_fmac_f64_e32 v[104:105], v[96:97], v[232:233]
	v_add_f64 v[102:103], v[102:103], v[104:105]
	v_mul_f64 v[104:105], v[98:99], v[198:199]
	v_fmac_f64_e32 v[104:105], v[100:101], v[202:203]
	v_add_f64 v[114:115], v[102:103], v[104:105]
	ds_read_b128 v[102:105], v1 offset:1536
	s_waitcnt vmcnt(10) lgkmcnt(0)
	v_mul_f64 v[116:117], v[102:103], v[236:237]
	s_waitcnt vmcnt(8)
	v_fmac_f64_e32 v[116:117], v[104:105], v[238:239]
	v_add_f64 v[114:115], v[114:115], v[116:117]
	v_mul_f64 v[116:117], v[106:107], v[208:209]
	v_fmac_f64_e32 v[116:117], v[108:109], v[220:221]
	v_add_f64 v[114:115], v[114:115], v[116:117]
	s_waitcnt vmcnt(2)
	v_mul_f64 v[116:117], v[110:111], v[240:241]
	s_waitcnt vmcnt(0)
	v_fmac_f64_e32 v[116:117], v[112:113], v[242:243]
	v_add_f64 v[204:205], v[114:115], v[116:117]
	ds_read_b128 v[114:117], v1 offset:1584
	buffer_load_dword v252, off, s[0:3], 0 offset:272
	buffer_load_dword v253, off, s[0:3], 0 offset:276
	s_waitcnt lgkmcnt(0)
	v_mul_f64 v[214:215], v[114:115], v[230:231]
	v_fmac_f64_e32 v[214:215], v[116:117], v[234:235]
	v_add_f64 v[244:245], v[204:205], v[214:215]
	v_add_f64 v[204:205], v[210:211], 0
	;; [unrolled: 1-line block ×4, first 2 shown]
	buffer_load_dword v248, off, s[0:3], 0 offset:280
	buffer_load_dword v249, off, s[0:3], 0 offset:284
	v_add_f64 v[204:205], v[204:205], v[246:247]
	v_add_f64 v[22:23], v[204:205], v[22:23]
	v_add_f64 v[18:19], v[22:23], v[18:19]
	v_add_f64 v[14:15], v[18:19], v[14:15]
	v_add_f64 v[10:11], v[14:15], v[10:11]
	v_add_f64 v[6:7], v[10:11], v[6:7]
	v_add_f64 v[2:3], v[6:7], v[2:3]
	v_add_f64 v[2:3], v[2:3], v[4:5]
	v_mul_f64 v[4:5], v[32:33], v[146:147]
	v_fma_f64 v[4:5], v[30:31], v[150:151], -v[4:5]
	v_add_f64 v[2:3], v[2:3], v[4:5]
	v_mul_f64 v[4:5], v[36:37], v[148:149]
	v_fma_f64 v[4:5], v[34:35], v[152:153], -v[4:5]
	v_add_f64 v[2:3], v[2:3], v[4:5]
	;; [unrolled: 3-line block ×22, first 2 shown]
	s_waitcnt vmcnt(2)
	v_add_f64 v[2:3], v[252:253], -v[2:3]
	s_waitcnt vmcnt(0)
	v_add_f64 v[4:5], v[248:249], -v[244:245]
	buffer_store_dword v3, off, s[0:3], 0 offset:276
	buffer_store_dword v2, off, s[0:3], 0 offset:272
	;; [unrolled: 1-line block ×4, first 2 shown]
	s_and_saveexec_b64 s[4:5], vcc
	s_cbranch_execz .LBB113_283
; %bb.282:
	v_accvgpr_read_b32 v0, a134
	buffer_load_dword v2, v0, s[0:3], 0 offen
	buffer_load_dword v3, v0, s[0:3], 0 offen offset:4
	buffer_load_dword v4, v0, s[0:3], 0 offen offset:8
	;; [unrolled: 1-line block ×3, first 2 shown]
	v_accvgpr_read_b32 v0, a150
	buffer_store_dword v1, off, s[0:3], 0 offset:256
	buffer_store_dword v1, off, s[0:3], 0 offset:260
	;; [unrolled: 1-line block ×4, first 2 shown]
	s_waitcnt vmcnt(4)
	ds_write_b128 v0, v[2:5]
.LBB113_283:
	s_or_b64 exec, exec, s[4:5]
	s_waitcnt lgkmcnt(0)
	; wave barrier
	s_waitcnt lgkmcnt(0)
	buffer_load_dword v86, off, s[0:3], 0 offset:272
	buffer_load_dword v87, off, s[0:3], 0 offset:276
	;; [unrolled: 1-line block ×42, first 2 shown]
	ds_read_b128 v[94:97], v1 offset:1056
	ds_read_b128 v[106:109], v1 offset:1072
	;; [unrolled: 1-line block ×10, first 2 shown]
	buffer_load_dword v145, off, s[0:3], 0 offset:420
	buffer_load_dword v144, off, s[0:3], 0 offset:416
	ds_read_b128 v[6:9], v1 offset:1216
	buffer_load_dword v141, off, s[0:3], 0 offset:476
	buffer_load_dword v140, off, s[0:3], 0 offset:472
	buffer_load_dword v143, off, s[0:3], 0 offset:468
	buffer_load_dword v142, off, s[0:3], 0 offset:464
	buffer_load_dword v147, off, s[0:3], 0 offset:460
	buffer_load_dword v146, off, s[0:3], 0 offset:456
	buffer_load_dword v163, off, s[0:3], 0 offset:452
	buffer_load_dword v162, off, s[0:3], 0 offset:448
	buffer_load_dword v149, off, s[0:3], 0 offset:508
	buffer_load_dword v148, off, s[0:3], 0 offset:504
	buffer_load_dword v151, off, s[0:3], 0 offset:500
	buffer_load_dword v150, off, s[0:3], 0 offset:496
	buffer_load_dword v167, off, s[0:3], 0 offset:492
	buffer_load_dword v166, off, s[0:3], 0 offset:488
	buffer_load_dword v171, off, s[0:3], 0 offset:484
	buffer_load_dword v170, off, s[0:3], 0 offset:480
	buffer_load_dword v153, off, s[0:3], 0 offset:540
	buffer_load_dword v152, off, s[0:3], 0 offset:536
	buffer_load_dword v155, off, s[0:3], 0 offset:532
	buffer_load_dword v154, off, s[0:3], 0 offset:528
	buffer_load_dword v175, off, s[0:3], 0 offset:524
	buffer_load_dword v174, off, s[0:3], 0 offset:520
	buffer_load_dword v179, off, s[0:3], 0 offset:516
	buffer_load_dword v178, off, s[0:3], 0 offset:512
	buffer_load_dword v157, off, s[0:3], 0 offset:572
	buffer_load_dword v156, off, s[0:3], 0 offset:568
	buffer_load_dword v159, off, s[0:3], 0 offset:564
	buffer_load_dword v158, off, s[0:3], 0 offset:560
	buffer_load_dword v183, off, s[0:3], 0 offset:556
	buffer_load_dword v182, off, s[0:3], 0 offset:552
	buffer_load_dword v187, off, s[0:3], 0 offset:548
	buffer_load_dword v186, off, s[0:3], 0 offset:544
	buffer_load_dword v161, off, s[0:3], 0 offset:604
	buffer_load_dword v160, off, s[0:3], 0 offset:600
	buffer_load_dword v165, off, s[0:3], 0 offset:596
	buffer_load_dword v164, off, s[0:3], 0 offset:592
	buffer_load_dword v191, off, s[0:3], 0 offset:588
	buffer_load_dword v190, off, s[0:3], 0 offset:584
	buffer_load_dword v195, off, s[0:3], 0 offset:580
	buffer_load_dword v194, off, s[0:3], 0 offset:576
	buffer_load_dword v169, off, s[0:3], 0 offset:636
	buffer_load_dword v168, off, s[0:3], 0 offset:632
	buffer_load_dword v173, off, s[0:3], 0 offset:628
	buffer_load_dword v172, off, s[0:3], 0 offset:624
	buffer_load_dword v199, off, s[0:3], 0 offset:620
	buffer_load_dword v198, off, s[0:3], 0 offset:616
	buffer_load_dword v203, off, s[0:3], 0 offset:612
	buffer_load_dword v202, off, s[0:3], 0 offset:608
	buffer_load_dword v177, off, s[0:3], 0 offset:668
	buffer_load_dword v176, off, s[0:3], 0 offset:664
	buffer_load_dword v181, off, s[0:3], 0 offset:660
	buffer_load_dword v180, off, s[0:3], 0 offset:656
	buffer_load_dword v209, off, s[0:3], 0 offset:652
	buffer_load_dword v208, off, s[0:3], 0 offset:648
	buffer_load_dword v219, off, s[0:3], 0 offset:644
	buffer_load_dword v218, off, s[0:3], 0 offset:640
	buffer_load_dword v185, off, s[0:3], 0 offset:700
	buffer_load_dword v184, off, s[0:3], 0 offset:696
	buffer_load_dword v189, off, s[0:3], 0 offset:692
	buffer_load_dword v188, off, s[0:3], 0 offset:688
	buffer_load_dword v221, off, s[0:3], 0 offset:684
	buffer_load_dword v220, off, s[0:3], 0 offset:680
	buffer_load_dword v223, off, s[0:3], 0 offset:676
	buffer_load_dword v222, off, s[0:3], 0 offset:672
	buffer_load_dword v193, off, s[0:3], 0 offset:732
	buffer_load_dword v192, off, s[0:3], 0 offset:728
	buffer_load_dword v197, off, s[0:3], 0 offset:724
	buffer_load_dword v196, off, s[0:3], 0 offset:720
	buffer_load_dword v225, off, s[0:3], 0 offset:716
	buffer_load_dword v224, off, s[0:3], 0 offset:712
	buffer_load_dword v227, off, s[0:3], 0 offset:708
	buffer_load_dword v226, off, s[0:3], 0 offset:704
	buffer_load_dword v201, off, s[0:3], 0 offset:764
	buffer_load_dword v200, off, s[0:3], 0 offset:760
	buffer_load_dword v207, off, s[0:3], 0 offset:756
	buffer_load_dword v206, off, s[0:3], 0 offset:752
	buffer_load_dword v229, off, s[0:3], 0 offset:748
	buffer_load_dword v228, off, s[0:3], 0 offset:744
	buffer_load_dword v231, off, s[0:3], 0 offset:740
	buffer_load_dword v230, off, s[0:3], 0 offset:736
	s_waitcnt vmcnt(62) lgkmcnt(10)
	v_mul_f64 v[26:27], v[94:95], v[88:89]
	v_fmac_f64_e32 v[26:27], v[96:97], v[86:87]
	v_add_f64 v[26:27], v[26:27], 0
	v_mul_f64 v[88:89], v[96:97], v[88:89]
	s_waitcnt lgkmcnt(9)
	v_mul_f64 v[28:29], v[106:107], v[92:93]
	v_fmac_f64_e32 v[28:29], v[108:109], v[90:91]
	s_waitcnt lgkmcnt(8)
	v_mul_f64 v[30:31], v[114:115], v[98:99]
	v_add_f64 v[26:27], v[26:27], v[28:29]
	s_waitcnt lgkmcnt(6)
	v_mul_f64 v[34:35], v[248:249], v[110:111]
	v_fma_f64 v[210:211], v[94:95], v[86:87], -v[88:89]
	v_fmac_f64_e32 v[34:35], v[250:251], v[112:113]
	v_mul_f64 v[92:93], v[108:109], v[92:93]
	v_mul_f64 v[32:33], v[244:245], v[102:103]
	;; [unrolled: 1-line block ×3, first 2 shown]
	s_waitcnt lgkmcnt(4)
	v_mul_f64 v[38:39], v[18:19], v[118:119]
	v_mul_f64 v[102:103], v[246:247], v[102:103]
	v_fmac_f64_e32 v[38:39], v[20:21], v[120:121]
	v_mul_f64 v[110:111], v[250:251], v[110:111]
	v_mul_f64 v[36:37], v[22:23], v[122:123]
	v_fma_f64 v[248:249], v[248:249], v[112:113], -v[110:111]
	s_waitcnt lgkmcnt(2)
	v_mul_f64 v[42:43], v[10:11], v[124:125]
	v_add_f64 v[210:211], v[210:211], 0
	v_mul_f64 v[20:21], v[20:21], v[118:119]
	v_mul_f64 v[40:41], v[14:15], v[130:131]
	v_fma_f64 v[18:19], v[18:19], v[120:121], -v[20:21]
	s_waitcnt lgkmcnt(1)
	v_mul_f64 v[44:45], v[2:3], v[128:129]
	v_fmac_f64_e32 v[30:31], v[116:117], v[100:101]
	v_add_f64 v[26:27], v[26:27], v[30:31]
	v_fmac_f64_e32 v[32:33], v[246:247], v[104:105]
	v_add_f64 v[26:27], v[26:27], v[32:33]
	;; [unrolled: 2-line block ×3, first 2 shown]
	v_add_f64 v[26:27], v[26:27], v[36:37]
	v_fmac_f64_e32 v[40:41], v[16:17], v[132:133]
	v_add_f64 v[26:27], v[26:27], v[38:39]
	v_fmac_f64_e32 v[42:43], v[12:13], v[126:127]
	v_add_f64 v[26:27], v[26:27], v[40:41]
	v_add_f64 v[26:27], v[26:27], v[42:43]
	s_waitcnt lgkmcnt(0)
	v_mul_f64 v[32:33], v[6:7], v[136:137]
	v_fmac_f64_e32 v[44:45], v[4:5], v[144:145]
	v_add_f64 v[30:31], v[26:27], v[44:45]
	ds_read_b128 v[26:29], v1 offset:1232
	v_fmac_f64_e32 v[32:33], v[8:9], v[138:139]
	v_add_f64 v[34:35], v[30:31], v[32:33]
	ds_read_b128 v[30:33], v1 offset:1248
	v_fma_f64 v[212:213], v[114:115], v[100:101], -v[98:99]
	s_waitcnt lgkmcnt(1)
	v_mul_f64 v[36:37], v[26:27], v[146:147]
	v_fmac_f64_e32 v[36:37], v[28:29], v[162:163]
	v_add_f64 v[38:39], v[34:35], v[36:37]
	ds_read_b128 v[34:37], v1 offset:1264
	s_waitcnt lgkmcnt(1)
	v_mul_f64 v[40:41], v[30:31], v[140:141]
	v_fmac_f64_e32 v[40:41], v[32:33], v[142:143]
	v_add_f64 v[42:43], v[38:39], v[40:41]
	ds_read_b128 v[38:41], v1 offset:1280
	;; [unrolled: 5-line block ×4, first 2 shown]
	s_waitcnt vmcnt(58) lgkmcnt(1)
	v_mul_f64 v[52:53], v[42:43], v[174:175]
	s_waitcnt vmcnt(56)
	v_fmac_f64_e32 v[52:53], v[44:45], v[178:179]
	v_add_f64 v[54:55], v[50:51], v[52:53]
	ds_read_b128 v[50:53], v1 offset:1328
	buffer_load_dword v232, off, s[0:3], 0 offset:792
	buffer_load_dword v237, off, s[0:3], 0 offset:780
	;; [unrolled: 1-line block ×8, first 2 shown]
	s_waitcnt lgkmcnt(1)
	v_mul_f64 v[56:57], v[46:47], v[152:153]
	v_fmac_f64_e32 v[56:57], v[48:49], v[154:155]
	v_add_f64 v[58:59], v[54:55], v[56:57]
	ds_read_b128 v[54:57], v1 offset:1344
	s_waitcnt vmcnt(58) lgkmcnt(1)
	v_mul_f64 v[60:61], v[50:51], v[182:183]
	s_waitcnt vmcnt(56)
	v_fmac_f64_e32 v[60:61], v[52:53], v[186:187]
	buffer_load_dword v241, off, s[0:3], 0 offset:812
	buffer_load_dword v240, off, s[0:3], 0 offset:808
	;; [unrolled: 1-line block ×4, first 2 shown]
	v_add_f64 v[62:63], v[58:59], v[60:61]
	ds_read_b128 v[58:61], v1 offset:1360
	s_waitcnt lgkmcnt(1)
	v_mul_f64 v[64:65], v[54:55], v[156:157]
	v_fmac_f64_e32 v[64:65], v[56:57], v[158:159]
	v_add_f64 v[66:67], v[62:63], v[64:65]
	ds_read_b128 v[62:65], v1 offset:1376
	s_waitcnt vmcnt(54) lgkmcnt(1)
	v_mul_f64 v[68:69], v[58:59], v[190:191]
	s_waitcnt vmcnt(52)
	v_fmac_f64_e32 v[68:69], v[60:61], v[194:195]
	v_add_f64 v[70:71], v[66:67], v[68:69]
	ds_read_b128 v[66:69], v1 offset:1392
	s_waitcnt lgkmcnt(1)
	v_mul_f64 v[72:73], v[62:63], v[160:161]
	v_fmac_f64_e32 v[72:73], v[64:65], v[164:165]
	v_add_f64 v[74:75], v[70:71], v[72:73]
	ds_read_b128 v[70:73], v1 offset:1408
	s_waitcnt vmcnt(46) lgkmcnt(1)
	v_mul_f64 v[76:77], v[66:67], v[198:199]
	s_waitcnt vmcnt(44)
	v_fmac_f64_e32 v[76:77], v[68:69], v[202:203]
	v_add_f64 v[82:83], v[74:75], v[76:77]
	ds_read_b128 v[74:77], v1 offset:1424
	ds_read_b128 v[78:81], v1 offset:1440
	s_waitcnt lgkmcnt(2)
	v_mul_f64 v[84:85], v[70:71], v[168:169]
	v_fmac_f64_e32 v[84:85], v[72:73], v[172:173]
	v_add_f64 v[82:83], v[82:83], v[84:85]
	s_waitcnt vmcnt(38) lgkmcnt(1)
	v_mul_f64 v[84:85], v[74:75], v[208:209]
	s_waitcnt vmcnt(36)
	v_fmac_f64_e32 v[84:85], v[76:77], v[218:219]
	v_add_f64 v[82:83], v[82:83], v[84:85]
	s_waitcnt lgkmcnt(0)
	v_mul_f64 v[84:85], v[78:79], v[176:177]
	v_fmac_f64_e32 v[84:85], v[80:81], v[180:181]
	v_add_f64 v[204:205], v[82:83], v[84:85]
	ds_read_b128 v[82:85], v1 offset:1456
	ds_read_b128 v[86:89], v1 offset:1472
	ds_read_b128 v[98:101], v1 offset:1520
	v_fma_f64 v[246:247], v[244:245], v[104:105], -v[102:103]
	ds_read_b128 v[102:105], v1 offset:1552
	ds_read_b128 v[110:113], v1 offset:1568
	s_waitcnt vmcnt(30) lgkmcnt(4)
	v_mul_f64 v[94:95], v[82:83], v[220:221]
	s_waitcnt vmcnt(28)
	v_fmac_f64_e32 v[94:95], v[84:85], v[222:223]
	v_add_f64 v[94:95], v[204:205], v[94:95]
	v_fma_f64 v[204:205], v[106:107], v[90:91], -v[92:93]
	ds_read_b128 v[90:93], v1 offset:1488
	s_waitcnt lgkmcnt(4)
	v_mul_f64 v[96:97], v[86:87], v[184:185]
	v_fmac_f64_e32 v[96:97], v[88:89], v[188:189]
	v_add_f64 v[106:107], v[94:95], v[96:97]
	ds_read_b128 v[94:97], v1 offset:1504
	s_waitcnt vmcnt(22) lgkmcnt(1)
	v_mul_f64 v[108:109], v[90:91], v[224:225]
	s_waitcnt vmcnt(20)
	v_fmac_f64_e32 v[108:109], v[92:93], v[226:227]
	v_add_f64 v[106:107], v[106:107], v[108:109]
	v_add_f64 v[204:205], v[210:211], v[204:205]
	s_waitcnt lgkmcnt(0)
	v_mul_f64 v[108:109], v[94:95], v[192:193]
	v_fmac_f64_e32 v[108:109], v[96:97], v[196:197]
	v_add_f64 v[114:115], v[106:107], v[108:109]
	ds_read_b128 v[106:109], v1 offset:1536
	s_waitcnt vmcnt(14)
	v_mul_f64 v[116:117], v[98:99], v[228:229]
	s_waitcnt vmcnt(12)
	v_fmac_f64_e32 v[116:117], v[100:101], v[230:231]
	v_add_f64 v[114:115], v[114:115], v[116:117]
	v_add_f64 v[250:251], v[204:205], v[212:213]
	s_waitcnt lgkmcnt(0)
	v_mul_f64 v[116:117], v[106:107], v[200:201]
	v_fmac_f64_e32 v[116:117], v[108:109], v[206:207]
	v_add_f64 v[114:115], v[114:115], v[116:117]
	v_add_f64 v[204:205], v[250:251], v[246:247]
	v_mul_f64 v[24:25], v[24:25], v[122:123]
	v_add_f64 v[204:205], v[204:205], v[248:249]
	v_fma_f64 v[22:23], v[22:23], v[134:135], -v[24:25]
	v_add_f64 v[22:23], v[204:205], v[22:23]
	v_mul_f64 v[16:17], v[16:17], v[130:131]
	v_add_f64 v[18:19], v[22:23], v[18:19]
	v_fma_f64 v[14:15], v[14:15], v[132:133], -v[16:17]
	v_mul_f64 v[12:13], v[12:13], v[124:125]
	s_waitcnt vmcnt(9)
	v_mul_f64 v[116:117], v[102:103], v[236:237]
	v_add_f64 v[14:15], v[18:19], v[14:15]
	s_waitcnt vmcnt(7)
	v_fmac_f64_e32 v[116:117], v[104:105], v[238:239]
	v_add_f64 v[114:115], v[114:115], v[116:117]
	s_waitcnt vmcnt(5)
	v_mul_f64 v[116:117], v[110:111], v[232:233]
	s_waitcnt vmcnt(4)
	v_fmac_f64_e32 v[116:117], v[112:113], v[234:235]
	v_add_f64 v[214:215], v[114:115], v[116:117]
	ds_read_b128 v[114:117], v1 offset:1584
	buffer_load_dword v254, off, s[0:3], 0 offset:256
	buffer_load_dword v255, off, s[0:3], 0 offset:260
	;; [unrolled: 1-line block ×4, first 2 shown]
	v_fma_f64 v[10:11], v[10:11], v[126:127], -v[12:13]
	v_mul_f64 v[4:5], v[4:5], v[128:129]
	v_add_f64 v[10:11], v[14:15], v[10:11]
	v_fma_f64 v[2:3], v[2:3], v[144:145], -v[4:5]
	v_mul_f64 v[4:5], v[8:9], v[136:137]
	v_add_f64 v[2:3], v[10:11], v[2:3]
	v_fma_f64 v[4:5], v[6:7], v[138:139], -v[4:5]
	v_add_f64 v[2:3], v[2:3], v[4:5]
	v_mul_f64 v[4:5], v[28:29], v[146:147]
	v_fma_f64 v[4:5], v[26:27], v[162:163], -v[4:5]
	v_add_f64 v[2:3], v[2:3], v[4:5]
	v_mul_f64 v[4:5], v[32:33], v[140:141]
	v_fma_f64 v[4:5], v[30:31], v[142:143], -v[4:5]
	v_add_f64 v[2:3], v[2:3], v[4:5]
	v_mul_f64 v[4:5], v[36:37], v[166:167]
	v_fma_f64 v[4:5], v[34:35], v[170:171], -v[4:5]
	v_add_f64 v[2:3], v[2:3], v[4:5]
	v_mul_f64 v[4:5], v[40:41], v[148:149]
	v_fma_f64 v[4:5], v[38:39], v[150:151], -v[4:5]
	v_add_f64 v[2:3], v[2:3], v[4:5]
	v_mul_f64 v[4:5], v[44:45], v[174:175]
	v_fma_f64 v[4:5], v[42:43], v[178:179], -v[4:5]
	v_add_f64 v[2:3], v[2:3], v[4:5]
	v_mul_f64 v[4:5], v[48:49], v[152:153]
	v_fma_f64 v[4:5], v[46:47], v[154:155], -v[4:5]
	v_add_f64 v[2:3], v[2:3], v[4:5]
	v_mul_f64 v[4:5], v[52:53], v[182:183]
	v_fma_f64 v[4:5], v[50:51], v[186:187], -v[4:5]
	v_add_f64 v[2:3], v[2:3], v[4:5]
	v_mul_f64 v[4:5], v[56:57], v[156:157]
	v_fma_f64 v[4:5], v[54:55], v[158:159], -v[4:5]
	v_add_f64 v[2:3], v[2:3], v[4:5]
	v_mul_f64 v[4:5], v[60:61], v[190:191]
	v_fma_f64 v[4:5], v[58:59], v[194:195], -v[4:5]
	v_add_f64 v[2:3], v[2:3], v[4:5]
	v_mul_f64 v[4:5], v[64:65], v[160:161]
	v_fma_f64 v[4:5], v[62:63], v[164:165], -v[4:5]
	v_add_f64 v[2:3], v[2:3], v[4:5]
	v_mul_f64 v[4:5], v[68:69], v[198:199]
	v_fma_f64 v[4:5], v[66:67], v[202:203], -v[4:5]
	v_add_f64 v[2:3], v[2:3], v[4:5]
	v_mul_f64 v[4:5], v[72:73], v[168:169]
	v_fma_f64 v[4:5], v[70:71], v[172:173], -v[4:5]
	v_add_f64 v[2:3], v[2:3], v[4:5]
	v_mul_f64 v[4:5], v[76:77], v[208:209]
	v_fma_f64 v[4:5], v[74:75], v[218:219], -v[4:5]
	v_add_f64 v[2:3], v[2:3], v[4:5]
	v_mul_f64 v[4:5], v[80:81], v[176:177]
	v_fma_f64 v[4:5], v[78:79], v[180:181], -v[4:5]
	v_add_f64 v[2:3], v[2:3], v[4:5]
	v_mul_f64 v[4:5], v[84:85], v[220:221]
	v_fma_f64 v[4:5], v[82:83], v[222:223], -v[4:5]
	v_add_f64 v[2:3], v[2:3], v[4:5]
	v_mul_f64 v[4:5], v[88:89], v[184:185]
	v_fma_f64 v[4:5], v[86:87], v[188:189], -v[4:5]
	v_add_f64 v[2:3], v[2:3], v[4:5]
	v_mul_f64 v[4:5], v[92:93], v[224:225]
	v_fma_f64 v[4:5], v[90:91], v[226:227], -v[4:5]
	v_add_f64 v[2:3], v[2:3], v[4:5]
	v_mul_f64 v[4:5], v[96:97], v[192:193]
	v_fma_f64 v[4:5], v[94:95], v[196:197], -v[4:5]
	v_add_f64 v[2:3], v[2:3], v[4:5]
	v_mul_f64 v[4:5], v[100:101], v[228:229]
	v_fma_f64 v[4:5], v[98:99], v[230:231], -v[4:5]
	v_add_f64 v[2:3], v[2:3], v[4:5]
	v_mul_f64 v[4:5], v[108:109], v[200:201]
	v_fma_f64 v[4:5], v[106:107], v[206:207], -v[4:5]
	v_add_f64 v[2:3], v[2:3], v[4:5]
	v_mul_f64 v[4:5], v[104:105], v[236:237]
	v_fma_f64 v[4:5], v[102:103], v[238:239], -v[4:5]
	v_add_f64 v[2:3], v[2:3], v[4:5]
	v_mul_f64 v[4:5], v[112:113], v[232:233]
	v_fma_f64 v[4:5], v[110:111], v[234:235], -v[4:5]
	v_add_f64 v[2:3], v[2:3], v[4:5]
	s_waitcnt vmcnt(6) lgkmcnt(0)
	v_mul_f64 v[4:5], v[116:117], v[240:241]
	s_waitcnt vmcnt(4)
	v_fma_f64 v[4:5], v[114:115], v[242:243], -v[4:5]
	v_mul_f64 v[216:217], v[114:115], v[240:241]
	v_add_f64 v[2:3], v[2:3], v[4:5]
	v_fmac_f64_e32 v[216:217], v[116:117], v[242:243]
	s_waitcnt vmcnt(2)
	v_add_f64 v[2:3], v[254:255], -v[2:3]
	v_accvgpr_read_b32 v254, a149
	v_add_f64 v[244:245], v[214:215], v[216:217]
	v_cmp_lt_u32_e32 vcc, 14, v254
	s_waitcnt vmcnt(0)
	v_add_f64 v[4:5], v[252:253], -v[244:245]
	buffer_store_dword v3, off, s[0:3], 0 offset:260
	buffer_store_dword v2, off, s[0:3], 0 offset:256
	;; [unrolled: 1-line block ×4, first 2 shown]
	s_and_saveexec_b64 s[4:5], vcc
	s_cbranch_execz .LBB113_285
; %bb.284:
	v_accvgpr_read_b32 v0, a135
	buffer_load_dword v2, v0, s[0:3], 0 offen
	buffer_load_dword v3, v0, s[0:3], 0 offen offset:4
	buffer_load_dword v4, v0, s[0:3], 0 offen offset:8
	;; [unrolled: 1-line block ×3, first 2 shown]
	v_mov_b32_e32 v0, 0
	v_accvgpr_read_b32 v1, a150
	buffer_store_dword v0, off, s[0:3], 0 offset:240
	buffer_store_dword v0, off, s[0:3], 0 offset:244
	buffer_store_dword v0, off, s[0:3], 0 offset:248
	buffer_store_dword v0, off, s[0:3], 0 offset:252
	s_waitcnt vmcnt(4)
	ds_write_b128 v1, v[2:5]
.LBB113_285:
	s_or_b64 exec, exec, s[4:5]
	s_waitcnt lgkmcnt(0)
	; wave barrier
	s_waitcnt lgkmcnt(0)
	buffer_load_dword v82, off, s[0:3], 0 offset:256
	buffer_load_dword v83, off, s[0:3], 0 offset:260
	;; [unrolled: 1-line block ×54, first 2 shown]
	v_mov_b32_e32 v1, 0
	ds_read_b128 v[90:93], v1 offset:1040
	ds_read_b128 v[106:109], v1 offset:1056
	ds_read_b128 v[114:117], v1 offset:1072
	ds_read_b128 v[242:245], v1 offset:1088
	ds_read_b128 v[246:249], v1 offset:1104
	ds_read_b128 v[250:253], v1 offset:1120
	ds_read_b128 v[10:13], v1 offset:1136
	ds_read_b128 v[6:9], v1 offset:1152
	ds_read_b128 v[2:5], v1 offset:1168
	buffer_load_dword v149, off, s[0:3], 0 offset:484
	buffer_load_dword v148, off, s[0:3], 0 offset:480
	;; [unrolled: 1-line block ×62, first 2 shown]
	v_cmp_lt_u32_e32 vcc, 13, v254
	s_waitcnt vmcnt(62) lgkmcnt(8)
	v_mul_f64 v[14:15], v[90:91], v[84:85]
	v_fmac_f64_e32 v[14:15], v[92:93], v[82:83]
	v_add_f64 v[14:15], v[14:15], 0
	v_mul_f64 v[84:85], v[92:93], v[84:85]
	s_waitcnt lgkmcnt(7)
	v_mul_f64 v[16:17], v[106:107], v[88:89]
	v_fmac_f64_e32 v[16:17], v[108:109], v[86:87]
	s_waitcnt lgkmcnt(6)
	v_mul_f64 v[18:19], v[114:115], v[94:95]
	v_add_f64 v[14:15], v[14:15], v[16:17]
	s_waitcnt lgkmcnt(4)
	v_mul_f64 v[22:23], v[246:247], v[102:103]
	v_fma_f64 v[210:211], v[90:91], v[82:83], -v[84:85]
	v_fmac_f64_e32 v[22:23], v[248:249], v[104:105]
	v_mul_f64 v[88:89], v[108:109], v[88:89]
	v_mul_f64 v[20:21], v[242:243], v[98:99]
	v_fma_f64 v[212:213], v[106:107], v[86:87], -v[88:89]
	s_waitcnt lgkmcnt(2)
	v_mul_f64 v[26:27], v[10:11], v[118:119]
	v_mul_f64 v[94:95], v[116:117], v[94:95]
	v_fmac_f64_e32 v[26:27], v[12:13], v[120:121]
	v_mul_f64 v[98:99], v[244:245], v[98:99]
	v_mul_f64 v[24:25], v[250:251], v[110:111]
	;; [unrolled: 1-line block ×3, first 2 shown]
	s_waitcnt lgkmcnt(1)
	v_mul_f64 v[28:29], v[6:7], v[122:123]
	v_mul_f64 v[110:111], v[252:253], v[110:111]
	v_fmac_f64_e32 v[18:19], v[116:117], v[96:97]
	v_add_f64 v[14:15], v[14:15], v[18:19]
	v_fmac_f64_e32 v[20:21], v[244:245], v[100:101]
	v_add_f64 v[14:15], v[14:15], v[20:21]
	;; [unrolled: 2-line block ×3, first 2 shown]
	v_add_f64 v[14:15], v[14:15], v[24:25]
	v_fmac_f64_e32 v[28:29], v[8:9], v[126:127]
	v_add_f64 v[14:15], v[14:15], v[26:27]
	v_add_f64 v[18:19], v[14:15], v[28:29]
	ds_read_b128 v[14:17], v1 offset:1184
	s_waitcnt lgkmcnt(1)
	v_mul_f64 v[20:21], v[2:3], v[124:125]
	v_fmac_f64_e32 v[20:21], v[4:5], v[128:129]
	v_add_f64 v[22:23], v[18:19], v[20:21]
	ds_read_b128 v[18:21], v1 offset:1200
	s_waitcnt lgkmcnt(1)
	v_mul_f64 v[24:25], v[14:15], v[134:135]
	v_fmac_f64_e32 v[24:25], v[16:17], v[136:137]
	;; [unrolled: 5-line block ×5, first 2 shown]
	v_add_f64 v[38:39], v[34:35], v[36:37]
	ds_read_b128 v[34:37], v1 offset:1264
	s_waitcnt vmcnt(58) lgkmcnt(1)
	v_mul_f64 v[40:41], v[30:31], v[162:163]
	s_waitcnt vmcnt(56)
	v_fmac_f64_e32 v[40:41], v[32:33], v[166:167]
	v_add_f64 v[42:43], v[38:39], v[40:41]
	ds_read_b128 v[38:41], v1 offset:1280
	s_waitcnt lgkmcnt(1)
	v_mul_f64 v[44:45], v[34:35], v[142:143]
	v_fmac_f64_e32 v[44:45], v[36:37], v[148:149]
	v_add_f64 v[46:47], v[42:43], v[44:45]
	ds_read_b128 v[42:45], v1 offset:1296
	s_waitcnt vmcnt(50) lgkmcnt(1)
	v_mul_f64 v[48:49], v[38:39], v[170:171]
	s_waitcnt vmcnt(48)
	v_fmac_f64_e32 v[48:49], v[40:41], v[174:175]
	v_add_f64 v[50:51], v[46:47], v[48:49]
	ds_read_b128 v[46:49], v1 offset:1312
	buffer_load_dword v221, off, s[0:3], 0 offset:732
	buffer_load_dword v220, off, s[0:3], 0 offset:728
	;; [unrolled: 1-line block ×8, first 2 shown]
	s_waitcnt lgkmcnt(1)
	v_mul_f64 v[52:53], v[42:43], v[150:151]
	v_fmac_f64_e32 v[52:53], v[44:45], v[152:153]
	v_add_f64 v[54:55], v[50:51], v[52:53]
	ds_read_b128 v[50:53], v1 offset:1328
	s_waitcnt vmcnt(50) lgkmcnt(1)
	v_mul_f64 v[56:57], v[46:47], v[178:179]
	s_waitcnt vmcnt(48)
	v_fmac_f64_e32 v[56:57], v[48:49], v[182:183]
	buffer_load_dword v225, off, s[0:3], 0 offset:780
	buffer_load_dword v231, off, s[0:3], 0 offset:764
	;; [unrolled: 1-line block ×12, first 2 shown]
	v_add_f64 v[58:59], v[54:55], v[56:57]
	ds_read_b128 v[54:57], v1 offset:1344
	s_waitcnt lgkmcnt(1)
	v_mul_f64 v[60:61], v[50:51], v[154:155]
	v_fmac_f64_e32 v[60:61], v[52:53], v[156:157]
	v_add_f64 v[62:63], v[58:59], v[60:61]
	ds_read_b128 v[58:61], v1 offset:1360
	s_waitcnt vmcnt(54) lgkmcnt(1)
	v_mul_f64 v[64:65], v[54:55], v[186:187]
	s_waitcnt vmcnt(52)
	v_fmac_f64_e32 v[64:65], v[56:57], v[190:191]
	v_add_f64 v[66:67], v[62:63], v[64:65]
	ds_read_b128 v[62:65], v1 offset:1376
	s_waitcnt lgkmcnt(1)
	v_mul_f64 v[68:69], v[58:59], v[158:159]
	v_fmac_f64_e32 v[68:69], v[60:61], v[160:161]
	v_add_f64 v[70:71], v[66:67], v[68:69]
	ds_read_b128 v[66:69], v1 offset:1392
	s_waitcnt vmcnt(46) lgkmcnt(1)
	v_mul_f64 v[72:73], v[62:63], v[194:195]
	s_waitcnt vmcnt(44)
	v_fmac_f64_e32 v[72:73], v[64:65], v[196:197]
	v_add_f64 v[78:79], v[70:71], v[72:73]
	ds_read_b128 v[70:73], v1 offset:1408
	ds_read_b128 v[74:77], v1 offset:1424
	s_waitcnt lgkmcnt(2)
	v_mul_f64 v[80:81], v[66:67], v[164:165]
	v_fmac_f64_e32 v[80:81], v[68:69], v[168:169]
	v_add_f64 v[78:79], v[78:79], v[80:81]
	s_waitcnt vmcnt(38) lgkmcnt(1)
	v_mul_f64 v[80:81], v[70:71], v[198:199]
	s_waitcnt vmcnt(36)
	v_fmac_f64_e32 v[80:81], v[72:73], v[200:201]
	v_add_f64 v[78:79], v[78:79], v[80:81]
	s_waitcnt lgkmcnt(0)
	v_mul_f64 v[80:81], v[74:75], v[172:173]
	v_fmac_f64_e32 v[80:81], v[76:77], v[176:177]
	v_add_f64 v[204:205], v[78:79], v[80:81]
	ds_read_b128 v[78:81], v1 offset:1440
	ds_read_b128 v[82:85], v1 offset:1456
	;; [unrolled: 1-line block ×3, first 2 shown]
	v_fma_f64 v[214:215], v[242:243], v[100:101], -v[98:99]
	ds_read_b128 v[98:101], v1 offset:1520
	s_waitcnt vmcnt(30) lgkmcnt(3)
	v_mul_f64 v[90:91], v[78:79], v[202:203]
	s_waitcnt vmcnt(28)
	v_fmac_f64_e32 v[90:91], v[80:81], v[206:207]
	s_waitcnt lgkmcnt(2)
	v_mul_f64 v[92:93], v[82:83], v[180:181]
	v_add_f64 v[90:91], v[204:205], v[90:91]
	v_fmac_f64_e32 v[92:93], v[84:85], v[184:185]
	v_add_f64 v[90:91], v[90:91], v[92:93]
	v_fma_f64 v[204:205], v[114:115], v[96:97], -v[94:95]
	ds_read_b128 v[94:97], v1 offset:1504
	s_waitcnt vmcnt(22) lgkmcnt(2)
	v_mul_f64 v[92:93], v[86:87], v[208:209]
	s_waitcnt vmcnt(20)
	v_fmac_f64_e32 v[92:93], v[88:89], v[218:219]
	v_add_f64 v[106:107], v[90:91], v[92:93]
	ds_read_b128 v[90:93], v1 offset:1488
	buffer_load_dword v240, off, s[0:3], 0 offset:808
	v_fma_f64 v[216:217], v[246:247], v[104:105], -v[102:103]
	ds_read_b128 v[102:105], v1 offset:1536
	v_fma_f64 v[250:251], v[250:251], v[112:113], -v[110:111]
	s_waitcnt lgkmcnt(1)
	v_mul_f64 v[108:109], v[90:91], v[188:189]
	v_fmac_f64_e32 v[108:109], v[92:93], v[192:193]
	v_add_f64 v[106:107], v[106:107], v[108:109]
	ds_read_b128 v[110:113], v1 offset:1568
	v_add_f64 v[210:211], v[210:211], 0
	v_add_f64 v[210:211], v[210:211], v[212:213]
	;; [unrolled: 1-line block ×5, first 2 shown]
	v_mul_f64 v[12:13], v[12:13], v[118:119]
	v_add_f64 v[204:205], v[252:253], v[250:251]
	v_fma_f64 v[10:11], v[10:11], v[120:121], -v[12:13]
	v_mul_f64 v[8:9], v[8:9], v[122:123]
	v_add_f64 v[10:11], v[204:205], v[10:11]
	v_fma_f64 v[6:7], v[6:7], v[126:127], -v[8:9]
	;; [unrolled: 3-line block ×3, first 2 shown]
	v_mul_f64 v[4:5], v[16:17], v[134:135]
	v_add_f64 v[2:3], v[6:7], v[2:3]
	s_waitcnt vmcnt(19)
	v_mul_f64 v[108:109], v[94:95], v[220:221]
	v_fma_f64 v[4:5], v[14:15], v[136:137], -v[4:5]
	s_waitcnt vmcnt(17)
	v_fmac_f64_e32 v[108:109], v[96:97], v[222:223]
	v_add_f64 v[106:107], v[106:107], v[108:109]
	s_waitcnt vmcnt(15)
	v_mul_f64 v[108:109], v[98:99], v[226:227]
	s_waitcnt vmcnt(13)
	v_fmac_f64_e32 v[108:109], v[100:101], v[228:229]
	v_add_f64 v[114:115], v[106:107], v[108:109]
	ds_read_b128 v[106:109], v1 offset:1552
	buffer_load_dword v244, off, s[0:3], 0 offset:800
	buffer_load_dword v241, off, s[0:3], 0 offset:812
	;; [unrolled: 1-line block ×3, first 2 shown]
	s_waitcnt vmcnt(13) lgkmcnt(2)
	v_mul_f64 v[116:117], v[102:103], v[230:231]
	s_waitcnt vmcnt(11)
	v_fmac_f64_e32 v[116:117], v[104:105], v[236:237]
	v_add_f64 v[114:115], v[114:115], v[116:117]
	s_waitcnt vmcnt(10) lgkmcnt(0)
	v_mul_f64 v[116:117], v[106:107], v[224:225]
	s_waitcnt vmcnt(8)
	v_fmac_f64_e32 v[116:117], v[108:109], v[234:235]
	v_add_f64 v[114:115], v[114:115], v[116:117]
	s_waitcnt vmcnt(6)
	v_mul_f64 v[116:117], v[110:111], v[232:233]
	s_waitcnt vmcnt(4)
	v_fmac_f64_e32 v[116:117], v[112:113], v[238:239]
	v_add_f64 v[242:243], v[114:115], v[116:117]
	ds_read_b128 v[114:117], v1 offset:1584
	buffer_load_dword v248, off, s[0:3], 0 offset:240
	buffer_load_dword v249, off, s[0:3], 0 offset:244
	v_add_f64 v[2:3], v[2:3], v[4:5]
	v_mul_f64 v[4:5], v[20:21], v[130:131]
	v_fma_f64 v[4:5], v[18:19], v[132:133], -v[4:5]
	v_add_f64 v[2:3], v[2:3], v[4:5]
	v_mul_f64 v[4:5], v[24:25], v[144:145]
	v_fma_f64 v[4:5], v[22:23], v[146:147], -v[4:5]
	;; [unrolled: 3-line block ×22, first 2 shown]
	v_add_f64 v[2:3], v[2:3], v[4:5]
	s_waitcnt vmcnt(3) lgkmcnt(0)
	v_mul_f64 v[246:247], v[114:115], v[240:241]
	s_waitcnt vmcnt(2)
	v_fmac_f64_e32 v[246:247], v[116:117], v[244:245]
	v_add_f64 v[242:243], v[242:243], v[246:247]
	buffer_load_dword v246, off, s[0:3], 0 offset:248
	buffer_load_dword v247, off, s[0:3], 0 offset:252
	v_mul_f64 v[4:5], v[108:109], v[224:225]
	v_fma_f64 v[4:5], v[106:107], v[234:235], -v[4:5]
	v_add_f64 v[2:3], v[2:3], v[4:5]
	v_mul_f64 v[4:5], v[112:113], v[232:233]
	v_fma_f64 v[4:5], v[110:111], v[238:239], -v[4:5]
	v_add_f64 v[2:3], v[2:3], v[4:5]
	;; [unrolled: 3-line block ×3, first 2 shown]
	s_waitcnt vmcnt(2)
	v_add_f64 v[2:3], v[248:249], -v[2:3]
	s_waitcnt vmcnt(0)
	v_add_f64 v[4:5], v[246:247], -v[242:243]
	buffer_store_dword v3, off, s[0:3], 0 offset:244
	buffer_store_dword v2, off, s[0:3], 0 offset:240
	;; [unrolled: 1-line block ×4, first 2 shown]
	s_and_saveexec_b64 s[4:5], vcc
	s_cbranch_execz .LBB113_287
; %bb.286:
	v_accvgpr_read_b32 v0, a136
	buffer_load_dword v2, v0, s[0:3], 0 offen
	buffer_load_dword v3, v0, s[0:3], 0 offen offset:4
	buffer_load_dword v4, v0, s[0:3], 0 offen offset:8
	;; [unrolled: 1-line block ×3, first 2 shown]
	v_accvgpr_read_b32 v0, a150
	buffer_store_dword v1, off, s[0:3], 0 offset:224
	buffer_store_dword v1, off, s[0:3], 0 offset:228
	;; [unrolled: 1-line block ×4, first 2 shown]
	s_waitcnt vmcnt(4)
	ds_write_b128 v0, v[2:5]
.LBB113_287:
	s_or_b64 exec, exec, s[4:5]
	s_waitcnt lgkmcnt(0)
	; wave barrier
	s_waitcnt lgkmcnt(0)
	buffer_load_dword v84, off, s[0:3], 0 offset:240
	buffer_load_dword v85, off, s[0:3], 0 offset:244
	;; [unrolled: 1-line block ×34, first 2 shown]
	ds_read_b128 v[74:77], v1 offset:1024
	ds_read_b128 v[78:81], v1 offset:1040
	;; [unrolled: 1-line block ×8, first 2 shown]
	buffer_load_dword v125, off, s[0:3], 0 offset:356
	buffer_load_dword v124, off, s[0:3], 0 offset:352
	ds_read_b128 v[6:9], v1 offset:1152
	buffer_load_dword v127, off, s[0:3], 0 offset:412
	buffer_load_dword v126, off, s[0:3], 0 offset:408
	;; [unrolled: 1-line block ×80, first 2 shown]
	s_waitcnt vmcnt(62) lgkmcnt(8)
	v_mul_f64 v[10:11], v[74:75], v[106:107]
	v_fmac_f64_e32 v[10:11], v[76:77], v[84:85]
	v_add_f64 v[10:11], v[10:11], 0
	v_mul_f64 v[76:77], v[76:77], v[106:107]
	s_waitcnt lgkmcnt(7)
	v_mul_f64 v[12:13], v[78:79], v[96:97]
	v_fmac_f64_e32 v[12:13], v[80:81], v[82:83]
	s_waitcnt lgkmcnt(6)
	v_mul_f64 v[14:15], v[86:87], v[94:95]
	v_add_f64 v[10:11], v[10:11], v[12:13]
	s_waitcnt lgkmcnt(4)
	v_mul_f64 v[18:19], v[98:99], v[108:109]
	v_fma_f64 v[210:211], v[74:75], v[84:85], -v[76:77]
	v_fmac_f64_e32 v[18:19], v[100:101], v[114:115]
	v_mul_f64 v[80:81], v[80:81], v[96:97]
	v_mul_f64 v[16:17], v[90:91], v[116:117]
	v_fma_f64 v[212:213], v[78:79], v[82:83], -v[80:81]
	s_waitcnt lgkmcnt(2)
	v_mul_f64 v[22:23], v[110:111], v[240:241]
	v_mul_f64 v[100:101], v[100:101], v[108:109]
	v_fma_f64 v[216:217], v[98:99], v[114:115], -v[100:101]
	v_mul_f64 v[20:21], v[102:103], v[244:245]
	v_add_f64 v[210:211], v[210:211], 0
	s_waitcnt lgkmcnt(1)
	v_mul_f64 v[24:25], v[2:3], v[118:119]
	v_add_f64 v[210:211], v[210:211], v[212:213]
	v_fmac_f64_e32 v[14:15], v[88:89], v[250:251]
	v_add_f64 v[10:11], v[10:11], v[14:15]
	v_fmac_f64_e32 v[16:17], v[92:93], v[248:249]
	;; [unrolled: 2-line block ×4, first 2 shown]
	v_add_f64 v[10:11], v[10:11], v[20:21]
	v_add_f64 v[10:11], v[10:11], v[22:23]
	s_waitcnt lgkmcnt(0)
	v_mul_f64 v[16:17], v[6:7], v[120:121]
	v_fmac_f64_e32 v[16:17], v[8:9], v[122:123]
	v_fmac_f64_e32 v[24:25], v[4:5], v[124:125]
	v_add_f64 v[14:15], v[10:11], v[24:25]
	ds_read_b128 v[10:13], v1 offset:1168
	v_add_f64 v[18:19], v[14:15], v[16:17]
	ds_read_b128 v[14:17], v1 offset:1184
	v_mul_f64 v[88:89], v[88:89], v[94:95]
	v_mul_f64 v[92:93], v[92:93], v[116:117]
	s_waitcnt lgkmcnt(1)
	v_mul_f64 v[20:21], v[10:11], v[130:131]
	v_fmac_f64_e32 v[20:21], v[12:13], v[132:133]
	s_waitcnt lgkmcnt(0)
	v_mul_f64 v[24:25], v[14:15], v[126:127]
	v_add_f64 v[22:23], v[18:19], v[20:21]
	ds_read_b128 v[18:21], v1 offset:1200
	v_fmac_f64_e32 v[24:25], v[16:17], v[128:129]
	v_add_f64 v[26:27], v[22:23], v[24:25]
	ds_read_b128 v[22:25], v1 offset:1216
	v_fma_f64 v[214:215], v[90:91], v[248:249], -v[92:93]
	s_waitcnt lgkmcnt(1)
	v_mul_f64 v[28:29], v[18:19], v[142:143]
	v_fmac_f64_e32 v[28:29], v[20:21], v[144:145]
	v_add_f64 v[30:31], v[26:27], v[28:29]
	s_waitcnt lgkmcnt(0)
	v_mul_f64 v[32:33], v[22:23], v[134:135]
	ds_read_b128 v[26:29], v1 offset:1232
	v_fmac_f64_e32 v[32:33], v[24:25], v[136:137]
	v_add_f64 v[34:35], v[30:31], v[32:33]
	ds_read_b128 v[30:33], v1 offset:1248
	v_mul_f64 v[104:105], v[104:105], v[244:245]
	s_waitcnt vmcnt(58) lgkmcnt(1)
	v_mul_f64 v[36:37], v[26:27], v[158:159]
	s_waitcnt vmcnt(56)
	v_fmac_f64_e32 v[36:37], v[28:29], v[162:163]
	v_add_f64 v[38:39], v[34:35], v[36:37]
	s_waitcnt lgkmcnt(0)
	v_mul_f64 v[40:41], v[30:31], v[138:139]
	ds_read_b128 v[34:37], v1 offset:1264
	v_fmac_f64_e32 v[40:41], v[32:33], v[140:141]
	v_add_f64 v[42:43], v[38:39], v[40:41]
	ds_read_b128 v[38:41], v1 offset:1280
	v_mul_f64 v[112:113], v[112:113], v[240:241]
	s_waitcnt vmcnt(50) lgkmcnt(1)
	v_mul_f64 v[44:45], v[34:35], v[166:167]
	s_waitcnt vmcnt(48)
	v_fmac_f64_e32 v[44:45], v[36:37], v[170:171]
	v_add_f64 v[46:47], v[42:43], v[44:45]
	s_waitcnt lgkmcnt(0)
	v_mul_f64 v[48:49], v[38:39], v[146:147]
	v_fmac_f64_e32 v[48:49], v[40:41], v[148:149]
	ds_read_b128 v[42:45], v1 offset:1296
	v_add_f64 v[50:51], v[46:47], v[48:49]
	ds_read_b128 v[46:49], v1 offset:1312
	buffer_load_dword v209, off, s[0:3], 0 offset:732
	buffer_load_dword v219, off, s[0:3], 0 offset:716
	;; [unrolled: 1-line block ×12, first 2 shown]
	v_fma_f64 v[252:253], v[110:111], v[242:243], -v[112:113]
	s_waitcnt vmcnt(54) lgkmcnt(1)
	v_mul_f64 v[52:53], v[42:43], v[174:175]
	s_waitcnt vmcnt(52)
	v_fmac_f64_e32 v[52:53], v[44:45], v[178:179]
	v_add_f64 v[54:55], v[50:51], v[52:53]
	ds_read_b128 v[50:53], v1 offset:1328
	s_waitcnt lgkmcnt(1)
	v_mul_f64 v[56:57], v[46:47], v[150:151]
	v_fmac_f64_e32 v[56:57], v[48:49], v[152:153]
	buffer_load_dword v231, off, s[0:3], 0 offset:764
	buffer_load_dword v230, off, s[0:3], 0 offset:760
	;; [unrolled: 1-line block ×12, first 2 shown]
	v_add_f64 v[58:59], v[54:55], v[56:57]
	ds_read_b128 v[54:57], v1 offset:1344
	s_waitcnt vmcnt(58) lgkmcnt(1)
	v_mul_f64 v[60:61], v[50:51], v[182:183]
	s_waitcnt vmcnt(56)
	v_fmac_f64_e32 v[60:61], v[52:53], v[186:187]
	v_add_f64 v[62:63], v[58:59], v[60:61]
	ds_read_b128 v[58:61], v1 offset:1360
	s_waitcnt lgkmcnt(1)
	v_mul_f64 v[64:65], v[54:55], v[154:155]
	v_fmac_f64_e32 v[64:65], v[56:57], v[156:157]
	v_add_f64 v[70:71], v[62:63], v[64:65]
	ds_read_b128 v[62:65], v1 offset:1376
	ds_read_b128 v[66:69], v1 offset:1392
	s_waitcnt vmcnt(50) lgkmcnt(2)
	v_mul_f64 v[72:73], v[58:59], v[190:191]
	s_waitcnt vmcnt(48)
	v_fmac_f64_e32 v[72:73], v[60:61], v[192:193]
	v_add_f64 v[70:71], v[70:71], v[72:73]
	s_waitcnt lgkmcnt(1)
	v_mul_f64 v[72:73], v[62:63], v[160:161]
	v_fmac_f64_e32 v[72:73], v[64:65], v[164:165]
	v_add_f64 v[70:71], v[70:71], v[72:73]
	s_waitcnt vmcnt(42) lgkmcnt(0)
	v_mul_f64 v[72:73], v[66:67], v[194:195]
	s_waitcnt vmcnt(40)
	v_fmac_f64_e32 v[72:73], v[68:69], v[196:197]
	v_add_f64 v[204:205], v[70:71], v[72:73]
	ds_read_b128 v[70:73], v1 offset:1408
	ds_read_b128 v[74:77], v1 offset:1424
	;; [unrolled: 1-line block ×5, first 2 shown]
	s_waitcnt lgkmcnt(4)
	v_mul_f64 v[84:85], v[70:71], v[168:169]
	v_fmac_f64_e32 v[84:85], v[72:73], v[172:173]
	v_add_f64 v[82:83], v[204:205], v[84:85]
	s_waitcnt vmcnt(34) lgkmcnt(3)
	v_mul_f64 v[84:85], v[74:75], v[198:199]
	s_waitcnt vmcnt(32)
	v_fmac_f64_e32 v[84:85], v[76:77], v[200:201]
	v_add_f64 v[82:83], v[82:83], v[84:85]
	v_fma_f64 v[204:205], v[86:87], v[250:251], -v[88:89]
	ds_read_b128 v[86:89], v1 offset:1472
	s_waitcnt lgkmcnt(3)
	v_mul_f64 v[84:85], v[78:79], v[176:177]
	v_fmac_f64_e32 v[84:85], v[80:81], v[180:181]
	v_add_f64 v[96:97], v[82:83], v[84:85]
	ds_read_b128 v[82:85], v1 offset:1456
	v_fma_f64 v[250:251], v[102:103], v[246:247], -v[104:105]
	ds_read_b128 v[110:113], v1 offset:1568
	v_add_f64 v[204:205], v[210:211], v[204:205]
	v_add_f64 v[204:205], v[204:205], v[214:215]
	s_waitcnt vmcnt(26) lgkmcnt(1)
	v_mul_f64 v[94:95], v[82:83], v[202:203]
	s_waitcnt vmcnt(24)
	v_fmac_f64_e32 v[94:95], v[84:85], v[206:207]
	v_add_f64 v[94:95], v[96:97], v[94:95]
	v_mul_f64 v[96:97], v[86:87], v[184:185]
	v_fmac_f64_e32 v[96:97], v[88:89], v[188:189]
	v_add_f64 v[106:107], v[94:95], v[96:97]
	ds_read_b128 v[94:97], v1 offset:1504
	v_add_f64 v[254:255], v[204:205], v[216:217]
	v_add_f64 v[204:205], v[254:255], v[250:251]
	v_mul_f64 v[4:5], v[4:5], v[118:119]
	v_add_f64 v[204:205], v[204:205], v[252:253]
	ds_read_b128 v[102:105], v1 offset:1552
	v_fma_f64 v[2:3], v[2:3], v[124:125], -v[4:5]
	v_mul_f64 v[4:5], v[8:9], v[120:121]
	v_add_f64 v[2:3], v[204:205], v[2:3]
	v_fma_f64 v[4:5], v[6:7], v[122:123], -v[4:5]
	v_add_f64 v[2:3], v[2:3], v[4:5]
	v_mul_f64 v[4:5], v[12:13], v[130:131]
	v_fma_f64 v[4:5], v[10:11], v[132:133], -v[4:5]
	v_add_f64 v[2:3], v[2:3], v[4:5]
	v_mul_f64 v[4:5], v[16:17], v[126:127]
	s_waitcnt vmcnt(21)
	v_mul_f64 v[108:109], v[90:91], v[218:219]
	v_fma_f64 v[4:5], v[14:15], v[128:129], -v[4:5]
	s_waitcnt vmcnt(19)
	v_fmac_f64_e32 v[108:109], v[92:93], v[224:225]
	v_add_f64 v[106:107], v[106:107], v[108:109]
	s_waitcnt vmcnt(18) lgkmcnt(1)
	v_mul_f64 v[108:109], v[94:95], v[208:209]
	s_waitcnt vmcnt(16)
	v_fmac_f64_e32 v[108:109], v[96:97], v[222:223]
	v_add_f64 v[114:115], v[106:107], v[108:109]
	ds_read_b128 v[106:109], v1 offset:1536
	buffer_load_dword v243, off, s[0:3], 0 offset:812
	buffer_load_dword v242, off, s[0:3], 0 offset:808
	;; [unrolled: 1-line block ×4, first 2 shown]
	s_waitcnt vmcnt(18)
	v_mul_f64 v[116:117], v[98:99], v[220:221]
	s_waitcnt vmcnt(16)
	v_fmac_f64_e32 v[116:117], v[100:101], v[226:227]
	v_add_f64 v[114:115], v[114:115], v[116:117]
	s_waitcnt vmcnt(14) lgkmcnt(0)
	v_mul_f64 v[116:117], v[106:107], v[230:231]
	s_waitcnt vmcnt(12)
	v_fmac_f64_e32 v[116:117], v[108:109], v[232:233]
	v_add_f64 v[114:115], v[114:115], v[116:117]
	s_waitcnt vmcnt(9)
	v_mul_f64 v[116:117], v[102:103], v[236:237]
	s_waitcnt vmcnt(7)
	v_fmac_f64_e32 v[116:117], v[104:105], v[238:239]
	v_add_f64 v[114:115], v[114:115], v[116:117]
	s_waitcnt vmcnt(5)
	v_mul_f64 v[116:117], v[110:111], v[228:229]
	s_waitcnt vmcnt(4)
	v_fmac_f64_e32 v[116:117], v[112:113], v[234:235]
	v_add_f64 v[240:241], v[114:115], v[116:117]
	ds_read_b128 v[114:117], v1 offset:1584
	v_add_f64 v[2:3], v[2:3], v[4:5]
	v_mul_f64 v[4:5], v[20:21], v[142:143]
	v_fma_f64 v[4:5], v[18:19], v[144:145], -v[4:5]
	v_add_f64 v[2:3], v[2:3], v[4:5]
	v_mul_f64 v[4:5], v[24:25], v[134:135]
	v_fma_f64 v[4:5], v[22:23], v[136:137], -v[4:5]
	v_add_f64 v[2:3], v[2:3], v[4:5]
	v_mul_f64 v[4:5], v[28:29], v[158:159]
	v_fma_f64 v[4:5], v[26:27], v[162:163], -v[4:5]
	v_add_f64 v[2:3], v[2:3], v[4:5]
	v_mul_f64 v[4:5], v[32:33], v[138:139]
	v_fma_f64 v[4:5], v[30:31], v[140:141], -v[4:5]
	v_add_f64 v[2:3], v[2:3], v[4:5]
	v_mul_f64 v[4:5], v[36:37], v[166:167]
	v_fma_f64 v[4:5], v[34:35], v[170:171], -v[4:5]
	v_add_f64 v[2:3], v[2:3], v[4:5]
	v_mul_f64 v[4:5], v[40:41], v[146:147]
	v_fma_f64 v[4:5], v[38:39], v[148:149], -v[4:5]
	v_add_f64 v[2:3], v[2:3], v[4:5]
	v_mul_f64 v[4:5], v[44:45], v[174:175]
	v_fma_f64 v[4:5], v[42:43], v[178:179], -v[4:5]
	v_add_f64 v[2:3], v[2:3], v[4:5]
	v_mul_f64 v[4:5], v[48:49], v[150:151]
	v_fma_f64 v[4:5], v[46:47], v[152:153], -v[4:5]
	v_add_f64 v[2:3], v[2:3], v[4:5]
	v_mul_f64 v[4:5], v[52:53], v[182:183]
	v_fma_f64 v[4:5], v[50:51], v[186:187], -v[4:5]
	v_add_f64 v[2:3], v[2:3], v[4:5]
	v_mul_f64 v[4:5], v[56:57], v[154:155]
	v_fma_f64 v[4:5], v[54:55], v[156:157], -v[4:5]
	v_add_f64 v[2:3], v[2:3], v[4:5]
	v_mul_f64 v[4:5], v[60:61], v[190:191]
	v_fma_f64 v[4:5], v[58:59], v[192:193], -v[4:5]
	v_add_f64 v[2:3], v[2:3], v[4:5]
	v_mul_f64 v[4:5], v[64:65], v[160:161]
	v_fma_f64 v[4:5], v[62:63], v[164:165], -v[4:5]
	v_add_f64 v[2:3], v[2:3], v[4:5]
	v_mul_f64 v[4:5], v[68:69], v[194:195]
	v_fma_f64 v[4:5], v[66:67], v[196:197], -v[4:5]
	v_add_f64 v[2:3], v[2:3], v[4:5]
	v_mul_f64 v[4:5], v[72:73], v[168:169]
	v_fma_f64 v[4:5], v[70:71], v[172:173], -v[4:5]
	v_add_f64 v[2:3], v[2:3], v[4:5]
	v_mul_f64 v[4:5], v[76:77], v[198:199]
	v_fma_f64 v[4:5], v[74:75], v[200:201], -v[4:5]
	v_add_f64 v[2:3], v[2:3], v[4:5]
	v_mul_f64 v[4:5], v[80:81], v[176:177]
	v_fma_f64 v[4:5], v[78:79], v[180:181], -v[4:5]
	v_add_f64 v[2:3], v[2:3], v[4:5]
	v_mul_f64 v[4:5], v[84:85], v[202:203]
	v_fma_f64 v[4:5], v[82:83], v[206:207], -v[4:5]
	v_add_f64 v[2:3], v[2:3], v[4:5]
	v_mul_f64 v[4:5], v[88:89], v[184:185]
	v_fma_f64 v[4:5], v[86:87], v[188:189], -v[4:5]
	v_add_f64 v[2:3], v[2:3], v[4:5]
	v_mul_f64 v[4:5], v[92:93], v[218:219]
	v_fma_f64 v[4:5], v[90:91], v[224:225], -v[4:5]
	v_add_f64 v[2:3], v[2:3], v[4:5]
	v_mul_f64 v[4:5], v[96:97], v[208:209]
	v_fma_f64 v[4:5], v[94:95], v[222:223], -v[4:5]
	v_add_f64 v[2:3], v[2:3], v[4:5]
	v_mul_f64 v[4:5], v[100:101], v[220:221]
	v_fma_f64 v[4:5], v[98:99], v[226:227], -v[4:5]
	v_add_f64 v[2:3], v[2:3], v[4:5]
	s_waitcnt vmcnt(2) lgkmcnt(0)
	v_mul_f64 v[246:247], v[114:115], v[242:243]
	v_mul_f64 v[4:5], v[108:109], v[230:231]
	s_waitcnt vmcnt(0)
	v_fmac_f64_e32 v[246:247], v[116:117], v[244:245]
	v_add_f64 v[240:241], v[240:241], v[246:247]
	buffer_load_dword v248, off, s[0:3], 0 offset:224
	buffer_load_dword v249, off, s[0:3], 0 offset:228
	;; [unrolled: 1-line block ×4, first 2 shown]
	v_fma_f64 v[4:5], v[106:107], v[232:233], -v[4:5]
	v_add_f64 v[2:3], v[2:3], v[4:5]
	v_mul_f64 v[4:5], v[104:105], v[236:237]
	v_fma_f64 v[4:5], v[102:103], v[238:239], -v[4:5]
	v_add_f64 v[2:3], v[2:3], v[4:5]
	v_mul_f64 v[4:5], v[112:113], v[228:229]
	;; [unrolled: 3-line block ×3, first 2 shown]
	v_fma_f64 v[4:5], v[114:115], v[244:245], -v[4:5]
	v_add_f64 v[2:3], v[2:3], v[4:5]
	v_accvgpr_read_b32 v254, a149
	v_cmp_lt_u32_e32 vcc, 12, v254
	s_waitcnt vmcnt(2)
	v_add_f64 v[2:3], v[248:249], -v[2:3]
	s_waitcnt vmcnt(0)
	v_add_f64 v[4:5], v[246:247], -v[240:241]
	buffer_store_dword v3, off, s[0:3], 0 offset:228
	buffer_store_dword v2, off, s[0:3], 0 offset:224
	;; [unrolled: 1-line block ×4, first 2 shown]
	s_and_saveexec_b64 s[4:5], vcc
	s_cbranch_execz .LBB113_289
; %bb.288:
	v_accvgpr_read_b32 v0, a137
	buffer_load_dword v2, v0, s[0:3], 0 offen
	buffer_load_dword v3, v0, s[0:3], 0 offen offset:4
	buffer_load_dword v4, v0, s[0:3], 0 offen offset:8
	;; [unrolled: 1-line block ×3, first 2 shown]
	v_mov_b32_e32 v0, 0
	v_accvgpr_read_b32 v1, a150
	buffer_store_dword v0, off, s[0:3], 0 offset:208
	buffer_store_dword v0, off, s[0:3], 0 offset:212
	;; [unrolled: 1-line block ×4, first 2 shown]
	s_waitcnt vmcnt(4)
	ds_write_b128 v1, v[2:5]
.LBB113_289:
	s_or_b64 exec, exec, s[4:5]
	s_waitcnt lgkmcnt(0)
	; wave barrier
	s_waitcnt lgkmcnt(0)
	buffer_load_dword v66, off, s[0:3], 0 offset:224
	buffer_load_dword v67, off, s[0:3], 0 offset:228
	;; [unrolled: 1-line block ×55, first 2 shown]
	v_mov_b32_e32 v1, 0
	ds_read_b128 v[74:77], v1 offset:1008
	ds_read_b128 v[86:89], v1 offset:1024
	ds_read_b128 v[98:101], v1 offset:1040
	ds_read_b128 v[110:113], v1 offset:1056
	ds_read_b128 v[114:117], v1 offset:1072
	ds_read_b128 v[240:243], v1 offset:1088
	ds_read_b128 v[244:247], v1 offset:1104
	ds_read_b128 v[248:251], v1 offset:1120
	ds_read_b128 v[2:5], v1 offset:1136
	buffer_load_dword v136, off, s[0:3], 0 offset:448
	buffer_load_dword v155, off, s[0:3], 0 offset:444
	;; [unrolled: 1-line block ×61, first 2 shown]
	v_cmp_lt_u32_e32 vcc, 11, v254
	s_waitcnt vmcnt(62) lgkmcnt(8)
	v_mul_f64 v[6:7], v[74:75], v[68:69]
	v_fmac_f64_e32 v[6:7], v[76:77], v[66:67]
	v_add_f64 v[6:7], v[6:7], 0
	v_mul_f64 v[68:69], v[76:77], v[68:69]
	s_waitcnt lgkmcnt(7)
	v_mul_f64 v[8:9], v[86:87], v[72:73]
	v_fmac_f64_e32 v[8:9], v[88:89], v[70:71]
	s_waitcnt lgkmcnt(6)
	v_mul_f64 v[10:11], v[98:99], v[78:79]
	v_add_f64 v[6:7], v[6:7], v[8:9]
	s_waitcnt lgkmcnt(4)
	v_mul_f64 v[14:15], v[114:115], v[90:91]
	v_fma_f64 v[210:211], v[74:75], v[66:67], -v[68:69]
	v_fmac_f64_e32 v[14:15], v[116:117], v[92:93]
	v_mul_f64 v[72:73], v[88:89], v[72:73]
	v_mul_f64 v[12:13], v[110:111], v[82:83]
	;; [unrolled: 1-line block ×3, first 2 shown]
	s_waitcnt lgkmcnt(2)
	v_mul_f64 v[18:19], v[244:245], v[102:103]
	v_mul_f64 v[82:83], v[112:113], v[82:83]
	;; [unrolled: 1-line block ×4, first 2 shown]
	v_fma_f64 v[216:217], v[114:115], v[92:93], -v[90:91]
	s_waitcnt lgkmcnt(1)
	v_mul_f64 v[20:21], v[248:249], v[106:107]
	v_fmac_f64_e32 v[20:21], v[250:251], v[108:109]
	v_fmac_f64_e32 v[10:11], v[100:101], v[80:81]
	v_add_f64 v[6:7], v[6:7], v[10:11]
	v_fmac_f64_e32 v[12:13], v[112:113], v[84:85]
	v_add_f64 v[6:7], v[6:7], v[12:13]
	;; [unrolled: 2-line block ×4, first 2 shown]
	v_add_f64 v[6:7], v[6:7], v[18:19]
	v_add_f64 v[10:11], v[6:7], v[20:21]
	ds_read_b128 v[6:9], v1 offset:1152
	s_waitcnt lgkmcnt(1)
	v_mul_f64 v[12:13], v[2:3], v[118:119]
	v_fmac_f64_e32 v[12:13], v[4:5], v[120:121]
	v_add_f64 v[14:15], v[10:11], v[12:13]
	ds_read_b128 v[10:13], v1 offset:1168
	s_waitcnt lgkmcnt(1)
	v_mul_f64 v[16:17], v[6:7], v[126:127]
	v_fmac_f64_e32 v[16:17], v[8:9], v[128:129]
	;; [unrolled: 5-line block ×5, first 2 shown]
	v_add_f64 v[30:31], v[26:27], v[28:29]
	ds_read_b128 v[26:29], v1 offset:1232
	s_waitcnt vmcnt(58) lgkmcnt(1)
	v_mul_f64 v[32:33], v[22:23], v[154:155]
	s_waitcnt vmcnt(56)
	v_fmac_f64_e32 v[32:33], v[24:25], v[158:159]
	v_add_f64 v[34:35], v[30:31], v[32:33]
	ds_read_b128 v[30:33], v1 offset:1248
	s_waitcnt lgkmcnt(1)
	v_mul_f64 v[36:37], v[26:27], v[134:135]
	v_fmac_f64_e32 v[36:37], v[28:29], v[136:137]
	v_add_f64 v[38:39], v[34:35], v[36:37]
	ds_read_b128 v[34:37], v1 offset:1264
	s_waitcnt vmcnt(50) lgkmcnt(1)
	v_mul_f64 v[40:41], v[30:31], v[162:163]
	s_waitcnt vmcnt(48)
	v_fmac_f64_e32 v[40:41], v[32:33], v[166:167]
	v_add_f64 v[42:43], v[38:39], v[40:41]
	ds_read_b128 v[38:41], v1 offset:1280
	s_waitcnt lgkmcnt(1)
	v_mul_f64 v[44:45], v[34:35], v[142:143]
	v_fmac_f64_e32 v[44:45], v[36:37], v[144:145]
	v_add_f64 v[46:47], v[42:43], v[44:45]
	ds_read_b128 v[42:45], v1 offset:1296
	s_waitcnt vmcnt(42) lgkmcnt(1)
	v_mul_f64 v[48:49], v[38:39], v[170:171]
	s_waitcnt vmcnt(40)
	v_fmac_f64_e32 v[48:49], v[40:41], v[174:175]
	v_add_f64 v[50:51], v[46:47], v[48:49]
	ds_read_b128 v[46:49], v1 offset:1312
	buffer_load_dword v203, off, s[0:3], 0 offset:700
	buffer_load_dword v202, off, s[0:3], 0 offset:696
	;; [unrolled: 1-line block ×4, first 2 shown]
	s_waitcnt lgkmcnt(1)
	v_mul_f64 v[52:53], v[42:43], v[146:147]
	v_fmac_f64_e32 v[52:53], v[44:45], v[148:149]
	v_add_f64 v[54:55], v[50:51], v[52:53]
	ds_read_b128 v[50:53], v1 offset:1328
	buffer_load_dword v209, off, s[0:3], 0 offset:716
	buffer_load_dword v208, off, s[0:3], 0 offset:712
	;; [unrolled: 1-line block ×8, first 2 shown]
	s_waitcnt vmcnt(46) lgkmcnt(1)
	v_mul_f64 v[56:57], v[46:47], v[178:179]
	s_waitcnt vmcnt(44)
	v_fmac_f64_e32 v[56:57], v[48:49], v[182:183]
	v_add_f64 v[58:59], v[54:55], v[56:57]
	ds_read_b128 v[54:57], v1 offset:1344
	buffer_load_dword v227, off, s[0:3], 0 offset:748
	buffer_load_dword v226, off, s[0:3], 0 offset:744
	;; [unrolled: 1-line block ×12, first 2 shown]
	s_waitcnt lgkmcnt(1)
	v_mul_f64 v[60:61], v[50:51], v[150:151]
	v_fmac_f64_e32 v[60:61], v[52:53], v[152:153]
	v_add_f64 v[62:63], v[58:59], v[60:61]
	ds_read_b128 v[58:61], v1 offset:1360
	s_waitcnt vmcnt(50) lgkmcnt(1)
	v_mul_f64 v[64:65], v[54:55], v[186:187]
	s_waitcnt vmcnt(48)
	v_fmac_f64_e32 v[64:65], v[56:57], v[188:189]
	v_add_f64 v[62:63], v[62:63], v[64:65]
	buffer_load_dword v237, off, s[0:3], 0 offset:796
	buffer_load_dword v236, off, s[0:3], 0 offset:792
	;; [unrolled: 1-line block ×4, first 2 shown]
	s_waitcnt lgkmcnt(0)
	v_mul_f64 v[64:65], v[58:59], v[156:157]
	v_fmac_f64_e32 v[64:65], v[60:61], v[160:161]
	v_add_f64 v[204:205], v[62:63], v[64:65]
	ds_read_b128 v[62:65], v1 offset:1376
	ds_read_b128 v[66:69], v1 offset:1392
	v_fma_f64 v[212:213], v[98:99], v[80:81], -v[78:79]
	ds_read_b128 v[78:81], v1 offset:1440
	v_fma_f64 v[214:215], v[110:111], v[84:85], -v[82:83]
	ds_read_b128 v[82:85], v1 offset:1456
	s_waitcnt vmcnt(46) lgkmcnt(3)
	v_mul_f64 v[74:75], v[62:63], v[190:191]
	s_waitcnt vmcnt(44)
	v_fmac_f64_e32 v[74:75], v[64:65], v[192:193]
	v_add_f64 v[74:75], v[204:205], v[74:75]
	v_fma_f64 v[204:205], v[86:87], v[70:71], -v[72:73]
	ds_read_b128 v[70:73], v1 offset:1408
	s_waitcnt lgkmcnt(3)
	v_mul_f64 v[76:77], v[66:67], v[164:165]
	v_fmac_f64_e32 v[76:77], v[68:69], v[168:169]
	v_add_f64 v[86:87], v[74:75], v[76:77]
	ds_read_b128 v[74:77], v1 offset:1424
	s_waitcnt vmcnt(38) lgkmcnt(1)
	v_mul_f64 v[88:89], v[70:71], v[194:195]
	s_waitcnt vmcnt(36)
	v_fmac_f64_e32 v[88:89], v[72:73], v[196:197]
	v_add_f64 v[86:87], v[86:87], v[88:89]
	ds_read_b128 v[90:93], v1 offset:1488
	s_waitcnt lgkmcnt(1)
	v_mul_f64 v[88:89], v[74:75], v[172:173]
	v_fmac_f64_e32 v[88:89], v[76:77], v[176:177]
	v_add_f64 v[86:87], v[86:87], v[88:89]
	s_waitcnt vmcnt(30)
	v_mul_f64 v[88:89], v[78:79], v[198:199]
	s_waitcnt vmcnt(28)
	v_fmac_f64_e32 v[88:89], v[80:81], v[200:201]
	v_add_f64 v[86:87], v[86:87], v[88:89]
	v_mul_f64 v[88:89], v[82:83], v[180:181]
	v_fmac_f64_e32 v[88:89], v[84:85], v[184:185]
	v_add_f64 v[98:99], v[86:87], v[88:89]
	ds_read_b128 v[86:89], v1 offset:1472
	v_mul_f64 v[94:95], v[242:243], v[94:95]
	v_fma_f64 v[252:253], v[240:241], v[96:97], -v[94:95]
	ds_read_b128 v[94:97], v1 offset:1504
	v_mul_f64 v[102:103], v[246:247], v[102:103]
	v_fma_f64 v[246:247], v[244:245], v[104:105], -v[102:103]
	;; [unrolled: 3-line block ×3, first 2 shown]
	v_add_f64 v[210:211], v[210:211], 0
	v_add_f64 v[204:205], v[210:211], v[204:205]
	;; [unrolled: 1-line block ×7, first 2 shown]
	v_mul_f64 v[4:5], v[4:5], v[118:119]
	v_add_f64 v[204:205], v[252:253], v[250:251]
	v_fma_f64 v[2:3], v[2:3], v[120:121], -v[4:5]
	v_mul_f64 v[4:5], v[8:9], v[126:127]
	v_add_f64 v[2:3], v[204:205], v[2:3]
	v_fma_f64 v[4:5], v[6:7], v[128:129], -v[4:5]
	v_add_f64 v[2:3], v[2:3], v[4:5]
	ds_read_b128 v[106:109], v1 offset:1552
	v_mul_f64 v[4:5], v[12:13], v[122:123]
	v_fma_f64 v[4:5], v[10:11], v[124:125], -v[4:5]
	v_add_f64 v[2:3], v[2:3], v[4:5]
	s_waitcnt vmcnt(26) lgkmcnt(3)
	v_mul_f64 v[100:101], v[86:87], v[202:203]
	v_mul_f64 v[4:5], v[16:17], v[138:139]
	s_waitcnt vmcnt(24)
	v_fmac_f64_e32 v[100:101], v[88:89], v[206:207]
	v_add_f64 v[98:99], v[98:99], v[100:101]
	s_waitcnt vmcnt(22)
	v_mul_f64 v[100:101], v[90:91], v[208:209]
	s_waitcnt vmcnt(20)
	v_fmac_f64_e32 v[100:101], v[92:93], v[220:221]
	v_add_f64 v[98:99], v[98:99], v[100:101]
	s_waitcnt vmcnt(18) lgkmcnt(2)
	v_mul_f64 v[100:101], v[94:95], v[218:219]
	s_waitcnt vmcnt(16)
	v_fmac_f64_e32 v[100:101], v[96:97], v[222:223]
	v_add_f64 v[110:111], v[98:99], v[100:101]
	ds_read_b128 v[98:101], v1 offset:1520
	v_fma_f64 v[4:5], v[14:15], v[140:141], -v[4:5]
	v_add_f64 v[2:3], v[2:3], v[4:5]
	v_mul_f64 v[4:5], v[20:21], v[130:131]
	v_fma_f64 v[4:5], v[18:19], v[132:133], -v[4:5]
	s_waitcnt vmcnt(14) lgkmcnt(0)
	v_mul_f64 v[112:113], v[98:99], v[226:227]
	s_waitcnt vmcnt(12)
	v_fmac_f64_e32 v[112:113], v[100:101], v[228:229]
	v_add_f64 v[110:111], v[110:111], v[112:113]
	s_waitcnt vmcnt(9)
	v_mul_f64 v[112:113], v[102:103], v[232:233]
	s_waitcnt vmcnt(7)
	v_fmac_f64_e32 v[112:113], v[104:105], v[234:235]
	v_add_f64 v[110:111], v[110:111], v[112:113]
	s_waitcnt vmcnt(5)
	v_mul_f64 v[112:113], v[106:107], v[224:225]
	s_waitcnt vmcnt(4)
	v_fmac_f64_e32 v[112:113], v[108:109], v[230:231]
	v_add_f64 v[114:115], v[110:111], v[112:113]
	ds_read_b128 v[110:113], v1 offset:1568
	buffer_load_dword v242, off, s[0:3], 0 offset:808
	buffer_load_dword v243, off, s[0:3], 0 offset:812
	;; [unrolled: 1-line block ×4, first 2 shown]
	v_add_f64 v[2:3], v[2:3], v[4:5]
	v_mul_f64 v[4:5], v[24:25], v[154:155]
	v_fma_f64 v[4:5], v[22:23], v[158:159], -v[4:5]
	s_waitcnt vmcnt(6) lgkmcnt(0)
	v_mul_f64 v[116:117], v[110:111], v[236:237]
	s_waitcnt vmcnt(4)
	v_fmac_f64_e32 v[116:117], v[112:113], v[238:239]
	v_add_f64 v[240:241], v[114:115], v[116:117]
	ds_read_b128 v[114:117], v1 offset:1584
	v_add_f64 v[2:3], v[2:3], v[4:5]
	v_mul_f64 v[4:5], v[28:29], v[134:135]
	v_fma_f64 v[4:5], v[26:27], v[136:137], -v[4:5]
	v_add_f64 v[2:3], v[2:3], v[4:5]
	v_mul_f64 v[4:5], v[32:33], v[162:163]
	v_fma_f64 v[4:5], v[30:31], v[166:167], -v[4:5]
	;; [unrolled: 3-line block ×22, first 2 shown]
	v_add_f64 v[2:3], v[2:3], v[4:5]
	s_waitcnt vmcnt(2) lgkmcnt(0)
	v_mul_f64 v[248:249], v[114:115], v[242:243]
	v_mul_f64 v[4:5], v[116:117], v[242:243]
	s_waitcnt vmcnt(0)
	v_fmac_f64_e32 v[248:249], v[116:117], v[244:245]
	v_add_f64 v[240:241], v[240:241], v[248:249]
	buffer_load_dword v248, off, s[0:3], 0 offset:208
	buffer_load_dword v249, off, s[0:3], 0 offset:212
	buffer_load_dword v246, off, s[0:3], 0 offset:216
	buffer_load_dword v247, off, s[0:3], 0 offset:220
	v_fma_f64 v[4:5], v[114:115], v[244:245], -v[4:5]
	v_add_f64 v[2:3], v[2:3], v[4:5]
	s_waitcnt vmcnt(2)
	v_add_f64 v[2:3], v[248:249], -v[2:3]
	s_waitcnt vmcnt(0)
	v_add_f64 v[4:5], v[246:247], -v[240:241]
	buffer_store_dword v3, off, s[0:3], 0 offset:212
	buffer_store_dword v2, off, s[0:3], 0 offset:208
	buffer_store_dword v5, off, s[0:3], 0 offset:220
	buffer_store_dword v4, off, s[0:3], 0 offset:216
	s_and_saveexec_b64 s[4:5], vcc
	s_cbranch_execz .LBB113_291
; %bb.290:
	v_accvgpr_read_b32 v0, a138
	buffer_load_dword v2, v0, s[0:3], 0 offen
	buffer_load_dword v3, v0, s[0:3], 0 offen offset:4
	buffer_load_dword v4, v0, s[0:3], 0 offen offset:8
	;; [unrolled: 1-line block ×3, first 2 shown]
	v_accvgpr_read_b32 v0, a150
	buffer_store_dword v1, off, s[0:3], 0 offset:192
	buffer_store_dword v1, off, s[0:3], 0 offset:196
	;; [unrolled: 1-line block ×4, first 2 shown]
	s_waitcnt vmcnt(4)
	ds_write_b128 v0, v[2:5]
.LBB113_291:
	s_or_b64 exec, exec, s[4:5]
	s_waitcnt lgkmcnt(0)
	; wave barrier
	s_waitcnt lgkmcnt(0)
	buffer_load_dword v66, off, s[0:3], 0 offset:208
	buffer_load_dword v67, off, s[0:3], 0 offset:212
	;; [unrolled: 1-line block ×42, first 2 shown]
	ds_read_b128 v[78:81], v1 offset:992
	ds_read_b128 v[90:93], v1 offset:1008
	;; [unrolled: 1-line block ×10, first 2 shown]
	buffer_load_dword v129, off, s[0:3], 0 offset:356
	buffer_load_dword v128, off, s[0:3], 0 offset:352
	ds_read_b128 v[6:9], v1 offset:1152
	buffer_load_dword v125, off, s[0:3], 0 offset:412
	buffer_load_dword v124, off, s[0:3], 0 offset:408
	;; [unrolled: 1-line block ×80, first 2 shown]
	s_waitcnt vmcnt(62) lgkmcnt(10)
	v_mul_f64 v[10:11], v[78:79], v[68:69]
	v_fmac_f64_e32 v[10:11], v[80:81], v[66:67]
	v_add_f64 v[10:11], v[10:11], 0
	v_mul_f64 v[68:69], v[80:81], v[68:69]
	s_waitcnt lgkmcnt(9)
	v_mul_f64 v[12:13], v[90:91], v[64:65]
	v_fmac_f64_e32 v[12:13], v[92:93], v[62:63]
	s_waitcnt lgkmcnt(8)
	v_mul_f64 v[14:15], v[102:103], v[70:71]
	v_add_f64 v[10:11], v[10:11], v[12:13]
	s_waitcnt lgkmcnt(6)
	v_mul_f64 v[18:19], v[114:115], v[82:83]
	v_mul_f64 v[64:65], v[92:93], v[64:65]
	v_fmac_f64_e32 v[18:19], v[116:117], v[84:85]
	v_fma_f64 v[212:213], v[90:91], v[62:63], -v[64:65]
	v_mul_f64 v[16:17], v[110:111], v[74:75]
	v_fma_f64 v[210:211], v[78:79], v[66:67], -v[68:69]
	s_waitcnt lgkmcnt(4)
	v_mul_f64 v[22:23], v[244:245], v[94:95]
	v_mul_f64 v[70:71], v[104:105], v[70:71]
	v_fmac_f64_e32 v[22:23], v[246:247], v[96:97]
	v_mul_f64 v[74:75], v[112:113], v[74:75]
	v_mul_f64 v[20:21], v[240:241], v[86:87]
	;; [unrolled: 1-line block ×3, first 2 shown]
	s_waitcnt lgkmcnt(2)
	v_mul_f64 v[26:27], v[252:253], v[106:107]
	v_fma_f64 v[216:217], v[114:115], v[84:85], -v[82:83]
	v_mul_f64 v[86:87], v[242:243], v[86:87]
	v_mul_f64 v[24:25], v[248:249], v[98:99]
	;; [unrolled: 1-line block ×3, first 2 shown]
	s_waitcnt lgkmcnt(1)
	v_mul_f64 v[28:29], v[118:119], v[4:5]
	v_fma_f64 v[246:247], v[244:245], v[96:97], -v[94:95]
	v_fmac_f64_e32 v[14:15], v[104:105], v[72:73]
	v_add_f64 v[10:11], v[10:11], v[14:15]
	v_fmac_f64_e32 v[16:17], v[112:113], v[76:77]
	v_add_f64 v[10:11], v[10:11], v[16:17]
	;; [unrolled: 2-line block ×3, first 2 shown]
	v_add_f64 v[10:11], v[10:11], v[20:21]
	v_fmac_f64_e32 v[24:25], v[250:251], v[100:101]
	v_add_f64 v[10:11], v[10:11], v[22:23]
	v_fmac_f64_e32 v[26:27], v[254:255], v[108:109]
	v_add_f64 v[10:11], v[10:11], v[24:25]
	v_add_f64 v[10:11], v[10:11], v[26:27]
	s_waitcnt lgkmcnt(0)
	v_mul_f64 v[16:17], v[6:7], v[2:3]
	v_fmac_f64_e32 v[28:29], v[120:121], v[128:129]
	v_add_f64 v[14:15], v[10:11], v[28:29]
	ds_read_b128 v[10:13], v1 offset:1168
	v_fmac_f64_e32 v[16:17], v[8:9], v[122:123]
	v_add_f64 v[18:19], v[14:15], v[16:17]
	ds_read_b128 v[14:17], v1 offset:1184
	v_fma_f64 v[214:215], v[110:111], v[76:77], -v[74:75]
	s_waitcnt lgkmcnt(1)
	v_mul_f64 v[20:21], v[10:11], v[130:131]
	v_fmac_f64_e32 v[20:21], v[12:13], v[146:147]
	v_add_f64 v[22:23], v[18:19], v[20:21]
	ds_read_b128 v[18:21], v1 offset:1200
	s_waitcnt lgkmcnt(1)
	v_mul_f64 v[24:25], v[14:15], v[124:125]
	v_fmac_f64_e32 v[24:25], v[16:17], v[126:127]
	v_add_f64 v[26:27], v[22:23], v[24:25]
	ds_read_b128 v[22:25], v1 offset:1216
	;; [unrolled: 5-line block ×4, first 2 shown]
	s_waitcnt vmcnt(58) lgkmcnt(1)
	v_mul_f64 v[36:37], v[26:27], v[158:159]
	s_waitcnt vmcnt(56)
	v_fmac_f64_e32 v[36:37], v[28:29], v[162:163]
	v_add_f64 v[38:39], v[34:35], v[36:37]
	ds_read_b128 v[34:37], v1 offset:1264
	s_waitcnt lgkmcnt(1)
	v_mul_f64 v[40:41], v[30:31], v[136:137]
	v_fmac_f64_e32 v[40:41], v[32:33], v[138:139]
	v_add_f64 v[42:43], v[38:39], v[40:41]
	ds_read_b128 v[38:41], v1 offset:1280
	s_waitcnt vmcnt(50) lgkmcnt(1)
	v_mul_f64 v[44:45], v[34:35], v[166:167]
	s_waitcnt vmcnt(48)
	v_fmac_f64_e32 v[44:45], v[36:37], v[170:171]
	v_add_f64 v[46:47], v[42:43], v[44:45]
	ds_read_b128 v[42:45], v1 offset:1296
	s_waitcnt lgkmcnt(1)
	v_mul_f64 v[48:49], v[38:39], v[140:141]
	v_fmac_f64_e32 v[48:49], v[40:41], v[142:143]
	v_add_f64 v[50:51], v[46:47], v[48:49]
	ds_read_b128 v[46:49], v1 offset:1312
	s_waitcnt vmcnt(42) lgkmcnt(1)
	v_mul_f64 v[52:53], v[42:43], v[174:175]
	s_waitcnt vmcnt(40)
	v_fmac_f64_e32 v[52:53], v[44:45], v[178:179]
	v_add_f64 v[54:55], v[50:51], v[52:53]
	ds_read_b128 v[50:53], v1 offset:1328
	s_waitcnt lgkmcnt(1)
	v_mul_f64 v[56:57], v[46:47], v[144:145]
	buffer_load_dword v209, off, s[0:3], 0 offset:716
	buffer_load_dword v208, off, s[0:3], 0 offset:712
	;; [unrolled: 1-line block ×4, first 2 shown]
	v_fmac_f64_e32 v[56:57], v[48:49], v[148:149]
	v_add_f64 v[58:59], v[54:55], v[56:57]
	ds_read_b128 v[54:57], v1 offset:1344
	buffer_load_dword v222, off, s[0:3], 0 offset:728
	buffer_load_dword v224, off, s[0:3], 0 offset:720
	;; [unrolled: 1-line block ×16, first 2 shown]
	s_waitcnt vmcnt(54) lgkmcnt(1)
	v_mul_f64 v[60:61], v[50:51], v[182:183]
	s_waitcnt vmcnt(52)
	v_fmac_f64_e32 v[60:61], v[52:53], v[186:187]
	v_add_f64 v[204:205], v[58:59], v[60:61]
	ds_read_b128 v[58:61], v1 offset:1360
	buffer_load_dword v236, off, s[0:3], 0 offset:792
	buffer_load_dword v238, off, s[0:3], 0 offset:784
	;; [unrolled: 1-line block ×4, first 2 shown]
	ds_read_b128 v[62:65], v1 offset:1376
	s_waitcnt lgkmcnt(2)
	v_mul_f64 v[66:67], v[54:55], v[152:153]
	v_fmac_f64_e32 v[66:67], v[56:57], v[156:157]
	s_waitcnt vmcnt(50) lgkmcnt(1)
	v_mul_f64 v[68:69], v[58:59], v[190:191]
	v_add_f64 v[66:67], v[204:205], v[66:67]
	s_waitcnt vmcnt(48)
	v_fmac_f64_e32 v[68:69], v[60:61], v[192:193]
	v_add_f64 v[66:67], v[66:67], v[68:69]
	v_fma_f64 v[204:205], v[102:103], v[72:73], -v[70:71]
	ds_read_b128 v[70:73], v1 offset:1408
	s_waitcnt lgkmcnt(1)
	v_mul_f64 v[68:69], v[62:63], v[160:161]
	v_fmac_f64_e32 v[68:69], v[64:65], v[164:165]
	v_add_f64 v[78:79], v[66:67], v[68:69]
	ds_read_b128 v[66:69], v1 offset:1392
	ds_read_b128 v[74:77], v1 offset:1424
	;; [unrolled: 1-line block ×3, first 2 shown]
	v_accvgpr_write_b32 a153, v3
	v_accvgpr_write_b32 a152, v2
	s_waitcnt vmcnt(42) lgkmcnt(2)
	v_mul_f64 v[80:81], v[66:67], v[194:195]
	s_waitcnt vmcnt(40)
	v_fmac_f64_e32 v[80:81], v[68:69], v[196:197]
	v_add_f64 v[78:79], v[78:79], v[80:81]
	v_mul_f64 v[80:81], v[70:71], v[168:169]
	v_fmac_f64_e32 v[80:81], v[72:73], v[172:173]
	v_add_f64 v[90:91], v[78:79], v[80:81]
	ds_read_b128 v[78:81], v1 offset:1440
	s_waitcnt vmcnt(34) lgkmcnt(2)
	v_mul_f64 v[92:93], v[74:75], v[198:199]
	s_waitcnt vmcnt(32)
	v_fmac_f64_e32 v[92:93], v[76:77], v[200:201]
	v_fma_f64 v[2:3], v[240:241], v[88:89], -v[86:87]
	ds_read_b128 v[86:89], v1 offset:1472
	ds_read_b128 v[94:97], v1 offset:1504
	v_add_f64 v[90:91], v[90:91], v[92:93]
	s_waitcnt lgkmcnt(2)
	v_mul_f64 v[92:93], v[78:79], v[176:177]
	v_fmac_f64_e32 v[92:93], v[80:81], v[180:181]
	v_add_f64 v[90:91], v[90:91], v[92:93]
	s_waitcnt vmcnt(26)
	v_mul_f64 v[92:93], v[82:83], v[202:203]
	s_waitcnt vmcnt(24)
	v_fmac_f64_e32 v[92:93], v[84:85], v[206:207]
	v_add_f64 v[90:91], v[90:91], v[92:93]
	s_waitcnt lgkmcnt(1)
	v_mul_f64 v[92:93], v[86:87], v[184:185]
	v_fmac_f64_e32 v[92:93], v[88:89], v[188:189]
	v_add_f64 v[102:103], v[90:91], v[92:93]
	ds_read_b128 v[90:93], v1 offset:1488
	v_mul_f64 v[98:99], v[250:251], v[98:99]
	v_fma_f64 v[250:251], v[248:249], v[100:101], -v[98:99]
	ds_read_b128 v[98:101], v1 offset:1520
	v_mul_f64 v[106:107], v[254:255], v[106:107]
	v_fma_f64 v[252:253], v[252:253], v[108:109], -v[106:107]
	v_add_f64 v[210:211], v[210:211], 0
	v_add_f64 v[210:211], v[210:211], v[212:213]
	;; [unrolled: 1-line block ×8, first 2 shown]
	v_mul_f64 v[4:5], v[120:121], v[4:5]
	v_add_f64 v[2:3], v[2:3], v[252:253]
	v_fma_f64 v[4:5], v[118:119], v[128:129], -v[4:5]
	v_add_f64 v[2:3], v[2:3], v[4:5]
	ds_read_b128 v[106:109], v1 offset:1552
	s_waitcnt vmcnt(13) lgkmcnt(1)
	v_mul_f64 v[112:113], v[98:99], v[226:227]
	v_mul_f64 v[104:105], v[90:91], v[208:209]
	s_waitcnt vmcnt(11)
	v_fmac_f64_e32 v[112:113], v[100:101], v[232:233]
	v_fmac_f64_e32 v[104:105], v[92:93], v[218:219]
	v_add_f64 v[102:103], v[102:103], v[104:105]
	v_mul_f64 v[104:105], v[94:95], v[222:223]
	v_fmac_f64_e32 v[104:105], v[96:97], v[224:225]
	v_add_f64 v[110:111], v[102:103], v[104:105]
	ds_read_b128 v[102:105], v1 offset:1536
	v_add_f64 v[110:111], v[110:111], v[112:113]
	s_waitcnt vmcnt(10) lgkmcnt(0)
	v_mul_f64 v[112:113], v[102:103], v[220:221]
	s_waitcnt vmcnt(8)
	v_fmac_f64_e32 v[112:113], v[104:105], v[230:231]
	v_add_f64 v[110:111], v[110:111], v[112:113]
	s_waitcnt vmcnt(6)
	v_mul_f64 v[112:113], v[106:107], v[228:229]
	s_waitcnt vmcnt(4)
	v_fmac_f64_e32 v[112:113], v[108:109], v[234:235]
	v_add_f64 v[114:115], v[110:111], v[112:113]
	ds_read_b128 v[110:113], v1 offset:1568
	buffer_load_dword v243, off, s[0:3], 0 offset:812
	buffer_load_dword v242, off, s[0:3], 0 offset:808
	;; [unrolled: 1-line block ×4, first 2 shown]
	s_waitcnt vmcnt(5) lgkmcnt(0)
	v_mul_f64 v[116:117], v[110:111], v[236:237]
	s_waitcnt vmcnt(4)
	v_fmac_f64_e32 v[116:117], v[112:113], v[238:239]
	v_add_f64 v[240:241], v[114:115], v[116:117]
	ds_read_b128 v[114:117], v1 offset:1584
	v_accvgpr_read_b32 v0, a152
	v_accvgpr_read_b32 v1, a153
	v_mul_f64 v[4:5], v[8:9], v[0:1]
	v_fma_f64 v[4:5], v[6:7], v[122:123], -v[4:5]
	v_add_f64 v[2:3], v[2:3], v[4:5]
	v_mul_f64 v[4:5], v[12:13], v[130:131]
	v_fma_f64 v[4:5], v[10:11], v[146:147], -v[4:5]
	v_add_f64 v[2:3], v[2:3], v[4:5]
	;; [unrolled: 3-line block ×22, first 2 shown]
	v_mul_f64 v[4:5], v[96:97], v[222:223]
	v_fma_f64 v[4:5], v[94:95], v[224:225], -v[4:5]
	s_waitcnt vmcnt(2) lgkmcnt(0)
	v_mul_f64 v[248:249], v[114:115], v[242:243]
	v_add_f64 v[2:3], v[2:3], v[4:5]
	s_waitcnt vmcnt(0)
	v_fmac_f64_e32 v[248:249], v[116:117], v[244:245]
	v_add_f64 v[240:241], v[240:241], v[248:249]
	buffer_load_dword v248, off, s[0:3], 0 offset:192
	buffer_load_dword v249, off, s[0:3], 0 offset:196
	;; [unrolled: 1-line block ×4, first 2 shown]
	v_mul_f64 v[4:5], v[100:101], v[226:227]
	v_fma_f64 v[4:5], v[98:99], v[232:233], -v[4:5]
	v_add_f64 v[2:3], v[2:3], v[4:5]
	v_mul_f64 v[4:5], v[104:105], v[220:221]
	v_fma_f64 v[4:5], v[102:103], v[230:231], -v[4:5]
	v_add_f64 v[2:3], v[2:3], v[4:5]
	;; [unrolled: 3-line block ×5, first 2 shown]
	v_accvgpr_read_b32 v0, a149
	v_cmp_lt_u32_e32 vcc, 10, v0
	s_waitcnt vmcnt(2)
	v_add_f64 v[2:3], v[248:249], -v[2:3]
	s_waitcnt vmcnt(0)
	v_add_f64 v[4:5], v[246:247], -v[240:241]
	buffer_store_dword v3, off, s[0:3], 0 offset:196
	buffer_store_dword v2, off, s[0:3], 0 offset:192
	;; [unrolled: 1-line block ×4, first 2 shown]
	s_and_saveexec_b64 s[4:5], vcc
	s_cbranch_execz .LBB113_293
; %bb.292:
	v_accvgpr_read_b32 v0, a139
	buffer_load_dword v2, v0, s[0:3], 0 offen
	buffer_load_dword v3, v0, s[0:3], 0 offen offset:4
	buffer_load_dword v4, v0, s[0:3], 0 offen offset:8
	;; [unrolled: 1-line block ×3, first 2 shown]
	v_mov_b32_e32 v0, 0
	v_accvgpr_read_b32 v1, a150
	buffer_store_dword v0, off, s[0:3], 0 offset:176
	buffer_store_dword v0, off, s[0:3], 0 offset:180
	;; [unrolled: 1-line block ×4, first 2 shown]
	s_waitcnt vmcnt(4)
	ds_write_b128 v1, v[2:5]
.LBB113_293:
	s_or_b64 exec, exec, s[4:5]
	s_waitcnt lgkmcnt(0)
	; wave barrier
	s_waitcnt lgkmcnt(0)
	buffer_load_dword v54, off, s[0:3], 0 offset:192
	buffer_load_dword v55, off, s[0:3], 0 offset:196
	;; [unrolled: 1-line block ×49, first 2 shown]
	s_waitcnt vmcnt(8)
	v_pk_mov_b32 v[2:3], v[0:1], v[0:1] op_sel:[0,1]
	v_mov_b32_e32 v1, 0
	ds_read_b128 v[62:65], v1 offset:976
	ds_read_b128 v[74:77], v1 offset:992
	;; [unrolled: 1-line block ×11, first 2 shown]
	s_waitcnt lgkmcnt(10)
	v_mul_f64 v[6:7], v[62:63], v[56:57]
	s_waitcnt lgkmcnt(9)
	v_mul_f64 v[8:9], v[74:75], v[60:61]
	v_fmac_f64_e32 v[6:7], v[64:65], v[54:55]
	s_waitcnt lgkmcnt(8)
	v_mul_f64 v[10:11], v[86:87], v[66:67]
	v_fmac_f64_e32 v[8:9], v[76:77], v[58:59]
	v_add_f64 v[6:7], v[6:7], 0
	s_waitcnt lgkmcnt(7)
	v_mul_f64 v[12:13], v[98:99], v[70:71]
	v_fmac_f64_e32 v[10:11], v[88:89], v[68:69]
	v_add_f64 v[6:7], v[6:7], v[8:9]
	s_waitcnt lgkmcnt(6)
	v_mul_f64 v[14:15], v[110:111], v[78:79]
	v_fmac_f64_e32 v[12:13], v[100:101], v[72:73]
	v_add_f64 v[6:7], v[6:7], v[10:11]
	s_waitcnt lgkmcnt(5)
	v_mul_f64 v[16:17], v[114:115], v[82:83]
	v_fmac_f64_e32 v[14:15], v[112:113], v[80:81]
	v_add_f64 v[6:7], v[6:7], v[12:13]
	buffer_load_dword v126, off, s[0:3], 0 offset:376
	buffer_load_dword v143, off, s[0:3], 0 offset:372
	buffer_load_dword v142, off, s[0:3], 0 offset:368
	buffer_load_dword v129, off, s[0:3], 0 offset:428
	buffer_load_dword v128, off, s[0:3], 0 offset:424
	buffer_load_dword v131, off, s[0:3], 0 offset:420
	buffer_load_dword v130, off, s[0:3], 0 offset:416
	buffer_load_dword v147, off, s[0:3], 0 offset:412
	buffer_load_dword v146, off, s[0:3], 0 offset:408
	buffer_load_dword v151, off, s[0:3], 0 offset:404
	buffer_load_dword v150, off, s[0:3], 0 offset:400
	buffer_load_dword v133, off, s[0:3], 0 offset:460
	buffer_load_dword v132, off, s[0:3], 0 offset:456
	buffer_load_dword v135, off, s[0:3], 0 offset:452
	buffer_load_dword v134, off, s[0:3], 0 offset:448
	buffer_load_dword v155, off, s[0:3], 0 offset:444
	buffer_load_dword v154, off, s[0:3], 0 offset:440
	buffer_load_dword v159, off, s[0:3], 0 offset:436
	buffer_load_dword v158, off, s[0:3], 0 offset:432
	buffer_load_dword v137, off, s[0:3], 0 offset:492
	buffer_load_dword v136, off, s[0:3], 0 offset:488
	buffer_load_dword v139, off, s[0:3], 0 offset:484
	buffer_load_dword v138, off, s[0:3], 0 offset:480
	buffer_load_dword v163, off, s[0:3], 0 offset:476
	buffer_load_dword v162, off, s[0:3], 0 offset:472
	buffer_load_dword v167, off, s[0:3], 0 offset:468
	buffer_load_dword v166, off, s[0:3], 0 offset:464
	buffer_load_dword v141, off, s[0:3], 0 offset:524
	buffer_load_dword v140, off, s[0:3], 0 offset:520
	buffer_load_dword v145, off, s[0:3], 0 offset:516
	buffer_load_dword v144, off, s[0:3], 0 offset:512
	buffer_load_dword v171, off, s[0:3], 0 offset:508
	buffer_load_dword v170, off, s[0:3], 0 offset:504
	buffer_load_dword v175, off, s[0:3], 0 offset:500
	buffer_load_dword v174, off, s[0:3], 0 offset:496
	buffer_load_dword v149, off, s[0:3], 0 offset:556
	buffer_load_dword v148, off, s[0:3], 0 offset:552
	buffer_load_dword v153, off, s[0:3], 0 offset:548
	buffer_load_dword v152, off, s[0:3], 0 offset:544
	buffer_load_dword v179, off, s[0:3], 0 offset:540
	buffer_load_dword v178, off, s[0:3], 0 offset:536
	buffer_load_dword v183, off, s[0:3], 0 offset:532
	buffer_load_dword v182, off, s[0:3], 0 offset:528
	buffer_load_dword v157, off, s[0:3], 0 offset:588
	buffer_load_dword v156, off, s[0:3], 0 offset:584
	buffer_load_dword v161, off, s[0:3], 0 offset:580
	buffer_load_dword v160, off, s[0:3], 0 offset:576
	buffer_load_dword v187, off, s[0:3], 0 offset:572
	buffer_load_dword v186, off, s[0:3], 0 offset:568
	buffer_load_dword v189, off, s[0:3], 0 offset:564
	buffer_load_dword v188, off, s[0:3], 0 offset:560
	buffer_load_dword v165, off, s[0:3], 0 offset:620
	buffer_load_dword v164, off, s[0:3], 0 offset:616
	buffer_load_dword v169, off, s[0:3], 0 offset:612
	buffer_load_dword v168, off, s[0:3], 0 offset:608
	buffer_load_dword v191, off, s[0:3], 0 offset:604
	buffer_load_dword v190, off, s[0:3], 0 offset:600
	buffer_load_dword v193, off, s[0:3], 0 offset:596
	buffer_load_dword v192, off, s[0:3], 0 offset:592
	buffer_load_dword v173, off, s[0:3], 0 offset:652
	buffer_load_dword v172, off, s[0:3], 0 offset:648
	buffer_load_dword v177, off, s[0:3], 0 offset:644
	buffer_load_dword v176, off, s[0:3], 0 offset:640
	buffer_load_dword v195, off, s[0:3], 0 offset:636
	buffer_load_dword v194, off, s[0:3], 0 offset:632
	buffer_load_dword v197, off, s[0:3], 0 offset:628
	buffer_load_dword v196, off, s[0:3], 0 offset:624
	buffer_load_dword v181, off, s[0:3], 0 offset:684
	buffer_load_dword v180, off, s[0:3], 0 offset:680
	buffer_load_dword v185, off, s[0:3], 0 offset:676
	buffer_load_dword v184, off, s[0:3], 0 offset:672
	buffer_load_dword v199, off, s[0:3], 0 offset:668
	buffer_load_dword v198, off, s[0:3], 0 offset:664
	buffer_load_dword v201, off, s[0:3], 0 offset:660
	buffer_load_dword v200, off, s[0:3], 0 offset:656
	s_waitcnt lgkmcnt(4)
	v_mul_f64 v[18:19], v[236:237], v[90:91]
	v_fmac_f64_e32 v[16:17], v[116:117], v[84:85]
	v_add_f64 v[6:7], v[6:7], v[14:15]
	s_waitcnt lgkmcnt(3)
	v_mul_f64 v[20:21], v[240:241], v[94:95]
	v_fmac_f64_e32 v[18:19], v[238:239], v[92:93]
	v_add_f64 v[6:7], v[6:7], v[16:17]
	;; [unrolled: 4-line block ×4, first 2 shown]
	v_add_f64 v[6:7], v[6:7], v[22:23]
	s_waitcnt vmcnt(62)
	v_fmac_f64_e32 v[24:25], v[250:251], v[108:109]
	v_add_f64 v[10:11], v[6:7], v[24:25]
	ds_read_b128 v[6:9], v1 offset:1152
	s_waitcnt lgkmcnt(1)
	v_mul_f64 v[12:13], v[118:119], v[4:5]
	v_fmac_f64_e32 v[12:13], v[120:121], v[2:3]
	v_add_f64 v[14:15], v[10:11], v[12:13]
	ds_read_b128 v[10:13], v1 offset:1168
	s_waitcnt lgkmcnt(1)
	v_mul_f64 v[16:17], v[6:7], v[126:127]
	;; [unrolled: 5-line block ×5, first 2 shown]
	v_fmac_f64_e32 v[28:29], v[20:21], v[130:131]
	v_add_f64 v[30:31], v[26:27], v[28:29]
	ds_read_b128 v[26:29], v1 offset:1232
	s_waitcnt vmcnt(58) lgkmcnt(1)
	v_mul_f64 v[32:33], v[22:23], v[154:155]
	s_waitcnt vmcnt(56)
	v_fmac_f64_e32 v[32:33], v[24:25], v[158:159]
	v_add_f64 v[34:35], v[30:31], v[32:33]
	ds_read_b128 v[30:33], v1 offset:1248
	s_waitcnt lgkmcnt(1)
	v_mul_f64 v[36:37], v[26:27], v[132:133]
	v_fmac_f64_e32 v[36:37], v[28:29], v[134:135]
	v_add_f64 v[38:39], v[34:35], v[36:37]
	ds_read_b128 v[34:37], v1 offset:1264
	s_waitcnt vmcnt(50) lgkmcnt(1)
	v_mul_f64 v[40:41], v[30:31], v[162:163]
	s_waitcnt vmcnt(48)
	v_fmac_f64_e32 v[40:41], v[32:33], v[166:167]
	v_add_f64 v[42:43], v[38:39], v[40:41]
	ds_read_b128 v[38:41], v1 offset:1280
	s_waitcnt lgkmcnt(1)
	v_mul_f64 v[44:45], v[34:35], v[136:137]
	;; [unrolled: 11-line block ×3, first 2 shown]
	buffer_load_dword v203, off, s[0:3], 0 offset:700
	buffer_load_dword v202, off, s[0:3], 0 offset:696
	;; [unrolled: 1-line block ×4, first 2 shown]
	v_fmac_f64_e32 v[52:53], v[44:45], v[144:145]
	v_add_f64 v[204:205], v[50:51], v[52:53]
	ds_read_b128 v[50:53], v1 offset:1328
	buffer_load_dword v208, off, s[0:3], 0 offset:712
	buffer_load_dword v218, off, s[0:3], 0 offset:704
	;; [unrolled: 1-line block ×20, first 2 shown]
	s_waitcnt vmcnt(58) lgkmcnt(1)
	v_mul_f64 v[210:211], v[46:47], v[178:179]
	s_waitcnt vmcnt(56)
	v_fmac_f64_e32 v[210:211], v[48:49], v[182:183]
	v_mul_f64 v[56:57], v[64:65], v[56:57]
	v_add_f64 v[204:205], v[204:205], v[210:211]
	v_fma_f64 v[210:211], v[62:63], v[54:55], -v[56:57]
	ds_read_b128 v[54:57], v1 offset:1344
	v_mul_f64 v[60:61], v[76:77], v[60:61]
	v_fma_f64 v[212:213], v[74:75], v[58:59], -v[60:61]
	ds_read_b128 v[58:61], v1 offset:1360
	s_waitcnt lgkmcnt(2)
	v_mul_f64 v[62:63], v[50:51], v[148:149]
	v_fmac_f64_e32 v[62:63], v[52:53], v[152:153]
	s_waitcnt vmcnt(50) lgkmcnt(1)
	v_mul_f64 v[64:65], v[54:55], v[186:187]
	v_add_f64 v[62:63], v[204:205], v[62:63]
	s_waitcnt vmcnt(48)
	v_fmac_f64_e32 v[64:65], v[56:57], v[188:189]
	v_add_f64 v[62:63], v[62:63], v[64:65]
	s_waitcnt lgkmcnt(0)
	v_mul_f64 v[64:65], v[58:59], v[156:157]
	v_fmac_f64_e32 v[64:65], v[60:61], v[160:161]
	v_add_f64 v[74:75], v[62:63], v[64:65]
	ds_read_b128 v[62:65], v1 offset:1376
	v_mul_f64 v[66:67], v[88:89], v[66:67]
	v_fma_f64 v[204:205], v[86:87], v[68:69], -v[66:67]
	ds_read_b128 v[66:69], v1 offset:1392
	v_mul_f64 v[70:71], v[100:101], v[70:71]
	s_waitcnt vmcnt(42) lgkmcnt(1)
	v_mul_f64 v[76:77], v[62:63], v[190:191]
	s_waitcnt vmcnt(40)
	v_fmac_f64_e32 v[76:77], v[64:65], v[192:193]
	v_add_f64 v[74:75], v[74:75], v[76:77]
	v_fma_f64 v[214:215], v[98:99], v[72:73], -v[70:71]
	ds_read_b128 v[70:73], v1 offset:1408
	s_waitcnt lgkmcnt(1)
	v_mul_f64 v[76:77], v[66:67], v[164:165]
	v_fmac_f64_e32 v[76:77], v[68:69], v[168:169]
	v_add_f64 v[86:87], v[74:75], v[76:77]
	ds_read_b128 v[74:77], v1 offset:1424
	v_mul_f64 v[78:79], v[112:113], v[78:79]
	v_fma_f64 v[216:217], v[110:111], v[80:81], -v[78:79]
	ds_read_b128 v[78:81], v1 offset:1440
	s_waitcnt vmcnt(34) lgkmcnt(2)
	v_mul_f64 v[88:89], v[70:71], v[194:195]
	v_mul_f64 v[82:83], v[116:117], v[82:83]
	s_waitcnt vmcnt(32)
	v_fmac_f64_e32 v[88:89], v[72:73], v[196:197]
	v_fma_f64 v[252:253], v[114:115], v[84:85], -v[82:83]
	ds_read_b128 v[82:85], v1 offset:1456
	v_add_f64 v[86:87], v[86:87], v[88:89]
	s_waitcnt lgkmcnt(2)
	v_mul_f64 v[88:89], v[74:75], v[172:173]
	v_fmac_f64_e32 v[88:89], v[76:77], v[176:177]
	v_add_f64 v[86:87], v[86:87], v[88:89]
	s_waitcnt vmcnt(26) lgkmcnt(1)
	v_mul_f64 v[88:89], v[78:79], v[198:199]
	s_waitcnt vmcnt(24)
	v_fmac_f64_e32 v[88:89], v[80:81], v[200:201]
	v_add_f64 v[86:87], v[86:87], v[88:89]
	s_waitcnt lgkmcnt(0)
	v_mul_f64 v[88:89], v[82:83], v[180:181]
	v_fmac_f64_e32 v[88:89], v[84:85], v[184:185]
	v_add_f64 v[98:99], v[86:87], v[88:89]
	ds_read_b128 v[86:89], v1 offset:1472
	v_mul_f64 v[90:91], v[238:239], v[90:91]
	v_fma_f64 v[254:255], v[236:237], v[92:93], -v[90:91]
	ds_read_b128 v[90:93], v1 offset:1488
	v_accvgpr_write_b32 a153, v3
	v_mul_f64 v[94:95], v[242:243], v[94:95]
	v_accvgpr_write_b32 a152, v2
	v_fma_f64 v[2:3], v[240:241], v[96:97], -v[94:95]
	ds_read_b128 v[94:97], v1 offset:1504
	v_mul_f64 v[102:103], v[246:247], v[102:103]
	v_fma_f64 v[246:247], v[244:245], v[104:105], -v[102:103]
	ds_read_b128 v[102:105], v1 offset:1536
	v_mul_f64 v[106:107], v[250:251], v[106:107]
	v_fma_f64 v[250:251], v[248:249], v[108:109], -v[106:107]
	ds_read_b128 v[106:109], v1 offset:1552
	v_add_f64 v[210:211], v[210:211], 0
	v_add_f64 v[210:211], v[210:211], v[212:213]
	;; [unrolled: 1-line block ×6, first 2 shown]
	s_waitcnt vmcnt(22) lgkmcnt(4)
	v_mul_f64 v[100:101], v[86:87], v[202:203]
	v_add_f64 v[204:205], v[204:205], v[254:255]
	s_waitcnt vmcnt(20)
	v_fmac_f64_e32 v[100:101], v[88:89], v[206:207]
	v_add_f64 v[98:99], v[98:99], v[100:101]
	v_add_f64 v[2:3], v[204:205], v[2:3]
	s_waitcnt vmcnt(17) lgkmcnt(3)
	v_mul_f64 v[100:101], v[90:91], v[208:209]
	s_waitcnt vmcnt(16)
	v_fmac_f64_e32 v[100:101], v[92:93], v[218:219]
	v_add_f64 v[110:111], v[98:99], v[100:101]
	ds_read_b128 v[98:101], v1 offset:1520
	s_waitcnt vmcnt(14) lgkmcnt(3)
	v_mul_f64 v[112:113], v[94:95], v[222:223]
	s_waitcnt vmcnt(12)
	v_fmac_f64_e32 v[112:113], v[96:97], v[226:227]
	buffer_load_dword v237, off, s[0:3], 0 offset:796
	buffer_load_dword v236, off, s[0:3], 0 offset:792
	;; [unrolled: 1-line block ×4, first 2 shown]
	v_add_f64 v[110:111], v[110:111], v[112:113]
	s_waitcnt vmcnt(14) lgkmcnt(0)
	v_mul_f64 v[112:113], v[98:99], v[224:225]
	s_waitcnt vmcnt(12)
	v_fmac_f64_e32 v[112:113], v[100:101], v[228:229]
	v_add_f64 v[110:111], v[110:111], v[112:113]
	s_waitcnt vmcnt(9)
	v_mul_f64 v[112:113], v[102:103], v[232:233]
	s_waitcnt vmcnt(7)
	v_fmac_f64_e32 v[112:113], v[104:105], v[234:235]
	v_add_f64 v[110:111], v[110:111], v[112:113]
	s_waitcnt vmcnt(5)
	v_mul_f64 v[112:113], v[106:107], v[220:221]
	s_waitcnt vmcnt(4)
	v_fmac_f64_e32 v[112:113], v[108:109], v[230:231]
	v_add_f64 v[114:115], v[110:111], v[112:113]
	ds_read_b128 v[110:113], v1 offset:1568
	buffer_load_dword v242, off, s[0:3], 0 offset:808
	buffer_load_dword v243, off, s[0:3], 0 offset:812
	;; [unrolled: 1-line block ×4, first 2 shown]
	v_add_f64 v[252:253], v[2:3], v[246:247]
	v_mul_f64 v[4:5], v[120:121], v[4:5]
	v_accvgpr_read_b32 v120, a152
	v_accvgpr_read_b32 v121, a153
	v_add_f64 v[2:3], v[252:253], v[250:251]
	v_fma_f64 v[4:5], v[118:119], v[120:121], -v[4:5]
	v_add_f64 v[2:3], v[2:3], v[4:5]
	v_mul_f64 v[4:5], v[8:9], v[126:127]
	v_fma_f64 v[4:5], v[6:7], v[142:143], -v[4:5]
	v_add_f64 v[2:3], v[2:3], v[4:5]
	v_mul_f64 v[4:5], v[12:13], v[122:123]
	;; [unrolled: 3-line block ×20, first 2 shown]
	s_waitcnt vmcnt(6) lgkmcnt(0)
	v_mul_f64 v[116:117], v[110:111], v[236:237]
	v_fma_f64 v[4:5], v[82:83], v[184:185], -v[4:5]
	s_waitcnt vmcnt(4)
	v_fmac_f64_e32 v[116:117], v[112:113], v[238:239]
	v_add_f64 v[240:241], v[114:115], v[116:117]
	ds_read_b128 v[114:117], v1 offset:1584
	v_add_f64 v[2:3], v[2:3], v[4:5]
	v_mul_f64 v[4:5], v[88:89], v[202:203]
	v_fma_f64 v[4:5], v[86:87], v[206:207], -v[4:5]
	v_add_f64 v[2:3], v[2:3], v[4:5]
	v_mul_f64 v[4:5], v[92:93], v[208:209]
	v_fma_f64 v[4:5], v[90:91], v[218:219], -v[4:5]
	v_add_f64 v[2:3], v[2:3], v[4:5]
	s_waitcnt vmcnt(2) lgkmcnt(0)
	v_mul_f64 v[248:249], v[114:115], v[242:243]
	v_mul_f64 v[4:5], v[96:97], v[222:223]
	s_waitcnt vmcnt(0)
	v_fmac_f64_e32 v[248:249], v[116:117], v[244:245]
	v_add_f64 v[240:241], v[240:241], v[248:249]
	buffer_load_dword v248, off, s[0:3], 0 offset:176
	buffer_load_dword v249, off, s[0:3], 0 offset:180
	;; [unrolled: 1-line block ×4, first 2 shown]
	v_fma_f64 v[4:5], v[94:95], v[226:227], -v[4:5]
	v_add_f64 v[2:3], v[2:3], v[4:5]
	v_mul_f64 v[4:5], v[100:101], v[224:225]
	v_fma_f64 v[4:5], v[98:99], v[228:229], -v[4:5]
	v_add_f64 v[2:3], v[2:3], v[4:5]
	v_mul_f64 v[4:5], v[104:105], v[232:233]
	;; [unrolled: 3-line block ×5, first 2 shown]
	v_fma_f64 v[4:5], v[114:115], v[244:245], -v[4:5]
	v_add_f64 v[2:3], v[2:3], v[4:5]
	v_accvgpr_read_b32 v0, a149
	v_cmp_lt_u32_e32 vcc, 9, v0
	s_waitcnt vmcnt(2)
	v_add_f64 v[2:3], v[248:249], -v[2:3]
	s_waitcnt vmcnt(0)
	v_add_f64 v[4:5], v[246:247], -v[240:241]
	buffer_store_dword v3, off, s[0:3], 0 offset:180
	buffer_store_dword v2, off, s[0:3], 0 offset:176
	;; [unrolled: 1-line block ×4, first 2 shown]
	s_and_saveexec_b64 s[4:5], vcc
	s_cbranch_execz .LBB113_295
; %bb.294:
	v_accvgpr_read_b32 v0, a140
	buffer_load_dword v2, v0, s[0:3], 0 offen
	buffer_load_dword v3, v0, s[0:3], 0 offen offset:4
	buffer_load_dword v4, v0, s[0:3], 0 offen offset:8
	buffer_load_dword v5, v0, s[0:3], 0 offen offset:12
	v_accvgpr_read_b32 v0, a150
	buffer_store_dword v1, off, s[0:3], 0 offset:160
	buffer_store_dword v1, off, s[0:3], 0 offset:164
	buffer_store_dword v1, off, s[0:3], 0 offset:168
	buffer_store_dword v1, off, s[0:3], 0 offset:172
	s_waitcnt vmcnt(4)
	ds_write_b128 v0, v[2:5]
.LBB113_295:
	s_or_b64 exec, exec, s[4:5]
	s_waitcnt lgkmcnt(0)
	; wave barrier
	s_waitcnt lgkmcnt(0)
	buffer_load_dword v56, off, s[0:3], 0 offset:176
	buffer_load_dword v57, off, s[0:3], 0 offset:180
	;; [unrolled: 1-line block ×42, first 2 shown]
	ds_read_b128 v[78:81], v1 offset:960
	ds_read_b128 v[90:93], v1 offset:976
	;; [unrolled: 1-line block ×10, first 2 shown]
	buffer_load_dword v105, off, s[0:3], 0 offset:324
	buffer_load_dword v104, off, s[0:3], 0 offset:320
	ds_read_b128 v[106:109], v1 offset:1120
	buffer_load_dword v3, off, s[0:3], 0 offset:380
	buffer_load_dword v2, off, s[0:3], 0 offset:376
	s_waitcnt vmcnt(38) lgkmcnt(9)
	v_mul_f64 v[4:5], v[90:91], v[62:63]
	v_fmac_f64_e32 v[4:5], v[92:93], v[54:55]
	s_waitcnt vmcnt(36) lgkmcnt(8)
	v_mul_f64 v[6:7], v[114:115], v[58:59]
	v_mul_f64 v[58:59], v[116:117], v[58:59]
	s_waitcnt vmcnt(34) lgkmcnt(6)
	v_mul_f64 v[10:11], v[240:241], v[70:71]
	v_mul_f64 v[70:71], v[242:243], v[70:71]
	s_waitcnt vmcnt(32)
	v_fmac_f64_e32 v[10:11], v[242:243], v[72:73]
	v_fma_f64 v[240:241], v[240:241], v[72:73], -v[70:71]
	s_waitcnt vmcnt(30)
	v_mul_f64 v[8:9], v[236:237], v[64:65]
	s_waitcnt vmcnt(28) lgkmcnt(4)
	v_mul_f64 v[14:15], v[248:249], v[82:83]
	v_mul_f64 v[82:83], v[250:251], v[82:83]
	s_waitcnt vmcnt(26)
	v_fmac_f64_e32 v[14:15], v[250:251], v[84:85]
	v_fma_f64 v[248:249], v[248:249], v[84:85], -v[82:83]
	s_waitcnt vmcnt(24)
	v_mul_f64 v[12:13], v[244:245], v[74:75]
	v_mul_f64 v[74:75], v[246:247], v[74:75]
	s_waitcnt vmcnt(22) lgkmcnt(2)
	v_mul_f64 v[18:19], v[210:211], v[94:95]
	v_mul_f64 v[94:95], v[212:213], v[94:95]
	s_waitcnt vmcnt(19)
	v_mul_f64 v[16:17], v[252:253], v[86:87]
	v_mul_f64 v[86:87], v[254:255], v[86:87]
	s_waitcnt vmcnt(17) lgkmcnt(1)
	v_mul_f64 v[20:21], v[98:99], v[102:103]
	s_waitcnt vmcnt(15)
	v_fmac_f64_e32 v[6:7], v[116:117], v[68:69]
	s_waitcnt vmcnt(13)
	v_fmac_f64_e32 v[8:9], v[238:239], v[66:67]
	;; [unrolled: 2-line block ×3, first 2 shown]
	v_fma_f64 v[246:247], v[244:245], v[76:77], -v[74:75]
	s_waitcnt vmcnt(9)
	v_fmac_f64_e32 v[16:17], v[254:255], v[88:89]
	s_waitcnt vmcnt(8)
	v_fmac_f64_e32 v[18:19], v[212:213], v[96:97]
	v_fma_f64 v[254:255], v[252:253], v[88:89], -v[86:87]
	v_fma_f64 v[210:211], v[210:211], v[96:97], -v[94:95]
	s_waitcnt vmcnt(2)
	v_fmac_f64_e32 v[20:21], v[100:101], v[104:105]
	v_mul_f64 v[100:101], v[100:101], v[102:103]
	s_waitcnt vmcnt(0)
	v_pk_mov_b32 v[22:23], v[2:3], v[2:3] op_sel:[0,1]
	buffer_load_dword v3, off, s[0:3], 0 offset:372
	buffer_load_dword v2, off, s[0:3], 0 offset:368
	;; [unrolled: 1-line block ×78, first 2 shown]
	ds_read_b128 v[118:121], v1 offset:1136
	v_accvgpr_write_b32 a153, v23
	v_accvgpr_write_b32 a152, v22
	v_fma_f64 v[250:251], v[98:99], v[104:105], -v[100:101]
	s_waitcnt vmcnt(62)
	v_pk_mov_b32 v[24:25], v[2:3], v[2:3] op_sel:[0,1]
	v_mul_f64 v[2:3], v[78:79], v[60:61]
	v_fmac_f64_e32 v[2:3], v[80:81], v[56:57]
	v_add_f64 v[2:3], v[2:3], 0
	v_add_f64 v[2:3], v[2:3], v[4:5]
	;; [unrolled: 1-line block ×9, first 2 shown]
	s_waitcnt lgkmcnt(1)
	v_mul_f64 v[8:9], v[106:107], v[110:111]
	v_add_f64 v[6:7], v[2:3], v[20:21]
	v_fmac_f64_e32 v[8:9], v[108:109], v[112:113]
	v_add_f64 v[10:11], v[6:7], v[8:9]
	ds_read_b128 v[6:9], v1 offset:1152
	s_waitcnt lgkmcnt(1)
	v_mul_f64 v[12:13], v[118:119], v[122:123]
	v_fmac_f64_e32 v[12:13], v[120:121], v[138:139]
	v_add_f64 v[14:15], v[10:11], v[12:13]
	ds_read_b128 v[10:13], v1 offset:1168
	s_waitcnt lgkmcnt(1)
	v_mul_f64 v[16:17], v[6:7], v[22:23]
	;; [unrolled: 5-line block ×3, first 2 shown]
	v_fmac_f64_e32 v[20:21], v[12:13], v[146:147]
	v_add_f64 v[22:23], v[18:19], v[20:21]
	ds_read_b128 v[18:21], v1 offset:1200
	v_accvgpr_write_b32 a155, v25
	v_accvgpr_write_b32 a154, v24
	s_waitcnt lgkmcnt(1)
	v_mul_f64 v[24:25], v[14:15], v[124:125]
	v_fmac_f64_e32 v[24:25], v[16:17], v[126:127]
	v_add_f64 v[26:27], v[22:23], v[24:25]
	ds_read_b128 v[22:25], v1 offset:1216
	s_waitcnt vmcnt(58) lgkmcnt(1)
	v_mul_f64 v[28:29], v[18:19], v[150:151]
	s_waitcnt vmcnt(56)
	v_fmac_f64_e32 v[28:29], v[20:21], v[154:155]
	v_add_f64 v[30:31], v[26:27], v[28:29]
	ds_read_b128 v[26:29], v1 offset:1232
	s_waitcnt lgkmcnt(1)
	v_mul_f64 v[32:33], v[22:23], v[128:129]
	v_fmac_f64_e32 v[32:33], v[24:25], v[130:131]
	v_add_f64 v[34:35], v[30:31], v[32:33]
	ds_read_b128 v[30:33], v1 offset:1248
	s_waitcnt vmcnt(50) lgkmcnt(1)
	v_mul_f64 v[36:37], v[26:27], v[158:159]
	s_waitcnt vmcnt(48)
	v_fmac_f64_e32 v[36:37], v[28:29], v[162:163]
	v_add_f64 v[38:39], v[34:35], v[36:37]
	ds_read_b128 v[34:37], v1 offset:1264
	;; [unrolled: 11-line block ×4, first 2 shown]
	buffer_load_dword v198, off, s[0:3], 0 offset:696
	buffer_load_dword v203, off, s[0:3], 0 offset:684
	;; [unrolled: 1-line block ×8, first 2 shown]
	s_waitcnt lgkmcnt(1)
	v_mul_f64 v[208:209], v[46:47], v[144:145]
	v_fmac_f64_e32 v[208:209], v[48:49], v[148:149]
	v_add_f64 v[204:205], v[204:205], v[208:209]
	buffer_load_dword v209, off, s[0:3], 0 offset:716
	buffer_load_dword v208, off, s[0:3], 0 offset:712
	buffer_load_dword v219, off, s[0:3], 0 offset:708
	buffer_load_dword v218, off, s[0:3], 0 offset:704
	buffer_load_dword v223, off, s[0:3], 0 offset:732
	buffer_load_dword v222, off, s[0:3], 0 offset:728
	buffer_load_dword v225, off, s[0:3], 0 offset:724
	buffer_load_dword v224, off, s[0:3], 0 offset:720
	buffer_load_dword v220, off, s[0:3], 0 offset:760
	buffer_load_dword v229, off, s[0:3], 0 offset:748
	buffer_load_dword v228, off, s[0:3], 0 offset:744
	buffer_load_dword v233, off, s[0:3], 0 offset:740
	buffer_load_dword v232, off, s[0:3], 0 offset:736
	buffer_load_dword v226, off, s[0:3], 0 offset:752
	buffer_load_dword v221, off, s[0:3], 0 offset:764
	buffer_load_dword v227, off, s[0:3], 0 offset:756
	buffer_load_dword v231, off, s[0:3], 0 offset:780
	buffer_load_dword v230, off, s[0:3], 0 offset:776
	buffer_load_dword v235, off, s[0:3], 0 offset:772
	buffer_load_dword v234, off, s[0:3], 0 offset:768
	v_mul_f64 v[60:61], v[80:81], v[60:61]
	s_waitcnt vmcnt(54) lgkmcnt(0)
	v_mul_f64 v[214:215], v[50:51], v[182:183]
	v_fma_f64 v[216:217], v[78:79], v[56:57], -v[60:61]
	v_mul_f64 v[56:57], v[92:93], v[62:63]
	v_fma_f64 v[2:3], v[90:91], v[54:55], -v[56:57]
	s_waitcnt vmcnt(52)
	v_fmac_f64_e32 v[214:215], v[52:53], v[184:185]
	ds_read_b128 v[54:57], v1 offset:1344
	v_add_f64 v[4:5], v[204:205], v[214:215]
	v_fma_f64 v[204:205], v[114:115], v[68:69], -v[58:59]
	ds_read_b128 v[58:61], v1 offset:1360
	v_mul_f64 v[62:63], v[238:239], v[64:65]
	v_fma_f64 v[214:215], v[236:237], v[66:67], -v[62:63]
	ds_read_b128 v[62:65], v1 offset:1376
	ds_read_b128 v[70:73], v1 offset:1408
	s_waitcnt lgkmcnt(3)
	v_mul_f64 v[68:69], v[54:55], v[152:153]
	v_fmac_f64_e32 v[68:69], v[56:57], v[156:157]
	s_waitcnt vmcnt(46) lgkmcnt(2)
	v_mul_f64 v[66:67], v[58:59], v[186:187]
	v_add_f64 v[4:5], v[4:5], v[68:69]
	s_waitcnt vmcnt(44)
	v_fmac_f64_e32 v[66:67], v[60:61], v[188:189]
	v_add_f64 v[4:5], v[4:5], v[66:67]
	s_waitcnt lgkmcnt(1)
	v_mul_f64 v[66:67], v[62:63], v[160:161]
	v_fmac_f64_e32 v[66:67], v[64:65], v[164:165]
	v_add_f64 v[4:5], v[4:5], v[66:67]
	ds_read_b128 v[66:69], v1 offset:1392
	ds_read_b128 v[74:77], v1 offset:1424
	;; [unrolled: 1-line block ×5, first 2 shown]
	s_waitcnt vmcnt(38) lgkmcnt(4)
	v_mul_f64 v[78:79], v[66:67], v[190:191]
	s_waitcnt vmcnt(36)
	v_fmac_f64_e32 v[78:79], v[68:69], v[192:193]
	v_add_f64 v[4:5], v[4:5], v[78:79]
	v_mul_f64 v[78:79], v[70:71], v[168:169]
	v_fmac_f64_e32 v[78:79], v[72:73], v[172:173]
	v_add_f64 v[4:5], v[4:5], v[78:79]
	s_waitcnt vmcnt(30) lgkmcnt(3)
	v_mul_f64 v[78:79], v[74:75], v[194:195]
	s_waitcnt vmcnt(28)
	v_fmac_f64_e32 v[78:79], v[76:77], v[196:197]
	v_add_f64 v[4:5], v[4:5], v[78:79]
	ds_read_b128 v[78:81], v1 offset:1440
	v_mul_f64 v[108:109], v[108:109], v[110:111]
	v_fma_f64 v[252:253], v[106:107], v[112:113], -v[108:109]
	v_mul_f64 v[120:121], v[120:121], v[122:123]
	v_fma_f64 v[118:119], v[118:119], v[138:139], -v[120:121]
	s_waitcnt lgkmcnt(0)
	v_mul_f64 v[90:91], v[78:79], v[176:177]
	v_fmac_f64_e32 v[90:91], v[80:81], v[180:181]
	v_add_f64 v[4:5], v[4:5], v[90:91]
	ds_read_b128 v[98:101], v1 offset:1520
	ds_read_b128 v[106:109], v1 offset:1552
	s_waitcnt vmcnt(25)
	v_mul_f64 v[90:91], v[82:83], v[202:203]
	s_waitcnt vmcnt(23)
	v_fmac_f64_e32 v[90:91], v[84:85], v[206:207]
	v_add_f64 v[4:5], v[4:5], v[90:91]
	s_waitcnt vmcnt(21)
	v_mul_f64 v[90:91], v[86:87], v[198:199]
	s_waitcnt vmcnt(20)
	v_fmac_f64_e32 v[90:91], v[88:89], v[200:201]
	v_add_f64 v[4:5], v[4:5], v[90:91]
	ds_read_b128 v[90:93], v1 offset:1488
	s_waitcnt vmcnt(14)
	v_mul_f64 v[102:103], v[94:95], v[222:223]
	s_waitcnt vmcnt(9) lgkmcnt(2)
	v_mul_f64 v[110:111], v[98:99], v[228:229]
	v_fmac_f64_e32 v[102:103], v[96:97], v[224:225]
	s_waitcnt vmcnt(7)
	v_fmac_f64_e32 v[110:111], v[100:101], v[232:233]
	s_waitcnt lgkmcnt(0)
	v_mul_f64 v[114:115], v[90:91], v[208:209]
	v_fmac_f64_e32 v[114:115], v[92:93], v[218:219]
	v_add_f64 v[4:5], v[4:5], v[114:115]
	v_add_f64 v[4:5], v[4:5], v[102:103]
	ds_read_b128 v[102:105], v1 offset:1536
	buffer_load_dword v236, off, s[0:3], 0 offset:792
	buffer_load_dword v237, off, s[0:3], 0 offset:796
	;; [unrolled: 1-line block ×4, first 2 shown]
	v_add_f64 v[4:5], v[4:5], v[110:111]
	s_waitcnt vmcnt(9) lgkmcnt(0)
	v_mul_f64 v[110:111], v[102:103], v[220:221]
	s_waitcnt vmcnt(8)
	v_fmac_f64_e32 v[110:111], v[104:105], v[226:227]
	v_add_f64 v[4:5], v[4:5], v[110:111]
	s_waitcnt vmcnt(6)
	v_mul_f64 v[110:111], v[106:107], v[230:231]
	s_waitcnt vmcnt(4)
	v_fmac_f64_e32 v[110:111], v[108:109], v[234:235]
	v_add_f64 v[4:5], v[4:5], v[110:111]
	ds_read_b128 v[110:113], v1 offset:1568
	buffer_load_dword v243, off, s[0:3], 0 offset:812
	buffer_load_dword v242, off, s[0:3], 0 offset:808
	buffer_load_dword v245, off, s[0:3], 0 offset:804
	buffer_load_dword v244, off, s[0:3], 0 offset:800
	s_waitcnt vmcnt(6) lgkmcnt(0)
	v_mul_f64 v[114:115], v[110:111], v[236:237]
	s_waitcnt vmcnt(4)
	v_fmac_f64_e32 v[114:115], v[112:113], v[238:239]
	v_add_f64 v[4:5], v[4:5], v[114:115]
	ds_read_b128 v[114:117], v1 offset:1584
	v_accvgpr_read_b32 v0, a152
	v_accvgpr_read_b32 v1, a153
	v_mul_f64 v[8:9], v[8:9], v[0:1]
	v_accvgpr_read_b32 v0, a154
	v_accvgpr_read_b32 v1, a155
	v_fma_f64 v[6:7], v[6:7], v[0:1], -v[8:9]
	s_waitcnt vmcnt(2) lgkmcnt(0)
	v_mul_f64 v[212:213], v[114:115], v[242:243]
	v_accvgpr_read_b32 v0, a149
	s_waitcnt vmcnt(0)
	v_fmac_f64_e32 v[212:213], v[116:117], v[244:245]
	v_add_f64 v[4:5], v[4:5], v[212:213]
	v_add_f64 v[212:213], v[216:217], 0
	;; [unrolled: 1-line block ×8, first 2 shown]
	buffer_load_dword v248, off, s[0:3], 0 offset:160
	buffer_load_dword v249, off, s[0:3], 0 offset:164
	;; [unrolled: 1-line block ×4, first 2 shown]
	v_add_f64 v[2:3], v[2:3], v[254:255]
	v_add_f64 v[254:255], v[2:3], v[210:211]
	;; [unrolled: 1-line block ×6, first 2 shown]
	v_mul_f64 v[6:7], v[12:13], v[142:143]
	v_fma_f64 v[6:7], v[10:11], v[146:147], -v[6:7]
	v_add_f64 v[2:3], v[2:3], v[6:7]
	v_mul_f64 v[6:7], v[16:17], v[124:125]
	v_fma_f64 v[6:7], v[14:15], v[126:127], -v[6:7]
	v_add_f64 v[2:3], v[2:3], v[6:7]
	;; [unrolled: 3-line block ×27, first 2 shown]
	s_waitcnt vmcnt(2)
	v_add_f64 v[2:3], v[248:249], -v[2:3]
	v_cmp_lt_u32_e32 vcc, 8, v0
	s_waitcnt vmcnt(0)
	v_add_f64 v[4:5], v[246:247], -v[4:5]
	buffer_store_dword v3, off, s[0:3], 0 offset:164
	buffer_store_dword v2, off, s[0:3], 0 offset:160
	;; [unrolled: 1-line block ×4, first 2 shown]
	s_and_saveexec_b64 s[4:5], vcc
	s_cbranch_execz .LBB113_297
; %bb.296:
	v_accvgpr_read_b32 v0, a141
	buffer_load_dword v2, v0, s[0:3], 0 offen
	buffer_load_dword v3, v0, s[0:3], 0 offen offset:4
	buffer_load_dword v4, v0, s[0:3], 0 offen offset:8
	;; [unrolled: 1-line block ×3, first 2 shown]
	v_mov_b32_e32 v0, 0
	v_accvgpr_read_b32 v1, a150
	buffer_store_dword v0, off, s[0:3], 0 offset:144
	buffer_store_dword v0, off, s[0:3], 0 offset:148
	;; [unrolled: 1-line block ×4, first 2 shown]
	s_waitcnt vmcnt(4)
	ds_write_b128 v1, v[2:5]
.LBB113_297:
	s_or_b64 exec, exec, s[4:5]
	s_waitcnt lgkmcnt(0)
	; wave barrier
	s_waitcnt lgkmcnt(0)
	buffer_load_dword v54, off, s[0:3], 0 offset:160
	buffer_load_dword v55, off, s[0:3], 0 offset:164
	;; [unrolled: 1-line block ×46, first 2 shown]
	v_mov_b32_e32 v1, 0
	v_accvgpr_read_b32 v0, a149
	v_cmp_lt_u32_e32 vcc, 7, v0
	s_waitcnt vmcnt(0)
	v_pk_mov_b32 v[22:23], v[2:3], v[2:3] op_sel:[0,1]
	buffer_load_dword v3, off, s[0:3], 0 offset:356
	buffer_load_dword v2, off, s[0:3], 0 offset:352
	buffer_load_dword v107, off, s[0:3], 0 offset:348
	ds_read_b128 v[94:97], v1 offset:944
	ds_read_b128 v[108:111], v1 offset:960
	;; [unrolled: 1-line block ×11, first 2 shown]
	buffer_load_dword v106, off, s[0:3], 0 offset:344
	buffer_load_dword v117, off, s[0:3], 0 offset:340
	;; [unrolled: 1-line block ×75, first 2 shown]
	s_waitcnt lgkmcnt(9)
	v_mul_f64 v[4:5], v[108:109], v[62:63]
	s_waitcnt lgkmcnt(8)
	v_mul_f64 v[6:7], v[112:113], v[60:61]
	v_fmac_f64_e32 v[4:5], v[110:111], v[58:59]
	s_waitcnt lgkmcnt(7)
	v_mul_f64 v[8:9], v[210:211], v[68:69]
	v_fmac_f64_e32 v[6:7], v[114:115], v[84:85]
	;; [unrolled: 3-line block ×5, first 2 shown]
	ds_read_b128 v[232:235], v1 offset:1120
	ds_read_b128 v[118:121], v1 offset:1136
	s_waitcnt lgkmcnt(5)
	v_mul_f64 v[16:17], v[248:249], v[78:79]
	v_fmac_f64_e32 v[14:15], v[246:247], v[76:77]
	s_waitcnt lgkmcnt(4)
	v_mul_f64 v[18:19], v[252:253], v[86:87]
	v_fmac_f64_e32 v[16:17], v[250:251], v[80:81]
	;; [unrolled: 3-line block ×3, first 2 shown]
	v_fmac_f64_e32 v[20:21], v[216:217], v[92:93]
	v_accvgpr_write_b32 a153, v23
	v_accvgpr_write_b32 a152, v22
	v_mul_f64 v[62:63], v[110:111], v[62:63]
	v_mul_f64 v[74:75], v[246:247], v[74:75]
	v_fma_f64 v[246:247], v[244:245], v[76:77], -v[74:75]
	v_mul_f64 v[78:79], v[250:251], v[78:79]
	v_fma_f64 v[248:249], v[248:249], v[80:81], -v[78:79]
	v_mul_f64 v[86:87], v[254:255], v[86:87]
	v_mul_f64 v[90:91], v[216:217], v[90:91]
	v_fma_f64 v[252:253], v[252:253], v[88:89], -v[86:87]
	v_fma_f64 v[254:255], v[214:215], v[92:93], -v[90:91]
	s_waitcnt vmcnt(62)
	v_pk_mov_b32 v[24:25], v[2:3], v[2:3] op_sel:[0,1]
	v_mul_f64 v[2:3], v[94:95], v[56:57]
	v_fmac_f64_e32 v[2:3], v[96:97], v[54:55]
	v_add_f64 v[2:3], v[2:3], 0
	v_add_f64 v[2:3], v[2:3], v[4:5]
	v_add_f64 v[2:3], v[2:3], v[6:7]
	v_add_f64 v[2:3], v[2:3], v[8:9]
	v_add_f64 v[2:3], v[2:3], v[10:11]
	v_add_f64 v[2:3], v[2:3], v[12:13]
	v_add_f64 v[2:3], v[2:3], v[14:15]
	v_add_f64 v[2:3], v[2:3], v[16:17]
	v_add_f64 v[2:3], v[2:3], v[18:19]
	s_waitcnt lgkmcnt(2)
	v_mul_f64 v[4:5], v[98:99], v[102:103]
	v_add_f64 v[2:3], v[2:3], v[20:21]
	v_fmac_f64_e32 v[4:5], v[100:101], v[104:105]
	s_waitcnt lgkmcnt(1)
	v_mul_f64 v[8:9], v[232:233], v[106:107]
	v_add_f64 v[6:7], v[2:3], v[4:5]
	v_fmac_f64_e32 v[8:9], v[234:235], v[116:117]
	s_waitcnt lgkmcnt(0)
	v_mul_f64 v[12:13], v[118:119], v[22:23]
	v_add_f64 v[10:11], v[6:7], v[8:9]
	ds_read_b128 v[6:9], v1 offset:1152
	v_fmac_f64_e32 v[12:13], v[120:121], v[24:25]
	v_add_f64 v[14:15], v[10:11], v[12:13]
	ds_read_b128 v[10:13], v1 offset:1168
	v_accvgpr_write_b32 a155, v25
	s_waitcnt lgkmcnt(1)
	v_mul_f64 v[16:17], v[6:7], v[138:139]
	v_fmac_f64_e32 v[16:17], v[8:9], v[142:143]
	v_add_f64 v[18:19], v[14:15], v[16:17]
	s_waitcnt lgkmcnt(0)
	v_mul_f64 v[20:21], v[10:11], v[122:123]
	ds_read_b128 v[14:17], v1 offset:1184
	v_fmac_f64_e32 v[20:21], v[12:13], v[124:125]
	v_add_f64 v[22:23], v[18:19], v[20:21]
	ds_read_b128 v[18:21], v1 offset:1200
	v_accvgpr_write_b32 a154, v24
	s_waitcnt vmcnt(58) lgkmcnt(1)
	v_mul_f64 v[24:25], v[14:15], v[146:147]
	s_waitcnt vmcnt(56)
	v_fmac_f64_e32 v[24:25], v[16:17], v[150:151]
	v_add_f64 v[26:27], v[22:23], v[24:25]
	s_waitcnt lgkmcnt(0)
	v_mul_f64 v[28:29], v[18:19], v[126:127]
	ds_read_b128 v[22:25], v1 offset:1216
	v_fmac_f64_e32 v[28:29], v[20:21], v[128:129]
	v_add_f64 v[30:31], v[26:27], v[28:29]
	ds_read_b128 v[26:29], v1 offset:1232
	v_mul_f64 v[56:57], v[96:97], v[56:57]
	s_waitcnt vmcnt(50) lgkmcnt(1)
	v_mul_f64 v[32:33], v[22:23], v[154:155]
	s_waitcnt vmcnt(48)
	v_fmac_f64_e32 v[32:33], v[24:25], v[158:159]
	v_add_f64 v[34:35], v[30:31], v[32:33]
	s_waitcnt lgkmcnt(0)
	v_mul_f64 v[36:37], v[26:27], v[130:131]
	ds_read_b128 v[30:33], v1 offset:1248
	v_fmac_f64_e32 v[36:37], v[28:29], v[132:133]
	v_add_f64 v[38:39], v[34:35], v[36:37]
	ds_read_b128 v[34:37], v1 offset:1264
	v_fma_f64 v[2:3], v[94:95], v[54:55], -v[56:57]
	s_waitcnt vmcnt(42) lgkmcnt(1)
	v_mul_f64 v[40:41], v[30:31], v[162:163]
	s_waitcnt vmcnt(40)
	v_fmac_f64_e32 v[40:41], v[32:33], v[166:167]
	v_add_f64 v[42:43], v[38:39], v[40:41]
	s_waitcnt lgkmcnt(0)
	v_mul_f64 v[44:45], v[34:35], v[134:135]
	ds_read_b128 v[38:41], v1 offset:1280
	v_fmac_f64_e32 v[44:45], v[36:37], v[136:137]
	v_add_f64 v[46:47], v[42:43], v[44:45]
	ds_read_b128 v[42:45], v1 offset:1296
	v_fma_f64 v[94:95], v[108:109], v[58:59], -v[62:63]
	s_waitcnt vmcnt(34) lgkmcnt(1)
	v_mul_f64 v[48:49], v[38:39], v[170:171]
	s_waitcnt vmcnt(32)
	v_fmac_f64_e32 v[48:49], v[40:41], v[174:175]
	v_add_f64 v[50:51], v[46:47], v[48:49]
	s_waitcnt lgkmcnt(0)
	v_mul_f64 v[52:53], v[42:43], v[140:141]
	v_fmac_f64_e32 v[52:53], v[44:45], v[144:145]
	ds_read_b128 v[46:49], v1 offset:1312
	v_add_f64 v[198:199], v[50:51], v[52:53]
	ds_read_b128 v[50:53], v1 offset:1328
	buffer_load_dword v195, off, s[0:3], 0 offset:668
	buffer_load_dword v194, off, s[0:3], 0 offset:664
	buffer_load_dword v197, off, s[0:3], 0 offset:660
	buffer_load_dword v196, off, s[0:3], 0 offset:656
	v_mul_f64 v[58:59], v[114:115], v[60:61]
	s_waitcnt vmcnt(30) lgkmcnt(1)
	v_mul_f64 v[200:201], v[46:47], v[178:179]
	s_waitcnt vmcnt(28)
	v_fmac_f64_e32 v[200:201], v[48:49], v[180:181]
	v_add_f64 v[204:205], v[198:199], v[200:201]
	buffer_load_dword v200, off, s[0:3], 0 offset:680
	buffer_load_dword v202, off, s[0:3], 0 offset:672
	;; [unrolled: 1-line block ×12, first 2 shown]
	ds_read_b128 v[54:57], v1 offset:1344
	s_waitcnt lgkmcnt(1)
	v_mul_f64 v[4:5], v[50:51], v[148:149]
	v_fma_f64 v[96:97], v[112:113], v[84:85], -v[58:59]
	v_fmac_f64_e32 v[4:5], v[52:53], v[152:153]
	v_mul_f64 v[58:59], v[212:213], v[68:69]
	v_add_f64 v[4:5], v[204:205], v[4:5]
	v_fma_f64 v[204:205], v[210:211], v[82:83], -v[58:59]
	s_waitcnt vmcnt(34) lgkmcnt(0)
	v_mul_f64 v[58:59], v[54:55], v[182:183]
	s_waitcnt vmcnt(32)
	v_fmac_f64_e32 v[58:59], v[56:57], v[184:185]
	buffer_load_dword v221, off, s[0:3], 0 offset:732
	buffer_load_dword v220, off, s[0:3], 0 offset:728
	;; [unrolled: 1-line block ×16, first 2 shown]
	v_add_f64 v[4:5], v[4:5], v[58:59]
	ds_read_b128 v[58:61], v1 offset:1360
	v_mul_f64 v[62:63], v[238:239], v[64:65]
	v_fma_f64 v[108:109], v[236:237], v[66:67], -v[62:63]
	ds_read_b128 v[62:65], v1 offset:1376
	v_mul_f64 v[66:67], v[242:243], v[70:71]
	v_fma_f64 v[240:241], v[240:241], v[72:73], -v[66:67]
	ds_read_b128 v[66:69], v1 offset:1392
	ds_read_b128 v[74:77], v1 offset:1424
	s_waitcnt lgkmcnt(3)
	v_mul_f64 v[82:83], v[58:59], v[156:157]
	v_fmac_f64_e32 v[82:83], v[60:61], v[160:161]
	s_waitcnt vmcnt(42) lgkmcnt(2)
	v_mul_f64 v[70:71], v[62:63], v[186:187]
	v_add_f64 v[4:5], v[4:5], v[82:83]
	s_waitcnt vmcnt(40)
	v_fmac_f64_e32 v[70:71], v[64:65], v[188:189]
	v_add_f64 v[4:5], v[4:5], v[70:71]
	s_waitcnt lgkmcnt(1)
	v_mul_f64 v[70:71], v[66:67], v[164:165]
	v_fmac_f64_e32 v[70:71], v[68:69], v[168:169]
	v_add_f64 v[4:5], v[4:5], v[70:71]
	ds_read_b128 v[70:73], v1 offset:1408
	ds_read_b128 v[78:81], v1 offset:1440
	v_mul_f64 v[100:101], v[100:101], v[102:103]
	v_mul_f64 v[102:103], v[234:235], v[106:107]
	v_fma_f64 v[102:103], v[232:233], v[116:117], -v[102:103]
	s_waitcnt vmcnt(34) lgkmcnt(1)
	v_mul_f64 v[82:83], v[70:71], v[190:191]
	s_waitcnt vmcnt(32)
	v_fmac_f64_e32 v[82:83], v[72:73], v[192:193]
	v_add_f64 v[4:5], v[4:5], v[82:83]
	v_mul_f64 v[82:83], v[74:75], v[172:173]
	v_fmac_f64_e32 v[82:83], v[76:77], v[176:177]
	v_add_f64 v[4:5], v[4:5], v[82:83]
	v_accvgpr_write_b32 a157, v103
	ds_read_b128 v[90:93], v1 offset:1488
	ds_read_b128 v[214:217], v1 offset:1504
	v_fma_f64 v[250:251], v[98:99], v[104:105], -v[100:101]
	ds_read_b128 v[98:101], v1 offset:1520
	v_accvgpr_write_b32 a156, v102
	ds_read_b128 v[102:105], v1 offset:1536
	ds_read_b128 v[232:235], v1 offset:1552
	v_add_f64 v[2:3], v[2:3], 0
	ds_read_b128 v[86:89], v1 offset:1472
	v_add_f64 v[2:3], v[2:3], v[94:95]
	v_add_f64 v[2:3], v[2:3], v[96:97]
	v_add_f64 v[2:3], v[2:3], v[204:205]
	v_add_f64 v[2:3], v[2:3], v[108:109]
	v_add_f64 v[2:3], v[2:3], v[240:241]
	v_add_f64 v[2:3], v[2:3], v[246:247]
	v_add_f64 v[2:3], v[2:3], v[248:249]
	v_add_f64 v[2:3], v[2:3], v[252:253]
	v_add_f64 v[2:3], v[2:3], v[254:255]
	v_accvgpr_read_b32 v94, a152
	v_add_f64 v[252:253], v[2:3], v[250:251]
	v_accvgpr_read_b32 v2, a156
	v_accvgpr_read_b32 v95, a153
	;; [unrolled: 1-line block ×4, first 2 shown]
	v_mul_f64 v[94:95], v[120:121], v[94:95]
	v_accvgpr_read_b32 v97, a155
	v_add_f64 v[2:3], v[252:253], v[2:3]
	v_fma_f64 v[94:95], v[118:119], v[96:97], -v[94:95]
	v_mul_f64 v[8:9], v[8:9], v[138:139]
	s_waitcnt vmcnt(30) lgkmcnt(6)
	v_mul_f64 v[82:83], v[78:79], v[194:195]
	v_add_f64 v[2:3], v[2:3], v[94:95]
	s_waitcnt vmcnt(28)
	v_fmac_f64_e32 v[82:83], v[80:81], v[196:197]
	v_add_f64 v[4:5], v[4:5], v[82:83]
	ds_read_b128 v[82:85], v1 offset:1456
	buffer_load_dword v237, off, s[0:3], 0 offset:796
	buffer_load_dword v236, off, s[0:3], 0 offset:792
	;; [unrolled: 1-line block ×4, first 2 shown]
	v_fma_f64 v[6:7], v[6:7], v[142:143], -v[8:9]
	v_add_f64 v[2:3], v[2:3], v[6:7]
	v_mul_f64 v[6:7], v[12:13], v[122:123]
	s_waitcnt vmcnt(29) lgkmcnt(0)
	v_mul_f64 v[110:111], v[82:83], v[200:201]
	s_waitcnt vmcnt(28)
	v_fmac_f64_e32 v[110:111], v[84:85], v[202:203]
	v_add_f64 v[4:5], v[4:5], v[110:111]
	s_waitcnt vmcnt(25)
	v_mul_f64 v[110:111], v[86:87], v[206:207]
	s_waitcnt vmcnt(23)
	v_fmac_f64_e32 v[110:111], v[88:89], v[218:219]
	v_add_f64 v[4:5], v[4:5], v[110:111]
	s_waitcnt vmcnt(22)
	;; [unrolled: 5-line block ×6, first 2 shown]
	v_mul_f64 v[110:111], v[232:233], v[210:211]
	s_waitcnt vmcnt(4)
	v_fmac_f64_e32 v[110:111], v[234:235], v[212:213]
	v_add_f64 v[4:5], v[4:5], v[110:111]
	ds_read_b128 v[110:113], v1 offset:1568
	buffer_load_dword v242, off, s[0:3], 0 offset:808
	buffer_load_dword v243, off, s[0:3], 0 offset:812
	;; [unrolled: 1-line block ×4, first 2 shown]
	v_fma_f64 v[6:7], v[10:11], v[124:125], -v[6:7]
	v_add_f64 v[2:3], v[2:3], v[6:7]
	v_mul_f64 v[6:7], v[16:17], v[146:147]
	v_fma_f64 v[6:7], v[14:15], v[150:151], -v[6:7]
	v_add_f64 v[2:3], v[2:3], v[6:7]
	v_mul_f64 v[6:7], v[20:21], v[126:127]
	;; [unrolled: 3-line block ×17, first 2 shown]
	s_waitcnt vmcnt(6) lgkmcnt(0)
	v_mul_f64 v[114:115], v[110:111], v[236:237]
	v_fma_f64 v[6:7], v[78:79], v[196:197], -v[6:7]
	s_waitcnt vmcnt(4)
	v_fmac_f64_e32 v[114:115], v[112:113], v[238:239]
	v_add_f64 v[4:5], v[4:5], v[114:115]
	ds_read_b128 v[114:117], v1 offset:1584
	buffer_load_dword v248, off, s[0:3], 0 offset:144
	buffer_load_dword v249, off, s[0:3], 0 offset:148
	;; [unrolled: 1-line block ×4, first 2 shown]
	v_add_f64 v[2:3], v[2:3], v[6:7]
	v_mul_f64 v[6:7], v[84:85], v[200:201]
	v_fma_f64 v[6:7], v[82:83], v[202:203], -v[6:7]
	v_add_f64 v[2:3], v[2:3], v[6:7]
	v_mul_f64 v[6:7], v[88:89], v[206:207]
	v_fma_f64 v[6:7], v[86:87], v[218:219], -v[6:7]
	;; [unrolled: 3-line block ×8, first 2 shown]
	v_add_f64 v[2:3], v[2:3], v[6:7]
	s_waitcnt vmcnt(6) lgkmcnt(0)
	v_mul_f64 v[6:7], v[116:117], v[242:243]
	v_mul_f64 v[106:107], v[114:115], v[242:243]
	s_waitcnt vmcnt(4)
	v_fma_f64 v[6:7], v[114:115], v[244:245], -v[6:7]
	v_fmac_f64_e32 v[106:107], v[116:117], v[244:245]
	v_add_f64 v[2:3], v[2:3], v[6:7]
	v_add_f64 v[4:5], v[4:5], v[106:107]
	s_waitcnt vmcnt(2)
	v_add_f64 v[2:3], v[248:249], -v[2:3]
	s_waitcnt vmcnt(0)
	v_add_f64 v[4:5], v[246:247], -v[4:5]
	buffer_store_dword v3, off, s[0:3], 0 offset:148
	buffer_store_dword v2, off, s[0:3], 0 offset:144
	;; [unrolled: 1-line block ×4, first 2 shown]
	s_and_saveexec_b64 s[4:5], vcc
	s_cbranch_execz .LBB113_299
; %bb.298:
	v_accvgpr_read_b32 v0, a142
	buffer_load_dword v2, v0, s[0:3], 0 offen
	buffer_load_dword v3, v0, s[0:3], 0 offen offset:4
	buffer_load_dword v4, v0, s[0:3], 0 offen offset:8
	;; [unrolled: 1-line block ×3, first 2 shown]
	v_accvgpr_read_b32 v0, a150
	buffer_store_dword v1, off, s[0:3], 0 offset:128
	buffer_store_dword v1, off, s[0:3], 0 offset:132
	;; [unrolled: 1-line block ×4, first 2 shown]
	s_waitcnt vmcnt(4)
	ds_write_b128 v0, v[2:5]
.LBB113_299:
	s_or_b64 exec, exec, s[4:5]
	s_waitcnt lgkmcnt(0)
	; wave barrier
	s_waitcnt lgkmcnt(0)
	buffer_load_dword v58, off, s[0:3], 0 offset:144
	buffer_load_dword v59, off, s[0:3], 0 offset:148
	;; [unrolled: 1-line block ×42, first 2 shown]
	ds_read_b128 v[110:113], v1 offset:928
	ds_read_b128 v[114:117], v1 offset:944
	;; [unrolled: 1-line block ×10, first 2 shown]
	buffer_load_dword v205, off, s[0:3], 0 offset:292
	buffer_load_dword v204, off, s[0:3], 0 offset:288
	ds_read_b128 v[90:93], v1 offset:1088
	buffer_load_dword v105, off, s[0:3], 0 offset:348
	buffer_load_dword v104, off, s[0:3], 0 offset:344
	;; [unrolled: 1-line block ×6, first 2 shown]
	s_waitcnt vmcnt(46) lgkmcnt(10)
	v_mul_f64 v[2:3], v[110:111], v[60:61]
	v_fmac_f64_e32 v[2:3], v[112:113], v[58:59]
	v_add_f64 v[2:3], v[2:3], 0
	v_mul_f64 v[60:61], v[112:113], v[60:61]
	s_waitcnt vmcnt(42) lgkmcnt(9)
	v_mul_f64 v[4:5], v[114:115], v[62:63]
	v_fmac_f64_e32 v[4:5], v[116:117], v[56:57]
	v_add_f64 v[2:3], v[2:3], v[4:5]
	buffer_load_dword v225, off, s[0:3], 0 offset:324
	buffer_load_dword v224, off, s[0:3], 0 offset:320
	;; [unrolled: 1-line block ×4, first 2 shown]
	s_waitcnt vmcnt(44) lgkmcnt(8)
	v_mul_f64 v[6:7], v[210:211], v[54:55]
	s_waitcnt vmcnt(42) lgkmcnt(6)
	v_mul_f64 v[10:11], v[232:233], v[64:65]
	s_waitcnt vmcnt(40)
	v_fmac_f64_e32 v[10:11], v[234:235], v[66:67]
	v_mul_f64 v[54:55], v[212:213], v[54:55]
	s_waitcnt vmcnt(38)
	v_mul_f64 v[8:9], v[214:215], v[68:69]
	s_waitcnt vmcnt(36) lgkmcnt(4)
	v_mul_f64 v[14:15], v[240:241], v[70:71]
	s_waitcnt vmcnt(34)
	v_fmac_f64_e32 v[14:15], v[242:243], v[72:73]
	s_waitcnt vmcnt(32)
	v_mul_f64 v[12:13], v[236:237], v[74:75]
	s_waitcnt vmcnt(30) lgkmcnt(2)
	v_mul_f64 v[18:19], v[248:249], v[78:79]
	v_mul_f64 v[78:79], v[250:251], v[78:79]
	s_waitcnt vmcnt(27)
	v_mul_f64 v[16:17], v[244:245], v[76:77]
	s_waitcnt vmcnt(25) lgkmcnt(1)
	v_mul_f64 v[20:21], v[82:83], v[86:87]
	s_waitcnt vmcnt(23)
	v_fmac_f64_e32 v[6:7], v[212:213], v[100:101]
	v_add_f64 v[2:3], v[2:3], v[6:7]
	s_waitcnt vmcnt(21)
	v_fmac_f64_e32 v[8:9], v[216:217], v[98:99]
	v_add_f64 v[2:3], v[2:3], v[8:9]
	;; [unrolled: 3-line block ×3, first 2 shown]
	v_add_f64 v[2:3], v[2:3], v[12:13]
	s_waitcnt vmcnt(17)
	v_fmac_f64_e32 v[16:17], v[246:247], v[88:89]
	v_add_f64 v[2:3], v[2:3], v[14:15]
	s_waitcnt vmcnt(16)
	v_fmac_f64_e32 v[18:19], v[250:251], v[80:81]
	v_add_f64 v[2:3], v[2:3], v[16:17]
	v_add_f64 v[2:3], v[2:3], v[18:19]
	v_fma_f64 v[54:55], v[210:211], v[100:101], -v[54:55]
	s_waitcnt vmcnt(10)
	v_fmac_f64_e32 v[20:21], v[84:85], v[204:205]
	v_add_f64 v[2:3], v[2:3], v[20:21]
	v_fma_f64 v[248:249], v[248:249], v[80:81], -v[78:79]
	v_mul_f64 v[84:85], v[84:85], v[86:87]
	v_fma_f64 v[204:205], v[82:83], v[204:205], -v[84:85]
	s_waitcnt vmcnt(0)
	v_pk_mov_b32 v[18:19], v[4:5], v[4:5] op_sel:[0,1]
	buffer_load_dword v5, off, s[0:3], 0 offset:372
	buffer_load_dword v4, off, s[0:3], 0 offset:368
	v_accvgpr_write_b32 a153, v19
	v_accvgpr_write_b32 a152, v18
	s_waitcnt vmcnt(0)
	v_pk_mov_b32 v[22:23], v[4:5], v[4:5] op_sel:[0,1]
	buffer_load_dword v135, off, s[0:3], 0 offset:364
	buffer_load_dword v134, off, s[0:3], 0 offset:360
	;; [unrolled: 1-line block ×6, first 2 shown]
	v_accvgpr_write_b32 a155, v23
	v_accvgpr_write_b32 a154, v22
	s_waitcnt vmcnt(0)
	v_pk_mov_b32 v[26:27], v[4:5], v[4:5] op_sel:[0,1]
	buffer_load_dword v5, off, s[0:3], 0 offset:404
	buffer_load_dword v4, off, s[0:3], 0 offset:400
	v_accvgpr_write_b32 a157, v27
	v_accvgpr_write_b32 a156, v26
	s_waitcnt vmcnt(0)
	v_pk_mov_b32 v[28:29], v[4:5], v[4:5] op_sel:[0,1]
	buffer_load_dword v143, off, s[0:3], 0 offset:396
	buffer_load_dword v142, off, s[0:3], 0 offset:392
	;; [unrolled: 1-line block ×60, first 2 shown]
	ds_read_b128 v[252:255], v1 offset:1104
	ds_read_b128 v[220:223], v1 offset:1120
	;; [unrolled: 1-line block ×5, first 2 shown]
	v_accvgpr_write_b32 a159, v29
	s_waitcnt lgkmcnt(3)
	v_mul_f64 v[8:9], v[220:221], v[104:105]
	v_fmac_f64_e32 v[8:9], v[222:223], v[106:107]
	s_waitcnt lgkmcnt(2)
	v_mul_f64 v[12:13], v[122:123], v[134:135]
	v_fmac_f64_e32 v[12:13], v[124:125], v[138:139]
	;; [unrolled: 3-line block ×3, first 2 shown]
	v_accvgpr_write_b32 a158, v28
	s_waitcnt vmcnt(54)
	v_pk_mov_b32 v[34:35], v[4:5], v[4:5] op_sel:[0,1]
	v_mul_f64 v[4:5], v[90:91], v[96:97]
	v_fmac_f64_e32 v[4:5], v[92:93], v[102:103]
	v_add_f64 v[2:3], v[2:3], v[4:5]
	v_mul_f64 v[4:5], v[252:253], v[108:109]
	v_fmac_f64_e32 v[4:5], v[254:255], v[224:225]
	v_add_f64 v[6:7], v[2:3], v[4:5]
	v_add_f64 v[10:11], v[6:7], v[8:9]
	;; [unrolled: 1-line block ×4, first 2 shown]
	ds_read_b128 v[14:17], v1 offset:1184
	s_waitcnt lgkmcnt(1)
	v_mul_f64 v[20:21], v[118:119], v[142:143]
	v_fmac_f64_e32 v[20:21], v[120:121], v[146:147]
	v_add_f64 v[22:23], v[18:19], v[20:21]
	ds_read_b128 v[18:21], v1 offset:1200
	s_waitcnt lgkmcnt(1)
	v_mul_f64 v[24:25], v[14:15], v[26:27]
	v_fmac_f64_e32 v[24:25], v[16:17], v[28:29]
	v_add_f64 v[26:27], v[22:23], v[24:25]
	ds_read_b128 v[22:25], v1 offset:1216
	s_waitcnt vmcnt(50) lgkmcnt(1)
	v_mul_f64 v[28:29], v[18:19], v[150:151]
	s_waitcnt vmcnt(48)
	v_fmac_f64_e32 v[28:29], v[20:21], v[154:155]
	v_add_f64 v[30:31], v[26:27], v[28:29]
	ds_read_b128 v[26:29], v1 offset:1232
	s_waitcnt lgkmcnt(1)
	v_mul_f64 v[32:33], v[22:23], v[34:35]
	v_accvgpr_write_b32 a161, v35
	v_fmac_f64_e32 v[32:33], v[24:25], v[128:129]
	v_accvgpr_write_b32 a160, v34
	v_add_f64 v[34:35], v[30:31], v[32:33]
	ds_read_b128 v[30:33], v1 offset:1248
	s_waitcnt vmcnt(42) lgkmcnt(1)
	v_mul_f64 v[36:37], v[26:27], v[158:159]
	s_waitcnt vmcnt(40)
	v_fmac_f64_e32 v[36:37], v[28:29], v[162:163]
	v_add_f64 v[38:39], v[34:35], v[36:37]
	ds_read_b128 v[34:37], v1 offset:1264
	s_waitcnt lgkmcnt(1)
	v_mul_f64 v[40:41], v[30:31], v[130:131]
	v_fmac_f64_e32 v[40:41], v[32:33], v[132:133]
	v_add_f64 v[42:43], v[38:39], v[40:41]
	ds_read_b128 v[38:41], v1 offset:1280
	s_waitcnt vmcnt(34) lgkmcnt(1)
	v_mul_f64 v[44:45], v[34:35], v[166:167]
	s_waitcnt vmcnt(32)
	v_fmac_f64_e32 v[44:45], v[36:37], v[170:171]
	v_add_f64 v[46:47], v[42:43], v[44:45]
	ds_read_b128 v[42:45], v1 offset:1296
	s_waitcnt lgkmcnt(1)
	v_mul_f64 v[48:49], v[38:39], v[136:137]
	v_fmac_f64_e32 v[48:49], v[40:41], v[140:141]
	v_add_f64 v[50:51], v[46:47], v[48:49]
	ds_read_b128 v[46:49], v1 offset:1312
	s_waitcnt vmcnt(26) lgkmcnt(1)
	v_mul_f64 v[52:53], v[42:43], v[174:175]
	s_waitcnt vmcnt(24)
	v_fmac_f64_e32 v[52:53], v[44:45], v[176:177]
	v_add_f64 v[2:3], v[50:51], v[52:53]
	ds_read_b128 v[50:53], v1 offset:1328
	buffer_load_dword v13, off, s[0:3], 0 offset:652
	buffer_load_dword v12, off, s[0:3], 0 offset:648
	;; [unrolled: 1-line block ×20, first 2 shown]
	v_fma_f64 v[6:7], v[110:111], v[58:59], -v[60:61]
	v_mul_f64 v[58:59], v[116:117], v[62:63]
	v_fma_f64 v[226:227], v[114:115], v[56:57], -v[58:59]
	v_mul_f64 v[56:57], v[216:217], v[68:69]
	v_fma_f64 v[56:57], v[214:215], v[98:99], -v[56:57]
	buffer_load_dword v212, off, s[0:3], 0 offset:728
	buffer_load_dword v214, off, s[0:3], 0 offset:720
	;; [unrolled: 1-line block ×12, first 2 shown]
	s_waitcnt lgkmcnt(1)
	v_mul_f64 v[4:5], v[46:47], v[144:145]
	v_fmac_f64_e32 v[4:5], v[48:49], v[148:149]
	v_add_f64 v[58:59], v[2:3], v[4:5]
	v_mul_f64 v[2:3], v[234:235], v[64:65]
	v_fma_f64 v[2:3], v[232:233], v[66:67], -v[2:3]
	buffer_load_dword v233, off, s[0:3], 0 offset:780
	buffer_load_dword v232, off, s[0:3], 0 offset:776
	;; [unrolled: 1-line block ×4, first 2 shown]
	ds_read_b128 v[8:11], v1 offset:1344
	s_waitcnt vmcnt(54) lgkmcnt(1)
	v_mul_f64 v[4:5], v[50:51], v[178:179]
	s_waitcnt vmcnt(52)
	v_fmac_f64_e32 v[4:5], v[52:53], v[180:181]
	v_add_f64 v[4:5], v[58:59], v[4:5]
	v_mul_f64 v[58:59], v[238:239], v[74:75]
	v_fma_f64 v[236:237], v[236:237], v[94:95], -v[58:59]
	ds_read_b128 v[58:61], v1 offset:1360
	s_waitcnt lgkmcnt(1)
	v_mul_f64 v[62:63], v[8:9], v[152:153]
	v_fmac_f64_e32 v[62:63], v[10:11], v[156:157]
	v_add_f64 v[4:5], v[4:5], v[62:63]
	ds_read_b128 v[62:65], v1 offset:1376
	v_mul_f64 v[66:67], v[242:243], v[70:71]
	s_waitcnt vmcnt(46) lgkmcnt(1)
	v_mul_f64 v[70:71], v[58:59], v[182:183]
	v_fma_f64 v[240:241], v[240:241], v[72:73], -v[66:67]
	ds_read_b128 v[66:69], v1 offset:1392
	s_waitcnt vmcnt(44)
	v_fmac_f64_e32 v[70:71], v[60:61], v[184:185]
	v_add_f64 v[4:5], v[4:5], v[70:71]
	v_mul_f64 v[70:71], v[246:247], v[76:77]
	v_fma_f64 v[246:247], v[244:245], v[88:89], -v[70:71]
	ds_read_b128 v[70:73], v1 offset:1408
	ds_read_b128 v[78:81], v1 offset:1440
	s_waitcnt lgkmcnt(3)
	v_mul_f64 v[74:75], v[62:63], v[160:161]
	v_fmac_f64_e32 v[74:75], v[64:65], v[164:165]
	v_add_f64 v[4:5], v[4:5], v[74:75]
	s_waitcnt vmcnt(38) lgkmcnt(2)
	v_mul_f64 v[74:75], v[66:67], v[186:187]
	s_waitcnt vmcnt(36)
	v_fmac_f64_e32 v[74:75], v[68:69], v[188:189]
	v_add_f64 v[4:5], v[4:5], v[74:75]
	s_waitcnt lgkmcnt(1)
	v_mul_f64 v[74:75], v[70:71], v[168:169]
	v_fmac_f64_e32 v[74:75], v[72:73], v[172:173]
	v_add_f64 v[4:5], v[4:5], v[74:75]
	ds_read_b128 v[74:77], v1 offset:1424
	ds_read_b128 v[82:85], v1 offset:1456
	v_mul_f64 v[92:93], v[92:93], v[96:97]
	v_fma_f64 v[250:251], v[90:91], v[102:103], -v[92:93]
	ds_read_b128 v[98:101], v1 offset:1504
	v_mul_f64 v[96:97], v[254:255], v[108:109]
	v_fma_f64 v[224:225], v[252:253], v[224:225], -v[96:97]
	v_mul_f64 v[102:103], v[222:223], v[104:105]
	v_fma_f64 v[252:253], v[220:221], v[106:107], -v[102:103]
	ds_read_b128 v[102:105], v1 offset:1536
	v_add_f64 v[6:7], v[6:7], 0
	v_add_f64 v[6:7], v[6:7], v[226:227]
	v_add_f64 v[6:7], v[6:7], v[54:55]
	v_add_f64 v[6:7], v[6:7], v[56:57]
	v_add_f64 v[2:3], v[6:7], v[2:3]
	v_add_f64 v[2:3], v[2:3], v[236:237]
	v_add_f64 v[2:3], v[2:3], v[240:241]
	ds_read_b128 v[90:93], v1 offset:1488
	v_add_f64 v[2:3], v[2:3], v[246:247]
	v_add_f64 v[2:3], v[2:3], v[248:249]
	v_add_f64 v[2:3], v[2:3], v[204:205]
	v_add_f64 v[254:255], v[2:3], v[250:251]
	v_add_f64 v[2:3], v[254:255], v[224:225]
	v_mul_f64 v[6:7], v[124:125], v[134:135]
	v_add_f64 v[2:3], v[2:3], v[252:253]
	v_fma_f64 v[6:7], v[122:123], v[138:139], -v[6:7]
	v_add_f64 v[2:3], v[2:3], v[6:7]
	s_waitcnt vmcnt(25) lgkmcnt(3)
	v_mul_f64 v[94:95], v[82:83], v[200:201]
	s_waitcnt vmcnt(23)
	v_fmac_f64_e32 v[94:95], v[84:85], v[208:209]
	v_mul_f64 v[88:89], v[74:75], v[12:13]
	v_fmac_f64_e32 v[88:89], v[76:77], v[126:127]
	v_mul_f64 v[86:87], v[78:79], v[196:197]
	v_add_f64 v[4:5], v[4:5], v[88:89]
	v_fmac_f64_e32 v[86:87], v[80:81], v[198:199]
	v_add_f64 v[4:5], v[4:5], v[86:87]
	ds_read_b128 v[86:89], v1 offset:1472
	v_add_f64 v[4:5], v[4:5], v[94:95]
	s_waitcnt vmcnt(22) lgkmcnt(0)
	v_mul_f64 v[94:95], v[86:87], v[194:195]
	s_waitcnt vmcnt(20)
	v_fmac_f64_e32 v[94:95], v[88:89], v[206:207]
	v_add_f64 v[4:5], v[4:5], v[94:95]
	s_waitcnt vmcnt(18)
	v_mul_f64 v[94:95], v[90:91], v[202:203]
	s_waitcnt vmcnt(16)
	v_fmac_f64_e32 v[94:95], v[92:93], v[218:219]
	v_add_f64 v[4:5], v[4:5], v[94:95]
	ds_read_b128 v[94:97], v1 offset:1520
	s_waitcnt vmcnt(13)
	v_mul_f64 v[106:107], v[98:99], v[212:213]
	s_waitcnt vmcnt(12)
	v_fmac_f64_e32 v[106:107], v[100:101], v[214:215]
	v_add_f64 v[4:5], v[4:5], v[106:107]
	s_waitcnt vmcnt(9) lgkmcnt(0)
	v_mul_f64 v[106:107], v[94:95], v[228:229]
	s_waitcnt vmcnt(7)
	v_fmac_f64_e32 v[106:107], v[96:97], v[230:231]
	v_add_f64 v[4:5], v[4:5], v[106:107]
	s_waitcnt vmcnt(5)
	v_mul_f64 v[106:107], v[102:103], v[210:211]
	s_waitcnt vmcnt(4)
	v_fmac_f64_e32 v[106:107], v[104:105], v[216:217]
	v_add_f64 v[4:5], v[4:5], v[106:107]
	ds_read_b128 v[106:109], v1 offset:1552
	s_waitcnt vmcnt(2) lgkmcnt(0)
	v_mul_f64 v[110:111], v[106:107], v[232:233]
	s_waitcnt vmcnt(0)
	v_fmac_f64_e32 v[110:111], v[108:109], v[234:235]
	v_add_f64 v[114:115], v[4:5], v[110:111]
	buffer_load_dword v4, off, s[0:3], 0 offset:792
	buffer_load_dword v5, off, s[0:3], 0 offset:796
	;; [unrolled: 1-line block ×4, first 2 shown]
	ds_read_b128 v[110:113], v1 offset:1568
	buffer_load_dword v243, off, s[0:3], 0 offset:812
	buffer_load_dword v242, off, s[0:3], 0 offset:808
	;; [unrolled: 1-line block ×4, first 2 shown]
	s_waitcnt vmcnt(6) lgkmcnt(0)
	v_mul_f64 v[116:117], v[110:111], v[4:5]
	v_mul_f64 v[4:5], v[112:113], v[4:5]
	s_waitcnt vmcnt(4)
	v_fmac_f64_e32 v[116:117], v[112:113], v[238:239]
	v_add_f64 v[220:221], v[114:115], v[116:117]
	ds_read_b128 v[114:117], v1 offset:1584
	buffer_load_dword v248, off, s[0:3], 0 offset:128
	buffer_load_dword v249, off, s[0:3], 0 offset:132
	;; [unrolled: 1-line block ×4, first 2 shown]
	v_accvgpr_read_b32 v0, a152
	v_accvgpr_read_b32 v1, a153
	v_mul_f64 v[6:7], v[192:193], v[0:1]
	v_accvgpr_read_b32 v0, a154
	v_accvgpr_read_b32 v1, a155
	v_fma_f64 v[6:7], v[190:191], v[0:1], -v[6:7]
	v_add_f64 v[2:3], v[2:3], v[6:7]
	v_mul_f64 v[6:7], v[120:121], v[142:143]
	v_accvgpr_read_b32 v0, a156
	v_fma_f64 v[6:7], v[118:119], v[146:147], -v[6:7]
	v_accvgpr_read_b32 v1, a157
	v_add_f64 v[2:3], v[2:3], v[6:7]
	v_mul_f64 v[6:7], v[16:17], v[0:1]
	v_accvgpr_read_b32 v0, a158
	v_accvgpr_read_b32 v1, a159
	v_fma_f64 v[6:7], v[14:15], v[0:1], -v[6:7]
	v_add_f64 v[2:3], v[2:3], v[6:7]
	v_mul_f64 v[6:7], v[20:21], v[150:151]
	v_accvgpr_read_b32 v0, a160
	v_fma_f64 v[6:7], v[18:19], v[154:155], -v[6:7]
	v_accvgpr_read_b32 v1, a161
	v_add_f64 v[2:3], v[2:3], v[6:7]
	v_mul_f64 v[6:7], v[24:25], v[0:1]
	v_fma_f64 v[6:7], v[22:23], v[128:129], -v[6:7]
	v_add_f64 v[2:3], v[2:3], v[6:7]
	v_mul_f64 v[6:7], v[28:29], v[158:159]
	v_fma_f64 v[6:7], v[26:27], v[162:163], -v[6:7]
	;; [unrolled: 3-line block ×22, first 2 shown]
	v_add_f64 v[2:3], v[2:3], v[6:7]
	v_fma_f64 v[4:5], v[110:111], v[238:239], -v[4:5]
	v_add_f64 v[2:3], v[2:3], v[4:5]
	s_waitcnt vmcnt(6) lgkmcnt(0)
	v_mul_f64 v[4:5], v[116:117], v[242:243]
	v_mul_f64 v[222:223], v[114:115], v[242:243]
	s_waitcnt vmcnt(4)
	v_fma_f64 v[4:5], v[114:115], v[244:245], -v[4:5]
	v_fmac_f64_e32 v[222:223], v[116:117], v[244:245]
	v_add_f64 v[2:3], v[2:3], v[4:5]
	v_accvgpr_read_b32 v0, a149
	v_add_f64 v[220:221], v[220:221], v[222:223]
	s_waitcnt vmcnt(2)
	v_add_f64 v[2:3], v[248:249], -v[2:3]
	v_cmp_lt_u32_e32 vcc, 6, v0
	s_waitcnt vmcnt(0)
	v_add_f64 v[4:5], v[246:247], -v[220:221]
	buffer_store_dword v3, off, s[0:3], 0 offset:132
	buffer_store_dword v2, off, s[0:3], 0 offset:128
	;; [unrolled: 1-line block ×4, first 2 shown]
	s_and_saveexec_b64 s[4:5], vcc
	s_cbranch_execz .LBB113_301
; %bb.300:
	v_accvgpr_read_b32 v0, a143
	buffer_load_dword v2, v0, s[0:3], 0 offen
	buffer_load_dword v3, v0, s[0:3], 0 offen offset:4
	buffer_load_dword v4, v0, s[0:3], 0 offen offset:8
	;; [unrolled: 1-line block ×3, first 2 shown]
	v_mov_b32_e32 v0, 0
	v_accvgpr_read_b32 v1, a150
	buffer_store_dword v0, off, s[0:3], 0 offset:112
	buffer_store_dword v0, off, s[0:3], 0 offset:116
	;; [unrolled: 1-line block ×4, first 2 shown]
	s_waitcnt vmcnt(4)
	ds_write_b128 v1, v[2:5]
.LBB113_301:
	s_or_b64 exec, exec, s[4:5]
	s_waitcnt lgkmcnt(0)
	; wave barrier
	s_waitcnt lgkmcnt(0)
	buffer_load_dword v50, off, s[0:3], 0 offset:128
	buffer_load_dword v51, off, s[0:3], 0 offset:132
	;; [unrolled: 1-line block ×54, first 2 shown]
	v_mov_b32_e32 v1, 0
	ds_read_b128 v[102:105], v1 offset:912
	ds_read_b128 v[106:109], v1 offset:928
	;; [unrolled: 1-line block ×9, first 2 shown]
	v_accvgpr_read_b32 v0, a149
	v_cmp_lt_u32_e32 vcc, 5, v0
	s_waitcnt vmcnt(46) lgkmcnt(7)
	v_mul_f64 v[4:5], v[106:107], v[58:59]
	v_fmac_f64_e32 v[4:5], v[108:109], v[52:53]
	s_waitcnt vmcnt(44) lgkmcnt(6)
	v_mul_f64 v[6:7], v[110:111], v[202:203]
	s_waitcnt vmcnt(42) lgkmcnt(4)
	v_mul_f64 v[10:11], v[208:209], v[62:63]
	s_waitcnt vmcnt(40)
	v_fmac_f64_e32 v[10:11], v[210:211], v[60:61]
	s_waitcnt vmcnt(38)
	v_mul_f64 v[8:9], v[114:115], v[64:65]
	s_waitcnt vmcnt(36) lgkmcnt(2)
	v_mul_f64 v[14:15], v[232:233], v[66:67]
	s_waitcnt vmcnt(34)
	v_fmac_f64_e32 v[14:15], v[234:235], v[70:71]
	s_waitcnt vmcnt(32)
	;; [unrolled: 6-line block ×3, first 2 shown]
	v_fmac_f64_e32 v[8:9], v[116:117], v[80:81]
	s_waitcnt vmcnt(24)
	v_fmac_f64_e32 v[12:13], v[214:215], v[78:79]
	s_waitcnt vmcnt(22)
	;; [unrolled: 2-line block ×3, first 2 shown]
	v_pk_mov_b32 v[18:19], v[2:3], v[2:3] op_sel:[0,1]
	v_mul_f64 v[2:3], v[102:103], v[56:57]
	v_fmac_f64_e32 v[2:3], v[104:105], v[50:51]
	v_add_f64 v[2:3], v[2:3], 0
	v_add_f64 v[2:3], v[2:3], v[4:5]
	buffer_load_dword v5, off, s[0:3], 0 offset:356
	buffer_load_dword v4, off, s[0:3], 0 offset:352
	v_add_f64 v[2:3], v[2:3], v[6:7]
	v_add_f64 v[2:3], v[2:3], v[8:9]
	;; [unrolled: 1-line block ×5, first 2 shown]
	s_waitcnt lgkmcnt(0)
	v_mul_f64 v[6:7], v[240:241], v[74:75]
	v_add_f64 v[2:3], v[2:3], v[16:17]
	v_fmac_f64_e32 v[6:7], v[242:243], v[84:85]
	v_add_f64 v[2:3], v[2:3], v[6:7]
	v_accvgpr_write_b32 a153, v19
	v_accvgpr_write_b32 a152, v18
	v_mul_f64 v[74:75], v[242:243], v[74:75]
	v_fma_f64 v[240:241], v[240:241], v[84:85], -v[74:75]
	s_waitcnt vmcnt(0)
	v_pk_mov_b32 v[8:9], v[4:5], v[4:5] op_sel:[0,1]
	buffer_load_dword v55, off, s[0:3], 0 offset:348
	buffer_load_dword v54, off, s[0:3], 0 offset:344
	;; [unrolled: 1-line block ×6, first 2 shown]
	v_accvgpr_write_b32 a155, v9
	v_accvgpr_write_b32 a154, v8
	s_waitcnt vmcnt(0)
	v_pk_mov_b32 v[20:21], v[4:5], v[4:5] op_sel:[0,1]
	buffer_load_dword v5, off, s[0:3], 0 offset:388
	buffer_load_dword v4, off, s[0:3], 0 offset:384
	;; [unrolled: 1-line block ×54, first 2 shown]
	ds_read_b128 v[244:247], v1 offset:1056
	ds_read_b128 v[248:251], v1 offset:1072
	ds_read_b128 v[252:255], v1 offset:1088
	ds_read_b128 v[118:121], v1 offset:1104
	ds_read_b128 v[218:221], v1 offset:1120
	ds_read_b128 v[122:125], v1 offset:1136
	s_waitcnt lgkmcnt(5)
	v_mul_f64 v[6:7], v[244:245], v[90:91]
	v_fmac_f64_e32 v[6:7], v[246:247], v[92:93]
	v_add_f64 v[2:3], v[2:3], v[6:7]
	s_waitcnt lgkmcnt(4)
	v_mul_f64 v[6:7], v[248:249], v[86:87]
	v_fmac_f64_e32 v[6:7], v[250:251], v[88:89]
	v_add_f64 v[2:3], v[2:3], v[6:7]
	;; [unrolled: 4-line block ×4, first 2 shown]
	s_waitcnt lgkmcnt(1)
	v_mul_f64 v[6:7], v[218:219], v[54:55]
	v_fmac_f64_e32 v[6:7], v[220:221], v[198:199]
	s_waitcnt lgkmcnt(0)
	v_mul_f64 v[10:11], v[122:123], v[18:19]
	v_add_f64 v[2:3], v[2:3], v[6:7]
	ds_read_b128 v[126:129], v1 offset:1152
	v_fmac_f64_e32 v[10:11], v[124:125], v[8:9]
	v_add_f64 v[2:3], v[2:3], v[10:11]
	ds_read_b128 v[10:13], v1 offset:1168
	v_accvgpr_write_b32 a157, v21
	v_accvgpr_write_b32 a156, v20
	s_waitcnt vmcnt(52)
	v_accvgpr_write_b32 a159, v5
	s_waitcnt vmcnt(50) lgkmcnt(1)
	v_mul_f64 v[14:15], v[126:127], v[138:139]
	s_waitcnt lgkmcnt(0)
	v_mul_f64 v[18:19], v[10:11], v[20:21]
	s_waitcnt vmcnt(48)
	v_fmac_f64_e32 v[14:15], v[128:129], v[142:143]
	v_add_f64 v[2:3], v[2:3], v[14:15]
	ds_read_b128 v[14:17], v1 offset:1184
	v_fmac_f64_e32 v[18:19], v[12:13], v[4:5]
	v_add_f64 v[2:3], v[2:3], v[18:19]
	ds_read_b128 v[18:21], v1 offset:1200
	v_accvgpr_write_b32 a158, v4
	s_waitcnt vmcnt(42) lgkmcnt(1)
	v_mul_f64 v[22:23], v[14:15], v[146:147]
	s_waitcnt vmcnt(40)
	v_fmac_f64_e32 v[22:23], v[16:17], v[150:151]
	v_add_f64 v[2:3], v[2:3], v[22:23]
	s_waitcnt lgkmcnt(0)
	v_mul_f64 v[26:27], v[18:19], v[216:217]
	ds_read_b128 v[22:25], v1 offset:1216
	v_fmac_f64_e32 v[26:27], v[20:21], v[204:205]
	v_add_f64 v[2:3], v[2:3], v[26:27]
	ds_read_b128 v[26:29], v1 offset:1232
	v_mul_f64 v[4:5], v[104:105], v[56:57]
	s_waitcnt vmcnt(34) lgkmcnt(1)
	v_mul_f64 v[30:31], v[22:23], v[154:155]
	s_waitcnt vmcnt(32)
	v_fmac_f64_e32 v[30:31], v[24:25], v[158:159]
	v_add_f64 v[2:3], v[2:3], v[30:31]
	s_waitcnt lgkmcnt(0)
	v_mul_f64 v[34:35], v[26:27], v[130:131]
	ds_read_b128 v[30:33], v1 offset:1248
	v_fmac_f64_e32 v[34:35], v[28:29], v[132:133]
	v_add_f64 v[2:3], v[2:3], v[34:35]
	ds_read_b128 v[34:37], v1 offset:1264
	v_mul_f64 v[6:7], v[108:109], v[58:59]
	s_waitcnt vmcnt(26) lgkmcnt(1)
	v_mul_f64 v[38:39], v[30:31], v[162:163]
	s_waitcnt vmcnt(24)
	v_fmac_f64_e32 v[38:39], v[32:33], v[164:165]
	v_add_f64 v[2:3], v[2:3], v[38:39]
	s_waitcnt lgkmcnt(0)
	v_mul_f64 v[42:43], v[34:35], v[134:135]
	v_fmac_f64_e32 v[42:43], v[36:37], v[136:137]
	ds_read_b128 v[38:41], v1 offset:1280
	v_add_f64 v[2:3], v[2:3], v[42:43]
	ds_read_b128 v[42:45], v1 offset:1296
	buffer_load_dword v179, off, s[0:3], 0 offset:620
	buffer_load_dword v181, off, s[0:3], 0 offset:604
	;; [unrolled: 1-line block ×8, first 2 shown]
	v_fma_f64 v[8:9], v[102:103], v[50:51], -v[4:5]
	s_waitcnt vmcnt(26) lgkmcnt(1)
	v_mul_f64 v[46:47], v[38:39], v[166:167]
	s_waitcnt vmcnt(24)
	v_fmac_f64_e32 v[46:47], v[40:41], v[168:169]
	v_add_f64 v[2:3], v[2:3], v[46:47]
	ds_read_b128 v[46:49], v1 offset:1312
	buffer_load_dword v187, off, s[0:3], 0 offset:636
	buffer_load_dword v186, off, s[0:3], 0 offset:632
	;; [unrolled: 1-line block ×4, first 2 shown]
	s_waitcnt lgkmcnt(1)
	v_mul_f64 v[190:191], v[42:43], v[140:141]
	v_fmac_f64_e32 v[190:191], v[44:45], v[144:145]
	v_add_f64 v[2:3], v[2:3], v[190:191]
	buffer_load_dword v191, off, s[0:3], 0 offset:652
	buffer_load_dword v190, off, s[0:3], 0 offset:648
	;; [unrolled: 1-line block ×12, first 2 shown]
	v_fma_f64 v[102:103], v[106:107], v[52:53], -v[6:7]
	v_mul_f64 v[6:7], v[112:113], v[202:203]
	v_fma_f64 v[104:105], v[110:111], v[82:83], -v[6:7]
	buffer_load_dword v203, off, s[0:3], 0 offset:700
	buffer_load_dword v202, off, s[0:3], 0 offset:696
	;; [unrolled: 1-line block ×4, first 2 shown]
	v_mul_f64 v[6:7], v[116:117], v[64:65]
	v_fma_f64 v[106:107], v[114:115], v[80:81], -v[6:7]
	v_mul_f64 v[50:51], v[210:211], v[62:63]
	buffer_load_dword v211, off, s[0:3], 0 offset:716
	buffer_load_dword v210, off, s[0:3], 0 offset:712
	buffer_load_dword v7, off, s[0:3], 0 offset:708
	buffer_load_dword v6, off, s[0:3], 0 offset:704
	v_fma_f64 v[108:109], v[208:209], v[60:61], -v[50:51]
	buffer_load_dword v209, off, s[0:3], 0 offset:748
	buffer_load_dword v223, off, s[0:3], 0 offset:732
	buffer_load_dword v222, off, s[0:3], 0 offset:728
	buffer_load_dword v229, off, s[0:3], 0 offset:724
	buffer_load_dword v228, off, s[0:3], 0 offset:720
	buffer_load_dword v208, off, s[0:3], 0 offset:744
	buffer_load_dword v227, off, s[0:3], 0 offset:740
	buffer_load_dword v226, off, s[0:3], 0 offset:736
	buffer_load_dword v225, off, s[0:3], 0 offset:764
	buffer_load_dword v224, off, s[0:3], 0 offset:760
	buffer_load_dword v231, off, s[0:3], 0 offset:756
	buffer_load_dword v230, off, s[0:3], 0 offset:752
	ds_read_b128 v[50:53], v1 offset:1328
	v_mul_f64 v[60:61], v[214:215], v[76:77]
	v_fma_f64 v[4:5], v[212:213], v[78:79], -v[60:61]
	ds_read_b128 v[212:215], v1 offset:1344
	s_waitcnt vmcnt(54) lgkmcnt(2)
	v_mul_f64 v[58:59], v[46:47], v[170:171]
	s_waitcnt vmcnt(52)
	v_fmac_f64_e32 v[58:59], v[48:49], v[172:173]
	v_add_f64 v[2:3], v[2:3], v[58:59]
	s_waitcnt lgkmcnt(1)
	v_mul_f64 v[58:59], v[50:51], v[148:149]
	v_fmac_f64_e32 v[58:59], v[52:53], v[152:153]
	v_add_f64 v[2:3], v[2:3], v[58:59]
	s_waitcnt vmcnt(46) lgkmcnt(0)
	v_mul_f64 v[58:59], v[212:213], v[174:175]
	s_waitcnt vmcnt(44)
	v_fmac_f64_e32 v[58:59], v[214:215], v[176:177]
	v_add_f64 v[2:3], v[2:3], v[58:59]
	ds_read_b128 v[58:61], v1 offset:1360
	v_mul_f64 v[62:63], v[234:235], v[66:67]
	v_fma_f64 v[232:233], v[232:233], v[70:71], -v[62:63]
	ds_read_b128 v[62:65], v1 offset:1376
	v_mul_f64 v[66:67], v[238:239], v[68:69]
	v_fma_f64 v[234:235], v[236:237], v[72:73], -v[66:67]
	ds_read_b128 v[66:69], v1 offset:1392
	ds_read_b128 v[74:77], v1 offset:1424
	s_waitcnt lgkmcnt(3)
	v_mul_f64 v[70:71], v[58:59], v[156:157]
	v_fmac_f64_e32 v[70:71], v[60:61], v[160:161]
	v_add_f64 v[2:3], v[2:3], v[70:71]
	v_mul_f64 v[78:79], v[246:247], v[90:91]
	v_fma_f64 v[246:247], v[244:245], v[92:93], -v[78:79]
	v_mul_f64 v[86:87], v[250:251], v[86:87]
	v_fma_f64 v[248:249], v[248:249], v[88:89], -v[86:87]
	v_mul_f64 v[94:95], v[120:121], v[94:95]
	v_mul_f64 v[54:55], v[220:221], v[54:55]
	v_fma_f64 v[54:55], v[218:219], v[198:199], -v[54:55]
	v_accvgpr_write_b32 a161, v55
	v_accvgpr_write_b32 a160, v54
	v_add_f64 v[8:9], v[8:9], 0
	v_add_f64 v[8:9], v[8:9], v[102:103]
	;; [unrolled: 1-line block ×11, first 2 shown]
	ds_read_b128 v[78:81], v1 offset:1440
	v_accvgpr_read_b32 v8, a152
	v_accvgpr_read_b32 v9, a153
	;; [unrolled: 1-line block ×3, first 2 shown]
	v_mul_f64 v[8:9], v[124:125], v[8:9]
	v_accvgpr_read_b32 v103, a155
	v_fma_f64 v[8:9], v[122:123], v[102:103], -v[8:9]
	ds_read_b128 v[86:89], v1 offset:1472
	s_waitcnt vmcnt(41) lgkmcnt(4)
	v_mul_f64 v[70:71], v[62:63], v[180:181]
	s_waitcnt vmcnt(39)
	v_fmac_f64_e32 v[70:71], v[64:65], v[184:185]
	v_add_f64 v[2:3], v[2:3], v[70:71]
	s_waitcnt vmcnt(38) lgkmcnt(3)
	v_mul_f64 v[70:71], v[66:67], v[178:179]
	s_waitcnt vmcnt(36)
	v_fmac_f64_e32 v[70:71], v[68:69], v[182:183]
	v_add_f64 v[2:3], v[2:3], v[70:71]
	ds_read_b128 v[70:73], v1 offset:1408
	s_waitcnt vmcnt(34) lgkmcnt(0)
	v_mul_f64 v[82:83], v[70:71], v[186:187]
	s_waitcnt vmcnt(32)
	v_fmac_f64_e32 v[82:83], v[72:73], v[188:189]
	v_add_f64 v[2:3], v[2:3], v[82:83]
	s_waitcnt vmcnt(30)
	v_mul_f64 v[82:83], v[74:75], v[190:191]
	s_waitcnt vmcnt(28)
	v_fmac_f64_e32 v[82:83], v[76:77], v[194:195]
	v_add_f64 v[2:3], v[2:3], v[82:83]
	s_waitcnt vmcnt(26)
	v_mul_f64 v[82:83], v[78:79], v[192:193]
	s_waitcnt vmcnt(24)
	v_fmac_f64_e32 v[82:83], v[80:81], v[196:197]
	v_add_f64 v[2:3], v[2:3], v[82:83]
	ds_read_b128 v[82:85], v1 offset:1456
	s_waitcnt vmcnt(21) lgkmcnt(0)
	v_mul_f64 v[90:91], v[82:83], v[56:57]
	s_waitcnt vmcnt(20)
	v_fmac_f64_e32 v[90:91], v[84:85], v[200:201]
	v_add_f64 v[110:111], v[2:3], v[90:91]
	v_mul_f64 v[90:91], v[254:255], v[98:99]
	v_fma_f64 v[252:253], v[252:253], v[100:101], -v[90:91]
	ds_read_b128 v[90:93], v1 offset:1488
	s_waitcnt vmcnt(18)
	v_mul_f64 v[98:99], v[86:87], v[202:203]
	s_waitcnt vmcnt(16)
	v_fmac_f64_e32 v[98:99], v[88:89], v[206:207]
	v_fma_f64 v[254:255], v[118:119], v[96:97], -v[94:95]
	ds_read_b128 v[94:97], v1 offset:1504
	s_waitcnt vmcnt(14) lgkmcnt(1)
	v_mul_f64 v[100:101], v[90:91], v[210:211]
	v_add_f64 v[98:99], v[110:111], v[98:99]
	s_waitcnt vmcnt(12)
	v_fmac_f64_e32 v[100:101], v[92:93], v[6:7]
	v_add_f64 v[110:111], v[98:99], v[100:101]
	ds_read_b128 v[98:101], v1 offset:1520
	ds_read_b128 v[118:121], v1 offset:1536
	s_waitcnt vmcnt(9) lgkmcnt(2)
	v_mul_f64 v[54:55], v[94:95], v[222:223]
	s_waitcnt vmcnt(7)
	v_fmac_f64_e32 v[54:55], v[96:97], v[228:229]
	v_add_f64 v[54:55], v[110:111], v[54:55]
	s_waitcnt vmcnt(6) lgkmcnt(1)
	v_mul_f64 v[110:111], v[98:99], v[208:209]
	s_waitcnt vmcnt(4)
	v_fmac_f64_e32 v[110:111], v[100:101], v[226:227]
	v_add_f64 v[54:55], v[54:55], v[110:111]
	s_waitcnt vmcnt(2) lgkmcnt(0)
	v_mul_f64 v[110:111], v[118:119], v[224:225]
	buffer_load_dword v2, off, s[0:3], 0 offset:776
	s_waitcnt vmcnt(1)
	v_fmac_f64_e32 v[110:111], v[120:121], v[230:231]
	v_add_f64 v[110:111], v[54:55], v[110:111]
	buffer_load_dword v54, off, s[0:3], 0 offset:768
	buffer_load_dword v3, off, s[0:3], 0 offset:780
	buffer_load_dword v55, off, s[0:3], 0 offset:772
	ds_read_b128 v[218:221], v1 offset:1552
	buffer_load_dword v237, off, s[0:3], 0 offset:796
	buffer_load_dword v236, off, s[0:3], 0 offset:792
	;; [unrolled: 1-line block ×4, first 2 shown]
	v_add_f64 v[4:5], v[4:5], v[252:253]
	v_add_f64 v[252:253], v[4:5], v[254:255]
	v_accvgpr_read_b32 v4, a160
	v_accvgpr_read_b32 v5, a161
	v_add_f64 v[4:5], v[252:253], v[4:5]
	v_add_f64 v[4:5], v[4:5], v[8:9]
	v_mul_f64 v[8:9], v[128:129], v[138:139]
	v_fma_f64 v[8:9], v[126:127], v[142:143], -v[8:9]
	v_add_f64 v[4:5], v[4:5], v[8:9]
	v_accvgpr_read_b32 v8, a156
	v_accvgpr_read_b32 v9, a157
	v_mul_f64 v[8:9], v[12:13], v[8:9]
	v_accvgpr_read_b32 v12, a158
	v_accvgpr_read_b32 v13, a159
	v_fma_f64 v[8:9], v[10:11], v[12:13], -v[8:9]
	v_add_f64 v[4:5], v[4:5], v[8:9]
	v_mul_f64 v[8:9], v[16:17], v[146:147]
	v_fma_f64 v[8:9], v[14:15], v[150:151], -v[8:9]
	v_add_f64 v[4:5], v[4:5], v[8:9]
	v_mul_f64 v[8:9], v[20:21], v[216:217]
	;; [unrolled: 3-line block ×20, first 2 shown]
	v_fma_f64 v[6:7], v[90:91], v[6:7], -v[8:9]
	v_add_f64 v[4:5], v[4:5], v[6:7]
	s_waitcnt vmcnt(5) lgkmcnt(0)
	v_mul_f64 v[112:113], v[218:219], v[2:3]
	s_waitcnt vmcnt(4)
	v_fmac_f64_e32 v[112:113], v[220:221], v[54:55]
	v_add_f64 v[114:115], v[110:111], v[112:113]
	ds_read_b128 v[110:113], v1 offset:1568
	buffer_load_dword v242, off, s[0:3], 0 offset:808
	buffer_load_dword v243, off, s[0:3], 0 offset:812
	;; [unrolled: 1-line block ×4, first 2 shown]
	v_mul_f64 v[6:7], v[96:97], v[222:223]
	v_fma_f64 v[6:7], v[94:95], v[228:229], -v[6:7]
	v_add_f64 v[4:5], v[4:5], v[6:7]
	s_waitcnt vmcnt(6) lgkmcnt(0)
	v_mul_f64 v[116:117], v[110:111], v[236:237]
	s_waitcnt vmcnt(4)
	v_fmac_f64_e32 v[116:117], v[112:113], v[238:239]
	v_add_f64 v[198:199], v[114:115], v[116:117]
	ds_read_b128 v[114:117], v1 offset:1584
	buffer_load_dword v248, off, s[0:3], 0 offset:112
	buffer_load_dword v249, off, s[0:3], 0 offset:116
	;; [unrolled: 1-line block ×4, first 2 shown]
	v_mul_f64 v[6:7], v[100:101], v[208:209]
	v_fma_f64 v[6:7], v[98:99], v[226:227], -v[6:7]
	v_add_f64 v[4:5], v[4:5], v[6:7]
	v_mul_f64 v[6:7], v[120:121], v[224:225]
	v_fma_f64 v[6:7], v[118:119], v[230:231], -v[6:7]
	v_mul_f64 v[2:3], v[220:221], v[2:3]
	v_add_f64 v[4:5], v[4:5], v[6:7]
	v_fma_f64 v[2:3], v[218:219], v[54:55], -v[2:3]
	v_add_f64 v[2:3], v[4:5], v[2:3]
	v_mul_f64 v[4:5], v[112:113], v[236:237]
	v_fma_f64 v[4:5], v[110:111], v[238:239], -v[4:5]
	v_add_f64 v[2:3], v[2:3], v[4:5]
	s_waitcnt vmcnt(6) lgkmcnt(0)
	v_mul_f64 v[4:5], v[116:117], v[242:243]
	v_mul_f64 v[250:251], v[114:115], v[242:243]
	s_waitcnt vmcnt(4)
	v_fma_f64 v[4:5], v[114:115], v[244:245], -v[4:5]
	v_fmac_f64_e32 v[250:251], v[116:117], v[244:245]
	v_add_f64 v[2:3], v[2:3], v[4:5]
	v_add_f64 v[198:199], v[198:199], v[250:251]
	s_waitcnt vmcnt(2)
	v_add_f64 v[2:3], v[248:249], -v[2:3]
	s_waitcnt vmcnt(0)
	v_add_f64 v[4:5], v[246:247], -v[198:199]
	buffer_store_dword v3, off, s[0:3], 0 offset:116
	buffer_store_dword v2, off, s[0:3], 0 offset:112
	;; [unrolled: 1-line block ×4, first 2 shown]
	s_and_saveexec_b64 s[4:5], vcc
	s_cbranch_execz .LBB113_303
; %bb.302:
	v_accvgpr_read_b32 v0, a144
	buffer_load_dword v2, v0, s[0:3], 0 offen
	buffer_load_dword v3, v0, s[0:3], 0 offen offset:4
	buffer_load_dword v4, v0, s[0:3], 0 offen offset:8
	;; [unrolled: 1-line block ×3, first 2 shown]
	v_accvgpr_read_b32 v0, a150
	buffer_store_dword v1, off, s[0:3], 0 offset:96
	buffer_store_dword v1, off, s[0:3], 0 offset:100
	;; [unrolled: 1-line block ×4, first 2 shown]
	s_waitcnt vmcnt(4)
	ds_write_b128 v0, v[2:5]
.LBB113_303:
	s_or_b64 exec, exec, s[4:5]
	s_waitcnt lgkmcnt(0)
	; wave barrier
	s_waitcnt lgkmcnt(0)
	buffer_load_dword v184, off, s[0:3], 0 offset:112
	buffer_load_dword v185, off, s[0:3], 0 offset:116
	;; [unrolled: 1-line block ×36, first 2 shown]
	ds_read_b128 v[82:85], v1 offset:896
	ds_read_b128 v[78:81], v1 offset:912
	;; [unrolled: 1-line block ×9, first 2 shown]
	buffer_load_dword v235, off, s[0:3], 0 offset:284
	buffer_load_dword v234, off, s[0:3], 0 offset:280
	buffer_load_dword v237, off, s[0:3], 0 offset:276
	buffer_load_dword v236, off, s[0:3], 0 offset:272
	buffer_load_dword v239, off, s[0:3], 0 offset:268
	buffer_load_dword v238, off, s[0:3], 0 offset:264
	buffer_load_dword v241, off, s[0:3], 0 offset:260
	buffer_load_dword v240, off, s[0:3], 0 offset:256
	buffer_load_dword v247, off, s[0:3], 0 offset:316
	buffer_load_dword v246, off, s[0:3], 0 offset:312
	buffer_load_dword v249, off, s[0:3], 0 offset:308
	buffer_load_dword v248, off, s[0:3], 0 offset:304
	buffer_load_dword v251, off, s[0:3], 0 offset:300
	buffer_load_dword v250, off, s[0:3], 0 offset:296
	buffer_load_dword v253, off, s[0:3], 0 offset:292
	buffer_load_dword v252, off, s[0:3], 0 offset:288
	buffer_load_dword v243, off, s[0:3], 0 offset:348
	buffer_load_dword v242, off, s[0:3], 0 offset:344
	buffer_load_dword v245, off, s[0:3], 0 offset:340
	s_waitcnt vmcnt(51) lgkmcnt(8)
	v_mul_f64 v[2:3], v[82:83], v[192:193]
	v_fmac_f64_e32 v[2:3], v[84:85], v[184:185]
	v_add_f64 v[2:3], v[2:3], 0
	s_waitcnt vmcnt(47) lgkmcnt(7)
	v_mul_f64 v[4:5], v[78:79], v[196:197]
	v_fmac_f64_e32 v[4:5], v[80:81], v[194:195]
	v_add_f64 v[2:3], v[2:3], v[4:5]
	buffer_load_dword v244, off, s[0:3], 0 offset:336
	buffer_load_dword v99, off, s[0:3], 0 offset:332
	;; [unrolled: 1-line block ×7, first 2 shown]
	s_waitcnt vmcnt(52) lgkmcnt(6)
	v_mul_f64 v[6:7], v[74:75], v[200:201]
	s_waitcnt vmcnt(50) lgkmcnt(4)
	v_mul_f64 v[10:11], v[62:63], v[220:221]
	s_waitcnt vmcnt(48)
	v_fmac_f64_e32 v[10:11], v[64:65], v[222:223]
	v_mul_f64 v[80:81], v[80:81], v[196:197]
	s_waitcnt vmcnt(46)
	v_mul_f64 v[8:9], v[70:71], v[202:203]
	v_fma_f64 v[78:79], v[78:79], v[194:195], -v[80:81]
	s_waitcnt vmcnt(44) lgkmcnt(2)
	v_mul_f64 v[14:15], v[54:55], v[104:105]
	v_mul_f64 v[64:65], v[64:65], v[220:221]
	s_waitcnt vmcnt(42)
	v_fmac_f64_e32 v[14:15], v[56:57], v[108:109]
	v_fma_f64 v[220:221], v[62:63], v[222:223], -v[64:65]
	s_waitcnt vmcnt(40)
	v_mul_f64 v[12:13], v[50:51], v[112:113]
	s_waitcnt vmcnt(38) lgkmcnt(1)
	v_mul_f64 v[16:17], v[58:59], v[106:107]
	s_waitcnt vmcnt(36)
	v_fmac_f64_e32 v[6:7], v[76:77], v[198:199]
	v_add_f64 v[2:3], v[2:3], v[6:7]
	s_waitcnt vmcnt(34)
	v_fmac_f64_e32 v[8:9], v[72:73], v[116:117]
	v_add_f64 v[2:3], v[2:3], v[8:9]
	;; [unrolled: 3-line block ×3, first 2 shown]
	v_add_f64 v[2:3], v[2:3], v[12:13]
	s_waitcnt vmcnt(30)
	v_fmac_f64_e32 v[16:17], v[60:61], v[110:111]
	v_add_f64 v[2:3], v[2:3], v[14:15]
	v_add_f64 v[2:3], v[2:3], v[16:17]
	v_mul_f64 v[76:77], v[76:77], v[200:201]
	v_fma_f64 v[80:81], v[74:75], v[198:199], -v[76:77]
	v_mul_f64 v[72:73], v[72:73], v[202:203]
	v_mul_f64 v[52:53], v[52:53], v[112:113]
	;; [unrolled: 1-line block ×3, first 2 shown]
	v_fma_f64 v[116:117], v[70:71], v[116:117], -v[72:73]
	s_waitcnt vmcnt(0)
	v_pk_mov_b32 v[18:19], v[4:5], v[4:5] op_sel:[0,1]
	buffer_load_dword v5, off, s[0:3], 0 offset:372
	buffer_load_dword v4, off, s[0:3], 0 offset:368
	v_accvgpr_write_b32 a153, v19
	v_accvgpr_write_b32 a152, v18
	s_waitcnt vmcnt(0)
	v_pk_mov_b32 v[20:21], v[4:5], v[4:5] op_sel:[0,1]
	buffer_load_dword v135, off, s[0:3], 0 offset:364
	buffer_load_dword v134, off, s[0:3], 0 offset:360
	;; [unrolled: 1-line block ×6, first 2 shown]
	v_accvgpr_write_b32 a155, v21
	v_accvgpr_write_b32 a154, v20
	s_waitcnt vmcnt(0)
	v_pk_mov_b32 v[26:27], v[4:5], v[4:5] op_sel:[0,1]
	buffer_load_dword v5, off, s[0:3], 0 offset:404
	buffer_load_dword v4, off, s[0:3], 0 offset:400
	v_accvgpr_write_b32 a157, v27
	v_accvgpr_write_b32 a156, v26
	s_waitcnt vmcnt(0)
	v_pk_mov_b32 v[28:29], v[4:5], v[4:5] op_sel:[0,1]
	buffer_load_dword v143, off, s[0:3], 0 offset:396
	buffer_load_dword v142, off, s[0:3], 0 offset:392
	;; [unrolled: 1-line block ×6, first 2 shown]
	v_accvgpr_write_b32 a159, v29
	v_accvgpr_write_b32 a158, v28
	s_waitcnt vmcnt(0)
	v_pk_mov_b32 v[34:35], v[4:5], v[4:5] op_sel:[0,1]
	buffer_load_dword v5, off, s[0:3], 0 offset:436
	buffer_load_dword v4, off, s[0:3], 0 offset:432
	;; [unrolled: 1-line block ×38, first 2 shown]
	ds_read_b128 v[210:213], v1 offset:1040
	ds_read_b128 v[214:217], v1 offset:1056
	;; [unrolled: 1-line block ×9, first 2 shown]
	v_accvgpr_write_b32 a161, v35
	s_waitcnt lgkmcnt(3)
	v_mul_f64 v[8:9], v[94:95], v[242:243]
	v_fmac_f64_e32 v[8:9], v[96:97], v[244:245]
	s_waitcnt lgkmcnt(2)
	v_mul_f64 v[12:13], v[130:131], v[134:135]
	v_fmac_f64_e32 v[12:13], v[132:133], v[138:139]
	;; [unrolled: 3-line block ×3, first 2 shown]
	v_accvgpr_write_b32 a160, v34
	v_mul_f64 v[70:71], v[212:213], v[238:239]
	v_mul_f64 v[96:97], v[96:97], v[242:243]
	s_waitcnt vmcnt(36)
	v_pk_mov_b32 v[36:37], v[4:5], v[4:5] op_sel:[0,1]
	v_mul_f64 v[4:5], v[66:67], v[102:103]
	v_fmac_f64_e32 v[4:5], v[68:69], v[232:233]
	v_add_f64 v[2:3], v[2:3], v[4:5]
	v_mul_f64 v[4:5], v[210:211], v[238:239]
	v_fmac_f64_e32 v[4:5], v[212:213], v[240:241]
	v_add_f64 v[2:3], v[2:3], v[4:5]
	;; [unrolled: 3-line block ×6, first 2 shown]
	v_add_f64 v[10:11], v[6:7], v[8:9]
	v_add_f64 v[14:15], v[10:11], v[12:13]
	;; [unrolled: 1-line block ×3, first 2 shown]
	ds_read_b128 v[14:17], v1 offset:1184
	s_waitcnt lgkmcnt(1)
	v_mul_f64 v[20:21], v[122:123], v[142:143]
	v_fmac_f64_e32 v[20:21], v[124:125], v[146:147]
	v_add_f64 v[22:23], v[18:19], v[20:21]
	ds_read_b128 v[18:21], v1 offset:1200
	s_waitcnt lgkmcnt(1)
	v_mul_f64 v[24:25], v[14:15], v[26:27]
	v_fmac_f64_e32 v[24:25], v[16:17], v[28:29]
	v_add_f64 v[26:27], v[22:23], v[24:25]
	ds_read_b128 v[22:25], v1 offset:1216
	s_waitcnt vmcnt(34) lgkmcnt(1)
	v_mul_f64 v[28:29], v[18:19], v[150:151]
	s_waitcnt vmcnt(32)
	v_fmac_f64_e32 v[28:29], v[20:21], v[154:155]
	v_add_f64 v[30:31], v[26:27], v[28:29]
	ds_read_b128 v[26:29], v1 offset:1232
	s_waitcnt lgkmcnt(1)
	v_mul_f64 v[32:33], v[22:23], v[34:35]
	v_fmac_f64_e32 v[32:33], v[24:25], v[36:37]
	v_accvgpr_write_b32 a163, v37
	v_accvgpr_write_b32 a162, v36
	v_add_f64 v[34:35], v[30:31], v[32:33]
	ds_read_b128 v[30:33], v1 offset:1248
	s_waitcnt vmcnt(26) lgkmcnt(1)
	v_mul_f64 v[36:37], v[26:27], v[158:159]
	s_waitcnt vmcnt(24)
	v_fmac_f64_e32 v[36:37], v[28:29], v[160:161]
	v_add_f64 v[38:39], v[34:35], v[36:37]
	ds_read_b128 v[34:37], v1 offset:1264
	s_waitcnt lgkmcnt(1)
	v_mul_f64 v[40:41], v[30:31], v[204:205]
	v_fmac_f64_e32 v[40:41], v[32:33], v[254:255]
	v_add_f64 v[42:43], v[38:39], v[40:41]
	ds_read_b128 v[38:41], v1 offset:1280
	s_waitcnt vmcnt(18) lgkmcnt(1)
	v_mul_f64 v[44:45], v[34:35], v[162:163]
	s_waitcnt vmcnt(16)
	v_fmac_f64_e32 v[44:45], v[36:37], v[164:165]
	v_add_f64 v[46:47], v[42:43], v[44:45]
	ds_read_b128 v[42:45], v1 offset:1296
	buffer_load_dword v175, off, s[0:3], 0 offset:588
	buffer_load_dword v174, off, s[0:3], 0 offset:584
	;; [unrolled: 1-line block ×4, first 2 shown]
	s_waitcnt lgkmcnt(1)
	v_mul_f64 v[48:49], v[38:39], v[136:137]
	v_fmac_f64_e32 v[48:49], v[40:41], v[140:141]
	v_add_f64 v[178:179], v[46:47], v[48:49]
	ds_read_b128 v[46:49], v1 offset:1312
	buffer_load_dword v181, off, s[0:3], 0 offset:604
	buffer_load_dword v180, off, s[0:3], 0 offset:600
	;; [unrolled: 1-line block ×4, first 2 shown]
	s_waitcnt vmcnt(18) lgkmcnt(1)
	v_mul_f64 v[186:187], v[42:43], v[166:167]
	s_waitcnt vmcnt(16)
	v_fmac_f64_e32 v[186:187], v[44:45], v[168:169]
	v_add_f64 v[2:3], v[178:179], v[186:187]
	buffer_load_dword v179, off, s[0:3], 0 offset:636
	buffer_load_dword v187, off, s[0:3], 0 offset:620
	;; [unrolled: 1-line block ×8, first 2 shown]
	v_mul_f64 v[4:5], v[84:85], v[192:193]
	v_fma_f64 v[10:11], v[82:83], v[184:185], -v[4:5]
	buffer_load_dword v184, off, s[0:3], 0 offset:664
	buffer_load_dword v193, off, s[0:3], 0 offset:652
	;; [unrolled: 1-line block ×20, first 2 shown]
	s_waitcnt lgkmcnt(0)
	v_mul_f64 v[8:9], v[46:47], v[144:145]
	v_fmac_f64_e32 v[8:9], v[48:49], v[148:149]
	v_fma_f64 v[6:7], v[50:51], v[114:115], -v[52:53]
	buffer_load_dword v223, off, s[0:3], 0 offset:732
	buffer_load_dword v222, off, s[0:3], 0 offset:728
	;; [unrolled: 1-line block ×12, first 2 shown]
	v_add_f64 v[2:3], v[2:3], v[8:9]
	ds_read_b128 v[50:53], v1 offset:1328
	v_mul_f64 v[8:9], v[56:57], v[104:105]
	v_fma_f64 v[8:9], v[54:55], v[108:109], -v[8:9]
	ds_read_b128 v[54:57], v1 offset:1344
	v_fma_f64 v[4:5], v[58:59], v[110:111], -v[60:61]
	ds_read_b128 v[58:61], v1 offset:1360
	s_waitcnt vmcnt(50) lgkmcnt(2)
	v_mul_f64 v[62:63], v[50:51], v[170:171]
	s_waitcnt vmcnt(48)
	v_fmac_f64_e32 v[62:63], v[52:53], v[172:173]
	s_waitcnt lgkmcnt(1)
	v_mul_f64 v[12:13], v[54:55], v[152:153]
	v_add_f64 v[2:3], v[2:3], v[62:63]
	ds_read_b128 v[62:65], v1 offset:1376
	v_fmac_f64_e32 v[12:13], v[56:57], v[156:157]
	v_add_f64 v[2:3], v[2:3], v[12:13]
	v_fma_f64 v[240:241], v[210:211], v[240:241], -v[70:71]
	v_mul_f64 v[82:83], v[216:217], v[234:235]
	v_mul_f64 v[88:89], v[88:89], v[246:247]
	v_fma_f64 v[246:247], v[86:87], v[248:249], -v[88:89]
	ds_read_b128 v[86:89], v1 offset:1488
	v_mul_f64 v[92:93], v[92:93], v[98:99]
	v_add_f64 v[10:11], v[10:11], 0
	v_add_f64 v[10:11], v[10:11], v[78:79]
	;; [unrolled: 1-line block ×8, first 2 shown]
	v_mul_f64 v[6:7], v[132:133], v[134:135]
	v_fma_f64 v[6:7], v[130:131], v[138:139], -v[6:7]
	ds_read_b128 v[70:73], v1 offset:1408
	ds_read_b128 v[210:213], v1 offset:1472
	s_waitcnt vmcnt(46) lgkmcnt(4)
	v_mul_f64 v[12:13], v[58:59], v[174:175]
	s_waitcnt vmcnt(44)
	v_fmac_f64_e32 v[12:13], v[60:61], v[176:177]
	v_add_f64 v[2:3], v[2:3], v[12:13]
	v_mul_f64 v[12:13], v[68:69], v[102:103]
	v_fma_f64 v[12:13], v[66:67], v[232:233], -v[12:13]
	ds_read_b128 v[66:69], v1 offset:1392
	s_waitcnt vmcnt(42) lgkmcnt(4)
	v_mul_f64 v[74:75], v[62:63], v[180:181]
	s_waitcnt vmcnt(40)
	v_fmac_f64_e32 v[74:75], v[64:65], v[182:183]
	v_add_f64 v[2:3], v[2:3], v[74:75]
	v_fma_f64 v[232:233], v[214:215], v[236:237], -v[82:83]
	s_waitcnt vmcnt(37) lgkmcnt(0)
	v_mul_f64 v[74:75], v[66:67], v[186:187]
	s_waitcnt vmcnt(35)
	v_fmac_f64_e32 v[74:75], v[68:69], v[190:191]
	v_add_f64 v[2:3], v[2:3], v[74:75]
	s_waitcnt vmcnt(34)
	v_mul_f64 v[74:75], v[70:71], v[178:179]
	s_waitcnt vmcnt(32)
	v_fmac_f64_e32 v[74:75], v[72:73], v[188:189]
	v_add_f64 v[2:3], v[2:3], v[74:75]
	ds_read_b128 v[74:77], v1 offset:1424
	ds_read_b128 v[214:217], v1 offset:1440
	v_add_f64 v[4:5], v[4:5], v[12:13]
	v_add_f64 v[4:5], v[4:5], v[240:241]
	;; [unrolled: 1-line block ×3, first 2 shown]
	s_waitcnt vmcnt(29) lgkmcnt(1)
	v_mul_f64 v[82:83], v[74:75], v[192:193]
	s_waitcnt vmcnt(27)
	v_fmac_f64_e32 v[82:83], v[76:77], v[196:197]
	v_add_f64 v[2:3], v[2:3], v[82:83]
	v_mul_f64 v[82:83], v[120:121], v[250:251]
	v_fma_f64 v[118:119], v[118:119], v[252:253], -v[82:83]
	ds_read_b128 v[82:85], v1 offset:1456
	s_waitcnt vmcnt(25) lgkmcnt(1)
	v_mul_f64 v[102:103], v[214:215], v[184:185]
	s_waitcnt vmcnt(24)
	v_fmac_f64_e32 v[102:103], v[216:217], v[194:195]
	v_add_f64 v[2:3], v[2:3], v[102:103]
	v_fma_f64 v[250:251], v[90:91], v[100:101], -v[92:93]
	s_waitcnt vmcnt(21) lgkmcnt(0)
	v_mul_f64 v[102:103], v[82:83], v[200:201]
	s_waitcnt vmcnt(19)
	v_fmac_f64_e32 v[102:103], v[84:85], v[208:209]
	v_add_f64 v[2:3], v[2:3], v[102:103]
	s_waitcnt vmcnt(18)
	v_mul_f64 v[102:103], v[210:211], v[198:199]
	s_waitcnt vmcnt(16)
	v_fmac_f64_e32 v[102:103], v[212:213], v[206:207]
	v_add_f64 v[2:3], v[2:3], v[102:103]
	ds_read_b128 v[98:101], v1 offset:1504
	s_waitcnt vmcnt(14)
	v_mul_f64 v[102:103], v[86:87], v[202:203]
	s_waitcnt vmcnt(12)
	v_fmac_f64_e32 v[102:103], v[88:89], v[218:219]
	v_add_f64 v[2:3], v[2:3], v[102:103]
	ds_read_b128 v[90:93], v1 offset:1520
	ds_read_b128 v[102:105], v1 offset:1536
	buffer_load_dword v121, off, s[0:3], 0 offset:780
	buffer_load_dword v120, off, s[0:3], 0 offset:776
	;; [unrolled: 1-line block ×4, first 2 shown]
	ds_read_b128 v[106:109], v1 offset:1552
	buffer_load_dword v236, off, s[0:3], 0 offset:792
	buffer_load_dword v237, off, s[0:3], 0 offset:796
	;; [unrolled: 1-line block ×4, first 2 shown]
	v_fma_f64 v[252:253], v[94:95], v[244:245], -v[96:97]
	ds_read_b128 v[110:113], v1 offset:1568
	buffer_load_dword v243, off, s[0:3], 0 offset:812
	buffer_load_dword v242, off, s[0:3], 0 offset:808
	;; [unrolled: 1-line block ×4, first 2 shown]
	s_waitcnt vmcnt(22) lgkmcnt(4)
	v_mul_f64 v[94:95], v[98:99], v[222:223]
	s_waitcnt vmcnt(20)
	v_fmac_f64_e32 v[94:95], v[100:101], v[224:225]
	v_add_f64 v[2:3], v[2:3], v[94:95]
	s_waitcnt vmcnt(17) lgkmcnt(3)
	v_mul_f64 v[94:95], v[90:91], v[228:229]
	s_waitcnt vmcnt(15)
	v_fmac_f64_e32 v[94:95], v[92:93], v[230:231]
	v_add_f64 v[2:3], v[2:3], v[94:95]
	;; [unrolled: 5-line block ×3, first 2 shown]
	v_add_f64 v[4:5], v[4:5], v[118:119]
	v_add_f64 v[118:119], v[4:5], v[246:247]
	v_add_f64 v[4:5], v[118:119], v[250:251]
	v_add_f64 v[4:5], v[4:5], v[252:253]
	v_add_f64 v[4:5], v[4:5], v[6:7]
	s_waitcnt vmcnt(10) lgkmcnt(1)
	v_mul_f64 v[94:95], v[106:107], v[120:121]
	s_waitcnt vmcnt(8)
	v_fmac_f64_e32 v[94:95], v[108:109], v[234:235]
	v_add_f64 v[2:3], v[2:3], v[94:95]
	s_waitcnt vmcnt(6) lgkmcnt(0)
	v_mul_f64 v[94:95], v[110:111], v[236:237]
	s_waitcnt vmcnt(4)
	v_fmac_f64_e32 v[94:95], v[112:113], v[238:239]
	v_add_f64 v[2:3], v[2:3], v[94:95]
	ds_read_b128 v[94:97], v1 offset:1584
	v_accvgpr_read_b32 v0, a152
	v_accvgpr_read_b32 v1, a153
	v_mul_f64 v[6:7], v[128:129], v[0:1]
	v_accvgpr_read_b32 v0, a154
	s_waitcnt vmcnt(2) lgkmcnt(0)
	v_mul_f64 v[248:249], v[94:95], v[242:243]
	s_waitcnt vmcnt(0)
	v_fmac_f64_e32 v[248:249], v[96:97], v[244:245]
	v_add_f64 v[2:3], v[2:3], v[248:249]
	buffer_load_dword v248, off, s[0:3], 0 offset:96
	buffer_load_dword v249, off, s[0:3], 0 offset:100
	;; [unrolled: 1-line block ×4, first 2 shown]
	v_accvgpr_read_b32 v1, a155
	v_fma_f64 v[6:7], v[126:127], v[0:1], -v[6:7]
	v_add_f64 v[4:5], v[4:5], v[6:7]
	v_mul_f64 v[6:7], v[124:125], v[142:143]
	v_accvgpr_read_b32 v0, a156
	v_fma_f64 v[6:7], v[122:123], v[146:147], -v[6:7]
	v_accvgpr_read_b32 v1, a157
	v_add_f64 v[4:5], v[4:5], v[6:7]
	v_mul_f64 v[6:7], v[16:17], v[0:1]
	v_accvgpr_read_b32 v0, a158
	v_accvgpr_read_b32 v1, a159
	v_fma_f64 v[6:7], v[14:15], v[0:1], -v[6:7]
	v_add_f64 v[4:5], v[4:5], v[6:7]
	v_mul_f64 v[6:7], v[20:21], v[150:151]
	v_accvgpr_read_b32 v0, a160
	v_fma_f64 v[6:7], v[18:19], v[154:155], -v[6:7]
	v_accvgpr_read_b32 v1, a161
	v_add_f64 v[4:5], v[4:5], v[6:7]
	v_mul_f64 v[6:7], v[24:25], v[0:1]
	v_accvgpr_read_b32 v0, a162
	v_accvgpr_read_b32 v1, a163
	v_fma_f64 v[6:7], v[22:23], v[0:1], -v[6:7]
	v_add_f64 v[4:5], v[4:5], v[6:7]
	v_mul_f64 v[6:7], v[28:29], v[158:159]
	v_fma_f64 v[6:7], v[26:27], v[160:161], -v[6:7]
	v_add_f64 v[4:5], v[4:5], v[6:7]
	v_mul_f64 v[6:7], v[32:33], v[204:205]
	;; [unrolled: 3-line block ×23, first 2 shown]
	v_fma_f64 v[6:7], v[94:95], v[244:245], -v[6:7]
	v_add_f64 v[4:5], v[4:5], v[6:7]
	v_accvgpr_read_b32 v0, a149
	s_waitcnt vmcnt(2)
	v_add_f64 v[4:5], v[248:249], -v[4:5]
	v_cmp_lt_u32_e32 vcc, 4, v0
	s_waitcnt vmcnt(0)
	v_add_f64 v[2:3], v[246:247], -v[2:3]
	buffer_store_dword v5, off, s[0:3], 0 offset:100
	buffer_store_dword v4, off, s[0:3], 0 offset:96
	;; [unrolled: 1-line block ×4, first 2 shown]
	s_and_saveexec_b64 s[4:5], vcc
	s_cbranch_execz .LBB113_305
; %bb.304:
	v_accvgpr_read_b32 v0, a145
	buffer_load_dword v2, v0, s[0:3], 0 offen
	buffer_load_dword v3, v0, s[0:3], 0 offen offset:4
	buffer_load_dword v4, v0, s[0:3], 0 offen offset:8
	;; [unrolled: 1-line block ×3, first 2 shown]
	v_mov_b32_e32 v0, 0
	v_accvgpr_read_b32 v1, a150
	buffer_store_dword v0, off, s[0:3], 0 offset:80
	buffer_store_dword v0, off, s[0:3], 0 offset:84
	;; [unrolled: 1-line block ×4, first 2 shown]
	s_waitcnt vmcnt(4)
	ds_write_b128 v1, v[2:5]
.LBB113_305:
	s_or_b64 exec, exec, s[4:5]
	s_waitcnt lgkmcnt(0)
	; wave barrier
	s_waitcnt lgkmcnt(0)
	buffer_load_dword v56, off, s[0:3], 0 offset:96
	buffer_load_dword v57, off, s[0:3], 0 offset:100
	;; [unrolled: 1-line block ×36, first 2 shown]
	v_mov_b32_e32 v122, 0
	buffer_load_dword v87, off, s[0:3], 0 offset:268
	buffer_load_dword v86, off, s[0:3], 0 offset:264
	;; [unrolled: 1-line block ×18, first 2 shown]
	ds_read_b128 v[110:113], v122 offset:880
	ds_read_b128 v[114:117], v122 offset:896
	;; [unrolled: 1-line block ×9, first 2 shown]
	s_waitcnt vmcnt(50) lgkmcnt(8)
	v_mul_f64 v[2:3], v[110:111], v[58:59]
	v_fmac_f64_e32 v[2:3], v[112:113], v[56:57]
	v_add_f64 v[2:3], v[2:3], 0
	s_waitcnt vmcnt(46) lgkmcnt(7)
	v_mul_f64 v[4:5], v[114:115], v[54:55]
	v_fmac_f64_e32 v[4:5], v[116:117], v[52:53]
	v_add_f64 v[2:3], v[2:3], v[4:5]
	buffer_load_dword v105, off, s[0:3], 0 offset:324
	buffer_load_dword v104, off, s[0:3], 0 offset:320
	;; [unrolled: 1-line block ×8, first 2 shown]
	s_waitcnt vmcnt(52) lgkmcnt(6)
	v_mul_f64 v[6:7], v[194:195], v[50:51]
	s_waitcnt vmcnt(50) lgkmcnt(4)
	v_mul_f64 v[10:11], v[202:203], v[60:61]
	s_waitcnt vmcnt(48)
	v_fmac_f64_e32 v[10:11], v[204:205], v[62:63]
	v_mul_f64 v[50:51], v[196:197], v[50:51]
	s_waitcnt vmcnt(46)
	v_mul_f64 v[8:9], v[198:199], v[64:65]
	v_mul_f64 v[54:55], v[116:117], v[54:55]
	s_waitcnt vmcnt(44) lgkmcnt(2)
	v_mul_f64 v[14:15], v[212:213], v[74:75]
	s_waitcnt vmcnt(42)
	v_fmac_f64_e32 v[14:15], v[214:215], v[72:73]
	s_waitcnt vmcnt(40)
	v_mul_f64 v[12:13], v[208:209], v[76:77]
	s_waitcnt vmcnt(38) lgkmcnt(1)
	v_mul_f64 v[16:17], v[230:231], v[68:69]
	s_waitcnt vmcnt(36)
	v_fmac_f64_e32 v[6:7], v[196:197], v[82:83]
	v_add_f64 v[2:3], v[2:3], v[6:7]
	s_waitcnt vmcnt(34)
	v_fmac_f64_e32 v[8:9], v[200:201], v[80:81]
	v_add_f64 v[2:3], v[2:3], v[8:9]
	;; [unrolled: 3-line block ×3, first 2 shown]
	v_add_f64 v[2:3], v[2:3], v[12:13]
	v_add_f64 v[2:3], v[2:3], v[14:15]
	s_waitcnt vmcnt(30)
	v_fmac_f64_e32 v[16:17], v[232:233], v[70:71]
	v_add_f64 v[2:3], v[2:3], v[16:17]
	s_waitcnt vmcnt(0)
	v_pk_mov_b32 v[14:15], v[4:5], v[4:5] op_sel:[0,1]
	buffer_load_dword v5, off, s[0:3], 0 offset:356
	buffer_load_dword v4, off, s[0:3], 0 offset:352
	v_accvgpr_write_b32 a153, v15
	v_accvgpr_write_b32 a152, v14
	s_waitcnt vmcnt(0)
	v_pk_mov_b32 v[18:19], v[4:5], v[4:5] op_sel:[0,1]
	buffer_load_dword v107, off, s[0:3], 0 offset:348
	buffer_load_dword v106, off, s[0:3], 0 offset:344
	;; [unrolled: 1-line block ×6, first 2 shown]
	v_accvgpr_write_b32 a155, v19
	v_accvgpr_write_b32 a154, v18
	s_waitcnt vmcnt(0)
	v_pk_mov_b32 v[22:23], v[4:5], v[4:5] op_sel:[0,1]
	buffer_load_dword v5, off, s[0:3], 0 offset:388
	buffer_load_dword v4, off, s[0:3], 0 offset:384
	v_accvgpr_write_b32 a157, v23
	v_accvgpr_write_b32 a156, v22
	s_waitcnt vmcnt(0)
	v_pk_mov_b32 v[24:25], v[4:5], v[4:5] op_sel:[0,1]
	buffer_load_dword v139, off, s[0:3], 0 offset:380
	buffer_load_dword v138, off, s[0:3], 0 offset:376
	;; [unrolled: 1-line block ×6, first 2 shown]
	v_accvgpr_write_b32 a159, v25
	v_accvgpr_write_b32 a158, v24
	s_waitcnt vmcnt(0)
	v_pk_mov_b32 v[30:31], v[4:5], v[4:5] op_sel:[0,1]
	buffer_load_dword v217, off, s[0:3], 0 offset:420
	buffer_load_dword v216, off, s[0:3], 0 offset:416
	;; [unrolled: 1-line block ×38, first 2 shown]
	ds_read_b128 v[238:241], v122 offset:1024
	ds_read_b128 v[242:245], v122 offset:1040
	ds_read_b128 v[246:249], v122 offset:1056
	ds_read_b128 v[250:253], v122 offset:1072
	ds_read_b128 v[118:121], v122 offset:1088
	ds_read_b128 v[218:221], v122 offset:1104
	ds_read_b128 v[222:225], v122 offset:1120
	ds_read_b128 v[128:131], v122 offset:1136
	ds_read_b128 v[124:127], v122 offset:1152
	v_accvgpr_write_b32 a161, v31
	v_accvgpr_write_b32 a160, v30
	s_waitcnt lgkmcnt(2)
	v_mul_f64 v[8:9], v[222:223], v[106:107]
	v_fmac_f64_e32 v[8:9], v[224:225], v[108:109]
	s_waitcnt lgkmcnt(1)
	v_mul_f64 v[12:13], v[128:129], v[14:15]
	v_fmac_f64_e32 v[12:13], v[130:131], v[18:19]
	s_waitcnt vmcnt(30)
	v_pk_mov_b32 v[38:39], v[4:5], v[4:5] op_sel:[0,1]
	v_mul_f64 v[4:5], v[234:235], v[66:67]
	v_fmac_f64_e32 v[4:5], v[236:237], v[84:85]
	v_add_f64 v[2:3], v[2:3], v[4:5]
	v_mul_f64 v[4:5], v[238:239], v[90:91]
	v_fmac_f64_e32 v[4:5], v[240:241], v[92:93]
	v_add_f64 v[2:3], v[2:3], v[4:5]
	;; [unrolled: 3-line block ×7, first 2 shown]
	v_add_f64 v[10:11], v[6:7], v[8:9]
	v_add_f64 v[14:15], v[10:11], v[12:13]
	ds_read_b128 v[10:13], v122 offset:1168
	s_waitcnt lgkmcnt(1)
	v_mul_f64 v[16:17], v[124:125], v[138:139]
	v_fmac_f64_e32 v[16:17], v[126:127], v[142:143]
	v_add_f64 v[18:19], v[14:15], v[16:17]
	ds_read_b128 v[14:17], v122 offset:1184
	s_waitcnt lgkmcnt(1)
	v_mul_f64 v[20:21], v[10:11], v[22:23]
	v_fmac_f64_e32 v[20:21], v[12:13], v[24:25]
	;; [unrolled: 5-line block ×4, first 2 shown]
	v_add_f64 v[30:31], v[26:27], v[28:29]
	ds_read_b128 v[26:29], v122 offset:1232
	s_waitcnt vmcnt(26) lgkmcnt(1)
	v_mul_f64 v[32:33], v[22:23], v[154:155]
	s_waitcnt vmcnt(24)
	v_fmac_f64_e32 v[32:33], v[24:25], v[156:157]
	v_add_f64 v[34:35], v[30:31], v[32:33]
	ds_read_b128 v[30:33], v122 offset:1248
	s_waitcnt lgkmcnt(1)
	v_mul_f64 v[36:37], v[26:27], v[38:39]
	v_accvgpr_write_b32 a163, v39
	v_fmac_f64_e32 v[36:37], v[28:29], v[132:133]
	v_accvgpr_write_b32 a162, v38
	v_add_f64 v[38:39], v[34:35], v[36:37]
	ds_read_b128 v[34:37], v122 offset:1264
	s_waitcnt vmcnt(18) lgkmcnt(1)
	v_mul_f64 v[40:41], v[30:31], v[158:159]
	s_waitcnt vmcnt(16)
	v_fmac_f64_e32 v[40:41], v[32:33], v[160:161]
	v_add_f64 v[42:43], v[38:39], v[40:41]
	ds_read_b128 v[38:41], v122 offset:1280
	s_waitcnt lgkmcnt(1)
	v_mul_f64 v[44:45], v[34:35], v[134:135]
	v_fmac_f64_e32 v[44:45], v[36:37], v[136:137]
	v_add_f64 v[46:47], v[42:43], v[44:45]
	ds_read_b128 v[42:45], v122 offset:1296
	s_waitcnt vmcnt(10) lgkmcnt(1)
	v_mul_f64 v[48:49], v[38:39], v[162:163]
	s_waitcnt vmcnt(8)
	v_fmac_f64_e32 v[48:49], v[40:41], v[164:165]
	v_add_f64 v[172:173], v[46:47], v[48:49]
	ds_read_b128 v[46:49], v122 offset:1312
	buffer_load_dword v171, off, s[0:3], 0 offset:572
	buffer_load_dword v170, off, s[0:3], 0 offset:568
	;; [unrolled: 1-line block ×4, first 2 shown]
	s_waitcnt lgkmcnt(1)
	v_mul_f64 v[176:177], v[42:43], v[140:141]
	v_fmac_f64_e32 v[176:177], v[44:45], v[144:145]
	v_add_f64 v[2:3], v[172:173], v[176:177]
	buffer_load_dword v177, off, s[0:3], 0 offset:588
	buffer_load_dword v176, off, s[0:3], 0 offset:584
	;; [unrolled: 1-line block ×20, first 2 shown]
	v_mul_f64 v[4:5], v[112:113], v[58:59]
	v_fma_f64 v[112:113], v[194:195], v[82:83], -v[50:51]
	buffer_load_dword v195, off, s[0:3], 0 offset:668
	buffer_load_dword v194, off, s[0:3], 0 offset:664
	;; [unrolled: 1-line block ×4, first 2 shown]
	v_mul_f64 v[50:51], v[200:201], v[64:65]
	v_fma_f64 v[6:7], v[110:111], v[56:57], -v[4:5]
	v_fma_f64 v[110:111], v[114:115], v[52:53], -v[54:55]
	;; [unrolled: 1-line block ×3, first 2 shown]
	v_mul_f64 v[50:51], v[204:205], v[60:61]
	v_fma_f64 v[116:117], v[202:203], v[62:63], -v[50:51]
	buffer_load_dword v199, off, s[0:3], 0 offset:684
	buffer_load_dword v198, off, s[0:3], 0 offset:680
	;; [unrolled: 1-line block ×8, first 2 shown]
	ds_read_b128 v[50:53], v122 offset:1328
	v_mul_f64 v[54:55], v[210:211], v[76:77]
	v_fma_f64 v[4:5], v[208:209], v[78:79], -v[54:55]
	s_waitcnt vmcnt(38) lgkmcnt(1)
	v_mul_f64 v[54:55], v[46:47], v[166:167]
	s_waitcnt vmcnt(36)
	v_fmac_f64_e32 v[54:55], v[48:49], v[168:169]
	v_add_f64 v[2:3], v[2:3], v[54:55]
	s_waitcnt lgkmcnt(0)
	v_mul_f64 v[54:55], v[50:51], v[148:149]
	v_mul_f64 v[8:9], v[214:215], v[74:75]
	;; [unrolled: 1-line block ×3, first 2 shown]
	v_fmac_f64_e32 v[54:55], v[52:53], v[152:153]
	buffer_load_dword v211, off, s[0:3], 0 offset:716
	buffer_load_dword v210, off, s[0:3], 0 offset:712
	;; [unrolled: 1-line block ×4, first 2 shown]
	v_fma_f64 v[8:9], v[212:213], v[72:73], -v[8:9]
	buffer_load_dword v204, off, s[0:3], 0 offset:744
	buffer_load_dword v227, off, s[0:3], 0 offset:732
	;; [unrolled: 1-line block ×8, first 2 shown]
	v_fma_f64 v[232:233], v[230:231], v[70:71], -v[56:57]
	buffer_load_dword v209, off, s[0:3], 0 offset:764
	buffer_load_dword v208, off, s[0:3], 0 offset:760
	;; [unrolled: 1-line block ×4, first 2 shown]
	v_add_f64 v[2:3], v[2:3], v[54:55]
	ds_read_b128 v[54:57], v122 offset:1344
	v_mul_f64 v[58:59], v[236:237], v[66:67]
	v_fma_f64 v[234:235], v[234:235], v[84:85], -v[58:59]
	ds_read_b128 v[58:61], v122 offset:1360
	v_mul_f64 v[70:71], v[244:245], v[86:87]
	v_fma_f64 v[236:237], v[242:243], v[88:89], -v[70:71]
	ds_read_b128 v[70:73], v122 offset:1408
	v_mul_f64 v[82:83], v[252:253], v[96:97]
	ds_read_b128 v[86:89], v122 offset:1472
	v_mul_f64 v[0:1], v[120:121], v[0:1]
	v_fma_f64 v[252:253], v[118:119], v[254:255], -v[0:1]
	v_add_f64 v[6:7], v[6:7], 0
	v_add_f64 v[6:7], v[6:7], v[110:111]
	;; [unrolled: 1-line block ×9, first 2 shown]
	v_accvgpr_read_b32 v6, a152
	v_accvgpr_read_b32 v7, a153
	;; [unrolled: 1-line block ×3, first 2 shown]
	v_mul_f64 v[6:7], v[130:131], v[6:7]
	v_accvgpr_read_b32 v9, a155
	v_fma_f64 v[6:7], v[128:129], v[8:9], -v[6:7]
	v_accvgpr_read_b32 v8, a158
	v_accvgpr_read_b32 v9, a159
	s_waitcnt vmcnt(50) lgkmcnt(3)
	v_mul_f64 v[62:63], v[54:55], v[170:171]
	s_waitcnt vmcnt(48)
	v_fmac_f64_e32 v[62:63], v[56:57], v[174:175]
	v_add_f64 v[2:3], v[2:3], v[62:63]
	v_mul_f64 v[62:63], v[240:241], v[90:91]
	v_fma_f64 v[240:241], v[238:239], v[92:93], -v[62:63]
	ds_read_b128 v[62:65], v122 offset:1376
	s_waitcnt vmcnt(46) lgkmcnt(3)
	v_mul_f64 v[66:67], v[58:59], v[176:177]
	s_waitcnt vmcnt(44)
	v_fmac_f64_e32 v[66:67], v[60:61], v[178:179]
	v_add_f64 v[2:3], v[2:3], v[66:67]
	ds_read_b128 v[66:69], v122 offset:1392
	s_waitcnt vmcnt(41) lgkmcnt(1)
	v_mul_f64 v[74:75], v[62:63], v[182:183]
	s_waitcnt vmcnt(39)
	v_fmac_f64_e32 v[74:75], v[64:65], v[186:187]
	v_add_f64 v[2:3], v[2:3], v[74:75]
	v_mul_f64 v[74:75], v[248:249], v[100:101]
	v_fma_f64 v[246:247], v[246:247], v[102:103], -v[74:75]
	ds_read_b128 v[74:77], v122 offset:1424
	s_waitcnt vmcnt(38) lgkmcnt(1)
	v_mul_f64 v[78:79], v[66:67], v[172:173]
	s_waitcnt vmcnt(36)
	v_fmac_f64_e32 v[78:79], v[68:69], v[184:185]
	v_add_f64 v[2:3], v[2:3], v[78:79]
	s_waitcnt vmcnt(33)
	v_mul_f64 v[78:79], v[70:71], v[190:191]
	s_waitcnt vmcnt(31)
	v_fmac_f64_e32 v[78:79], v[72:73], v[192:193]
	v_add_f64 v[2:3], v[2:3], v[78:79]
	s_waitcnt vmcnt(29) lgkmcnt(0)
	v_mul_f64 v[78:79], v[74:75], v[180:181]
	s_waitcnt vmcnt(28)
	v_fmac_f64_e32 v[78:79], v[76:77], v[188:189]
	v_add_f64 v[2:3], v[2:3], v[78:79]
	ds_read_b128 v[78:81], v122 offset:1440
	v_fma_f64 v[248:249], v[250:251], v[98:99], -v[82:83]
	ds_read_b128 v[82:85], v122 offset:1456
	v_mul_f64 v[98:99], v[224:225], v[106:107]
	v_fma_f64 v[98:99], v[222:223], v[108:109], -v[98:99]
	s_waitcnt vmcnt(26) lgkmcnt(1)
	v_mul_f64 v[90:91], v[78:79], v[194:195]
	s_waitcnt vmcnt(24)
	v_fmac_f64_e32 v[90:91], v[80:81], v[196:197]
	v_add_f64 v[0:1], v[2:3], v[90:91]
	s_waitcnt vmcnt(22) lgkmcnt(0)
	v_mul_f64 v[2:3], v[82:83], v[198:199]
	s_waitcnt vmcnt(20)
	v_fmac_f64_e32 v[2:3], v[84:85], v[202:203]
	v_add_f64 v[0:1], v[0:1], v[2:3]
	ds_read_b128 v[90:93], v122 offset:1488
	s_waitcnt vmcnt(18)
	v_mul_f64 v[2:3], v[86:87], v[200:201]
	s_waitcnt vmcnt(16)
	v_fmac_f64_e32 v[2:3], v[88:89], v[206:207]
	v_add_f64 v[0:1], v[0:1], v[2:3]
	v_mul_f64 v[2:3], v[220:221], v[94:95]
	v_accvgpr_write_b32 a165, v99
	v_fma_f64 v[254:255], v[218:219], v[104:105], -v[2:3]
	ds_read_b128 v[94:97], v122 offset:1504
	v_accvgpr_write_b32 a164, v98
	ds_read_b128 v[98:101], v122 offset:1520
	ds_read_b128 v[102:105], v122 offset:1536
	buffer_load_dword v218, off, s[0:3], 0 offset:776
	buffer_load_dword v219, off, s[0:3], 0 offset:780
	;; [unrolled: 1-line block ×4, first 2 shown]
	ds_read_b128 v[106:109], v122 offset:1552
	buffer_load_dword v225, off, s[0:3], 0 offset:796
	buffer_load_dword v224, off, s[0:3], 0 offset:792
	;; [unrolled: 1-line block ×4, first 2 shown]
	s_waitcnt vmcnt(22) lgkmcnt(4)
	v_mul_f64 v[2:3], v[90:91], v[210:211]
	s_waitcnt vmcnt(20)
	v_fmac_f64_e32 v[2:3], v[92:93], v[214:215]
	v_add_f64 v[0:1], v[0:1], v[2:3]
	s_waitcnt vmcnt(17) lgkmcnt(3)
	v_mul_f64 v[2:3], v[94:95], v[226:227]
	s_waitcnt vmcnt(15)
	v_fmac_f64_e32 v[2:3], v[96:97], v[228:229]
	v_add_f64 v[0:1], v[0:1], v[2:3]
	s_waitcnt vmcnt(13) lgkmcnt(2)
	v_mul_f64 v[2:3], v[98:99], v[204:205]
	s_waitcnt vmcnt(12)
	v_fmac_f64_e32 v[2:3], v[100:101], v[212:213]
	v_add_f64 v[0:1], v[0:1], v[2:3]
	s_waitcnt vmcnt(10) lgkmcnt(1)
	v_mul_f64 v[2:3], v[102:103], v[208:209]
	s_waitcnt vmcnt(8)
	v_fmac_f64_e32 v[2:3], v[104:105], v[230:231]
	v_add_f64 v[0:1], v[0:1], v[2:3]
	v_add_f64 v[4:5], v[4:5], v[240:241]
	v_add_f64 v[4:5], v[4:5], v[236:237]
	;; [unrolled: 1-line block ×6, first 2 shown]
	v_accvgpr_read_b32 v4, a164
	v_accvgpr_read_b32 v5, a165
	v_add_f64 v[4:5], v[252:253], v[4:5]
	v_add_f64 v[4:5], v[4:5], v[6:7]
	v_mul_f64 v[6:7], v[126:127], v[138:139]
	v_fma_f64 v[6:7], v[124:125], v[142:143], -v[6:7]
	v_add_f64 v[4:5], v[4:5], v[6:7]
	v_accvgpr_read_b32 v6, a156
	v_accvgpr_read_b32 v7, a157
	v_mul_f64 v[6:7], v[12:13], v[6:7]
	v_fma_f64 v[6:7], v[10:11], v[8:9], -v[6:7]
	v_add_f64 v[4:5], v[4:5], v[6:7]
	v_mul_f64 v[6:7], v[16:17], v[146:147]
	v_fma_f64 v[6:7], v[14:15], v[150:151], -v[6:7]
	v_add_f64 v[4:5], v[4:5], v[6:7]
	v_accvgpr_read_b32 v6, a160
	v_accvgpr_read_b32 v7, a161
	v_mul_f64 v[6:7], v[20:21], v[6:7]
	v_fma_f64 v[6:7], v[18:19], v[216:217], -v[6:7]
	;; [unrolled: 8-line block ×3, first 2 shown]
	v_add_f64 v[4:5], v[4:5], v[6:7]
	v_mul_f64 v[6:7], v[32:33], v[158:159]
	v_fma_f64 v[6:7], v[30:31], v[160:161], -v[6:7]
	v_add_f64 v[4:5], v[4:5], v[6:7]
	v_mul_f64 v[6:7], v[36:37], v[134:135]
	v_fma_f64 v[6:7], v[34:35], v[136:137], -v[6:7]
	;; [unrolled: 3-line block ×10, first 2 shown]
	s_waitcnt vmcnt(6) lgkmcnt(0)
	v_mul_f64 v[2:3], v[106:107], v[218:219]
	v_add_f64 v[4:5], v[4:5], v[6:7]
	s_waitcnt vmcnt(4)
	v_fmac_f64_e32 v[2:3], v[108:109], v[220:221]
	v_add_f64 v[118:119], v[0:1], v[2:3]
	ds_read_b128 v[0:3], v122 offset:1568
	buffer_load_dword v242, off, s[0:3], 0 offset:808
	buffer_load_dword v243, off, s[0:3], 0 offset:812
	buffer_load_dword v244, off, s[0:3], 0 offset:800
	buffer_load_dword v245, off, s[0:3], 0 offset:804
	v_mul_f64 v[6:7], v[72:73], v[190:191]
	v_fma_f64 v[6:7], v[70:71], v[192:193], -v[6:7]
	v_add_f64 v[4:5], v[4:5], v[6:7]
	s_waitcnt vmcnt(6) lgkmcnt(0)
	v_mul_f64 v[120:121], v[0:1], v[224:225]
	s_waitcnt vmcnt(4)
	v_fmac_f64_e32 v[120:121], v[2:3], v[238:239]
	v_add_f64 v[222:223], v[118:119], v[120:121]
	ds_read_b128 v[118:121], v122 offset:1584
	buffer_load_dword v248, off, s[0:3], 0 offset:80
	buffer_load_dword v249, off, s[0:3], 0 offset:84
	;; [unrolled: 1-line block ×4, first 2 shown]
	v_mul_f64 v[6:7], v[76:77], v[180:181]
	v_fma_f64 v[6:7], v[74:75], v[188:189], -v[6:7]
	v_add_f64 v[4:5], v[4:5], v[6:7]
	v_mul_f64 v[6:7], v[80:81], v[194:195]
	v_fma_f64 v[6:7], v[78:79], v[196:197], -v[6:7]
	v_add_f64 v[4:5], v[4:5], v[6:7]
	;; [unrolled: 3-line block ×8, first 2 shown]
	v_mul_f64 v[6:7], v[108:109], v[218:219]
	v_fma_f64 v[6:7], v[106:107], v[220:221], -v[6:7]
	v_mul_f64 v[2:3], v[2:3], v[224:225]
	v_add_f64 v[4:5], v[4:5], v[6:7]
	v_fma_f64 v[0:1], v[0:1], v[238:239], -v[2:3]
	v_add_f64 v[0:1], v[4:5], v[0:1]
	s_waitcnt vmcnt(6) lgkmcnt(0)
	v_mul_f64 v[2:3], v[120:121], v[242:243]
	v_mul_f64 v[250:251], v[118:119], v[242:243]
	s_waitcnt vmcnt(4)
	v_fma_f64 v[2:3], v[118:119], v[244:245], -v[2:3]
	v_fmac_f64_e32 v[250:251], v[120:121], v[244:245]
	v_add_f64 v[0:1], v[0:1], v[2:3]
	v_add_f64 v[222:223], v[222:223], v[250:251]
	s_waitcnt vmcnt(2)
	v_add_f64 v[0:1], v[248:249], -v[0:1]
	s_waitcnt vmcnt(0)
	v_add_f64 v[2:3], v[246:247], -v[222:223]
	buffer_store_dword v1, off, s[0:3], 0 offset:84
	buffer_store_dword v0, off, s[0:3], 0 offset:80
	;; [unrolled: 1-line block ×4, first 2 shown]
	v_accvgpr_read_b32 v0, a149
	v_cmp_lt_u32_e32 vcc, 3, v0
	s_and_saveexec_b64 s[4:5], vcc
	s_cbranch_execz .LBB113_307
; %bb.306:
	v_accvgpr_read_b32 v0, a146
	buffer_load_dword v2, v0, s[0:3], 0 offen
	buffer_load_dword v3, v0, s[0:3], 0 offen offset:4
	buffer_load_dword v4, v0, s[0:3], 0 offen offset:8
	;; [unrolled: 1-line block ×3, first 2 shown]
	v_accvgpr_read_b32 v0, a150
	buffer_store_dword v122, off, s[0:3], 0 offset:64
	buffer_store_dword v122, off, s[0:3], 0 offset:68
	;; [unrolled: 1-line block ×4, first 2 shown]
	s_waitcnt vmcnt(4)
	ds_write_b128 v0, v[2:5]
.LBB113_307:
	s_or_b64 exec, exec, s[4:5]
	s_waitcnt lgkmcnt(0)
	; wave barrier
	s_waitcnt lgkmcnt(0)
	buffer_load_dword v60, off, s[0:3], 0 offset:80
	buffer_load_dword v61, off, s[0:3], 0 offset:84
	;; [unrolled: 1-line block ×42, first 2 shown]
	ds_read_b128 v[114:117], v122 offset:864
	ds_read_b128 v[180:183], v122 offset:880
	;; [unrolled: 1-line block ×10, first 2 shown]
	buffer_load_dword v255, off, s[0:3], 0 offset:228
	buffer_load_dword v254, off, s[0:3], 0 offset:224
	ds_read_b128 v[62:65], v122 offset:1024
	buffer_load_dword v101, off, s[0:3], 0 offset:284
	buffer_load_dword v100, off, s[0:3], 0 offset:280
	;; [unrolled: 1-line block ×6, first 2 shown]
	s_waitcnt vmcnt(46) lgkmcnt(10)
	v_mul_f64 v[0:1], v[114:115], v[66:67]
	v_fmac_f64_e32 v[0:1], v[116:117], v[60:61]
	v_add_f64 v[0:1], v[0:1], 0
	v_mul_f64 v[66:67], v[116:117], v[66:67]
	s_waitcnt vmcnt(42) lgkmcnt(9)
	v_mul_f64 v[2:3], v[180:181], v[58:59]
	v_fmac_f64_e32 v[2:3], v[182:183], v[50:51]
	s_waitcnt vmcnt(40) lgkmcnt(8)
	v_mul_f64 v[4:5], v[184:185], v[52:53]
	v_add_f64 v[0:1], v[0:1], v[2:3]
	s_waitcnt vmcnt(38) lgkmcnt(6)
	v_mul_f64 v[8:9], v[198:199], v[68:69]
	s_waitcnt vmcnt(36)
	v_fmac_f64_e32 v[8:9], v[200:201], v[70:71]
	s_waitcnt vmcnt(34)
	v_mul_f64 v[6:7], v[192:193], v[72:73]
	s_waitcnt vmcnt(32) lgkmcnt(4)
	v_mul_f64 v[12:13], v[206:207], v[74:75]
	s_waitcnt vmcnt(30)
	v_fmac_f64_e32 v[12:13], v[208:209], v[76:77]
	s_waitcnt vmcnt(28)
	v_mul_f64 v[10:11], v[202:203], v[78:79]
	s_waitcnt vmcnt(26) lgkmcnt(2)
	v_mul_f64 v[16:17], v[214:215], v[82:83]
	s_waitcnt vmcnt(23)
	v_mul_f64 v[14:15], v[210:211], v[86:87]
	s_waitcnt vmcnt(21) lgkmcnt(1)
	v_mul_f64 v[18:19], v[54:55], v[80:81]
	s_waitcnt vmcnt(19)
	v_fmac_f64_e32 v[4:5], v[186:187], v[96:97]
	v_add_f64 v[0:1], v[0:1], v[4:5]
	s_waitcnt vmcnt(17)
	v_fmac_f64_e32 v[6:7], v[194:195], v[92:93]
	v_add_f64 v[0:1], v[0:1], v[6:7]
	;; [unrolled: 3-line block ×3, first 2 shown]
	v_add_f64 v[0:1], v[0:1], v[10:11]
	s_waitcnt vmcnt(13)
	v_fmac_f64_e32 v[14:15], v[212:213], v[88:89]
	v_add_f64 v[0:1], v[0:1], v[12:13]
	s_waitcnt vmcnt(12)
	v_fmac_f64_e32 v[16:17], v[216:217], v[84:85]
	v_add_f64 v[0:1], v[0:1], v[14:15]
	v_add_f64 v[6:7], v[0:1], v[16:17]
	buffer_load_dword v1, off, s[0:3], 0 offset:260
	buffer_load_dword v0, off, s[0:3], 0 offset:256
	;; [unrolled: 1-line block ×20, first 2 shown]
	s_waitcnt vmcnt(26)
	v_fmac_f64_e32 v[18:19], v[56:57], v[254:255]
	s_waitcnt lgkmcnt(0)
	v_mul_f64 v[8:9], v[62:63], v[94:95]
	v_add_f64 v[6:7], v[6:7], v[18:19]
	v_fmac_f64_e32 v[8:9], v[64:65], v[98:99]
	v_add_f64 v[6:7], v[6:7], v[8:9]
	v_mul_f64 v[56:57], v[56:57], v[80:81]
	v_fma_f64 v[254:255], v[54:55], v[254:255], -v[56:57]
	s_waitcnt vmcnt(0)
	v_pk_mov_b32 v[20:21], v[4:5], v[4:5] op_sel:[0,1]
	buffer_load_dword v5, off, s[0:3], 0 offset:372
	buffer_load_dword v4, off, s[0:3], 0 offset:368
	v_accvgpr_write_b32 a153, v21
	v_accvgpr_write_b32 a152, v20
	s_waitcnt vmcnt(0)
	v_pk_mov_b32 v[22:23], v[4:5], v[4:5] op_sel:[0,1]
	buffer_load_dword v135, off, s[0:3], 0 offset:364
	buffer_load_dword v134, off, s[0:3], 0 offset:360
	buffer_load_dword v139, off, s[0:3], 0 offset:356
	buffer_load_dword v138, off, s[0:3], 0 offset:352
	buffer_load_dword v5, off, s[0:3], 0 offset:412
	buffer_load_dword v4, off, s[0:3], 0 offset:408
	v_accvgpr_write_b32 a155, v23
	v_accvgpr_write_b32 a154, v22
	s_waitcnt vmcnt(0)
	v_pk_mov_b32 v[26:27], v[4:5], v[4:5] op_sel:[0,1]
	buffer_load_dword v5, off, s[0:3], 0 offset:404
	buffer_load_dword v4, off, s[0:3], 0 offset:400
	v_accvgpr_write_b32 a157, v27
	v_accvgpr_write_b32 a156, v26
	s_waitcnt vmcnt(0)
	v_pk_mov_b32 v[28:29], v[4:5], v[4:5] op_sel:[0,1]
	buffer_load_dword v143, off, s[0:3], 0 offset:396
	buffer_load_dword v142, off, s[0:3], 0 offset:392
	;; [unrolled: 1-line block ×6, first 2 shown]
	v_accvgpr_write_b32 a159, v29
	v_accvgpr_write_b32 a158, v28
	s_waitcnt vmcnt(0)
	v_pk_mov_b32 v[34:35], v[4:5], v[4:5] op_sel:[0,1]
	buffer_load_dword v5, off, s[0:3], 0 offset:436
	buffer_load_dword v4, off, s[0:3], 0 offset:432
	v_accvgpr_write_b32 a161, v35
	v_accvgpr_write_b32 a160, v34
	s_waitcnt vmcnt(0)
	v_pk_mov_b32 v[36:37], v[4:5], v[4:5] op_sel:[0,1]
	buffer_load_dword v151, off, s[0:3], 0 offset:428
	buffer_load_dword v150, off, s[0:3], 0 offset:424
	;; [unrolled: 1-line block ×36, first 2 shown]
	ds_read_b128 v[234:237], v122 offset:1040
	ds_read_b128 v[238:241], v122 offset:1056
	;; [unrolled: 1-line block ×6, first 2 shown]
	s_waitcnt lgkmcnt(5)
	v_mul_f64 v[8:9], v[234:235], v[104:105]
	v_fmac_f64_e32 v[8:9], v[236:237], v[0:1]
	v_add_f64 v[6:7], v[6:7], v[8:9]
	s_waitcnt lgkmcnt(4)
	v_mul_f64 v[8:9], v[238:239], v[100:101]
	v_fmac_f64_e32 v[8:9], v[240:241], v[102:103]
	v_add_f64 v[6:7], v[6:7], v[8:9]
	s_waitcnt lgkmcnt(3)
	v_mul_f64 v[8:9], v[242:243], v[222:223]
	v_fmac_f64_e32 v[8:9], v[244:245], v[230:231]
	v_add_f64 v[6:7], v[6:7], v[8:9]
	s_waitcnt lgkmcnt(2)
	v_mul_f64 v[8:9], v[246:247], v[110:111]
	ds_read_b128 v[128:131], v122 offset:1136
	ds_read_b128 v[124:127], v122 offset:1152
	v_fmac_f64_e32 v[8:9], v[248:249], v[112:113]
	v_add_f64 v[6:7], v[6:7], v[8:9]
	s_waitcnt lgkmcnt(3)
	v_mul_f64 v[8:9], v[250:251], v[232:233]
	v_fmac_f64_e32 v[8:9], v[252:253], v[2:3]
	v_add_f64 v[6:7], v[6:7], v[8:9]
	s_waitcnt lgkmcnt(2)
	v_mul_f64 v[8:9], v[218:219], v[106:107]
	v_fmac_f64_e32 v[8:9], v[220:221], v[108:109]
	s_waitcnt lgkmcnt(1)
	v_mul_f64 v[12:13], v[128:129], v[134:135]
	v_add_f64 v[10:11], v[6:7], v[8:9]
	v_fmac_f64_e32 v[12:13], v[130:131], v[138:139]
	ds_read_b128 v[118:121], v122 offset:1168
	s_waitcnt lgkmcnt(1)
	v_mul_f64 v[16:17], v[124:125], v[20:21]
	v_add_f64 v[14:15], v[10:11], v[12:13]
	v_fmac_f64_e32 v[16:17], v[126:127], v[22:23]
	v_add_f64 v[18:19], v[14:15], v[16:17]
	ds_read_b128 v[14:17], v122 offset:1184
	s_waitcnt lgkmcnt(1)
	v_mul_f64 v[20:21], v[118:119], v[142:143]
	v_fmac_f64_e32 v[20:21], v[120:121], v[146:147]
	v_add_f64 v[22:23], v[18:19], v[20:21]
	ds_read_b128 v[18:21], v122 offset:1200
	s_waitcnt lgkmcnt(1)
	v_mul_f64 v[24:25], v[14:15], v[26:27]
	v_fmac_f64_e32 v[24:25], v[16:17], v[28:29]
	v_add_f64 v[26:27], v[22:23], v[24:25]
	ds_read_b128 v[22:25], v122 offset:1216
	v_accvgpr_write_b32 a163, v37
	v_accvgpr_write_b32 a162, v36
	ds_read_b128 v[42:45], v122 offset:1296
	s_waitcnt vmcnt(34) lgkmcnt(2)
	v_mul_f64 v[28:29], v[18:19], v[150:151]
	s_waitcnt lgkmcnt(1)
	v_mul_f64 v[32:33], v[22:23], v[34:35]
	s_waitcnt vmcnt(32)
	v_fmac_f64_e32 v[28:29], v[20:21], v[154:155]
	v_add_f64 v[30:31], v[26:27], v[28:29]
	ds_read_b128 v[26:29], v122 offset:1232
	v_fmac_f64_e32 v[32:33], v[24:25], v[36:37]
	v_add_f64 v[34:35], v[30:31], v[32:33]
	ds_read_b128 v[30:33], v122 offset:1248
	s_waitcnt vmcnt(30)
	v_accvgpr_write_b32 a165, v5
	s_waitcnt vmcnt(26) lgkmcnt(1)
	v_mul_f64 v[36:37], v[26:27], v[158:159]
	s_waitcnt vmcnt(24)
	v_fmac_f64_e32 v[36:37], v[28:29], v[160:161]
	v_add_f64 v[38:39], v[34:35], v[36:37]
	ds_read_b128 v[34:37], v122 offset:1264
	s_waitcnt lgkmcnt(1)
	v_mul_f64 v[40:41], v[30:31], v[4:5]
	v_fmac_f64_e32 v[40:41], v[32:33], v[132:133]
	v_add_f64 v[46:47], v[38:39], v[40:41]
	ds_read_b128 v[38:41], v122 offset:1280
	s_waitcnt vmcnt(18) lgkmcnt(1)
	v_mul_f64 v[48:49], v[34:35], v[162:163]
	s_waitcnt vmcnt(16)
	v_fmac_f64_e32 v[48:49], v[36:37], v[164:165]
	v_add_f64 v[46:47], v[46:47], v[48:49]
	v_accvgpr_write_b32 a164, v4
	s_waitcnt lgkmcnt(0)
	v_mul_f64 v[48:49], v[38:39], v[136:137]
	v_fmac_f64_e32 v[48:49], v[40:41], v[140:141]
	v_add_f64 v[46:47], v[46:47], v[48:49]
	s_waitcnt vmcnt(10)
	v_mul_f64 v[48:49], v[42:43], v[166:167]
	v_mul_f64 v[8:9], v[182:183], v[58:59]
	s_waitcnt vmcnt(8)
	v_fmac_f64_e32 v[48:49], v[44:45], v[168:169]
	v_add_f64 v[4:5], v[46:47], v[48:49]
	ds_read_b128 v[46:49], v122 offset:1312
	buffer_load_dword v175, off, s[0:3], 0 offset:588
	buffer_load_dword v174, off, s[0:3], 0 offset:584
	;; [unrolled: 1-line block ×5, first 2 shown]
	v_fma_f64 v[8:9], v[180:181], v[50:51], -v[8:9]
	buffer_load_dword v180, off, s[0:3], 0 offset:592
	buffer_load_dword v177, off, s[0:3], 0 offset:604
	;; [unrolled: 1-line block ×3, first 2 shown]
	v_mul_f64 v[50:51], v[186:187], v[52:53]
	v_fma_f64 v[96:97], v[184:185], v[96:97], -v[50:51]
	buffer_load_dword v185, off, s[0:3], 0 offset:620
	buffer_load_dword v184, off, s[0:3], 0 offset:616
	;; [unrolled: 1-line block ×8, first 2 shown]
	v_mul_f64 v[50:51], v[194:195], v[72:73]
	v_fma_f64 v[92:93], v[192:193], v[92:93], -v[50:51]
	buffer_load_dword v182, off, s[0:3], 0 offset:664
	buffer_load_dword v195, off, s[0:3], 0 offset:652
	;; [unrolled: 1-line block ×8, first 2 shown]
	v_mul_f64 v[50:51], v[200:201], v[68:69]
	v_fma_f64 v[198:199], v[198:199], v[70:71], -v[50:51]
	v_mul_f64 v[50:51], v[204:205], v[78:79]
	v_fma_f64 v[10:11], v[114:115], v[60:61], -v[66:67]
	v_fma_f64 v[114:115], v[202:203], v[90:91], -v[50:51]
	buffer_load_dword v91, off, s[0:3], 0 offset:684
	buffer_load_dword v90, off, s[0:3], 0 offset:680
	;; [unrolled: 1-line block ×4, first 2 shown]
	v_mul_f64 v[50:51], v[208:209], v[74:75]
	v_fma_f64 v[116:117], v[206:207], v[76:77], -v[50:51]
	buffer_load_dword v206, off, s[0:3], 0 offset:696
	buffer_load_dword v204, off, s[0:3], 0 offset:688
	;; [unrolled: 1-line block ×4, first 2 shown]
	v_mul_f64 v[50:51], v[212:213], v[86:87]
	v_fma_f64 v[208:209], v[210:211], v[88:89], -v[50:51]
	buffer_load_dword v203, off, s[0:3], 0 offset:732
	buffer_load_dword v211, off, s[0:3], 0 offset:716
	;; [unrolled: 1-line block ×12, first 2 shown]
	ds_read_b128 v[50:53], v122 offset:1328
	v_mul_f64 v[58:59], v[216:217], v[82:83]
	v_fma_f64 v[6:7], v[214:215], v[84:85], -v[58:59]
	buffer_load_dword v214, off, s[0:3], 0 offset:760
	buffer_load_dword v216, off, s[0:3], 0 offset:752
	;; [unrolled: 1-line block ×4, first 2 shown]
	ds_read_b128 v[54:57], v122 offset:1344
	ds_read_b128 v[58:61], v122 offset:1360
	s_waitcnt lgkmcnt(3)
	v_mul_f64 v[12:13], v[46:47], v[144:145]
	v_fmac_f64_e32 v[12:13], v[48:49], v[148:149]
	v_add_f64 v[4:5], v[4:5], v[12:13]
	s_waitcnt vmcnt(50) lgkmcnt(2)
	v_mul_f64 v[12:13], v[50:51], v[170:171]
	s_waitcnt vmcnt(48)
	v_fmac_f64_e32 v[12:13], v[52:53], v[172:173]
	v_add_f64 v[4:5], v[4:5], v[12:13]
	s_waitcnt lgkmcnt(1)
	v_mul_f64 v[12:13], v[54:55], v[152:153]
	v_fmac_f64_e32 v[12:13], v[56:57], v[156:157]
	v_add_f64 v[4:5], v[4:5], v[12:13]
	v_mul_f64 v[12:13], v[64:65], v[94:95]
	v_fma_f64 v[12:13], v[62:63], v[98:99], -v[12:13]
	ds_read_b128 v[62:65], v122 offset:1376
	ds_read_b128 v[70:73], v122 offset:1408
	;; [unrolled: 1-line block ×3, first 2 shown]
	v_mul_f64 v[78:79], v[244:245], v[222:223]
	v_fma_f64 v[222:223], v[242:243], v[230:231], -v[78:79]
	ds_read_b128 v[78:81], v122 offset:1440
	ds_read_b128 v[82:85], v122 offset:1456
	;; [unrolled: 1-line block ×3, first 2 shown]
	v_mul_f64 v[98:99], v[220:221], v[106:107]
	v_add_f64 v[10:11], v[10:11], 0
	v_add_f64 v[8:9], v[10:11], v[8:9]
	;; [unrolled: 1-line block ×11, first 2 shown]
	v_mul_f64 v[8:9], v[130:131], v[134:135]
	v_fma_f64 v[8:9], v[128:129], v[138:139], -v[8:9]
	v_accvgpr_read_b32 v10, a154
	v_accvgpr_read_b32 v11, a155
	s_waitcnt vmcnt(46) lgkmcnt(6)
	v_mul_f64 v[66:67], v[58:59], v[174:175]
	s_waitcnt vmcnt(44)
	v_fmac_f64_e32 v[66:67], v[60:61], v[178:179]
	v_add_f64 v[4:5], v[4:5], v[66:67]
	v_mul_f64 v[66:67], v[236:237], v[104:105]
	v_fma_f64 v[94:95], v[234:235], v[0:1], -v[66:67]
	ds_read_b128 v[66:69], v122 offset:1392
	s_waitcnt vmcnt(41) lgkmcnt(6)
	v_mul_f64 v[0:1], v[62:63], v[176:177]
	s_waitcnt vmcnt(40)
	v_fmac_f64_e32 v[0:1], v[64:65], v[180:181]
	v_add_f64 v[0:1], v[4:5], v[0:1]
	v_mul_f64 v[4:5], v[240:241], v[100:101]
	v_fma_f64 v[240:241], v[238:239], v[102:103], -v[4:5]
	s_waitcnt vmcnt(38) lgkmcnt(0)
	v_mul_f64 v[4:5], v[66:67], v[184:185]
	s_waitcnt vmcnt(36)
	v_fmac_f64_e32 v[4:5], v[68:69], v[188:189]
	v_add_f64 v[0:1], v[0:1], v[4:5]
	s_waitcnt vmcnt(34)
	v_mul_f64 v[4:5], v[70:71], v[186:187]
	s_waitcnt vmcnt(32)
	v_fmac_f64_e32 v[4:5], v[72:73], v[190:191]
	v_add_f64 v[0:1], v[0:1], v[4:5]
	s_waitcnt vmcnt(29)
	;; [unrolled: 5-line block ×3, first 2 shown]
	v_mul_f64 v[4:5], v[78:79], v[182:183]
	s_waitcnt vmcnt(24)
	v_fmac_f64_e32 v[4:5], v[80:81], v[192:193]
	v_add_f64 v[0:1], v[0:1], v[4:5]
	v_mul_f64 v[4:5], v[248:249], v[110:111]
	v_fma_f64 v[246:247], v[246:247], v[112:113], -v[4:5]
	s_waitcnt vmcnt(22)
	v_mul_f64 v[4:5], v[82:83], v[90:91]
	s_waitcnt vmcnt(20)
	v_fmac_f64_e32 v[4:5], v[84:85], v[200:201]
	v_add_f64 v[0:1], v[0:1], v[4:5]
	v_mul_f64 v[4:5], v[252:253], v[232:233]
	ds_read_b128 v[230:233], v122 offset:1488
	v_fma_f64 v[250:251], v[250:251], v[2:3], -v[4:5]
	s_waitcnt vmcnt(17)
	v_mul_f64 v[2:3], v[86:87], v[206:207]
	s_waitcnt vmcnt(16)
	v_fmac_f64_e32 v[2:3], v[88:89], v[204:205]
	v_add_f64 v[4:5], v[0:1], v[2:3]
	ds_read_b128 v[0:3], v122 offset:1504
	v_fma_f64 v[252:253], v[218:219], v[108:109], -v[98:99]
	ds_read_b128 v[98:101], v122 offset:1520
	s_waitcnt vmcnt(13) lgkmcnt(2)
	v_mul_f64 v[102:103], v[230:231], v[210:211]
	s_waitcnt vmcnt(11)
	v_fmac_f64_e32 v[102:103], v[232:233], v[226:227]
	v_add_f64 v[4:5], v[4:5], v[102:103]
	s_waitcnt vmcnt(10) lgkmcnt(1)
	v_mul_f64 v[102:103], v[0:1], v[202:203]
	s_waitcnt vmcnt(8)
	v_fmac_f64_e32 v[102:103], v[2:3], v[224:225]
	v_add_f64 v[4:5], v[4:5], v[102:103]
	;; [unrolled: 5-line block ×3, first 2 shown]
	ds_read_b128 v[102:105], v122 offset:1536
	buffer_load_dword v235, off, s[0:3], 0 offset:780
	buffer_load_dword v234, off, s[0:3], 0 offset:776
	;; [unrolled: 1-line block ×4, first 2 shown]
	v_add_f64 v[6:7], v[6:7], v[94:95]
	v_add_f64 v[6:7], v[6:7], v[240:241]
	;; [unrolled: 1-line block ×3, first 2 shown]
	s_waitcnt vmcnt(5) lgkmcnt(0)
	v_mul_f64 v[106:107], v[102:103], v[214:215]
	s_waitcnt vmcnt(4)
	v_fmac_f64_e32 v[106:107], v[104:105], v[216:217]
	v_add_f64 v[4:5], v[4:5], v[106:107]
	ds_read_b128 v[106:109], v122 offset:1552
	v_add_f64 v[254:255], v[6:7], v[246:247]
	v_add_f64 v[6:7], v[254:255], v[250:251]
	;; [unrolled: 1-line block ×4, first 2 shown]
	v_accvgpr_read_b32 v8, a152
	v_accvgpr_read_b32 v9, a153
	v_mul_f64 v[8:9], v[126:127], v[8:9]
	v_fma_f64 v[8:9], v[124:125], v[10:11], -v[8:9]
	v_add_f64 v[6:7], v[6:7], v[8:9]
	v_mul_f64 v[8:9], v[120:121], v[142:143]
	v_fma_f64 v[8:9], v[118:119], v[146:147], -v[8:9]
	v_add_f64 v[6:7], v[6:7], v[8:9]
	v_accvgpr_read_b32 v8, a156
	v_accvgpr_read_b32 v9, a157
	;; [unrolled: 1-line block ×3, first 2 shown]
	v_mul_f64 v[8:9], v[16:17], v[8:9]
	v_accvgpr_read_b32 v11, a159
	v_fma_f64 v[8:9], v[14:15], v[10:11], -v[8:9]
	v_add_f64 v[6:7], v[6:7], v[8:9]
	v_mul_f64 v[8:9], v[20:21], v[150:151]
	v_fma_f64 v[8:9], v[18:19], v[154:155], -v[8:9]
	v_add_f64 v[6:7], v[6:7], v[8:9]
	v_accvgpr_read_b32 v8, a160
	v_accvgpr_read_b32 v9, a161
	;; [unrolled: 1-line block ×3, first 2 shown]
	v_mul_f64 v[8:9], v[24:25], v[8:9]
	v_accvgpr_read_b32 v11, a163
	v_fma_f64 v[8:9], v[22:23], v[10:11], -v[8:9]
	v_add_f64 v[6:7], v[6:7], v[8:9]
	v_mul_f64 v[8:9], v[28:29], v[158:159]
	v_fma_f64 v[8:9], v[26:27], v[160:161], -v[8:9]
	v_add_f64 v[6:7], v[6:7], v[8:9]
	v_accvgpr_read_b32 v8, a164
	v_accvgpr_read_b32 v9, a165
	v_mul_f64 v[8:9], v[32:33], v[8:9]
	v_fma_f64 v[8:9], v[30:31], v[132:133], -v[8:9]
	v_add_f64 v[6:7], v[6:7], v[8:9]
	v_mul_f64 v[8:9], v[36:37], v[162:163]
	v_fma_f64 v[8:9], v[34:35], v[164:165], -v[8:9]
	v_add_f64 v[6:7], v[6:7], v[8:9]
	;; [unrolled: 3-line block ×12, first 2 shown]
	s_waitcnt vmcnt(2) lgkmcnt(0)
	v_mul_f64 v[110:111], v[106:107], v[234:235]
	v_mul_f64 v[8:9], v[80:81], v[182:183]
	s_waitcnt vmcnt(0)
	v_fmac_f64_e32 v[110:111], v[108:109], v[236:237]
	v_add_f64 v[218:219], v[4:5], v[110:111]
	buffer_load_dword v238, off, s[0:3], 0 offset:792
	buffer_load_dword v239, off, s[0:3], 0 offset:796
	;; [unrolled: 1-line block ×4, first 2 shown]
	ds_read_b128 v[110:113], v122 offset:1568
	buffer_load_dword v243, off, s[0:3], 0 offset:812
	buffer_load_dword v242, off, s[0:3], 0 offset:808
	buffer_load_dword v245, off, s[0:3], 0 offset:804
	buffer_load_dword v244, off, s[0:3], 0 offset:800
	v_fma_f64 v[8:9], v[78:79], v[192:193], -v[8:9]
	v_add_f64 v[6:7], v[6:7], v[8:9]
	v_mul_f64 v[8:9], v[84:85], v[90:91]
	v_fma_f64 v[8:9], v[82:83], v[200:201], -v[8:9]
	v_add_f64 v[6:7], v[6:7], v[8:9]
	v_mul_f64 v[8:9], v[88:89], v[206:207]
	;; [unrolled: 3-line block ×3, first 2 shown]
	v_fma_f64 v[8:9], v[230:231], v[226:227], -v[8:9]
	v_mul_f64 v[2:3], v[2:3], v[202:203]
	v_add_f64 v[6:7], v[6:7], v[8:9]
	v_fma_f64 v[0:1], v[0:1], v[224:225], -v[2:3]
	v_mul_f64 v[2:3], v[100:101], v[212:213]
	v_add_f64 v[0:1], v[6:7], v[0:1]
	v_fma_f64 v[2:3], v[98:99], v[228:229], -v[2:3]
	v_add_f64 v[0:1], v[0:1], v[2:3]
	v_mul_f64 v[2:3], v[104:105], v[214:215]
	v_fma_f64 v[2:3], v[102:103], v[216:217], -v[2:3]
	v_add_f64 v[0:1], v[0:1], v[2:3]
	v_mul_f64 v[2:3], v[108:109], v[234:235]
	v_fma_f64 v[2:3], v[106:107], v[236:237], -v[2:3]
	v_add_f64 v[0:1], v[0:1], v[2:3]
	s_waitcnt vmcnt(6) lgkmcnt(0)
	v_mul_f64 v[220:221], v[110:111], v[238:239]
	v_mul_f64 v[2:3], v[112:113], v[238:239]
	s_waitcnt vmcnt(4)
	v_fmac_f64_e32 v[220:221], v[112:113], v[4:5]
	v_add_f64 v[248:249], v[218:219], v[220:221]
	ds_read_b128 v[218:221], v122 offset:1584
	v_fma_f64 v[2:3], v[110:111], v[4:5], -v[2:3]
	v_add_f64 v[0:1], v[0:1], v[2:3]
	s_waitcnt vmcnt(2) lgkmcnt(0)
	v_mul_f64 v[122:123], v[218:219], v[242:243]
	s_waitcnt vmcnt(0)
	v_fmac_f64_e32 v[122:123], v[220:221], v[244:245]
	v_add_f64 v[122:123], v[248:249], v[122:123]
	buffer_load_dword v248, off, s[0:3], 0 offset:64
	buffer_load_dword v249, off, s[0:3], 0 offset:68
	;; [unrolled: 1-line block ×4, first 2 shown]
	v_mul_f64 v[2:3], v[220:221], v[242:243]
	v_fma_f64 v[2:3], v[218:219], v[244:245], -v[2:3]
	v_add_f64 v[0:1], v[0:1], v[2:3]
	s_waitcnt vmcnt(2)
	v_add_f64 v[0:1], v[248:249], -v[0:1]
	s_waitcnt vmcnt(0)
	v_add_f64 v[2:3], v[246:247], -v[122:123]
	buffer_store_dword v1, off, s[0:3], 0 offset:68
	buffer_store_dword v0, off, s[0:3], 0 offset:64
	;; [unrolled: 1-line block ×4, first 2 shown]
	v_accvgpr_read_b32 v0, a149
	v_cmp_lt_u32_e32 vcc, 2, v0
	s_and_saveexec_b64 s[4:5], vcc
	s_cbranch_execz .LBB113_309
; %bb.308:
	v_accvgpr_read_b32 v0, a147
	buffer_load_dword v2, v0, s[0:3], 0 offen
	buffer_load_dword v3, v0, s[0:3], 0 offen offset:4
	buffer_load_dword v4, v0, s[0:3], 0 offen offset:8
	;; [unrolled: 1-line block ×3, first 2 shown]
	v_mov_b32_e32 v0, 0
	v_accvgpr_read_b32 v1, a150
	buffer_store_dword v0, off, s[0:3], 0 offset:48
	buffer_store_dword v0, off, s[0:3], 0 offset:52
	;; [unrolled: 1-line block ×4, first 2 shown]
	s_waitcnt vmcnt(4)
	ds_write_b128 v1, v[2:5]
.LBB113_309:
	s_or_b64 exec, exec, s[4:5]
	s_waitcnt lgkmcnt(0)
	; wave barrier
	s_waitcnt lgkmcnt(0)
	buffer_load_dword v48, off, s[0:3], 0 offset:64
	buffer_load_dword v49, off, s[0:3], 0 offset:68
	buffer_load_dword v52, off, s[0:3], 0 offset:72
	buffer_load_dword v53, off, s[0:3], 0 offset:76
	buffer_load_dword v50, off, s[0:3], 0 offset:80
	buffer_load_dword v51, off, s[0:3], 0 offset:84
	buffer_load_dword v54, off, s[0:3], 0 offset:88
	buffer_load_dword v55, off, s[0:3], 0 offset:92
	buffer_load_dword v46, off, s[0:3], 0 offset:104
	buffer_load_dword v47, off, s[0:3], 0 offset:108
	buffer_load_dword v219, off, s[0:3], 0 offset:140
	buffer_load_dword v218, off, s[0:3], 0 offset:136
	buffer_load_dword v57, off, s[0:3], 0 offset:132
	buffer_load_dword v56, off, s[0:3], 0 offset:128
	buffer_load_dword v65, off, s[0:3], 0 offset:124
	buffer_load_dword v64, off, s[0:3], 0 offset:120
	buffer_load_dword v67, off, s[0:3], 0 offset:172
	buffer_load_dword v66, off, s[0:3], 0 offset:168
	buffer_load_dword v69, off, s[0:3], 0 offset:164
	buffer_load_dword v68, off, s[0:3], 0 offset:160
	buffer_load_dword v223, off, s[0:3], 0 offset:156
	buffer_load_dword v222, off, s[0:3], 0 offset:152
	buffer_load_dword v77, off, s[0:3], 0 offset:204
	buffer_load_dword v76, off, s[0:3], 0 offset:200
	buffer_load_dword v74, off, s[0:3], 0 offset:192
	buffer_load_dword v79, off, s[0:3], 0 offset:188
	buffer_load_dword v78, off, s[0:3], 0 offset:184
	buffer_load_dword v73, off, s[0:3], 0 offset:220
	buffer_load_dword v72, off, s[0:3], 0 offset:216
	buffer_load_dword v90, off, s[0:3], 0 offset:96
	buffer_load_dword v91, off, s[0:3], 0 offset:100
	buffer_load_dword v229, off, s[0:3], 0 offset:116
	buffer_load_dword v228, off, s[0:3], 0 offset:112
	buffer_load_dword v83, off, s[0:3], 0 offset:148
	buffer_load_dword v82, off, s[0:3], 0 offset:144
	buffer_load_dword v81, off, s[0:3], 0 offset:180
	buffer_load_dword v80, off, s[0:3], 0 offset:176
	buffer_load_dword v75, off, s[0:3], 0 offset:196
	buffer_load_dword v84, off, s[0:3], 0 offset:232
	buffer_load_dword v86, off, s[0:3], 0 offset:224
	buffer_load_dword v87, off, s[0:3], 0 offset:228
	buffer_load_dword v85, off, s[0:3], 0 offset:236
	v_mov_b32_e32 v1, 0
	buffer_load_dword v99, off, s[0:3], 0 offset:212
	buffer_load_dword v98, off, s[0:3], 0 offset:208
	;; [unrolled: 1-line block ×7, first 2 shown]
	ds_read_b128 v[112:115], v1 offset:848
	ds_read_b128 v[170:173], v1 offset:864
	;; [unrolled: 1-line block ×11, first 2 shown]
	v_accvgpr_read_b32 v0, a149
	v_cmp_lt_u32_e32 vcc, 1, v0
	s_waitcnt vmcnt(45) lgkmcnt(10)
	v_mul_f64 v[2:3], v[112:113], v[52:53]
	v_fmac_f64_e32 v[2:3], v[114:115], v[48:49]
	v_add_f64 v[2:3], v[2:3], 0
	s_waitcnt vmcnt(41) lgkmcnt(9)
	v_mul_f64 v[4:5], v[170:171], v[54:55]
	v_fmac_f64_e32 v[4:5], v[172:173], v[50:51]
	v_add_f64 v[2:3], v[2:3], v[4:5]
	buffer_load_dword v96, off, s[0:3], 0 offset:248
	buffer_load_dword v117, off, s[0:3], 0 offset:244
	buffer_load_dword v116, off, s[0:3], 0 offset:240
	buffer_load_dword v109, off, s[0:3], 0 offset:300
	buffer_load_dword v108, off, s[0:3], 0 offset:296
	buffer_load_dword v111, off, s[0:3], 0 offset:292
	buffer_load_dword v110, off, s[0:3], 0 offset:288
	buffer_load_dword v63, off, s[0:3], 0 offset:284
	buffer_load_dword v62, off, s[0:3], 0 offset:280
	buffer_load_dword v221, off, s[0:3], 0 offset:276
	buffer_load_dword v220, off, s[0:3], 0 offset:272
	buffer_load_dword v101, off, s[0:3], 0 offset:332
	buffer_load_dword v100, off, s[0:3], 0 offset:328
	buffer_load_dword v103, off, s[0:3], 0 offset:324
	buffer_load_dword v102, off, s[0:3], 0 offset:320
	buffer_load_dword v71, off, s[0:3], 0 offset:316
	buffer_load_dword v70, off, s[0:3], 0 offset:312
	buffer_load_dword v89, off, s[0:3], 0 offset:308
	buffer_load_dword v88, off, s[0:3], 0 offset:304
	buffer_load_dword v5, off, s[0:3], 0 offset:364
	buffer_load_dword v4, off, s[0:3], 0 offset:360
	s_waitcnt vmcnt(60) lgkmcnt(8)
	v_mul_f64 v[6:7], v[178:179], v[46:47]
	s_waitcnt vmcnt(58) lgkmcnt(6)
	v_mul_f64 v[10:11], v[186:187], v[218:219]
	s_waitcnt vmcnt(56)
	v_fmac_f64_e32 v[10:11], v[188:189], v[56:57]
	s_waitcnt vmcnt(54)
	v_mul_f64 v[8:9], v[182:183], v[64:65]
	s_waitcnt vmcnt(52) lgkmcnt(4)
	v_mul_f64 v[14:15], v[194:195], v[66:67]
	s_waitcnt vmcnt(50)
	v_fmac_f64_e32 v[14:15], v[196:197], v[68:69]
	s_waitcnt vmcnt(48)
	v_mul_f64 v[12:13], v[190:191], v[222:223]
	s_waitcnt vmcnt(46) lgkmcnt(2)
	v_mul_f64 v[18:19], v[202:203], v[76:77]
	s_waitcnt vmcnt(43)
	v_mul_f64 v[16:17], v[198:199], v[78:79]
	s_waitcnt vmcnt(41) lgkmcnt(1)
	v_mul_f64 v[20:21], v[206:207], v[72:73]
	s_waitcnt vmcnt(39)
	v_fmac_f64_e32 v[6:7], v[180:181], v[90:91]
	v_add_f64 v[2:3], v[2:3], v[6:7]
	s_waitcnt vmcnt(37)
	v_fmac_f64_e32 v[8:9], v[184:185], v[228:229]
	v_add_f64 v[2:3], v[2:3], v[8:9]
	;; [unrolled: 3-line block ×3, first 2 shown]
	v_add_f64 v[2:3], v[2:3], v[12:13]
	s_waitcnt vmcnt(33)
	v_fmac_f64_e32 v[16:17], v[200:201], v[80:81]
	v_add_f64 v[2:3], v[2:3], v[14:15]
	v_add_f64 v[2:3], v[2:3], v[16:17]
	s_waitcnt vmcnt(32)
	v_fmac_f64_e32 v[18:19], v[204:205], v[74:75]
	v_add_f64 v[2:3], v[2:3], v[18:19]
	s_waitcnt vmcnt(26)
	v_fmac_f64_e32 v[20:21], v[208:209], v[98:99]
	s_waitcnt lgkmcnt(0)
	v_mul_f64 v[6:7], v[58:59], v[84:85]
	v_add_f64 v[2:3], v[2:3], v[20:21]
	v_fmac_f64_e32 v[6:7], v[60:61], v[86:87]
	v_add_f64 v[2:3], v[2:3], v[6:7]
	v_mul_f64 v[60:61], v[60:61], v[84:85]
	s_waitcnt vmcnt(0)
	v_pk_mov_b32 v[8:9], v[4:5], v[4:5] op_sel:[0,1]
	buffer_load_dword v5, off, s[0:3], 0 offset:356
	buffer_load_dword v4, off, s[0:3], 0 offset:352
	v_accvgpr_write_b32 a153, v9
	v_accvgpr_write_b32 a152, v8
	s_waitcnt vmcnt(0)
	v_pk_mov_b32 v[12:13], v[4:5], v[4:5] op_sel:[0,1]
	buffer_load_dword v105, off, s[0:3], 0 offset:348
	buffer_load_dword v104, off, s[0:3], 0 offset:344
	buffer_load_dword v107, off, s[0:3], 0 offset:340
	buffer_load_dword v106, off, s[0:3], 0 offset:336
	buffer_load_dword v5, off, s[0:3], 0 offset:396
	buffer_load_dword v4, off, s[0:3], 0 offset:392
	v_accvgpr_write_b32 a155, v13
	v_accvgpr_write_b32 a154, v12
	s_waitcnt vmcnt(0)
	v_pk_mov_b32 v[16:17], v[4:5], v[4:5] op_sel:[0,1]
	buffer_load_dword v5, off, s[0:3], 0 offset:388
	buffer_load_dword v4, off, s[0:3], 0 offset:384
	v_accvgpr_write_b32 a157, v17
	v_accvgpr_write_b32 a156, v16
	s_waitcnt vmcnt(0)
	v_pk_mov_b32 v[22:23], v[4:5], v[4:5] op_sel:[0,1]
	buffer_load_dword v139, off, s[0:3], 0 offset:380
	buffer_load_dword v138, off, s[0:3], 0 offset:376
	buffer_load_dword v143, off, s[0:3], 0 offset:372
	buffer_load_dword v142, off, s[0:3], 0 offset:368
	buffer_load_dword v5, off, s[0:3], 0 offset:428
	buffer_load_dword v4, off, s[0:3], 0 offset:424
	v_accvgpr_write_b32 a159, v23
	v_accvgpr_write_b32 a158, v22
	;; [unrolled: 16-line block ×3, first 2 shown]
	s_waitcnt vmcnt(0)
	v_pk_mov_b32 v[36:37], v[4:5], v[4:5] op_sel:[0,1]
	buffer_load_dword v5, off, s[0:3], 0 offset:452
	buffer_load_dword v4, off, s[0:3], 0 offset:448
	;; [unrolled: 1-line block ×30, first 2 shown]
	ds_read_b128 v[210:213], v1 offset:1024
	ds_read_b128 v[214:217], v1 offset:1040
	;; [unrolled: 1-line block ×6, first 2 shown]
	s_waitcnt lgkmcnt(5)
	v_mul_f64 v[6:7], v[210:211], v[96:97]
	v_fmac_f64_e32 v[6:7], v[212:213], v[116:117]
	v_add_f64 v[2:3], v[2:3], v[6:7]
	s_waitcnt lgkmcnt(4)
	v_mul_f64 v[6:7], v[214:215], v[92:93]
	v_fmac_f64_e32 v[6:7], v[216:217], v[94:95]
	v_add_f64 v[2:3], v[2:3], v[6:7]
	s_waitcnt lgkmcnt(3)
	v_mul_f64 v[6:7], v[240:241], v[62:63]
	v_fmac_f64_e32 v[6:7], v[242:243], v[220:221]
	v_add_f64 v[2:3], v[2:3], v[6:7]
	s_waitcnt lgkmcnt(2)
	v_mul_f64 v[6:7], v[244:245], v[108:109]
	v_fmac_f64_e32 v[6:7], v[246:247], v[110:111]
	ds_read_b128 v[224:227], v1 offset:1120
	ds_read_b128 v[118:121], v1 offset:1136
	v_add_f64 v[2:3], v[2:3], v[6:7]
	s_waitcnt lgkmcnt(3)
	v_mul_f64 v[6:7], v[248:249], v[70:71]
	v_fmac_f64_e32 v[6:7], v[250:251], v[88:89]
	ds_read_b128 v[122:125], v1 offset:1152
	ds_read_b128 v[126:129], v1 offset:1168
	v_add_f64 v[2:3], v[2:3], v[6:7]
	s_waitcnt lgkmcnt(4)
	v_mul_f64 v[6:7], v[252:253], v[100:101]
	v_fmac_f64_e32 v[6:7], v[254:255], v[102:103]
	v_add_f64 v[2:3], v[2:3], v[6:7]
	s_waitcnt lgkmcnt(3)
	v_mul_f64 v[6:7], v[224:225], v[104:105]
	v_fmac_f64_e32 v[6:7], v[226:227], v[106:107]
	s_waitcnt lgkmcnt(2)
	v_mul_f64 v[10:11], v[118:119], v[8:9]
	v_add_f64 v[2:3], v[2:3], v[6:7]
	v_fmac_f64_e32 v[10:11], v[120:121], v[12:13]
	s_waitcnt lgkmcnt(1)
	v_mul_f64 v[14:15], v[122:123], v[138:139]
	v_add_f64 v[2:3], v[2:3], v[10:11]
	;; [unrolled: 4-line block ×3, first 2 shown]
	ds_read_b128 v[130:133], v1 offset:1184
	v_fmac_f64_e32 v[18:19], v[128:129], v[22:23]
	v_add_f64 v[2:3], v[2:3], v[18:19]
	ds_read_b128 v[18:21], v1 offset:1200
	v_accvgpr_write_b32 a165, v37
	s_waitcnt lgkmcnt(1)
	v_mul_f64 v[22:23], v[130:131], v[146:147]
	v_fmac_f64_e32 v[22:23], v[132:133], v[150:151]
	v_add_f64 v[2:3], v[2:3], v[22:23]
	s_waitcnt lgkmcnt(0)
	v_mul_f64 v[26:27], v[18:19], v[28:29]
	ds_read_b128 v[22:25], v1 offset:1216
	v_fmac_f64_e32 v[26:27], v[20:21], v[30:31]
	v_add_f64 v[2:3], v[2:3], v[26:27]
	ds_read_b128 v[26:29], v1 offset:1232
	v_accvgpr_write_b32 a164, v36
	s_waitcnt vmcnt(28)
	v_accvgpr_write_b32 a167, v5
	s_waitcnt vmcnt(26) lgkmcnt(1)
	v_mul_f64 v[30:31], v[22:23], v[154:155]
	v_accvgpr_write_b32 a166, v4
	s_waitcnt vmcnt(24)
	v_fmac_f64_e32 v[30:31], v[24:25], v[156:157]
	s_waitcnt lgkmcnt(0)
	v_mul_f64 v[34:35], v[26:27], v[36:37]
	v_add_f64 v[2:3], v[2:3], v[30:31]
	ds_read_b128 v[30:33], v1 offset:1248
	v_fmac_f64_e32 v[34:35], v[28:29], v[4:5]
	v_add_f64 v[2:3], v[2:3], v[34:35]
	ds_read_b128 v[34:37], v1 offset:1264
	v_mul_f64 v[4:5], v[114:115], v[52:53]
	s_waitcnt vmcnt(18) lgkmcnt(1)
	v_mul_f64 v[38:39], v[30:31], v[158:159]
	s_waitcnt vmcnt(16)
	v_fmac_f64_e32 v[38:39], v[32:33], v[160:161]
	v_add_f64 v[2:3], v[2:3], v[38:39]
	s_waitcnt lgkmcnt(0)
	v_mul_f64 v[42:43], v[34:35], v[134:135]
	v_fmac_f64_e32 v[42:43], v[36:37], v[136:137]
	v_mul_f64 v[6:7], v[172:173], v[54:55]
	ds_read_b128 v[38:41], v1 offset:1280
	v_add_f64 v[2:3], v[2:3], v[42:43]
	ds_read_b128 v[42:45], v1 offset:1296
	v_fma_f64 v[14:15], v[112:113], v[48:49], -v[4:5]
	v_fma_f64 v[112:113], v[170:171], v[50:51], -v[6:7]
	buffer_load_dword v171, off, s[0:3], 0 offset:572
	buffer_load_dword v170, off, s[0:3], 0 offset:568
	;; [unrolled: 1-line block ×8, first 2 shown]
	v_mul_f64 v[6:7], v[180:181], v[46:47]
	v_fma_f64 v[114:115], v[178:179], v[90:91], -v[6:7]
	v_mul_f64 v[6:7], v[184:185], v[64:65]
	v_fma_f64 v[12:13], v[182:183], v[228:229], -v[6:7]
	buffer_load_dword v179, off, s[0:3], 0 offset:620
	buffer_load_dword v183, off, s[0:3], 0 offset:604
	;; [unrolled: 1-line block ×6, first 2 shown]
	v_mul_f64 v[6:7], v[188:189], v[218:219]
	buffer_load_dword v219, off, s[0:3], 0 offset:612
	buffer_load_dword v218, off, s[0:3], 0 offset:608
	v_fma_f64 v[10:11], v[186:187], v[56:57], -v[6:7]
	buffer_load_dword v180, off, s[0:3], 0 offset:648
	buffer_load_dword v189, off, s[0:3], 0 offset:636
	;; [unrolled: 1-line block ×8, first 2 shown]
	v_mul_f64 v[6:7], v[192:193], v[222:223]
	ds_read_b128 v[46:49], v1 offset:1312
	v_fma_f64 v[8:9], v[190:191], v[82:83], -v[6:7]
	buffer_load_dword v191, off, s[0:3], 0 offset:668
	buffer_load_dword v190, off, s[0:3], 0 offset:664
	;; [unrolled: 1-line block ×4, first 2 shown]
	v_mul_f64 v[6:7], v[196:197], v[66:67]
	v_fma_f64 v[196:197], v[194:195], v[68:69], -v[6:7]
	buffer_load_dword v194, off, s[0:3], 0 offset:680
	buffer_load_dword v222, off, s[0:3], 0 offset:672
	;; [unrolled: 1-line block ×12, first 2 shown]
	v_mul_f64 v[50:51], v[204:205], v[76:77]
	buffer_load_dword v204, off, s[0:3], 0 offset:744
	buffer_load_dword v237, off, s[0:3], 0 offset:732
	;; [unrolled: 1-line block ×8, first 2 shown]
	s_waitcnt vmcnt(58) lgkmcnt(2)
	v_mul_f64 v[52:53], v[38:39], v[162:163]
	s_waitcnt vmcnt(56)
	v_fmac_f64_e32 v[52:53], v[40:41], v[164:165]
	v_mul_f64 v[6:7], v[200:201], v[78:79]
	v_fma_f64 v[200:201], v[202:203], v[74:75], -v[50:51]
	v_mul_f64 v[50:51], v[208:209], v[72:73]
	v_add_f64 v[2:3], v[2:3], v[52:53]
	v_fma_f64 v[206:207], v[206:207], v[98:99], -v[50:51]
	ds_read_b128 v[50:53], v1 offset:1328
	s_waitcnt lgkmcnt(2)
	v_mul_f64 v[54:55], v[42:43], v[140:141]
	v_fmac_f64_e32 v[54:55], v[44:45], v[144:145]
	v_add_f64 v[2:3], v[2:3], v[54:55]
	s_waitcnt vmcnt(50) lgkmcnt(1)
	v_mul_f64 v[54:55], v[46:47], v[166:167]
	s_waitcnt vmcnt(48)
	v_fmac_f64_e32 v[54:55], v[48:49], v[168:169]
	v_add_f64 v[2:3], v[2:3], v[54:55]
	v_fma_f64 v[208:209], v[58:59], v[86:87], -v[60:61]
	ds_read_b128 v[58:61], v1 offset:1360
	s_waitcnt lgkmcnt(1)
	v_mul_f64 v[54:55], v[50:51], v[148:149]
	v_fmac_f64_e32 v[54:55], v[52:53], v[152:153]
	v_add_f64 v[2:3], v[2:3], v[54:55]
	ds_read_b128 v[54:57], v1 offset:1344
	v_mul_f64 v[72:73], v[216:217], v[92:93]
	v_fma_f64 v[202:203], v[214:215], v[94:95], -v[72:73]
	ds_read_b128 v[214:217], v1 offset:1408
	ds_read_b128 v[74:77], v1 offset:1424
	v_fma_f64 v[198:199], v[198:199], v[80:81], -v[6:7]
	ds_read_b128 v[78:81], v1 offset:1440
	ds_read_b128 v[82:85], v1 offset:1456
	v_mul_f64 v[70:71], v[250:251], v[70:71]
	v_fma_f64 v[250:251], v[248:249], v[88:89], -v[70:71]
	ds_read_b128 v[86:89], v1 offset:1472
	ds_read_b128 v[90:93], v1 offset:1488
	v_mul_f64 v[62:63], v[242:243], v[62:63]
	v_fma_f64 v[62:63], v[240:241], v[220:221], -v[62:63]
	v_add_f64 v[14:15], v[14:15], 0
	v_add_f64 v[14:15], v[14:15], v[112:113]
	;; [unrolled: 1-line block ×11, first 2 shown]
	s_waitcnt vmcnt(46) lgkmcnt(6)
	v_mul_f64 v[66:67], v[54:55], v[170:171]
	s_waitcnt vmcnt(44)
	v_fmac_f64_e32 v[66:67], v[56:57], v[176:177]
	v_add_f64 v[2:3], v[2:3], v[66:67]
	v_mul_f64 v[66:67], v[212:213], v[96:97]
	ds_read_b128 v[94:97], v1 offset:1504
	v_fma_f64 v[116:117], v[210:211], v[116:117], -v[66:67]
	ds_read_b128 v[210:213], v1 offset:1376
	s_waitcnt vmcnt(41)
	v_mul_f64 v[66:67], v[58:59], v[172:173]
	s_waitcnt vmcnt(40)
	v_fmac_f64_e32 v[66:67], v[60:61], v[174:175]
	v_add_f64 v[2:3], v[2:3], v[66:67]
	ds_read_b128 v[66:69], v1 offset:1392
	s_waitcnt vmcnt(37) lgkmcnt(1)
	v_mul_f64 v[72:73], v[210:211], v[182:183]
	s_waitcnt vmcnt(35)
	v_fmac_f64_e32 v[72:73], v[212:213], v[184:185]
	v_add_f64 v[2:3], v[2:3], v[72:73]
	v_add_f64 v[8:9], v[8:9], v[116:117]
	s_waitcnt vmcnt(34) lgkmcnt(0)
	v_mul_f64 v[72:73], v[66:67], v[178:179]
	s_waitcnt vmcnt(32)
	v_fmac_f64_e32 v[72:73], v[68:69], v[218:219]
	v_add_f64 v[2:3], v[2:3], v[72:73]
	s_waitcnt vmcnt(29)
	v_mul_f64 v[72:73], v[214:215], v[188:189]
	s_waitcnt vmcnt(27)
	v_fmac_f64_e32 v[72:73], v[216:217], v[64:65]
	v_add_f64 v[2:3], v[2:3], v[72:73]
	s_waitcnt vmcnt(25)
	v_mul_f64 v[72:73], v[74:75], v[180:181]
	s_waitcnt vmcnt(24)
	v_fmac_f64_e32 v[72:73], v[76:77], v[186:187]
	v_add_f64 v[2:3], v[2:3], v[72:73]
	v_mul_f64 v[72:73], v[246:247], v[108:109]
	v_fma_f64 v[6:7], v[244:245], v[110:111], -v[72:73]
	s_waitcnt vmcnt(22)
	v_mul_f64 v[72:73], v[78:79], v[190:191]
	s_waitcnt vmcnt(20)
	v_fmac_f64_e32 v[72:73], v[80:81], v[192:193]
	s_waitcnt vmcnt(17)
	v_mul_f64 v[70:71], v[82:83], v[194:195]
	v_add_f64 v[2:3], v[2:3], v[72:73]
	s_waitcnt vmcnt(16)
	v_fmac_f64_e32 v[70:71], v[84:85], v[222:223]
	v_add_f64 v[2:3], v[2:3], v[70:71]
	v_mul_f64 v[70:71], v[254:255], v[100:101]
	v_fma_f64 v[4:5], v[252:253], v[102:103], -v[70:71]
	s_waitcnt vmcnt(14)
	v_mul_f64 v[70:71], v[86:87], v[16:17]
	s_waitcnt vmcnt(12)
	v_fmac_f64_e32 v[70:71], v[88:89], v[230:231]
	ds_read_b128 v[98:101], v1 offset:1520
	v_add_f64 v[2:3], v[2:3], v[70:71]
	s_waitcnt vmcnt(10)
	v_mul_f64 v[70:71], v[90:91], v[228:229]
	s_waitcnt vmcnt(8)
	v_fmac_f64_e32 v[70:71], v[92:93], v[232:233]
	v_add_f64 v[2:3], v[2:3], v[70:71]
	s_waitcnt vmcnt(5)
	v_mul_f64 v[70:71], v[94:95], v[236:237]
	s_waitcnt vmcnt(3)
	v_fmac_f64_e32 v[70:71], v[96:97], v[238:239]
	v_add_f64 v[2:3], v[2:3], v[70:71]
	s_waitcnt vmcnt(1) lgkmcnt(0)
	v_mul_f64 v[70:71], v[98:99], v[204:205]
	s_waitcnt vmcnt(0)
	v_fmac_f64_e32 v[70:71], v[100:101], v[234:235]
	v_add_f64 v[70:71], v[2:3], v[70:71]
	buffer_load_dword v3, off, s[0:3], 0 offset:764
	buffer_load_dword v2, off, s[0:3], 0 offset:760
	;; [unrolled: 1-line block ×4, first 2 shown]
	v_mul_f64 v[72:73], v[226:227], v[104:105]
	ds_read_b128 v[102:105], v1 offset:1536
	buffer_load_dword v110, off, s[0:3], 0 offset:776
	buffer_load_dword v111, off, s[0:3], 0 offset:780
	;; [unrolled: 1-line block ×4, first 2 shown]
	v_fma_f64 v[72:73], v[224:225], v[106:107], -v[72:73]
	ds_read_b128 v[106:109], v1 offset:1552
	buffer_load_dword v241, off, s[0:3], 0 offset:796
	buffer_load_dword v240, off, s[0:3], 0 offset:792
	;; [unrolled: 1-line block ×4, first 2 shown]
	v_accvgpr_write_b32 a169, v73
	v_accvgpr_write_b32 a168, v72
	v_add_f64 v[8:9], v[8:9], v[202:203]
	v_add_f64 v[8:9], v[8:9], v[62:63]
	;; [unrolled: 1-line block ×5, first 2 shown]
	v_accvgpr_read_b32 v6, a152
	v_accvgpr_read_b32 v4, a168
	;; [unrolled: 1-line block ×5, first 2 shown]
	v_mul_f64 v[6:7], v[120:121], v[6:7]
	v_accvgpr_read_b32 v9, a155
	v_add_f64 v[4:5], v[208:209], v[4:5]
	v_fma_f64 v[6:7], v[118:119], v[8:9], -v[6:7]
	v_add_f64 v[4:5], v[4:5], v[6:7]
	v_mul_f64 v[6:7], v[124:125], v[138:139]
	v_fma_f64 v[6:7], v[122:123], v[142:143], -v[6:7]
	v_add_f64 v[4:5], v[4:5], v[6:7]
	v_accvgpr_read_b32 v6, a156
	v_accvgpr_read_b32 v7, a157
	v_accvgpr_read_b32 v8, a158
	v_mul_f64 v[6:7], v[128:129], v[6:7]
	v_accvgpr_read_b32 v9, a159
	v_fma_f64 v[6:7], v[126:127], v[8:9], -v[6:7]
	v_add_f64 v[4:5], v[4:5], v[6:7]
	v_mul_f64 v[6:7], v[132:133], v[146:147]
	v_fma_f64 v[6:7], v[130:131], v[150:151], -v[6:7]
	v_add_f64 v[4:5], v[4:5], v[6:7]
	v_accvgpr_read_b32 v6, a160
	v_accvgpr_read_b32 v7, a161
	v_accvgpr_read_b32 v8, a162
	v_mul_f64 v[6:7], v[20:21], v[6:7]
	v_accvgpr_read_b32 v9, a163
	;; [unrolled: 10-line block ×3, first 2 shown]
	v_fma_f64 v[6:7], v[26:27], v[8:9], -v[6:7]
	v_add_f64 v[4:5], v[4:5], v[6:7]
	v_mul_f64 v[6:7], v[32:33], v[158:159]
	v_fma_f64 v[6:7], v[30:31], v[160:161], -v[6:7]
	v_add_f64 v[4:5], v[4:5], v[6:7]
	v_mul_f64 v[6:7], v[36:37], v[134:135]
	;; [unrolled: 3-line block ×8, first 2 shown]
	v_fma_f64 v[6:7], v[58:59], v[174:175], -v[6:7]
	v_add_f64 v[4:5], v[4:5], v[6:7]
	s_waitcnt vmcnt(10) lgkmcnt(1)
	v_mul_f64 v[72:73], v[102:103], v[2:3]
	v_mul_f64 v[6:7], v[212:213], v[182:183]
	s_waitcnt vmcnt(8)
	v_fmac_f64_e32 v[72:73], v[104:105], v[254:255]
	v_add_f64 v[70:71], v[70:71], v[72:73]
	s_waitcnt vmcnt(6) lgkmcnt(0)
	v_mul_f64 v[72:73], v[106:107], v[110:111]
	s_waitcnt vmcnt(4)
	v_fmac_f64_e32 v[72:73], v[108:109], v[220:221]
	v_add_f64 v[224:225], v[70:71], v[72:73]
	ds_read_b128 v[70:73], v1 offset:1568
	buffer_load_dword v246, off, s[0:3], 0 offset:808
	buffer_load_dword v247, off, s[0:3], 0 offset:812
	;; [unrolled: 1-line block ×4, first 2 shown]
	v_fma_f64 v[6:7], v[210:211], v[184:185], -v[6:7]
	v_add_f64 v[4:5], v[4:5], v[6:7]
	v_mul_f64 v[6:7], v[68:69], v[178:179]
	s_waitcnt vmcnt(6) lgkmcnt(0)
	v_mul_f64 v[226:227], v[70:71], v[240:241]
	s_waitcnt vmcnt(4)
	v_fmac_f64_e32 v[226:227], v[72:73], v[242:243]
	v_add_f64 v[244:245], v[224:225], v[226:227]
	ds_read_b128 v[224:227], v1 offset:1584
	buffer_load_dword v250, off, s[0:3], 0 offset:48
	buffer_load_dword v251, off, s[0:3], 0 offset:52
	;; [unrolled: 1-line block ×4, first 2 shown]
	v_fma_f64 v[6:7], v[66:67], v[218:219], -v[6:7]
	v_add_f64 v[4:5], v[4:5], v[6:7]
	v_mul_f64 v[6:7], v[216:217], v[188:189]
	v_fma_f64 v[6:7], v[214:215], v[64:65], -v[6:7]
	v_add_f64 v[4:5], v[4:5], v[6:7]
	v_mul_f64 v[6:7], v[76:77], v[180:181]
	;; [unrolled: 3-line block ×8, first 2 shown]
	v_fma_f64 v[6:7], v[98:99], v[234:235], -v[6:7]
	v_mul_f64 v[2:3], v[104:105], v[2:3]
	v_add_f64 v[4:5], v[4:5], v[6:7]
	v_fma_f64 v[2:3], v[102:103], v[254:255], -v[2:3]
	v_add_f64 v[2:3], v[4:5], v[2:3]
	v_mul_f64 v[4:5], v[108:109], v[110:111]
	v_fma_f64 v[4:5], v[106:107], v[220:221], -v[4:5]
	v_add_f64 v[2:3], v[2:3], v[4:5]
	v_mul_f64 v[4:5], v[72:73], v[240:241]
	v_fma_f64 v[4:5], v[70:71], v[242:243], -v[4:5]
	v_add_f64 v[2:3], v[2:3], v[4:5]
	s_waitcnt vmcnt(6) lgkmcnt(0)
	v_mul_f64 v[4:5], v[226:227], v[246:247]
	v_mul_f64 v[252:253], v[224:225], v[246:247]
	s_waitcnt vmcnt(4)
	v_fma_f64 v[4:5], v[224:225], v[248:249], -v[4:5]
	v_fmac_f64_e32 v[252:253], v[226:227], v[248:249]
	v_add_f64 v[2:3], v[2:3], v[4:5]
	v_add_f64 v[244:245], v[244:245], v[252:253]
	s_waitcnt vmcnt(2)
	v_add_f64 v[2:3], v[250:251], -v[2:3]
	s_waitcnt vmcnt(0)
	v_add_f64 v[4:5], v[206:207], -v[244:245]
	buffer_store_dword v3, off, s[0:3], 0 offset:52
	buffer_store_dword v2, off, s[0:3], 0 offset:48
	;; [unrolled: 1-line block ×4, first 2 shown]
	s_and_saveexec_b64 s[4:5], vcc
	s_cbranch_execz .LBB113_311
; %bb.310:
	v_accvgpr_read_b32 v0, a148
	buffer_load_dword v2, v0, s[0:3], 0 offen
	buffer_load_dword v3, v0, s[0:3], 0 offen offset:4
	buffer_load_dword v4, v0, s[0:3], 0 offen offset:8
	;; [unrolled: 1-line block ×3, first 2 shown]
	v_accvgpr_read_b32 v0, a150
	buffer_store_dword v1, off, s[0:3], 0 offset:32
	buffer_store_dword v1, off, s[0:3], 0 offset:36
	;; [unrolled: 1-line block ×4, first 2 shown]
	s_waitcnt vmcnt(4)
	ds_write_b128 v0, v[2:5]
.LBB113_311:
	s_or_b64 exec, exec, s[4:5]
	s_waitcnt lgkmcnt(0)
	; wave barrier
	s_waitcnt lgkmcnt(0)
	buffer_load_dword v42, off, s[0:3], 0 offset:48
	buffer_load_dword v43, off, s[0:3], 0 offset:52
	;; [unrolled: 1-line block ×42, first 2 shown]
	ds_read_b128 v[110:113], v1 offset:832
	ds_read_b128 v[114:117], v1 offset:848
	;; [unrolled: 1-line block ×10, first 2 shown]
	buffer_load_dword v231, off, s[0:3], 0 offset:196
	buffer_load_dword v230, off, s[0:3], 0 offset:192
	ds_read_b128 v[50:53], v1 offset:992
	buffer_load_dword v89, off, s[0:3], 0 offset:252
	buffer_load_dword v88, off, s[0:3], 0 offset:248
	buffer_load_dword v91, off, s[0:3], 0 offset:244
	buffer_load_dword v90, off, s[0:3], 0 offset:240
	buffer_load_dword v97, off, s[0:3], 0 offset:236
	buffer_load_dword v96, off, s[0:3], 0 offset:232
	buffer_load_dword v55, off, s[0:3], 0 offset:228
	buffer_load_dword v54, off, s[0:3], 0 offset:224
	s_waitcnt vmcnt(48) lgkmcnt(10)
	v_mul_f64 v[2:3], v[110:111], v[48:49]
	v_fmac_f64_e32 v[2:3], v[112:113], v[42:43]
	v_add_f64 v[2:3], v[2:3], 0
	s_waitcnt vmcnt(44) lgkmcnt(9)
	v_mul_f64 v[4:5], v[114:115], v[168:169]
	v_fmac_f64_e32 v[4:5], v[116:117], v[44:45]
	v_add_f64 v[2:3], v[2:3], v[4:5]
	buffer_load_dword v107, off, s[0:3], 0 offset:284
	buffer_load_dword v106, off, s[0:3], 0 offset:280
	;; [unrolled: 1-line block ×26, first 2 shown]
	s_waitcnt vmcnt(62) lgkmcnt(8)
	v_mul_f64 v[6:7], v[174:175], v[46:47]
	s_waitcnt lgkmcnt(6)
	v_mul_f64 v[10:11], v[186:187], v[58:59]
	v_fmac_f64_e32 v[10:11], v[188:189], v[56:57]
	v_mul_f64 v[46:47], v[176:177], v[46:47]
	v_mul_f64 v[8:9], v[178:179], v[60:61]
	s_waitcnt vmcnt(60) lgkmcnt(4)
	v_mul_f64 v[14:15], v[194:195], v[220:221]
	s_waitcnt vmcnt(58)
	v_fmac_f64_e32 v[14:15], v[196:197], v[222:223]
	s_waitcnt vmcnt(56)
	v_mul_f64 v[12:13], v[190:191], v[218:219]
	s_waitcnt vmcnt(54) lgkmcnt(2)
	v_mul_f64 v[18:19], v[202:203], v[228:229]
	s_waitcnt vmcnt(51)
	v_mul_f64 v[16:17], v[198:199], v[74:75]
	s_waitcnt vmcnt(49) lgkmcnt(1)
	v_mul_f64 v[20:21], v[206:207], v[72:73]
	s_waitcnt vmcnt(47)
	v_fmac_f64_e32 v[6:7], v[176:177], v[82:83]
	v_add_f64 v[2:3], v[2:3], v[6:7]
	s_waitcnt vmcnt(45)
	v_fmac_f64_e32 v[8:9], v[180:181], v[182:183]
	v_add_f64 v[2:3], v[2:3], v[8:9]
	;; [unrolled: 3-line block ×3, first 2 shown]
	v_add_f64 v[2:3], v[2:3], v[12:13]
	s_waitcnt vmcnt(41)
	v_fmac_f64_e32 v[16:17], v[200:201], v[76:77]
	v_add_f64 v[2:3], v[2:3], v[14:15]
	s_waitcnt vmcnt(40)
	v_fmac_f64_e32 v[18:19], v[204:205], v[70:71]
	v_add_f64 v[2:3], v[2:3], v[16:17]
	v_add_f64 v[2:3], v[2:3], v[18:19]
	s_waitcnt vmcnt(34)
	v_fmac_f64_e32 v[20:21], v[208:209], v[230:231]
	v_add_f64 v[2:3], v[2:3], v[20:21]
	s_waitcnt vmcnt(0)
	v_pk_mov_b32 v[18:19], v[4:5], v[4:5] op_sel:[0,1]
	buffer_load_dword v5, off, s[0:3], 0 offset:372
	buffer_load_dword v7, off, s[0:3], 0 offset:364
	buffer_load_dword v6, off, s[0:3], 0 offset:360
	buffer_load_dword v137, off, s[0:3], 0 offset:356
	buffer_load_dword v136, off, s[0:3], 0 offset:352
	buffer_load_dword v4, off, s[0:3], 0 offset:368
	v_accvgpr_write_b32 a155, v19
	v_accvgpr_write_b32 a154, v18
	s_waitcnt vmcnt(3)
	v_pk_mov_b32 v[14:15], v[6:7], v[6:7] op_sel:[0,1]
	s_waitcnt vmcnt(0)
	v_pk_mov_b32 v[22:23], v[4:5], v[4:5] op_sel:[0,1]
	buffer_load_dword v5, off, s[0:3], 0 offset:412
	buffer_load_dword v4, off, s[0:3], 0 offset:408
	v_accvgpr_write_b32 a153, v15
	v_accvgpr_write_b32 a152, v14
	;; [unrolled: 1-line block ×4, first 2 shown]
	s_waitcnt vmcnt(0)
	v_pk_mov_b32 v[26:27], v[4:5], v[4:5] op_sel:[0,1]
	buffer_load_dword v5, off, s[0:3], 0 offset:404
	buffer_load_dword v141, off, s[0:3], 0 offset:396
	;; [unrolled: 1-line block ×6, first 2 shown]
	v_accvgpr_write_b32 a159, v27
	v_accvgpr_write_b32 a158, v26
	s_waitcnt vmcnt(0)
	v_pk_mov_b32 v[28:29], v[4:5], v[4:5] op_sel:[0,1]
	buffer_load_dword v5, off, s[0:3], 0 offset:444
	buffer_load_dword v4, off, s[0:3], 0 offset:440
	v_accvgpr_write_b32 a161, v29
	v_accvgpr_write_b32 a160, v28
	s_waitcnt vmcnt(0)
	v_pk_mov_b32 v[34:35], v[4:5], v[4:5] op_sel:[0,1]
	buffer_load_dword v5, off, s[0:3], 0 offset:436
	buffer_load_dword v149, off, s[0:3], 0 offset:428
	buffer_load_dword v148, off, s[0:3], 0 offset:424
	buffer_load_dword v151, off, s[0:3], 0 offset:420
	buffer_load_dword v150, off, s[0:3], 0 offset:416
	buffer_load_dword v4, off, s[0:3], 0 offset:432
	v_accvgpr_write_b32 a163, v35
	v_accvgpr_write_b32 a162, v34
	s_waitcnt vmcnt(0)
	v_pk_mov_b32 v[36:37], v[4:5], v[4:5] op_sel:[0,1]
	buffer_load_dword v5, off, s[0:3], 0 offset:476
	buffer_load_dword v4, off, s[0:3], 0 offset:472
	;; [unrolled: 1-line block ×22, first 2 shown]
	ds_read_b128 v[210:213], v1 offset:1008
	ds_read_b128 v[214:217], v1 offset:1024
	;; [unrolled: 1-line block ×12, first 2 shown]
	s_waitcnt lgkmcnt(4)
	v_mul_f64 v[8:9], v[62:63], v[98:99]
	v_fmac_f64_e32 v[8:9], v[64:65], v[100:101]
	s_waitcnt lgkmcnt(3)
	v_mul_f64 v[12:13], v[130:131], v[14:15]
	v_fmac_f64_e32 v[12:13], v[132:133], v[136:137]
	;; [unrolled: 3-line block ×5, first 2 shown]
	v_accvgpr_write_b32 a165, v37
	v_accvgpr_write_b32 a164, v36
	s_waitcnt vmcnt(20)
	v_pk_mov_b32 v[38:39], v[4:5], v[4:5] op_sel:[0,1]
	v_mul_f64 v[4:5], v[50:51], v[84:85]
	v_fmac_f64_e32 v[4:5], v[52:53], v[86:87]
	v_add_f64 v[2:3], v[2:3], v[4:5]
	v_mul_f64 v[4:5], v[210:211], v[96:97]
	v_fmac_f64_e32 v[4:5], v[212:213], v[54:55]
	v_add_f64 v[2:3], v[2:3], v[4:5]
	;; [unrolled: 3-line block ×8, first 2 shown]
	v_add_f64 v[10:11], v[6:7], v[8:9]
	v_add_f64 v[14:15], v[10:11], v[12:13]
	;; [unrolled: 1-line block ×4, first 2 shown]
	ds_read_b128 v[18:21], v1 offset:1200
	v_add_f64 v[26:27], v[22:23], v[24:25]
	ds_read_b128 v[22:25], v1 offset:1216
	v_accvgpr_write_b32 a167, v39
	v_accvgpr_write_b32 a166, v38
	s_waitcnt lgkmcnt(1)
	v_mul_f64 v[28:29], v[18:19], v[148:149]
	v_fmac_f64_e32 v[28:29], v[20:21], v[150:151]
	v_add_f64 v[30:31], v[26:27], v[28:29]
	ds_read_b128 v[26:29], v1 offset:1232
	s_waitcnt lgkmcnt(1)
	v_mul_f64 v[32:33], v[22:23], v[34:35]
	v_fmac_f64_e32 v[32:33], v[24:25], v[36:37]
	v_add_f64 v[34:35], v[30:31], v[32:33]
	ds_read_b128 v[30:33], v1 offset:1248
	s_waitcnt vmcnt(17) lgkmcnt(1)
	v_mul_f64 v[36:37], v[26:27], v[152:153]
	s_waitcnt vmcnt(15)
	v_fmac_f64_e32 v[36:37], v[28:29], v[154:155]
	v_add_f64 v[164:165], v[34:35], v[36:37]
	ds_read_b128 v[34:37], v1 offset:1264
	s_waitcnt lgkmcnt(1)
	v_mul_f64 v[166:167], v[30:31], v[38:39]
	ds_read_b128 v[38:41], v1 offset:1280
	s_waitcnt vmcnt(14)
	v_fmac_f64_e32 v[166:167], v[32:33], v[134:135]
	v_add_f64 v[164:165], v[164:165], v[166:167]
	s_waitcnt vmcnt(9) lgkmcnt(1)
	v_mul_f64 v[166:167], v[34:35], v[156:157]
	s_waitcnt vmcnt(7)
	v_fmac_f64_e32 v[166:167], v[36:37], v[160:161]
	v_add_f64 v[164:165], v[164:165], v[166:167]
	s_waitcnt lgkmcnt(0)
	v_mul_f64 v[166:167], v[38:39], v[138:139]
	s_waitcnt vmcnt(6)
	v_fmac_f64_e32 v[166:167], v[40:41], v[142:143]
	v_add_f64 v[2:3], v[164:165], v[166:167]
	buffer_load_dword v167, off, s[0:3], 0 offset:532
	buffer_load_dword v166, off, s[0:3], 0 offset:528
	v_mul_f64 v[4:5], v[112:113], v[48:49]
	buffer_load_dword v164, off, s[0:3], 0 offset:568
	v_fma_f64 v[14:15], v[110:111], v[42:43], -v[4:5]
	v_mul_f64 v[42:43], v[116:117], v[168:169]
	buffer_load_dword v171, off, s[0:3], 0 offset:556
	buffer_load_dword v170, off, s[0:3], 0 offset:552
	;; [unrolled: 1-line block ×7, first 2 shown]
	v_fma_f64 v[110:111], v[114:115], v[44:45], -v[42:43]
	ds_read_b128 v[42:45], v1 offset:1296
	v_fma_f64 v[112:113], v[174:175], v[82:83], -v[46:47]
	v_mul_f64 v[46:47], v[180:181], v[60:61]
	buffer_load_dword v175, off, s[0:3], 0 offset:588
	buffer_load_dword v174, off, s[0:3], 0 offset:584
	;; [unrolled: 1-line block ×4, first 2 shown]
	v_fma_f64 v[114:115], v[178:179], v[182:183], -v[46:47]
	buffer_load_dword v179, off, s[0:3], 0 offset:604
	buffer_load_dword v178, off, s[0:3], 0 offset:600
	;; [unrolled: 1-line block ×8, first 2 shown]
	v_mul_f64 v[46:47], v[188:189], v[58:59]
	v_fma_f64 v[116:117], v[186:187], v[56:57], -v[46:47]
	buffer_load_dword v186, off, s[0:3], 0 offset:632
	v_mul_f64 v[46:47], v[192:193], v[218:219]
	buffer_load_dword v218, off, s[0:3], 0 offset:624
	buffer_load_dword v187, off, s[0:3], 0 offset:636
	;; [unrolled: 1-line block ×3, first 2 shown]
	v_mul_f64 v[8:9], v[196:197], v[220:221]
	v_fma_f64 v[10:11], v[190:191], v[232:233], -v[46:47]
	v_fma_f64 v[8:9], v[194:195], v[222:223], -v[8:9]
	buffer_load_dword v188, off, s[0:3], 0 offset:664
	buffer_load_dword v193, off, s[0:3], 0 offset:652
	;; [unrolled: 1-line block ×8, first 2 shown]
	v_mul_f64 v[48:49], v[200:201], v[74:75]
	buffer_load_dword v221, off, s[0:3], 0 offset:684
	buffer_load_dword v220, off, s[0:3], 0 offset:680
	;; [unrolled: 1-line block ×4, first 2 shown]
	v_fma_f64 v[196:197], v[198:199], v[76:77], -v[48:49]
	v_mul_f64 v[48:49], v[204:205], v[228:229]
	v_fma_f64 v[198:199], v[202:203], v[70:71], -v[48:49]
	v_mul_f64 v[48:49], v[208:209], v[72:73]
	buffer_load_dword v209, off, s[0:3], 0 offset:700
	buffer_load_dword v208, off, s[0:3], 0 offset:696
	;; [unrolled: 1-line block ×4, first 2 shown]
	v_fma_f64 v[206:207], v[206:207], v[230:231], -v[48:49]
	buffer_load_dword v204, off, s[0:3], 0 offset:728
	buffer_load_dword v233, off, s[0:3], 0 offset:716
	;; [unrolled: 1-line block ×12, first 2 shown]
	s_waitcnt vmcnt(56) lgkmcnt(0)
	v_mul_f64 v[46:47], v[42:43], v[158:159]
	s_waitcnt vmcnt(54)
	v_fmac_f64_e32 v[46:47], v[44:45], v[162:163]
	v_add_f64 v[2:3], v[2:3], v[46:47]
	ds_read_b128 v[46:49], v1 offset:1312
	v_mul_f64 v[52:53], v[52:53], v[84:85]
	v_fma_f64 v[200:201], v[50:51], v[86:87], -v[52:53]
	ds_read_b128 v[50:53], v1 offset:1328
	v_mul_f64 v[56:57], v[212:213], v[96:97]
	v_fma_f64 v[210:211], v[210:211], v[54:55], -v[56:57]
	ds_read_b128 v[54:57], v1 offset:1344
	s_waitcnt lgkmcnt(2)
	v_mul_f64 v[58:59], v[46:47], v[146:147]
	v_mul_f64 v[70:71], v[216:217], v[88:89]
	v_fma_f64 v[6:7], v[214:215], v[90:91], -v[70:71]
	ds_read_b128 v[212:215], v1 offset:1376
	v_mul_f64 v[66:67], v[242:243], v[66:67]
	v_fma_f64 v[216:217], v[240:241], v[68:69], -v[66:67]
	ds_read_b128 v[70:73], v1 offset:1408
	ds_read_b128 v[74:77], v1 offset:1424
	v_mul_f64 v[16:17], v[250:251], v[78:79]
	v_fma_f64 v[16:17], v[248:249], v[80:81], -v[16:17]
	ds_read_b128 v[78:81], v1 offset:1440
	ds_read_b128 v[82:85], v1 offset:1456
	;; [unrolled: 1-line block ×3, first 2 shown]
	v_mul_f64 v[90:91], v[226:227], v[102:103]
	v_fma_f64 v[90:91], v[224:225], v[104:105], -v[90:91]
	v_accvgpr_write_b32 a169, v91
	v_accvgpr_write_b32 a168, v90
	v_add_f64 v[14:15], v[14:15], 0
	v_add_f64 v[14:15], v[14:15], v[110:111]
	;; [unrolled: 1-line block ×3, first 2 shown]
	ds_read_b128 v[66:69], v1 offset:1392
	v_add_f64 v[14:15], v[14:15], v[114:115]
	v_add_f64 v[14:15], v[14:15], v[116:117]
	;; [unrolled: 1-line block ×11, first 2 shown]
	v_accvgpr_read_b32 v8, a156
	v_accvgpr_read_b32 v9, a157
	s_waitcnt vmcnt(52)
	v_fmac_f64_e32 v[58:59], v[48:49], v[166:167]
	v_add_f64 v[2:3], v[2:3], v[58:59]
	s_waitcnt vmcnt(49) lgkmcnt(8)
	v_mul_f64 v[58:59], v[50:51], v[170:171]
	s_waitcnt vmcnt(47)
	v_fmac_f64_e32 v[58:59], v[52:53], v[172:173]
	v_add_f64 v[2:3], v[2:3], v[58:59]
	s_waitcnt vmcnt(45) lgkmcnt(7)
	v_mul_f64 v[58:59], v[54:55], v[164:165]
	s_waitcnt vmcnt(44)
	v_fmac_f64_e32 v[58:59], v[56:57], v[168:169]
	v_add_f64 v[2:3], v[2:3], v[58:59]
	ds_read_b128 v[58:61], v1 offset:1360
	s_waitcnt vmcnt(42) lgkmcnt(0)
	v_mul_f64 v[12:13], v[58:59], v[174:175]
	s_waitcnt vmcnt(40)
	v_fmac_f64_e32 v[12:13], v[60:61], v[176:177]
	v_add_f64 v[2:3], v[2:3], v[12:13]
	s_waitcnt vmcnt(38)
	v_mul_f64 v[12:13], v[212:213], v[178:179]
	s_waitcnt vmcnt(36)
	v_fmac_f64_e32 v[12:13], v[214:215], v[182:183]
	v_add_f64 v[2:3], v[2:3], v[12:13]
	s_waitcnt vmcnt(34)
	v_mul_f64 v[12:13], v[66:67], v[180:181]
	s_waitcnt vmcnt(32)
	v_fmac_f64_e32 v[12:13], v[68:69], v[184:185]
	v_add_f64 v[2:3], v[2:3], v[12:13]
	v_mul_f64 v[12:13], v[246:247], v[106:107]
	v_fma_f64 v[4:5], v[244:245], v[108:109], -v[12:13]
	s_waitcnt vmcnt(29)
	v_mul_f64 v[12:13], v[70:71], v[186:187]
	s_waitcnt vmcnt(28)
	v_fmac_f64_e32 v[12:13], v[72:73], v[218:219]
	v_add_f64 v[2:3], v[2:3], v[12:13]
	s_waitcnt vmcnt(25)
	v_mul_f64 v[12:13], v[74:75], v[192:193]
	s_waitcnt vmcnt(23)
	v_fmac_f64_e32 v[12:13], v[76:77], v[194:195]
	v_add_f64 v[2:3], v[2:3], v[12:13]
	;; [unrolled: 5-line block ×3, first 2 shown]
	v_mul_f64 v[12:13], v[254:255], v[92:93]
	v_fma_f64 v[250:251], v[252:253], v[94:95], -v[12:13]
	s_waitcnt vmcnt(18)
	v_mul_f64 v[12:13], v[82:83], v[220:221]
	s_waitcnt vmcnt(16)
	v_fmac_f64_e32 v[12:13], v[84:85], v[222:223]
	ds_read_b128 v[90:93], v1 offset:1488
	v_add_f64 v[2:3], v[2:3], v[12:13]
	s_waitcnt vmcnt(14)
	v_mul_f64 v[12:13], v[86:87], v[208:209]
	s_waitcnt vmcnt(12)
	v_fmac_f64_e32 v[12:13], v[88:89], v[228:229]
	ds_read_b128 v[94:97], v1 offset:1504
	v_add_f64 v[2:3], v[2:3], v[12:13]
	v_mul_f64 v[12:13], v[64:65], v[98:99]
	v_fma_f64 v[254:255], v[62:63], v[100:101], -v[12:13]
	ds_read_b128 v[98:101], v1 offset:1520
	s_waitcnt vmcnt(9) lgkmcnt(2)
	v_mul_f64 v[12:13], v[90:91], v[232:233]
	s_waitcnt vmcnt(7)
	v_fmac_f64_e32 v[12:13], v[92:93], v[236:237]
	v_add_f64 v[2:3], v[2:3], v[12:13]
	s_waitcnt vmcnt(5) lgkmcnt(1)
	v_mul_f64 v[12:13], v[94:95], v[204:205]
	s_waitcnt vmcnt(4)
	v_fmac_f64_e32 v[12:13], v[96:97], v[230:231]
	v_add_f64 v[2:3], v[2:3], v[12:13]
	s_waitcnt vmcnt(2) lgkmcnt(0)
	v_mul_f64 v[12:13], v[98:99], v[234:235]
	s_waitcnt vmcnt(0)
	v_fmac_f64_e32 v[12:13], v[100:101], v[238:239]
	v_add_f64 v[2:3], v[2:3], v[12:13]
	buffer_load_dword v12, off, s[0:3], 0 offset:760
	buffer_load_dword v13, off, s[0:3], 0 offset:764
	;; [unrolled: 1-line block ×4, first 2 shown]
	ds_read_b128 v[102:105], v1 offset:1536
	buffer_load_dword v227, off, s[0:3], 0 offset:780
	buffer_load_dword v226, off, s[0:3], 0 offset:776
	;; [unrolled: 1-line block ×4, first 2 shown]
	ds_read_b128 v[106:109], v1 offset:1552
	buffer_load_dword v240, off, s[0:3], 0 offset:792
	buffer_load_dword v241, off, s[0:3], 0 offset:796
	;; [unrolled: 1-line block ×4, first 2 shown]
	v_add_f64 v[4:5], v[6:7], v[4:5]
	v_add_f64 v[4:5], v[4:5], v[16:17]
	;; [unrolled: 1-line block ×3, first 2 shown]
	v_accvgpr_read_b32 v4, a168
	v_accvgpr_read_b32 v6, a152
	;; [unrolled: 1-line block ×4, first 2 shown]
	v_add_f64 v[4:5], v[210:211], v[4:5]
	v_mul_f64 v[6:7], v[132:133], v[6:7]
	v_add_f64 v[4:5], v[4:5], v[254:255]
	v_fma_f64 v[6:7], v[130:131], v[136:137], -v[6:7]
	v_add_f64 v[4:5], v[4:5], v[6:7]
	v_accvgpr_read_b32 v6, a154
	v_accvgpr_read_b32 v7, a155
	v_mul_f64 v[6:7], v[128:129], v[6:7]
	v_fma_f64 v[6:7], v[126:127], v[8:9], -v[6:7]
	v_add_f64 v[4:5], v[4:5], v[6:7]
	v_mul_f64 v[6:7], v[124:125], v[140:141]
	v_fma_f64 v[6:7], v[122:123], v[144:145], -v[6:7]
	v_add_f64 v[4:5], v[4:5], v[6:7]
	v_accvgpr_read_b32 v6, a158
	v_accvgpr_read_b32 v7, a159
	;; [unrolled: 1-line block ×3, first 2 shown]
	v_mul_f64 v[6:7], v[120:121], v[6:7]
	v_accvgpr_read_b32 v9, a161
	v_fma_f64 v[6:7], v[118:119], v[8:9], -v[6:7]
	v_add_f64 v[4:5], v[4:5], v[6:7]
	v_mul_f64 v[6:7], v[20:21], v[148:149]
	v_fma_f64 v[6:7], v[18:19], v[150:151], -v[6:7]
	v_add_f64 v[4:5], v[4:5], v[6:7]
	v_accvgpr_read_b32 v6, a162
	v_accvgpr_read_b32 v7, a163
	v_accvgpr_read_b32 v8, a164
	v_mul_f64 v[6:7], v[24:25], v[6:7]
	v_accvgpr_read_b32 v9, a165
	v_fma_f64 v[6:7], v[22:23], v[8:9], -v[6:7]
	v_add_f64 v[4:5], v[4:5], v[6:7]
	v_mul_f64 v[6:7], v[28:29], v[152:153]
	v_fma_f64 v[6:7], v[26:27], v[154:155], -v[6:7]
	v_add_f64 v[4:5], v[4:5], v[6:7]
	v_accvgpr_read_b32 v6, a166
	v_accvgpr_read_b32 v7, a167
	v_mul_f64 v[6:7], v[32:33], v[6:7]
	v_fma_f64 v[6:7], v[30:31], v[134:135], -v[6:7]
	v_add_f64 v[4:5], v[4:5], v[6:7]
	v_mul_f64 v[6:7], v[36:37], v[156:157]
	v_fma_f64 v[6:7], v[34:35], v[160:161], -v[6:7]
	v_add_f64 v[4:5], v[4:5], v[6:7]
	;; [unrolled: 3-line block ×10, first 2 shown]
	v_mul_f64 v[6:7], v[72:73], v[186:187]
	s_waitcnt vmcnt(10) lgkmcnt(1)
	v_mul_f64 v[62:63], v[102:103], v[12:13]
	v_fma_f64 v[6:7], v[70:71], v[218:219], -v[6:7]
	s_waitcnt vmcnt(8)
	v_fmac_f64_e32 v[62:63], v[104:105], v[224:225]
	v_add_f64 v[2:3], v[2:3], v[62:63]
	s_waitcnt vmcnt(6) lgkmcnt(0)
	v_mul_f64 v[62:63], v[106:107], v[226:227]
	s_waitcnt vmcnt(4)
	v_fmac_f64_e32 v[62:63], v[108:109], v[202:203]
	v_add_f64 v[2:3], v[2:3], v[62:63]
	ds_read_b128 v[62:65], v1 offset:1568
	buffer_load_dword v247, off, s[0:3], 0 offset:812
	buffer_load_dword v246, off, s[0:3], 0 offset:808
	;; [unrolled: 1-line block ×4, first 2 shown]
	v_add_f64 v[4:5], v[4:5], v[6:7]
	v_mul_f64 v[6:7], v[76:77], v[192:193]
	v_fma_f64 v[6:7], v[74:75], v[194:195], -v[6:7]
	s_waitcnt vmcnt(6) lgkmcnt(0)
	v_mul_f64 v[244:245], v[62:63], v[240:241]
	s_waitcnt vmcnt(4)
	v_fmac_f64_e32 v[244:245], v[64:65], v[242:243]
	v_add_f64 v[244:245], v[2:3], v[244:245]
	ds_read_b128 v[0:3], v1 offset:1584
	buffer_load_dword v250, off, s[0:3], 0 offset:32
	buffer_load_dword v251, off, s[0:3], 0 offset:36
	;; [unrolled: 1-line block ×4, first 2 shown]
	v_add_f64 v[4:5], v[4:5], v[6:7]
	v_mul_f64 v[6:7], v[80:81], v[188:189]
	v_fma_f64 v[6:7], v[78:79], v[190:191], -v[6:7]
	v_add_f64 v[4:5], v[4:5], v[6:7]
	v_mul_f64 v[6:7], v[84:85], v[220:221]
	v_fma_f64 v[6:7], v[82:83], v[222:223], -v[6:7]
	;; [unrolled: 3-line block ×9, first 2 shown]
	v_add_f64 v[4:5], v[4:5], v[6:7]
	s_waitcnt vmcnt(6) lgkmcnt(0)
	v_mul_f64 v[252:253], v[0:1], v[246:247]
	s_waitcnt vmcnt(4)
	v_fmac_f64_e32 v[252:253], v[2:3], v[248:249]
	v_mul_f64 v[2:3], v[2:3], v[246:247]
	v_fma_f64 v[0:1], v[0:1], v[248:249], -v[2:3]
	v_add_f64 v[0:1], v[4:5], v[0:1]
	v_add_f64 v[244:245], v[244:245], v[252:253]
	s_waitcnt vmcnt(2)
	v_add_f64 v[0:1], v[250:251], -v[0:1]
	s_waitcnt vmcnt(0)
	v_add_f64 v[2:3], v[206:207], -v[244:245]
	buffer_store_dword v1, off, s[0:3], 0 offset:36
	buffer_store_dword v0, off, s[0:3], 0 offset:32
	;; [unrolled: 1-line block ×4, first 2 shown]
	v_accvgpr_read_b32 v0, a149
	v_cmp_ne_u32_e32 vcc, 0, v0
	s_and_saveexec_b64 s[4:5], vcc
	s_cbranch_execz .LBB113_313
; %bb.312:
	buffer_load_dword v0, off, s[0:3], 0 offset:16
	buffer_load_dword v1, off, s[0:3], 0 offset:20
	;; [unrolled: 1-line block ×4, first 2 shown]
	v_mov_b32_e32 v4, 0
	v_accvgpr_read_b32 v5, a150
	buffer_store_dword v4, off, s[0:3], 0 offset:16
	buffer_store_dword v4, off, s[0:3], 0 offset:20
	;; [unrolled: 1-line block ×4, first 2 shown]
	s_waitcnt vmcnt(4)
	ds_write_b128 v5, v[0:3]
.LBB113_313:
	s_or_b64 exec, exec, s[4:5]
	s_waitcnt lgkmcnt(0)
	; wave barrier
	s_waitcnt lgkmcnt(0)
	buffer_load_dword v36, off, s[0:3], 0 offset:32
	buffer_load_dword v37, off, s[0:3], 0 offset:36
	;; [unrolled: 1-line block ×42, first 2 shown]
	v_mov_b32_e32 v112, 0
	buffer_load_dword v95, off, s[0:3], 0 offset:180
	buffer_load_dword v94, off, s[0:3], 0 offset:176
	;; [unrolled: 1-line block ×7, first 2 shown]
	ds_read_b128 v[40:43], v112 offset:816
	ds_read_b128 v[108:111], v112 offset:832
	;; [unrolled: 1-line block ×11, first 2 shown]
	s_and_b64 vcc, exec, s[16:17]
	s_waitcnt vmcnt(45) lgkmcnt(10)
	v_mul_f64 v[0:1], v[40:41], v[38:39]
	v_fmac_f64_e32 v[0:1], v[42:43], v[36:37]
	v_add_f64 v[0:1], v[0:1], 0
	v_mul_f64 v[38:39], v[42:43], v[38:39]
	s_waitcnt vmcnt(41) lgkmcnt(9)
	v_mul_f64 v[2:3], v[108:109], v[48:49]
	v_fmac_f64_e32 v[2:3], v[110:111], v[46:47]
	s_waitcnt vmcnt(39) lgkmcnt(8)
	v_mul_f64 v[4:5], v[128:129], v[44:45]
	v_add_f64 v[0:1], v[0:1], v[2:3]
	s_waitcnt vmcnt(37) lgkmcnt(6)
	v_mul_f64 v[8:9], v[140:141], v[52:53]
	v_mul_f64 v[44:45], v[130:131], v[44:45]
	s_waitcnt vmcnt(35)
	v_fmac_f64_e32 v[8:9], v[142:143], v[50:51]
	v_mul_f64 v[48:49], v[110:111], v[48:49]
	s_waitcnt vmcnt(33)
	v_mul_f64 v[6:7], v[132:133], v[54:55]
	v_fma_f64 v[174:175], v[108:109], v[46:47], -v[48:49]
	s_waitcnt vmcnt(31) lgkmcnt(4)
	v_mul_f64 v[12:13], v[150:151], v[56:57]
	s_waitcnt vmcnt(29)
	v_fmac_f64_e32 v[12:13], v[152:153], v[58:59]
	s_waitcnt vmcnt(27)
	v_mul_f64 v[10:11], v[146:147], v[162:163]
	s_waitcnt vmcnt(25) lgkmcnt(2)
	v_mul_f64 v[16:17], v[158:159], v[66:67]
	s_waitcnt vmcnt(22)
	v_mul_f64 v[14:15], v[154:155], v[68:69]
	s_waitcnt vmcnt(20) lgkmcnt(1)
	v_mul_f64 v[18:19], v[166:167], v[62:63]
	s_waitcnt vmcnt(18)
	v_fmac_f64_e32 v[4:5], v[130:131], v[76:77]
	v_add_f64 v[0:1], v[0:1], v[4:5]
	s_waitcnt vmcnt(16)
	v_fmac_f64_e32 v[6:7], v[134:135], v[74:75]
	v_add_f64 v[0:1], v[0:1], v[6:7]
	;; [unrolled: 3-line block ×3, first 2 shown]
	v_add_f64 v[0:1], v[0:1], v[10:11]
	s_waitcnt vmcnt(12)
	v_fmac_f64_e32 v[14:15], v[156:157], v[70:71]
	v_add_f64 v[0:1], v[0:1], v[12:13]
	s_waitcnt vmcnt(11)
	v_fmac_f64_e32 v[16:17], v[160:161], v[164:165]
	v_add_f64 v[0:1], v[0:1], v[14:15]
	v_add_f64 v[4:5], v[0:1], v[16:17]
	buffer_load_dword v86, off, s[0:3], 0 offset:216
	buffer_load_dword v215, off, s[0:3], 0 offset:212
	;; [unrolled: 1-line block ×29, first 2 shown]
	s_waitcnt vmcnt(34)
	v_fmac_f64_e32 v[18:19], v[168:169], v[94:95]
	v_add_f64 v[4:5], v[4:5], v[18:19]
	v_fma_f64 v[76:77], v[128:129], v[76:77], -v[44:45]
	v_mul_f64 v[44:45], v[134:135], v[54:55]
	v_fma_f64 v[108:109], v[132:133], v[74:75], -v[44:45]
	v_mul_f64 v[44:45], v[142:143], v[52:53]
	v_fma_f64 v[110:111], v[140:141], v[50:51], -v[44:45]
	v_mul_f64 v[44:45], v[148:149], v[162:163]
	s_waitcnt vmcnt(0)
	v_pk_mov_b32 v[12:13], v[6:7], v[6:7] op_sel:[0,1]
	buffer_load_dword v7, off, s[0:3], 0 offset:356
	buffer_load_dword v6, off, s[0:3], 0 offset:352
	v_accvgpr_write_b32 a151, v13
	v_accvgpr_write_b32 a150, v12
	s_waitcnt vmcnt(0)
	v_pk_mov_b32 v[14:15], v[6:7], v[6:7] op_sel:[0,1]
	buffer_load_dword v97, off, s[0:3], 0 offset:348
	buffer_load_dword v96, off, s[0:3], 0 offset:344
	buffer_load_dword v99, off, s[0:3], 0 offset:340
	buffer_load_dword v98, off, s[0:3], 0 offset:336
	buffer_load_dword v7, off, s[0:3], 0 offset:396
	buffer_load_dword v6, off, s[0:3], 0 offset:392
	v_accvgpr_write_b32 a153, v15
	v_accvgpr_write_b32 a152, v14
	s_waitcnt vmcnt(0)
	v_pk_mov_b32 v[20:21], v[6:7], v[6:7] op_sel:[0,1]
	buffer_load_dword v7, off, s[0:3], 0 offset:388
	buffer_load_dword v6, off, s[0:3], 0 offset:384
	v_accvgpr_write_b32 a155, v21
	v_accvgpr_write_b32 a154, v20
	s_waitcnt vmcnt(0)
	v_pk_mov_b32 v[22:23], v[6:7], v[6:7] op_sel:[0,1]
	buffer_load_dword v237, off, s[0:3], 0 offset:380
	buffer_load_dword v236, off, s[0:3], 0 offset:376
	buffer_load_dword v241, off, s[0:3], 0 offset:372
	buffer_load_dword v240, off, s[0:3], 0 offset:368
	buffer_load_dword v7, off, s[0:3], 0 offset:428
	buffer_load_dword v6, off, s[0:3], 0 offset:424
	v_accvgpr_write_b32 a157, v23
	v_accvgpr_write_b32 a156, v22
	;; [unrolled: 16-line block ×4, first 2 shown]
	s_waitcnt vmcnt(0)
	v_pk_mov_b32 v[126:127], v[6:7], v[6:7] op_sel:[0,1]
	buffer_load_dword v7, off, s[0:3], 0 offset:484
	buffer_load_dword v6, off, s[0:3], 0 offset:480
	;; [unrolled: 1-line block ×14, first 2 shown]
	ds_read_b128 v[178:181], v112 offset:992
	ds_read_b128 v[182:185], v112 offset:1008
	;; [unrolled: 1-line block ×14, first 2 shown]
	s_waitcnt lgkmcnt(4)
	v_mul_f64 v[10:11], v[230:231], v[12:13]
	v_fmac_f64_e32 v[10:11], v[232:233], v[14:15]
	s_waitcnt lgkmcnt(3)
	v_mul_f64 v[14:15], v[226:227], v[236:237]
	v_fmac_f64_e32 v[14:15], v[228:229], v[240:241]
	;; [unrolled: 3-line block ×5, first 2 shown]
	v_accvgpr_write_b32 a167, v127
	v_accvgpr_write_b32 a166, v126
	v_mul_f64 v[48:49], v[180:181], v[86:87]
	s_waitcnt vmcnt(12)
	v_pk_mov_b32 v[136:137], v[6:7], v[6:7] op_sel:[0,1]
	v_mul_f64 v[6:7], v[170:171], v[80:81]
	v_fmac_f64_e32 v[6:7], v[172:173], v[84:85]
	v_add_f64 v[4:5], v[4:5], v[6:7]
	v_mul_f64 v[6:7], v[178:179], v[86:87]
	v_fmac_f64_e32 v[6:7], v[180:181], v[214:215]
	v_add_f64 v[4:5], v[4:5], v[6:7]
	;; [unrolled: 3-line block ×10, first 2 shown]
	v_add_f64 v[12:13], v[8:9], v[10:11]
	v_add_f64 v[16:17], v[12:13], v[14:15]
	v_add_f64 v[20:21], v[16:17], v[18:19]
	v_add_f64 v[24:25], v[20:21], v[22:23]
	ds_read_b128 v[20:23], v112 offset:1216
	v_add_f64 v[28:29], v[24:25], v[26:27]
	ds_read_b128 v[24:27], v112 offset:1232
	v_fma_f64 v[16:17], v[40:41], v[36:37], -v[38:39]
	ds_read_b128 v[36:39], v112 offset:1280
	s_waitcnt lgkmcnt(2)
	v_mul_f64 v[30:31], v[20:21], v[248:249]
	v_fmac_f64_e32 v[30:31], v[22:23], v[250:251]
	s_waitcnt lgkmcnt(1)
	v_mul_f64 v[34:35], v[24:25], v[114:115]
	v_add_f64 v[32:33], v[28:29], v[30:31]
	ds_read_b128 v[28:31], v112 offset:1248
	v_fmac_f64_e32 v[34:35], v[26:27], v[122:123]
	v_add_f64 v[122:123], v[32:33], v[34:35]
	ds_read_b128 v[32:35], v112 offset:1264
	v_accvgpr_write_b32 a169, v137
	s_waitcnt vmcnt(10) lgkmcnt(1)
	v_mul_f64 v[124:125], v[28:29], v[252:253]
	s_waitcnt vmcnt(8)
	v_fmac_f64_e32 v[124:125], v[30:31], v[254:255]
	v_add_f64 v[6:7], v[122:123], v[124:125]
	s_waitcnt lgkmcnt(0)
	v_mul_f64 v[40:41], v[32:33], v[126:127]
	v_fmac_f64_e32 v[40:41], v[34:35], v[136:137]
	v_add_f64 v[6:7], v[6:7], v[40:41]
	s_waitcnt vmcnt(2)
	v_mul_f64 v[40:41], v[36:37], v[234:235]
	s_waitcnt vmcnt(0)
	v_fmac_f64_e32 v[40:41], v[38:39], v[120:121]
	v_add_f64 v[6:7], v[6:7], v[40:41]
	ds_read_b128 v[40:43], v112 offset:1296
	buffer_load_dword v123, off, s[0:3], 0 offset:540
	buffer_load_dword v122, off, s[0:3], 0 offset:536
	;; [unrolled: 1-line block ×8, first 2 shown]
	v_accvgpr_write_b32 a168, v136
	buffer_load_dword v129, off, s[0:3], 0 offset:588
	buffer_load_dword v135, off, s[0:3], 0 offset:572
	;; [unrolled: 1-line block ×16, first 2 shown]
	v_fma_f64 v[12:13], v[146:147], v[72:73], -v[44:45]
	buffer_load_dword v147, off, s[0:3], 0 offset:636
	buffer_load_dword v146, off, s[0:3], 0 offset:632
	;; [unrolled: 1-line block ×4, first 2 shown]
	v_mul_f64 v[44:45], v[156:157], v[68:69]
	v_mul_f64 v[10:11], v[152:153], v[56:57]
	v_fma_f64 v[8:9], v[154:155], v[70:71], -v[44:45]
	buffer_load_dword v152, off, s[0:3], 0 offset:648
	buffer_load_dword v154, off, s[0:3], 0 offset:640
	;; [unrolled: 1-line block ×4, first 2 shown]
	v_mul_f64 v[14:15], v[160:161], v[66:67]
	v_fma_f64 v[10:11], v[150:151], v[58:59], -v[10:11]
	v_fma_f64 v[14:15], v[158:159], v[164:165], -v[14:15]
	buffer_load_dword v151, off, s[0:3], 0 offset:684
	buffer_load_dword v157, off, s[0:3], 0 offset:668
	;; [unrolled: 1-line block ×12, first 2 shown]
	v_mul_f64 v[44:45], v[168:169], v[62:63]
	v_mul_f64 v[18:19], v[172:173], v[80:81]
	v_fma_f64 v[4:5], v[166:167], v[94:95], -v[44:45]
	v_fma_f64 v[18:19], v[170:171], v[84:85], -v[18:19]
	buffer_load_dword v168, off, s[0:3], 0 offset:712
	buffer_load_dword v170, off, s[0:3], 0 offset:704
	;; [unrolled: 1-line block ×12, first 2 shown]
	s_waitcnt lgkmcnt(0)
	v_mul_f64 v[44:45], v[40:41], v[238:239]
	v_fmac_f64_e32 v[44:45], v[42:43], v[242:243]
	v_add_f64 v[6:7], v[6:7], v[44:45]
	ds_read_b128 v[44:47], v112 offset:1312
	v_fma_f64 v[178:179], v[178:179], v[214:215], -v[48:49]
	ds_read_b128 v[48:51], v112 offset:1328
	v_mul_f64 v[0:1], v[188:189], v[0:1]
	v_fma_f64 v[0:1], v[186:187], v[60:61], -v[0:1]
	ds_read_b128 v[60:63], v112 offset:1376
	v_mul_f64 v[70:71], v[192:193], v[106:107]
	;; [unrolled: 3-line block ×3, first 2 shown]
	v_fma_f64 v[2:3], v[194:195], v[64:65], -v[2:3]
	v_mul_f64 v[84:85], v[204:205], v[102:103]
	v_fma_f64 v[204:205], v[202:203], v[104:105], -v[84:85]
	ds_read_b128 v[84:87], v112 offset:1472
	v_mul_f64 v[88:89], v[208:209], v[88:89]
	v_mul_f64 v[96:97], v[212:213], v[96:97]
	v_fma_f64 v[202:203], v[210:211], v[98:99], -v[96:97]
	v_add_f64 v[16:17], v[16:17], 0
	v_add_f64 v[16:17], v[16:17], v[174:175]
	;; [unrolled: 1-line block ×12, first 2 shown]
	v_accvgpr_read_b32 v8, a150
	v_accvgpr_read_b32 v9, a151
	;; [unrolled: 1-line block ×3, first 2 shown]
	v_mul_f64 v[8:9], v[232:233], v[8:9]
	v_accvgpr_read_b32 v11, a153
	v_fma_f64 v[8:9], v[230:231], v[10:11], -v[8:9]
	v_accvgpr_read_b32 v10, a156
	v_accvgpr_read_b32 v11, a157
	ds_read_b128 v[72:75], v112 offset:1424
	ds_read_b128 v[96:99], v112 offset:1520
	s_waitcnt vmcnt(54) lgkmcnt(6)
	v_mul_f64 v[52:53], v[44:45], v[122:123]
	s_waitcnt vmcnt(52)
	v_fmac_f64_e32 v[52:53], v[46:47], v[126:127]
	v_add_f64 v[6:7], v[6:7], v[52:53]
	v_mul_f64 v[52:53], v[184:185], v[78:79]
	v_fma_f64 v[78:79], v[182:183], v[82:83], -v[52:53]
	ds_read_b128 v[52:55], v112 offset:1344
	s_waitcnt vmcnt(49) lgkmcnt(6)
	v_mul_f64 v[56:57], v[48:49], v[124:125]
	s_waitcnt vmcnt(48)
	v_fmac_f64_e32 v[56:57], v[50:51], v[130:131]
	v_add_f64 v[6:7], v[6:7], v[56:57]
	ds_read_b128 v[56:59], v112 offset:1360
	s_waitcnt vmcnt(45) lgkmcnt(1)
	v_mul_f64 v[68:69], v[52:53], v[134:135]
	s_waitcnt vmcnt(43)
	v_fmac_f64_e32 v[68:69], v[54:55], v[136:137]
	v_add_f64 v[6:7], v[6:7], v[68:69]
	s_waitcnt vmcnt(25)
	v_mul_f64 v[80:81], v[72:73], v[152:153]
	s_waitcnt lgkmcnt(0)
	v_mul_f64 v[68:69], v[56:57], v[128:129]
	v_fmac_f64_e32 v[68:69], v[58:59], v[138:139]
	v_add_f64 v[6:7], v[6:7], v[68:69]
	v_mul_f64 v[68:69], v[60:61], v[142:143]
	v_fmac_f64_e32 v[68:69], v[62:63], v[144:145]
	v_add_f64 v[6:7], v[6:7], v[68:69]
	v_mul_f64 v[68:69], v[214:215], v[132:133]
	v_fmac_f64_e32 v[68:69], v[216:217], v[140:141]
	v_add_f64 v[6:7], v[6:7], v[68:69]
	ds_read_b128 v[68:71], v112 offset:1408
	s_waitcnt vmcnt(24)
	v_fmac_f64_e32 v[80:81], v[74:75], v[154:155]
	v_add_f64 v[4:5], v[4:5], v[78:79]
	v_add_f64 v[0:1], v[4:5], v[0:1]
	;; [unrolled: 1-line block ×3, first 2 shown]
	s_waitcnt lgkmcnt(0)
	v_mul_f64 v[64:65], v[68:69], v[146:147]
	v_fmac_f64_e32 v[64:65], v[70:71], v[148:149]
	v_add_f64 v[6:7], v[6:7], v[64:65]
	v_mul_f64 v[64:65], v[200:201], v[92:93]
	v_fma_f64 v[64:65], v[198:199], v[100:101], -v[64:65]
	ds_read_b128 v[196:199], v112 offset:1440
	v_add_f64 v[6:7], v[6:7], v[80:81]
	ds_read_b128 v[80:83], v112 offset:1456
	v_fma_f64 v[200:201], v[206:207], v[90:91], -v[88:89]
	ds_read_b128 v[88:91], v112 offset:1504
	s_waitcnt vmcnt(21) lgkmcnt(2)
	v_mul_f64 v[92:93], v[196:197], v[156:157]
	s_waitcnt vmcnt(19)
	v_fmac_f64_e32 v[92:93], v[198:199], v[162:163]
	v_add_f64 v[6:7], v[6:7], v[92:93]
	s_waitcnt vmcnt(18) lgkmcnt(1)
	v_mul_f64 v[92:93], v[80:81], v[150:151]
	s_waitcnt vmcnt(16)
	v_fmac_f64_e32 v[92:93], v[82:83], v[160:161]
	v_add_f64 v[6:7], v[6:7], v[92:93]
	ds_read_b128 v[92:95], v112 offset:1488
	s_waitcnt vmcnt(14)
	v_mul_f64 v[100:101], v[84:85], v[158:159]
	s_waitcnt vmcnt(12)
	v_fmac_f64_e32 v[100:101], v[86:87], v[164:165]
	v_add_f64 v[6:7], v[6:7], v[100:101]
	v_add_f64 v[0:1], v[0:1], v[2:3]
	s_waitcnt vmcnt(9) lgkmcnt(0)
	v_mul_f64 v[100:101], v[92:93], v[168:169]
	s_waitcnt vmcnt(8)
	v_fmac_f64_e32 v[100:101], v[94:95], v[170:171]
	v_add_f64 v[6:7], v[6:7], v[100:101]
	s_waitcnt vmcnt(5)
	v_mul_f64 v[100:101], v[88:89], v[66:67]
	s_waitcnt vmcnt(3)
	v_fmac_f64_e32 v[100:101], v[90:91], v[176:177]
	v_add_f64 v[6:7], v[6:7], v[100:101]
	s_waitcnt vmcnt(1)
	v_mul_f64 v[100:101], v[96:97], v[166:167]
	s_waitcnt vmcnt(0)
	v_fmac_f64_e32 v[100:101], v[98:99], v[172:173]
	v_add_f64 v[104:105], v[6:7], v[100:101]
	buffer_load_dword v7, off, s[0:3], 0 offset:764
	buffer_load_dword v6, off, s[0:3], 0 offset:760
	;; [unrolled: 1-line block ×4, first 2 shown]
	ds_read_b128 v[100:103], v112 offset:1536
	buffer_load_dword v182, off, s[0:3], 0 offset:776
	buffer_load_dword v183, off, s[0:3], 0 offset:780
	;; [unrolled: 1-line block ×4, first 2 shown]
	v_add_f64 v[0:1], v[0:1], v[64:65]
	s_waitcnt vmcnt(6) lgkmcnt(0)
	v_mul_f64 v[106:107], v[100:101], v[6:7]
	v_mul_f64 v[6:7], v[102:103], v[6:7]
	s_waitcnt vmcnt(4)
	v_fmac_f64_e32 v[106:107], v[102:103], v[180:181]
	v_add_f64 v[186:187], v[104:105], v[106:107]
	ds_read_b128 v[104:107], v112 offset:1552
	v_fma_f64 v[6:7], v[100:101], v[180:181], -v[6:7]
	s_waitcnt vmcnt(2) lgkmcnt(0)
	v_mul_f64 v[114:115], v[104:105], v[182:183]
	s_waitcnt vmcnt(0)
	v_fmac_f64_e32 v[114:115], v[106:107], v[184:185]
	v_add_f64 v[192:193], v[186:187], v[114:115]
	buffer_load_dword v187, off, s[0:3], 0 offset:796
	buffer_load_dword v186, off, s[0:3], 0 offset:792
	;; [unrolled: 1-line block ×4, first 2 shown]
	ds_read_b128 v[208:211], v112 offset:1568
	s_waitcnt vmcnt(2) lgkmcnt(0)
	v_mul_f64 v[114:115], v[208:209], v[186:187]
	s_waitcnt vmcnt(0)
	v_fmac_f64_e32 v[114:115], v[210:211], v[188:189]
	v_add_f64 v[206:207], v[192:193], v[114:115]
	buffer_load_dword v192, off, s[0:3], 0 offset:808
	buffer_load_dword v193, off, s[0:3], 0 offset:812
	;; [unrolled: 1-line block ×4, first 2 shown]
	ds_read_b128 v[112:115], v112 offset:1584
	buffer_load_dword v2, off, s[0:3], 0 offset:16
	buffer_load_dword v3, off, s[0:3], 0 offset:20
	s_waitcnt vmcnt(4) lgkmcnt(0)
	v_mul_f64 v[212:213], v[112:113], v[192:193]
	s_waitcnt vmcnt(2)
	v_fmac_f64_e32 v[212:213], v[114:115], v[194:195]
	v_add_f64 v[212:213], v[206:207], v[212:213]
	v_add_f64 v[206:207], v[0:1], v[204:205]
	buffer_load_dword v0, off, s[0:3], 0 offset:24
	buffer_load_dword v1, off, s[0:3], 0 offset:28
	v_add_f64 v[4:5], v[206:207], v[200:201]
	v_add_f64 v[4:5], v[4:5], v[202:203]
	;; [unrolled: 1-line block ×3, first 2 shown]
	v_mul_f64 v[8:9], v[228:229], v[236:237]
	v_fma_f64 v[8:9], v[226:227], v[240:241], -v[8:9]
	v_add_f64 v[4:5], v[4:5], v[8:9]
	v_accvgpr_read_b32 v8, a154
	v_accvgpr_read_b32 v9, a155
	v_mul_f64 v[8:9], v[224:225], v[8:9]
	v_fma_f64 v[8:9], v[222:223], v[10:11], -v[8:9]
	v_add_f64 v[4:5], v[4:5], v[8:9]
	v_mul_f64 v[8:9], v[220:221], v[244:245]
	v_fma_f64 v[8:9], v[218:219], v[246:247], -v[8:9]
	v_add_f64 v[4:5], v[4:5], v[8:9]
	v_accvgpr_read_b32 v8, a158
	v_accvgpr_read_b32 v9, a159
	v_accvgpr_read_b32 v10, a160
	v_mul_f64 v[8:9], v[118:119], v[8:9]
	v_accvgpr_read_b32 v11, a161
	v_fma_f64 v[8:9], v[116:117], v[10:11], -v[8:9]
	v_add_f64 v[4:5], v[4:5], v[8:9]
	v_mul_f64 v[8:9], v[22:23], v[248:249]
	v_fma_f64 v[8:9], v[20:21], v[250:251], -v[8:9]
	v_add_f64 v[4:5], v[4:5], v[8:9]
	v_accvgpr_read_b32 v8, a162
	v_accvgpr_read_b32 v9, a163
	v_accvgpr_read_b32 v10, a164
	v_mul_f64 v[8:9], v[26:27], v[8:9]
	v_accvgpr_read_b32 v11, a165
	;; [unrolled: 10-line block ×3, first 2 shown]
	v_fma_f64 v[8:9], v[32:33], v[10:11], -v[8:9]
	v_add_f64 v[4:5], v[4:5], v[8:9]
	v_mul_f64 v[8:9], v[38:39], v[234:235]
	v_fma_f64 v[8:9], v[36:37], v[120:121], -v[8:9]
	v_add_f64 v[4:5], v[4:5], v[8:9]
	v_mul_f64 v[8:9], v[42:43], v[238:239]
	;; [unrolled: 3-line block ×16, first 2 shown]
	v_fma_f64 v[8:9], v[96:97], v[172:173], -v[8:9]
	v_add_f64 v[4:5], v[4:5], v[8:9]
	v_add_f64 v[4:5], v[4:5], v[6:7]
	v_mul_f64 v[6:7], v[106:107], v[182:183]
	v_fma_f64 v[6:7], v[104:105], v[184:185], -v[6:7]
	v_add_f64 v[4:5], v[4:5], v[6:7]
	v_mul_f64 v[6:7], v[210:211], v[186:187]
	v_fma_f64 v[6:7], v[208:209], v[188:189], -v[6:7]
	;; [unrolled: 3-line block ×3, first 2 shown]
	v_add_f64 v[4:5], v[4:5], v[6:7]
	s_waitcnt vmcnt(2)
	v_add_f64 v[2:3], v[2:3], -v[4:5]
	s_waitcnt vmcnt(0)
	v_add_f64 v[0:1], v[0:1], -v[212:213]
	buffer_store_dword v3, off, s[0:3], 0 offset:20
	buffer_store_dword v2, off, s[0:3], 0 offset:16
	;; [unrolled: 1-line block ×4, first 2 shown]
	s_cbranch_vccz .LBB113_413
; %bb.314:
	v_pk_mov_b32 v[0:1], s[10:11], s[10:11] op_sel:[0,1]
	flat_load_dword v0, v[0:1] offset:192
	s_waitcnt vmcnt(0) lgkmcnt(0)
	v_add_u32_e32 v0, -1, v0
	v_cmp_ne_u32_e32 vcc, 48, v0
	s_and_saveexec_b64 s[4:5], vcc
	s_cbranch_execz .LBB113_316
; %bb.315:
	v_mov_b32_e32 v1, 16
	v_accvgpr_read_b32 v9, a101
	v_lshl_add_u32 v0, v0, 4, v1
	buffer_load_dword v1, v9, s[0:3], 0 offen offset:4
	buffer_load_dword v2, v9, s[0:3], 0 offen offset:8
	buffer_load_dword v3, v9, s[0:3], 0 offen offset:12
	buffer_load_dword v4, v0, s[0:3], 0 offen
	buffer_load_dword v5, v0, s[0:3], 0 offen offset:4
	buffer_load_dword v6, v0, s[0:3], 0 offen offset:8
	buffer_load_dword v7, v0, s[0:3], 0 offen offset:12
	buffer_load_dword v8, v9, s[0:3], 0 offen
	s_waitcnt vmcnt(4)
	buffer_store_dword v4, v9, s[0:3], 0 offen
	s_waitcnt vmcnt(4)
	buffer_store_dword v5, v9, s[0:3], 0 offen offset:4
	s_waitcnt vmcnt(4)
	buffer_store_dword v6, v9, s[0:3], 0 offen offset:8
	s_waitcnt vmcnt(4)
	buffer_store_dword v7, v9, s[0:3], 0 offen offset:12
	buffer_store_dword v3, v0, s[0:3], 0 offen offset:12
	buffer_store_dword v2, v0, s[0:3], 0 offen offset:8
	buffer_store_dword v1, v0, s[0:3], 0 offen offset:4
	s_waitcnt vmcnt(7)
	buffer_store_dword v8, v0, s[0:3], 0 offen
.LBB113_316:
	s_or_b64 exec, exec, s[4:5]
	v_pk_mov_b32 v[0:1], s[10:11], s[10:11] op_sel:[0,1]
	flat_load_dword v0, v[0:1] offset:188
	s_waitcnt vmcnt(0) lgkmcnt(0)
	v_add_u32_e32 v0, -1, v0
	v_cmp_ne_u32_e32 vcc, 47, v0
	s_and_saveexec_b64 s[4:5], vcc
	s_cbranch_execz .LBB113_318
; %bb.317:
	v_mov_b32_e32 v1, 16
	v_accvgpr_read_b32 v9, a102
	v_lshl_add_u32 v0, v0, 4, v1
	buffer_load_dword v1, v9, s[0:3], 0 offen offset:4
	buffer_load_dword v2, v9, s[0:3], 0 offen offset:8
	buffer_load_dword v3, v9, s[0:3], 0 offen offset:12
	buffer_load_dword v4, v0, s[0:3], 0 offen
	buffer_load_dword v5, v0, s[0:3], 0 offen offset:4
	buffer_load_dword v6, v0, s[0:3], 0 offen offset:8
	buffer_load_dword v7, v0, s[0:3], 0 offen offset:12
	buffer_load_dword v8, v9, s[0:3], 0 offen
	s_waitcnt vmcnt(4)
	buffer_store_dword v4, v9, s[0:3], 0 offen
	s_waitcnt vmcnt(4)
	buffer_store_dword v5, v9, s[0:3], 0 offen offset:4
	s_waitcnt vmcnt(4)
	buffer_store_dword v6, v9, s[0:3], 0 offen offset:8
	s_waitcnt vmcnt(4)
	buffer_store_dword v7, v9, s[0:3], 0 offen offset:12
	buffer_store_dword v3, v0, s[0:3], 0 offen offset:12
	buffer_store_dword v2, v0, s[0:3], 0 offen offset:8
	buffer_store_dword v1, v0, s[0:3], 0 offen offset:4
	s_waitcnt vmcnt(7)
	buffer_store_dword v8, v0, s[0:3], 0 offen
.LBB113_318:
	s_or_b64 exec, exec, s[4:5]
	;; [unrolled: 34-line block ×48, first 2 shown]
	v_pk_mov_b32 v[0:1], s[10:11], s[10:11] op_sel:[0,1]
	flat_load_dword v0, v[0:1]
	s_waitcnt vmcnt(0) lgkmcnt(0)
	v_add_u32_e32 v0, -1, v0
	v_cmp_ne_u32_e32 vcc, 0, v0
	s_and_saveexec_b64 s[4:5], vcc
	s_cbranch_execz .LBB113_412
; %bb.411:
	v_mov_b32_e32 v1, 16
	v_lshl_add_u32 v0, v0, 4, v1
	buffer_load_dword v1, v0, s[0:3], 0 offen
	buffer_load_dword v2, v0, s[0:3], 0 offen offset:4
	buffer_load_dword v3, v0, s[0:3], 0 offen offset:8
	buffer_load_dword v4, v0, s[0:3], 0 offen offset:12
	buffer_load_dword v5, off, s[0:3], 0 offset:28
	buffer_load_dword v6, off, s[0:3], 0 offset:24
	;; [unrolled: 1-line block ×4, first 2 shown]
	s_waitcnt vmcnt(7)
	buffer_store_dword v1, off, s[0:3], 0 offset:16
	s_waitcnt vmcnt(7)
	buffer_store_dword v2, off, s[0:3], 0 offset:20
	s_waitcnt vmcnt(7)
	buffer_store_dword v3, off, s[0:3], 0 offset:24
	s_waitcnt vmcnt(7)
	buffer_store_dword v4, off, s[0:3], 0 offset:28
	s_waitcnt vmcnt(7)
	buffer_store_dword v5, v0, s[0:3], 0 offen offset:12
	s_waitcnt vmcnt(7)
	buffer_store_dword v6, v0, s[0:3], 0 offen offset:8
	;; [unrolled: 2-line block ×3, first 2 shown]
	s_waitcnt vmcnt(7)
	buffer_store_dword v8, v0, s[0:3], 0 offen
.LBB113_412:
	s_or_b64 exec, exec, s[4:5]
.LBB113_413:
	buffer_load_dword v0, off, s[0:3], 0 offset:16
	buffer_load_dword v1, off, s[0:3], 0 offset:20
	;; [unrolled: 1-line block ×4, first 2 shown]
	v_accvgpr_read_b32 v4, a86
	v_accvgpr_read_b32 v5, a87
	s_waitcnt vmcnt(0)
	global_store_dwordx4 v[4:5], v[0:3], off
	s_nop 0
	v_accvgpr_read_b32 v3, a148
	buffer_load_dword v0, v3, s[0:3], 0 offen
	buffer_load_dword v1, v3, s[0:3], 0 offen offset:4
	buffer_load_dword v2, v3, s[0:3], 0 offen offset:8
	s_nop 0
	buffer_load_dword v3, v3, s[0:3], 0 offen offset:12
	v_accvgpr_read_b32 v4, a76
	v_accvgpr_read_b32 v5, a77
	s_waitcnt vmcnt(0)
	global_store_dwordx4 v[4:5], v[0:3], off
	s_nop 0
	v_accvgpr_read_b32 v3, a147
	buffer_load_dword v0, v3, s[0:3], 0 offen
	buffer_load_dword v1, v3, s[0:3], 0 offen offset:4
	buffer_load_dword v2, v3, s[0:3], 0 offen offset:8
	s_nop 0
	buffer_load_dword v3, v3, s[0:3], 0 offen offset:12
	;; [unrolled: 11-line block ×8, first 2 shown]
	v_accvgpr_read_b32 v4, a34
	v_accvgpr_read_b32 v5, a35
	s_waitcnt vmcnt(0)
	global_store_dwordx4 v[4:5], v[0:3], off
	v_accvgpr_read_b32 v4, a140
	buffer_load_dword v0, v4, s[0:3], 0 offen
	buffer_load_dword v1, v4, s[0:3], 0 offen offset:4
	buffer_load_dword v2, v4, s[0:3], 0 offen offset:8
	buffer_load_dword v3, v4, s[0:3], 0 offen offset:12
	v_accvgpr_read_b32 v4, a98
	v_accvgpr_read_b32 v5, a99
	s_waitcnt vmcnt(0)
	global_store_dwordx4 v[4:5], v[0:3], off
	v_accvgpr_read_b32 v4, a139
	buffer_load_dword v0, v4, s[0:3], 0 offen
	buffer_load_dword v1, v4, s[0:3], 0 offen offset:4
	buffer_load_dword v2, v4, s[0:3], 0 offen offset:8
	buffer_load_dword v3, v4, s[0:3], 0 offen offset:12
	;; [unrolled: 9-line block ×41, first 2 shown]
	v_accvgpr_read_b32 v5, a1
	v_accvgpr_read_b32 v4, a0
	s_waitcnt vmcnt(0)
	global_store_dwordx4 v[4:5], v[0:3], off
	s_endpgm
	.section	.rodata,"a",@progbits
	.p2align	6, 0x0
	.amdhsa_kernel _ZN9rocsolver6v33100L18getri_kernel_smallILi50E19rocblas_complex_numIdEPKPS3_EEvT1_iilPiilS8_bb
		.amdhsa_group_segment_fixed_size 1608
		.amdhsa_private_segment_fixed_size 832
		.amdhsa_kernarg_size 60
		.amdhsa_user_sgpr_count 8
		.amdhsa_user_sgpr_private_segment_buffer 1
		.amdhsa_user_sgpr_dispatch_ptr 0
		.amdhsa_user_sgpr_queue_ptr 0
		.amdhsa_user_sgpr_kernarg_segment_ptr 1
		.amdhsa_user_sgpr_dispatch_id 0
		.amdhsa_user_sgpr_flat_scratch_init 1
		.amdhsa_user_sgpr_kernarg_preload_length 0
		.amdhsa_user_sgpr_kernarg_preload_offset 0
		.amdhsa_user_sgpr_private_segment_size 0
		.amdhsa_uses_dynamic_stack 0
		.amdhsa_system_sgpr_private_segment_wavefront_offset 1
		.amdhsa_system_sgpr_workgroup_id_x 1
		.amdhsa_system_sgpr_workgroup_id_y 0
		.amdhsa_system_sgpr_workgroup_id_z 0
		.amdhsa_system_sgpr_workgroup_info 0
		.amdhsa_system_vgpr_workitem_id 0
		.amdhsa_next_free_vgpr 426
		.amdhsa_next_free_sgpr 22
		.amdhsa_accum_offset 256
		.amdhsa_reserve_vcc 1
		.amdhsa_reserve_flat_scratch 1
		.amdhsa_float_round_mode_32 0
		.amdhsa_float_round_mode_16_64 0
		.amdhsa_float_denorm_mode_32 3
		.amdhsa_float_denorm_mode_16_64 3
		.amdhsa_dx10_clamp 1
		.amdhsa_ieee_mode 1
		.amdhsa_fp16_overflow 0
		.amdhsa_tg_split 0
		.amdhsa_exception_fp_ieee_invalid_op 0
		.amdhsa_exception_fp_denorm_src 0
		.amdhsa_exception_fp_ieee_div_zero 0
		.amdhsa_exception_fp_ieee_overflow 0
		.amdhsa_exception_fp_ieee_underflow 0
		.amdhsa_exception_fp_ieee_inexact 0
		.amdhsa_exception_int_div_zero 0
	.end_amdhsa_kernel
	.section	.text._ZN9rocsolver6v33100L18getri_kernel_smallILi50E19rocblas_complex_numIdEPKPS3_EEvT1_iilPiilS8_bb,"axG",@progbits,_ZN9rocsolver6v33100L18getri_kernel_smallILi50E19rocblas_complex_numIdEPKPS3_EEvT1_iilPiilS8_bb,comdat
.Lfunc_end113:
	.size	_ZN9rocsolver6v33100L18getri_kernel_smallILi50E19rocblas_complex_numIdEPKPS3_EEvT1_iilPiilS8_bb, .Lfunc_end113-_ZN9rocsolver6v33100L18getri_kernel_smallILi50E19rocblas_complex_numIdEPKPS3_EEvT1_iilPiilS8_bb
                                        ; -- End function
	.section	.AMDGPU.csdata,"",@progbits
; Kernel info:
; codeLenInByte = 158132
; NumSgprs: 28
; NumVgprs: 256
; NumAgprs: 170
; TotalNumVgprs: 426
; ScratchSize: 832
; MemoryBound: 0
; FloatMode: 240
; IeeeMode: 1
; LDSByteSize: 1608 bytes/workgroup (compile time only)
; SGPRBlocks: 3
; VGPRBlocks: 53
; NumSGPRsForWavesPerEU: 28
; NumVGPRsForWavesPerEU: 426
; AccumOffset: 256
; Occupancy: 1
; WaveLimiterHint : 1
; COMPUTE_PGM_RSRC2:SCRATCH_EN: 1
; COMPUTE_PGM_RSRC2:USER_SGPR: 8
; COMPUTE_PGM_RSRC2:TRAP_HANDLER: 0
; COMPUTE_PGM_RSRC2:TGID_X_EN: 1
; COMPUTE_PGM_RSRC2:TGID_Y_EN: 0
; COMPUTE_PGM_RSRC2:TGID_Z_EN: 0
; COMPUTE_PGM_RSRC2:TIDIG_COMP_CNT: 0
; COMPUTE_PGM_RSRC3_GFX90A:ACCUM_OFFSET: 63
; COMPUTE_PGM_RSRC3_GFX90A:TG_SPLIT: 0
	.section	.text._ZN9rocsolver6v33100L18getri_kernel_smallILi51E19rocblas_complex_numIdEPKPS3_EEvT1_iilPiilS8_bb,"axG",@progbits,_ZN9rocsolver6v33100L18getri_kernel_smallILi51E19rocblas_complex_numIdEPKPS3_EEvT1_iilPiilS8_bb,comdat
	.globl	_ZN9rocsolver6v33100L18getri_kernel_smallILi51E19rocblas_complex_numIdEPKPS3_EEvT1_iilPiilS8_bb ; -- Begin function _ZN9rocsolver6v33100L18getri_kernel_smallILi51E19rocblas_complex_numIdEPKPS3_EEvT1_iilPiilS8_bb
	.p2align	8
	.type	_ZN9rocsolver6v33100L18getri_kernel_smallILi51E19rocblas_complex_numIdEPKPS3_EEvT1_iilPiilS8_bb,@function
_ZN9rocsolver6v33100L18getri_kernel_smallILi51E19rocblas_complex_numIdEPKPS3_EEvT1_iilPiilS8_bb: ; @_ZN9rocsolver6v33100L18getri_kernel_smallILi51E19rocblas_complex_numIdEPKPS3_EEvT1_iilPiilS8_bb
; %bb.0:
	s_add_u32 flat_scratch_lo, s6, s9
	s_addc_u32 flat_scratch_hi, s7, 0
	s_add_u32 s0, s0, s9
	v_mov_b32_e32 v254, v0
	s_addc_u32 s1, s1, 0
	v_cmp_gt_u32_e32 vcc, 51, v254
	s_and_saveexec_b64 s[6:7], vcc
	s_cbranch_execz .LBB114_218
; %bb.1:
	s_load_dword s18, s[4:5], 0x38
	s_load_dwordx2 s[6:7], s[4:5], 0x0
	s_load_dwordx4 s[12:15], s[4:5], 0x28
	s_waitcnt lgkmcnt(0)
	s_bitcmp1_b32 s18, 8
	s_cselect_b64 s[16:17], -1, 0
	s_ashr_i32 s9, s8, 31
	s_lshl_b64 s[10:11], s[8:9], 3
	s_add_u32 s6, s6, s10
	s_addc_u32 s7, s7, s11
	s_load_dwordx2 s[6:7], s[6:7], 0x0
	s_bfe_u32 s10, s18, 0x10008
	s_cmp_eq_u32 s10, 0
                                        ; implicit-def: $sgpr10_sgpr11
	s_cbranch_scc1 .LBB114_3
; %bb.2:
	s_load_dword s10, s[4:5], 0x20
	s_load_dwordx2 s[20:21], s[4:5], 0x18
	s_mul_i32 s11, s8, s13
	s_mul_hi_u32 s13, s8, s12
	s_add_i32 s13, s13, s11
	s_mul_i32 s19, s9, s12
	s_add_i32 s13, s13, s19
	s_mul_i32 s12, s8, s12
	s_waitcnt lgkmcnt(0)
	s_ashr_i32 s11, s10, 31
	s_lshl_b64 s[12:13], s[12:13], 2
	s_add_u32 s12, s20, s12
	s_addc_u32 s13, s21, s13
	s_lshl_b64 s[10:11], s[10:11], 2
	s_add_u32 s10, s12, s10
	s_addc_u32 s11, s13, s11
.LBB114_3:
	s_load_dwordx2 s[4:5], s[4:5], 0x8
	v_lshlrev_b32_e32 v1, 4, v254
	s_waitcnt lgkmcnt(0)
	s_ashr_i32 s13, s4, 31
	s_mov_b32 s12, s4
	s_lshl_b64 s[12:13], s[12:13], 4
	s_add_u32 s6, s6, s12
	s_addc_u32 s7, s7, s13
	v_mov_b32_e32 v0, s7
	v_add_co_u32_e32 v6, vcc, s6, v1
	s_ashr_i32 s13, s5, 31
	s_mov_b32 s12, s5
	v_addc_co_u32_e32 v7, vcc, 0, v0, vcc
	s_lshl_b64 s[12:13], s[12:13], 4
	v_accvgpr_write_b32 a0, v6
	s_add_i32 s4, s5, s5
	v_mov_b32_e32 v0, s13
	v_add_co_u32_e32 v10, vcc, s12, v6
	v_accvgpr_write_b32 a1, v7
	v_add_u32_e32 v6, s4, v254
	v_addc_co_u32_e32 v11, vcc, v7, v0, vcc
	v_ashrrev_i32_e32 v7, 31, v6
	v_lshlrev_b64 v[8:9], 4, v[6:7]
	v_mov_b32_e32 v0, s7
	v_add_co_u32_e32 v8, vcc, s6, v8
	v_add_u32_e32 v6, s5, v6
	v_addc_co_u32_e32 v9, vcc, v0, v9, vcc
	v_accvgpr_write_b32 a4, v8
	v_ashrrev_i32_e32 v7, 31, v6
	global_load_dwordx4 v[2:5], v1, s[6:7]
	v_accvgpr_write_b32 a5, v9
	global_load_dwordx4 v[14:17], v[8:9], off
	v_lshlrev_b64 v[8:9], 4, v[6:7]
	v_add_u32_e32 v6, s5, v6
	v_add_co_u32_e32 v18, vcc, s6, v8
	v_ashrrev_i32_e32 v7, 31, v6
	v_addc_co_u32_e32 v19, vcc, v0, v9, vcc
	v_add_u32_e32 v8, s5, v6
	v_lshlrev_b64 v[6:7], 4, v[6:7]
	v_accvgpr_write_b32 a2, v10
	v_add_co_u32_e32 v22, vcc, s6, v6
	v_accvgpr_write_b32 a3, v11
	global_load_dwordx4 v[10:13], v[10:11], off
	v_ashrrev_i32_e32 v9, 31, v8
	v_addc_co_u32_e32 v23, vcc, v0, v7, vcc
	v_accvgpr_write_b32 a18, v22
	v_add_u32_e32 v26, s5, v8
	v_lshlrev_b64 v[6:7], 4, v[8:9]
	v_accvgpr_write_b32 a19, v23
	global_load_dwordx4 v[22:25], v[22:23], off
	v_mov_b32_e32 v28, s7
	v_ashrrev_i32_e32 v27, 31, v26
	v_add_co_u32_e32 v30, vcc, s6, v6
	v_addc_co_u32_e32 v31, vcc, v28, v7, vcc
	v_lshlrev_b64 v[6:7], 4, v[26:27]
	v_mov_b32_e32 v29, s7
	v_add_co_u32_e32 v32, vcc, s6, v6
	v_add_u32_e32 v8, s5, v26
	v_addc_co_u32_e32 v33, vcc, v29, v7, vcc
	global_load_dwordx4 v[26:29], v[30:31], off
	v_accvgpr_write_b32 a6, v18
	v_accvgpr_write_b32 a7, v19
	global_load_dwordx4 v[18:21], v[18:19], off
	v_accvgpr_write_b32 a10, v30
	v_accvgpr_write_b32 a12, v32
	v_ashrrev_i32_e32 v9, 31, v8
	v_accvgpr_write_b32 a11, v31
	v_accvgpr_write_b32 a13, v33
	global_load_dwordx4 v[30:33], v[32:33], off
	v_add_u32_e32 v42, s5, v8
	v_lshlrev_b64 v[6:7], 4, v[8:9]
	v_mov_b32_e32 v34, s7
	v_ashrrev_i32_e32 v43, 31, v42
	v_add_co_u32_e32 v8, vcc, s6, v6
	v_addc_co_u32_e32 v9, vcc, v34, v7, vcc
	global_load_dwordx4 v[34:37], v[8:9], off
	v_lshlrev_b64 v[6:7], 4, v[42:43]
	v_add_co_u32_e32 v6, vcc, s6, v6
	v_addc_co_u32_e32 v7, vcc, v0, v7, vcc
	v_accvgpr_write_b32 a15, v7
	v_accvgpr_write_b32 a14, v6
	global_load_dwordx4 v[38:41], v[6:7], off
	v_add_u32_e32 v6, s5, v42
	v_accvgpr_write_b32 a8, v8
	v_ashrrev_i32_e32 v7, 31, v6
	v_accvgpr_write_b32 a9, v9
	v_lshlrev_b64 v[8:9], 4, v[6:7]
	v_add_co_u32_e32 v8, vcc, s6, v8
	v_add_u32_e32 v46, s5, v6
	v_addc_co_u32_e32 v9, vcc, v0, v9, vcc
	v_ashrrev_i32_e32 v47, 31, v46
	v_lshlrev_b64 v[6:7], 4, v[46:47]
	global_load_dwordx4 v[42:45], v[8:9], off
	v_add_co_u32_e32 v6, vcc, s6, v6
	v_addc_co_u32_e32 v7, vcc, v0, v7, vcc
	v_accvgpr_write_b32 a17, v9
	v_accvgpr_write_b32 a21, v7
	;; [unrolled: 1-line block ×4, first 2 shown]
	global_load_dwordx4 v[6:9], v[6:7], off
	s_waitcnt vmcnt(10)
	buffer_store_dword v5, off, s[0:3], 0 offset:28
	buffer_store_dword v4, off, s[0:3], 0 offset:24
	;; [unrolled: 1-line block ×4, first 2 shown]
	s_waitcnt vmcnt(12)
	buffer_store_dword v13, off, s[0:3], 0 offset:44
	buffer_store_dword v12, off, s[0:3], 0 offset:40
	;; [unrolled: 1-line block ×8, first 2 shown]
	s_waitcnt vmcnt(17)
	buffer_store_dword v21, off, s[0:3], 0 offset:76
	buffer_store_dword v20, off, s[0:3], 0 offset:72
	;; [unrolled: 1-line block ×4, first 2 shown]
	v_add_u32_e32 v2, s5, v46
	v_ashrrev_i32_e32 v3, 31, v2
	v_lshlrev_b64 v[4:5], 4, v[2:3]
	v_add_co_u32_e32 v10, vcc, s6, v4
	v_addc_co_u32_e32 v11, vcc, v0, v5, vcc
	v_add_u32_e32 v2, s5, v2
	buffer_store_dword v25, off, s[0:3], 0 offset:92
	buffer_store_dword v24, off, s[0:3], 0 offset:88
	;; [unrolled: 1-line block ×8, first 2 shown]
	v_ashrrev_i32_e32 v3, 31, v2
	v_accvgpr_write_b32 a23, v11
	v_lshlrev_b64 v[4:5], 4, v[2:3]
	v_accvgpr_write_b32 a22, v10
	global_load_dwordx4 v[10:13], v[10:11], off
	v_add_co_u32_e32 v4, vcc, s6, v4
	v_addc_co_u32_e32 v5, vcc, v0, v5, vcc
	global_load_dwordx4 v[14:17], v[4:5], off
	v_add_u32_e32 v2, s5, v2
	v_accvgpr_write_b32 a25, v5
	v_ashrrev_i32_e32 v3, 31, v2
	v_accvgpr_write_b32 a24, v4
	v_lshlrev_b64 v[4:5], 4, v[2:3]
	v_add_co_u32_e32 v18, vcc, s6, v4
	v_addc_co_u32_e32 v19, vcc, v0, v5, vcc
	v_add_u32_e32 v2, s5, v2
	s_waitcnt vmcnt(30)
	buffer_store_dword v33, off, s[0:3], 0 offset:124
	buffer_store_dword v32, off, s[0:3], 0 offset:120
	buffer_store_dword v31, off, s[0:3], 0 offset:116
	buffer_store_dword v30, off, s[0:3], 0 offset:112
	s_waitcnt vmcnt(33)
	buffer_store_dword v37, off, s[0:3], 0 offset:140
	buffer_store_dword v36, off, s[0:3], 0 offset:136
	buffer_store_dword v35, off, s[0:3], 0 offset:132
	buffer_store_dword v34, off, s[0:3], 0 offset:128
	;; [unrolled: 5-line block ×4, first 2 shown]
	s_waitcnt vmcnt(42)
	buffer_store_dword v6, off, s[0:3], 0 offset:176
	v_ashrrev_i32_e32 v3, 31, v2
	v_accvgpr_write_b32 a27, v19
	v_lshlrev_b64 v[4:5], 4, v[2:3]
	v_accvgpr_write_b32 a26, v18
	global_load_dwordx4 v[18:21], v[18:19], off
	v_add_co_u32_e32 v4, vcc, s6, v4
	v_addc_co_u32_e32 v5, vcc, v0, v5, vcc
	v_add_u32_e32 v2, s5, v2
	v_accvgpr_write_b32 a29, v5
	v_ashrrev_i32_e32 v3, 31, v2
	v_accvgpr_write_b32 a28, v4
	global_load_dwordx4 v[22:25], v[4:5], off
	v_lshlrev_b64 v[4:5], 4, v[2:3]
	v_add_co_u32_e32 v26, vcc, s6, v4
	v_addc_co_u32_e32 v27, vcc, v0, v5, vcc
	v_add_u32_e32 v2, s5, v2
	v_accvgpr_write_b32 a31, v27
	v_ashrrev_i32_e32 v3, 31, v2
	v_accvgpr_write_b32 a30, v26
	global_load_dwordx4 v[26:29], v[26:27], off
	v_lshlrev_b64 v[4:5], 4, v[2:3]
	v_add_co_u32_e32 v4, vcc, s6, v4
	v_addc_co_u32_e32 v5, vcc, v0, v5, vcc
	global_load_dwordx4 v[30:33], v[4:5], off
	v_add_u32_e32 v2, s5, v2
	v_accvgpr_write_b32 a33, v5
	v_ashrrev_i32_e32 v3, 31, v2
	v_accvgpr_write_b32 a32, v4
	v_lshlrev_b64 v[4:5], 4, v[2:3]
	v_add_co_u32_e32 v34, vcc, s6, v4
	v_addc_co_u32_e32 v35, vcc, v0, v5, vcc
	v_add_u32_e32 v2, s5, v2
	v_accvgpr_write_b32 a34, v34
	v_ashrrev_i32_e32 v3, 31, v2
	v_accvgpr_write_b32 a35, v35
	global_load_dwordx4 v[34:37], v[34:35], off
	v_lshlrev_b64 v[4:5], 4, v[2:3]
	v_add_co_u32_e32 v4, vcc, s6, v4
	v_addc_co_u32_e32 v5, vcc, v0, v5, vcc
	global_load_dwordx4 v[38:41], v[4:5], off
	v_add_u32_e32 v2, s5, v2
	v_accvgpr_write_b32 a37, v5
	v_ashrrev_i32_e32 v3, 31, v2
	v_accvgpr_write_b32 a36, v4
	;; [unrolled: 16-line block ×7, first 2 shown]
	v_lshlrev_b64 v[4:5], 4, v[2:3]
	v_add_co_u32_e32 v4, vcc, s6, v4
	v_add_u32_e32 v86, s5, v2
	v_addc_co_u32_e32 v5, vcc, v0, v5, vcc
	v_ashrrev_i32_e32 v87, 31, v86
	v_lshlrev_b64 v[2:3], 4, v[86:87]
	global_load_dwordx4 v[82:85], v[4:5], off
	v_add_co_u32_e32 v2, vcc, s6, v2
	v_addc_co_u32_e32 v3, vcc, v0, v3, vcc
	v_accvgpr_write_b32 a59, v5
	v_accvgpr_write_b32 a61, v3
	;; [unrolled: 1-line block ×4, first 2 shown]
	global_load_dwordx4 v[2:5], v[2:3], off
	v_add_u32_e32 v6, s5, v86
	buffer_store_dword v7, off, s[0:3], 0 offset:180
	buffer_store_dword v8, off, s[0:3], 0 offset:184
	buffer_store_dword v9, off, s[0:3], 0 offset:188
	s_waitcnt vmcnt(39)
	buffer_store_dword v10, off, s[0:3], 0 offset:192
	buffer_store_dword v11, off, s[0:3], 0 offset:196
	buffer_store_dword v12, off, s[0:3], 0 offset:200
	buffer_store_dword v13, off, s[0:3], 0 offset:204
	s_waitcnt vmcnt(42)
	buffer_store_dword v17, off, s[0:3], 0 offset:220
	;; [unrolled: 5-line block ×15, first 2 shown]
	buffer_store_dword v68, off, s[0:3], 0 offset:424
	buffer_store_dword v67, off, s[0:3], 0 offset:420
	;; [unrolled: 1-line block ×11, first 2 shown]
	s_waitcnt vmcnt(62)
	buffer_store_dword v81, off, s[0:3], 0 offset:476
	buffer_store_dword v80, off, s[0:3], 0 offset:472
	buffer_store_dword v79, off, s[0:3], 0 offset:468
	buffer_store_dword v78, off, s[0:3], 0 offset:464
	buffer_store_dword v85, off, s[0:3], 0 offset:492
	buffer_store_dword v84, off, s[0:3], 0 offset:488
	buffer_store_dword v83, off, s[0:3], 0 offset:484
	buffer_store_dword v82, off, s[0:3], 0 offset:480
	buffer_store_dword v5, off, s[0:3], 0 offset:508
	v_ashrrev_i32_e32 v7, 31, v6
	v_lshlrev_b64 v[8:9], 4, v[6:7]
	v_add_u32_e32 v14, s5, v6
	v_add_co_u32_e32 v8, vcc, s6, v8
	v_ashrrev_i32_e32 v15, 31, v14
	v_addc_co_u32_e32 v9, vcc, v0, v9, vcc
	v_lshlrev_b64 v[6:7], 4, v[14:15]
	v_add_co_u32_e32 v10, vcc, s6, v6
	v_accvgpr_write_b32 a65, v9
	v_addc_co_u32_e32 v11, vcc, v0, v7, vcc
	v_accvgpr_write_b32 a64, v8
	global_load_dwordx4 v[6:9], v[8:9], off
	v_add_u32_e32 v14, s5, v14
	v_accvgpr_write_b32 a67, v11
	v_ashrrev_i32_e32 v15, 31, v14
	v_accvgpr_write_b32 a66, v10
	global_load_dwordx4 v[10:13], v[10:11], off
	v_lshlrev_b64 v[16:17], 4, v[14:15]
	v_add_u32_e32 v22, s5, v14
	v_add_co_u32_e32 v16, vcc, s6, v16
	v_ashrrev_i32_e32 v23, 31, v22
	v_addc_co_u32_e32 v17, vcc, v0, v17, vcc
	v_lshlrev_b64 v[14:15], 4, v[22:23]
	v_add_co_u32_e32 v18, vcc, s6, v14
	v_accvgpr_write_b32 a69, v17
	v_addc_co_u32_e32 v19, vcc, v0, v15, vcc
	v_accvgpr_write_b32 a68, v16
	global_load_dwordx4 v[14:17], v[16:17], off
	v_add_u32_e32 v22, s5, v22
	v_accvgpr_write_b32 a71, v19
	v_ashrrev_i32_e32 v23, 31, v22
	v_accvgpr_write_b32 a70, v18
	global_load_dwordx4 v[18:21], v[18:19], off
	;; [unrolled: 16-line block ×9, first 2 shown]
	v_lshlrev_b64 v[80:81], 4, v[78:79]
	v_add_co_u32_e32 v80, vcc, s6, v80
	v_addc_co_u32_e32 v81, vcc, v0, v81, vcc
	v_add_u32_e32 v78, s5, v78
	v_ashrrev_i32_e32 v79, 31, v78
	v_accvgpr_write_b32 a101, v81
	v_lshlrev_b64 v[82:83], 4, v[78:79]
	v_accvgpr_write_b32 a100, v80
	global_load_dwordx4 v[78:81], v[80:81], off
	v_add_co_u32_e32 v82, vcc, s6, v82
	v_addc_co_u32_e32 v83, vcc, v0, v83, vcc
	v_accvgpr_write_b32 a62, v82
	v_accvgpr_write_b32 a63, v83
	global_load_dwordx4 v[82:85], v[82:83], off
	v_mov_b32_e32 v0, 16
	buffer_store_dword v4, off, s[0:3], 0 offset:504
	buffer_store_dword v3, off, s[0:3], 0 offset:500
	buffer_store_dword v2, off, s[0:3], 0 offset:496
	s_waitcnt vmcnt(22)
	buffer_store_dword v9, off, s[0:3], 0 offset:524
	buffer_store_dword v8, off, s[0:3], 0 offset:520
	buffer_store_dword v7, off, s[0:3], 0 offset:516
	buffer_store_dword v6, off, s[0:3], 0 offset:512
	s_waitcnt vmcnt(25)
	buffer_store_dword v13, off, s[0:3], 0 offset:540
	;; [unrolled: 5-line block ×15, first 2 shown]
	buffer_store_dword v64, off, s[0:3], 0 offset:744
	buffer_store_dword v63, off, s[0:3], 0 offset:740
	;; [unrolled: 1-line block ×11, first 2 shown]
	s_waitcnt vmcnt(62)
	buffer_store_dword v77, off, s[0:3], 0 offset:796
	buffer_store_dword v76, off, s[0:3], 0 offset:792
	;; [unrolled: 1-line block ×12, first 2 shown]
	v_add_u32_e32 v2, 16, v0
	v_accvgpr_write_b32 a151, v2
	v_add_u32_e32 v2, 32, v0
	v_accvgpr_write_b32 a150, v2
	;; [unrolled: 2-line block ×48, first 2 shown]
	v_add_u32_e32 v2, 0x310, v0
	v_add_u32_e32 v0, 0x320, v0
	v_accvgpr_write_b32 a103, v2
	v_accvgpr_write_b32 a102, v0
	s_bitcmp0_b32 s18, 0
	s_mov_b64 s[6:7], -1
	s_cbranch_scc1 .LBB114_216
; %bb.4:
	v_cmp_eq_u32_e64 s[4:5], 0, v254
	s_and_saveexec_b64 s[6:7], s[4:5]
	s_cbranch_execz .LBB114_6
; %bb.5:
	v_mov_b32_e32 v0, 0
	ds_write_b32 v0, v0 offset:1632
.LBB114_6:
	s_or_b64 exec, exec, s[6:7]
	v_mov_b32_e32 v0, 16
	v_lshl_add_u32 v12, v254, 4, v0
	s_waitcnt lgkmcnt(0)
	; wave barrier
	s_waitcnt lgkmcnt(0)
	buffer_load_dword v2, v12, s[0:3], 0 offen
	buffer_load_dword v3, v12, s[0:3], 0 offen offset:4
	buffer_load_dword v4, v12, s[0:3], 0 offen offset:8
	;; [unrolled: 1-line block ×3, first 2 shown]
	s_waitcnt vmcnt(2)
	v_cmp_eq_f64_e32 vcc, 0, v[2:3]
	s_waitcnt vmcnt(0)
	v_cmp_eq_f64_e64 s[6:7], 0, v[4:5]
	s_and_b64 s[6:7], vcc, s[6:7]
	s_and_saveexec_b64 s[12:13], s[6:7]
	s_cbranch_execz .LBB114_10
; %bb.7:
	v_mov_b32_e32 v2, 0
	ds_read_b32 v0, v2 offset:1632
	v_add_u32_e32 v3, 1, v254
	s_waitcnt lgkmcnt(0)
	v_readfirstlane_b32 s6, v0
	s_cmp_eq_u32 s6, 0
	s_cselect_b64 s[18:19], -1, 0
	v_cmp_gt_i32_e32 vcc, s6, v3
	s_or_b64 s[18:19], s[18:19], vcc
	s_and_b64 exec, exec, s[18:19]
	s_cbranch_execz .LBB114_10
; %bb.8:
	s_mov_b64 s[18:19], 0
	v_mov_b32_e32 v4, s6
.LBB114_9:                              ; =>This Inner Loop Header: Depth=1
	ds_cmpst_rtn_b32 v4, v2, v4, v3 offset:1632
	s_waitcnt lgkmcnt(0)
	v_cmp_ne_u32_e32 vcc, 0, v4
	v_cmp_le_i32_e64 s[6:7], v4, v3
	s_and_b64 s[6:7], vcc, s[6:7]
	s_and_b64 s[6:7], exec, s[6:7]
	s_or_b64 s[18:19], s[6:7], s[18:19]
	s_andn2_b64 exec, exec, s[18:19]
	s_cbranch_execnz .LBB114_9
.LBB114_10:
	s_or_b64 exec, exec, s[12:13]
	v_mov_b32_e32 v3, 0
	s_waitcnt lgkmcnt(0)
	; wave barrier
	ds_read_b32 v2, v3 offset:1632
	s_and_saveexec_b64 s[6:7], s[4:5]
	s_cbranch_execz .LBB114_12
; %bb.11:
	s_lshl_b64 s[12:13], s[8:9], 2
	s_add_u32 s12, s14, s12
	s_addc_u32 s13, s15, s13
	s_waitcnt lgkmcnt(0)
	global_store_dword v3, v2, s[12:13]
.LBB114_12:
	s_or_b64 exec, exec, s[6:7]
	s_waitcnt lgkmcnt(0)
	v_cmp_ne_u32_e32 vcc, 0, v2
	s_mov_b64 s[6:7], 0
	s_cbranch_vccnz .LBB114_216
; %bb.13:
	buffer_load_dword v7, v12, s[0:3], 0 offen offset:4
	buffer_load_dword v6, v12, s[0:3], 0 offen
	buffer_load_dword v9, v12, s[0:3], 0 offen offset:12
	buffer_load_dword v8, v12, s[0:3], 0 offen offset:8
                                        ; implicit-def: $vgpr10_vgpr11
	s_waitcnt vmcnt(3)
	v_xor_b32_e32 v0, 0x80000000, v7
	s_waitcnt vmcnt(2)
	v_cmp_gt_f64_e32 vcc, 0, v[6:7]
	s_waitcnt vmcnt(1)
	v_xor_b32_e32 v4, 0x80000000, v9
	v_cndmask_b32_e32 v3, v7, v0, vcc
	s_waitcnt vmcnt(0)
	v_cmp_gt_f64_e32 vcc, 0, v[8:9]
	v_mov_b32_e32 v2, v6
	v_cndmask_b32_e32 v5, v9, v4, vcc
	v_mov_b32_e32 v4, v8
	v_cmp_ngt_f64_e32 vcc, v[2:3], v[4:5]
                                        ; implicit-def: $vgpr4_vgpr5
	s_and_saveexec_b64 s[6:7], vcc
	s_xor_b64 s[6:7], exec, s[6:7]
	s_cbranch_execz .LBB114_15
; %bb.14:
	v_div_scale_f64 v[2:3], s[12:13], v[8:9], v[8:9], v[6:7]
	v_rcp_f64_e32 v[4:5], v[2:3]
	v_div_scale_f64 v[10:11], vcc, v[6:7], v[8:9], v[6:7]
	v_fma_f64 v[14:15], -v[2:3], v[4:5], 1.0
	v_fmac_f64_e32 v[4:5], v[4:5], v[14:15]
	v_fma_f64 v[14:15], -v[2:3], v[4:5], 1.0
	v_fmac_f64_e32 v[4:5], v[4:5], v[14:15]
	v_mul_f64 v[14:15], v[10:11], v[4:5]
	v_fma_f64 v[2:3], -v[2:3], v[14:15], v[10:11]
	v_div_fmas_f64 v[2:3], v[2:3], v[4:5], v[14:15]
	v_div_fixup_f64 v[2:3], v[2:3], v[8:9], v[6:7]
	v_fmac_f64_e32 v[8:9], v[6:7], v[2:3]
	v_div_scale_f64 v[4:5], s[12:13], v[8:9], v[8:9], 1.0
	v_rcp_f64_e32 v[6:7], v[4:5]
	v_fma_f64 v[10:11], -v[4:5], v[6:7], 1.0
	v_fmac_f64_e32 v[6:7], v[6:7], v[10:11]
	v_fma_f64 v[10:11], -v[4:5], v[6:7], 1.0
	v_fmac_f64_e32 v[6:7], v[6:7], v[10:11]
	v_div_scale_f64 v[10:11], vcc, 1.0, v[8:9], 1.0
	v_mul_f64 v[14:15], v[10:11], v[6:7]
	v_fma_f64 v[4:5], -v[4:5], v[14:15], v[10:11]
	s_nop 1
	v_div_fmas_f64 v[4:5], v[4:5], v[6:7], v[14:15]
	v_div_fixup_f64 v[4:5], v[4:5], v[8:9], 1.0
	v_mul_f64 v[10:11], v[2:3], v[4:5]
	v_xor_b32_e32 v5, 0x80000000, v5
	v_xor_b32_e32 v3, 0x80000000, v11
	v_mov_b32_e32 v2, v10
                                        ; implicit-def: $vgpr6_vgpr7
                                        ; implicit-def: $vgpr8_vgpr9
.LBB114_15:
	s_andn2_saveexec_b64 s[6:7], s[6:7]
	s_cbranch_execz .LBB114_17
; %bb.16:
	v_div_scale_f64 v[2:3], s[12:13], v[6:7], v[6:7], v[8:9]
	v_rcp_f64_e32 v[4:5], v[2:3]
	v_div_scale_f64 v[10:11], vcc, v[8:9], v[6:7], v[8:9]
	v_fma_f64 v[14:15], -v[2:3], v[4:5], 1.0
	v_fmac_f64_e32 v[4:5], v[4:5], v[14:15]
	v_fma_f64 v[14:15], -v[2:3], v[4:5], 1.0
	v_fmac_f64_e32 v[4:5], v[4:5], v[14:15]
	v_mul_f64 v[14:15], v[10:11], v[4:5]
	v_fma_f64 v[2:3], -v[2:3], v[14:15], v[10:11]
	v_div_fmas_f64 v[2:3], v[2:3], v[4:5], v[14:15]
	v_div_fixup_f64 v[4:5], v[2:3], v[6:7], v[8:9]
	v_fmac_f64_e32 v[6:7], v[8:9], v[4:5]
	v_div_scale_f64 v[2:3], s[12:13], v[6:7], v[6:7], 1.0
	v_rcp_f64_e32 v[8:9], v[2:3]
	v_fma_f64 v[10:11], -v[2:3], v[8:9], 1.0
	v_fmac_f64_e32 v[8:9], v[8:9], v[10:11]
	v_fma_f64 v[10:11], -v[2:3], v[8:9], 1.0
	v_fmac_f64_e32 v[8:9], v[8:9], v[10:11]
	v_div_scale_f64 v[10:11], vcc, 1.0, v[6:7], 1.0
	v_mul_f64 v[14:15], v[10:11], v[8:9]
	v_fma_f64 v[2:3], -v[2:3], v[14:15], v[10:11]
	s_nop 1
	v_div_fmas_f64 v[2:3], v[2:3], v[8:9], v[14:15]
	v_div_fixup_f64 v[10:11], v[2:3], v[6:7], 1.0
	v_xor_b32_e32 v3, 0x80000000, v11
	v_mov_b32_e32 v2, v10
	v_mul_f64 v[4:5], v[4:5], -v[10:11]
.LBB114_17:
	s_or_b64 exec, exec, s[6:7]
	buffer_store_dword v11, v12, s[0:3], 0 offen offset:4
	buffer_store_dword v10, v12, s[0:3], 0 offen
	buffer_store_dword v5, v12, s[0:3], 0 offen offset:12
	buffer_store_dword v4, v12, s[0:3], 0 offen offset:8
	v_accvgpr_read_b32 v0, a151
	buffer_load_dword v11, v0, s[0:3], 0 offen offset:12
	buffer_load_dword v10, v0, s[0:3], 0 offen offset:8
	;; [unrolled: 1-line block ×3, first 2 shown]
	buffer_load_dword v8, v0, s[0:3], 0 offen
	v_xor_b32_e32 v5, 0x80000000, v5
	v_add_u32_e32 v6, 0x330, v1
	ds_write_b128 v1, v[2:5]
	s_waitcnt vmcnt(0)
	ds_write_b128 v1, v[8:11] offset:816
	s_waitcnt lgkmcnt(0)
	; wave barrier
	s_waitcnt lgkmcnt(0)
	s_and_saveexec_b64 s[6:7], s[4:5]
	s_cbranch_execz .LBB114_19
; %bb.18:
	buffer_load_dword v14, v12, s[0:3], 0 offen offset:8
	buffer_load_dword v15, v12, s[0:3], 0 offen offset:12
	buffer_load_dword v16, v12, s[0:3], 0 offen
	buffer_load_dword v17, v12, s[0:3], 0 offen offset:4
	ds_read_b128 v[2:5], v6
	v_mov_b32_e32 v0, 0
	ds_read_b128 v[8:11], v0 offset:16
	s_waitcnt vmcnt(2) lgkmcnt(1)
	v_mul_f64 v[18:19], v[4:5], v[14:15]
	v_mul_f64 v[14:15], v[2:3], v[14:15]
	s_waitcnt vmcnt(0)
	v_fmac_f64_e32 v[14:15], v[4:5], v[16:17]
	v_fma_f64 v[2:3], v[2:3], v[16:17], -v[18:19]
	v_add_f64 v[4:5], v[14:15], 0
	v_add_f64 v[2:3], v[2:3], 0
	s_waitcnt lgkmcnt(0)
	v_mul_f64 v[14:15], v[4:5], v[10:11]
	v_mul_f64 v[10:11], v[2:3], v[10:11]
	v_fma_f64 v[2:3], v[2:3], v[8:9], -v[14:15]
	v_fmac_f64_e32 v[10:11], v[4:5], v[8:9]
	buffer_store_dword v2, off, s[0:3], 0 offset:32
	buffer_store_dword v3, off, s[0:3], 0 offset:36
	;; [unrolled: 1-line block ×4, first 2 shown]
.LBB114_19:
	s_or_b64 exec, exec, s[6:7]
	v_accvgpr_read_b32 v0, a150
	s_waitcnt lgkmcnt(0)
	; wave barrier
	buffer_load_dword v2, v0, s[0:3], 0 offen
	buffer_load_dword v3, v0, s[0:3], 0 offen offset:4
	buffer_load_dword v4, v0, s[0:3], 0 offen offset:8
	;; [unrolled: 1-line block ×3, first 2 shown]
	v_cmp_gt_u32_e32 vcc, 2, v254
	s_waitcnt vmcnt(0)
	ds_write_b128 v6, v[2:5]
	s_waitcnt lgkmcnt(0)
	; wave barrier
	s_waitcnt lgkmcnt(0)
	s_and_saveexec_b64 s[6:7], vcc
	s_cbranch_execz .LBB114_23
; %bb.20:
	buffer_load_dword v8, v12, s[0:3], 0 offen offset:8
	buffer_load_dword v9, v12, s[0:3], 0 offen offset:12
	buffer_load_dword v10, v12, s[0:3], 0 offen
	buffer_load_dword v11, v12, s[0:3], 0 offen offset:4
	ds_read_b128 v[2:5], v6
	s_waitcnt vmcnt(2) lgkmcnt(0)
	v_mul_f64 v[12:13], v[4:5], v[8:9]
	v_mul_f64 v[8:9], v[2:3], v[8:9]
	s_waitcnt vmcnt(0)
	v_fma_f64 v[2:3], v[2:3], v[10:11], -v[12:13]
	v_fmac_f64_e32 v[8:9], v[4:5], v[10:11]
	v_add_f64 v[4:5], v[2:3], 0
	v_add_f64 v[2:3], v[8:9], 0
	s_and_saveexec_b64 s[12:13], s[4:5]
	s_cbranch_execz .LBB114_22
; %bb.21:
	buffer_load_dword v12, off, s[0:3], 0 offset:40
	buffer_load_dword v13, off, s[0:3], 0 offset:44
	;; [unrolled: 1-line block ×4, first 2 shown]
	v_mov_b32_e32 v0, 0
	ds_read_b128 v[8:11], v0 offset:832
	s_waitcnt vmcnt(2) lgkmcnt(0)
	v_mul_f64 v[16:17], v[8:9], v[12:13]
	v_mul_f64 v[12:13], v[10:11], v[12:13]
	s_waitcnt vmcnt(0)
	v_fmac_f64_e32 v[16:17], v[10:11], v[14:15]
	v_fma_f64 v[8:9], v[8:9], v[14:15], -v[12:13]
	v_add_f64 v[2:3], v[2:3], v[16:17]
	v_add_f64 v[4:5], v[4:5], v[8:9]
.LBB114_22:
	s_or_b64 exec, exec, s[12:13]
	v_mov_b32_e32 v0, 0
	ds_read_b128 v[8:11], v0 offset:32
	s_waitcnt lgkmcnt(0)
	v_mul_f64 v[12:13], v[2:3], v[10:11]
	v_mul_f64 v[10:11], v[4:5], v[10:11]
	v_fma_f64 v[4:5], v[4:5], v[8:9], -v[12:13]
	v_fmac_f64_e32 v[10:11], v[2:3], v[8:9]
	buffer_store_dword v5, off, s[0:3], 0 offset:52
	buffer_store_dword v4, off, s[0:3], 0 offset:48
	;; [unrolled: 1-line block ×4, first 2 shown]
.LBB114_23:
	s_or_b64 exec, exec, s[6:7]
	v_accvgpr_read_b32 v0, a149
	s_waitcnt lgkmcnt(0)
	; wave barrier
	buffer_load_dword v2, v0, s[0:3], 0 offen
	buffer_load_dword v3, v0, s[0:3], 0 offen offset:4
	buffer_load_dword v4, v0, s[0:3], 0 offen offset:8
	;; [unrolled: 1-line block ×3, first 2 shown]
	v_cmp_gt_u32_e32 vcc, 3, v254
	v_add_u32_e32 v7, -1, v254
	s_waitcnt vmcnt(0)
	ds_write_b128 v6, v[2:5]
	s_waitcnt lgkmcnt(0)
	; wave barrier
	s_waitcnt lgkmcnt(0)
	s_and_saveexec_b64 s[4:5], vcc
	s_cbranch_execz .LBB114_27
; %bb.24:
	v_pk_mov_b32 v[2:3], 0, 0
	v_add_u32_e32 v8, -1, v254
	v_add_u32_e32 v9, 0x330, v1
	v_add_u32_e32 v10, 16, v1
	s_mov_b64 s[6:7], 0
	v_pk_mov_b32 v[4:5], v[2:3], v[2:3] op_sel:[0,1]
.LBB114_25:                             ; =>This Inner Loop Header: Depth=1
	buffer_load_dword v16, v10, s[0:3], 0 offen offset:8
	buffer_load_dword v17, v10, s[0:3], 0 offen offset:12
	buffer_load_dword v18, v10, s[0:3], 0 offen
	buffer_load_dword v19, v10, s[0:3], 0 offen offset:4
	ds_read_b128 v[12:15], v9
	v_add_u32_e32 v8, 1, v8
	v_cmp_lt_u32_e32 vcc, 1, v8
	v_add_u32_e32 v9, 16, v9
	v_add_u32_e32 v10, 16, v10
	s_or_b64 s[6:7], vcc, s[6:7]
	s_waitcnt vmcnt(2) lgkmcnt(0)
	v_mul_f64 v[20:21], v[14:15], v[16:17]
	v_mul_f64 v[16:17], v[12:13], v[16:17]
	s_waitcnt vmcnt(0)
	v_fma_f64 v[12:13], v[12:13], v[18:19], -v[20:21]
	v_fmac_f64_e32 v[16:17], v[14:15], v[18:19]
	v_add_f64 v[4:5], v[4:5], v[12:13]
	v_add_f64 v[2:3], v[2:3], v[16:17]
	s_andn2_b64 exec, exec, s[6:7]
	s_cbranch_execnz .LBB114_25
; %bb.26:
	s_or_b64 exec, exec, s[6:7]
	v_mov_b32_e32 v0, 0
	ds_read_b128 v[8:11], v0 offset:48
	s_waitcnt lgkmcnt(0)
	v_mul_f64 v[12:13], v[2:3], v[10:11]
	v_mul_f64 v[10:11], v[4:5], v[10:11]
	v_fma_f64 v[4:5], v[4:5], v[8:9], -v[12:13]
	v_fmac_f64_e32 v[10:11], v[2:3], v[8:9]
	buffer_store_dword v5, off, s[0:3], 0 offset:68
	buffer_store_dword v4, off, s[0:3], 0 offset:64
	buffer_store_dword v11, off, s[0:3], 0 offset:76
	buffer_store_dword v10, off, s[0:3], 0 offset:72
.LBB114_27:
	s_or_b64 exec, exec, s[4:5]
	v_accvgpr_read_b32 v0, a148
	s_waitcnt lgkmcnt(0)
	; wave barrier
	buffer_load_dword v2, v0, s[0:3], 0 offen
	buffer_load_dword v3, v0, s[0:3], 0 offen offset:4
	buffer_load_dword v4, v0, s[0:3], 0 offen offset:8
	buffer_load_dword v5, v0, s[0:3], 0 offen offset:12
	v_cmp_gt_u32_e32 vcc, 4, v254
	s_waitcnt vmcnt(0)
	ds_write_b128 v6, v[2:5]
	s_waitcnt lgkmcnt(0)
	; wave barrier
	s_waitcnt lgkmcnt(0)
	s_and_saveexec_b64 s[4:5], vcc
	s_cbranch_execz .LBB114_31
; %bb.28:
	v_pk_mov_b32 v[2:3], 0, 0
	v_add_u32_e32 v8, -1, v254
	v_add_u32_e32 v9, 0x330, v1
	v_add_u32_e32 v10, 16, v1
	s_mov_b64 s[6:7], 0
	v_pk_mov_b32 v[4:5], v[2:3], v[2:3] op_sel:[0,1]
.LBB114_29:                             ; =>This Inner Loop Header: Depth=1
	buffer_load_dword v16, v10, s[0:3], 0 offen offset:8
	buffer_load_dword v17, v10, s[0:3], 0 offen offset:12
	buffer_load_dword v18, v10, s[0:3], 0 offen
	buffer_load_dword v19, v10, s[0:3], 0 offen offset:4
	ds_read_b128 v[12:15], v9
	v_add_u32_e32 v8, 1, v8
	v_cmp_lt_u32_e32 vcc, 2, v8
	v_add_u32_e32 v9, 16, v9
	v_add_u32_e32 v10, 16, v10
	s_or_b64 s[6:7], vcc, s[6:7]
	s_waitcnt vmcnt(2) lgkmcnt(0)
	v_mul_f64 v[20:21], v[14:15], v[16:17]
	v_mul_f64 v[16:17], v[12:13], v[16:17]
	s_waitcnt vmcnt(0)
	v_fma_f64 v[12:13], v[12:13], v[18:19], -v[20:21]
	v_fmac_f64_e32 v[16:17], v[14:15], v[18:19]
	v_add_f64 v[4:5], v[4:5], v[12:13]
	v_add_f64 v[2:3], v[2:3], v[16:17]
	s_andn2_b64 exec, exec, s[6:7]
	s_cbranch_execnz .LBB114_29
; %bb.30:
	s_or_b64 exec, exec, s[6:7]
	v_mov_b32_e32 v0, 0
	ds_read_b128 v[8:11], v0 offset:64
	s_waitcnt lgkmcnt(0)
	v_mul_f64 v[12:13], v[2:3], v[10:11]
	v_mul_f64 v[10:11], v[4:5], v[10:11]
	v_fma_f64 v[4:5], v[4:5], v[8:9], -v[12:13]
	v_fmac_f64_e32 v[10:11], v[2:3], v[8:9]
	buffer_store_dword v5, off, s[0:3], 0 offset:84
	buffer_store_dword v4, off, s[0:3], 0 offset:80
	buffer_store_dword v11, off, s[0:3], 0 offset:92
	buffer_store_dword v10, off, s[0:3], 0 offset:88
.LBB114_31:
	s_or_b64 exec, exec, s[4:5]
	v_accvgpr_read_b32 v0, a147
	s_waitcnt lgkmcnt(0)
	; wave barrier
	buffer_load_dword v2, v0, s[0:3], 0 offen
	buffer_load_dword v3, v0, s[0:3], 0 offen offset:4
	buffer_load_dword v4, v0, s[0:3], 0 offen offset:8
	buffer_load_dword v5, v0, s[0:3], 0 offen offset:12
	v_cmp_gt_u32_e32 vcc, 5, v254
	;; [unrolled: 58-line block ×19, first 2 shown]
	s_waitcnt vmcnt(0)
	ds_write_b128 v6, v[2:5]
	s_waitcnt lgkmcnt(0)
	; wave barrier
	s_waitcnt lgkmcnt(0)
	s_and_saveexec_b64 s[4:5], vcc
	s_cbranch_execz .LBB114_103
; %bb.100:
	v_pk_mov_b32 v[2:3], 0, 0
	v_add_u32_e32 v8, -1, v254
	v_add_u32_e32 v9, 0x330, v1
	v_add_u32_e32 v10, 16, v1
	s_mov_b64 s[6:7], 0
	v_pk_mov_b32 v[4:5], v[2:3], v[2:3] op_sel:[0,1]
.LBB114_101:                            ; =>This Inner Loop Header: Depth=1
	buffer_load_dword v16, v10, s[0:3], 0 offen offset:8
	buffer_load_dword v17, v10, s[0:3], 0 offen offset:12
	buffer_load_dword v18, v10, s[0:3], 0 offen
	buffer_load_dword v19, v10, s[0:3], 0 offen offset:4
	ds_read_b128 v[12:15], v9
	v_add_u32_e32 v8, 1, v8
	v_cmp_lt_u32_e32 vcc, 20, v8
	v_add_u32_e32 v9, 16, v9
	v_add_u32_e32 v10, 16, v10
	s_or_b64 s[6:7], vcc, s[6:7]
	s_waitcnt vmcnt(2) lgkmcnt(0)
	v_mul_f64 v[20:21], v[14:15], v[16:17]
	v_mul_f64 v[16:17], v[12:13], v[16:17]
	s_waitcnt vmcnt(0)
	v_fma_f64 v[12:13], v[12:13], v[18:19], -v[20:21]
	v_fmac_f64_e32 v[16:17], v[14:15], v[18:19]
	v_add_f64 v[4:5], v[4:5], v[12:13]
	v_add_f64 v[2:3], v[2:3], v[16:17]
	s_andn2_b64 exec, exec, s[6:7]
	s_cbranch_execnz .LBB114_101
; %bb.102:
	s_or_b64 exec, exec, s[6:7]
	v_mov_b32_e32 v0, 0
	ds_read_b128 v[8:11], v0 offset:352
	s_waitcnt lgkmcnt(0)
	v_mul_f64 v[12:13], v[2:3], v[10:11]
	v_mul_f64 v[10:11], v[4:5], v[10:11]
	v_fma_f64 v[4:5], v[4:5], v[8:9], -v[12:13]
	v_fmac_f64_e32 v[10:11], v[2:3], v[8:9]
	buffer_store_dword v5, off, s[0:3], 0 offset:372
	buffer_store_dword v4, off, s[0:3], 0 offset:368
	buffer_store_dword v11, off, s[0:3], 0 offset:380
	buffer_store_dword v10, off, s[0:3], 0 offset:376
.LBB114_103:
	s_or_b64 exec, exec, s[4:5]
	v_accvgpr_read_b32 v0, a129
	s_waitcnt lgkmcnt(0)
	; wave barrier
	buffer_load_dword v2, v0, s[0:3], 0 offen
	buffer_load_dword v3, v0, s[0:3], 0 offen offset:4
	buffer_load_dword v4, v0, s[0:3], 0 offen offset:8
	buffer_load_dword v5, v0, s[0:3], 0 offen offset:12
	v_cmp_gt_u32_e32 vcc, 23, v254
	s_waitcnt vmcnt(0)
	ds_write_b128 v6, v[2:5]
	s_waitcnt lgkmcnt(0)
	; wave barrier
	s_waitcnt lgkmcnt(0)
	s_and_saveexec_b64 s[4:5], vcc
	s_cbranch_execz .LBB114_107
; %bb.104:
	v_pk_mov_b32 v[2:3], 0, 0
	v_add_u32_e32 v8, -1, v254
	v_add_u32_e32 v9, 0x330, v1
	v_add_u32_e32 v10, 16, v1
	s_mov_b64 s[6:7], 0
	v_pk_mov_b32 v[4:5], v[2:3], v[2:3] op_sel:[0,1]
.LBB114_105:                            ; =>This Inner Loop Header: Depth=1
	buffer_load_dword v16, v10, s[0:3], 0 offen offset:8
	buffer_load_dword v17, v10, s[0:3], 0 offen offset:12
	buffer_load_dword v18, v10, s[0:3], 0 offen
	buffer_load_dword v19, v10, s[0:3], 0 offen offset:4
	ds_read_b128 v[12:15], v9
	v_add_u32_e32 v8, 1, v8
	v_cmp_lt_u32_e32 vcc, 21, v8
	v_add_u32_e32 v9, 16, v9
	v_add_u32_e32 v10, 16, v10
	s_or_b64 s[6:7], vcc, s[6:7]
	s_waitcnt vmcnt(2) lgkmcnt(0)
	v_mul_f64 v[20:21], v[14:15], v[16:17]
	v_mul_f64 v[16:17], v[12:13], v[16:17]
	s_waitcnt vmcnt(0)
	v_fma_f64 v[12:13], v[12:13], v[18:19], -v[20:21]
	v_fmac_f64_e32 v[16:17], v[14:15], v[18:19]
	v_add_f64 v[4:5], v[4:5], v[12:13]
	v_add_f64 v[2:3], v[2:3], v[16:17]
	s_andn2_b64 exec, exec, s[6:7]
	s_cbranch_execnz .LBB114_105
; %bb.106:
	s_or_b64 exec, exec, s[6:7]
	v_mov_b32_e32 v0, 0
	ds_read_b128 v[8:11], v0 offset:368
	s_waitcnt lgkmcnt(0)
	v_mul_f64 v[12:13], v[2:3], v[10:11]
	v_mul_f64 v[10:11], v[4:5], v[10:11]
	v_fma_f64 v[4:5], v[4:5], v[8:9], -v[12:13]
	v_fmac_f64_e32 v[10:11], v[2:3], v[8:9]
	buffer_store_dword v5, off, s[0:3], 0 offset:388
	buffer_store_dword v4, off, s[0:3], 0 offset:384
	buffer_store_dword v11, off, s[0:3], 0 offset:396
	buffer_store_dword v10, off, s[0:3], 0 offset:392
.LBB114_107:
	s_or_b64 exec, exec, s[4:5]
	v_accvgpr_read_b32 v0, a128
	s_waitcnt lgkmcnt(0)
	; wave barrier
	buffer_load_dword v2, v0, s[0:3], 0 offen
	buffer_load_dword v3, v0, s[0:3], 0 offen offset:4
	buffer_load_dword v4, v0, s[0:3], 0 offen offset:8
	buffer_load_dword v5, v0, s[0:3], 0 offen offset:12
	v_cmp_gt_u32_e32 vcc, 24, v254
	;; [unrolled: 58-line block ×27, first 2 shown]
	s_waitcnt vmcnt(0)
	ds_write_b128 v6, v[2:5]
	s_waitcnt lgkmcnt(0)
	; wave barrier
	s_waitcnt lgkmcnt(0)
	s_and_saveexec_b64 s[4:5], vcc
	s_cbranch_execz .LBB114_211
; %bb.208:
	v_pk_mov_b32 v[2:3], 0, 0
	v_add_u32_e32 v8, -1, v254
	v_add_u32_e32 v9, 0x330, v1
	v_add_u32_e32 v10, 16, v1
	s_mov_b64 s[6:7], 0
	v_pk_mov_b32 v[4:5], v[2:3], v[2:3] op_sel:[0,1]
.LBB114_209:                            ; =>This Inner Loop Header: Depth=1
	buffer_load_dword v16, v10, s[0:3], 0 offen offset:8
	buffer_load_dword v17, v10, s[0:3], 0 offen offset:12
	buffer_load_dword v18, v10, s[0:3], 0 offen
	buffer_load_dword v19, v10, s[0:3], 0 offen offset:4
	ds_read_b128 v[12:15], v9
	v_add_u32_e32 v8, 1, v8
	v_cmp_lt_u32_e32 vcc, 47, v8
	v_add_u32_e32 v9, 16, v9
	v_add_u32_e32 v10, 16, v10
	s_or_b64 s[6:7], vcc, s[6:7]
	s_waitcnt vmcnt(2) lgkmcnt(0)
	v_mul_f64 v[20:21], v[14:15], v[16:17]
	v_mul_f64 v[16:17], v[12:13], v[16:17]
	s_waitcnt vmcnt(0)
	v_fma_f64 v[12:13], v[12:13], v[18:19], -v[20:21]
	v_fmac_f64_e32 v[16:17], v[14:15], v[18:19]
	v_add_f64 v[4:5], v[4:5], v[12:13]
	v_add_f64 v[2:3], v[2:3], v[16:17]
	s_andn2_b64 exec, exec, s[6:7]
	s_cbranch_execnz .LBB114_209
; %bb.210:
	s_or_b64 exec, exec, s[6:7]
	v_mov_b32_e32 v0, 0
	ds_read_b128 v[8:11], v0 offset:784
	s_waitcnt lgkmcnt(0)
	v_mul_f64 v[12:13], v[2:3], v[10:11]
	v_mul_f64 v[10:11], v[4:5], v[10:11]
	v_fma_f64 v[4:5], v[4:5], v[8:9], -v[12:13]
	v_fmac_f64_e32 v[10:11], v[2:3], v[8:9]
	buffer_store_dword v5, off, s[0:3], 0 offset:804
	buffer_store_dword v4, off, s[0:3], 0 offset:800
	;; [unrolled: 1-line block ×4, first 2 shown]
.LBB114_211:
	s_or_b64 exec, exec, s[4:5]
	v_accvgpr_read_b32 v0, a102
	s_waitcnt lgkmcnt(0)
	; wave barrier
	buffer_load_dword v2, v0, s[0:3], 0 offen
	buffer_load_dword v3, v0, s[0:3], 0 offen offset:4
	buffer_load_dword v4, v0, s[0:3], 0 offen offset:8
	buffer_load_dword v5, v0, s[0:3], 0 offen offset:12
	v_cmp_ne_u32_e32 vcc, 50, v254
	s_waitcnt vmcnt(0)
	ds_write_b128 v6, v[2:5]
	s_waitcnt lgkmcnt(0)
	; wave barrier
	s_waitcnt lgkmcnt(0)
	s_and_saveexec_b64 s[4:5], vcc
	s_cbranch_execz .LBB114_215
; %bb.212:
	v_pk_mov_b32 v[2:3], 0, 0
	v_add_u32_e32 v6, 0x330, v1
	v_add_u32_e32 v1, 16, v1
	s_mov_b64 s[6:7], 0
	v_pk_mov_b32 v[4:5], v[2:3], v[2:3] op_sel:[0,1]
.LBB114_213:                            ; =>This Inner Loop Header: Depth=1
	buffer_load_dword v12, v1, s[0:3], 0 offen offset:8
	buffer_load_dword v13, v1, s[0:3], 0 offen offset:12
	buffer_load_dword v14, v1, s[0:3], 0 offen
	buffer_load_dword v15, v1, s[0:3], 0 offen offset:4
	ds_read_b128 v[8:11], v6
	v_add_u32_e32 v7, 1, v7
	v_cmp_lt_u32_e32 vcc, 48, v7
	v_add_u32_e32 v6, 16, v6
	v_add_u32_e32 v1, 16, v1
	s_or_b64 s[6:7], vcc, s[6:7]
	s_waitcnt vmcnt(2) lgkmcnt(0)
	v_mul_f64 v[16:17], v[10:11], v[12:13]
	v_mul_f64 v[12:13], v[8:9], v[12:13]
	s_waitcnt vmcnt(0)
	v_fma_f64 v[8:9], v[8:9], v[14:15], -v[16:17]
	v_fmac_f64_e32 v[12:13], v[10:11], v[14:15]
	v_add_f64 v[4:5], v[4:5], v[8:9]
	v_add_f64 v[2:3], v[2:3], v[12:13]
	s_andn2_b64 exec, exec, s[6:7]
	s_cbranch_execnz .LBB114_213
; %bb.214:
	s_or_b64 exec, exec, s[6:7]
	v_mov_b32_e32 v0, 0
	ds_read_b128 v[6:9], v0 offset:800
	s_waitcnt lgkmcnt(0)
	v_mul_f64 v[10:11], v[2:3], v[8:9]
	v_mul_f64 v[8:9], v[4:5], v[8:9]
	v_fma_f64 v[4:5], v[4:5], v[6:7], -v[10:11]
	v_fmac_f64_e32 v[8:9], v[2:3], v[6:7]
	buffer_store_dword v5, off, s[0:3], 0 offset:820
	buffer_store_dword v4, off, s[0:3], 0 offset:816
	;; [unrolled: 1-line block ×4, first 2 shown]
.LBB114_215:
	s_or_b64 exec, exec, s[4:5]
	s_mov_b64 s[6:7], -1
	s_waitcnt lgkmcnt(0)
	; wave barrier
.LBB114_216:
	s_and_b64 vcc, exec, s[6:7]
	s_cbranch_vccz .LBB114_218
; %bb.217:
	s_lshl_b64 s[4:5], s[8:9], 2
	s_add_u32 s4, s14, s4
	s_addc_u32 s5, s15, s5
	v_mov_b32_e32 v0, 0
	global_load_dword v0, v0, s[4:5]
	s_waitcnt vmcnt(0)
	v_cmp_ne_u32_e32 vcc, 0, v0
	s_cbranch_vccz .LBB114_219
.LBB114_218:
	s_endpgm
.LBB114_219:
	v_mov_b32_e32 v0, 0x330
	v_lshl_add_u32 v0, v254, 4, v0
	v_accvgpr_write_b32 a153, v0
	v_cmp_eq_u32_e32 vcc, 50, v254
	s_and_saveexec_b64 s[4:5], vcc
	s_cbranch_execz .LBB114_221
; %bb.220:
	v_accvgpr_read_b32 v0, a103
	buffer_load_dword v2, v0, s[0:3], 0 offen
	buffer_load_dword v3, v0, s[0:3], 0 offen offset:4
	buffer_load_dword v4, v0, s[0:3], 0 offen offset:8
	buffer_load_dword v5, v0, s[0:3], 0 offen offset:12
	v_mov_b32_e32 v0, 0
	v_accvgpr_read_b32 v1, a153
	buffer_store_dword v0, off, s[0:3], 0 offset:800
	buffer_store_dword v0, off, s[0:3], 0 offset:804
	;; [unrolled: 1-line block ×4, first 2 shown]
	s_waitcnt vmcnt(4)
	ds_write_b128 v1, v[2:5]
.LBB114_221:
	s_or_b64 exec, exec, s[4:5]
	s_waitcnt lgkmcnt(0)
	; wave barrier
	s_waitcnt lgkmcnt(0)
	buffer_load_dword v6, off, s[0:3], 0 offset:824
	buffer_load_dword v7, off, s[0:3], 0 offset:828
	;; [unrolled: 1-line block ×8, first 2 shown]
	v_mov_b32_e32 v1, 0
	ds_read_b128 v[2:5], v1 offset:1616
	v_cmp_lt_u32_e32 vcc, 48, v254
	s_waitcnt vmcnt(6) lgkmcnt(0)
	v_mul_f64 v[14:15], v[2:3], v[6:7]
	v_mul_f64 v[6:7], v[4:5], v[6:7]
	s_waitcnt vmcnt(4)
	v_fma_f64 v[2:3], v[2:3], v[8:9], -v[6:7]
	v_fmac_f64_e32 v[14:15], v[4:5], v[8:9]
	v_add_f64 v[2:3], v[2:3], 0
	v_add_f64 v[4:5], v[14:15], 0
	s_waitcnt vmcnt(2)
	v_add_f64 v[2:3], v[10:11], -v[2:3]
	s_waitcnt vmcnt(0)
	v_add_f64 v[4:5], v[12:13], -v[4:5]
	buffer_store_dword v2, off, s[0:3], 0 offset:800
	buffer_store_dword v3, off, s[0:3], 0 offset:804
	;; [unrolled: 1-line block ×4, first 2 shown]
	s_and_saveexec_b64 s[4:5], vcc
	s_cbranch_execz .LBB114_223
; %bb.222:
	v_accvgpr_read_b32 v0, a104
	buffer_load_dword v2, v0, s[0:3], 0 offen
	buffer_load_dword v3, v0, s[0:3], 0 offen offset:4
	buffer_load_dword v4, v0, s[0:3], 0 offen offset:8
	;; [unrolled: 1-line block ×3, first 2 shown]
	v_accvgpr_read_b32 v0, a153
	buffer_store_dword v1, off, s[0:3], 0 offset:784
	buffer_store_dword v1, off, s[0:3], 0 offset:788
	buffer_store_dword v1, off, s[0:3], 0 offset:792
	buffer_store_dword v1, off, s[0:3], 0 offset:796
	s_waitcnt vmcnt(4)
	ds_write_b128 v0, v[2:5]
.LBB114_223:
	s_or_b64 exec, exec, s[4:5]
	s_waitcnt lgkmcnt(0)
	; wave barrier
	s_waitcnt lgkmcnt(0)
	buffer_load_dword v10, off, s[0:3], 0 offset:808
	buffer_load_dword v11, off, s[0:3], 0 offset:812
	;; [unrolled: 1-line block ×12, first 2 shown]
	ds_read_b128 v[2:5], v1 offset:1600
	ds_read_b128 v[6:9], v1 offset:1616
	v_cmp_lt_u32_e32 vcc, 47, v254
	s_waitcnt vmcnt(10) lgkmcnt(1)
	v_mul_f64 v[22:23], v[2:3], v[10:11]
	v_mul_f64 v[10:11], v[4:5], v[10:11]
	s_waitcnt vmcnt(8) lgkmcnt(0)
	v_mul_f64 v[24:25], v[6:7], v[12:13]
	v_mul_f64 v[12:13], v[8:9], v[12:13]
	s_waitcnt vmcnt(6)
	v_fma_f64 v[2:3], v[2:3], v[14:15], -v[10:11]
	v_fmac_f64_e32 v[22:23], v[4:5], v[14:15]
	s_waitcnt vmcnt(4)
	v_fma_f64 v[4:5], v[6:7], v[16:17], -v[12:13]
	v_add_f64 v[2:3], v[2:3], 0
	v_fmac_f64_e32 v[24:25], v[8:9], v[16:17]
	v_add_f64 v[6:7], v[22:23], 0
	v_add_f64 v[2:3], v[2:3], v[4:5]
	;; [unrolled: 1-line block ×3, first 2 shown]
	s_waitcnt vmcnt(2)
	v_add_f64 v[2:3], v[18:19], -v[2:3]
	s_waitcnt vmcnt(0)
	v_add_f64 v[4:5], v[20:21], -v[6:7]
	buffer_store_dword v2, off, s[0:3], 0 offset:784
	buffer_store_dword v3, off, s[0:3], 0 offset:788
	;; [unrolled: 1-line block ×4, first 2 shown]
	s_and_saveexec_b64 s[4:5], vcc
	s_cbranch_execz .LBB114_225
; %bb.224:
	v_accvgpr_read_b32 v0, a105
	buffer_load_dword v2, v0, s[0:3], 0 offen
	buffer_load_dword v3, v0, s[0:3], 0 offen offset:4
	buffer_load_dword v4, v0, s[0:3], 0 offen offset:8
	;; [unrolled: 1-line block ×3, first 2 shown]
	v_mov_b32_e32 v0, 0
	v_accvgpr_read_b32 v1, a153
	buffer_store_dword v0, off, s[0:3], 0 offset:768
	buffer_store_dword v0, off, s[0:3], 0 offset:772
	;; [unrolled: 1-line block ×4, first 2 shown]
	s_waitcnt vmcnt(4)
	ds_write_b128 v1, v[2:5]
.LBB114_225:
	s_or_b64 exec, exec, s[4:5]
	s_waitcnt lgkmcnt(0)
	; wave barrier
	s_waitcnt lgkmcnt(0)
	buffer_load_dword v14, off, s[0:3], 0 offset:792
	buffer_load_dword v15, off, s[0:3], 0 offset:796
	;; [unrolled: 1-line block ×16, first 2 shown]
	v_mov_b32_e32 v1, 0
	ds_read_b128 v[2:5], v1 offset:1584
	ds_read_b128 v[6:9], v1 offset:1600
	;; [unrolled: 1-line block ×3, first 2 shown]
	v_cmp_lt_u32_e32 vcc, 46, v254
	s_waitcnt vmcnt(14) lgkmcnt(2)
	v_mul_f64 v[30:31], v[2:3], v[14:15]
	v_mul_f64 v[14:15], v[4:5], v[14:15]
	s_waitcnt vmcnt(12) lgkmcnt(1)
	v_mul_f64 v[32:33], v[6:7], v[16:17]
	v_mul_f64 v[16:17], v[8:9], v[16:17]
	;; [unrolled: 3-line block ×3, first 2 shown]
	s_waitcnt vmcnt(8)
	v_fma_f64 v[2:3], v[2:3], v[20:21], -v[14:15]
	v_fmac_f64_e32 v[30:31], v[4:5], v[20:21]
	s_waitcnt vmcnt(6)
	v_fma_f64 v[4:5], v[6:7], v[22:23], -v[16:17]
	v_add_f64 v[2:3], v[2:3], 0
	v_fmac_f64_e32 v[32:33], v[8:9], v[22:23]
	s_waitcnt vmcnt(4)
	v_fma_f64 v[6:7], v[10:11], v[24:25], -v[18:19]
	v_add_f64 v[8:9], v[30:31], 0
	v_add_f64 v[2:3], v[2:3], v[4:5]
	v_fmac_f64_e32 v[34:35], v[12:13], v[24:25]
	v_add_f64 v[8:9], v[8:9], v[32:33]
	v_add_f64 v[2:3], v[2:3], v[6:7]
	v_add_f64 v[4:5], v[8:9], v[34:35]
	s_waitcnt vmcnt(2)
	v_add_f64 v[2:3], v[26:27], -v[2:3]
	s_waitcnt vmcnt(0)
	v_add_f64 v[4:5], v[28:29], -v[4:5]
	buffer_store_dword v2, off, s[0:3], 0 offset:768
	buffer_store_dword v3, off, s[0:3], 0 offset:772
	;; [unrolled: 1-line block ×4, first 2 shown]
	s_and_saveexec_b64 s[4:5], vcc
	s_cbranch_execz .LBB114_227
; %bb.226:
	v_accvgpr_read_b32 v0, a106
	buffer_load_dword v2, v0, s[0:3], 0 offen
	buffer_load_dword v3, v0, s[0:3], 0 offen offset:4
	buffer_load_dword v4, v0, s[0:3], 0 offen offset:8
	;; [unrolled: 1-line block ×3, first 2 shown]
	v_accvgpr_read_b32 v0, a153
	buffer_store_dword v1, off, s[0:3], 0 offset:752
	buffer_store_dword v1, off, s[0:3], 0 offset:756
	;; [unrolled: 1-line block ×4, first 2 shown]
	s_waitcnt vmcnt(4)
	ds_write_b128 v0, v[2:5]
.LBB114_227:
	s_or_b64 exec, exec, s[4:5]
	s_waitcnt lgkmcnt(0)
	; wave barrier
	s_waitcnt lgkmcnt(0)
	buffer_load_dword v18, off, s[0:3], 0 offset:776
	buffer_load_dword v19, off, s[0:3], 0 offset:780
	;; [unrolled: 1-line block ×20, first 2 shown]
	ds_read_b128 v[2:5], v1 offset:1568
	ds_read_b128 v[6:9], v1 offset:1584
	;; [unrolled: 1-line block ×4, first 2 shown]
	v_cmp_lt_u32_e32 vcc, 45, v254
	s_waitcnt vmcnt(18) lgkmcnt(3)
	v_mul_f64 v[38:39], v[2:3], v[18:19]
	v_mul_f64 v[18:19], v[4:5], v[18:19]
	s_waitcnt vmcnt(16) lgkmcnt(2)
	v_mul_f64 v[40:41], v[6:7], v[20:21]
	v_mul_f64 v[20:21], v[8:9], v[20:21]
	;; [unrolled: 3-line block ×4, first 2 shown]
	s_waitcnt vmcnt(10)
	v_fma_f64 v[2:3], v[2:3], v[26:27], -v[18:19]
	v_fmac_f64_e32 v[38:39], v[4:5], v[26:27]
	s_waitcnt vmcnt(8)
	v_fma_f64 v[4:5], v[6:7], v[28:29], -v[20:21]
	v_add_f64 v[2:3], v[2:3], 0
	v_fmac_f64_e32 v[40:41], v[8:9], v[28:29]
	s_waitcnt vmcnt(6)
	v_fma_f64 v[6:7], v[10:11], v[30:31], -v[22:23]
	v_add_f64 v[10:11], v[38:39], 0
	v_add_f64 v[2:3], v[2:3], v[4:5]
	v_fmac_f64_e32 v[42:43], v[12:13], v[30:31]
	s_waitcnt vmcnt(4)
	v_fma_f64 v[8:9], v[14:15], v[32:33], -v[24:25]
	v_add_f64 v[10:11], v[10:11], v[40:41]
	v_add_f64 v[2:3], v[2:3], v[6:7]
	v_fmac_f64_e32 v[44:45], v[16:17], v[32:33]
	v_add_f64 v[4:5], v[10:11], v[42:43]
	v_add_f64 v[2:3], v[2:3], v[8:9]
	;; [unrolled: 1-line block ×3, first 2 shown]
	s_waitcnt vmcnt(2)
	v_add_f64 v[2:3], v[34:35], -v[2:3]
	s_waitcnt vmcnt(0)
	v_add_f64 v[4:5], v[36:37], -v[4:5]
	buffer_store_dword v2, off, s[0:3], 0 offset:752
	buffer_store_dword v3, off, s[0:3], 0 offset:756
	;; [unrolled: 1-line block ×4, first 2 shown]
	s_and_saveexec_b64 s[4:5], vcc
	s_cbranch_execz .LBB114_229
; %bb.228:
	v_accvgpr_read_b32 v0, a107
	buffer_load_dword v2, v0, s[0:3], 0 offen
	buffer_load_dword v3, v0, s[0:3], 0 offen offset:4
	buffer_load_dword v4, v0, s[0:3], 0 offen offset:8
	;; [unrolled: 1-line block ×3, first 2 shown]
	v_mov_b32_e32 v0, 0
	v_accvgpr_read_b32 v1, a153
	buffer_store_dword v0, off, s[0:3], 0 offset:736
	buffer_store_dword v0, off, s[0:3], 0 offset:740
	;; [unrolled: 1-line block ×4, first 2 shown]
	s_waitcnt vmcnt(4)
	ds_write_b128 v1, v[2:5]
.LBB114_229:
	s_or_b64 exec, exec, s[4:5]
	s_waitcnt lgkmcnt(0)
	; wave barrier
	s_waitcnt lgkmcnt(0)
	buffer_load_dword v22, off, s[0:3], 0 offset:760
	buffer_load_dword v23, off, s[0:3], 0 offset:764
	;; [unrolled: 1-line block ×24, first 2 shown]
	v_mov_b32_e32 v1, 0
	ds_read_b128 v[2:5], v1 offset:1552
	ds_read_b128 v[6:9], v1 offset:1568
	;; [unrolled: 1-line block ×5, first 2 shown]
	v_cmp_lt_u32_e32 vcc, 44, v254
	s_waitcnt vmcnt(22) lgkmcnt(4)
	v_mul_f64 v[46:47], v[2:3], v[22:23]
	v_mul_f64 v[22:23], v[4:5], v[22:23]
	s_waitcnt vmcnt(20) lgkmcnt(3)
	v_mul_f64 v[48:49], v[6:7], v[24:25]
	v_mul_f64 v[24:25], v[8:9], v[24:25]
	;; [unrolled: 3-line block ×4, first 2 shown]
	s_waitcnt vmcnt(13) lgkmcnt(0)
	v_mul_f64 v[54:55], v[18:19], v[28:29]
	s_waitcnt vmcnt(11)
	v_fma_f64 v[2:3], v[2:3], v[34:35], -v[22:23]
	v_fmac_f64_e32 v[46:47], v[4:5], v[34:35]
	s_waitcnt vmcnt(9)
	v_fma_f64 v[4:5], v[6:7], v[36:37], -v[24:25]
	v_add_f64 v[2:3], v[2:3], 0
	v_fmac_f64_e32 v[48:49], v[8:9], v[36:37]
	s_waitcnt vmcnt(7)
	v_fmac_f64_e32 v[50:51], v[12:13], v[38:39]
	v_fma_f64 v[6:7], v[10:11], v[38:39], -v[26:27]
	v_add_f64 v[12:13], v[46:47], 0
	v_add_f64 v[2:3], v[2:3], v[4:5]
	v_mul_f64 v[28:29], v[20:21], v[28:29]
	s_waitcnt vmcnt(5)
	v_fma_f64 v[8:9], v[14:15], v[40:41], -v[32:33]
	v_add_f64 v[12:13], v[12:13], v[48:49]
	v_add_f64 v[2:3], v[2:3], v[6:7]
	v_fmac_f64_e32 v[52:53], v[16:17], v[40:41]
	s_waitcnt vmcnt(4)
	v_fma_f64 v[10:11], v[18:19], v[30:31], -v[28:29]
	v_add_f64 v[4:5], v[12:13], v[50:51]
	v_add_f64 v[2:3], v[2:3], v[8:9]
	v_fmac_f64_e32 v[54:55], v[20:21], v[30:31]
	v_add_f64 v[4:5], v[4:5], v[52:53]
	v_add_f64 v[2:3], v[2:3], v[10:11]
	;; [unrolled: 1-line block ×3, first 2 shown]
	s_waitcnt vmcnt(2)
	v_add_f64 v[2:3], v[42:43], -v[2:3]
	s_waitcnt vmcnt(0)
	v_add_f64 v[4:5], v[44:45], -v[4:5]
	buffer_store_dword v3, off, s[0:3], 0 offset:740
	buffer_store_dword v2, off, s[0:3], 0 offset:736
	;; [unrolled: 1-line block ×4, first 2 shown]
	s_and_saveexec_b64 s[4:5], vcc
	s_cbranch_execz .LBB114_231
; %bb.230:
	v_accvgpr_read_b32 v0, a108
	buffer_load_dword v2, v0, s[0:3], 0 offen
	buffer_load_dword v3, v0, s[0:3], 0 offen offset:4
	buffer_load_dword v4, v0, s[0:3], 0 offen offset:8
	;; [unrolled: 1-line block ×3, first 2 shown]
	v_accvgpr_read_b32 v0, a153
	buffer_store_dword v1, off, s[0:3], 0 offset:720
	buffer_store_dword v1, off, s[0:3], 0 offset:724
	;; [unrolled: 1-line block ×4, first 2 shown]
	s_waitcnt vmcnt(4)
	ds_write_b128 v0, v[2:5]
.LBB114_231:
	s_or_b64 exec, exec, s[4:5]
	s_waitcnt lgkmcnt(0)
	; wave barrier
	s_waitcnt lgkmcnt(0)
	buffer_load_dword v26, off, s[0:3], 0 offset:744
	buffer_load_dword v27, off, s[0:3], 0 offset:748
	;; [unrolled: 1-line block ×28, first 2 shown]
	ds_read_b128 v[2:5], v1 offset:1536
	ds_read_b128 v[6:9], v1 offset:1552
	;; [unrolled: 1-line block ×6, first 2 shown]
	v_cmp_lt_u32_e32 vcc, 43, v254
	s_waitcnt vmcnt(26) lgkmcnt(5)
	v_mul_f64 v[54:55], v[2:3], v[26:27]
	v_mul_f64 v[26:27], v[4:5], v[26:27]
	s_waitcnt vmcnt(24) lgkmcnt(4)
	v_mul_f64 v[56:57], v[6:7], v[28:29]
	v_mul_f64 v[28:29], v[8:9], v[28:29]
	;; [unrolled: 3-line block ×4, first 2 shown]
	s_waitcnt vmcnt(17)
	v_mul_f64 v[60:61], v[14:15], v[36:37]
	v_mul_f64 v[36:37], v[16:17], v[36:37]
	s_waitcnt vmcnt(15) lgkmcnt(0)
	v_mul_f64 v[64:65], v[22:23], v[38:39]
	v_mul_f64 v[38:39], v[24:25], v[38:39]
	s_waitcnt vmcnt(14)
	v_fmac_f64_e32 v[62:63], v[20:21], v[34:35]
	s_waitcnt vmcnt(12)
	v_fma_f64 v[2:3], v[2:3], v[40:41], -v[26:27]
	v_fmac_f64_e32 v[54:55], v[4:5], v[40:41]
	s_waitcnt vmcnt(10)
	v_fma_f64 v[4:5], v[6:7], v[42:43], -v[28:29]
	v_add_f64 v[2:3], v[2:3], 0
	v_fmac_f64_e32 v[56:57], v[8:9], v[42:43]
	s_waitcnt vmcnt(8)
	v_fma_f64 v[6:7], v[10:11], v[44:45], -v[30:31]
	s_waitcnt vmcnt(6)
	v_fma_f64 v[8:9], v[14:15], v[46:47], -v[36:37]
	v_add_f64 v[14:15], v[54:55], 0
	v_add_f64 v[2:3], v[2:3], v[4:5]
	v_fmac_f64_e32 v[58:59], v[12:13], v[44:45]
	v_add_f64 v[14:15], v[14:15], v[56:57]
	v_add_f64 v[2:3], v[2:3], v[6:7]
	v_fmac_f64_e32 v[60:61], v[16:17], v[46:47]
	v_fma_f64 v[10:11], v[18:19], v[34:35], -v[32:33]
	v_add_f64 v[4:5], v[14:15], v[58:59]
	v_add_f64 v[2:3], v[2:3], v[8:9]
	s_waitcnt vmcnt(4)
	v_fma_f64 v[12:13], v[22:23], v[48:49], -v[38:39]
	v_add_f64 v[4:5], v[4:5], v[60:61]
	v_add_f64 v[2:3], v[2:3], v[10:11]
	v_fmac_f64_e32 v[64:65], v[24:25], v[48:49]
	v_add_f64 v[4:5], v[4:5], v[62:63]
	v_add_f64 v[2:3], v[2:3], v[12:13]
	;; [unrolled: 1-line block ×3, first 2 shown]
	s_waitcnt vmcnt(2)
	v_add_f64 v[2:3], v[50:51], -v[2:3]
	s_waitcnt vmcnt(0)
	v_add_f64 v[4:5], v[52:53], -v[4:5]
	buffer_store_dword v3, off, s[0:3], 0 offset:724
	buffer_store_dword v2, off, s[0:3], 0 offset:720
	buffer_store_dword v5, off, s[0:3], 0 offset:732
	buffer_store_dword v4, off, s[0:3], 0 offset:728
	s_and_saveexec_b64 s[4:5], vcc
	s_cbranch_execz .LBB114_233
; %bb.232:
	v_accvgpr_read_b32 v0, a109
	buffer_load_dword v2, v0, s[0:3], 0 offen
	buffer_load_dword v3, v0, s[0:3], 0 offen offset:4
	buffer_load_dword v4, v0, s[0:3], 0 offen offset:8
	;; [unrolled: 1-line block ×3, first 2 shown]
	v_mov_b32_e32 v0, 0
	v_accvgpr_read_b32 v1, a153
	buffer_store_dword v0, off, s[0:3], 0 offset:704
	buffer_store_dword v0, off, s[0:3], 0 offset:708
	;; [unrolled: 1-line block ×4, first 2 shown]
	s_waitcnt vmcnt(4)
	ds_write_b128 v1, v[2:5]
.LBB114_233:
	s_or_b64 exec, exec, s[4:5]
	s_waitcnt lgkmcnt(0)
	; wave barrier
	s_waitcnt lgkmcnt(0)
	buffer_load_dword v30, off, s[0:3], 0 offset:728
	buffer_load_dword v31, off, s[0:3], 0 offset:732
	;; [unrolled: 1-line block ×32, first 2 shown]
	v_mov_b32_e32 v1, 0
	ds_read_b128 v[2:5], v1 offset:1520
	ds_read_b128 v[6:9], v1 offset:1536
	;; [unrolled: 1-line block ×7, first 2 shown]
	v_cmp_lt_u32_e32 vcc, 42, v254
	s_waitcnt vmcnt(30) lgkmcnt(6)
	v_mul_f64 v[62:63], v[2:3], v[30:31]
	v_mul_f64 v[30:31], v[4:5], v[30:31]
	s_waitcnt vmcnt(28) lgkmcnt(5)
	v_mul_f64 v[64:65], v[6:7], v[32:33]
	v_mul_f64 v[32:33], v[8:9], v[32:33]
	;; [unrolled: 3-line block ×4, first 2 shown]
	s_waitcnt vmcnt(21)
	v_mul_f64 v[68:69], v[14:15], v[40:41]
	v_mul_f64 v[40:41], v[16:17], v[40:41]
	s_waitcnt vmcnt(17) lgkmcnt(1)
	v_mul_f64 v[72:73], v[22:23], v[46:47]
	v_mul_f64 v[46:47], v[24:25], v[46:47]
	s_waitcnt vmcnt(16) lgkmcnt(0)
	v_mul_f64 v[74:75], v[26:27], v[42:43]
	v_mul_f64 v[42:43], v[28:29], v[42:43]
	s_waitcnt vmcnt(13)
	v_fma_f64 v[2:3], v[2:3], v[48:49], -v[30:31]
	v_fmac_f64_e32 v[62:63], v[4:5], v[48:49]
	s_waitcnt vmcnt(11)
	v_fma_f64 v[4:5], v[6:7], v[50:51], -v[32:33]
	v_add_f64 v[2:3], v[2:3], 0
	v_fmac_f64_e32 v[64:65], v[8:9], v[50:51]
	s_waitcnt vmcnt(9)
	v_fma_f64 v[6:7], v[10:11], v[52:53], -v[34:35]
	s_waitcnt vmcnt(7)
	v_fmac_f64_e32 v[68:69], v[16:17], v[54:55]
	v_add_f64 v[16:17], v[62:63], 0
	v_add_f64 v[2:3], v[2:3], v[4:5]
	v_fmac_f64_e32 v[66:67], v[12:13], v[52:53]
	v_fma_f64 v[8:9], v[14:15], v[54:55], -v[40:41]
	v_add_f64 v[16:17], v[16:17], v[64:65]
	v_add_f64 v[2:3], v[2:3], v[6:7]
	v_fma_f64 v[10:11], v[18:19], v[38:39], -v[36:37]
	v_add_f64 v[4:5], v[16:17], v[66:67]
	v_add_f64 v[2:3], v[2:3], v[8:9]
	v_fmac_f64_e32 v[70:71], v[20:21], v[38:39]
	s_waitcnt vmcnt(5)
	v_fma_f64 v[12:13], v[22:23], v[56:57], -v[46:47]
	v_add_f64 v[4:5], v[4:5], v[68:69]
	v_add_f64 v[2:3], v[2:3], v[10:11]
	v_fmac_f64_e32 v[72:73], v[24:25], v[56:57]
	s_waitcnt vmcnt(4)
	v_fma_f64 v[14:15], v[26:27], v[44:45], -v[42:43]
	v_add_f64 v[4:5], v[4:5], v[70:71]
	v_add_f64 v[2:3], v[2:3], v[12:13]
	v_fmac_f64_e32 v[74:75], v[28:29], v[44:45]
	v_add_f64 v[4:5], v[4:5], v[72:73]
	v_add_f64 v[2:3], v[2:3], v[14:15]
	;; [unrolled: 1-line block ×3, first 2 shown]
	s_waitcnt vmcnt(2)
	v_add_f64 v[2:3], v[58:59], -v[2:3]
	s_waitcnt vmcnt(0)
	v_add_f64 v[4:5], v[60:61], -v[4:5]
	buffer_store_dword v3, off, s[0:3], 0 offset:708
	buffer_store_dword v2, off, s[0:3], 0 offset:704
	;; [unrolled: 1-line block ×4, first 2 shown]
	s_and_saveexec_b64 s[4:5], vcc
	s_cbranch_execz .LBB114_235
; %bb.234:
	v_accvgpr_read_b32 v0, a110
	buffer_load_dword v2, v0, s[0:3], 0 offen
	buffer_load_dword v3, v0, s[0:3], 0 offen offset:4
	buffer_load_dword v4, v0, s[0:3], 0 offen offset:8
	;; [unrolled: 1-line block ×3, first 2 shown]
	v_accvgpr_read_b32 v0, a153
	buffer_store_dword v1, off, s[0:3], 0 offset:688
	buffer_store_dword v1, off, s[0:3], 0 offset:692
	;; [unrolled: 1-line block ×4, first 2 shown]
	s_waitcnt vmcnt(4)
	ds_write_b128 v0, v[2:5]
.LBB114_235:
	s_or_b64 exec, exec, s[4:5]
	s_waitcnt lgkmcnt(0)
	; wave barrier
	s_waitcnt lgkmcnt(0)
	buffer_load_dword v34, off, s[0:3], 0 offset:712
	buffer_load_dword v35, off, s[0:3], 0 offset:716
	;; [unrolled: 1-line block ×36, first 2 shown]
	ds_read_b128 v[2:5], v1 offset:1504
	ds_read_b128 v[6:9], v1 offset:1520
	ds_read_b128 v[10:13], v1 offset:1536
	ds_read_b128 v[14:17], v1 offset:1552
	ds_read_b128 v[18:21], v1 offset:1568
	ds_read_b128 v[22:25], v1 offset:1584
	ds_read_b128 v[26:29], v1 offset:1600
	ds_read_b128 v[30:33], v1 offset:1616
	v_cmp_lt_u32_e32 vcc, 41, v254
	s_waitcnt vmcnt(34) lgkmcnt(7)
	v_mul_f64 v[70:71], v[2:3], v[34:35]
	v_mul_f64 v[34:35], v[4:5], v[34:35]
	s_waitcnt vmcnt(32) lgkmcnt(6)
	v_mul_f64 v[72:73], v[6:7], v[36:37]
	v_mul_f64 v[36:37], v[8:9], v[36:37]
	;; [unrolled: 3-line block ×4, first 2 shown]
	s_waitcnt vmcnt(25)
	v_mul_f64 v[76:77], v[14:15], v[44:45]
	v_mul_f64 v[44:45], v[16:17], v[44:45]
	s_waitcnt vmcnt(23) lgkmcnt(1)
	v_mul_f64 v[82:83], v[26:27], v[46:47]
	v_mul_f64 v[46:47], v[28:29], v[46:47]
	s_waitcnt vmcnt(20)
	v_mul_f64 v[80:81], v[22:23], v[50:51]
	v_mul_f64 v[50:51], v[24:25], v[50:51]
	s_waitcnt vmcnt(18) lgkmcnt(0)
	v_mul_f64 v[84:85], v[30:31], v[52:53]
	s_waitcnt vmcnt(17)
	v_fmac_f64_e32 v[78:79], v[20:21], v[42:43]
	s_waitcnt vmcnt(16)
	v_fmac_f64_e32 v[82:83], v[28:29], v[48:49]
	s_waitcnt vmcnt(14)
	v_fma_f64 v[2:3], v[2:3], v[54:55], -v[34:35]
	v_fmac_f64_e32 v[70:71], v[4:5], v[54:55]
	s_waitcnt vmcnt(12)
	v_fma_f64 v[4:5], v[6:7], v[56:57], -v[36:37]
	v_add_f64 v[2:3], v[2:3], 0
	v_fmac_f64_e32 v[72:73], v[8:9], v[56:57]
	s_waitcnt vmcnt(10)
	v_fma_f64 v[6:7], v[10:11], v[58:59], -v[38:39]
	s_waitcnt vmcnt(8)
	v_fmac_f64_e32 v[76:77], v[16:17], v[60:61]
	v_add_f64 v[16:17], v[70:71], 0
	v_add_f64 v[2:3], v[2:3], v[4:5]
	v_fmac_f64_e32 v[74:75], v[12:13], v[58:59]
	v_fma_f64 v[8:9], v[14:15], v[60:61], -v[44:45]
	v_add_f64 v[16:17], v[16:17], v[72:73]
	v_add_f64 v[2:3], v[2:3], v[6:7]
	v_fma_f64 v[10:11], v[18:19], v[42:43], -v[40:41]
	v_add_f64 v[4:5], v[16:17], v[74:75]
	v_add_f64 v[2:3], v[2:3], v[8:9]
	s_waitcnt vmcnt(6)
	v_fma_f64 v[12:13], v[22:23], v[62:63], -v[50:51]
	v_add_f64 v[4:5], v[4:5], v[76:77]
	v_add_f64 v[2:3], v[2:3], v[10:11]
	v_fmac_f64_e32 v[80:81], v[24:25], v[62:63]
	v_fma_f64 v[14:15], v[26:27], v[48:49], -v[46:47]
	v_add_f64 v[4:5], v[4:5], v[78:79]
	v_add_f64 v[2:3], v[2:3], v[12:13]
	v_mul_f64 v[6:7], v[32:33], v[52:53]
	v_add_f64 v[4:5], v[4:5], v[80:81]
	v_add_f64 v[2:3], v[2:3], v[14:15]
	s_waitcnt vmcnt(4)
	v_fma_f64 v[6:7], v[30:31], v[64:65], -v[6:7]
	v_fmac_f64_e32 v[84:85], v[32:33], v[64:65]
	v_add_f64 v[4:5], v[4:5], v[82:83]
	v_add_f64 v[2:3], v[2:3], v[6:7]
	v_add_f64 v[4:5], v[4:5], v[84:85]
	s_waitcnt vmcnt(2)
	v_add_f64 v[2:3], v[66:67], -v[2:3]
	s_waitcnt vmcnt(0)
	v_add_f64 v[4:5], v[68:69], -v[4:5]
	buffer_store_dword v3, off, s[0:3], 0 offset:692
	buffer_store_dword v2, off, s[0:3], 0 offset:688
	;; [unrolled: 1-line block ×4, first 2 shown]
	s_and_saveexec_b64 s[4:5], vcc
	s_cbranch_execz .LBB114_237
; %bb.236:
	v_accvgpr_read_b32 v0, a111
	buffer_load_dword v2, v0, s[0:3], 0 offen
	buffer_load_dword v3, v0, s[0:3], 0 offen offset:4
	buffer_load_dword v4, v0, s[0:3], 0 offen offset:8
	;; [unrolled: 1-line block ×3, first 2 shown]
	v_mov_b32_e32 v0, 0
	v_accvgpr_read_b32 v1, a153
	buffer_store_dword v0, off, s[0:3], 0 offset:672
	buffer_store_dword v0, off, s[0:3], 0 offset:676
	;; [unrolled: 1-line block ×4, first 2 shown]
	s_waitcnt vmcnt(4)
	ds_write_b128 v1, v[2:5]
.LBB114_237:
	s_or_b64 exec, exec, s[4:5]
	s_waitcnt lgkmcnt(0)
	; wave barrier
	s_waitcnt lgkmcnt(0)
	buffer_load_dword v38, off, s[0:3], 0 offset:696
	buffer_load_dword v39, off, s[0:3], 0 offset:700
	;; [unrolled: 1-line block ×40, first 2 shown]
	v_mov_b32_e32 v1, 0
	ds_read_b128 v[2:5], v1 offset:1488
	ds_read_b128 v[6:9], v1 offset:1504
	;; [unrolled: 1-line block ×9, first 2 shown]
	v_cmp_lt_u32_e32 vcc, 40, v254
	s_waitcnt vmcnt(38) lgkmcnt(8)
	v_mul_f64 v[78:79], v[2:3], v[38:39]
	v_mul_f64 v[38:39], v[4:5], v[38:39]
	s_waitcnt vmcnt(36) lgkmcnt(7)
	v_mul_f64 v[80:81], v[6:7], v[40:41]
	v_mul_f64 v[40:41], v[8:9], v[40:41]
	;; [unrolled: 3-line block ×3, first 2 shown]
	s_waitcnt vmcnt(32) lgkmcnt(4)
	v_mul_f64 v[86:87], v[18:19], v[44:45]
	s_waitcnt vmcnt(30)
	v_fmac_f64_e32 v[86:87], v[20:21], v[46:47]
	s_waitcnt vmcnt(28)
	v_mul_f64 v[84:85], v[14:15], v[48:49]
	v_mul_f64 v[48:49], v[16:17], v[48:49]
	s_waitcnt vmcnt(26) lgkmcnt(2)
	v_mul_f64 v[90:91], v[26:27], v[50:51]
	s_waitcnt vmcnt(24)
	v_fmac_f64_e32 v[90:91], v[28:29], v[52:53]
	s_waitcnt vmcnt(22)
	v_mul_f64 v[88:89], v[22:23], v[54:55]
	s_waitcnt vmcnt(18) lgkmcnt(1)
	v_mul_f64 v[92:93], v[30:31], v[60:61]
	s_waitcnt vmcnt(17) lgkmcnt(0)
	v_mul_f64 v[94:95], v[34:35], v[56:57]
	s_waitcnt vmcnt(15)
	v_fma_f64 v[2:3], v[2:3], v[62:63], -v[38:39]
	v_fmac_f64_e32 v[78:79], v[4:5], v[62:63]
	s_waitcnt vmcnt(13)
	v_fma_f64 v[4:5], v[6:7], v[64:65], -v[40:41]
	v_add_f64 v[2:3], v[2:3], 0
	s_waitcnt vmcnt(11)
	v_fma_f64 v[6:7], v[10:11], v[66:67], -v[42:43]
	v_add_f64 v[2:3], v[2:3], v[4:5]
	v_fmac_f64_e32 v[80:81], v[8:9], v[64:65]
	s_waitcnt vmcnt(9)
	v_fma_f64 v[8:9], v[14:15], v[68:69], -v[48:49]
	v_add_f64 v[2:3], v[2:3], v[6:7]
	v_mul_f64 v[6:7], v[20:21], v[44:45]
	v_add_f64 v[2:3], v[2:3], v[8:9]
	v_fma_f64 v[6:7], v[18:19], v[46:47], -v[6:7]
	v_add_f64 v[2:3], v[2:3], v[6:7]
	v_mul_f64 v[6:7], v[24:25], v[54:55]
	v_add_f64 v[10:11], v[78:79], 0
	s_waitcnt vmcnt(7)
	v_fma_f64 v[6:7], v[22:23], v[70:71], -v[6:7]
	v_fmac_f64_e32 v[82:83], v[12:13], v[66:67]
	v_add_f64 v[10:11], v[10:11], v[80:81]
	v_add_f64 v[2:3], v[2:3], v[6:7]
	v_mul_f64 v[6:7], v[28:29], v[50:51]
	v_fmac_f64_e32 v[84:85], v[16:17], v[68:69]
	v_add_f64 v[4:5], v[10:11], v[82:83]
	v_fma_f64 v[6:7], v[26:27], v[52:53], -v[6:7]
	v_add_f64 v[4:5], v[4:5], v[84:85]
	v_add_f64 v[2:3], v[2:3], v[6:7]
	v_mul_f64 v[6:7], v[32:33], v[60:61]
	v_fmac_f64_e32 v[88:89], v[24:25], v[70:71]
	v_add_f64 v[4:5], v[4:5], v[86:87]
	s_waitcnt vmcnt(5)
	v_fma_f64 v[6:7], v[30:31], v[72:73], -v[6:7]
	v_add_f64 v[4:5], v[4:5], v[88:89]
	v_add_f64 v[2:3], v[2:3], v[6:7]
	v_mul_f64 v[6:7], v[36:37], v[56:57]
	v_fmac_f64_e32 v[92:93], v[32:33], v[72:73]
	v_add_f64 v[4:5], v[4:5], v[90:91]
	s_waitcnt vmcnt(4)
	v_fma_f64 v[6:7], v[34:35], v[58:59], -v[6:7]
	v_fmac_f64_e32 v[94:95], v[36:37], v[58:59]
	v_add_f64 v[4:5], v[4:5], v[92:93]
	v_add_f64 v[2:3], v[2:3], v[6:7]
	;; [unrolled: 1-line block ×3, first 2 shown]
	s_waitcnt vmcnt(2)
	v_add_f64 v[2:3], v[74:75], -v[2:3]
	s_waitcnt vmcnt(0)
	v_add_f64 v[4:5], v[76:77], -v[4:5]
	buffer_store_dword v3, off, s[0:3], 0 offset:676
	buffer_store_dword v2, off, s[0:3], 0 offset:672
	;; [unrolled: 1-line block ×4, first 2 shown]
	s_and_saveexec_b64 s[4:5], vcc
	s_cbranch_execz .LBB114_239
; %bb.238:
	v_accvgpr_read_b32 v0, a112
	buffer_load_dword v2, v0, s[0:3], 0 offen
	buffer_load_dword v3, v0, s[0:3], 0 offen offset:4
	buffer_load_dword v4, v0, s[0:3], 0 offen offset:8
	;; [unrolled: 1-line block ×3, first 2 shown]
	v_accvgpr_read_b32 v0, a153
	buffer_store_dword v1, off, s[0:3], 0 offset:656
	buffer_store_dword v1, off, s[0:3], 0 offset:660
	;; [unrolled: 1-line block ×4, first 2 shown]
	s_waitcnt vmcnt(4)
	ds_write_b128 v0, v[2:5]
.LBB114_239:
	s_or_b64 exec, exec, s[4:5]
	s_waitcnt lgkmcnt(0)
	; wave barrier
	s_waitcnt lgkmcnt(0)
	ds_read_b128 v[18:21], v1 offset:1472
	ds_read_b128 v[10:13], v1 offset:1488
	;; [unrolled: 1-line block ×4, first 2 shown]
	buffer_load_dword v44, off, s[0:3], 0 offset:656
	buffer_load_dword v45, off, s[0:3], 0 offset:660
	buffer_load_dword v42, off, s[0:3], 0 offset:664
	buffer_load_dword v43, off, s[0:3], 0 offset:668
	buffer_load_dword v58, off, s[0:3], 0 offset:672
	buffer_load_dword v59, off, s[0:3], 0 offset:676
	buffer_load_dword v62, off, s[0:3], 0 offset:680
	buffer_load_dword v63, off, s[0:3], 0 offset:684
	buffer_load_dword v56, off, s[0:3], 0 offset:688
	buffer_load_dword v57, off, s[0:3], 0 offset:692
	buffer_load_dword v60, off, s[0:3], 0 offset:696
	buffer_load_dword v61, off, s[0:3], 0 offset:700
	buffer_load_dword v46, off, s[0:3], 0 offset:704
	buffer_load_dword v47, off, s[0:3], 0 offset:708
	buffer_load_dword v48, off, s[0:3], 0 offset:712
	buffer_load_dword v49, off, s[0:3], 0 offset:716
	buffer_load_dword v51, off, s[0:3], 0 offset:724
	buffer_load_dword v50, off, s[0:3], 0 offset:720
	buffer_load_dword v53, off, s[0:3], 0 offset:732
	buffer_load_dword v52, off, s[0:3], 0 offset:728
	v_cmp_lt_u32_e32 vcc, 39, v254
	s_waitcnt vmcnt(12) lgkmcnt(3)
	v_mul_f64 v[14:15], v[18:19], v[62:63]
	v_fmac_f64_e32 v[14:15], v[20:21], v[58:59]
	v_add_f64 v[14:15], v[14:15], 0
	v_mul_f64 v[20:21], v[20:21], v[62:63]
	s_waitcnt vmcnt(8) lgkmcnt(2)
	v_mul_f64 v[16:17], v[10:11], v[60:61]
	v_fmac_f64_e32 v[16:17], v[12:13], v[56:57]
	v_add_f64 v[14:15], v[14:15], v[16:17]
	v_fma_f64 v[18:19], v[18:19], v[58:59], -v[20:21]
	s_waitcnt vmcnt(4) lgkmcnt(1)
	v_mul_f64 v[16:17], v[6:7], v[48:49]
	v_fmac_f64_e32 v[16:17], v[8:9], v[46:47]
	v_add_f64 v[14:15], v[14:15], v[16:17]
	s_waitcnt vmcnt(0) lgkmcnt(0)
	v_mul_f64 v[16:17], v[2:3], v[52:53]
	v_fmac_f64_e32 v[16:17], v[4:5], v[50:51]
	v_add_f64 v[22:23], v[14:15], v[16:17]
	ds_read_b128 v[14:17], v1 offset:1536
	buffer_load_dword v55, off, s[0:3], 0 offset:740
	buffer_load_dword v54, off, s[0:3], 0 offset:736
	;; [unrolled: 1-line block ×4, first 2 shown]
	v_mul_f64 v[12:13], v[12:13], v[60:61]
	v_add_f64 v[18:19], v[18:19], 0
	v_fma_f64 v[10:11], v[10:11], v[56:57], -v[12:13]
	v_mul_f64 v[8:9], v[8:9], v[48:49]
	v_add_f64 v[10:11], v[18:19], v[10:11]
	v_fma_f64 v[6:7], v[6:7], v[46:47], -v[8:9]
	v_mul_f64 v[4:5], v[4:5], v[52:53]
	v_add_f64 v[6:7], v[10:11], v[6:7]
	v_fma_f64 v[2:3], v[2:3], v[50:51], -v[4:5]
	v_add_f64 v[2:3], v[6:7], v[2:3]
	s_waitcnt vmcnt(0) lgkmcnt(0)
	v_mul_f64 v[24:25], v[14:15], v[64:65]
	v_fmac_f64_e32 v[24:25], v[16:17], v[54:55]
	v_add_f64 v[26:27], v[22:23], v[24:25]
	ds_read_b128 v[22:25], v1 offset:1552
	buffer_load_dword v67, off, s[0:3], 0 offset:756
	buffer_load_dword v66, off, s[0:3], 0 offset:752
	buffer_load_dword v69, off, s[0:3], 0 offset:764
	buffer_load_dword v68, off, s[0:3], 0 offset:760
	v_mul_f64 v[4:5], v[16:17], v[64:65]
	v_fma_f64 v[4:5], v[14:15], v[54:55], -v[4:5]
	v_add_f64 v[2:3], v[2:3], v[4:5]
	s_waitcnt vmcnt(0) lgkmcnt(0)
	v_mul_f64 v[28:29], v[22:23], v[68:69]
	v_fmac_f64_e32 v[28:29], v[24:25], v[66:67]
	v_add_f64 v[30:31], v[26:27], v[28:29]
	ds_read_b128 v[26:29], v1 offset:1568
	buffer_load_dword v71, off, s[0:3], 0 offset:772
	buffer_load_dword v70, off, s[0:3], 0 offset:768
	buffer_load_dword v73, off, s[0:3], 0 offset:780
	buffer_load_dword v72, off, s[0:3], 0 offset:776
	v_mul_f64 v[4:5], v[24:25], v[68:69]
	v_fma_f64 v[4:5], v[22:23], v[66:67], -v[4:5]
	;; [unrolled: 12-line block ×5, first 2 shown]
	v_add_f64 v[2:3], v[2:3], v[4:5]
	s_waitcnt vmcnt(0) lgkmcnt(0)
	v_mul_f64 v[4:5], v[40:41], v[86:87]
	v_mul_f64 v[88:89], v[38:39], v[86:87]
	v_fma_f64 v[4:5], v[38:39], v[82:83], -v[4:5]
	v_fmac_f64_e32 v[88:89], v[40:41], v[82:83]
	v_add_f64 v[2:3], v[2:3], v[4:5]
	v_add_f64 v[84:85], v[84:85], v[88:89]
	v_add_f64 v[2:3], v[44:45], -v[2:3]
	v_add_f64 v[4:5], v[42:43], -v[84:85]
	buffer_store_dword v3, off, s[0:3], 0 offset:660
	buffer_store_dword v2, off, s[0:3], 0 offset:656
	;; [unrolled: 1-line block ×4, first 2 shown]
	s_and_saveexec_b64 s[4:5], vcc
	s_cbranch_execz .LBB114_241
; %bb.240:
	v_accvgpr_read_b32 v0, a113
	buffer_load_dword v2, v0, s[0:3], 0 offen
	buffer_load_dword v3, v0, s[0:3], 0 offen offset:4
	buffer_load_dword v4, v0, s[0:3], 0 offen offset:8
	;; [unrolled: 1-line block ×3, first 2 shown]
	v_mov_b32_e32 v0, 0
	v_accvgpr_read_b32 v1, a153
	buffer_store_dword v0, off, s[0:3], 0 offset:640
	buffer_store_dword v0, off, s[0:3], 0 offset:644
	;; [unrolled: 1-line block ×4, first 2 shown]
	s_waitcnt vmcnt(4)
	ds_write_b128 v1, v[2:5]
.LBB114_241:
	s_or_b64 exec, exec, s[4:5]
	v_mov_b32_e32 v1, 0
	s_waitcnt lgkmcnt(0)
	; wave barrier
	s_waitcnt lgkmcnt(0)
	ds_read_b128 v[14:17], v1 offset:1456
	ds_read_b128 v[10:13], v1 offset:1472
	;; [unrolled: 1-line block ×4, first 2 shown]
	buffer_load_dword v48, off, s[0:3], 0 offset:640
	buffer_load_dword v49, off, s[0:3], 0 offset:644
	;; [unrolled: 1-line block ×20, first 2 shown]
	v_cmp_lt_u32_e32 vcc, 38, v254
	s_waitcnt vmcnt(12) lgkmcnt(3)
	v_mul_f64 v[18:19], v[14:15], v[56:57]
	v_fmac_f64_e32 v[18:19], v[16:17], v[50:51]
	v_add_f64 v[18:19], v[18:19], 0
	v_mul_f64 v[16:17], v[16:17], v[56:57]
	s_waitcnt vmcnt(8) lgkmcnt(2)
	v_mul_f64 v[20:21], v[10:11], v[58:59]
	v_fmac_f64_e32 v[20:21], v[12:13], v[52:53]
	v_add_f64 v[18:19], v[18:19], v[20:21]
	v_fma_f64 v[14:15], v[14:15], v[50:51], -v[16:17]
	s_waitcnt vmcnt(4) lgkmcnt(1)
	v_mul_f64 v[20:21], v[6:7], v[60:61]
	v_fmac_f64_e32 v[20:21], v[8:9], v[54:55]
	v_add_f64 v[18:19], v[18:19], v[20:21]
	s_waitcnt vmcnt(0) lgkmcnt(0)
	v_mul_f64 v[20:21], v[2:3], v[64:65]
	v_fmac_f64_e32 v[20:21], v[4:5], v[62:63]
	v_add_f64 v[22:23], v[18:19], v[20:21]
	ds_read_b128 v[18:21], v1 offset:1520
	buffer_load_dword v67, off, s[0:3], 0 offset:724
	buffer_load_dword v66, off, s[0:3], 0 offset:720
	;; [unrolled: 1-line block ×4, first 2 shown]
	v_mul_f64 v[12:13], v[12:13], v[58:59]
	v_add_f64 v[14:15], v[14:15], 0
	v_fma_f64 v[10:11], v[10:11], v[52:53], -v[12:13]
	v_mul_f64 v[8:9], v[8:9], v[60:61]
	v_add_f64 v[10:11], v[14:15], v[10:11]
	v_fma_f64 v[6:7], v[6:7], v[54:55], -v[8:9]
	;; [unrolled: 3-line block ×3, first 2 shown]
	v_add_f64 v[2:3], v[6:7], v[2:3]
	s_waitcnt vmcnt(0) lgkmcnt(0)
	v_mul_f64 v[24:25], v[18:19], v[68:69]
	v_fmac_f64_e32 v[24:25], v[20:21], v[66:67]
	v_add_f64 v[26:27], v[22:23], v[24:25]
	ds_read_b128 v[22:25], v1 offset:1536
	buffer_load_dword v71, off, s[0:3], 0 offset:740
	buffer_load_dword v70, off, s[0:3], 0 offset:736
	buffer_load_dword v73, off, s[0:3], 0 offset:748
	buffer_load_dword v72, off, s[0:3], 0 offset:744
	v_mul_f64 v[4:5], v[20:21], v[68:69]
	v_fma_f64 v[4:5], v[18:19], v[66:67], -v[4:5]
	v_add_f64 v[2:3], v[2:3], v[4:5]
	s_waitcnt vmcnt(0) lgkmcnt(0)
	v_mul_f64 v[28:29], v[22:23], v[72:73]
	v_fmac_f64_e32 v[28:29], v[24:25], v[70:71]
	v_add_f64 v[30:31], v[26:27], v[28:29]
	ds_read_b128 v[26:29], v1 offset:1552
	buffer_load_dword v75, off, s[0:3], 0 offset:756
	buffer_load_dword v74, off, s[0:3], 0 offset:752
	buffer_load_dword v77, off, s[0:3], 0 offset:764
	buffer_load_dword v76, off, s[0:3], 0 offset:760
	v_mul_f64 v[4:5], v[24:25], v[72:73]
	v_fma_f64 v[4:5], v[22:23], v[70:71], -v[4:5]
	;; [unrolled: 12-line block ×6, first 2 shown]
	v_add_f64 v[2:3], v[2:3], v[4:5]
	s_waitcnt vmcnt(0) lgkmcnt(0)
	v_mul_f64 v[4:5], v[44:45], v[92:93]
	v_mul_f64 v[96:97], v[42:43], v[92:93]
	v_fma_f64 v[4:5], v[42:43], v[90:91], -v[4:5]
	v_fmac_f64_e32 v[96:97], v[44:45], v[90:91]
	v_add_f64 v[2:3], v[2:3], v[4:5]
	v_add_f64 v[94:95], v[94:95], v[96:97]
	v_add_f64 v[2:3], v[48:49], -v[2:3]
	v_add_f64 v[4:5], v[46:47], -v[94:95]
	buffer_store_dword v3, off, s[0:3], 0 offset:644
	buffer_store_dword v2, off, s[0:3], 0 offset:640
	;; [unrolled: 1-line block ×4, first 2 shown]
	s_and_saveexec_b64 s[4:5], vcc
	s_cbranch_execz .LBB114_243
; %bb.242:
	v_accvgpr_read_b32 v0, a114
	buffer_load_dword v2, v0, s[0:3], 0 offen
	buffer_load_dword v3, v0, s[0:3], 0 offen offset:4
	buffer_load_dword v4, v0, s[0:3], 0 offen offset:8
	;; [unrolled: 1-line block ×3, first 2 shown]
	v_accvgpr_read_b32 v0, a153
	buffer_store_dword v1, off, s[0:3], 0 offset:624
	buffer_store_dword v1, off, s[0:3], 0 offset:628
	;; [unrolled: 1-line block ×4, first 2 shown]
	s_waitcnt vmcnt(4)
	ds_write_b128 v0, v[2:5]
.LBB114_243:
	s_or_b64 exec, exec, s[4:5]
	s_waitcnt lgkmcnt(0)
	; wave barrier
	s_waitcnt lgkmcnt(0)
	ds_read_b128 v[14:17], v1 offset:1440
	ds_read_b128 v[10:13], v1 offset:1456
	;; [unrolled: 1-line block ×4, first 2 shown]
	buffer_load_dword v48, off, s[0:3], 0 offset:624
	buffer_load_dword v49, off, s[0:3], 0 offset:628
	;; [unrolled: 1-line block ×20, first 2 shown]
	v_cmp_lt_u32_e32 vcc, 37, v254
	s_waitcnt vmcnt(12) lgkmcnt(3)
	v_mul_f64 v[18:19], v[14:15], v[56:57]
	v_fmac_f64_e32 v[18:19], v[16:17], v[50:51]
	v_add_f64 v[18:19], v[18:19], 0
	v_mul_f64 v[16:17], v[16:17], v[56:57]
	s_waitcnt vmcnt(8) lgkmcnt(2)
	v_mul_f64 v[20:21], v[10:11], v[58:59]
	v_fmac_f64_e32 v[20:21], v[12:13], v[52:53]
	v_add_f64 v[18:19], v[18:19], v[20:21]
	v_fma_f64 v[14:15], v[14:15], v[50:51], -v[16:17]
	s_waitcnt vmcnt(4) lgkmcnt(1)
	v_mul_f64 v[20:21], v[6:7], v[60:61]
	v_fmac_f64_e32 v[20:21], v[8:9], v[54:55]
	v_add_f64 v[18:19], v[18:19], v[20:21]
	s_waitcnt vmcnt(0) lgkmcnt(0)
	v_mul_f64 v[20:21], v[2:3], v[64:65]
	v_fmac_f64_e32 v[20:21], v[4:5], v[62:63]
	v_add_f64 v[22:23], v[18:19], v[20:21]
	ds_read_b128 v[18:21], v1 offset:1504
	buffer_load_dword v67, off, s[0:3], 0 offset:708
	buffer_load_dword v66, off, s[0:3], 0 offset:704
	;; [unrolled: 1-line block ×4, first 2 shown]
	v_mul_f64 v[12:13], v[12:13], v[58:59]
	v_add_f64 v[14:15], v[14:15], 0
	v_fma_f64 v[10:11], v[10:11], v[52:53], -v[12:13]
	v_mul_f64 v[8:9], v[8:9], v[60:61]
	v_add_f64 v[10:11], v[14:15], v[10:11]
	v_fma_f64 v[6:7], v[6:7], v[54:55], -v[8:9]
	;; [unrolled: 3-line block ×3, first 2 shown]
	v_add_f64 v[2:3], v[6:7], v[2:3]
	s_waitcnt vmcnt(0) lgkmcnt(0)
	v_mul_f64 v[24:25], v[18:19], v[68:69]
	v_fmac_f64_e32 v[24:25], v[20:21], v[66:67]
	v_add_f64 v[26:27], v[22:23], v[24:25]
	ds_read_b128 v[22:25], v1 offset:1520
	buffer_load_dword v71, off, s[0:3], 0 offset:724
	buffer_load_dword v70, off, s[0:3], 0 offset:720
	buffer_load_dword v73, off, s[0:3], 0 offset:732
	buffer_load_dword v72, off, s[0:3], 0 offset:728
	v_mul_f64 v[4:5], v[20:21], v[68:69]
	v_fma_f64 v[4:5], v[18:19], v[66:67], -v[4:5]
	v_add_f64 v[2:3], v[2:3], v[4:5]
	s_waitcnt vmcnt(0) lgkmcnt(0)
	v_mul_f64 v[28:29], v[22:23], v[72:73]
	v_fmac_f64_e32 v[28:29], v[24:25], v[70:71]
	v_add_f64 v[30:31], v[26:27], v[28:29]
	ds_read_b128 v[26:29], v1 offset:1536
	buffer_load_dword v75, off, s[0:3], 0 offset:740
	buffer_load_dword v74, off, s[0:3], 0 offset:736
	buffer_load_dword v77, off, s[0:3], 0 offset:748
	buffer_load_dword v76, off, s[0:3], 0 offset:744
	v_mul_f64 v[4:5], v[24:25], v[72:73]
	v_fma_f64 v[4:5], v[22:23], v[70:71], -v[4:5]
	;; [unrolled: 12-line block ×7, first 2 shown]
	v_add_f64 v[2:3], v[2:3], v[4:5]
	s_waitcnt vmcnt(0) lgkmcnt(0)
	v_mul_f64 v[4:5], v[96:97], v[102:103]
	v_mul_f64 v[104:105], v[94:95], v[102:103]
	v_fma_f64 v[4:5], v[94:95], v[100:101], -v[4:5]
	v_fmac_f64_e32 v[104:105], v[96:97], v[100:101]
	v_add_f64 v[2:3], v[2:3], v[4:5]
	v_add_f64 v[98:99], v[98:99], v[104:105]
	v_add_f64 v[2:3], v[48:49], -v[2:3]
	v_add_f64 v[4:5], v[46:47], -v[98:99]
	buffer_store_dword v3, off, s[0:3], 0 offset:628
	buffer_store_dword v2, off, s[0:3], 0 offset:624
	;; [unrolled: 1-line block ×4, first 2 shown]
	s_and_saveexec_b64 s[4:5], vcc
	s_cbranch_execz .LBB114_245
; %bb.244:
	v_accvgpr_read_b32 v0, a115
	buffer_load_dword v2, v0, s[0:3], 0 offen
	buffer_load_dword v3, v0, s[0:3], 0 offen offset:4
	buffer_load_dword v4, v0, s[0:3], 0 offen offset:8
	;; [unrolled: 1-line block ×3, first 2 shown]
	v_mov_b32_e32 v0, 0
	v_accvgpr_read_b32 v1, a153
	buffer_store_dword v0, off, s[0:3], 0 offset:608
	buffer_store_dword v0, off, s[0:3], 0 offset:612
	;; [unrolled: 1-line block ×4, first 2 shown]
	s_waitcnt vmcnt(4)
	ds_write_b128 v1, v[2:5]
.LBB114_245:
	s_or_b64 exec, exec, s[4:5]
	s_waitcnt lgkmcnt(0)
	; wave barrier
	s_waitcnt lgkmcnt(0)
	buffer_load_dword v2, off, s[0:3], 0 offset:624
	buffer_load_dword v3, off, s[0:3], 0 offset:628
	;; [unrolled: 1-line block ×56, first 2 shown]
	v_mov_b32_e32 v1, 0
	ds_read_b128 v[30:33], v1 offset:1424
	ds_read_b128 v[34:37], v1 offset:1440
	;; [unrolled: 1-line block ×9, first 2 shown]
	v_cmp_lt_u32_e32 vcc, 36, v254
	s_waitcnt vmcnt(52) lgkmcnt(8)
	v_mul_f64 v[62:63], v[30:31], v[6:7]
	v_fmac_f64_e32 v[62:63], v[32:33], v[2:3]
	v_mul_f64 v[6:7], v[32:33], v[6:7]
	v_add_f64 v[62:63], v[62:63], 0
	s_waitcnt vmcnt(48) lgkmcnt(7)
	v_mul_f64 v[64:65], v[34:35], v[8:9]
	v_fmac_f64_e32 v[64:65], v[36:37], v[4:5]
	s_waitcnt vmcnt(46) lgkmcnt(6)
	v_mul_f64 v[66:67], v[38:39], v[10:11]
	v_fma_f64 v[2:3], v[30:31], v[2:3], -v[6:7]
	v_mul_f64 v[6:7], v[36:37], v[8:9]
	s_waitcnt vmcnt(44) lgkmcnt(5)
	v_mul_f64 v[68:69], v[42:43], v[12:13]
	v_add_f64 v[62:63], v[62:63], v[64:65]
	v_add_f64 v[2:3], v[2:3], 0
	v_fma_f64 v[4:5], v[34:35], v[4:5], -v[6:7]
	v_add_f64 v[2:3], v[2:3], v[4:5]
	v_mul_f64 v[4:5], v[40:41], v[10:11]
	s_waitcnt vmcnt(37) lgkmcnt(4)
	v_mul_f64 v[70:71], v[46:47], v[20:21]
	s_waitcnt lgkmcnt(3)
	v_mul_f64 v[72:73], v[50:51], v[18:19]
	s_waitcnt vmcnt(35)
	v_fmac_f64_e32 v[70:71], v[48:49], v[22:23]
	s_waitcnt lgkmcnt(2)
	v_mul_f64 v[74:75], v[54:55], v[14:15]
	s_waitcnt vmcnt(33)
	v_fmac_f64_e32 v[66:67], v[40:41], v[28:29]
	v_add_f64 v[62:63], v[62:63], v[66:67]
	s_waitcnt vmcnt(31)
	v_fmac_f64_e32 v[68:69], v[44:45], v[26:27]
	v_add_f64 v[62:63], v[62:63], v[68:69]
	v_fma_f64 v[4:5], v[38:39], v[28:29], -v[4:5]
	s_waitcnt vmcnt(29)
	v_fmac_f64_e32 v[72:73], v[52:53], v[24:25]
	v_add_f64 v[62:63], v[62:63], v[70:71]
	v_add_f64 v[2:3], v[2:3], v[4:5]
	v_mul_f64 v[4:5], v[44:45], v[12:13]
	s_waitcnt vmcnt(28)
	v_fmac_f64_e32 v[74:75], v[56:57], v[16:17]
	v_add_f64 v[62:63], v[62:63], v[72:73]
	v_fma_f64 v[4:5], v[42:43], v[26:27], -v[4:5]
	v_add_f64 v[66:67], v[62:63], v[74:75]
	ds_read_b128 v[62:65], v1 offset:1552
	s_waitcnt vmcnt(24) lgkmcnt(2)
	v_mul_f64 v[68:69], v[58:59], v[86:87]
	v_add_f64 v[2:3], v[2:3], v[4:5]
	v_mul_f64 v[4:5], v[48:49], v[20:21]
	s_waitcnt vmcnt(22)
	v_fmac_f64_e32 v[68:69], v[60:61], v[88:89]
	v_fma_f64 v[4:5], v[46:47], v[22:23], -v[4:5]
	v_add_f64 v[70:71], v[66:67], v[68:69]
	ds_read_b128 v[66:69], v1 offset:1568
	v_add_f64 v[2:3], v[2:3], v[4:5]
	v_mul_f64 v[4:5], v[52:53], v[18:19]
	v_fma_f64 v[4:5], v[50:51], v[24:25], -v[4:5]
	v_add_f64 v[2:3], v[2:3], v[4:5]
	v_mul_f64 v[4:5], v[56:57], v[14:15]
	s_waitcnt vmcnt(21) lgkmcnt(1)
	v_mul_f64 v[72:73], v[62:63], v[82:83]
	v_fma_f64 v[4:5], v[54:55], v[16:17], -v[4:5]
	s_waitcnt vmcnt(20)
	v_fmac_f64_e32 v[72:73], v[64:65], v[84:85]
	v_add_f64 v[2:3], v[2:3], v[4:5]
	v_mul_f64 v[4:5], v[60:61], v[86:87]
	v_add_f64 v[74:75], v[70:71], v[72:73]
	ds_read_b128 v[70:73], v1 offset:1584
	s_waitcnt vmcnt(16) lgkmcnt(1)
	v_mul_f64 v[76:77], v[66:67], v[94:95]
	v_fma_f64 v[4:5], v[58:59], v[88:89], -v[4:5]
	s_waitcnt vmcnt(14)
	v_fmac_f64_e32 v[76:77], v[68:69], v[96:97]
	v_add_f64 v[2:3], v[2:3], v[4:5]
	v_mul_f64 v[4:5], v[64:65], v[82:83]
	v_add_f64 v[110:111], v[74:75], v[76:77]
	ds_read_b128 v[74:77], v1 offset:1600
	v_fma_f64 v[4:5], v[62:63], v[84:85], -v[4:5]
	v_add_f64 v[2:3], v[2:3], v[4:5]
	v_mul_f64 v[4:5], v[68:69], v[94:95]
	v_fma_f64 v[4:5], v[66:67], v[96:97], -v[4:5]
	v_add_f64 v[2:3], v[2:3], v[4:5]
	s_waitcnt vmcnt(13) lgkmcnt(1)
	v_mul_f64 v[4:5], v[72:73], v[90:91]
	v_mul_f64 v[112:113], v[70:71], v[90:91]
	s_waitcnt vmcnt(12)
	v_fma_f64 v[4:5], v[70:71], v[92:93], -v[4:5]
	v_fmac_f64_e32 v[112:113], v[72:73], v[92:93]
	v_add_f64 v[2:3], v[2:3], v[4:5]
	s_waitcnt vmcnt(8) lgkmcnt(0)
	v_mul_f64 v[4:5], v[76:77], v[102:103]
	v_add_f64 v[110:111], v[110:111], v[112:113]
	v_mul_f64 v[112:113], v[74:75], v[102:103]
	s_waitcnt vmcnt(6)
	v_fma_f64 v[4:5], v[74:75], v[104:105], -v[4:5]
	v_fmac_f64_e32 v[112:113], v[76:77], v[104:105]
	v_add_f64 v[2:3], v[2:3], v[4:5]
	s_waitcnt vmcnt(5)
	v_mul_f64 v[4:5], v[80:81], v[98:99]
	v_add_f64 v[110:111], v[110:111], v[112:113]
	v_mul_f64 v[112:113], v[78:79], v[98:99]
	s_waitcnt vmcnt(4)
	v_fma_f64 v[4:5], v[78:79], v[100:101], -v[4:5]
	v_fmac_f64_e32 v[112:113], v[80:81], v[100:101]
	v_add_f64 v[2:3], v[2:3], v[4:5]
	v_add_f64 v[110:111], v[110:111], v[112:113]
	s_waitcnt vmcnt(2)
	v_add_f64 v[2:3], v[106:107], -v[2:3]
	s_waitcnt vmcnt(0)
	v_add_f64 v[4:5], v[108:109], -v[110:111]
	buffer_store_dword v3, off, s[0:3], 0 offset:612
	buffer_store_dword v2, off, s[0:3], 0 offset:608
	;; [unrolled: 1-line block ×4, first 2 shown]
	s_and_saveexec_b64 s[4:5], vcc
	s_cbranch_execz .LBB114_247
; %bb.246:
	v_accvgpr_read_b32 v0, a116
	buffer_load_dword v2, v0, s[0:3], 0 offen
	buffer_load_dword v3, v0, s[0:3], 0 offen offset:4
	buffer_load_dword v4, v0, s[0:3], 0 offen offset:8
	;; [unrolled: 1-line block ×3, first 2 shown]
	v_accvgpr_read_b32 v0, a153
	buffer_store_dword v1, off, s[0:3], 0 offset:592
	buffer_store_dword v1, off, s[0:3], 0 offset:596
	;; [unrolled: 1-line block ×4, first 2 shown]
	s_waitcnt vmcnt(4)
	ds_write_b128 v0, v[2:5]
.LBB114_247:
	s_or_b64 exec, exec, s[4:5]
	s_waitcnt lgkmcnt(0)
	; wave barrier
	s_waitcnt lgkmcnt(0)
	buffer_load_dword v2, off, s[0:3], 0 offset:608
	buffer_load_dword v3, off, s[0:3], 0 offset:612
	;; [unrolled: 1-line block ×60, first 2 shown]
	ds_read_b128 v[30:33], v1 offset:1408
	ds_read_b128 v[34:37], v1 offset:1424
	;; [unrolled: 1-line block ×8, first 2 shown]
	v_cmp_lt_u32_e32 vcc, 35, v254
	ds_read_b128 v[82:85], v1 offset:1616
	s_waitcnt vmcnt(56) lgkmcnt(8)
	v_mul_f64 v[62:63], v[30:31], v[6:7]
	v_fmac_f64_e32 v[62:63], v[32:33], v[2:3]
	v_add_f64 v[62:63], v[62:63], 0
	v_mul_f64 v[6:7], v[32:33], v[6:7]
	s_waitcnt vmcnt(52) lgkmcnt(7)
	v_mul_f64 v[64:65], v[34:35], v[8:9]
	v_fmac_f64_e32 v[64:65], v[36:37], v[4:5]
	s_waitcnt vmcnt(50) lgkmcnt(6)
	v_mul_f64 v[66:67], v[38:39], v[10:11]
	v_add_f64 v[62:63], v[62:63], v[64:65]
	s_waitcnt vmcnt(48) lgkmcnt(4)
	v_mul_f64 v[70:71], v[46:47], v[12:13]
	v_fma_f64 v[2:3], v[30:31], v[2:3], -v[6:7]
	s_waitcnt vmcnt(46)
	v_fmac_f64_e32 v[70:71], v[48:49], v[14:15]
	v_mul_f64 v[6:7], v[36:37], v[8:9]
	s_waitcnt vmcnt(44)
	v_mul_f64 v[68:69], v[42:43], v[16:17]
	v_add_f64 v[2:3], v[2:3], 0
	v_fma_f64 v[4:5], v[34:35], v[4:5], -v[6:7]
	v_add_f64 v[2:3], v[2:3], v[4:5]
	s_waitcnt vmcnt(40) lgkmcnt(3)
	v_mul_f64 v[72:73], v[50:51], v[22:23]
	v_mul_f64 v[4:5], v[40:41], v[10:11]
	s_waitcnt vmcnt(38)
	v_fmac_f64_e32 v[66:67], v[40:41], v[28:29]
	v_add_f64 v[62:63], v[62:63], v[66:67]
	s_waitcnt vmcnt(36)
	v_fmac_f64_e32 v[68:69], v[44:45], v[26:27]
	v_add_f64 v[62:63], v[62:63], v[68:69]
	;; [unrolled: 3-line block ×3, first 2 shown]
	s_waitcnt vmcnt(33) lgkmcnt(2)
	v_mul_f64 v[64:65], v[54:55], v[18:19]
	v_add_f64 v[62:63], v[62:63], v[72:73]
	s_waitcnt vmcnt(32)
	v_fmac_f64_e32 v[64:65], v[56:57], v[20:21]
	v_add_f64 v[66:67], v[62:63], v[64:65]
	ds_read_b128 v[62:65], v1 offset:1536
	v_fma_f64 v[4:5], v[38:39], v[28:29], -v[4:5]
	v_add_f64 v[2:3], v[2:3], v[4:5]
	v_mul_f64 v[4:5], v[44:45], v[16:17]
	v_fma_f64 v[4:5], v[42:43], v[26:27], -v[4:5]
	s_waitcnt vmcnt(28) lgkmcnt(2)
	v_mul_f64 v[68:69], v[58:59], v[90:91]
	v_add_f64 v[2:3], v[2:3], v[4:5]
	v_mul_f64 v[4:5], v[48:49], v[12:13]
	s_waitcnt vmcnt(26)
	v_fmac_f64_e32 v[68:69], v[60:61], v[92:93]
	v_fma_f64 v[4:5], v[46:47], v[14:15], -v[4:5]
	v_add_f64 v[70:71], v[66:67], v[68:69]
	ds_read_b128 v[66:69], v1 offset:1552
	s_waitcnt vmcnt(25) lgkmcnt(1)
	v_mul_f64 v[72:73], v[62:63], v[86:87]
	v_add_f64 v[2:3], v[2:3], v[4:5]
	v_mul_f64 v[4:5], v[52:53], v[22:23]
	s_waitcnt vmcnt(24)
	v_fmac_f64_e32 v[72:73], v[64:65], v[88:89]
	v_fma_f64 v[4:5], v[50:51], v[24:25], -v[4:5]
	v_add_f64 v[74:75], v[70:71], v[72:73]
	ds_read_b128 v[70:73], v1 offset:1568
	v_add_f64 v[2:3], v[2:3], v[4:5]
	v_mul_f64 v[4:5], v[56:57], v[18:19]
	v_fma_f64 v[4:5], v[54:55], v[20:21], -v[4:5]
	v_add_f64 v[2:3], v[2:3], v[4:5]
	v_mul_f64 v[4:5], v[60:61], v[90:91]
	s_waitcnt vmcnt(20) lgkmcnt(1)
	v_mul_f64 v[76:77], v[66:67], v[98:99]
	v_fma_f64 v[4:5], v[58:59], v[92:93], -v[4:5]
	s_waitcnt vmcnt(18)
	v_fmac_f64_e32 v[76:77], v[68:69], v[100:101]
	v_add_f64 v[2:3], v[2:3], v[4:5]
	v_mul_f64 v[4:5], v[64:65], v[86:87]
	v_add_f64 v[78:79], v[74:75], v[76:77]
	ds_read_b128 v[74:77], v1 offset:1584
	s_waitcnt vmcnt(17) lgkmcnt(1)
	v_mul_f64 v[80:81], v[70:71], v[94:95]
	v_fma_f64 v[4:5], v[62:63], v[88:89], -v[4:5]
	s_waitcnt vmcnt(16)
	v_fmac_f64_e32 v[80:81], v[72:73], v[96:97]
	v_add_f64 v[2:3], v[2:3], v[4:5]
	v_mul_f64 v[4:5], v[68:69], v[98:99]
	v_add_f64 v[118:119], v[78:79], v[80:81]
	ds_read_b128 v[78:81], v1 offset:1600
	v_fma_f64 v[4:5], v[66:67], v[100:101], -v[4:5]
	v_add_f64 v[2:3], v[2:3], v[4:5]
	v_mul_f64 v[4:5], v[72:73], v[94:95]
	v_fma_f64 v[4:5], v[70:71], v[96:97], -v[4:5]
	v_add_f64 v[2:3], v[2:3], v[4:5]
	s_waitcnt vmcnt(12) lgkmcnt(1)
	v_mul_f64 v[4:5], v[76:77], v[106:107]
	v_mul_f64 v[120:121], v[74:75], v[106:107]
	s_waitcnt vmcnt(10)
	v_fma_f64 v[4:5], v[74:75], v[108:109], -v[4:5]
	v_fmac_f64_e32 v[120:121], v[76:77], v[108:109]
	v_add_f64 v[2:3], v[2:3], v[4:5]
	s_waitcnt vmcnt(9) lgkmcnt(0)
	v_mul_f64 v[4:5], v[80:81], v[102:103]
	v_add_f64 v[118:119], v[118:119], v[120:121]
	v_mul_f64 v[120:121], v[78:79], v[102:103]
	s_waitcnt vmcnt(8)
	v_fma_f64 v[4:5], v[78:79], v[104:105], -v[4:5]
	v_fmac_f64_e32 v[120:121], v[80:81], v[104:105]
	v_add_f64 v[2:3], v[2:3], v[4:5]
	s_waitcnt vmcnt(6)
	v_mul_f64 v[4:5], v[84:85], v[110:111]
	v_add_f64 v[118:119], v[118:119], v[120:121]
	v_mul_f64 v[120:121], v[82:83], v[110:111]
	s_waitcnt vmcnt(4)
	v_fma_f64 v[4:5], v[82:83], v[112:113], -v[4:5]
	v_fmac_f64_e32 v[120:121], v[84:85], v[112:113]
	v_add_f64 v[2:3], v[2:3], v[4:5]
	v_add_f64 v[118:119], v[118:119], v[120:121]
	s_waitcnt vmcnt(2)
	v_add_f64 v[2:3], v[114:115], -v[2:3]
	s_waitcnt vmcnt(0)
	v_add_f64 v[4:5], v[116:117], -v[118:119]
	buffer_store_dword v3, off, s[0:3], 0 offset:596
	buffer_store_dword v2, off, s[0:3], 0 offset:592
	;; [unrolled: 1-line block ×4, first 2 shown]
	s_and_saveexec_b64 s[4:5], vcc
	s_cbranch_execz .LBB114_249
; %bb.248:
	v_accvgpr_read_b32 v0, a117
	buffer_load_dword v2, v0, s[0:3], 0 offen
	buffer_load_dword v3, v0, s[0:3], 0 offen offset:4
	buffer_load_dword v4, v0, s[0:3], 0 offen offset:8
	;; [unrolled: 1-line block ×3, first 2 shown]
	v_mov_b32_e32 v0, 0
	v_accvgpr_read_b32 v1, a153
	buffer_store_dword v0, off, s[0:3], 0 offset:576
	buffer_store_dword v0, off, s[0:3], 0 offset:580
	;; [unrolled: 1-line block ×4, first 2 shown]
	s_waitcnt vmcnt(4)
	ds_write_b128 v1, v[2:5]
.LBB114_249:
	s_or_b64 exec, exec, s[4:5]
	s_waitcnt lgkmcnt(0)
	; wave barrier
	s_waitcnt lgkmcnt(0)
	buffer_load_dword v2, off, s[0:3], 0 offset:592
	buffer_load_dword v3, off, s[0:3], 0 offset:596
	;; [unrolled: 1-line block ×64, first 2 shown]
	v_mov_b32_e32 v1, 0
	ds_read_b128 v[38:41], v1 offset:1392
	ds_read_b128 v[42:45], v1 offset:1408
	;; [unrolled: 1-line block ×7, first 2 shown]
	v_cmp_lt_u32_e32 vcc, 34, v254
	s_waitcnt vmcnt(60) lgkmcnt(6)
	v_mul_f64 v[62:63], v[38:39], v[4:5]
	v_fmac_f64_e32 v[62:63], v[40:41], v[2:3]
	s_waitcnt vmcnt(58) lgkmcnt(5)
	v_mul_f64 v[64:65], v[42:43], v[6:7]
	v_add_f64 v[62:63], v[62:63], 0
	s_waitcnt vmcnt(56) lgkmcnt(4)
	v_mul_f64 v[66:67], v[46:47], v[8:9]
	v_mul_f64 v[4:5], v[40:41], v[4:5]
	s_waitcnt vmcnt(54) lgkmcnt(2)
	v_mul_f64 v[70:71], v[54:55], v[10:11]
	v_fma_f64 v[2:3], v[38:39], v[2:3], -v[4:5]
	v_mul_f64 v[4:5], v[44:45], v[6:7]
	s_waitcnt vmcnt(51)
	v_mul_f64 v[68:69], v[50:51], v[14:15]
	v_add_f64 v[2:3], v[2:3], 0
	s_waitcnt vmcnt(49)
	v_fmac_f64_e32 v[64:65], v[44:45], v[20:21]
	v_add_f64 v[62:63], v[62:63], v[64:65]
	s_waitcnt vmcnt(47)
	v_fmac_f64_e32 v[66:67], v[48:49], v[18:19]
	;; [unrolled: 3-line block ×4, first 2 shown]
	v_add_f64 v[66:67], v[62:63], v[70:71]
	ds_read_b128 v[62:65], v1 offset:1488
	s_waitcnt vmcnt(40) lgkmcnt(2)
	v_mul_f64 v[68:69], v[58:59], v[26:27]
	v_fma_f64 v[4:5], v[42:43], v[20:21], -v[4:5]
	s_waitcnt vmcnt(38)
	v_fmac_f64_e32 v[68:69], v[60:61], v[28:29]
	v_add_f64 v[70:71], v[66:67], v[68:69]
	ds_read_b128 v[66:69], v1 offset:1504
	s_waitcnt vmcnt(37) lgkmcnt(1)
	v_mul_f64 v[72:73], v[62:63], v[22:23]
	s_waitcnt vmcnt(36)
	v_fmac_f64_e32 v[72:73], v[64:65], v[24:25]
	v_add_f64 v[2:3], v[2:3], v[4:5]
	v_mul_f64 v[4:5], v[48:49], v[8:9]
	v_add_f64 v[74:75], v[70:71], v[72:73]
	ds_read_b128 v[70:73], v1 offset:1520
	s_waitcnt vmcnt(32) lgkmcnt(1)
	v_mul_f64 v[76:77], v[66:67], v[34:35]
	v_fma_f64 v[4:5], v[46:47], v[18:19], -v[4:5]
	s_waitcnt vmcnt(30)
	v_fmac_f64_e32 v[76:77], v[68:69], v[36:37]
	v_add_f64 v[2:3], v[2:3], v[4:5]
	v_mul_f64 v[4:5], v[52:53], v[14:15]
	v_add_f64 v[78:79], v[74:75], v[76:77]
	ds_read_b128 v[74:77], v1 offset:1536
	v_fma_f64 v[4:5], v[50:51], v[16:17], -v[4:5]
	v_add_f64 v[2:3], v[2:3], v[4:5]
	v_mul_f64 v[4:5], v[56:57], v[10:11]
	v_fma_f64 v[4:5], v[54:55], v[12:13], -v[4:5]
	s_waitcnt vmcnt(29) lgkmcnt(1)
	v_mul_f64 v[80:81], v[70:71], v[30:31]
	v_add_f64 v[2:3], v[2:3], v[4:5]
	v_mul_f64 v[4:5], v[60:61], v[26:27]
	s_waitcnt vmcnt(28)
	v_fmac_f64_e32 v[80:81], v[72:73], v[32:33]
	v_fma_f64 v[4:5], v[58:59], v[28:29], -v[4:5]
	v_add_f64 v[82:83], v[78:79], v[80:81]
	ds_read_b128 v[78:81], v1 offset:1552
	s_waitcnt vmcnt(24) lgkmcnt(1)
	v_mul_f64 v[84:85], v[74:75], v[102:103]
	v_add_f64 v[2:3], v[2:3], v[4:5]
	v_mul_f64 v[4:5], v[64:65], v[22:23]
	s_waitcnt vmcnt(22)
	v_fmac_f64_e32 v[84:85], v[76:77], v[104:105]
	v_fma_f64 v[4:5], v[62:63], v[24:25], -v[4:5]
	v_add_f64 v[86:87], v[82:83], v[84:85]
	ds_read_b128 v[82:85], v1 offset:1568
	v_add_f64 v[2:3], v[2:3], v[4:5]
	v_mul_f64 v[4:5], v[68:69], v[34:35]
	v_fma_f64 v[4:5], v[66:67], v[36:37], -v[4:5]
	v_add_f64 v[2:3], v[2:3], v[4:5]
	v_mul_f64 v[4:5], v[72:73], v[30:31]
	s_waitcnt vmcnt(21) lgkmcnt(1)
	v_mul_f64 v[88:89], v[78:79], v[98:99]
	v_fma_f64 v[4:5], v[70:71], v[32:33], -v[4:5]
	s_waitcnt vmcnt(20)
	v_fmac_f64_e32 v[88:89], v[80:81], v[100:101]
	v_add_f64 v[2:3], v[2:3], v[4:5]
	v_mul_f64 v[4:5], v[76:77], v[102:103]
	v_add_f64 v[90:91], v[86:87], v[88:89]
	ds_read_b128 v[86:89], v1 offset:1584
	s_waitcnt vmcnt(16) lgkmcnt(1)
	v_mul_f64 v[92:93], v[82:83], v[110:111]
	v_fma_f64 v[4:5], v[74:75], v[104:105], -v[4:5]
	s_waitcnt vmcnt(14)
	v_fmac_f64_e32 v[92:93], v[84:85], v[112:113]
	v_add_f64 v[2:3], v[2:3], v[4:5]
	v_mul_f64 v[4:5], v[80:81], v[98:99]
	v_add_f64 v[126:127], v[90:91], v[92:93]
	ds_read_b128 v[90:93], v1 offset:1600
	v_fma_f64 v[4:5], v[78:79], v[100:101], -v[4:5]
	v_add_f64 v[2:3], v[2:3], v[4:5]
	v_mul_f64 v[4:5], v[84:85], v[110:111]
	v_fma_f64 v[4:5], v[82:83], v[112:113], -v[4:5]
	v_add_f64 v[2:3], v[2:3], v[4:5]
	s_waitcnt vmcnt(13) lgkmcnt(1)
	v_mul_f64 v[4:5], v[88:89], v[106:107]
	v_mul_f64 v[128:129], v[86:87], v[106:107]
	s_waitcnt vmcnt(12)
	v_fma_f64 v[4:5], v[86:87], v[108:109], -v[4:5]
	v_fmac_f64_e32 v[128:129], v[88:89], v[108:109]
	v_add_f64 v[2:3], v[2:3], v[4:5]
	s_waitcnt vmcnt(8) lgkmcnt(0)
	v_mul_f64 v[4:5], v[92:93], v[118:119]
	v_add_f64 v[126:127], v[126:127], v[128:129]
	v_mul_f64 v[128:129], v[90:91], v[118:119]
	s_waitcnt vmcnt(6)
	v_fma_f64 v[4:5], v[90:91], v[120:121], -v[4:5]
	v_fmac_f64_e32 v[128:129], v[92:93], v[120:121]
	v_add_f64 v[2:3], v[2:3], v[4:5]
	s_waitcnt vmcnt(5)
	v_mul_f64 v[4:5], v[96:97], v[114:115]
	v_add_f64 v[126:127], v[126:127], v[128:129]
	v_mul_f64 v[128:129], v[94:95], v[114:115]
	s_waitcnt vmcnt(4)
	v_fma_f64 v[4:5], v[94:95], v[116:117], -v[4:5]
	v_fmac_f64_e32 v[128:129], v[96:97], v[116:117]
	v_add_f64 v[2:3], v[2:3], v[4:5]
	v_add_f64 v[126:127], v[126:127], v[128:129]
	s_waitcnt vmcnt(2)
	v_add_f64 v[2:3], v[122:123], -v[2:3]
	s_waitcnt vmcnt(0)
	v_add_f64 v[4:5], v[124:125], -v[126:127]
	buffer_store_dword v3, off, s[0:3], 0 offset:580
	buffer_store_dword v2, off, s[0:3], 0 offset:576
	;; [unrolled: 1-line block ×4, first 2 shown]
	s_and_saveexec_b64 s[4:5], vcc
	s_cbranch_execz .LBB114_251
; %bb.250:
	v_accvgpr_read_b32 v0, a118
	buffer_load_dword v2, v0, s[0:3], 0 offen
	buffer_load_dword v3, v0, s[0:3], 0 offen offset:4
	buffer_load_dword v4, v0, s[0:3], 0 offen offset:8
	;; [unrolled: 1-line block ×3, first 2 shown]
	v_accvgpr_read_b32 v0, a153
	buffer_store_dword v1, off, s[0:3], 0 offset:560
	buffer_store_dword v1, off, s[0:3], 0 offset:564
	;; [unrolled: 1-line block ×4, first 2 shown]
	s_waitcnt vmcnt(4)
	ds_write_b128 v0, v[2:5]
.LBB114_251:
	s_or_b64 exec, exec, s[4:5]
	s_waitcnt lgkmcnt(0)
	; wave barrier
	s_waitcnt lgkmcnt(0)
	buffer_load_dword v2, off, s[0:3], 0 offset:576
	buffer_load_dword v3, off, s[0:3], 0 offset:580
	;; [unrolled: 1-line block ×64, first 2 shown]
	ds_read_b128 v[46:49], v1 offset:1376
	ds_read_b128 v[50:53], v1 offset:1392
	;; [unrolled: 1-line block ×4, first 2 shown]
	buffer_load_dword v130, off, s[0:3], 0 offset:560
	buffer_load_dword v131, off, s[0:3], 0 offset:564
	;; [unrolled: 1-line block ×4, first 2 shown]
	v_cmp_lt_u32_e32 vcc, 33, v254
	ds_read_b128 v[106:109], v1 offset:1616
	s_waitcnt vmcnt(62) lgkmcnt(4)
	v_mul_f64 v[62:63], v[46:47], v[4:5]
	v_fmac_f64_e32 v[62:63], v[48:49], v[2:3]
	v_add_f64 v[62:63], v[62:63], 0
	s_waitcnt lgkmcnt(2)
	v_mul_f64 v[66:67], v[54:55], v[6:7]
	v_mul_f64 v[4:5], v[48:49], v[4:5]
	v_fma_f64 v[2:3], v[46:47], v[2:3], -v[4:5]
	s_waitcnt vmcnt(58) lgkmcnt(1)
	v_mul_f64 v[68:69], v[58:59], v[12:13]
	v_add_f64 v[2:3], v[2:3], 0
	s_waitcnt vmcnt(56)
	v_mul_f64 v[64:65], v[50:51], v[18:19]
	v_mul_f64 v[4:5], v[52:53], v[18:19]
	s_waitcnt vmcnt(53)
	v_fmac_f64_e32 v[66:67], v[56:57], v[16:17]
	s_waitcnt vmcnt(52)
	v_fmac_f64_e32 v[64:65], v[52:53], v[20:21]
	v_add_f64 v[70:71], v[62:63], v[64:65]
	ds_read_b128 v[62:65], v1 offset:1440
	v_add_f64 v[66:67], v[70:71], v[66:67]
	s_waitcnt vmcnt(50)
	v_fmac_f64_e32 v[68:69], v[60:61], v[14:15]
	v_add_f64 v[70:71], v[66:67], v[68:69]
	ds_read_b128 v[66:69], v1 offset:1456
	s_waitcnt vmcnt(49) lgkmcnt(1)
	v_mul_f64 v[72:73], v[62:63], v[8:9]
	s_waitcnt vmcnt(48)
	v_fmac_f64_e32 v[72:73], v[64:65], v[10:11]
	v_add_f64 v[74:75], v[70:71], v[72:73]
	ds_read_b128 v[70:73], v1 offset:1472
	s_waitcnt vmcnt(44) lgkmcnt(1)
	v_mul_f64 v[76:77], v[66:67], v[26:27]
	;; [unrolled: 6-line block ×3, first 2 shown]
	s_waitcnt vmcnt(40)
	v_fmac_f64_e32 v[80:81], v[72:73], v[24:25]
	v_add_f64 v[82:83], v[78:79], v[80:81]
	ds_read_b128 v[78:81], v1 offset:1504
	v_fma_f64 v[4:5], v[50:51], v[20:21], -v[4:5]
	v_add_f64 v[2:3], v[2:3], v[4:5]
	v_mul_f64 v[4:5], v[56:57], v[6:7]
	s_waitcnt vmcnt(36) lgkmcnt(1)
	v_mul_f64 v[84:85], v[74:75], v[34:35]
	v_fma_f64 v[4:5], v[54:55], v[16:17], -v[4:5]
	s_waitcnt vmcnt(34)
	v_fmac_f64_e32 v[84:85], v[76:77], v[36:37]
	v_add_f64 v[2:3], v[2:3], v[4:5]
	v_mul_f64 v[4:5], v[60:61], v[12:13]
	v_add_f64 v[86:87], v[82:83], v[84:85]
	ds_read_b128 v[82:85], v1 offset:1520
	s_waitcnt vmcnt(33) lgkmcnt(1)
	v_mul_f64 v[88:89], v[78:79], v[30:31]
	v_fma_f64 v[4:5], v[58:59], v[14:15], -v[4:5]
	s_waitcnt vmcnt(32)
	v_fmac_f64_e32 v[88:89], v[80:81], v[32:33]
	v_add_f64 v[2:3], v[2:3], v[4:5]
	v_mul_f64 v[4:5], v[64:65], v[8:9]
	v_add_f64 v[90:91], v[86:87], v[88:89]
	ds_read_b128 v[86:89], v1 offset:1536
	v_fma_f64 v[4:5], v[62:63], v[10:11], -v[4:5]
	v_add_f64 v[2:3], v[2:3], v[4:5]
	v_mul_f64 v[4:5], v[68:69], v[26:27]
	v_fma_f64 v[4:5], v[66:67], v[28:29], -v[4:5]
	s_waitcnt vmcnt(28) lgkmcnt(1)
	v_mul_f64 v[92:93], v[82:83], v[42:43]
	v_add_f64 v[2:3], v[2:3], v[4:5]
	v_mul_f64 v[4:5], v[72:73], v[22:23]
	s_waitcnt vmcnt(26)
	v_fmac_f64_e32 v[92:93], v[84:85], v[44:45]
	v_fma_f64 v[4:5], v[70:71], v[24:25], -v[4:5]
	v_add_f64 v[94:95], v[90:91], v[92:93]
	ds_read_b128 v[90:93], v1 offset:1552
	s_waitcnt vmcnt(25) lgkmcnt(1)
	v_mul_f64 v[96:97], v[86:87], v[38:39]
	v_add_f64 v[2:3], v[2:3], v[4:5]
	v_mul_f64 v[4:5], v[76:77], v[34:35]
	s_waitcnt vmcnt(24)
	v_fmac_f64_e32 v[96:97], v[88:89], v[40:41]
	v_fma_f64 v[4:5], v[74:75], v[36:37], -v[4:5]
	v_add_f64 v[98:99], v[94:95], v[96:97]
	ds_read_b128 v[94:97], v1 offset:1568
	v_add_f64 v[2:3], v[2:3], v[4:5]
	v_mul_f64 v[4:5], v[80:81], v[30:31]
	v_fma_f64 v[4:5], v[78:79], v[32:33], -v[4:5]
	v_add_f64 v[2:3], v[2:3], v[4:5]
	v_mul_f64 v[4:5], v[84:85], v[42:43]
	s_waitcnt vmcnt(20) lgkmcnt(1)
	v_mul_f64 v[100:101], v[90:91], v[114:115]
	v_fma_f64 v[4:5], v[82:83], v[44:45], -v[4:5]
	s_waitcnt vmcnt(18)
	v_fmac_f64_e32 v[100:101], v[92:93], v[116:117]
	v_add_f64 v[2:3], v[2:3], v[4:5]
	v_mul_f64 v[4:5], v[88:89], v[38:39]
	v_add_f64 v[102:103], v[98:99], v[100:101]
	ds_read_b128 v[98:101], v1 offset:1584
	s_waitcnt vmcnt(17) lgkmcnt(1)
	v_mul_f64 v[104:105], v[94:95], v[110:111]
	v_fma_f64 v[4:5], v[86:87], v[40:41], -v[4:5]
	s_waitcnt vmcnt(16)
	v_fmac_f64_e32 v[104:105], v[96:97], v[112:113]
	v_add_f64 v[2:3], v[2:3], v[4:5]
	v_mul_f64 v[4:5], v[92:93], v[114:115]
	v_add_f64 v[134:135], v[102:103], v[104:105]
	ds_read_b128 v[102:105], v1 offset:1600
	v_fma_f64 v[4:5], v[90:91], v[116:117], -v[4:5]
	v_add_f64 v[2:3], v[2:3], v[4:5]
	v_mul_f64 v[4:5], v[96:97], v[110:111]
	v_fma_f64 v[4:5], v[94:95], v[112:113], -v[4:5]
	v_add_f64 v[2:3], v[2:3], v[4:5]
	s_waitcnt vmcnt(12) lgkmcnt(1)
	v_mul_f64 v[4:5], v[100:101], v[122:123]
	v_mul_f64 v[136:137], v[98:99], v[122:123]
	s_waitcnt vmcnt(10)
	v_fma_f64 v[4:5], v[98:99], v[124:125], -v[4:5]
	v_fmac_f64_e32 v[136:137], v[100:101], v[124:125]
	v_add_f64 v[2:3], v[2:3], v[4:5]
	s_waitcnt vmcnt(9) lgkmcnt(0)
	v_mul_f64 v[4:5], v[104:105], v[118:119]
	v_add_f64 v[134:135], v[134:135], v[136:137]
	v_mul_f64 v[136:137], v[102:103], v[118:119]
	s_waitcnt vmcnt(8)
	v_fma_f64 v[4:5], v[102:103], v[120:121], -v[4:5]
	v_fmac_f64_e32 v[136:137], v[104:105], v[120:121]
	v_add_f64 v[2:3], v[2:3], v[4:5]
	s_waitcnt vmcnt(6)
	v_mul_f64 v[4:5], v[108:109], v[126:127]
	v_add_f64 v[134:135], v[134:135], v[136:137]
	v_mul_f64 v[136:137], v[106:107], v[126:127]
	s_waitcnt vmcnt(4)
	v_fma_f64 v[4:5], v[106:107], v[128:129], -v[4:5]
	v_fmac_f64_e32 v[136:137], v[108:109], v[128:129]
	v_add_f64 v[2:3], v[2:3], v[4:5]
	v_add_f64 v[134:135], v[134:135], v[136:137]
	s_waitcnt vmcnt(2)
	v_add_f64 v[2:3], v[130:131], -v[2:3]
	s_waitcnt vmcnt(0)
	v_add_f64 v[4:5], v[132:133], -v[134:135]
	buffer_store_dword v3, off, s[0:3], 0 offset:564
	buffer_store_dword v2, off, s[0:3], 0 offset:560
	;; [unrolled: 1-line block ×4, first 2 shown]
	s_and_saveexec_b64 s[4:5], vcc
	s_cbranch_execz .LBB114_253
; %bb.252:
	v_accvgpr_read_b32 v0, a119
	buffer_load_dword v2, v0, s[0:3], 0 offen
	buffer_load_dword v3, v0, s[0:3], 0 offen offset:4
	buffer_load_dword v4, v0, s[0:3], 0 offen offset:8
	;; [unrolled: 1-line block ×3, first 2 shown]
	v_mov_b32_e32 v0, 0
	v_accvgpr_read_b32 v1, a153
	buffer_store_dword v0, off, s[0:3], 0 offset:544
	buffer_store_dword v0, off, s[0:3], 0 offset:548
	;; [unrolled: 1-line block ×4, first 2 shown]
	s_waitcnt vmcnt(4)
	ds_write_b128 v1, v[2:5]
.LBB114_253:
	s_or_b64 exec, exec, s[4:5]
	s_waitcnt lgkmcnt(0)
	; wave barrier
	s_waitcnt lgkmcnt(0)
	buffer_load_dword v2, off, s[0:3], 0 offset:560
	buffer_load_dword v3, off, s[0:3], 0 offset:564
	;; [unrolled: 1-line block ×68, first 2 shown]
	v_mov_b32_e32 v1, 0
	buffer_load_dword v138, off, s[0:3], 0 offset:544
	buffer_load_dword v139, off, s[0:3], 0 offset:548
	buffer_load_dword v140, off, s[0:3], 0 offset:552
	ds_read_b128 v[46:49], v1 offset:1360
	ds_read_b128 v[50:53], v1 offset:1376
	buffer_load_dword v141, off, s[0:3], 0 offset:556
	ds_read_b128 v[54:57], v1 offset:1392
	ds_read_b128 v[58:61], v1 offset:1408
	ds_read_b128 v[110:113], v1 offset:1616
	v_cmp_lt_u32_e32 vcc, 32, v254
	s_waitcnt vmcnt(62) lgkmcnt(4)
	v_mul_f64 v[62:63], v[46:47], v[6:7]
	v_fmac_f64_e32 v[62:63], v[48:49], v[2:3]
	v_add_f64 v[62:63], v[62:63], 0
	v_mul_f64 v[6:7], v[48:49], v[6:7]
	s_waitcnt lgkmcnt(3)
	v_mul_f64 v[64:65], v[50:51], v[10:11]
	v_fmac_f64_e32 v[64:65], v[52:53], v[4:5]
	v_add_f64 v[62:63], v[62:63], v[64:65]
	v_fma_f64 v[2:3], v[46:47], v[2:3], -v[6:7]
	s_waitcnt vmcnt(60) lgkmcnt(2)
	v_mul_f64 v[64:65], v[54:55], v[12:13]
	v_fmac_f64_e32 v[64:65], v[56:57], v[8:9]
	v_add_f64 v[66:67], v[62:63], v[64:65]
	ds_read_b128 v[62:65], v1 offset:1424
	s_waitcnt vmcnt(56) lgkmcnt(2)
	v_mul_f64 v[68:69], v[58:59], v[18:19]
	v_mul_f64 v[6:7], v[52:53], v[10:11]
	s_waitcnt vmcnt(54)
	v_fmac_f64_e32 v[68:69], v[60:61], v[20:21]
	v_add_f64 v[70:71], v[66:67], v[68:69]
	ds_read_b128 v[66:69], v1 offset:1440
	s_waitcnt vmcnt(53) lgkmcnt(1)
	v_mul_f64 v[72:73], v[62:63], v[14:15]
	s_waitcnt vmcnt(52)
	v_fmac_f64_e32 v[72:73], v[64:65], v[16:17]
	v_add_f64 v[74:75], v[70:71], v[72:73]
	ds_read_b128 v[70:73], v1 offset:1456
	s_waitcnt vmcnt(48) lgkmcnt(1)
	;; [unrolled: 6-line block ×4, first 2 shown]
	v_mul_f64 v[84:85], v[74:75], v[34:35]
	s_waitcnt vmcnt(38)
	v_fmac_f64_e32 v[84:85], v[76:77], v[36:37]
	v_add_f64 v[2:3], v[2:3], 0
	v_fma_f64 v[4:5], v[50:51], v[4:5], -v[6:7]
	v_add_f64 v[86:87], v[82:83], v[84:85]
	ds_read_b128 v[82:85], v1 offset:1504
	v_add_f64 v[2:3], v[2:3], v[4:5]
	v_mul_f64 v[4:5], v[56:57], v[12:13]
	v_fma_f64 v[4:5], v[54:55], v[8:9], -v[4:5]
	v_add_f64 v[2:3], v[2:3], v[4:5]
	v_mul_f64 v[4:5], v[60:61], v[18:19]
	s_waitcnt vmcnt(37) lgkmcnt(1)
	v_mul_f64 v[88:89], v[78:79], v[30:31]
	v_fma_f64 v[4:5], v[58:59], v[20:21], -v[4:5]
	s_waitcnt vmcnt(36)
	v_fmac_f64_e32 v[88:89], v[80:81], v[32:33]
	v_add_f64 v[2:3], v[2:3], v[4:5]
	v_mul_f64 v[4:5], v[64:65], v[14:15]
	v_add_f64 v[90:91], v[86:87], v[88:89]
	ds_read_b128 v[86:89], v1 offset:1520
	s_waitcnt vmcnt(32) lgkmcnt(1)
	v_mul_f64 v[92:93], v[82:83], v[42:43]
	v_fma_f64 v[4:5], v[62:63], v[16:17], -v[4:5]
	s_waitcnt vmcnt(30)
	v_fmac_f64_e32 v[92:93], v[84:85], v[44:45]
	v_add_f64 v[2:3], v[2:3], v[4:5]
	v_mul_f64 v[4:5], v[68:69], v[26:27]
	v_add_f64 v[94:95], v[90:91], v[92:93]
	ds_read_b128 v[90:93], v1 offset:1536
	v_fma_f64 v[4:5], v[66:67], v[28:29], -v[4:5]
	v_add_f64 v[2:3], v[2:3], v[4:5]
	v_mul_f64 v[4:5], v[72:73], v[22:23]
	v_fma_f64 v[4:5], v[70:71], v[24:25], -v[4:5]
	s_waitcnt vmcnt(29) lgkmcnt(1)
	v_mul_f64 v[96:97], v[86:87], v[38:39]
	v_add_f64 v[2:3], v[2:3], v[4:5]
	v_mul_f64 v[4:5], v[76:77], v[34:35]
	s_waitcnt vmcnt(28)
	v_fmac_f64_e32 v[96:97], v[88:89], v[40:41]
	v_fma_f64 v[4:5], v[74:75], v[36:37], -v[4:5]
	v_add_f64 v[98:99], v[94:95], v[96:97]
	ds_read_b128 v[94:97], v1 offset:1552
	s_waitcnt vmcnt(24) lgkmcnt(1)
	v_mul_f64 v[100:101], v[90:91], v[118:119]
	v_add_f64 v[2:3], v[2:3], v[4:5]
	v_mul_f64 v[4:5], v[80:81], v[30:31]
	s_waitcnt vmcnt(22)
	v_fmac_f64_e32 v[100:101], v[92:93], v[120:121]
	v_fma_f64 v[4:5], v[78:79], v[32:33], -v[4:5]
	v_add_f64 v[102:103], v[98:99], v[100:101]
	ds_read_b128 v[98:101], v1 offset:1568
	v_add_f64 v[2:3], v[2:3], v[4:5]
	v_mul_f64 v[4:5], v[84:85], v[42:43]
	v_fma_f64 v[4:5], v[82:83], v[44:45], -v[4:5]
	v_add_f64 v[2:3], v[2:3], v[4:5]
	v_mul_f64 v[4:5], v[88:89], v[38:39]
	s_waitcnt vmcnt(21) lgkmcnt(1)
	v_mul_f64 v[104:105], v[94:95], v[114:115]
	v_fma_f64 v[4:5], v[86:87], v[40:41], -v[4:5]
	s_waitcnt vmcnt(20)
	v_fmac_f64_e32 v[104:105], v[96:97], v[116:117]
	v_add_f64 v[2:3], v[2:3], v[4:5]
	v_mul_f64 v[4:5], v[92:93], v[118:119]
	v_add_f64 v[106:107], v[102:103], v[104:105]
	ds_read_b128 v[102:105], v1 offset:1584
	s_waitcnt vmcnt(16) lgkmcnt(1)
	v_mul_f64 v[108:109], v[98:99], v[126:127]
	v_fma_f64 v[4:5], v[90:91], v[120:121], -v[4:5]
	s_waitcnt vmcnt(14)
	v_fmac_f64_e32 v[108:109], v[100:101], v[128:129]
	v_add_f64 v[2:3], v[2:3], v[4:5]
	v_mul_f64 v[4:5], v[96:97], v[114:115]
	v_add_f64 v[142:143], v[106:107], v[108:109]
	ds_read_b128 v[106:109], v1 offset:1600
	v_fma_f64 v[4:5], v[94:95], v[116:117], -v[4:5]
	v_add_f64 v[2:3], v[2:3], v[4:5]
	v_mul_f64 v[4:5], v[100:101], v[126:127]
	v_fma_f64 v[4:5], v[98:99], v[128:129], -v[4:5]
	v_add_f64 v[2:3], v[2:3], v[4:5]
	s_waitcnt vmcnt(13) lgkmcnt(1)
	v_mul_f64 v[4:5], v[104:105], v[122:123]
	v_mul_f64 v[144:145], v[102:103], v[122:123]
	s_waitcnt vmcnt(12)
	v_fma_f64 v[4:5], v[102:103], v[124:125], -v[4:5]
	v_fmac_f64_e32 v[144:145], v[104:105], v[124:125]
	v_add_f64 v[2:3], v[2:3], v[4:5]
	s_waitcnt vmcnt(8) lgkmcnt(0)
	v_mul_f64 v[4:5], v[108:109], v[134:135]
	v_add_f64 v[142:143], v[142:143], v[144:145]
	v_mul_f64 v[144:145], v[106:107], v[134:135]
	s_waitcnt vmcnt(6)
	v_fma_f64 v[4:5], v[106:107], v[136:137], -v[4:5]
	v_fmac_f64_e32 v[144:145], v[108:109], v[136:137]
	v_add_f64 v[2:3], v[2:3], v[4:5]
	s_waitcnt vmcnt(5)
	v_mul_f64 v[4:5], v[112:113], v[130:131]
	v_add_f64 v[142:143], v[142:143], v[144:145]
	v_mul_f64 v[144:145], v[110:111], v[130:131]
	s_waitcnt vmcnt(4)
	v_fma_f64 v[4:5], v[110:111], v[132:133], -v[4:5]
	v_fmac_f64_e32 v[144:145], v[112:113], v[132:133]
	v_add_f64 v[2:3], v[2:3], v[4:5]
	v_add_f64 v[142:143], v[142:143], v[144:145]
	s_waitcnt vmcnt(2)
	v_add_f64 v[2:3], v[138:139], -v[2:3]
	s_waitcnt vmcnt(0)
	v_add_f64 v[4:5], v[140:141], -v[142:143]
	buffer_store_dword v3, off, s[0:3], 0 offset:548
	buffer_store_dword v2, off, s[0:3], 0 offset:544
	;; [unrolled: 1-line block ×4, first 2 shown]
	s_and_saveexec_b64 s[4:5], vcc
	s_cbranch_execz .LBB114_255
; %bb.254:
	v_accvgpr_read_b32 v0, a120
	buffer_load_dword v2, v0, s[0:3], 0 offen
	buffer_load_dword v3, v0, s[0:3], 0 offen offset:4
	buffer_load_dword v4, v0, s[0:3], 0 offen offset:8
	;; [unrolled: 1-line block ×3, first 2 shown]
	v_accvgpr_read_b32 v0, a153
	buffer_store_dword v1, off, s[0:3], 0 offset:528
	buffer_store_dword v1, off, s[0:3], 0 offset:532
	;; [unrolled: 1-line block ×4, first 2 shown]
	s_waitcnt vmcnt(4)
	ds_write_b128 v0, v[2:5]
.LBB114_255:
	s_or_b64 exec, exec, s[4:5]
	s_waitcnt lgkmcnt(0)
	; wave barrier
	s_waitcnt lgkmcnt(0)
	buffer_load_dword v2, off, s[0:3], 0 offset:544
	buffer_load_dword v3, off, s[0:3], 0 offset:548
	buffer_load_dword v8, off, s[0:3], 0 offset:552
	buffer_load_dword v9, off, s[0:3], 0 offset:556
	buffer_load_dword v4, off, s[0:3], 0 offset:560
	buffer_load_dword v5, off, s[0:3], 0 offset:564
	buffer_load_dword v10, off, s[0:3], 0 offset:568
	buffer_load_dword v11, off, s[0:3], 0 offset:572
	buffer_load_dword v6, off, s[0:3], 0 offset:576
	buffer_load_dword v7, off, s[0:3], 0 offset:580
	buffer_load_dword v12, off, s[0:3], 0 offset:584
	buffer_load_dword v13, off, s[0:3], 0 offset:588
	buffer_load_dword v15, off, s[0:3], 0 offset:620
	buffer_load_dword v17, off, s[0:3], 0 offset:612
	buffer_load_dword v19, off, s[0:3], 0 offset:604
	buffer_load_dword v18, off, s[0:3], 0 offset:600
	buffer_load_dword v21, off, s[0:3], 0 offset:596
	buffer_load_dword v20, off, s[0:3], 0 offset:592
	buffer_load_dword v14, off, s[0:3], 0 offset:616
	buffer_load_dword v16, off, s[0:3], 0 offset:608
	buffer_load_dword v23, off, s[0:3], 0 offset:652
	buffer_load_dword v25, off, s[0:3], 0 offset:644
	buffer_load_dword v27, off, s[0:3], 0 offset:636
	buffer_load_dword v26, off, s[0:3], 0 offset:632
	buffer_load_dword v29, off, s[0:3], 0 offset:628
	buffer_load_dword v28, off, s[0:3], 0 offset:624
	buffer_load_dword v22, off, s[0:3], 0 offset:648
	buffer_load_dword v24, off, s[0:3], 0 offset:640
	buffer_load_dword v31, off, s[0:3], 0 offset:684
	buffer_load_dword v33, off, s[0:3], 0 offset:676
	buffer_load_dword v35, off, s[0:3], 0 offset:668
	buffer_load_dword v34, off, s[0:3], 0 offset:664
	buffer_load_dword v37, off, s[0:3], 0 offset:660
	buffer_load_dword v36, off, s[0:3], 0 offset:656
	buffer_load_dword v30, off, s[0:3], 0 offset:680
	buffer_load_dword v32, off, s[0:3], 0 offset:672
	buffer_load_dword v39, off, s[0:3], 0 offset:716
	buffer_load_dword v41, off, s[0:3], 0 offset:708
	buffer_load_dword v43, off, s[0:3], 0 offset:700
	buffer_load_dword v42, off, s[0:3], 0 offset:696
	buffer_load_dword v45, off, s[0:3], 0 offset:692
	buffer_load_dword v44, off, s[0:3], 0 offset:688
	buffer_load_dword v38, off, s[0:3], 0 offset:712
	buffer_load_dword v40, off, s[0:3], 0 offset:704
	buffer_load_dword v47, off, s[0:3], 0 offset:748
	buffer_load_dword v49, off, s[0:3], 0 offset:740
	buffer_load_dword v51, off, s[0:3], 0 offset:732
	buffer_load_dword v50, off, s[0:3], 0 offset:728
	buffer_load_dword v117, off, s[0:3], 0 offset:724
	buffer_load_dword v116, off, s[0:3], 0 offset:720
	buffer_load_dword v46, off, s[0:3], 0 offset:744
	buffer_load_dword v48, off, s[0:3], 0 offset:736
	buffer_load_dword v119, off, s[0:3], 0 offset:780
	buffer_load_dword v129, off, s[0:3], 0 offset:772
	buffer_load_dword v131, off, s[0:3], 0 offset:764
	buffer_load_dword v130, off, s[0:3], 0 offset:760
	buffer_load_dword v133, off, s[0:3], 0 offset:756
	buffer_load_dword v132, off, s[0:3], 0 offset:752
	buffer_load_dword v118, off, s[0:3], 0 offset:776
	buffer_load_dword v128, off, s[0:3], 0 offset:768
	buffer_load_dword v135, off, s[0:3], 0 offset:812
	buffer_load_dword v137, off, s[0:3], 0 offset:804
	buffer_load_dword v139, off, s[0:3], 0 offset:796
	buffer_load_dword v138, off, s[0:3], 0 offset:792
	buffer_load_dword v141, off, s[0:3], 0 offset:788
	buffer_load_dword v140, off, s[0:3], 0 offset:784
	buffer_load_dword v134, off, s[0:3], 0 offset:808
	buffer_load_dword v136, off, s[0:3], 0 offset:800
	buffer_load_dword v143, off, s[0:3], 0 offset:828
	buffer_load_dword v142, off, s[0:3], 0 offset:824
	buffer_load_dword v145, off, s[0:3], 0 offset:820
	buffer_load_dword v144, off, s[0:3], 0 offset:816
	ds_read_b128 v[52:55], v1 offset:1344
	buffer_load_dword v146, off, s[0:3], 0 offset:528
	buffer_load_dword v147, off, s[0:3], 0 offset:532
	;; [unrolled: 1-line block ×4, first 2 shown]
	ds_read_b128 v[56:59], v1 offset:1360
	ds_read_b128 v[60:63], v1 offset:1376
	;; [unrolled: 1-line block ×3, first 2 shown]
	v_cmp_lt_u32_e32 vcc, 31, v254
	ds_read_b128 v[124:127], v1 offset:1616
	s_waitcnt vmcnt(62) lgkmcnt(4)
	v_mul_f64 v[68:69], v[52:53], v[8:9]
	v_fmac_f64_e32 v[68:69], v[54:55], v[2:3]
	v_add_f64 v[68:69], v[68:69], 0
	v_mul_f64 v[8:9], v[54:55], v[8:9]
	s_waitcnt lgkmcnt(3)
	v_mul_f64 v[70:71], v[56:57], v[10:11]
	v_fmac_f64_e32 v[70:71], v[58:59], v[4:5]
	v_add_f64 v[68:69], v[68:69], v[70:71]
	v_fma_f64 v[2:3], v[52:53], v[2:3], -v[8:9]
	s_waitcnt lgkmcnt(2)
	v_mul_f64 v[70:71], v[60:61], v[12:13]
	v_fmac_f64_e32 v[70:71], v[62:63], v[6:7]
	v_add_f64 v[72:73], v[68:69], v[70:71]
	ds_read_b128 v[68:71], v1 offset:1408
	s_waitcnt vmcnt(60) lgkmcnt(2)
	v_mul_f64 v[74:75], v[64:65], v[18:19]
	v_mul_f64 v[8:9], v[58:59], v[10:11]
	s_waitcnt vmcnt(58)
	v_fmac_f64_e32 v[74:75], v[66:67], v[20:21]
	v_add_f64 v[76:77], v[72:73], v[74:75]
	ds_read_b128 v[72:75], v1 offset:1424
	s_waitcnt vmcnt(57) lgkmcnt(1)
	v_mul_f64 v[78:79], v[68:69], v[14:15]
	s_waitcnt vmcnt(56)
	v_fmac_f64_e32 v[78:79], v[70:71], v[16:17]
	v_add_f64 v[80:81], v[76:77], v[78:79]
	ds_read_b128 v[76:79], v1 offset:1440
	s_waitcnt vmcnt(52) lgkmcnt(1)
	;; [unrolled: 6-line block ×4, first 2 shown]
	v_mul_f64 v[90:91], v[80:81], v[34:35]
	s_waitcnt vmcnt(42)
	v_fmac_f64_e32 v[90:91], v[82:83], v[36:37]
	v_add_f64 v[2:3], v[2:3], 0
	v_fma_f64 v[4:5], v[56:57], v[4:5], -v[8:9]
	v_add_f64 v[92:93], v[88:89], v[90:91]
	ds_read_b128 v[88:91], v1 offset:1488
	s_waitcnt vmcnt(41) lgkmcnt(1)
	v_mul_f64 v[94:95], v[84:85], v[30:31]
	v_add_f64 v[2:3], v[2:3], v[4:5]
	v_mul_f64 v[4:5], v[62:63], v[12:13]
	s_waitcnt vmcnt(40)
	v_fmac_f64_e32 v[94:95], v[86:87], v[32:33]
	v_fma_f64 v[4:5], v[60:61], v[6:7], -v[4:5]
	v_add_f64 v[96:97], v[92:93], v[94:95]
	ds_read_b128 v[92:95], v1 offset:1504
	v_add_f64 v[2:3], v[2:3], v[4:5]
	v_mul_f64 v[4:5], v[66:67], v[18:19]
	v_fma_f64 v[4:5], v[64:65], v[20:21], -v[4:5]
	v_add_f64 v[2:3], v[2:3], v[4:5]
	v_mul_f64 v[4:5], v[70:71], v[14:15]
	s_waitcnt vmcnt(36) lgkmcnt(1)
	v_mul_f64 v[98:99], v[88:89], v[42:43]
	v_fma_f64 v[4:5], v[68:69], v[16:17], -v[4:5]
	s_waitcnt vmcnt(34)
	v_fmac_f64_e32 v[98:99], v[90:91], v[44:45]
	v_add_f64 v[2:3], v[2:3], v[4:5]
	v_mul_f64 v[4:5], v[74:75], v[26:27]
	v_add_f64 v[100:101], v[96:97], v[98:99]
	ds_read_b128 v[96:99], v1 offset:1520
	s_waitcnt vmcnt(33) lgkmcnt(1)
	v_mul_f64 v[102:103], v[92:93], v[38:39]
	v_fma_f64 v[4:5], v[72:73], v[28:29], -v[4:5]
	s_waitcnt vmcnt(32)
	v_fmac_f64_e32 v[102:103], v[94:95], v[40:41]
	v_add_f64 v[2:3], v[2:3], v[4:5]
	v_mul_f64 v[4:5], v[78:79], v[22:23]
	v_add_f64 v[104:105], v[100:101], v[102:103]
	ds_read_b128 v[100:103], v1 offset:1536
	v_fma_f64 v[4:5], v[76:77], v[24:25], -v[4:5]
	v_add_f64 v[2:3], v[2:3], v[4:5]
	v_mul_f64 v[4:5], v[82:83], v[34:35]
	v_fma_f64 v[4:5], v[80:81], v[36:37], -v[4:5]
	s_waitcnt vmcnt(28) lgkmcnt(1)
	v_mul_f64 v[106:107], v[96:97], v[50:51]
	v_add_f64 v[2:3], v[2:3], v[4:5]
	v_mul_f64 v[4:5], v[86:87], v[30:31]
	s_waitcnt vmcnt(26)
	v_fmac_f64_e32 v[106:107], v[98:99], v[116:117]
	v_fma_f64 v[4:5], v[84:85], v[32:33], -v[4:5]
	v_add_f64 v[108:109], v[104:105], v[106:107]
	ds_read_b128 v[104:107], v1 offset:1552
	s_waitcnt vmcnt(25) lgkmcnt(1)
	v_mul_f64 v[110:111], v[100:101], v[46:47]
	v_add_f64 v[2:3], v[2:3], v[4:5]
	v_mul_f64 v[4:5], v[90:91], v[42:43]
	s_waitcnt vmcnt(24)
	v_fmac_f64_e32 v[110:111], v[102:103], v[48:49]
	v_fma_f64 v[4:5], v[88:89], v[44:45], -v[4:5]
	v_add_f64 v[112:113], v[108:109], v[110:111]
	ds_read_b128 v[108:111], v1 offset:1568
	v_add_f64 v[2:3], v[2:3], v[4:5]
	v_mul_f64 v[4:5], v[94:95], v[38:39]
	v_fma_f64 v[4:5], v[92:93], v[40:41], -v[4:5]
	v_add_f64 v[2:3], v[2:3], v[4:5]
	v_mul_f64 v[4:5], v[98:99], v[50:51]
	s_waitcnt vmcnt(20) lgkmcnt(1)
	v_mul_f64 v[114:115], v[104:105], v[130:131]
	v_fma_f64 v[4:5], v[96:97], v[116:117], -v[4:5]
	s_waitcnt vmcnt(18)
	v_fmac_f64_e32 v[114:115], v[106:107], v[132:133]
	v_add_f64 v[2:3], v[2:3], v[4:5]
	v_mul_f64 v[4:5], v[102:103], v[46:47]
	v_add_f64 v[120:121], v[112:113], v[114:115]
	ds_read_b128 v[112:115], v1 offset:1584
	s_waitcnt vmcnt(17) lgkmcnt(1)
	v_mul_f64 v[122:123], v[108:109], v[118:119]
	v_fma_f64 v[4:5], v[100:101], v[48:49], -v[4:5]
	s_waitcnt vmcnt(16)
	v_fmac_f64_e32 v[122:123], v[110:111], v[128:129]
	v_add_f64 v[2:3], v[2:3], v[4:5]
	v_mul_f64 v[4:5], v[106:107], v[130:131]
	v_add_f64 v[150:151], v[120:121], v[122:123]
	ds_read_b128 v[120:123], v1 offset:1600
	v_fma_f64 v[4:5], v[104:105], v[132:133], -v[4:5]
	v_add_f64 v[2:3], v[2:3], v[4:5]
	v_mul_f64 v[4:5], v[110:111], v[118:119]
	v_fma_f64 v[4:5], v[108:109], v[128:129], -v[4:5]
	v_add_f64 v[2:3], v[2:3], v[4:5]
	s_waitcnt vmcnt(12) lgkmcnt(1)
	v_mul_f64 v[4:5], v[114:115], v[138:139]
	v_mul_f64 v[152:153], v[112:113], v[138:139]
	s_waitcnt vmcnt(10)
	v_fma_f64 v[4:5], v[112:113], v[140:141], -v[4:5]
	v_fmac_f64_e32 v[152:153], v[114:115], v[140:141]
	v_add_f64 v[2:3], v[2:3], v[4:5]
	s_waitcnt vmcnt(9) lgkmcnt(0)
	v_mul_f64 v[4:5], v[122:123], v[134:135]
	v_add_f64 v[150:151], v[150:151], v[152:153]
	v_mul_f64 v[152:153], v[120:121], v[134:135]
	s_waitcnt vmcnt(8)
	v_fma_f64 v[4:5], v[120:121], v[136:137], -v[4:5]
	v_fmac_f64_e32 v[152:153], v[122:123], v[136:137]
	v_add_f64 v[2:3], v[2:3], v[4:5]
	s_waitcnt vmcnt(6)
	v_mul_f64 v[4:5], v[126:127], v[142:143]
	v_add_f64 v[150:151], v[150:151], v[152:153]
	v_mul_f64 v[152:153], v[124:125], v[142:143]
	s_waitcnt vmcnt(4)
	v_fma_f64 v[4:5], v[124:125], v[144:145], -v[4:5]
	v_fmac_f64_e32 v[152:153], v[126:127], v[144:145]
	v_add_f64 v[2:3], v[2:3], v[4:5]
	v_add_f64 v[150:151], v[150:151], v[152:153]
	s_waitcnt vmcnt(2)
	v_add_f64 v[2:3], v[146:147], -v[2:3]
	s_waitcnt vmcnt(0)
	v_add_f64 v[4:5], v[148:149], -v[150:151]
	buffer_store_dword v3, off, s[0:3], 0 offset:532
	buffer_store_dword v2, off, s[0:3], 0 offset:528
	;; [unrolled: 1-line block ×4, first 2 shown]
	s_and_saveexec_b64 s[4:5], vcc
	s_cbranch_execz .LBB114_257
; %bb.256:
	v_accvgpr_read_b32 v0, a121
	buffer_load_dword v2, v0, s[0:3], 0 offen
	buffer_load_dword v3, v0, s[0:3], 0 offen offset:4
	buffer_load_dword v4, v0, s[0:3], 0 offen offset:8
	buffer_load_dword v5, v0, s[0:3], 0 offen offset:12
	v_mov_b32_e32 v0, 0
	v_accvgpr_read_b32 v1, a153
	buffer_store_dword v0, off, s[0:3], 0 offset:512
	buffer_store_dword v0, off, s[0:3], 0 offset:516
	;; [unrolled: 1-line block ×4, first 2 shown]
	s_waitcnt vmcnt(4)
	ds_write_b128 v1, v[2:5]
.LBB114_257:
	s_or_b64 exec, exec, s[4:5]
	s_waitcnt lgkmcnt(0)
	; wave barrier
	s_waitcnt lgkmcnt(0)
	buffer_load_dword v2, off, s[0:3], 0 offset:528
	buffer_load_dword v3, off, s[0:3], 0 offset:532
	;; [unrolled: 1-line block ×76, first 2 shown]
	v_mov_b32_e32 v1, 0
	ds_read_b128 v[54:57], v1 offset:1328
	buffer_load_dword v154, off, s[0:3], 0 offset:512
	buffer_load_dword v155, off, s[0:3], 0 offset:516
	;; [unrolled: 1-line block ×4, first 2 shown]
	ds_read_b128 v[58:61], v1 offset:1344
	ds_read_b128 v[62:65], v1 offset:1360
	;; [unrolled: 1-line block ×4, first 2 shown]
	v_cmp_lt_u32_e32 vcc, 30, v254
	s_waitcnt vmcnt(62) lgkmcnt(4)
	v_mul_f64 v[70:71], v[54:55], v[8:9]
	v_fmac_f64_e32 v[70:71], v[56:57], v[2:3]
	v_add_f64 v[70:71], v[70:71], 0
	v_mul_f64 v[8:9], v[56:57], v[8:9]
	s_waitcnt lgkmcnt(3)
	v_mul_f64 v[72:73], v[58:59], v[10:11]
	v_fmac_f64_e32 v[72:73], v[60:61], v[4:5]
	v_add_f64 v[70:71], v[70:71], v[72:73]
	v_fma_f64 v[2:3], v[54:55], v[2:3], -v[8:9]
	s_waitcnt lgkmcnt(2)
	v_mul_f64 v[72:73], v[62:63], v[12:13]
	v_fmac_f64_e32 v[72:73], v[64:65], v[6:7]
	v_add_f64 v[74:75], v[70:71], v[72:73]
	ds_read_b128 v[70:73], v1 offset:1392
	s_waitcnt lgkmcnt(2)
	v_mul_f64 v[76:77], v[66:67], v[18:19]
	v_mul_f64 v[8:9], v[60:61], v[10:11]
	v_fmac_f64_e32 v[76:77], v[68:69], v[20:21]
	v_add_f64 v[78:79], v[74:75], v[76:77]
	ds_read_b128 v[74:77], v1 offset:1408
	s_waitcnt vmcnt(61) lgkmcnt(1)
	v_mul_f64 v[80:81], v[70:71], v[14:15]
	s_waitcnt vmcnt(60)
	v_fmac_f64_e32 v[80:81], v[72:73], v[16:17]
	v_add_f64 v[82:83], v[78:79], v[80:81]
	ds_read_b128 v[78:81], v1 offset:1424
	s_waitcnt vmcnt(56) lgkmcnt(1)
	v_mul_f64 v[84:85], v[74:75], v[26:27]
	s_waitcnt vmcnt(54)
	;; [unrolled: 6-line block ×4, first 2 shown]
	v_fmac_f64_e32 v[92:93], v[84:85], v[36:37]
	v_add_f64 v[94:95], v[90:91], v[92:93]
	ds_read_b128 v[90:93], v1 offset:1472
	v_add_f64 v[2:3], v[2:3], 0
	v_fma_f64 v[4:5], v[58:59], v[4:5], -v[8:9]
	s_waitcnt vmcnt(45) lgkmcnt(1)
	v_mul_f64 v[96:97], v[86:87], v[30:31]
	v_add_f64 v[2:3], v[2:3], v[4:5]
	v_mul_f64 v[4:5], v[64:65], v[12:13]
	s_waitcnt vmcnt(44)
	v_fmac_f64_e32 v[96:97], v[88:89], v[32:33]
	v_fma_f64 v[4:5], v[62:63], v[6:7], -v[4:5]
	v_add_f64 v[98:99], v[94:95], v[96:97]
	ds_read_b128 v[94:97], v1 offset:1488
	s_waitcnt vmcnt(40) lgkmcnt(1)
	v_mul_f64 v[100:101], v[90:91], v[42:43]
	v_add_f64 v[2:3], v[2:3], v[4:5]
	v_mul_f64 v[4:5], v[68:69], v[18:19]
	s_waitcnt vmcnt(38)
	v_fmac_f64_e32 v[100:101], v[92:93], v[44:45]
	v_fma_f64 v[4:5], v[66:67], v[20:21], -v[4:5]
	v_add_f64 v[102:103], v[98:99], v[100:101]
	ds_read_b128 v[98:101], v1 offset:1504
	v_add_f64 v[2:3], v[2:3], v[4:5]
	v_mul_f64 v[4:5], v[72:73], v[14:15]
	v_fma_f64 v[4:5], v[70:71], v[16:17], -v[4:5]
	v_add_f64 v[2:3], v[2:3], v[4:5]
	v_mul_f64 v[4:5], v[76:77], v[26:27]
	s_waitcnt vmcnt(37) lgkmcnt(1)
	v_mul_f64 v[104:105], v[94:95], v[38:39]
	v_fma_f64 v[4:5], v[74:75], v[28:29], -v[4:5]
	s_waitcnt vmcnt(36)
	v_fmac_f64_e32 v[104:105], v[96:97], v[40:41]
	v_add_f64 v[2:3], v[2:3], v[4:5]
	v_mul_f64 v[4:5], v[80:81], v[22:23]
	v_add_f64 v[106:107], v[102:103], v[104:105]
	ds_read_b128 v[102:105], v1 offset:1520
	s_waitcnt vmcnt(32) lgkmcnt(1)
	v_mul_f64 v[108:109], v[98:99], v[50:51]
	v_fma_f64 v[4:5], v[78:79], v[24:25], -v[4:5]
	s_waitcnt vmcnt(30)
	v_fmac_f64_e32 v[108:109], v[100:101], v[52:53]
	v_add_f64 v[2:3], v[2:3], v[4:5]
	v_mul_f64 v[4:5], v[84:85], v[34:35]
	v_add_f64 v[110:111], v[106:107], v[108:109]
	ds_read_b128 v[106:109], v1 offset:1536
	v_fma_f64 v[4:5], v[82:83], v[36:37], -v[4:5]
	v_add_f64 v[2:3], v[2:3], v[4:5]
	v_mul_f64 v[4:5], v[88:89], v[30:31]
	v_fma_f64 v[4:5], v[86:87], v[32:33], -v[4:5]
	s_waitcnt vmcnt(29) lgkmcnt(1)
	v_mul_f64 v[112:113], v[102:103], v[46:47]
	v_add_f64 v[2:3], v[2:3], v[4:5]
	v_mul_f64 v[4:5], v[92:93], v[42:43]
	s_waitcnt vmcnt(28)
	v_fmac_f64_e32 v[112:113], v[104:105], v[48:49]
	v_fma_f64 v[4:5], v[90:91], v[44:45], -v[4:5]
	v_add_f64 v[114:115], v[110:111], v[112:113]
	ds_read_b128 v[110:113], v1 offset:1552
	s_waitcnt vmcnt(24) lgkmcnt(1)
	v_mul_f64 v[116:117], v[106:107], v[134:135]
	v_add_f64 v[2:3], v[2:3], v[4:5]
	v_mul_f64 v[4:5], v[96:97], v[38:39]
	s_waitcnt vmcnt(22)
	v_fmac_f64_e32 v[116:117], v[108:109], v[136:137]
	v_fma_f64 v[4:5], v[94:95], v[40:41], -v[4:5]
	v_add_f64 v[120:121], v[114:115], v[116:117]
	ds_read_b128 v[114:117], v1 offset:1568
	v_add_f64 v[2:3], v[2:3], v[4:5]
	v_mul_f64 v[4:5], v[100:101], v[50:51]
	v_fma_f64 v[4:5], v[98:99], v[52:53], -v[4:5]
	v_add_f64 v[2:3], v[2:3], v[4:5]
	v_mul_f64 v[4:5], v[104:105], v[46:47]
	s_waitcnt vmcnt(21) lgkmcnt(1)
	v_mul_f64 v[122:123], v[110:111], v[118:119]
	v_fma_f64 v[4:5], v[102:103], v[48:49], -v[4:5]
	s_waitcnt vmcnt(20)
	v_fmac_f64_e32 v[122:123], v[112:113], v[132:133]
	v_add_f64 v[2:3], v[2:3], v[4:5]
	v_mul_f64 v[4:5], v[108:109], v[134:135]
	v_add_f64 v[124:125], v[120:121], v[122:123]
	ds_read_b128 v[120:123], v1 offset:1584
	s_waitcnt vmcnt(16) lgkmcnt(1)
	v_mul_f64 v[126:127], v[114:115], v[142:143]
	v_fma_f64 v[4:5], v[106:107], v[136:137], -v[4:5]
	s_waitcnt vmcnt(14)
	v_fmac_f64_e32 v[126:127], v[116:117], v[144:145]
	v_add_f64 v[2:3], v[2:3], v[4:5]
	v_mul_f64 v[4:5], v[112:113], v[118:119]
	v_add_f64 v[158:159], v[124:125], v[126:127]
	ds_read_b128 v[124:127], v1 offset:1600
	v_fma_f64 v[4:5], v[110:111], v[132:133], -v[4:5]
	v_add_f64 v[2:3], v[2:3], v[4:5]
	v_mul_f64 v[4:5], v[116:117], v[142:143]
	v_fma_f64 v[4:5], v[114:115], v[144:145], -v[4:5]
	v_add_f64 v[2:3], v[2:3], v[4:5]
	s_waitcnt vmcnt(13) lgkmcnt(1)
	v_mul_f64 v[4:5], v[122:123], v[138:139]
	v_mul_f64 v[160:161], v[120:121], v[138:139]
	s_waitcnt vmcnt(12)
	v_fma_f64 v[4:5], v[120:121], v[140:141], -v[4:5]
	v_fmac_f64_e32 v[160:161], v[122:123], v[140:141]
	v_add_f64 v[2:3], v[2:3], v[4:5]
	s_waitcnt vmcnt(8) lgkmcnt(0)
	v_mul_f64 v[4:5], v[126:127], v[150:151]
	v_add_f64 v[158:159], v[158:159], v[160:161]
	v_mul_f64 v[160:161], v[124:125], v[150:151]
	s_waitcnt vmcnt(6)
	v_fma_f64 v[4:5], v[124:125], v[152:153], -v[4:5]
	v_fmac_f64_e32 v[160:161], v[126:127], v[152:153]
	v_add_f64 v[2:3], v[2:3], v[4:5]
	s_waitcnt vmcnt(5)
	v_mul_f64 v[4:5], v[130:131], v[146:147]
	v_add_f64 v[158:159], v[158:159], v[160:161]
	v_mul_f64 v[160:161], v[128:129], v[146:147]
	s_waitcnt vmcnt(4)
	v_fma_f64 v[4:5], v[128:129], v[148:149], -v[4:5]
	v_fmac_f64_e32 v[160:161], v[130:131], v[148:149]
	v_add_f64 v[2:3], v[2:3], v[4:5]
	v_add_f64 v[158:159], v[158:159], v[160:161]
	s_waitcnt vmcnt(2)
	v_add_f64 v[2:3], v[154:155], -v[2:3]
	s_waitcnt vmcnt(0)
	v_add_f64 v[4:5], v[156:157], -v[158:159]
	buffer_store_dword v3, off, s[0:3], 0 offset:516
	buffer_store_dword v2, off, s[0:3], 0 offset:512
	;; [unrolled: 1-line block ×4, first 2 shown]
	s_and_saveexec_b64 s[4:5], vcc
	s_cbranch_execz .LBB114_259
; %bb.258:
	v_accvgpr_read_b32 v0, a122
	buffer_load_dword v2, v0, s[0:3], 0 offen
	buffer_load_dword v3, v0, s[0:3], 0 offen offset:4
	buffer_load_dword v4, v0, s[0:3], 0 offen offset:8
	;; [unrolled: 1-line block ×3, first 2 shown]
	v_accvgpr_read_b32 v0, a153
	buffer_store_dword v1, off, s[0:3], 0 offset:496
	buffer_store_dword v1, off, s[0:3], 0 offset:500
	;; [unrolled: 1-line block ×4, first 2 shown]
	s_waitcnt vmcnt(4)
	ds_write_b128 v0, v[2:5]
.LBB114_259:
	s_or_b64 exec, exec, s[4:5]
	s_waitcnt lgkmcnt(0)
	; wave barrier
	s_waitcnt lgkmcnt(0)
	buffer_load_dword v2, off, s[0:3], 0 offset:512
	buffer_load_dword v3, off, s[0:3], 0 offset:516
	;; [unrolled: 1-line block ×76, first 2 shown]
	ds_read_b128 v[54:57], v1 offset:1312
	buffer_load_dword v159, off, s[0:3], 0 offset:828
	buffer_load_dword v158, off, s[0:3], 0 offset:824
	;; [unrolled: 1-line block ×8, first 2 shown]
	ds_read_b128 v[58:61], v1 offset:1328
	ds_read_b128 v[62:65], v1 offset:1344
	ds_read_b128 v[66:69], v1 offset:1360
	v_cmp_lt_u32_e32 vcc, 29, v254
	ds_read_b128 v[132:135], v1 offset:1616
	s_waitcnt vmcnt(62) lgkmcnt(4)
	v_mul_f64 v[70:71], v[54:55], v[8:9]
	v_fmac_f64_e32 v[70:71], v[56:57], v[2:3]
	v_add_f64 v[70:71], v[70:71], 0
	v_mul_f64 v[8:9], v[56:57], v[8:9]
	s_waitcnt lgkmcnt(3)
	v_mul_f64 v[72:73], v[58:59], v[10:11]
	v_fmac_f64_e32 v[72:73], v[60:61], v[4:5]
	v_add_f64 v[70:71], v[70:71], v[72:73]
	v_fma_f64 v[2:3], v[54:55], v[2:3], -v[8:9]
	s_waitcnt lgkmcnt(2)
	v_mul_f64 v[72:73], v[62:63], v[12:13]
	v_fmac_f64_e32 v[72:73], v[64:65], v[6:7]
	v_add_f64 v[74:75], v[70:71], v[72:73]
	ds_read_b128 v[70:73], v1 offset:1376
	v_mul_f64 v[8:9], v[60:61], v[10:11]
	v_add_f64 v[2:3], v[2:3], 0
	s_waitcnt lgkmcnt(2)
	v_mul_f64 v[76:77], v[66:67], v[18:19]
	v_fma_f64 v[4:5], v[58:59], v[4:5], -v[8:9]
	v_fmac_f64_e32 v[76:77], v[68:69], v[20:21]
	v_add_f64 v[78:79], v[74:75], v[76:77]
	ds_read_b128 v[74:77], v1 offset:1392
	s_waitcnt lgkmcnt(1)
	v_mul_f64 v[80:81], v[70:71], v[14:15]
	v_fmac_f64_e32 v[80:81], v[72:73], v[16:17]
	v_add_f64 v[82:83], v[78:79], v[80:81]
	ds_read_b128 v[78:81], v1 offset:1408
	s_waitcnt vmcnt(58) lgkmcnt(1)
	v_mul_f64 v[84:85], v[74:75], v[26:27]
	s_waitcnt vmcnt(56)
	v_fmac_f64_e32 v[84:85], v[76:77], v[28:29]
	v_add_f64 v[86:87], v[82:83], v[84:85]
	ds_read_b128 v[82:85], v1 offset:1424
	s_waitcnt lgkmcnt(1)
	v_mul_f64 v[88:89], v[78:79], v[22:23]
	v_fmac_f64_e32 v[88:89], v[80:81], v[24:25]
	v_add_f64 v[90:91], v[86:87], v[88:89]
	ds_read_b128 v[86:89], v1 offset:1440
	s_waitcnt vmcnt(50) lgkmcnt(1)
	v_mul_f64 v[92:93], v[82:83], v[34:35]
	s_waitcnt vmcnt(48)
	v_fmac_f64_e32 v[92:93], v[84:85], v[36:37]
	v_add_f64 v[94:95], v[90:91], v[92:93]
	ds_read_b128 v[90:93], v1 offset:1456
	s_waitcnt lgkmcnt(1)
	v_mul_f64 v[96:97], v[86:87], v[30:31]
	v_fmac_f64_e32 v[96:97], v[88:89], v[32:33]
	v_add_f64 v[98:99], v[94:95], v[96:97]
	ds_read_b128 v[94:97], v1 offset:1472
	v_add_f64 v[2:3], v[2:3], v[4:5]
	v_mul_f64 v[4:5], v[64:65], v[12:13]
	v_fma_f64 v[4:5], v[62:63], v[6:7], -v[4:5]
	s_waitcnt vmcnt(42) lgkmcnt(1)
	v_mul_f64 v[100:101], v[90:91], v[42:43]
	v_add_f64 v[2:3], v[2:3], v[4:5]
	v_mul_f64 v[4:5], v[68:69], v[18:19]
	s_waitcnt vmcnt(40)
	v_fmac_f64_e32 v[100:101], v[92:93], v[44:45]
	v_fma_f64 v[4:5], v[66:67], v[20:21], -v[4:5]
	v_add_f64 v[102:103], v[98:99], v[100:101]
	ds_read_b128 v[98:101], v1 offset:1488
	s_waitcnt lgkmcnt(1)
	v_mul_f64 v[104:105], v[94:95], v[38:39]
	v_add_f64 v[2:3], v[2:3], v[4:5]
	v_mul_f64 v[4:5], v[72:73], v[14:15]
	v_fmac_f64_e32 v[104:105], v[96:97], v[40:41]
	v_fma_f64 v[4:5], v[70:71], v[16:17], -v[4:5]
	v_add_f64 v[106:107], v[102:103], v[104:105]
	ds_read_b128 v[102:105], v1 offset:1504
	v_add_f64 v[2:3], v[2:3], v[4:5]
	v_mul_f64 v[4:5], v[76:77], v[26:27]
	v_fma_f64 v[4:5], v[74:75], v[28:29], -v[4:5]
	v_add_f64 v[2:3], v[2:3], v[4:5]
	v_mul_f64 v[4:5], v[80:81], v[22:23]
	s_waitcnt vmcnt(34) lgkmcnt(1)
	v_mul_f64 v[108:109], v[98:99], v[50:51]
	v_fma_f64 v[4:5], v[78:79], v[24:25], -v[4:5]
	s_waitcnt vmcnt(32)
	v_fmac_f64_e32 v[108:109], v[100:101], v[52:53]
	v_add_f64 v[2:3], v[2:3], v[4:5]
	v_mul_f64 v[4:5], v[84:85], v[34:35]
	v_add_f64 v[110:111], v[106:107], v[108:109]
	ds_read_b128 v[106:109], v1 offset:1520
	s_waitcnt lgkmcnt(1)
	v_mul_f64 v[112:113], v[102:103], v[46:47]
	v_fma_f64 v[4:5], v[82:83], v[36:37], -v[4:5]
	v_fmac_f64_e32 v[112:113], v[104:105], v[48:49]
	v_add_f64 v[2:3], v[2:3], v[4:5]
	v_mul_f64 v[4:5], v[88:89], v[30:31]
	v_add_f64 v[114:115], v[110:111], v[112:113]
	ds_read_b128 v[110:113], v1 offset:1536
	v_fma_f64 v[4:5], v[86:87], v[32:33], -v[4:5]
	v_add_f64 v[2:3], v[2:3], v[4:5]
	v_mul_f64 v[4:5], v[92:93], v[42:43]
	v_fma_f64 v[4:5], v[90:91], v[44:45], -v[4:5]
	s_waitcnt vmcnt(26) lgkmcnt(1)
	v_mul_f64 v[116:117], v[106:107], v[138:139]
	v_add_f64 v[2:3], v[2:3], v[4:5]
	v_mul_f64 v[4:5], v[96:97], v[38:39]
	s_waitcnt vmcnt(24)
	v_fmac_f64_e32 v[116:117], v[108:109], v[140:141]
	v_fma_f64 v[4:5], v[94:95], v[40:41], -v[4:5]
	v_add_f64 v[120:121], v[114:115], v[116:117]
	ds_read_b128 v[114:117], v1 offset:1552
	s_waitcnt lgkmcnt(1)
	v_mul_f64 v[122:123], v[110:111], v[118:119]
	v_add_f64 v[2:3], v[2:3], v[4:5]
	v_mul_f64 v[4:5], v[100:101], v[50:51]
	v_fmac_f64_e32 v[122:123], v[112:113], v[136:137]
	v_fma_f64 v[4:5], v[98:99], v[52:53], -v[4:5]
	v_add_f64 v[124:125], v[120:121], v[122:123]
	ds_read_b128 v[120:123], v1 offset:1568
	v_add_f64 v[2:3], v[2:3], v[4:5]
	v_mul_f64 v[4:5], v[104:105], v[46:47]
	v_fma_f64 v[4:5], v[102:103], v[48:49], -v[4:5]
	v_add_f64 v[2:3], v[2:3], v[4:5]
	v_mul_f64 v[4:5], v[108:109], v[138:139]
	s_waitcnt vmcnt(18) lgkmcnt(1)
	v_mul_f64 v[126:127], v[114:115], v[146:147]
	v_fma_f64 v[4:5], v[106:107], v[140:141], -v[4:5]
	s_waitcnt vmcnt(16)
	v_fmac_f64_e32 v[126:127], v[116:117], v[148:149]
	v_add_f64 v[2:3], v[2:3], v[4:5]
	v_mul_f64 v[4:5], v[112:113], v[118:119]
	v_add_f64 v[128:129], v[124:125], v[126:127]
	ds_read_b128 v[124:127], v1 offset:1584
	s_waitcnt lgkmcnt(1)
	v_mul_f64 v[130:131], v[120:121], v[142:143]
	v_fma_f64 v[4:5], v[110:111], v[136:137], -v[4:5]
	v_fmac_f64_e32 v[130:131], v[122:123], v[144:145]
	v_add_f64 v[2:3], v[2:3], v[4:5]
	v_mul_f64 v[4:5], v[116:117], v[146:147]
	v_add_f64 v[166:167], v[128:129], v[130:131]
	ds_read_b128 v[128:131], v1 offset:1600
	v_fma_f64 v[4:5], v[114:115], v[148:149], -v[4:5]
	v_add_f64 v[2:3], v[2:3], v[4:5]
	v_mul_f64 v[4:5], v[122:123], v[142:143]
	v_fma_f64 v[4:5], v[120:121], v[144:145], -v[4:5]
	v_add_f64 v[2:3], v[2:3], v[4:5]
	s_waitcnt vmcnt(10) lgkmcnt(1)
	v_mul_f64 v[4:5], v[126:127], v[154:155]
	v_mul_f64 v[168:169], v[124:125], v[154:155]
	s_waitcnt vmcnt(8)
	v_fma_f64 v[4:5], v[124:125], v[156:157], -v[4:5]
	v_fmac_f64_e32 v[168:169], v[126:127], v[156:157]
	v_add_f64 v[2:3], v[2:3], v[4:5]
	s_waitcnt lgkmcnt(0)
	v_mul_f64 v[4:5], v[130:131], v[150:151]
	v_add_f64 v[166:167], v[166:167], v[168:169]
	v_mul_f64 v[168:169], v[128:129], v[150:151]
	v_fma_f64 v[4:5], v[128:129], v[152:153], -v[4:5]
	v_fmac_f64_e32 v[168:169], v[130:131], v[152:153]
	v_add_f64 v[2:3], v[2:3], v[4:5]
	s_waitcnt vmcnt(6)
	v_mul_f64 v[4:5], v[134:135], v[158:159]
	v_add_f64 v[166:167], v[166:167], v[168:169]
	v_mul_f64 v[168:169], v[132:133], v[158:159]
	s_waitcnt vmcnt(4)
	v_fma_f64 v[4:5], v[132:133], v[160:161], -v[4:5]
	v_fmac_f64_e32 v[168:169], v[134:135], v[160:161]
	v_add_f64 v[2:3], v[2:3], v[4:5]
	v_add_f64 v[166:167], v[166:167], v[168:169]
	s_waitcnt vmcnt(2)
	v_add_f64 v[2:3], v[162:163], -v[2:3]
	s_waitcnt vmcnt(0)
	v_add_f64 v[4:5], v[164:165], -v[166:167]
	buffer_store_dword v3, off, s[0:3], 0 offset:500
	buffer_store_dword v2, off, s[0:3], 0 offset:496
	;; [unrolled: 1-line block ×4, first 2 shown]
	s_and_saveexec_b64 s[4:5], vcc
	s_cbranch_execz .LBB114_261
; %bb.260:
	v_accvgpr_read_b32 v0, a123
	buffer_load_dword v2, v0, s[0:3], 0 offen
	buffer_load_dword v3, v0, s[0:3], 0 offen offset:4
	buffer_load_dword v4, v0, s[0:3], 0 offen offset:8
	;; [unrolled: 1-line block ×3, first 2 shown]
	v_mov_b32_e32 v0, 0
	v_accvgpr_read_b32 v1, a153
	buffer_store_dword v0, off, s[0:3], 0 offset:480
	buffer_store_dword v0, off, s[0:3], 0 offset:484
	;; [unrolled: 1-line block ×4, first 2 shown]
	s_waitcnt vmcnt(4)
	ds_write_b128 v1, v[2:5]
.LBB114_261:
	s_or_b64 exec, exec, s[4:5]
	s_waitcnt lgkmcnt(0)
	; wave barrier
	s_waitcnt lgkmcnt(0)
	buffer_load_dword v4, off, s[0:3], 0 offset:480
	buffer_load_dword v5, off, s[0:3], 0 offset:484
	;; [unrolled: 1-line block ×84, first 2 shown]
	v_mov_b32_e32 v1, 0
	ds_read_b128 v[66:69], v1 offset:1296
	buffer_load_dword v171, off, s[0:3], 0 offset:828
	buffer_load_dword v170, off, s[0:3], 0 offset:824
	;; [unrolled: 1-line block ×4, first 2 shown]
	ds_read_b128 v[70:73], v1 offset:1312
	ds_read_b128 v[74:77], v1 offset:1328
	;; [unrolled: 1-line block ×4, first 2 shown]
	v_cmp_lt_u32_e32 vcc, 28, v254
	s_waitcnt vmcnt(62) lgkmcnt(4)
	v_mul_f64 v[82:83], v[66:67], v[12:13]
	v_fmac_f64_e32 v[82:83], v[68:69], v[6:7]
	s_waitcnt lgkmcnt(3)
	v_mul_f64 v[84:85], v[70:71], v[14:15]
	v_add_f64 v[82:83], v[82:83], 0
	v_fmac_f64_e32 v[84:85], v[72:73], v[8:9]
	v_add_f64 v[82:83], v[82:83], v[84:85]
	s_waitcnt lgkmcnt(2)
	v_mul_f64 v[84:85], v[74:75], v[16:17]
	v_fmac_f64_e32 v[84:85], v[76:77], v[10:11]
	v_add_f64 v[86:87], v[82:83], v[84:85]
	ds_read_b128 v[82:85], v1 offset:1360
	v_mul_f64 v[12:13], v[68:69], v[12:13]
	s_waitcnt lgkmcnt(2)
	v_mul_f64 v[88:89], v[78:79], v[22:23]
	v_fma_f64 v[6:7], v[66:67], v[6:7], -v[12:13]
	v_fmac_f64_e32 v[88:89], v[80:81], v[24:25]
	v_add_f64 v[90:91], v[86:87], v[88:89]
	ds_read_b128 v[86:89], v1 offset:1376
	s_waitcnt lgkmcnt(1)
	v_mul_f64 v[92:93], v[82:83], v[18:19]
	v_fmac_f64_e32 v[92:93], v[84:85], v[20:21]
	v_add_f64 v[94:95], v[90:91], v[92:93]
	ds_read_b128 v[90:93], v1 offset:1392
	s_waitcnt vmcnt(58) lgkmcnt(1)
	v_mul_f64 v[96:97], v[86:87], v[30:31]
	s_waitcnt vmcnt(56)
	v_fmac_f64_e32 v[96:97], v[88:89], v[32:33]
	v_add_f64 v[98:99], v[94:95], v[96:97]
	ds_read_b128 v[94:97], v1 offset:1408
	s_waitcnt lgkmcnt(1)
	v_mul_f64 v[100:101], v[90:91], v[26:27]
	v_fmac_f64_e32 v[100:101], v[92:93], v[28:29]
	v_add_f64 v[102:103], v[98:99], v[100:101]
	ds_read_b128 v[98:101], v1 offset:1424
	s_waitcnt vmcnt(50) lgkmcnt(1)
	v_mul_f64 v[104:105], v[94:95], v[38:39]
	s_waitcnt vmcnt(48)
	v_fmac_f64_e32 v[104:105], v[96:97], v[40:41]
	v_add_f64 v[106:107], v[102:103], v[104:105]
	ds_read_b128 v[102:105], v1 offset:1440
	s_waitcnt lgkmcnt(1)
	v_mul_f64 v[108:109], v[98:99], v[34:35]
	v_fmac_f64_e32 v[108:109], v[100:101], v[36:37]
	v_mul_f64 v[12:13], v[72:73], v[14:15]
	v_add_f64 v[110:111], v[106:107], v[108:109]
	ds_read_b128 v[106:109], v1 offset:1456
	s_waitcnt vmcnt(42) lgkmcnt(1)
	v_mul_f64 v[112:113], v[102:103], v[46:47]
	v_add_f64 v[6:7], v[6:7], 0
	v_fma_f64 v[8:9], v[70:71], v[8:9], -v[12:13]
	s_waitcnt vmcnt(40)
	v_fmac_f64_e32 v[112:113], v[104:105], v[48:49]
	v_add_f64 v[6:7], v[6:7], v[8:9]
	v_mul_f64 v[8:9], v[76:77], v[16:17]
	v_add_f64 v[114:115], v[110:111], v[112:113]
	ds_read_b128 v[110:113], v1 offset:1472
	v_fma_f64 v[8:9], v[74:75], v[10:11], -v[8:9]
	v_add_f64 v[6:7], v[6:7], v[8:9]
	v_mul_f64 v[8:9], v[80:81], v[22:23]
	v_fma_f64 v[8:9], v[78:79], v[24:25], -v[8:9]
	s_waitcnt lgkmcnt(1)
	v_mul_f64 v[116:117], v[106:107], v[42:43]
	v_add_f64 v[6:7], v[6:7], v[8:9]
	v_mul_f64 v[8:9], v[84:85], v[18:19]
	v_fmac_f64_e32 v[116:117], v[108:109], v[44:45]
	v_fma_f64 v[8:9], v[82:83], v[20:21], -v[8:9]
	v_add_f64 v[120:121], v[114:115], v[116:117]
	ds_read_b128 v[114:117], v1 offset:1488
	s_waitcnt vmcnt(34) lgkmcnt(1)
	v_mul_f64 v[122:123], v[110:111], v[54:55]
	v_add_f64 v[6:7], v[6:7], v[8:9]
	v_mul_f64 v[8:9], v[88:89], v[30:31]
	s_waitcnt vmcnt(32)
	v_fmac_f64_e32 v[122:123], v[112:113], v[56:57]
	v_fma_f64 v[8:9], v[86:87], v[32:33], -v[8:9]
	v_add_f64 v[124:125], v[120:121], v[122:123]
	ds_read_b128 v[120:123], v1 offset:1504
	v_add_f64 v[6:7], v[6:7], v[8:9]
	v_mul_f64 v[8:9], v[92:93], v[26:27]
	v_fma_f64 v[8:9], v[90:91], v[28:29], -v[8:9]
	v_add_f64 v[6:7], v[6:7], v[8:9]
	v_mul_f64 v[8:9], v[96:97], v[38:39]
	s_waitcnt lgkmcnt(1)
	v_mul_f64 v[126:127], v[114:115], v[50:51]
	v_fma_f64 v[8:9], v[94:95], v[40:41], -v[8:9]
	v_fmac_f64_e32 v[126:127], v[116:117], v[52:53]
	v_add_f64 v[6:7], v[6:7], v[8:9]
	v_mul_f64 v[8:9], v[100:101], v[34:35]
	v_add_f64 v[128:129], v[124:125], v[126:127]
	ds_read_b128 v[124:127], v1 offset:1520
	s_waitcnt vmcnt(26) lgkmcnt(1)
	v_mul_f64 v[130:131], v[120:121], v[62:63]
	v_fma_f64 v[8:9], v[98:99], v[36:37], -v[8:9]
	s_waitcnt vmcnt(24)
	v_fmac_f64_e32 v[130:131], v[122:123], v[64:65]
	v_add_f64 v[6:7], v[6:7], v[8:9]
	v_mul_f64 v[8:9], v[104:105], v[46:47]
	v_add_f64 v[132:133], v[128:129], v[130:131]
	ds_read_b128 v[128:131], v1 offset:1536
	v_fma_f64 v[8:9], v[102:103], v[48:49], -v[8:9]
	v_add_f64 v[6:7], v[6:7], v[8:9]
	v_mul_f64 v[8:9], v[108:109], v[42:43]
	v_fma_f64 v[8:9], v[106:107], v[44:45], -v[8:9]
	s_waitcnt lgkmcnt(1)
	v_mul_f64 v[134:135], v[124:125], v[58:59]
	v_add_f64 v[6:7], v[6:7], v[8:9]
	v_mul_f64 v[8:9], v[112:113], v[54:55]
	v_fmac_f64_e32 v[134:135], v[126:127], v[60:61]
	v_fma_f64 v[8:9], v[110:111], v[56:57], -v[8:9]
	v_add_f64 v[136:137], v[132:133], v[134:135]
	ds_read_b128 v[132:135], v1 offset:1552
	s_waitcnt vmcnt(18) lgkmcnt(1)
	v_mul_f64 v[138:139], v[128:129], v[154:155]
	v_add_f64 v[6:7], v[6:7], v[8:9]
	v_mul_f64 v[8:9], v[116:117], v[50:51]
	s_waitcnt vmcnt(16)
	v_fmac_f64_e32 v[138:139], v[130:131], v[156:157]
	v_fma_f64 v[8:9], v[114:115], v[52:53], -v[8:9]
	v_add_f64 v[140:141], v[136:137], v[138:139]
	ds_read_b128 v[136:139], v1 offset:1568
	v_add_f64 v[6:7], v[6:7], v[8:9]
	v_mul_f64 v[8:9], v[122:123], v[62:63]
	v_fma_f64 v[8:9], v[120:121], v[64:65], -v[8:9]
	v_add_f64 v[6:7], v[6:7], v[8:9]
	v_mul_f64 v[8:9], v[126:127], v[58:59]
	s_waitcnt lgkmcnt(1)
	v_mul_f64 v[142:143], v[132:133], v[118:119]
	v_fma_f64 v[8:9], v[124:125], v[60:61], -v[8:9]
	v_fmac_f64_e32 v[142:143], v[134:135], v[152:153]
	v_add_f64 v[6:7], v[6:7], v[8:9]
	v_mul_f64 v[8:9], v[130:131], v[154:155]
	v_add_f64 v[144:145], v[140:141], v[142:143]
	ds_read_b128 v[140:143], v1 offset:1584
	s_waitcnt vmcnt(10) lgkmcnt(1)
	v_mul_f64 v[146:147], v[136:137], v[162:163]
	v_fma_f64 v[8:9], v[128:129], v[156:157], -v[8:9]
	s_waitcnt vmcnt(8)
	v_fmac_f64_e32 v[146:147], v[138:139], v[164:165]
	v_add_f64 v[6:7], v[6:7], v[8:9]
	v_mul_f64 v[8:9], v[134:135], v[118:119]
	v_add_f64 v[174:175], v[144:145], v[146:147]
	ds_read_b128 v[144:147], v1 offset:1600
	v_fma_f64 v[8:9], v[132:133], v[152:153], -v[8:9]
	v_add_f64 v[6:7], v[6:7], v[8:9]
	v_mul_f64 v[8:9], v[138:139], v[162:163]
	v_fma_f64 v[8:9], v[136:137], v[164:165], -v[8:9]
	v_add_f64 v[6:7], v[6:7], v[8:9]
	s_waitcnt lgkmcnt(1)
	v_mul_f64 v[8:9], v[142:143], v[158:159]
	v_mul_f64 v[176:177], v[140:141], v[158:159]
	v_fma_f64 v[8:9], v[140:141], v[160:161], -v[8:9]
	v_fmac_f64_e32 v[176:177], v[142:143], v[160:161]
	v_add_f64 v[6:7], v[6:7], v[8:9]
	s_waitcnt vmcnt(6) lgkmcnt(0)
	v_mul_f64 v[8:9], v[146:147], v[166:167]
	v_add_f64 v[174:175], v[174:175], v[176:177]
	v_mul_f64 v[176:177], v[144:145], v[166:167]
	s_waitcnt vmcnt(4)
	v_fma_f64 v[8:9], v[144:145], v[168:169], -v[8:9]
	v_fmac_f64_e32 v[176:177], v[146:147], v[168:169]
	v_add_f64 v[6:7], v[6:7], v[8:9]
	s_waitcnt vmcnt(2)
	v_mul_f64 v[8:9], v[150:151], v[170:171]
	v_add_f64 v[174:175], v[174:175], v[176:177]
	v_mul_f64 v[176:177], v[148:149], v[170:171]
	s_waitcnt vmcnt(0)
	v_fma_f64 v[8:9], v[148:149], v[172:173], -v[8:9]
	v_fmac_f64_e32 v[176:177], v[150:151], v[172:173]
	v_add_f64 v[6:7], v[6:7], v[8:9]
	v_add_f64 v[174:175], v[174:175], v[176:177]
	v_add_f64 v[4:5], v[4:5], -v[6:7]
	v_add_f64 v[2:3], v[2:3], -v[174:175]
	buffer_store_dword v5, off, s[0:3], 0 offset:484
	buffer_store_dword v4, off, s[0:3], 0 offset:480
	;; [unrolled: 1-line block ×4, first 2 shown]
	s_and_saveexec_b64 s[4:5], vcc
	s_cbranch_execz .LBB114_263
; %bb.262:
	v_accvgpr_read_b32 v0, a124
	buffer_load_dword v2, v0, s[0:3], 0 offen
	buffer_load_dword v3, v0, s[0:3], 0 offen offset:4
	buffer_load_dword v4, v0, s[0:3], 0 offen offset:8
	buffer_load_dword v5, v0, s[0:3], 0 offen offset:12
	v_accvgpr_read_b32 v0, a153
	buffer_store_dword v1, off, s[0:3], 0 offset:464
	buffer_store_dword v1, off, s[0:3], 0 offset:468
	;; [unrolled: 1-line block ×4, first 2 shown]
	s_waitcnt vmcnt(4)
	ds_write_b128 v0, v[2:5]
.LBB114_263:
	s_or_b64 exec, exec, s[4:5]
	s_waitcnt lgkmcnt(0)
	; wave barrier
	s_waitcnt lgkmcnt(0)
	ds_read_b128 v[14:17], v1 offset:1280
	ds_read_b128 v[10:13], v1 offset:1296
	;; [unrolled: 1-line block ×4, first 2 shown]
	buffer_load_dword v20, off, s[0:3], 0 offset:464
	buffer_load_dword v21, off, s[0:3], 0 offset:468
	;; [unrolled: 1-line block ×92, first 2 shown]
	s_waitcnt vmcnt(62) lgkmcnt(3)
	v_mul_f64 v[86:87], v[14:15], v[28:29]
	v_fmac_f64_e32 v[86:87], v[16:17], v[22:23]
	s_waitcnt lgkmcnt(2)
	v_mul_f64 v[88:89], v[10:11], v[30:31]
	v_add_f64 v[86:87], v[86:87], 0
	v_fmac_f64_e32 v[88:89], v[12:13], v[24:25]
	v_add_f64 v[86:87], v[86:87], v[88:89]
	s_waitcnt lgkmcnt(1)
	v_mul_f64 v[88:89], v[6:7], v[32:33]
	v_fmac_f64_e32 v[88:89], v[8:9], v[26:27]
	v_add_f64 v[90:91], v[86:87], v[88:89]
	ds_read_b128 v[86:89], v1 offset:1344
	v_mul_f64 v[16:17], v[16:17], v[28:29]
	v_fma_f64 v[14:15], v[14:15], v[22:23], -v[16:17]
	s_waitcnt lgkmcnt(1)
	v_mul_f64 v[92:93], v[2:3], v[38:39]
	v_mul_f64 v[12:13], v[12:13], v[30:31]
	v_fmac_f64_e32 v[92:93], v[4:5], v[40:41]
	v_add_f64 v[94:95], v[90:91], v[92:93]
	ds_read_b128 v[90:93], v1 offset:1360
	s_waitcnt lgkmcnt(1)
	v_mul_f64 v[96:97], v[86:87], v[34:35]
	v_fmac_f64_e32 v[96:97], v[88:89], v[36:37]
	v_add_f64 v[98:99], v[94:95], v[96:97]
	ds_read_b128 v[94:97], v1 offset:1376
	s_waitcnt lgkmcnt(1)
	v_mul_f64 v[100:101], v[90:91], v[46:47]
	s_waitcnt vmcnt(60)
	v_fmac_f64_e32 v[100:101], v[92:93], v[48:49]
	v_add_f64 v[102:103], v[98:99], v[100:101]
	ds_read_b128 v[98:101], v1 offset:1392
	s_waitcnt lgkmcnt(1)
	v_mul_f64 v[104:105], v[94:95], v[42:43]
	v_fmac_f64_e32 v[104:105], v[96:97], v[44:45]
	v_add_f64 v[106:107], v[102:103], v[104:105]
	ds_read_b128 v[102:105], v1 offset:1408
	s_waitcnt vmcnt(54) lgkmcnt(1)
	v_mul_f64 v[108:109], v[98:99], v[54:55]
	s_waitcnt vmcnt(52)
	v_fmac_f64_e32 v[108:109], v[100:101], v[56:57]
	v_add_f64 v[110:111], v[106:107], v[108:109]
	ds_read_b128 v[106:109], v1 offset:1424
	s_waitcnt lgkmcnt(1)
	v_mul_f64 v[112:113], v[102:103], v[50:51]
	v_fmac_f64_e32 v[112:113], v[104:105], v[52:53]
	v_add_f64 v[114:115], v[110:111], v[112:113]
	ds_read_b128 v[110:113], v1 offset:1440
	s_waitcnt vmcnt(46) lgkmcnt(1)
	v_mul_f64 v[116:117], v[106:107], v[62:63]
	s_waitcnt vmcnt(44)
	v_fmac_f64_e32 v[116:117], v[108:109], v[64:65]
	v_add_f64 v[120:121], v[114:115], v[116:117]
	ds_read_b128 v[114:117], v1 offset:1456
	s_waitcnt lgkmcnt(1)
	v_mul_f64 v[122:123], v[110:111], v[58:59]
	v_fmac_f64_e32 v[122:123], v[112:113], v[60:61]
	v_add_f64 v[14:15], v[14:15], 0
	v_fma_f64 v[10:11], v[10:11], v[24:25], -v[12:13]
	v_mul_f64 v[8:9], v[8:9], v[32:33]
	v_add_f64 v[124:125], v[120:121], v[122:123]
	ds_read_b128 v[120:123], v1 offset:1472
	v_add_f64 v[10:11], v[14:15], v[10:11]
	v_fma_f64 v[6:7], v[6:7], v[26:27], -v[8:9]
	v_mul_f64 v[4:5], v[4:5], v[38:39]
	v_add_f64 v[6:7], v[10:11], v[6:7]
	v_fma_f64 v[2:3], v[2:3], v[40:41], -v[4:5]
	v_mul_f64 v[4:5], v[88:89], v[34:35]
	v_add_f64 v[2:3], v[6:7], v[2:3]
	v_fma_f64 v[4:5], v[86:87], v[36:37], -v[4:5]
	s_waitcnt vmcnt(38) lgkmcnt(1)
	v_mul_f64 v[126:127], v[114:115], v[70:71]
	v_add_f64 v[2:3], v[2:3], v[4:5]
	v_mul_f64 v[4:5], v[92:93], v[46:47]
	s_waitcnt vmcnt(36)
	v_fmac_f64_e32 v[126:127], v[116:117], v[72:73]
	v_fma_f64 v[4:5], v[90:91], v[48:49], -v[4:5]
	v_add_f64 v[128:129], v[124:125], v[126:127]
	ds_read_b128 v[124:127], v1 offset:1488
	s_waitcnt lgkmcnt(1)
	v_mul_f64 v[130:131], v[120:121], v[66:67]
	v_add_f64 v[2:3], v[2:3], v[4:5]
	v_mul_f64 v[4:5], v[96:97], v[42:43]
	v_fmac_f64_e32 v[130:131], v[122:123], v[68:69]
	v_fma_f64 v[4:5], v[94:95], v[44:45], -v[4:5]
	v_add_f64 v[132:133], v[128:129], v[130:131]
	ds_read_b128 v[128:131], v1 offset:1504
	v_add_f64 v[2:3], v[2:3], v[4:5]
	v_mul_f64 v[4:5], v[100:101], v[54:55]
	v_fma_f64 v[4:5], v[98:99], v[56:57], -v[4:5]
	v_add_f64 v[2:3], v[2:3], v[4:5]
	v_mul_f64 v[4:5], v[104:105], v[50:51]
	s_waitcnt vmcnt(30) lgkmcnt(1)
	v_mul_f64 v[134:135], v[124:125], v[78:79]
	v_fma_f64 v[4:5], v[102:103], v[52:53], -v[4:5]
	s_waitcnt vmcnt(28)
	v_fmac_f64_e32 v[134:135], v[126:127], v[80:81]
	v_add_f64 v[2:3], v[2:3], v[4:5]
	v_mul_f64 v[4:5], v[108:109], v[62:63]
	v_add_f64 v[136:137], v[132:133], v[134:135]
	ds_read_b128 v[132:135], v1 offset:1520
	s_waitcnt lgkmcnt(1)
	v_mul_f64 v[138:139], v[128:129], v[74:75]
	v_fma_f64 v[4:5], v[106:107], v[64:65], -v[4:5]
	v_fmac_f64_e32 v[138:139], v[130:131], v[76:77]
	v_add_f64 v[2:3], v[2:3], v[4:5]
	v_mul_f64 v[4:5], v[112:113], v[58:59]
	v_add_f64 v[140:141], v[136:137], v[138:139]
	ds_read_b128 v[136:139], v1 offset:1536
	v_fma_f64 v[4:5], v[110:111], v[60:61], -v[4:5]
	v_add_f64 v[2:3], v[2:3], v[4:5]
	v_mul_f64 v[4:5], v[116:117], v[70:71]
	v_fma_f64 v[4:5], v[114:115], v[72:73], -v[4:5]
	s_waitcnt vmcnt(22) lgkmcnt(1)
	v_mul_f64 v[142:143], v[132:133], v[118:119]
	v_add_f64 v[2:3], v[2:3], v[4:5]
	v_mul_f64 v[4:5], v[122:123], v[66:67]
	s_waitcnt vmcnt(20)
	v_fmac_f64_e32 v[142:143], v[134:135], v[160:161]
	v_fma_f64 v[4:5], v[120:121], v[68:69], -v[4:5]
	v_add_f64 v[144:145], v[140:141], v[142:143]
	ds_read_b128 v[140:143], v1 offset:1552
	s_waitcnt lgkmcnt(1)
	v_mul_f64 v[146:147], v[136:137], v[82:83]
	v_add_f64 v[2:3], v[2:3], v[4:5]
	v_mul_f64 v[4:5], v[126:127], v[78:79]
	v_fmac_f64_e32 v[146:147], v[138:139], v[84:85]
	v_fma_f64 v[4:5], v[124:125], v[80:81], -v[4:5]
	v_add_f64 v[148:149], v[144:145], v[146:147]
	ds_read_b128 v[144:147], v1 offset:1568
	v_add_f64 v[2:3], v[2:3], v[4:5]
	v_mul_f64 v[4:5], v[130:131], v[74:75]
	v_fma_f64 v[4:5], v[128:129], v[76:77], -v[4:5]
	v_add_f64 v[2:3], v[2:3], v[4:5]
	v_mul_f64 v[4:5], v[134:135], v[118:119]
	s_waitcnt vmcnt(14) lgkmcnt(1)
	v_mul_f64 v[150:151], v[140:141], v[166:167]
	v_fma_f64 v[4:5], v[132:133], v[160:161], -v[4:5]
	s_waitcnt vmcnt(12)
	v_fmac_f64_e32 v[150:151], v[142:143], v[168:169]
	v_add_f64 v[2:3], v[2:3], v[4:5]
	v_mul_f64 v[4:5], v[138:139], v[82:83]
	v_add_f64 v[152:153], v[148:149], v[150:151]
	ds_read_b128 v[148:151], v1 offset:1584
	s_waitcnt lgkmcnt(1)
	v_mul_f64 v[154:155], v[144:145], v[162:163]
	v_fma_f64 v[4:5], v[136:137], v[84:85], -v[4:5]
	v_fmac_f64_e32 v[154:155], v[146:147], v[164:165]
	v_add_f64 v[2:3], v[2:3], v[4:5]
	v_mul_f64 v[4:5], v[142:143], v[166:167]
	v_add_f64 v[182:183], v[152:153], v[154:155]
	ds_read_b128 v[152:155], v1 offset:1600
	ds_read_b128 v[156:159], v1 offset:1616
	v_fma_f64 v[4:5], v[140:141], v[168:169], -v[4:5]
	v_add_f64 v[2:3], v[2:3], v[4:5]
	v_mul_f64 v[4:5], v[146:147], v[162:163]
	v_fma_f64 v[4:5], v[144:145], v[164:165], -v[4:5]
	v_add_f64 v[2:3], v[2:3], v[4:5]
	s_waitcnt vmcnt(6) lgkmcnt(2)
	v_mul_f64 v[4:5], v[150:151], v[174:175]
	v_mul_f64 v[184:185], v[148:149], v[174:175]
	s_waitcnt vmcnt(4)
	v_fma_f64 v[4:5], v[148:149], v[176:177], -v[4:5]
	v_fmac_f64_e32 v[184:185], v[150:151], v[176:177]
	v_add_f64 v[2:3], v[2:3], v[4:5]
	s_waitcnt lgkmcnt(1)
	v_mul_f64 v[4:5], v[154:155], v[170:171]
	v_add_f64 v[182:183], v[182:183], v[184:185]
	v_mul_f64 v[184:185], v[152:153], v[170:171]
	v_fma_f64 v[4:5], v[152:153], v[172:173], -v[4:5]
	v_fmac_f64_e32 v[184:185], v[154:155], v[172:173]
	v_add_f64 v[2:3], v[2:3], v[4:5]
	s_waitcnt vmcnt(2) lgkmcnt(0)
	v_mul_f64 v[4:5], v[158:159], v[178:179]
	v_add_f64 v[182:183], v[182:183], v[184:185]
	v_mul_f64 v[184:185], v[156:157], v[178:179]
	s_waitcnt vmcnt(0)
	v_fma_f64 v[4:5], v[156:157], v[180:181], -v[4:5]
	v_fmac_f64_e32 v[184:185], v[158:159], v[180:181]
	v_add_f64 v[2:3], v[2:3], v[4:5]
	v_add_f64 v[182:183], v[182:183], v[184:185]
	v_add_f64 v[2:3], v[20:21], -v[2:3]
	v_cmp_lt_u32_e32 vcc, 27, v254
	v_add_f64 v[4:5], v[18:19], -v[182:183]
	buffer_store_dword v3, off, s[0:3], 0 offset:468
	buffer_store_dword v2, off, s[0:3], 0 offset:464
	;; [unrolled: 1-line block ×4, first 2 shown]
	s_and_saveexec_b64 s[4:5], vcc
	s_cbranch_execz .LBB114_265
; %bb.264:
	v_accvgpr_read_b32 v0, a125
	buffer_load_dword v2, v0, s[0:3], 0 offen
	buffer_load_dword v3, v0, s[0:3], 0 offen offset:4
	buffer_load_dword v4, v0, s[0:3], 0 offen offset:8
	;; [unrolled: 1-line block ×3, first 2 shown]
	v_mov_b32_e32 v0, 0
	v_accvgpr_read_b32 v1, a153
	buffer_store_dword v0, off, s[0:3], 0 offset:448
	buffer_store_dword v0, off, s[0:3], 0 offset:452
	;; [unrolled: 1-line block ×4, first 2 shown]
	s_waitcnt vmcnt(4)
	ds_write_b128 v1, v[2:5]
.LBB114_265:
	s_or_b64 exec, exec, s[4:5]
	s_waitcnt lgkmcnt(0)
	; wave barrier
	s_waitcnt lgkmcnt(0)
	buffer_load_dword v9, off, s[0:3], 0 offset:476
	buffer_load_dword v6, off, s[0:3], 0 offset:488
	;; [unrolled: 1-line block ×64, first 2 shown]
	v_mov_b32_e32 v1, 0
	ds_read_b128 v[74:77], v1 offset:1264
	ds_read_b128 v[78:81], v1 offset:1280
	buffer_load_dword v67, off, s[0:3], 0 offset:732
	buffer_load_dword v66, off, s[0:3], 0 offset:728
	;; [unrolled: 1-line block ×8, first 2 shown]
	ds_read_b128 v[82:85], v1 offset:1296
	ds_read_b128 v[86:89], v1 offset:1312
	buffer_load_dword v119, off, s[0:3], 0 offset:764
	buffer_load_dword v118, off, s[0:3], 0 offset:760
	;; [unrolled: 1-line block ×24, first 2 shown]
	ds_read_b128 v[164:167], v1 offset:1616
	v_cmp_lt_u32_e32 vcc, 26, v254
	s_waitcnt vmcnt(62) lgkmcnt(1)
	v_mul_f64 v[96:97], v[86:87], v[22:23]
	v_fmac_f64_e32 v[96:97], v[88:89], v[24:25]
	v_mul_f64 v[92:93], v[78:79], v[6:7]
	v_mul_f64 v[90:91], v[74:75], v[8:9]
	;; [unrolled: 1-line block ×3, first 2 shown]
	v_fmac_f64_e32 v[90:91], v[76:77], v[10:11]
	v_add_f64 v[90:91], v[90:91], 0
	v_fma_f64 v[8:9], v[74:75], v[10:11], -v[8:9]
	v_mul_f64 v[6:7], v[80:81], v[6:7]
	v_add_f64 v[8:9], v[8:9], 0
	v_fmac_f64_e32 v[92:93], v[80:81], v[14:15]
	v_add_f64 v[90:91], v[90:91], v[92:93]
	v_mul_f64 v[92:93], v[82:83], v[16:17]
	v_fmac_f64_e32 v[92:93], v[84:85], v[12:13]
	v_add_f64 v[94:95], v[90:91], v[92:93]
	ds_read_b128 v[90:93], v1 offset:1328
	v_add_f64 v[98:99], v[94:95], v[96:97]
	ds_read_b128 v[94:97], v1 offset:1344
	v_fma_f64 v[6:7], v[78:79], v[14:15], -v[6:7]
	v_add_f64 v[6:7], v[8:9], v[6:7]
	s_waitcnt lgkmcnt(1)
	v_mul_f64 v[100:101], v[90:91], v[18:19]
	v_fmac_f64_e32 v[100:101], v[92:93], v[20:21]
	v_add_f64 v[102:103], v[98:99], v[100:101]
	ds_read_b128 v[98:101], v1 offset:1360
	s_waitcnt lgkmcnt(1)
	v_mul_f64 v[104:105], v[94:95], v[30:31]
	v_fmac_f64_e32 v[104:105], v[96:97], v[32:33]
	v_add_f64 v[106:107], v[102:103], v[104:105]
	ds_read_b128 v[102:105], v1 offset:1376
	;; [unrolled: 5-line block ×3, first 2 shown]
	s_waitcnt vmcnt(58) lgkmcnt(1)
	v_mul_f64 v[112:113], v[102:103], v[38:39]
	s_waitcnt vmcnt(56)
	v_fmac_f64_e32 v[112:113], v[104:105], v[40:41]
	v_add_f64 v[114:115], v[110:111], v[112:113]
	ds_read_b128 v[110:113], v1 offset:1408
	s_waitcnt lgkmcnt(1)
	v_mul_f64 v[116:117], v[106:107], v[34:35]
	v_fmac_f64_e32 v[116:117], v[108:109], v[36:37]
	v_add_f64 v[120:121], v[114:115], v[116:117]
	ds_read_b128 v[114:117], v1 offset:1424
	s_waitcnt vmcnt(50) lgkmcnt(1)
	v_mul_f64 v[122:123], v[110:111], v[46:47]
	s_waitcnt vmcnt(48)
	v_fmac_f64_e32 v[122:123], v[112:113], v[48:49]
	v_add_f64 v[124:125], v[120:121], v[122:123]
	ds_read_b128 v[120:123], v1 offset:1440
	v_mul_f64 v[8:9], v[84:85], v[16:17]
	s_waitcnt lgkmcnt(1)
	v_mul_f64 v[126:127], v[114:115], v[42:43]
	v_fma_f64 v[8:9], v[82:83], v[12:13], -v[8:9]
	v_fmac_f64_e32 v[126:127], v[116:117], v[44:45]
	v_add_f64 v[6:7], v[6:7], v[8:9]
	v_mul_f64 v[8:9], v[88:89], v[22:23]
	v_add_f64 v[128:129], v[124:125], v[126:127]
	ds_read_b128 v[124:127], v1 offset:1456
	s_waitcnt vmcnt(42) lgkmcnt(1)
	v_mul_f64 v[130:131], v[120:121], v[54:55]
	v_fma_f64 v[8:9], v[86:87], v[24:25], -v[8:9]
	s_waitcnt vmcnt(40)
	v_fmac_f64_e32 v[130:131], v[122:123], v[56:57]
	v_add_f64 v[6:7], v[6:7], v[8:9]
	v_mul_f64 v[8:9], v[92:93], v[18:19]
	v_add_f64 v[132:133], v[128:129], v[130:131]
	ds_read_b128 v[128:131], v1 offset:1472
	v_fma_f64 v[8:9], v[90:91], v[20:21], -v[8:9]
	v_add_f64 v[6:7], v[6:7], v[8:9]
	v_mul_f64 v[8:9], v[96:97], v[30:31]
	v_fma_f64 v[8:9], v[94:95], v[32:33], -v[8:9]
	s_waitcnt lgkmcnt(1)
	v_mul_f64 v[134:135], v[124:125], v[50:51]
	v_add_f64 v[6:7], v[6:7], v[8:9]
	v_mul_f64 v[8:9], v[100:101], v[26:27]
	v_fmac_f64_e32 v[134:135], v[126:127], v[52:53]
	v_fma_f64 v[8:9], v[98:99], v[28:29], -v[8:9]
	v_add_f64 v[136:137], v[132:133], v[134:135]
	ds_read_b128 v[132:135], v1 offset:1488
	s_waitcnt vmcnt(34) lgkmcnt(1)
	v_mul_f64 v[138:139], v[128:129], v[62:63]
	v_add_f64 v[6:7], v[6:7], v[8:9]
	v_mul_f64 v[8:9], v[104:105], v[38:39]
	s_waitcnt vmcnt(32)
	v_fmac_f64_e32 v[138:139], v[130:131], v[64:65]
	v_fma_f64 v[8:9], v[102:103], v[40:41], -v[8:9]
	v_add_f64 v[140:141], v[136:137], v[138:139]
	ds_read_b128 v[136:139], v1 offset:1504
	v_add_f64 v[6:7], v[6:7], v[8:9]
	v_mul_f64 v[8:9], v[108:109], v[34:35]
	v_fma_f64 v[8:9], v[106:107], v[36:37], -v[8:9]
	v_add_f64 v[6:7], v[6:7], v[8:9]
	v_mul_f64 v[8:9], v[112:113], v[46:47]
	s_waitcnt lgkmcnt(1)
	v_mul_f64 v[142:143], v[132:133], v[58:59]
	v_fma_f64 v[8:9], v[110:111], v[48:49], -v[8:9]
	v_fmac_f64_e32 v[142:143], v[134:135], v[60:61]
	v_add_f64 v[6:7], v[6:7], v[8:9]
	v_mul_f64 v[8:9], v[116:117], v[42:43]
	v_add_f64 v[144:145], v[140:141], v[142:143]
	ds_read_b128 v[140:143], v1 offset:1520
	s_waitcnt vmcnt(26) lgkmcnt(1)
	v_mul_f64 v[146:147], v[136:137], v[70:71]
	v_fma_f64 v[8:9], v[114:115], v[44:45], -v[8:9]
	s_waitcnt vmcnt(24)
	v_fmac_f64_e32 v[146:147], v[138:139], v[72:73]
	v_add_f64 v[6:7], v[6:7], v[8:9]
	v_mul_f64 v[8:9], v[122:123], v[54:55]
	v_add_f64 v[148:149], v[144:145], v[146:147]
	ds_read_b128 v[144:147], v1 offset:1536
	v_fma_f64 v[8:9], v[120:121], v[56:57], -v[8:9]
	v_add_f64 v[6:7], v[6:7], v[8:9]
	v_mul_f64 v[8:9], v[126:127], v[50:51]
	v_fma_f64 v[8:9], v[124:125], v[52:53], -v[8:9]
	s_waitcnt lgkmcnt(1)
	v_mul_f64 v[150:151], v[140:141], v[66:67]
	v_add_f64 v[6:7], v[6:7], v[8:9]
	v_mul_f64 v[8:9], v[130:131], v[62:63]
	v_fmac_f64_e32 v[150:151], v[142:143], v[68:69]
	v_fma_f64 v[8:9], v[128:129], v[64:65], -v[8:9]
	v_add_f64 v[152:153], v[148:149], v[150:151]
	ds_read_b128 v[148:151], v1 offset:1552
	s_waitcnt vmcnt(18) lgkmcnt(1)
	v_mul_f64 v[154:155], v[144:145], v[170:171]
	v_add_f64 v[6:7], v[6:7], v[8:9]
	v_mul_f64 v[8:9], v[134:135], v[58:59]
	s_waitcnt vmcnt(16)
	v_fmac_f64_e32 v[154:155], v[146:147], v[172:173]
	v_fma_f64 v[8:9], v[132:133], v[60:61], -v[8:9]
	v_add_f64 v[156:157], v[152:153], v[154:155]
	ds_read_b128 v[152:155], v1 offset:1568
	v_add_f64 v[6:7], v[6:7], v[8:9]
	v_mul_f64 v[8:9], v[138:139], v[70:71]
	v_fma_f64 v[8:9], v[136:137], v[72:73], -v[8:9]
	v_add_f64 v[6:7], v[6:7], v[8:9]
	v_mul_f64 v[8:9], v[142:143], v[66:67]
	s_waitcnt lgkmcnt(1)
	v_mul_f64 v[158:159], v[148:149], v[118:119]
	v_fma_f64 v[8:9], v[140:141], v[68:69], -v[8:9]
	v_fmac_f64_e32 v[158:159], v[150:151], v[168:169]
	v_add_f64 v[6:7], v[6:7], v[8:9]
	v_mul_f64 v[8:9], v[146:147], v[170:171]
	v_add_f64 v[160:161], v[156:157], v[158:159]
	ds_read_b128 v[156:159], v1 offset:1584
	s_waitcnt vmcnt(10) lgkmcnt(1)
	v_mul_f64 v[162:163], v[152:153], v[178:179]
	v_fma_f64 v[8:9], v[144:145], v[172:173], -v[8:9]
	s_waitcnt vmcnt(8)
	v_fmac_f64_e32 v[162:163], v[154:155], v[180:181]
	v_add_f64 v[6:7], v[6:7], v[8:9]
	v_mul_f64 v[8:9], v[150:151], v[118:119]
	v_add_f64 v[190:191], v[160:161], v[162:163]
	ds_read_b128 v[160:163], v1 offset:1600
	v_fma_f64 v[8:9], v[148:149], v[168:169], -v[8:9]
	v_add_f64 v[6:7], v[6:7], v[8:9]
	v_mul_f64 v[8:9], v[154:155], v[178:179]
	v_fma_f64 v[8:9], v[152:153], v[180:181], -v[8:9]
	v_add_f64 v[6:7], v[6:7], v[8:9]
	s_waitcnt lgkmcnt(1)
	v_mul_f64 v[8:9], v[158:159], v[174:175]
	v_mul_f64 v[192:193], v[156:157], v[174:175]
	v_fma_f64 v[8:9], v[156:157], v[176:177], -v[8:9]
	v_fmac_f64_e32 v[192:193], v[158:159], v[176:177]
	v_add_f64 v[6:7], v[6:7], v[8:9]
	s_waitcnt vmcnt(2) lgkmcnt(0)
	v_mul_f64 v[8:9], v[162:163], v[186:187]
	v_add_f64 v[190:191], v[190:191], v[192:193]
	v_mul_f64 v[192:193], v[160:161], v[186:187]
	s_waitcnt vmcnt(0)
	v_fma_f64 v[8:9], v[160:161], v[188:189], -v[8:9]
	v_fmac_f64_e32 v[192:193], v[162:163], v[188:189]
	v_add_f64 v[6:7], v[6:7], v[8:9]
	v_mul_f64 v[8:9], v[166:167], v[182:183]
	v_add_f64 v[190:191], v[190:191], v[192:193]
	v_mul_f64 v[192:193], v[164:165], v[182:183]
	v_fma_f64 v[8:9], v[164:165], v[184:185], -v[8:9]
	v_fmac_f64_e32 v[192:193], v[166:167], v[184:185]
	v_add_f64 v[6:7], v[6:7], v[8:9]
	v_add_f64 v[190:191], v[190:191], v[192:193]
	v_add_f64 v[4:5], v[4:5], -v[6:7]
	v_add_f64 v[2:3], v[2:3], -v[190:191]
	buffer_store_dword v5, off, s[0:3], 0 offset:452
	buffer_store_dword v4, off, s[0:3], 0 offset:448
	;; [unrolled: 1-line block ×4, first 2 shown]
	s_and_saveexec_b64 s[4:5], vcc
	s_cbranch_execz .LBB114_267
; %bb.266:
	v_accvgpr_read_b32 v0, a126
	buffer_load_dword v2, v0, s[0:3], 0 offen
	buffer_load_dword v3, v0, s[0:3], 0 offen offset:4
	buffer_load_dword v4, v0, s[0:3], 0 offen offset:8
	;; [unrolled: 1-line block ×3, first 2 shown]
	v_accvgpr_read_b32 v0, a153
	buffer_store_dword v1, off, s[0:3], 0 offset:432
	buffer_store_dword v1, off, s[0:3], 0 offset:436
	;; [unrolled: 1-line block ×4, first 2 shown]
	s_waitcnt vmcnt(4)
	ds_write_b128 v0, v[2:5]
.LBB114_267:
	s_or_b64 exec, exec, s[4:5]
	s_waitcnt lgkmcnt(0)
	; wave barrier
	s_waitcnt lgkmcnt(0)
	buffer_load_dword v22, off, s[0:3], 0 offset:448
	buffer_load_dword v23, off, s[0:3], 0 offset:452
	;; [unrolled: 1-line block ×16, first 2 shown]
	ds_read_b128 v[2:5], v1 offset:1248
	ds_read_b128 v[6:9], v1 offset:1264
	;; [unrolled: 1-line block ×4, first 2 shown]
	buffer_load_dword v35, off, s[0:3], 0 offset:524
	buffer_load_dword v34, off, s[0:3], 0 offset:520
	;; [unrolled: 1-line block ×48, first 2 shown]
	v_cmp_lt_u32_e32 vcc, 25, v254
	s_waitcnt vmcnt(42) lgkmcnt(0)
	v_mul_f64 v[104:105], v[14:15], v[38:39]
	s_waitcnt vmcnt(40)
	v_fmac_f64_e32 v[104:105], v[16:17], v[40:41]
	v_mul_f64 v[82:83], v[2:3], v[24:25]
	v_fmac_f64_e32 v[82:83], v[4:5], v[22:23]
	v_add_f64 v[82:83], v[82:83], 0
	v_mul_f64 v[4:5], v[4:5], v[24:25]
	v_mul_f64 v[84:85], v[6:7], v[32:33]
	v_fma_f64 v[2:3], v[2:3], v[22:23], -v[4:5]
	v_mul_f64 v[98:99], v[10:11], v[26:27]
	v_fmac_f64_e32 v[98:99], v[12:13], v[30:31]
	v_fmac_f64_e32 v[84:85], v[8:9], v[28:29]
	v_add_f64 v[100:101], v[82:83], v[84:85]
	buffer_load_dword v83, off, s[0:3], 0 offset:716
	buffer_load_dword v82, off, s[0:3], 0 offset:712
	;; [unrolled: 1-line block ×32, first 2 shown]
	v_add_f64 v[102:103], v[100:101], v[98:99]
	ds_read_b128 v[98:101], v1 offset:1312
	buffer_load_dword v195, off, s[0:3], 0 offset:828
	buffer_load_dword v194, off, s[0:3], 0 offset:824
	;; [unrolled: 1-line block ×4, first 2 shown]
	v_add_f64 v[106:107], v[102:103], v[104:105]
	ds_read_b128 v[102:105], v1 offset:1328
	v_mul_f64 v[4:5], v[8:9], v[32:33]
	s_waitcnt lgkmcnt(1)
	v_mul_f64 v[108:109], v[98:99], v[34:35]
	v_fmac_f64_e32 v[108:109], v[100:101], v[36:37]
	v_add_f64 v[110:111], v[106:107], v[108:109]
	ds_read_b128 v[106:109], v1 offset:1344
	s_waitcnt vmcnt(62) lgkmcnt(1)
	v_mul_f64 v[112:113], v[102:103], v[46:47]
	v_fmac_f64_e32 v[112:113], v[104:105], v[48:49]
	v_add_f64 v[114:115], v[110:111], v[112:113]
	ds_read_b128 v[110:113], v1 offset:1360
	s_waitcnt lgkmcnt(1)
	v_mul_f64 v[116:117], v[106:107], v[42:43]
	v_fmac_f64_e32 v[116:117], v[108:109], v[44:45]
	v_add_f64 v[120:121], v[114:115], v[116:117]
	ds_read_b128 v[114:117], v1 offset:1376
	s_waitcnt lgkmcnt(1)
	v_mul_f64 v[122:123], v[110:111], v[54:55]
	s_waitcnt vmcnt(60)
	v_fmac_f64_e32 v[122:123], v[112:113], v[56:57]
	v_add_f64 v[124:125], v[120:121], v[122:123]
	ds_read_b128 v[120:123], v1 offset:1392
	s_waitcnt lgkmcnt(1)
	v_mul_f64 v[126:127], v[114:115], v[50:51]
	v_fmac_f64_e32 v[126:127], v[116:117], v[52:53]
	v_add_f64 v[128:129], v[124:125], v[126:127]
	ds_read_b128 v[124:127], v1 offset:1408
	s_waitcnt vmcnt(54) lgkmcnt(1)
	v_mul_f64 v[130:131], v[120:121], v[62:63]
	s_waitcnt vmcnt(52)
	v_fmac_f64_e32 v[130:131], v[122:123], v[64:65]
	v_add_f64 v[132:133], v[128:129], v[130:131]
	ds_read_b128 v[128:131], v1 offset:1424
	s_waitcnt lgkmcnt(1)
	v_mul_f64 v[134:135], v[124:125], v[58:59]
	v_fmac_f64_e32 v[134:135], v[126:127], v[60:61]
	v_add_f64 v[2:3], v[2:3], 0
	v_fma_f64 v[4:5], v[6:7], v[28:29], -v[4:5]
	v_add_f64 v[136:137], v[132:133], v[134:135]
	ds_read_b128 v[132:135], v1 offset:1440
	v_add_f64 v[2:3], v[2:3], v[4:5]
	v_mul_f64 v[4:5], v[12:13], v[26:27]
	v_fma_f64 v[4:5], v[10:11], v[30:31], -v[4:5]
	v_add_f64 v[2:3], v[2:3], v[4:5]
	v_mul_f64 v[4:5], v[16:17], v[38:39]
	s_waitcnt vmcnt(46) lgkmcnt(1)
	v_mul_f64 v[138:139], v[128:129], v[70:71]
	v_fma_f64 v[4:5], v[14:15], v[40:41], -v[4:5]
	s_waitcnt vmcnt(44)
	v_fmac_f64_e32 v[138:139], v[130:131], v[72:73]
	v_add_f64 v[2:3], v[2:3], v[4:5]
	v_mul_f64 v[4:5], v[100:101], v[34:35]
	v_add_f64 v[140:141], v[136:137], v[138:139]
	ds_read_b128 v[136:139], v1 offset:1456
	s_waitcnt lgkmcnt(1)
	v_mul_f64 v[142:143], v[132:133], v[66:67]
	v_fma_f64 v[4:5], v[98:99], v[36:37], -v[4:5]
	v_fmac_f64_e32 v[142:143], v[134:135], v[68:69]
	v_add_f64 v[2:3], v[2:3], v[4:5]
	v_mul_f64 v[4:5], v[104:105], v[46:47]
	v_add_f64 v[144:145], v[140:141], v[142:143]
	ds_read_b128 v[140:143], v1 offset:1472
	v_fma_f64 v[4:5], v[102:103], v[48:49], -v[4:5]
	v_add_f64 v[2:3], v[2:3], v[4:5]
	v_mul_f64 v[4:5], v[108:109], v[42:43]
	v_fma_f64 v[4:5], v[106:107], v[44:45], -v[4:5]
	s_waitcnt vmcnt(38) lgkmcnt(1)
	v_mul_f64 v[146:147], v[136:137], v[78:79]
	v_add_f64 v[2:3], v[2:3], v[4:5]
	v_mul_f64 v[4:5], v[112:113], v[54:55]
	s_waitcnt vmcnt(36)
	v_fmac_f64_e32 v[146:147], v[138:139], v[80:81]
	v_fma_f64 v[4:5], v[110:111], v[56:57], -v[4:5]
	v_add_f64 v[148:149], v[144:145], v[146:147]
	ds_read_b128 v[144:147], v1 offset:1488
	s_waitcnt lgkmcnt(1)
	v_mul_f64 v[150:151], v[140:141], v[74:75]
	v_add_f64 v[2:3], v[2:3], v[4:5]
	v_mul_f64 v[4:5], v[116:117], v[50:51]
	v_fmac_f64_e32 v[150:151], v[142:143], v[76:77]
	v_fma_f64 v[4:5], v[114:115], v[52:53], -v[4:5]
	v_add_f64 v[152:153], v[148:149], v[150:151]
	ds_read_b128 v[148:151], v1 offset:1504
	v_add_f64 v[2:3], v[2:3], v[4:5]
	v_mul_f64 v[4:5], v[122:123], v[62:63]
	v_fma_f64 v[4:5], v[120:121], v[64:65], -v[4:5]
	v_add_f64 v[2:3], v[2:3], v[4:5]
	v_mul_f64 v[4:5], v[126:127], v[58:59]
	s_waitcnt vmcnt(30) lgkmcnt(1)
	v_mul_f64 v[154:155], v[144:145], v[86:87]
	v_fma_f64 v[4:5], v[124:125], v[60:61], -v[4:5]
	s_waitcnt vmcnt(28)
	v_fmac_f64_e32 v[154:155], v[146:147], v[88:89]
	v_add_f64 v[2:3], v[2:3], v[4:5]
	v_mul_f64 v[4:5], v[130:131], v[70:71]
	v_add_f64 v[156:157], v[152:153], v[154:155]
	ds_read_b128 v[152:155], v1 offset:1520
	s_waitcnt lgkmcnt(1)
	v_mul_f64 v[158:159], v[148:149], v[82:83]
	v_fma_f64 v[4:5], v[128:129], v[72:73], -v[4:5]
	v_fmac_f64_e32 v[158:159], v[150:151], v[84:85]
	v_add_f64 v[2:3], v[2:3], v[4:5]
	v_mul_f64 v[4:5], v[134:135], v[66:67]
	v_add_f64 v[160:161], v[156:157], v[158:159]
	ds_read_b128 v[156:159], v1 offset:1536
	v_fma_f64 v[4:5], v[132:133], v[68:69], -v[4:5]
	v_add_f64 v[2:3], v[2:3], v[4:5]
	v_mul_f64 v[4:5], v[138:139], v[78:79]
	v_fma_f64 v[4:5], v[136:137], v[80:81], -v[4:5]
	s_waitcnt vmcnt(22) lgkmcnt(1)
	v_mul_f64 v[162:163], v[152:153], v[94:95]
	v_add_f64 v[2:3], v[2:3], v[4:5]
	v_mul_f64 v[4:5], v[142:143], v[74:75]
	s_waitcnt vmcnt(20)
	v_fmac_f64_e32 v[162:163], v[154:155], v[96:97]
	v_fma_f64 v[4:5], v[140:141], v[76:77], -v[4:5]
	v_add_f64 v[164:165], v[160:161], v[162:163]
	ds_read_b128 v[160:163], v1 offset:1552
	s_waitcnt lgkmcnt(1)
	v_mul_f64 v[166:167], v[156:157], v[90:91]
	v_add_f64 v[2:3], v[2:3], v[4:5]
	v_mul_f64 v[4:5], v[146:147], v[86:87]
	v_fmac_f64_e32 v[166:167], v[158:159], v[92:93]
	v_fma_f64 v[4:5], v[144:145], v[88:89], -v[4:5]
	v_add_f64 v[168:169], v[164:165], v[166:167]
	ds_read_b128 v[164:167], v1 offset:1568
	v_add_f64 v[2:3], v[2:3], v[4:5]
	v_mul_f64 v[4:5], v[150:151], v[82:83]
	v_fma_f64 v[4:5], v[148:149], v[84:85], -v[4:5]
	v_add_f64 v[2:3], v[2:3], v[4:5]
	v_mul_f64 v[4:5], v[154:155], v[94:95]
	s_waitcnt vmcnt(14) lgkmcnt(1)
	v_mul_f64 v[170:171], v[160:161], v[182:183]
	v_fma_f64 v[4:5], v[152:153], v[96:97], -v[4:5]
	s_waitcnt vmcnt(12)
	v_fmac_f64_e32 v[170:171], v[162:163], v[184:185]
	v_add_f64 v[2:3], v[2:3], v[4:5]
	v_mul_f64 v[4:5], v[158:159], v[90:91]
	v_add_f64 v[172:173], v[168:169], v[170:171]
	ds_read_b128 v[168:171], v1 offset:1584
	s_waitcnt lgkmcnt(1)
	v_mul_f64 v[174:175], v[164:165], v[118:119]
	v_fma_f64 v[4:5], v[156:157], v[92:93], -v[4:5]
	v_fmac_f64_e32 v[174:175], v[166:167], v[180:181]
	v_add_f64 v[2:3], v[2:3], v[4:5]
	v_mul_f64 v[4:5], v[162:163], v[182:183]
	v_add_f64 v[198:199], v[172:173], v[174:175]
	ds_read_b128 v[172:175], v1 offset:1600
	v_fma_f64 v[4:5], v[160:161], v[184:185], -v[4:5]
	v_add_f64 v[2:3], v[2:3], v[4:5]
	v_mul_f64 v[4:5], v[166:167], v[118:119]
	ds_read_b128 v[176:179], v1 offset:1616
	v_fma_f64 v[4:5], v[164:165], v[180:181], -v[4:5]
	v_add_f64 v[2:3], v[2:3], v[4:5]
	s_waitcnt vmcnt(6) lgkmcnt(2)
	v_mul_f64 v[4:5], v[170:171], v[190:191]
	v_mul_f64 v[200:201], v[168:169], v[190:191]
	s_waitcnt vmcnt(4)
	v_fma_f64 v[4:5], v[168:169], v[192:193], -v[4:5]
	v_fmac_f64_e32 v[200:201], v[170:171], v[192:193]
	v_add_f64 v[2:3], v[2:3], v[4:5]
	s_waitcnt lgkmcnt(1)
	v_mul_f64 v[4:5], v[174:175], v[186:187]
	v_add_f64 v[198:199], v[198:199], v[200:201]
	v_mul_f64 v[200:201], v[172:173], v[186:187]
	v_fma_f64 v[4:5], v[172:173], v[188:189], -v[4:5]
	v_fmac_f64_e32 v[200:201], v[174:175], v[188:189]
	v_add_f64 v[2:3], v[2:3], v[4:5]
	s_waitcnt vmcnt(2) lgkmcnt(0)
	v_mul_f64 v[4:5], v[178:179], v[194:195]
	v_add_f64 v[198:199], v[198:199], v[200:201]
	v_mul_f64 v[200:201], v[176:177], v[194:195]
	s_waitcnt vmcnt(0)
	v_fma_f64 v[4:5], v[176:177], v[196:197], -v[4:5]
	v_fmac_f64_e32 v[200:201], v[178:179], v[196:197]
	v_add_f64 v[2:3], v[2:3], v[4:5]
	v_add_f64 v[198:199], v[198:199], v[200:201]
	v_add_f64 v[2:3], v[20:21], -v[2:3]
	v_add_f64 v[4:5], v[18:19], -v[198:199]
	buffer_store_dword v3, off, s[0:3], 0 offset:436
	buffer_store_dword v2, off, s[0:3], 0 offset:432
	;; [unrolled: 1-line block ×4, first 2 shown]
	s_and_saveexec_b64 s[4:5], vcc
	s_cbranch_execz .LBB114_269
; %bb.268:
	v_accvgpr_read_b32 v0, a127
	buffer_load_dword v2, v0, s[0:3], 0 offen
	buffer_load_dword v3, v0, s[0:3], 0 offen offset:4
	buffer_load_dword v4, v0, s[0:3], 0 offen offset:8
	;; [unrolled: 1-line block ×3, first 2 shown]
	v_mov_b32_e32 v0, 0
	v_accvgpr_read_b32 v1, a153
	buffer_store_dword v0, off, s[0:3], 0 offset:416
	buffer_store_dword v0, off, s[0:3], 0 offset:420
	;; [unrolled: 1-line block ×4, first 2 shown]
	s_waitcnt vmcnt(4)
	ds_write_b128 v1, v[2:5]
.LBB114_269:
	s_or_b64 exec, exec, s[4:5]
	s_waitcnt lgkmcnt(0)
	; wave barrier
	s_waitcnt lgkmcnt(0)
	buffer_load_dword v22, off, s[0:3], 0 offset:432
	buffer_load_dword v23, off, s[0:3], 0 offset:436
	;; [unrolled: 1-line block ×64, first 2 shown]
	v_mov_b32_e32 v1, 0
	ds_read_b128 v[18:21], v1 offset:1232
	ds_read_b128 v[14:17], v1 offset:1248
	;; [unrolled: 1-line block ×5, first 2 shown]
	v_cmp_lt_u32_e32 vcc, 24, v254
	s_waitcnt vmcnt(60) lgkmcnt(4)
	v_mul_f64 v[86:87], v[18:19], v[26:27]
	v_fmac_f64_e32 v[86:87], v[20:21], v[22:23]
	v_add_f64 v[86:87], v[86:87], 0
	v_mul_f64 v[20:21], v[20:21], v[26:27]
	s_waitcnt vmcnt(56) lgkmcnt(3)
	v_mul_f64 v[88:89], v[14:15], v[28:29]
	v_fmac_f64_e32 v[88:89], v[16:17], v[24:25]
	s_waitcnt vmcnt(54) lgkmcnt(2)
	v_mul_f64 v[90:91], v[10:11], v[30:31]
	v_add_f64 v[86:87], v[86:87], v[88:89]
	v_fma_f64 v[18:19], v[18:19], v[22:23], -v[20:21]
	v_mul_f64 v[16:17], v[16:17], v[28:29]
	s_waitcnt vmcnt(50) lgkmcnt(1)
	v_mul_f64 v[102:103], v[6:7], v[40:41]
	v_add_f64 v[18:19], v[18:19], 0
	s_waitcnt vmcnt(48)
	v_fmac_f64_e32 v[90:91], v[12:13], v[44:45]
	v_add_f64 v[104:105], v[86:87], v[90:91]
	buffer_load_dword v87, off, s[0:3], 0 offset:700
	buffer_load_dword v86, off, s[0:3], 0 offset:696
	;; [unrolled: 1-line block ×40, first 2 shown]
	s_waitcnt vmcnt(62)
	v_fmac_f64_e32 v[102:103], v[8:9], v[42:43]
	v_add_f64 v[106:107], v[104:105], v[102:103]
	ds_read_b128 v[102:105], v1 offset:1312
	s_waitcnt lgkmcnt(1)
	v_mul_f64 v[108:109], v[2:3], v[36:37]
	v_fmac_f64_e32 v[108:109], v[4:5], v[38:39]
	v_add_f64 v[110:111], v[106:107], v[108:109]
	ds_read_b128 v[106:109], v1 offset:1328
	s_waitcnt lgkmcnt(1)
	v_mul_f64 v[112:113], v[102:103], v[50:51]
	;; [unrolled: 5-line block ×5, first 2 shown]
	v_fmac_f64_e32 v[126:127], v[116:117], v[56:57]
	v_add_f64 v[128:129], v[124:125], v[126:127]
	ds_read_b128 v[124:127], v1 offset:1392
	s_waitcnt vmcnt(58) lgkmcnt(1)
	v_mul_f64 v[130:131], v[120:121], v[66:67]
	s_waitcnt vmcnt(56)
	v_fmac_f64_e32 v[130:131], v[122:123], v[68:69]
	v_add_f64 v[132:133], v[128:129], v[130:131]
	ds_read_b128 v[128:131], v1 offset:1408
	s_waitcnt lgkmcnt(1)
	v_mul_f64 v[134:135], v[124:125], v[62:63]
	v_fmac_f64_e32 v[134:135], v[126:127], v[64:65]
	v_add_f64 v[136:137], v[132:133], v[134:135]
	ds_read_b128 v[132:135], v1 offset:1424
	s_waitcnt vmcnt(50) lgkmcnt(1)
	v_mul_f64 v[138:139], v[128:129], v[74:75]
	s_waitcnt vmcnt(48)
	v_fmac_f64_e32 v[138:139], v[130:131], v[76:77]
	v_add_f64 v[140:141], v[136:137], v[138:139]
	ds_read_b128 v[136:139], v1 offset:1440
	v_fma_f64 v[14:15], v[14:15], v[24:25], -v[16:17]
	v_mul_f64 v[12:13], v[12:13], v[30:31]
	v_add_f64 v[14:15], v[18:19], v[14:15]
	v_fma_f64 v[10:11], v[10:11], v[44:45], -v[12:13]
	v_mul_f64 v[8:9], v[8:9], v[40:41]
	s_waitcnt lgkmcnt(1)
	v_mul_f64 v[142:143], v[132:133], v[70:71]
	v_add_f64 v[10:11], v[14:15], v[10:11]
	v_fma_f64 v[6:7], v[6:7], v[42:43], -v[8:9]
	v_mul_f64 v[4:5], v[4:5], v[36:37]
	v_fmac_f64_e32 v[142:143], v[134:135], v[72:73]
	v_add_f64 v[6:7], v[10:11], v[6:7]
	v_fma_f64 v[2:3], v[2:3], v[38:39], -v[4:5]
	v_mul_f64 v[4:5], v[104:105], v[50:51]
	v_add_f64 v[144:145], v[140:141], v[142:143]
	ds_read_b128 v[140:143], v1 offset:1456
	s_waitcnt vmcnt(42) lgkmcnt(1)
	v_mul_f64 v[146:147], v[136:137], v[82:83]
	v_add_f64 v[2:3], v[6:7], v[2:3]
	v_fma_f64 v[4:5], v[102:103], v[52:53], -v[4:5]
	s_waitcnt vmcnt(40)
	v_fmac_f64_e32 v[146:147], v[138:139], v[84:85]
	v_add_f64 v[2:3], v[2:3], v[4:5]
	v_mul_f64 v[4:5], v[108:109], v[46:47]
	v_add_f64 v[148:149], v[144:145], v[146:147]
	ds_read_b128 v[144:147], v1 offset:1472
	v_fma_f64 v[4:5], v[106:107], v[48:49], -v[4:5]
	v_add_f64 v[2:3], v[2:3], v[4:5]
	v_mul_f64 v[4:5], v[112:113], v[58:59]
	v_fma_f64 v[4:5], v[110:111], v[60:61], -v[4:5]
	s_waitcnt lgkmcnt(1)
	v_mul_f64 v[150:151], v[140:141], v[78:79]
	v_add_f64 v[2:3], v[2:3], v[4:5]
	v_mul_f64 v[4:5], v[116:117], v[54:55]
	v_fmac_f64_e32 v[150:151], v[142:143], v[80:81]
	v_fma_f64 v[4:5], v[114:115], v[56:57], -v[4:5]
	v_add_f64 v[152:153], v[148:149], v[150:151]
	ds_read_b128 v[148:151], v1 offset:1488
	s_waitcnt vmcnt(34) lgkmcnt(1)
	v_mul_f64 v[154:155], v[144:145], v[90:91]
	v_add_f64 v[2:3], v[2:3], v[4:5]
	v_mul_f64 v[4:5], v[122:123], v[66:67]
	s_waitcnt vmcnt(32)
	v_fmac_f64_e32 v[154:155], v[146:147], v[92:93]
	v_fma_f64 v[4:5], v[120:121], v[68:69], -v[4:5]
	v_add_f64 v[156:157], v[152:153], v[154:155]
	ds_read_b128 v[152:155], v1 offset:1504
	v_add_f64 v[2:3], v[2:3], v[4:5]
	v_mul_f64 v[4:5], v[126:127], v[62:63]
	v_fma_f64 v[4:5], v[124:125], v[64:65], -v[4:5]
	v_add_f64 v[2:3], v[2:3], v[4:5]
	v_mul_f64 v[4:5], v[130:131], v[74:75]
	s_waitcnt lgkmcnt(1)
	v_mul_f64 v[158:159], v[148:149], v[86:87]
	v_fma_f64 v[4:5], v[128:129], v[76:77], -v[4:5]
	v_fmac_f64_e32 v[158:159], v[150:151], v[88:89]
	v_add_f64 v[2:3], v[2:3], v[4:5]
	v_mul_f64 v[4:5], v[134:135], v[70:71]
	v_add_f64 v[160:161], v[156:157], v[158:159]
	ds_read_b128 v[156:159], v1 offset:1520
	s_waitcnt vmcnt(26) lgkmcnt(1)
	v_mul_f64 v[162:163], v[152:153], v[98:99]
	v_fma_f64 v[4:5], v[132:133], v[72:73], -v[4:5]
	s_waitcnt vmcnt(24)
	v_fmac_f64_e32 v[162:163], v[154:155], v[100:101]
	v_add_f64 v[2:3], v[2:3], v[4:5]
	v_mul_f64 v[4:5], v[138:139], v[82:83]
	v_add_f64 v[164:165], v[160:161], v[162:163]
	ds_read_b128 v[160:163], v1 offset:1536
	v_fma_f64 v[4:5], v[136:137], v[84:85], -v[4:5]
	v_add_f64 v[2:3], v[2:3], v[4:5]
	v_mul_f64 v[4:5], v[142:143], v[78:79]
	v_fma_f64 v[4:5], v[140:141], v[80:81], -v[4:5]
	s_waitcnt lgkmcnt(1)
	v_mul_f64 v[166:167], v[156:157], v[94:95]
	v_add_f64 v[2:3], v[2:3], v[4:5]
	v_mul_f64 v[4:5], v[146:147], v[90:91]
	v_fmac_f64_e32 v[166:167], v[158:159], v[96:97]
	v_fma_f64 v[4:5], v[144:145], v[92:93], -v[4:5]
	v_add_f64 v[168:169], v[164:165], v[166:167]
	ds_read_b128 v[164:167], v1 offset:1552
	s_waitcnt vmcnt(18) lgkmcnt(1)
	v_mul_f64 v[170:171], v[160:161], v[186:187]
	v_add_f64 v[2:3], v[2:3], v[4:5]
	v_mul_f64 v[4:5], v[150:151], v[86:87]
	s_waitcnt vmcnt(16)
	v_fmac_f64_e32 v[170:171], v[162:163], v[188:189]
	v_fma_f64 v[4:5], v[148:149], v[88:89], -v[4:5]
	v_add_f64 v[172:173], v[168:169], v[170:171]
	ds_read_b128 v[168:171], v1 offset:1568
	v_add_f64 v[2:3], v[2:3], v[4:5]
	v_mul_f64 v[4:5], v[154:155], v[98:99]
	v_fma_f64 v[4:5], v[152:153], v[100:101], -v[4:5]
	v_add_f64 v[2:3], v[2:3], v[4:5]
	v_mul_f64 v[4:5], v[158:159], v[94:95]
	s_waitcnt lgkmcnt(1)
	v_mul_f64 v[174:175], v[164:165], v[118:119]
	v_fma_f64 v[4:5], v[156:157], v[96:97], -v[4:5]
	v_fmac_f64_e32 v[174:175], v[166:167], v[184:185]
	v_add_f64 v[2:3], v[2:3], v[4:5]
	v_mul_f64 v[4:5], v[162:163], v[186:187]
	v_add_f64 v[176:177], v[172:173], v[174:175]
	ds_read_b128 v[172:175], v1 offset:1584
	s_waitcnt vmcnt(10) lgkmcnt(1)
	v_mul_f64 v[178:179], v[168:169], v[194:195]
	v_fma_f64 v[4:5], v[160:161], v[188:189], -v[4:5]
	s_waitcnt vmcnt(8)
	v_fmac_f64_e32 v[178:179], v[170:171], v[196:197]
	v_add_f64 v[2:3], v[2:3], v[4:5]
	v_mul_f64 v[4:5], v[166:167], v[118:119]
	v_add_f64 v[206:207], v[176:177], v[178:179]
	ds_read_b128 v[176:179], v1 offset:1600
	ds_read_b128 v[180:183], v1 offset:1616
	v_fma_f64 v[4:5], v[164:165], v[184:185], -v[4:5]
	v_add_f64 v[2:3], v[2:3], v[4:5]
	v_mul_f64 v[4:5], v[170:171], v[194:195]
	v_fma_f64 v[4:5], v[168:169], v[196:197], -v[4:5]
	v_add_f64 v[2:3], v[2:3], v[4:5]
	s_waitcnt lgkmcnt(2)
	v_mul_f64 v[4:5], v[174:175], v[190:191]
	v_mul_f64 v[208:209], v[172:173], v[190:191]
	v_fma_f64 v[4:5], v[172:173], v[192:193], -v[4:5]
	v_fmac_f64_e32 v[208:209], v[174:175], v[192:193]
	v_add_f64 v[2:3], v[2:3], v[4:5]
	s_waitcnt vmcnt(2) lgkmcnt(1)
	v_mul_f64 v[4:5], v[178:179], v[202:203]
	v_add_f64 v[206:207], v[206:207], v[208:209]
	v_mul_f64 v[208:209], v[176:177], v[202:203]
	s_waitcnt vmcnt(0)
	v_fma_f64 v[4:5], v[176:177], v[204:205], -v[4:5]
	v_fmac_f64_e32 v[208:209], v[178:179], v[204:205]
	v_add_f64 v[2:3], v[2:3], v[4:5]
	s_waitcnt lgkmcnt(0)
	v_mul_f64 v[4:5], v[182:183], v[198:199]
	v_add_f64 v[206:207], v[206:207], v[208:209]
	v_mul_f64 v[208:209], v[180:181], v[198:199]
	v_fma_f64 v[4:5], v[180:181], v[200:201], -v[4:5]
	v_fmac_f64_e32 v[208:209], v[182:183], v[200:201]
	v_add_f64 v[2:3], v[2:3], v[4:5]
	v_add_f64 v[206:207], v[206:207], v[208:209]
	v_add_f64 v[2:3], v[34:35], -v[2:3]
	v_add_f64 v[4:5], v[32:33], -v[206:207]
	buffer_store_dword v3, off, s[0:3], 0 offset:420
	buffer_store_dword v2, off, s[0:3], 0 offset:416
	;; [unrolled: 1-line block ×4, first 2 shown]
	s_and_saveexec_b64 s[4:5], vcc
	s_cbranch_execz .LBB114_271
; %bb.270:
	v_accvgpr_read_b32 v0, a128
	buffer_load_dword v2, v0, s[0:3], 0 offen
	buffer_load_dword v3, v0, s[0:3], 0 offen offset:4
	buffer_load_dword v4, v0, s[0:3], 0 offen offset:8
	;; [unrolled: 1-line block ×3, first 2 shown]
	v_accvgpr_read_b32 v0, a153
	buffer_store_dword v1, off, s[0:3], 0 offset:400
	buffer_store_dword v1, off, s[0:3], 0 offset:404
	;; [unrolled: 1-line block ×4, first 2 shown]
	s_waitcnt vmcnt(4)
	ds_write_b128 v0, v[2:5]
.LBB114_271:
	s_or_b64 exec, exec, s[4:5]
	s_waitcnt lgkmcnt(0)
	; wave barrier
	s_waitcnt lgkmcnt(0)
	buffer_load_dword v26, off, s[0:3], 0 offset:416
	buffer_load_dword v27, off, s[0:3], 0 offset:420
	;; [unrolled: 1-line block ×24, first 2 shown]
	ds_read_b128 v[22:25], v1 offset:1216
	ds_read_b128 v[18:21], v1 offset:1232
	;; [unrolled: 1-line block ×6, first 2 shown]
	buffer_load_dword v51, off, s[0:3], 0 offset:524
	buffer_load_dword v50, off, s[0:3], 0 offset:520
	;; [unrolled: 1-line block ×40, first 2 shown]
	v_cmp_lt_u32_e32 vcc, 23, v254
	s_waitcnt vmcnt(34) lgkmcnt(0)
	v_mul_f64 v[122:123], v[14:15], v[54:55]
	s_waitcnt vmcnt(32)
	v_fmac_f64_e32 v[122:123], v[16:17], v[56:57]
	v_mul_f64 v[90:91], v[22:23], v[28:29]
	v_fmac_f64_e32 v[90:91], v[24:25], v[26:27]
	v_mul_f64 v[92:93], v[18:19], v[30:31]
	v_add_f64 v[90:91], v[90:91], 0
	v_mul_f64 v[94:95], v[10:11], v[32:33]
	v_mul_f64 v[24:25], v[24:25], v[28:29]
	;; [unrolled: 1-line block ×3, first 2 shown]
	v_fma_f64 v[22:23], v[22:23], v[26:27], -v[24:25]
	v_add_f64 v[22:23], v[22:23], 0
	v_mul_f64 v[96:97], v[6:7], v[42:43]
	v_fmac_f64_e32 v[92:93], v[20:21], v[48:49]
	v_add_f64 v[90:91], v[90:91], v[92:93]
	v_fmac_f64_e32 v[94:95], v[12:13], v[46:47]
	v_add_f64 v[90:91], v[90:91], v[94:95]
	;; [unrolled: 2-line block ×3, first 2 shown]
	buffer_load_dword v91, off, s[0:3], 0 offset:684
	buffer_load_dword v90, off, s[0:3], 0 offset:680
	;; [unrolled: 1-line block ×40, first 2 shown]
	v_fmac_f64_e32 v[114:115], v[4:5], v[40:41]
	v_add_f64 v[120:121], v[116:117], v[114:115]
	ds_read_b128 v[114:117], v1 offset:1312
	buffer_load_dword v211, off, s[0:3], 0 offset:828
	buffer_load_dword v210, off, s[0:3], 0 offset:824
	;; [unrolled: 1-line block ×4, first 2 shown]
	v_add_f64 v[124:125], v[120:121], v[122:123]
	ds_read_b128 v[120:123], v1 offset:1328
	v_mul_f64 v[20:21], v[20:21], v[30:31]
	s_waitcnt lgkmcnt(1)
	v_mul_f64 v[126:127], v[114:115], v[50:51]
	v_fmac_f64_e32 v[126:127], v[116:117], v[52:53]
	v_add_f64 v[128:129], v[124:125], v[126:127]
	ds_read_b128 v[124:127], v1 offset:1344
	s_waitcnt vmcnt(62) lgkmcnt(1)
	v_mul_f64 v[130:131], v[120:121], v[62:63]
	v_fmac_f64_e32 v[130:131], v[122:123], v[64:65]
	v_add_f64 v[132:133], v[128:129], v[130:131]
	ds_read_b128 v[128:131], v1 offset:1360
	s_waitcnt lgkmcnt(1)
	v_mul_f64 v[134:135], v[124:125], v[58:59]
	v_fmac_f64_e32 v[134:135], v[126:127], v[60:61]
	v_add_f64 v[136:137], v[132:133], v[134:135]
	ds_read_b128 v[132:135], v1 offset:1376
	s_waitcnt lgkmcnt(1)
	v_mul_f64 v[138:139], v[128:129], v[70:71]
	s_waitcnt vmcnt(60)
	v_fmac_f64_e32 v[138:139], v[130:131], v[72:73]
	v_add_f64 v[140:141], v[136:137], v[138:139]
	ds_read_b128 v[136:139], v1 offset:1392
	s_waitcnt lgkmcnt(1)
	v_mul_f64 v[142:143], v[132:133], v[66:67]
	v_fmac_f64_e32 v[142:143], v[134:135], v[68:69]
	v_add_f64 v[144:145], v[140:141], v[142:143]
	ds_read_b128 v[140:143], v1 offset:1408
	s_waitcnt vmcnt(54) lgkmcnt(1)
	v_mul_f64 v[146:147], v[136:137], v[78:79]
	s_waitcnt vmcnt(52)
	v_fmac_f64_e32 v[146:147], v[138:139], v[80:81]
	v_add_f64 v[148:149], v[144:145], v[146:147]
	ds_read_b128 v[144:147], v1 offset:1424
	s_waitcnt lgkmcnt(1)
	v_mul_f64 v[150:151], v[140:141], v[74:75]
	v_fmac_f64_e32 v[150:151], v[142:143], v[76:77]
	v_fma_f64 v[18:19], v[18:19], v[48:49], -v[20:21]
	v_mul_f64 v[12:13], v[12:13], v[32:33]
	v_add_f64 v[152:153], v[148:149], v[150:151]
	ds_read_b128 v[148:151], v1 offset:1440
	v_add_f64 v[18:19], v[22:23], v[18:19]
	v_fma_f64 v[10:11], v[10:11], v[46:47], -v[12:13]
	v_mul_f64 v[8:9], v[8:9], v[42:43]
	v_add_f64 v[10:11], v[18:19], v[10:11]
	v_fma_f64 v[6:7], v[6:7], v[44:45], -v[8:9]
	v_mul_f64 v[4:5], v[4:5], v[38:39]
	;; [unrolled: 3-line block ×3, first 2 shown]
	s_waitcnt vmcnt(46) lgkmcnt(1)
	v_mul_f64 v[154:155], v[144:145], v[86:87]
	v_add_f64 v[2:3], v[6:7], v[2:3]
	v_fma_f64 v[4:5], v[14:15], v[56:57], -v[4:5]
	s_waitcnt vmcnt(44)
	v_fmac_f64_e32 v[154:155], v[146:147], v[88:89]
	v_add_f64 v[2:3], v[2:3], v[4:5]
	v_mul_f64 v[4:5], v[116:117], v[50:51]
	v_add_f64 v[156:157], v[152:153], v[154:155]
	ds_read_b128 v[152:155], v1 offset:1456
	s_waitcnt lgkmcnt(1)
	v_mul_f64 v[158:159], v[148:149], v[82:83]
	v_fma_f64 v[4:5], v[114:115], v[52:53], -v[4:5]
	v_fmac_f64_e32 v[158:159], v[150:151], v[84:85]
	v_add_f64 v[2:3], v[2:3], v[4:5]
	v_mul_f64 v[4:5], v[122:123], v[62:63]
	v_add_f64 v[160:161], v[156:157], v[158:159]
	ds_read_b128 v[156:159], v1 offset:1472
	v_fma_f64 v[4:5], v[120:121], v[64:65], -v[4:5]
	v_add_f64 v[2:3], v[2:3], v[4:5]
	v_mul_f64 v[4:5], v[126:127], v[58:59]
	v_fma_f64 v[4:5], v[124:125], v[60:61], -v[4:5]
	s_waitcnt vmcnt(38) lgkmcnt(1)
	v_mul_f64 v[162:163], v[152:153], v[94:95]
	v_add_f64 v[2:3], v[2:3], v[4:5]
	v_mul_f64 v[4:5], v[130:131], v[70:71]
	s_waitcnt vmcnt(36)
	v_fmac_f64_e32 v[162:163], v[154:155], v[96:97]
	v_fma_f64 v[4:5], v[128:129], v[72:73], -v[4:5]
	v_add_f64 v[164:165], v[160:161], v[162:163]
	ds_read_b128 v[160:163], v1 offset:1488
	s_waitcnt lgkmcnt(1)
	v_mul_f64 v[166:167], v[156:157], v[90:91]
	v_add_f64 v[2:3], v[2:3], v[4:5]
	v_mul_f64 v[4:5], v[134:135], v[66:67]
	v_fmac_f64_e32 v[166:167], v[158:159], v[92:93]
	v_fma_f64 v[4:5], v[132:133], v[68:69], -v[4:5]
	v_add_f64 v[168:169], v[164:165], v[166:167]
	ds_read_b128 v[164:167], v1 offset:1504
	v_add_f64 v[2:3], v[2:3], v[4:5]
	v_mul_f64 v[4:5], v[138:139], v[78:79]
	v_fma_f64 v[4:5], v[136:137], v[80:81], -v[4:5]
	v_add_f64 v[2:3], v[2:3], v[4:5]
	v_mul_f64 v[4:5], v[142:143], v[74:75]
	s_waitcnt vmcnt(30) lgkmcnt(1)
	v_mul_f64 v[170:171], v[160:161], v[102:103]
	v_fma_f64 v[4:5], v[140:141], v[76:77], -v[4:5]
	s_waitcnt vmcnt(28)
	v_fmac_f64_e32 v[170:171], v[162:163], v[104:105]
	v_add_f64 v[2:3], v[2:3], v[4:5]
	v_mul_f64 v[4:5], v[146:147], v[86:87]
	v_add_f64 v[172:173], v[168:169], v[170:171]
	ds_read_b128 v[168:171], v1 offset:1520
	s_waitcnt lgkmcnt(1)
	v_mul_f64 v[174:175], v[164:165], v[98:99]
	v_fma_f64 v[4:5], v[144:145], v[88:89], -v[4:5]
	v_fmac_f64_e32 v[174:175], v[166:167], v[100:101]
	v_add_f64 v[2:3], v[2:3], v[4:5]
	v_mul_f64 v[4:5], v[150:151], v[82:83]
	v_add_f64 v[176:177], v[172:173], v[174:175]
	ds_read_b128 v[172:175], v1 offset:1536
	v_fma_f64 v[4:5], v[148:149], v[84:85], -v[4:5]
	v_add_f64 v[2:3], v[2:3], v[4:5]
	v_mul_f64 v[4:5], v[154:155], v[94:95]
	v_fma_f64 v[4:5], v[152:153], v[96:97], -v[4:5]
	s_waitcnt vmcnt(22) lgkmcnt(1)
	v_mul_f64 v[178:179], v[168:169], v[110:111]
	v_add_f64 v[2:3], v[2:3], v[4:5]
	v_mul_f64 v[4:5], v[158:159], v[90:91]
	s_waitcnt vmcnt(20)
	v_fmac_f64_e32 v[178:179], v[170:171], v[112:113]
	v_fma_f64 v[4:5], v[156:157], v[92:93], -v[4:5]
	v_add_f64 v[180:181], v[176:177], v[178:179]
	ds_read_b128 v[176:179], v1 offset:1552
	s_waitcnt lgkmcnt(1)
	v_mul_f64 v[182:183], v[172:173], v[106:107]
	v_add_f64 v[2:3], v[2:3], v[4:5]
	v_mul_f64 v[4:5], v[162:163], v[102:103]
	v_fmac_f64_e32 v[182:183], v[174:175], v[108:109]
	v_fma_f64 v[4:5], v[160:161], v[104:105], -v[4:5]
	v_add_f64 v[184:185], v[180:181], v[182:183]
	ds_read_b128 v[180:183], v1 offset:1568
	v_add_f64 v[2:3], v[2:3], v[4:5]
	v_mul_f64 v[4:5], v[166:167], v[98:99]
	v_fma_f64 v[4:5], v[164:165], v[100:101], -v[4:5]
	v_add_f64 v[2:3], v[2:3], v[4:5]
	v_mul_f64 v[4:5], v[170:171], v[110:111]
	s_waitcnt vmcnt(14) lgkmcnt(1)
	v_mul_f64 v[186:187], v[176:177], v[198:199]
	v_fma_f64 v[4:5], v[168:169], v[112:113], -v[4:5]
	s_waitcnt vmcnt(12)
	v_fmac_f64_e32 v[186:187], v[178:179], v[200:201]
	v_add_f64 v[2:3], v[2:3], v[4:5]
	v_mul_f64 v[4:5], v[174:175], v[106:107]
	v_add_f64 v[188:189], v[184:185], v[186:187]
	ds_read_b128 v[184:187], v1 offset:1584
	s_waitcnt lgkmcnt(1)
	v_mul_f64 v[190:191], v[180:181], v[118:119]
	v_fma_f64 v[4:5], v[172:173], v[108:109], -v[4:5]
	v_fmac_f64_e32 v[190:191], v[182:183], v[196:197]
	v_add_f64 v[2:3], v[2:3], v[4:5]
	v_mul_f64 v[4:5], v[178:179], v[198:199]
	v_add_f64 v[214:215], v[188:189], v[190:191]
	ds_read_b128 v[188:191], v1 offset:1600
	v_fma_f64 v[4:5], v[176:177], v[200:201], -v[4:5]
	v_add_f64 v[2:3], v[2:3], v[4:5]
	v_mul_f64 v[4:5], v[182:183], v[118:119]
	ds_read_b128 v[192:195], v1 offset:1616
	v_fma_f64 v[4:5], v[180:181], v[196:197], -v[4:5]
	v_add_f64 v[2:3], v[2:3], v[4:5]
	s_waitcnt vmcnt(6) lgkmcnt(2)
	v_mul_f64 v[4:5], v[186:187], v[206:207]
	v_mul_f64 v[216:217], v[184:185], v[206:207]
	s_waitcnt vmcnt(4)
	v_fma_f64 v[4:5], v[184:185], v[208:209], -v[4:5]
	v_fmac_f64_e32 v[216:217], v[186:187], v[208:209]
	v_add_f64 v[2:3], v[2:3], v[4:5]
	s_waitcnt lgkmcnt(1)
	v_mul_f64 v[4:5], v[190:191], v[202:203]
	v_add_f64 v[214:215], v[214:215], v[216:217]
	v_mul_f64 v[216:217], v[188:189], v[202:203]
	v_fma_f64 v[4:5], v[188:189], v[204:205], -v[4:5]
	v_fmac_f64_e32 v[216:217], v[190:191], v[204:205]
	v_add_f64 v[2:3], v[2:3], v[4:5]
	s_waitcnt vmcnt(2) lgkmcnt(0)
	v_mul_f64 v[4:5], v[194:195], v[210:211]
	v_add_f64 v[214:215], v[214:215], v[216:217]
	v_mul_f64 v[216:217], v[192:193], v[210:211]
	s_waitcnt vmcnt(0)
	v_fma_f64 v[4:5], v[192:193], v[212:213], -v[4:5]
	v_fmac_f64_e32 v[216:217], v[194:195], v[212:213]
	v_add_f64 v[2:3], v[2:3], v[4:5]
	v_add_f64 v[214:215], v[214:215], v[216:217]
	v_add_f64 v[2:3], v[36:37], -v[2:3]
	v_add_f64 v[4:5], v[34:35], -v[214:215]
	buffer_store_dword v3, off, s[0:3], 0 offset:404
	buffer_store_dword v2, off, s[0:3], 0 offset:400
	;; [unrolled: 1-line block ×4, first 2 shown]
	s_and_saveexec_b64 s[4:5], vcc
	s_cbranch_execz .LBB114_273
; %bb.272:
	v_accvgpr_read_b32 v0, a129
	buffer_load_dword v2, v0, s[0:3], 0 offen
	buffer_load_dword v3, v0, s[0:3], 0 offen offset:4
	buffer_load_dword v4, v0, s[0:3], 0 offen offset:8
	buffer_load_dword v5, v0, s[0:3], 0 offen offset:12
	v_mov_b32_e32 v0, 0
	v_accvgpr_read_b32 v1, a153
	buffer_store_dword v0, off, s[0:3], 0 offset:384
	buffer_store_dword v0, off, s[0:3], 0 offset:388
	;; [unrolled: 1-line block ×4, first 2 shown]
	s_waitcnt vmcnt(4)
	ds_write_b128 v1, v[2:5]
.LBB114_273:
	s_or_b64 exec, exec, s[4:5]
	s_waitcnt lgkmcnt(0)
	; wave barrier
	s_waitcnt lgkmcnt(0)
	buffer_load_dword v30, off, s[0:3], 0 offset:400
	buffer_load_dword v31, off, s[0:3], 0 offset:404
	;; [unrolled: 1-line block ×56, first 2 shown]
	v_mov_b32_e32 v1, 0
	ds_read_b128 v[26:29], v1 offset:1200
	ds_read_b128 v[22:25], v1 offset:1216
	ds_read_b128 v[18:21], v1 offset:1232
	ds_read_b128 v[14:17], v1 offset:1248
	ds_read_b128 v[10:13], v1 offset:1264
	ds_read_b128 v[6:9], v1 offset:1280
	ds_read_b128 v[2:5], v1 offset:1296
	v_cmp_lt_u32_e32 vcc, 22, v254
	s_waitcnt vmcnt(52) lgkmcnt(6)
	v_mul_f64 v[86:87], v[26:27], v[34:35]
	v_fmac_f64_e32 v[86:87], v[28:29], v[30:31]
	v_add_f64 v[86:87], v[86:87], 0
	v_mul_f64 v[28:29], v[28:29], v[34:35]
	s_waitcnt vmcnt(48) lgkmcnt(5)
	v_mul_f64 v[88:89], v[22:23], v[36:37]
	v_fmac_f64_e32 v[88:89], v[24:25], v[32:33]
	s_waitcnt vmcnt(46) lgkmcnt(4)
	v_mul_f64 v[90:91], v[18:19], v[38:39]
	v_add_f64 v[86:87], v[86:87], v[88:89]
	s_waitcnt vmcnt(44) lgkmcnt(2)
	v_mul_f64 v[94:95], v[10:11], v[40:41]
	v_fma_f64 v[26:27], v[26:27], v[30:31], -v[28:29]
	s_waitcnt vmcnt(42)
	v_fmac_f64_e32 v[94:95], v[12:13], v[42:43]
	v_mul_f64 v[24:25], v[24:25], v[36:37]
	s_waitcnt vmcnt(40)
	v_mul_f64 v[92:93], v[14:15], v[48:49]
	v_add_f64 v[26:27], v[26:27], 0
	v_fma_f64 v[22:23], v[22:23], v[32:33], -v[24:25]
	v_add_f64 v[22:23], v[26:27], v[22:23]
	s_waitcnt vmcnt(36) lgkmcnt(1)
	v_mul_f64 v[110:111], v[6:7], v[54:55]
	v_mul_f64 v[12:13], v[12:13], v[40:41]
	s_waitcnt vmcnt(34)
	v_fmac_f64_e32 v[90:91], v[20:21], v[60:61]
	v_add_f64 v[86:87], v[86:87], v[90:91]
	s_waitcnt vmcnt(32)
	v_fmac_f64_e32 v[92:93], v[16:17], v[58:59]
	v_add_f64 v[86:87], v[86:87], v[92:93]
	v_add_f64 v[116:117], v[86:87], v[94:95]
	buffer_load_dword v87, off, s[0:3], 0 offset:636
	buffer_load_dword v86, off, s[0:3], 0 offset:632
	;; [unrolled: 1-line block ×56, first 2 shown]
	ds_read_b128 v[126:129], v1 offset:1312
	ds_read_b128 v[130:133], v1 offset:1328
	v_mul_f64 v[20:21], v[20:21], v[38:39]
	v_fma_f64 v[18:19], v[18:19], v[60:61], -v[20:21]
	v_mul_f64 v[16:17], v[16:17], v[48:49]
	s_waitcnt vmcnt(62)
	v_fmac_f64_e32 v[110:111], v[8:9], v[56:57]
	v_add_f64 v[18:19], v[22:23], v[18:19]
	v_fma_f64 v[14:15], v[14:15], v[58:59], -v[16:17]
	v_add_f64 v[110:111], v[116:117], v[110:111]
	s_waitcnt lgkmcnt(2)
	v_mul_f64 v[116:117], v[2:3], v[50:51]
	v_add_f64 v[14:15], v[18:19], v[14:15]
	v_fma_f64 v[10:11], v[10:11], v[42:43], -v[12:13]
	v_mul_f64 v[8:9], v[8:9], v[54:55]
	v_fmac_f64_e32 v[116:117], v[4:5], v[52:53]
	ds_read_b128 v[134:137], v1 offset:1344
	ds_read_b128 v[138:141], v1 offset:1360
	v_add_f64 v[10:11], v[14:15], v[10:11]
	v_fma_f64 v[6:7], v[6:7], v[56:57], -v[8:9]
	v_mul_f64 v[4:5], v[4:5], v[50:51]
	v_add_f64 v[6:7], v[10:11], v[6:7]
	v_fma_f64 v[2:3], v[2:3], v[52:53], -v[4:5]
	s_waitcnt lgkmcnt(3)
	v_mul_f64 v[4:5], v[128:129], v[66:67]
	v_add_f64 v[110:111], v[110:111], v[116:117]
	v_mul_f64 v[116:117], v[126:127], v[66:67]
	v_add_f64 v[2:3], v[6:7], v[2:3]
	v_fma_f64 v[4:5], v[126:127], v[68:69], -v[4:5]
	v_fmac_f64_e32 v[116:117], v[128:129], v[68:69]
	v_add_f64 v[2:3], v[2:3], v[4:5]
	s_waitcnt lgkmcnt(2)
	v_mul_f64 v[4:5], v[132:133], v[62:63]
	v_add_f64 v[110:111], v[110:111], v[116:117]
	v_mul_f64 v[116:117], v[130:131], v[62:63]
	ds_read_b128 v[142:145], v1 offset:1376
	ds_read_b128 v[146:149], v1 offset:1392
	v_fma_f64 v[4:5], v[130:131], v[64:65], -v[4:5]
	v_fmac_f64_e32 v[116:117], v[132:133], v[64:65]
	v_add_f64 v[2:3], v[2:3], v[4:5]
	s_waitcnt lgkmcnt(3)
	v_mul_f64 v[4:5], v[136:137], v[74:75]
	v_add_f64 v[110:111], v[110:111], v[116:117]
	v_mul_f64 v[116:117], v[134:135], v[74:75]
	v_fma_f64 v[4:5], v[134:135], v[76:77], -v[4:5]
	v_fmac_f64_e32 v[116:117], v[136:137], v[76:77]
	v_add_f64 v[2:3], v[2:3], v[4:5]
	s_waitcnt lgkmcnt(2)
	v_mul_f64 v[4:5], v[140:141], v[70:71]
	v_add_f64 v[110:111], v[110:111], v[116:117]
	v_mul_f64 v[116:117], v[138:139], v[70:71]
	ds_read_b128 v[150:153], v1 offset:1408
	ds_read_b128 v[154:157], v1 offset:1424
	v_fma_f64 v[4:5], v[138:139], v[72:73], -v[4:5]
	v_fmac_f64_e32 v[116:117], v[140:141], v[72:73]
	v_add_f64 v[2:3], v[2:3], v[4:5]
	s_waitcnt vmcnt(58) lgkmcnt(3)
	v_mul_f64 v[4:5], v[144:145], v[82:83]
	v_add_f64 v[110:111], v[110:111], v[116:117]
	v_mul_f64 v[116:117], v[142:143], v[82:83]
	s_waitcnt vmcnt(56)
	v_fma_f64 v[4:5], v[142:143], v[84:85], -v[4:5]
	v_fmac_f64_e32 v[116:117], v[144:145], v[84:85]
	v_add_f64 v[2:3], v[2:3], v[4:5]
	s_waitcnt lgkmcnt(2)
	v_mul_f64 v[4:5], v[148:149], v[78:79]
	v_add_f64 v[110:111], v[110:111], v[116:117]
	v_mul_f64 v[116:117], v[146:147], v[78:79]
	ds_read_b128 v[158:161], v1 offset:1440
	ds_read_b128 v[162:165], v1 offset:1456
	v_fma_f64 v[4:5], v[146:147], v[80:81], -v[4:5]
	v_fmac_f64_e32 v[116:117], v[148:149], v[80:81]
	v_add_f64 v[2:3], v[2:3], v[4:5]
	s_waitcnt vmcnt(50) lgkmcnt(3)
	v_mul_f64 v[4:5], v[152:153], v[90:91]
	v_add_f64 v[110:111], v[110:111], v[116:117]
	v_mul_f64 v[116:117], v[150:151], v[90:91]
	s_waitcnt vmcnt(48)
	;; [unrolled: 17-line block ×7, first 2 shown]
	v_fma_f64 v[4:5], v[190:191], v[216:217], -v[4:5]
	v_fmac_f64_e32 v[116:117], v[192:193], v[216:217]
	v_add_f64 v[2:3], v[2:3], v[4:5]
	s_waitcnt lgkmcnt(2)
	v_mul_f64 v[4:5], v[196:197], v[210:211]
	v_add_f64 v[110:111], v[110:111], v[116:117]
	v_mul_f64 v[116:117], v[194:195], v[210:211]
	v_fma_f64 v[4:5], v[194:195], v[212:213], -v[4:5]
	v_fmac_f64_e32 v[116:117], v[196:197], v[212:213]
	v_add_f64 v[2:3], v[2:3], v[4:5]
	s_waitcnt vmcnt(2) lgkmcnt(1)
	v_mul_f64 v[4:5], v[200:201], v[222:223]
	v_add_f64 v[110:111], v[110:111], v[116:117]
	v_mul_f64 v[116:117], v[198:199], v[222:223]
	s_waitcnt vmcnt(0)
	v_fma_f64 v[4:5], v[198:199], v[224:225], -v[4:5]
	v_fmac_f64_e32 v[116:117], v[200:201], v[224:225]
	v_add_f64 v[2:3], v[2:3], v[4:5]
	s_waitcnt lgkmcnt(0)
	v_mul_f64 v[4:5], v[204:205], v[218:219]
	v_add_f64 v[110:111], v[110:111], v[116:117]
	v_mul_f64 v[116:117], v[202:203], v[218:219]
	v_fma_f64 v[4:5], v[202:203], v[220:221], -v[4:5]
	v_fmac_f64_e32 v[116:117], v[204:205], v[220:221]
	v_add_f64 v[2:3], v[2:3], v[4:5]
	v_add_f64 v[110:111], v[110:111], v[116:117]
	v_add_f64 v[2:3], v[46:47], -v[2:3]
	v_add_f64 v[4:5], v[44:45], -v[110:111]
	buffer_store_dword v3, off, s[0:3], 0 offset:388
	buffer_store_dword v2, off, s[0:3], 0 offset:384
	;; [unrolled: 1-line block ×4, first 2 shown]
	s_and_saveexec_b64 s[4:5], vcc
	s_cbranch_execz .LBB114_275
; %bb.274:
	v_accvgpr_read_b32 v0, a130
	buffer_load_dword v2, v0, s[0:3], 0 offen
	buffer_load_dword v3, v0, s[0:3], 0 offen offset:4
	buffer_load_dword v4, v0, s[0:3], 0 offen offset:8
	;; [unrolled: 1-line block ×3, first 2 shown]
	v_accvgpr_read_b32 v0, a153
	buffer_store_dword v1, off, s[0:3], 0 offset:368
	buffer_store_dword v1, off, s[0:3], 0 offset:372
	;; [unrolled: 1-line block ×4, first 2 shown]
	s_waitcnt vmcnt(4)
	ds_write_b128 v0, v[2:5]
.LBB114_275:
	s_or_b64 exec, exec, s[4:5]
	s_waitcnt lgkmcnt(0)
	; wave barrier
	s_waitcnt lgkmcnt(0)
	buffer_load_dword v34, off, s[0:3], 0 offset:384
	buffer_load_dword v35, off, s[0:3], 0 offset:388
	;; [unrolled: 1-line block ×32, first 2 shown]
	ds_read_b128 v[30:33], v1 offset:1184
	ds_read_b128 v[26:29], v1 offset:1200
	;; [unrolled: 1-line block ×8, first 2 shown]
	buffer_load_dword v67, off, s[0:3], 0 offset:524
	buffer_load_dword v66, off, s[0:3], 0 offset:520
	;; [unrolled: 1-line block ×24, first 2 shown]
	v_cmp_lt_u32_e32 vcc, 21, v254
	s_waitcnt vmcnt(52) lgkmcnt(7)
	v_mul_f64 v[90:91], v[30:31], v[38:39]
	v_fmac_f64_e32 v[90:91], v[32:33], v[34:35]
	v_add_f64 v[90:91], v[90:91], 0
	v_mul_f64 v[32:33], v[32:33], v[38:39]
	s_waitcnt vmcnt(48) lgkmcnt(6)
	v_mul_f64 v[92:93], v[26:27], v[40:41]
	v_fmac_f64_e32 v[92:93], v[28:29], v[36:37]
	s_waitcnt vmcnt(46) lgkmcnt(5)
	v_mul_f64 v[94:95], v[22:23], v[42:43]
	v_add_f64 v[90:91], v[90:91], v[92:93]
	s_waitcnt vmcnt(44) lgkmcnt(4)
	v_mul_f64 v[96:97], v[18:19], v[48:49]
	v_fma_f64 v[30:31], v[30:31], v[34:35], -v[32:33]
	s_waitcnt vmcnt(42) lgkmcnt(1)
	v_mul_f64 v[124:125], v[2:3], v[50:51]
	v_mul_f64 v[28:29], v[28:29], v[40:41]
	s_waitcnt vmcnt(18) lgkmcnt(0)
	v_mul_f64 v[138:139], v[14:15], v[70:71]
	v_mul_f64 v[100:101], v[6:7], v[54:55]
	s_waitcnt vmcnt(16)
	v_fmac_f64_e32 v[138:139], v[16:17], v[72:73]
	v_mul_f64 v[98:99], v[10:11], v[56:57]
	v_add_f64 v[30:31], v[30:31], 0
	v_fmac_f64_e32 v[98:99], v[12:13], v[58:59]
	v_fma_f64 v[26:27], v[26:27], v[36:37], -v[28:29]
	v_fmac_f64_e32 v[94:95], v[24:25], v[64:65]
	v_add_f64 v[90:91], v[90:91], v[94:95]
	v_fmac_f64_e32 v[96:97], v[20:21], v[62:63]
	v_add_f64 v[90:91], v[90:91], v[96:97]
	v_fmac_f64_e32 v[100:101], v[8:9], v[60:61]
	v_add_f64 v[90:91], v[90:91], v[98:99]
	v_add_f64 v[126:127], v[90:91], v[100:101]
	buffer_load_dword v91, off, s[0:3], 0 offset:620
	buffer_load_dword v90, off, s[0:3], 0 offset:616
	buffer_load_dword v93, off, s[0:3], 0 offset:612
	buffer_load_dword v92, off, s[0:3], 0 offset:608
	buffer_load_dword v95, off, s[0:3], 0 offset:604
	buffer_load_dword v94, off, s[0:3], 0 offset:600
	buffer_load_dword v97, off, s[0:3], 0 offset:596
	buffer_load_dword v96, off, s[0:3], 0 offset:592
	buffer_load_dword v99, off, s[0:3], 0 offset:652
	buffer_load_dword v98, off, s[0:3], 0 offset:648
	buffer_load_dword v101, off, s[0:3], 0 offset:644
	buffer_load_dword v100, off, s[0:3], 0 offset:640
	buffer_load_dword v103, off, s[0:3], 0 offset:636
	buffer_load_dword v102, off, s[0:3], 0 offset:632
	buffer_load_dword v105, off, s[0:3], 0 offset:628
	buffer_load_dword v104, off, s[0:3], 0 offset:624
	buffer_load_dword v107, off, s[0:3], 0 offset:684
	buffer_load_dword v106, off, s[0:3], 0 offset:680
	buffer_load_dword v109, off, s[0:3], 0 offset:676
	buffer_load_dword v108, off, s[0:3], 0 offset:672
	buffer_load_dword v111, off, s[0:3], 0 offset:668
	buffer_load_dword v110, off, s[0:3], 0 offset:664
	buffer_load_dword v113, off, s[0:3], 0 offset:660
	buffer_load_dword v112, off, s[0:3], 0 offset:656
	buffer_load_dword v115, off, s[0:3], 0 offset:716
	buffer_load_dword v114, off, s[0:3], 0 offset:712
	buffer_load_dword v117, off, s[0:3], 0 offset:708
	buffer_load_dword v116, off, s[0:3], 0 offset:704
	buffer_load_dword v121, off, s[0:3], 0 offset:700
	buffer_load_dword v120, off, s[0:3], 0 offset:696
	buffer_load_dword v123, off, s[0:3], 0 offset:692
	buffer_load_dword v122, off, s[0:3], 0 offset:688
	buffer_load_dword v129, off, s[0:3], 0 offset:748
	buffer_load_dword v128, off, s[0:3], 0 offset:744
	buffer_load_dword v131, off, s[0:3], 0 offset:740
	buffer_load_dword v130, off, s[0:3], 0 offset:736
	buffer_load_dword v133, off, s[0:3], 0 offset:732
	buffer_load_dword v132, off, s[0:3], 0 offset:728
	buffer_load_dword v135, off, s[0:3], 0 offset:724
	buffer_load_dword v134, off, s[0:3], 0 offset:720
	buffer_load_dword v119, off, s[0:3], 0 offset:780
	buffer_load_dword v118, off, s[0:3], 0 offset:776
	buffer_load_dword v213, off, s[0:3], 0 offset:772
	buffer_load_dword v212, off, s[0:3], 0 offset:768
	buffer_load_dword v215, off, s[0:3], 0 offset:764
	buffer_load_dword v214, off, s[0:3], 0 offset:760
	buffer_load_dword v217, off, s[0:3], 0 offset:756
	buffer_load_dword v216, off, s[0:3], 0 offset:752
	buffer_load_dword v219, off, s[0:3], 0 offset:812
	buffer_load_dword v218, off, s[0:3], 0 offset:808
	buffer_load_dword v221, off, s[0:3], 0 offset:804
	buffer_load_dword v220, off, s[0:3], 0 offset:800
	buffer_load_dword v223, off, s[0:3], 0 offset:796
	buffer_load_dword v222, off, s[0:3], 0 offset:792
	buffer_load_dword v225, off, s[0:3], 0 offset:788
	buffer_load_dword v224, off, s[0:3], 0 offset:784
	v_fmac_f64_e32 v[124:125], v[4:5], v[52:53]
	v_add_f64 v[136:137], v[126:127], v[124:125]
	ds_read_b128 v[124:127], v1 offset:1312
	buffer_load_dword v227, off, s[0:3], 0 offset:828
	buffer_load_dword v226, off, s[0:3], 0 offset:824
	;; [unrolled: 1-line block ×4, first 2 shown]
	v_add_f64 v[140:141], v[136:137], v[138:139]
	ds_read_b128 v[136:139], v1 offset:1328
	v_mul_f64 v[24:25], v[24:25], v[42:43]
	s_waitcnt lgkmcnt(1)
	v_mul_f64 v[142:143], v[124:125], v[66:67]
	v_fmac_f64_e32 v[142:143], v[126:127], v[68:69]
	v_add_f64 v[144:145], v[140:141], v[142:143]
	ds_read_b128 v[140:143], v1 offset:1344
	s_waitcnt vmcnt(62) lgkmcnt(1)
	v_mul_f64 v[146:147], v[136:137], v[78:79]
	v_fmac_f64_e32 v[146:147], v[138:139], v[80:81]
	v_add_f64 v[148:149], v[144:145], v[146:147]
	ds_read_b128 v[144:147], v1 offset:1360
	s_waitcnt lgkmcnt(1)
	v_mul_f64 v[150:151], v[140:141], v[74:75]
	v_fmac_f64_e32 v[150:151], v[142:143], v[76:77]
	v_add_f64 v[152:153], v[148:149], v[150:151]
	ds_read_b128 v[148:151], v1 offset:1376
	s_waitcnt lgkmcnt(1)
	v_mul_f64 v[154:155], v[144:145], v[86:87]
	s_waitcnt vmcnt(60)
	v_fmac_f64_e32 v[154:155], v[146:147], v[88:89]
	v_add_f64 v[156:157], v[152:153], v[154:155]
	ds_read_b128 v[152:155], v1 offset:1392
	s_waitcnt lgkmcnt(1)
	v_mul_f64 v[158:159], v[148:149], v[82:83]
	v_fmac_f64_e32 v[158:159], v[150:151], v[84:85]
	v_add_f64 v[160:161], v[156:157], v[158:159]
	ds_read_b128 v[156:159], v1 offset:1408
	v_add_f64 v[26:27], v[30:31], v[26:27]
	v_fma_f64 v[22:23], v[22:23], v[64:65], -v[24:25]
	s_waitcnt vmcnt(54) lgkmcnt(1)
	v_mul_f64 v[162:163], v[152:153], v[94:95]
	v_mul_f64 v[20:21], v[20:21], v[48:49]
	s_waitcnt vmcnt(52)
	v_fmac_f64_e32 v[162:163], v[154:155], v[96:97]
	v_add_f64 v[164:165], v[160:161], v[162:163]
	ds_read_b128 v[160:163], v1 offset:1424
	s_waitcnt lgkmcnt(1)
	v_mul_f64 v[166:167], v[156:157], v[90:91]
	v_fmac_f64_e32 v[166:167], v[158:159], v[92:93]
	v_add_f64 v[22:23], v[26:27], v[22:23]
	v_fma_f64 v[18:19], v[18:19], v[62:63], -v[20:21]
	v_mul_f64 v[12:13], v[12:13], v[56:57]
	v_add_f64 v[168:169], v[164:165], v[166:167]
	ds_read_b128 v[164:167], v1 offset:1440
	v_add_f64 v[18:19], v[22:23], v[18:19]
	v_fma_f64 v[10:11], v[10:11], v[58:59], -v[12:13]
	v_mul_f64 v[8:9], v[8:9], v[54:55]
	v_add_f64 v[10:11], v[18:19], v[10:11]
	v_fma_f64 v[6:7], v[6:7], v[60:61], -v[8:9]
	v_mul_f64 v[4:5], v[4:5], v[50:51]
	;; [unrolled: 3-line block ×3, first 2 shown]
	s_waitcnt vmcnt(46) lgkmcnt(1)
	v_mul_f64 v[170:171], v[160:161], v[102:103]
	v_add_f64 v[2:3], v[6:7], v[2:3]
	v_fma_f64 v[4:5], v[14:15], v[72:73], -v[4:5]
	s_waitcnt vmcnt(44)
	v_fmac_f64_e32 v[170:171], v[162:163], v[104:105]
	v_add_f64 v[2:3], v[2:3], v[4:5]
	v_mul_f64 v[4:5], v[126:127], v[66:67]
	v_add_f64 v[172:173], v[168:169], v[170:171]
	ds_read_b128 v[168:171], v1 offset:1456
	s_waitcnt lgkmcnt(1)
	v_mul_f64 v[174:175], v[164:165], v[98:99]
	v_fma_f64 v[4:5], v[124:125], v[68:69], -v[4:5]
	v_fmac_f64_e32 v[174:175], v[166:167], v[100:101]
	v_add_f64 v[2:3], v[2:3], v[4:5]
	v_mul_f64 v[4:5], v[138:139], v[78:79]
	v_add_f64 v[176:177], v[172:173], v[174:175]
	ds_read_b128 v[172:175], v1 offset:1472
	v_fma_f64 v[4:5], v[136:137], v[80:81], -v[4:5]
	v_add_f64 v[2:3], v[2:3], v[4:5]
	v_mul_f64 v[4:5], v[142:143], v[74:75]
	v_fma_f64 v[4:5], v[140:141], v[76:77], -v[4:5]
	s_waitcnt vmcnt(38) lgkmcnt(1)
	v_mul_f64 v[178:179], v[168:169], v[110:111]
	v_add_f64 v[2:3], v[2:3], v[4:5]
	v_mul_f64 v[4:5], v[146:147], v[86:87]
	s_waitcnt vmcnt(36)
	v_fmac_f64_e32 v[178:179], v[170:171], v[112:113]
	v_fma_f64 v[4:5], v[144:145], v[88:89], -v[4:5]
	v_add_f64 v[180:181], v[176:177], v[178:179]
	ds_read_b128 v[176:179], v1 offset:1488
	s_waitcnt lgkmcnt(1)
	v_mul_f64 v[182:183], v[172:173], v[106:107]
	v_add_f64 v[2:3], v[2:3], v[4:5]
	v_mul_f64 v[4:5], v[150:151], v[82:83]
	v_fmac_f64_e32 v[182:183], v[174:175], v[108:109]
	v_fma_f64 v[4:5], v[148:149], v[84:85], -v[4:5]
	v_add_f64 v[184:185], v[180:181], v[182:183]
	ds_read_b128 v[180:183], v1 offset:1504
	v_add_f64 v[2:3], v[2:3], v[4:5]
	v_mul_f64 v[4:5], v[154:155], v[94:95]
	v_fma_f64 v[4:5], v[152:153], v[96:97], -v[4:5]
	v_add_f64 v[2:3], v[2:3], v[4:5]
	v_mul_f64 v[4:5], v[158:159], v[90:91]
	s_waitcnt vmcnt(30) lgkmcnt(1)
	v_mul_f64 v[186:187], v[176:177], v[120:121]
	v_fma_f64 v[4:5], v[156:157], v[92:93], -v[4:5]
	s_waitcnt vmcnt(28)
	v_fmac_f64_e32 v[186:187], v[178:179], v[122:123]
	v_add_f64 v[2:3], v[2:3], v[4:5]
	v_mul_f64 v[4:5], v[162:163], v[102:103]
	v_add_f64 v[188:189], v[184:185], v[186:187]
	ds_read_b128 v[184:187], v1 offset:1520
	s_waitcnt lgkmcnt(1)
	v_mul_f64 v[190:191], v[180:181], v[114:115]
	v_fma_f64 v[4:5], v[160:161], v[104:105], -v[4:5]
	v_fmac_f64_e32 v[190:191], v[182:183], v[116:117]
	v_add_f64 v[2:3], v[2:3], v[4:5]
	v_mul_f64 v[4:5], v[166:167], v[98:99]
	v_add_f64 v[192:193], v[188:189], v[190:191]
	ds_read_b128 v[188:191], v1 offset:1536
	v_fma_f64 v[4:5], v[164:165], v[100:101], -v[4:5]
	v_add_f64 v[2:3], v[2:3], v[4:5]
	v_mul_f64 v[4:5], v[170:171], v[110:111]
	v_fma_f64 v[4:5], v[168:169], v[112:113], -v[4:5]
	s_waitcnt vmcnt(22) lgkmcnt(1)
	v_mul_f64 v[194:195], v[184:185], v[132:133]
	v_add_f64 v[2:3], v[2:3], v[4:5]
	v_mul_f64 v[4:5], v[174:175], v[106:107]
	s_waitcnt vmcnt(20)
	v_fmac_f64_e32 v[194:195], v[186:187], v[134:135]
	v_fma_f64 v[4:5], v[172:173], v[108:109], -v[4:5]
	v_add_f64 v[196:197], v[192:193], v[194:195]
	ds_read_b128 v[192:195], v1 offset:1552
	s_waitcnt lgkmcnt(1)
	v_mul_f64 v[198:199], v[188:189], v[128:129]
	v_add_f64 v[2:3], v[2:3], v[4:5]
	v_mul_f64 v[4:5], v[178:179], v[120:121]
	v_fmac_f64_e32 v[198:199], v[190:191], v[130:131]
	v_fma_f64 v[4:5], v[176:177], v[122:123], -v[4:5]
	v_add_f64 v[200:201], v[196:197], v[198:199]
	ds_read_b128 v[196:199], v1 offset:1568
	v_add_f64 v[2:3], v[2:3], v[4:5]
	v_mul_f64 v[4:5], v[182:183], v[114:115]
	v_fma_f64 v[4:5], v[180:181], v[116:117], -v[4:5]
	v_add_f64 v[2:3], v[2:3], v[4:5]
	v_mul_f64 v[4:5], v[186:187], v[132:133]
	s_waitcnt vmcnt(14) lgkmcnt(1)
	v_mul_f64 v[202:203], v[192:193], v[214:215]
	v_fma_f64 v[4:5], v[184:185], v[134:135], -v[4:5]
	s_waitcnt vmcnt(12)
	v_fmac_f64_e32 v[202:203], v[194:195], v[216:217]
	v_add_f64 v[2:3], v[2:3], v[4:5]
	v_mul_f64 v[4:5], v[190:191], v[128:129]
	v_add_f64 v[204:205], v[200:201], v[202:203]
	ds_read_b128 v[200:203], v1 offset:1584
	s_waitcnt lgkmcnt(1)
	v_mul_f64 v[206:207], v[196:197], v[118:119]
	v_fma_f64 v[4:5], v[188:189], v[130:131], -v[4:5]
	v_fmac_f64_e32 v[206:207], v[198:199], v[212:213]
	v_add_f64 v[2:3], v[2:3], v[4:5]
	v_mul_f64 v[4:5], v[194:195], v[214:215]
	v_add_f64 v[230:231], v[204:205], v[206:207]
	ds_read_b128 v[204:207], v1 offset:1600
	v_fma_f64 v[4:5], v[192:193], v[216:217], -v[4:5]
	v_add_f64 v[2:3], v[2:3], v[4:5]
	v_mul_f64 v[4:5], v[198:199], v[118:119]
	ds_read_b128 v[208:211], v1 offset:1616
	v_fma_f64 v[4:5], v[196:197], v[212:213], -v[4:5]
	v_add_f64 v[2:3], v[2:3], v[4:5]
	s_waitcnt vmcnt(6) lgkmcnt(2)
	v_mul_f64 v[4:5], v[202:203], v[222:223]
	v_mul_f64 v[232:233], v[200:201], v[222:223]
	s_waitcnt vmcnt(4)
	v_fma_f64 v[4:5], v[200:201], v[224:225], -v[4:5]
	v_fmac_f64_e32 v[232:233], v[202:203], v[224:225]
	v_add_f64 v[2:3], v[2:3], v[4:5]
	s_waitcnt lgkmcnt(1)
	v_mul_f64 v[4:5], v[206:207], v[218:219]
	v_add_f64 v[230:231], v[230:231], v[232:233]
	v_mul_f64 v[232:233], v[204:205], v[218:219]
	v_fma_f64 v[4:5], v[204:205], v[220:221], -v[4:5]
	v_fmac_f64_e32 v[232:233], v[206:207], v[220:221]
	v_add_f64 v[2:3], v[2:3], v[4:5]
	s_waitcnt vmcnt(2) lgkmcnt(0)
	v_mul_f64 v[4:5], v[210:211], v[226:227]
	v_add_f64 v[230:231], v[230:231], v[232:233]
	v_mul_f64 v[232:233], v[208:209], v[226:227]
	s_waitcnt vmcnt(0)
	v_fma_f64 v[4:5], v[208:209], v[228:229], -v[4:5]
	v_fmac_f64_e32 v[232:233], v[210:211], v[228:229]
	v_add_f64 v[2:3], v[2:3], v[4:5]
	v_add_f64 v[230:231], v[230:231], v[232:233]
	v_add_f64 v[2:3], v[46:47], -v[2:3]
	v_add_f64 v[4:5], v[44:45], -v[230:231]
	buffer_store_dword v3, off, s[0:3], 0 offset:372
	buffer_store_dword v2, off, s[0:3], 0 offset:368
	;; [unrolled: 1-line block ×4, first 2 shown]
	s_and_saveexec_b64 s[4:5], vcc
	s_cbranch_execz .LBB114_277
; %bb.276:
	v_accvgpr_read_b32 v0, a131
	buffer_load_dword v2, v0, s[0:3], 0 offen
	buffer_load_dword v3, v0, s[0:3], 0 offen offset:4
	buffer_load_dword v4, v0, s[0:3], 0 offen offset:8
	;; [unrolled: 1-line block ×3, first 2 shown]
	v_mov_b32_e32 v0, 0
	v_accvgpr_read_b32 v1, a153
	buffer_store_dword v0, off, s[0:3], 0 offset:352
	buffer_store_dword v0, off, s[0:3], 0 offset:356
	;; [unrolled: 1-line block ×4, first 2 shown]
	s_waitcnt vmcnt(4)
	ds_write_b128 v1, v[2:5]
.LBB114_277:
	s_or_b64 exec, exec, s[4:5]
	s_waitcnt lgkmcnt(0)
	; wave barrier
	s_waitcnt lgkmcnt(0)
	buffer_load_dword v38, off, s[0:3], 0 offset:368
	buffer_load_dword v39, off, s[0:3], 0 offset:372
	;; [unrolled: 1-line block ×48, first 2 shown]
	v_mov_b32_e32 v1, 0
	ds_read_b128 v[34:37], v1 offset:1168
	ds_read_b128 v[30:33], v1 offset:1184
	;; [unrolled: 1-line block ×9, first 2 shown]
	v_cmp_lt_u32_e32 vcc, 20, v254
	s_waitcnt vmcnt(44) lgkmcnt(8)
	v_mul_f64 v[86:87], v[34:35], v[42:43]
	v_fmac_f64_e32 v[86:87], v[36:37], v[38:39]
	v_add_f64 v[86:87], v[86:87], 0
	v_mul_f64 v[36:37], v[36:37], v[42:43]
	s_waitcnt vmcnt(40) lgkmcnt(7)
	v_mul_f64 v[88:89], v[30:31], v[44:45]
	v_fmac_f64_e32 v[88:89], v[32:33], v[40:41]
	s_waitcnt vmcnt(38) lgkmcnt(6)
	v_mul_f64 v[90:91], v[26:27], v[46:47]
	v_add_f64 v[86:87], v[86:87], v[88:89]
	s_waitcnt vmcnt(36) lgkmcnt(4)
	v_mul_f64 v[94:95], v[18:19], v[48:49]
	v_fma_f64 v[34:35], v[34:35], v[38:39], -v[36:37]
	s_waitcnt vmcnt(34)
	v_fmac_f64_e32 v[94:95], v[20:21], v[50:51]
	v_mul_f64 v[32:33], v[32:33], v[44:45]
	s_waitcnt vmcnt(32)
	v_mul_f64 v[92:93], v[22:23], v[52:53]
	v_add_f64 v[34:35], v[34:35], 0
	s_waitcnt vmcnt(30) lgkmcnt(2)
	v_mul_f64 v[98:99], v[10:11], v[54:55]
	v_fma_f64 v[30:31], v[30:31], v[40:41], -v[32:33]
	s_waitcnt vmcnt(28)
	v_fmac_f64_e32 v[98:99], v[12:13], v[56:57]
	v_add_f64 v[30:31], v[34:35], v[30:31]
	s_waitcnt vmcnt(26)
	v_mul_f64 v[96:97], v[14:15], v[58:59]
	v_mul_f64 v[20:21], v[20:21], v[48:49]
	v_fma_f64 v[18:19], v[18:19], v[50:51], -v[20:21]
	v_mul_f64 v[12:13], v[12:13], v[54:55]
	s_waitcnt vmcnt(22) lgkmcnt(1)
	v_mul_f64 v[110:111], v[6:7], v[68:69]
	v_fma_f64 v[10:11], v[10:11], v[56:57], -v[12:13]
	s_waitcnt vmcnt(20)
	v_fmac_f64_e32 v[90:91], v[28:29], v[76:77]
	v_add_f64 v[86:87], v[86:87], v[90:91]
	s_waitcnt vmcnt(18)
	v_fmac_f64_e32 v[92:93], v[24:25], v[74:75]
	v_add_f64 v[86:87], v[86:87], v[92:93]
	;; [unrolled: 3-line block ×3, first 2 shown]
	v_add_f64 v[86:87], v[86:87], v[96:97]
	v_add_f64 v[112:113], v[86:87], v[98:99]
	buffer_load_dword v87, off, s[0:3], 0 offset:572
	buffer_load_dword v86, off, s[0:3], 0 offset:568
	;; [unrolled: 1-line block ×72, first 2 shown]
	s_waitcnt vmcnt(62)
	v_fmac_f64_e32 v[110:111], v[8:9], v[70:71]
	v_add_f64 v[144:145], v[112:113], v[110:111]
	ds_read_b128 v[110:113], v1 offset:1312
	s_waitcnt lgkmcnt(1)
	v_mul_f64 v[146:147], v[2:3], v[64:65]
	v_fmac_f64_e32 v[146:147], v[4:5], v[66:67]
	v_add_f64 v[148:149], v[144:145], v[146:147]
	ds_read_b128 v[144:147], v1 offset:1328
	s_waitcnt lgkmcnt(1)
	v_mul_f64 v[150:151], v[110:111], v[82:83]
	;; [unrolled: 5-line block ×5, first 2 shown]
	v_fmac_f64_e32 v[162:163], v[154:155], v[88:89]
	v_add_f64 v[164:165], v[160:161], v[162:163]
	ds_read_b128 v[160:163], v1 offset:1392
	s_waitcnt vmcnt(58) lgkmcnt(1)
	v_mul_f64 v[166:167], v[156:157], v[98:99]
	s_waitcnt vmcnt(56)
	v_fmac_f64_e32 v[166:167], v[158:159], v[100:101]
	v_add_f64 v[168:169], v[164:165], v[166:167]
	ds_read_b128 v[164:167], v1 offset:1408
	s_waitcnt lgkmcnt(1)
	v_mul_f64 v[170:171], v[160:161], v[94:95]
	v_fmac_f64_e32 v[170:171], v[162:163], v[96:97]
	v_mul_f64 v[28:29], v[28:29], v[46:47]
	v_add_f64 v[172:173], v[168:169], v[170:171]
	ds_read_b128 v[168:171], v1 offset:1424
	s_waitcnt vmcnt(50) lgkmcnt(1)
	v_mul_f64 v[174:175], v[164:165], v[106:107]
	v_fma_f64 v[26:27], v[26:27], v[76:77], -v[28:29]
	v_mul_f64 v[24:25], v[24:25], v[52:53]
	s_waitcnt vmcnt(48)
	v_fmac_f64_e32 v[174:175], v[166:167], v[108:109]
	v_add_f64 v[26:27], v[30:31], v[26:27]
	v_fma_f64 v[22:23], v[22:23], v[74:75], -v[24:25]
	v_add_f64 v[176:177], v[172:173], v[174:175]
	ds_read_b128 v[172:175], v1 offset:1440
	v_add_f64 v[22:23], v[26:27], v[22:23]
	v_mul_f64 v[16:17], v[16:17], v[58:59]
	v_add_f64 v[18:19], v[22:23], v[18:19]
	v_fma_f64 v[14:15], v[14:15], v[72:73], -v[16:17]
	v_add_f64 v[14:15], v[18:19], v[14:15]
	v_mul_f64 v[8:9], v[8:9], v[68:69]
	s_waitcnt lgkmcnt(1)
	v_mul_f64 v[178:179], v[168:169], v[102:103]
	v_add_f64 v[10:11], v[14:15], v[10:11]
	v_fma_f64 v[6:7], v[6:7], v[70:71], -v[8:9]
	v_mul_f64 v[4:5], v[4:5], v[64:65]
	v_fmac_f64_e32 v[178:179], v[170:171], v[104:105]
	v_add_f64 v[6:7], v[10:11], v[6:7]
	v_fma_f64 v[2:3], v[2:3], v[66:67], -v[4:5]
	v_mul_f64 v[4:5], v[112:113], v[82:83]
	v_add_f64 v[180:181], v[176:177], v[178:179]
	ds_read_b128 v[176:179], v1 offset:1456
	s_waitcnt vmcnt(42) lgkmcnt(1)
	v_mul_f64 v[182:183], v[172:173], v[120:121]
	v_add_f64 v[2:3], v[6:7], v[2:3]
	v_fma_f64 v[4:5], v[110:111], v[84:85], -v[4:5]
	s_waitcnt vmcnt(40)
	v_fmac_f64_e32 v[182:183], v[174:175], v[122:123]
	v_add_f64 v[2:3], v[2:3], v[4:5]
	v_mul_f64 v[4:5], v[146:147], v[78:79]
	v_add_f64 v[184:185], v[180:181], v[182:183]
	ds_read_b128 v[180:183], v1 offset:1472
	v_fma_f64 v[4:5], v[144:145], v[80:81], -v[4:5]
	v_add_f64 v[2:3], v[2:3], v[4:5]
	v_mul_f64 v[4:5], v[150:151], v[90:91]
	v_fma_f64 v[4:5], v[148:149], v[92:93], -v[4:5]
	s_waitcnt lgkmcnt(1)
	v_mul_f64 v[186:187], v[176:177], v[114:115]
	v_add_f64 v[2:3], v[2:3], v[4:5]
	v_mul_f64 v[4:5], v[154:155], v[86:87]
	v_fmac_f64_e32 v[186:187], v[178:179], v[116:117]
	v_fma_f64 v[4:5], v[152:153], v[88:89], -v[4:5]
	v_add_f64 v[188:189], v[184:185], v[186:187]
	ds_read_b128 v[184:187], v1 offset:1488
	s_waitcnt vmcnt(34) lgkmcnt(1)
	v_mul_f64 v[190:191], v[180:181], v[128:129]
	v_add_f64 v[2:3], v[2:3], v[4:5]
	v_mul_f64 v[4:5], v[158:159], v[98:99]
	s_waitcnt vmcnt(32)
	v_fmac_f64_e32 v[190:191], v[182:183], v[130:131]
	v_fma_f64 v[4:5], v[156:157], v[100:101], -v[4:5]
	v_add_f64 v[192:193], v[188:189], v[190:191]
	ds_read_b128 v[188:191], v1 offset:1504
	v_add_f64 v[2:3], v[2:3], v[4:5]
	v_mul_f64 v[4:5], v[162:163], v[94:95]
	v_fma_f64 v[4:5], v[160:161], v[96:97], -v[4:5]
	v_add_f64 v[2:3], v[2:3], v[4:5]
	v_mul_f64 v[4:5], v[166:167], v[106:107]
	s_waitcnt lgkmcnt(1)
	v_mul_f64 v[194:195], v[184:185], v[124:125]
	v_fma_f64 v[4:5], v[164:165], v[108:109], -v[4:5]
	v_fmac_f64_e32 v[194:195], v[186:187], v[126:127]
	v_add_f64 v[2:3], v[2:3], v[4:5]
	v_mul_f64 v[4:5], v[170:171], v[102:103]
	v_add_f64 v[196:197], v[192:193], v[194:195]
	ds_read_b128 v[192:195], v1 offset:1520
	s_waitcnt vmcnt(26) lgkmcnt(1)
	v_mul_f64 v[198:199], v[188:189], v[136:137]
	v_fma_f64 v[4:5], v[168:169], v[104:105], -v[4:5]
	s_waitcnt vmcnt(24)
	v_fmac_f64_e32 v[198:199], v[190:191], v[138:139]
	v_add_f64 v[2:3], v[2:3], v[4:5]
	v_mul_f64 v[4:5], v[174:175], v[120:121]
	v_add_f64 v[200:201], v[196:197], v[198:199]
	ds_read_b128 v[196:199], v1 offset:1536
	v_fma_f64 v[4:5], v[172:173], v[122:123], -v[4:5]
	v_add_f64 v[2:3], v[2:3], v[4:5]
	v_mul_f64 v[4:5], v[178:179], v[114:115]
	v_fma_f64 v[4:5], v[176:177], v[116:117], -v[4:5]
	s_waitcnt lgkmcnt(1)
	v_mul_f64 v[202:203], v[192:193], v[132:133]
	v_add_f64 v[2:3], v[2:3], v[4:5]
	v_mul_f64 v[4:5], v[182:183], v[128:129]
	v_fmac_f64_e32 v[202:203], v[194:195], v[134:135]
	v_fma_f64 v[4:5], v[180:181], v[130:131], -v[4:5]
	v_add_f64 v[204:205], v[200:201], v[202:203]
	ds_read_b128 v[200:203], v1 offset:1552
	s_waitcnt vmcnt(18) lgkmcnt(1)
	v_mul_f64 v[206:207], v[196:197], v[118:119]
	v_add_f64 v[2:3], v[2:3], v[4:5]
	v_mul_f64 v[4:5], v[186:187], v[124:125]
	s_waitcnt vmcnt(16)
	v_fmac_f64_e32 v[206:207], v[198:199], v[212:213]
	v_fma_f64 v[4:5], v[184:185], v[126:127], -v[4:5]
	v_add_f64 v[208:209], v[204:205], v[206:207]
	ds_read_b128 v[204:207], v1 offset:1568
	v_add_f64 v[2:3], v[2:3], v[4:5]
	v_mul_f64 v[4:5], v[190:191], v[136:137]
	v_fma_f64 v[4:5], v[188:189], v[138:139], -v[4:5]
	v_add_f64 v[2:3], v[2:3], v[4:5]
	v_mul_f64 v[4:5], v[194:195], v[132:133]
	s_waitcnt lgkmcnt(1)
	v_mul_f64 v[210:211], v[200:201], v[140:141]
	v_fma_f64 v[4:5], v[192:193], v[134:135], -v[4:5]
	v_fmac_f64_e32 v[210:211], v[202:203], v[142:143]
	v_add_f64 v[2:3], v[2:3], v[4:5]
	v_mul_f64 v[4:5], v[198:199], v[118:119]
	v_add_f64 v[220:221], v[208:209], v[210:211]
	ds_read_b128 v[208:211], v1 offset:1584
	s_waitcnt vmcnt(10) lgkmcnt(1)
	v_mul_f64 v[222:223], v[204:205], v[218:219]
	v_fma_f64 v[4:5], v[196:197], v[212:213], -v[4:5]
	s_waitcnt vmcnt(8)
	v_fmac_f64_e32 v[222:223], v[206:207], v[228:229]
	v_add_f64 v[2:3], v[2:3], v[4:5]
	v_mul_f64 v[4:5], v[202:203], v[140:141]
	v_add_f64 v[238:239], v[220:221], v[222:223]
	ds_read_b128 v[220:223], v1 offset:1600
	ds_read_b128 v[224:227], v1 offset:1616
	v_fma_f64 v[4:5], v[200:201], v[142:143], -v[4:5]
	v_add_f64 v[2:3], v[2:3], v[4:5]
	v_mul_f64 v[4:5], v[206:207], v[218:219]
	v_fma_f64 v[4:5], v[204:205], v[228:229], -v[4:5]
	v_add_f64 v[2:3], v[2:3], v[4:5]
	s_waitcnt lgkmcnt(2)
	v_mul_f64 v[4:5], v[210:211], v[214:215]
	v_mul_f64 v[240:241], v[208:209], v[214:215]
	v_fma_f64 v[4:5], v[208:209], v[216:217], -v[4:5]
	v_fmac_f64_e32 v[240:241], v[210:211], v[216:217]
	v_add_f64 v[2:3], v[2:3], v[4:5]
	s_waitcnt vmcnt(2) lgkmcnt(1)
	v_mul_f64 v[4:5], v[222:223], v[234:235]
	v_add_f64 v[238:239], v[238:239], v[240:241]
	v_mul_f64 v[240:241], v[220:221], v[234:235]
	s_waitcnt vmcnt(0)
	v_fma_f64 v[4:5], v[220:221], v[236:237], -v[4:5]
	v_fmac_f64_e32 v[240:241], v[222:223], v[236:237]
	v_add_f64 v[2:3], v[2:3], v[4:5]
	s_waitcnt lgkmcnt(0)
	v_mul_f64 v[4:5], v[226:227], v[230:231]
	v_add_f64 v[238:239], v[238:239], v[240:241]
	v_mul_f64 v[240:241], v[224:225], v[230:231]
	v_fma_f64 v[4:5], v[224:225], v[232:233], -v[4:5]
	v_fmac_f64_e32 v[240:241], v[226:227], v[232:233]
	v_add_f64 v[2:3], v[2:3], v[4:5]
	v_add_f64 v[238:239], v[238:239], v[240:241]
	v_add_f64 v[2:3], v[62:63], -v[2:3]
	v_add_f64 v[4:5], v[60:61], -v[238:239]
	buffer_store_dword v3, off, s[0:3], 0 offset:356
	buffer_store_dword v2, off, s[0:3], 0 offset:352
	;; [unrolled: 1-line block ×4, first 2 shown]
	s_and_saveexec_b64 s[4:5], vcc
	s_cbranch_execz .LBB114_279
; %bb.278:
	v_accvgpr_read_b32 v0, a132
	buffer_load_dword v2, v0, s[0:3], 0 offen
	buffer_load_dword v3, v0, s[0:3], 0 offen offset:4
	buffer_load_dword v4, v0, s[0:3], 0 offen offset:8
	;; [unrolled: 1-line block ×3, first 2 shown]
	v_accvgpr_read_b32 v0, a153
	buffer_store_dword v1, off, s[0:3], 0 offset:336
	buffer_store_dword v1, off, s[0:3], 0 offset:340
	;; [unrolled: 1-line block ×4, first 2 shown]
	s_waitcnt vmcnt(4)
	ds_write_b128 v0, v[2:5]
.LBB114_279:
	s_or_b64 exec, exec, s[4:5]
	s_waitcnt lgkmcnt(0)
	; wave barrier
	s_waitcnt lgkmcnt(0)
	buffer_load_dword v48, off, s[0:3], 0 offset:352
	buffer_load_dword v49, off, s[0:3], 0 offset:356
	;; [unrolled: 1-line block ×40, first 2 shown]
	ds_read_b128 v[38:41], v1 offset:1152
	ds_read_b128 v[34:37], v1 offset:1168
	;; [unrolled: 1-line block ×10, first 2 shown]
	buffer_load_dword v83, off, s[0:3], 0 offset:524
	buffer_load_dword v82, off, s[0:3], 0 offset:520
	buffer_load_dword v85, off, s[0:3], 0 offset:516
	buffer_load_dword v84, off, s[0:3], 0 offset:512
	buffer_load_dword v87, off, s[0:3], 0 offset:508
	buffer_load_dword v86, off, s[0:3], 0 offset:504
	buffer_load_dword v89, off, s[0:3], 0 offset:500
	buffer_load_dword v88, off, s[0:3], 0 offset:496
	v_cmp_lt_u32_e32 vcc, 19, v254
	s_waitcnt vmcnt(44) lgkmcnt(9)
	v_mul_f64 v[90:91], v[38:39], v[50:51]
	v_fmac_f64_e32 v[90:91], v[40:41], v[48:49]
	v_add_f64 v[90:91], v[90:91], 0
	v_mul_f64 v[40:41], v[40:41], v[50:51]
	s_waitcnt vmcnt(40) lgkmcnt(8)
	v_mul_f64 v[92:93], v[34:35], v[44:45]
	v_fmac_f64_e32 v[92:93], v[36:37], v[42:43]
	s_waitcnt vmcnt(38) lgkmcnt(7)
	v_mul_f64 v[94:95], v[30:31], v[46:47]
	v_add_f64 v[90:91], v[90:91], v[92:93]
	s_waitcnt vmcnt(36) lgkmcnt(5)
	v_mul_f64 v[98:99], v[22:23], v[52:53]
	v_mul_f64 v[36:37], v[36:37], v[44:45]
	s_waitcnt vmcnt(34)
	v_fmac_f64_e32 v[98:99], v[24:25], v[54:55]
	v_fma_f64 v[34:35], v[34:35], v[42:43], -v[36:37]
	s_waitcnt vmcnt(32)
	v_mul_f64 v[96:97], v[26:27], v[56:57]
	v_mul_f64 v[24:25], v[24:25], v[52:53]
	s_waitcnt vmcnt(30) lgkmcnt(4)
	v_mul_f64 v[100:101], v[18:19], v[62:63]
	v_fma_f64 v[22:23], v[22:23], v[54:55], -v[24:25]
	s_waitcnt vmcnt(28) lgkmcnt(1)
	v_mul_f64 v[124:125], v[2:3], v[64:65]
	s_waitcnt vmcnt(25)
	v_mul_f64 v[104:105], v[6:7], v[68:69]
	s_waitcnt vmcnt(23)
	;; [unrolled: 2-line block ×3, first 2 shown]
	v_fmac_f64_e32 v[102:103], v[12:13], v[72:73]
	v_mul_f64 v[12:13], v[12:13], v[70:71]
	s_waitcnt vmcnt(19)
	v_fmac_f64_e32 v[94:95], v[32:33], v[80:81]
	v_add_f64 v[90:91], v[90:91], v[94:95]
	s_waitcnt vmcnt(17)
	v_fmac_f64_e32 v[96:97], v[28:29], v[78:79]
	v_add_f64 v[90:91], v[90:91], v[96:97]
	;; [unrolled: 3-line block ×3, first 2 shown]
	v_add_f64 v[90:91], v[90:91], v[100:101]
	s_waitcnt vmcnt(13)
	v_fmac_f64_e32 v[104:105], v[8:9], v[74:75]
	v_add_f64 v[90:91], v[90:91], v[102:103]
	v_add_f64 v[126:127], v[90:91], v[104:105]
	buffer_load_dword v91, off, s[0:3], 0 offset:556
	buffer_load_dword v90, off, s[0:3], 0 offset:552
	;; [unrolled: 1-line block ×72, first 2 shown]
	s_waitcnt vmcnt(62)
	v_fmac_f64_e32 v[124:125], v[4:5], v[66:67]
	v_add_f64 v[152:153], v[126:127], v[124:125]
	ds_read_b128 v[124:127], v1 offset:1312
	s_waitcnt lgkmcnt(1)
	v_mul_f64 v[154:155], v[14:15], v[86:87]
	v_fmac_f64_e32 v[154:155], v[16:17], v[88:89]
	buffer_load_dword v235, off, s[0:3], 0 offset:828
	buffer_load_dword v234, off, s[0:3], 0 offset:824
	buffer_load_dword v237, off, s[0:3], 0 offset:820
	buffer_load_dword v236, off, s[0:3], 0 offset:816
	v_add_f64 v[156:157], v[152:153], v[154:155]
	s_waitcnt lgkmcnt(0)
	v_mul_f64 v[158:159], v[124:125], v[82:83]
	ds_read_b128 v[152:155], v1 offset:1328
	v_fmac_f64_e32 v[158:159], v[126:127], v[84:85]
	v_add_f64 v[160:161], v[156:157], v[158:159]
	ds_read_b128 v[156:159], v1 offset:1344
	v_mul_f64 v[32:33], v[32:33], v[46:47]
	s_waitcnt lgkmcnt(1)
	v_mul_f64 v[162:163], v[152:153], v[94:95]
	v_fma_f64 v[30:31], v[30:31], v[80:81], -v[32:33]
	v_fmac_f64_e32 v[162:163], v[154:155], v[96:97]
	s_waitcnt lgkmcnt(0)
	v_mul_f64 v[166:167], v[156:157], v[90:91]
	v_add_f64 v[164:165], v[160:161], v[162:163]
	ds_read_b128 v[160:163], v1 offset:1360
	v_fmac_f64_e32 v[166:167], v[158:159], v[92:93]
	v_add_f64 v[168:169], v[164:165], v[166:167]
	ds_read_b128 v[164:167], v1 offset:1376
	v_mul_f64 v[28:29], v[28:29], v[56:57]
	s_waitcnt vmcnt(62) lgkmcnt(1)
	v_mul_f64 v[170:171], v[160:161], v[102:103]
	s_waitcnt vmcnt(60)
	v_fmac_f64_e32 v[170:171], v[162:163], v[104:105]
	v_add_f64 v[172:173], v[168:169], v[170:171]
	s_waitcnt lgkmcnt(0)
	v_mul_f64 v[174:175], v[164:165], v[98:99]
	ds_read_b128 v[168:171], v1 offset:1392
	v_fmac_f64_e32 v[174:175], v[166:167], v[100:101]
	v_add_f64 v[176:177], v[172:173], v[174:175]
	ds_read_b128 v[172:175], v1 offset:1408
	v_fma_f64 v[26:27], v[26:27], v[78:79], -v[28:29]
	s_waitcnt vmcnt(54) lgkmcnt(1)
	v_mul_f64 v[178:179], v[168:169], v[110:111]
	s_waitcnt vmcnt(52)
	v_fmac_f64_e32 v[178:179], v[170:171], v[112:113]
	v_add_f64 v[180:181], v[176:177], v[178:179]
	s_waitcnt lgkmcnt(0)
	v_mul_f64 v[182:183], v[172:173], v[106:107]
	ds_read_b128 v[176:179], v1 offset:1424
	v_fmac_f64_e32 v[182:183], v[174:175], v[108:109]
	v_add_f64 v[184:185], v[180:181], v[182:183]
	ds_read_b128 v[180:183], v1 offset:1440
	v_mul_f64 v[20:21], v[20:21], v[62:63]
	s_waitcnt vmcnt(46) lgkmcnt(1)
	v_mul_f64 v[186:187], v[176:177], v[120:121]
	s_waitcnt vmcnt(44)
	v_fmac_f64_e32 v[186:187], v[178:179], v[122:123]
	v_add_f64 v[188:189], v[184:185], v[186:187]
	s_waitcnt lgkmcnt(0)
	v_mul_f64 v[190:191], v[180:181], v[114:115]
	ds_read_b128 v[184:187], v1 offset:1456
	v_fmac_f64_e32 v[190:191], v[182:183], v[116:117]
	v_add_f64 v[192:193], v[188:189], v[190:191]
	ds_read_b128 v[188:191], v1 offset:1472
	v_fma_f64 v[18:19], v[18:19], v[76:77], -v[20:21]
	s_waitcnt vmcnt(38) lgkmcnt(1)
	v_mul_f64 v[194:195], v[184:185], v[132:133]
	s_waitcnt vmcnt(36)
	v_fmac_f64_e32 v[194:195], v[186:187], v[134:135]
	v_add_f64 v[196:197], v[192:193], v[194:195]
	s_waitcnt lgkmcnt(0)
	v_mul_f64 v[198:199], v[188:189], v[128:129]
	ds_read_b128 v[192:195], v1 offset:1488
	v_fmac_f64_e32 v[198:199], v[190:191], v[130:131]
	v_add_f64 v[200:201], v[196:197], v[198:199]
	ds_read_b128 v[196:199], v1 offset:1504
	v_fma_f64 v[10:11], v[10:11], v[72:73], -v[12:13]
	s_waitcnt vmcnt(30) lgkmcnt(1)
	v_mul_f64 v[202:203], v[192:193], v[140:141]
	s_waitcnt vmcnt(28)
	v_fmac_f64_e32 v[202:203], v[194:195], v[142:143]
	v_add_f64 v[204:205], v[200:201], v[202:203]
	s_waitcnt lgkmcnt(0)
	v_mul_f64 v[206:207], v[196:197], v[136:137]
	ds_read_b128 v[200:203], v1 offset:1520
	v_fmac_f64_e32 v[206:207], v[198:199], v[138:139]
	v_add_f64 v[208:209], v[204:205], v[206:207]
	ds_read_b128 v[204:207], v1 offset:1536
	v_mul_f64 v[8:9], v[8:9], v[68:69]
	s_waitcnt vmcnt(22) lgkmcnt(1)
	v_mul_f64 v[210:211], v[200:201], v[148:149]
	s_waitcnt vmcnt(20)
	v_fmac_f64_e32 v[210:211], v[202:203], v[150:151]
	v_add_f64 v[220:221], v[208:209], v[210:211]
	s_waitcnt lgkmcnt(0)
	v_mul_f64 v[222:223], v[204:205], v[144:145]
	ds_read_b128 v[208:211], v1 offset:1552
	v_fmac_f64_e32 v[222:223], v[206:207], v[146:147]
	v_add_f64 v[224:225], v[220:221], v[222:223]
	ds_read_b128 v[220:223], v1 offset:1568
	v_fma_f64 v[6:7], v[6:7], v[74:75], -v[8:9]
	s_waitcnt vmcnt(14) lgkmcnt(1)
	v_mul_f64 v[226:227], v[208:209], v[214:215]
	s_waitcnt vmcnt(12)
	v_fmac_f64_e32 v[226:227], v[210:211], v[216:217]
	v_add_f64 v[238:239], v[224:225], v[226:227]
	s_waitcnt lgkmcnt(0)
	v_mul_f64 v[240:241], v[220:221], v[118:119]
	v_fmac_f64_e32 v[240:241], v[222:223], v[212:213]
	v_add_f64 v[238:239], v[238:239], v[240:241]
	v_fma_f64 v[240:241], v[38:39], v[48:49], -v[40:41]
	v_add_f64 v[240:241], v[240:241], 0
	v_add_f64 v[34:35], v[240:241], v[34:35]
	;; [unrolled: 1-line block ×7, first 2 shown]
	v_mul_f64 v[4:5], v[4:5], v[64:65]
	v_add_f64 v[6:7], v[10:11], v[6:7]
	v_fma_f64 v[2:3], v[2:3], v[66:67], -v[4:5]
	v_mul_f64 v[4:5], v[16:17], v[86:87]
	v_add_f64 v[2:3], v[6:7], v[2:3]
	v_fma_f64 v[4:5], v[14:15], v[88:89], -v[4:5]
	v_add_f64 v[2:3], v[2:3], v[4:5]
	v_mul_f64 v[4:5], v[126:127], v[82:83]
	v_fma_f64 v[4:5], v[124:125], v[84:85], -v[4:5]
	v_add_f64 v[2:3], v[2:3], v[4:5]
	v_mul_f64 v[4:5], v[154:155], v[94:95]
	;; [unrolled: 3-line block ×15, first 2 shown]
	ds_read_b128 v[224:227], v1 offset:1584
	ds_read_b128 v[38:41], v1 offset:1600
	v_fma_f64 v[4:5], v[204:205], v[146:147], -v[4:5]
	v_add_f64 v[2:3], v[2:3], v[4:5]
	v_mul_f64 v[4:5], v[210:211], v[214:215]
	v_fma_f64 v[4:5], v[208:209], v[216:217], -v[4:5]
	v_add_f64 v[2:3], v[2:3], v[4:5]
	v_mul_f64 v[4:5], v[222:223], v[118:119]
	ds_read_b128 v[48:51], v1 offset:1616
	v_fma_f64 v[4:5], v[220:221], v[212:213], -v[4:5]
	v_add_f64 v[2:3], v[2:3], v[4:5]
	s_waitcnt vmcnt(6) lgkmcnt(2)
	v_mul_f64 v[4:5], v[226:227], v[230:231]
	v_mul_f64 v[242:243], v[224:225], v[230:231]
	s_waitcnt vmcnt(4)
	v_fma_f64 v[4:5], v[224:225], v[232:233], -v[4:5]
	v_fmac_f64_e32 v[242:243], v[226:227], v[232:233]
	v_add_f64 v[2:3], v[2:3], v[4:5]
	s_waitcnt lgkmcnt(1)
	v_mul_f64 v[4:5], v[40:41], v[218:219]
	v_add_f64 v[238:239], v[238:239], v[242:243]
	v_mul_f64 v[242:243], v[38:39], v[218:219]
	v_fma_f64 v[4:5], v[38:39], v[228:229], -v[4:5]
	v_fmac_f64_e32 v[242:243], v[40:41], v[228:229]
	v_add_f64 v[2:3], v[2:3], v[4:5]
	s_waitcnt vmcnt(2) lgkmcnt(0)
	v_mul_f64 v[4:5], v[50:51], v[234:235]
	v_add_f64 v[238:239], v[238:239], v[242:243]
	v_mul_f64 v[242:243], v[48:49], v[234:235]
	s_waitcnt vmcnt(0)
	v_fma_f64 v[4:5], v[48:49], v[236:237], -v[4:5]
	v_fmac_f64_e32 v[242:243], v[50:51], v[236:237]
	v_add_f64 v[2:3], v[2:3], v[4:5]
	v_add_f64 v[238:239], v[238:239], v[242:243]
	v_add_f64 v[2:3], v[60:61], -v[2:3]
	v_add_f64 v[4:5], v[58:59], -v[238:239]
	buffer_store_dword v3, off, s[0:3], 0 offset:340
	buffer_store_dword v2, off, s[0:3], 0 offset:336
	buffer_store_dword v5, off, s[0:3], 0 offset:348
	buffer_store_dword v4, off, s[0:3], 0 offset:344
	s_and_saveexec_b64 s[4:5], vcc
	s_cbranch_execz .LBB114_281
; %bb.280:
	v_accvgpr_read_b32 v0, a133
	buffer_load_dword v2, v0, s[0:3], 0 offen
	buffer_load_dword v3, v0, s[0:3], 0 offen offset:4
	buffer_load_dword v4, v0, s[0:3], 0 offen offset:8
	;; [unrolled: 1-line block ×3, first 2 shown]
	v_mov_b32_e32 v0, 0
	v_accvgpr_read_b32 v1, a153
	buffer_store_dword v0, off, s[0:3], 0 offset:320
	buffer_store_dword v0, off, s[0:3], 0 offset:324
	;; [unrolled: 1-line block ×4, first 2 shown]
	s_waitcnt vmcnt(4)
	ds_write_b128 v1, v[2:5]
.LBB114_281:
	s_or_b64 exec, exec, s[4:5]
	s_waitcnt lgkmcnt(0)
	; wave barrier
	s_waitcnt lgkmcnt(0)
	buffer_load_dword v106, off, s[0:3], 0 offset:336
	buffer_load_dword v107, off, s[0:3], 0 offset:340
	;; [unrolled: 1-line block ×49, first 2 shown]
	v_mov_b32_e32 v1, 0
	ds_read_b128 v[110:113], v1 offset:1136
	ds_read_b128 v[250:253], v1 offset:1152
	ds_read_b128 v[30:33], v1 offset:1168
	ds_read_b128 v[26:29], v1 offset:1184
	ds_read_b128 v[22:25], v1 offset:1200
	ds_read_b128 v[18:21], v1 offset:1216
	ds_read_b128 v[14:17], v1 offset:1232
	ds_read_b128 v[10:13], v1 offset:1248
	ds_read_b128 v[6:9], v1 offset:1264
	ds_read_b128 v[2:5], v1 offset:1280
	buffer_load_dword v160, off, s[0:3], 0 offset:528
	buffer_load_dword v175, off, s[0:3], 0 offset:524
	;; [unrolled: 1-line block ×69, first 2 shown]
	v_accvgpr_write_b32 a152, v254
	v_cmp_lt_u32_e32 vcc, 18, v254
	s_waitcnt vmcnt(62) lgkmcnt(9)
	v_mul_f64 v[34:35], v[110:111], v[108:109]
	v_fmac_f64_e32 v[34:35], v[112:113], v[106:107]
	v_add_f64 v[34:35], v[34:35], 0
	v_mul_f64 v[108:109], v[112:113], v[108:109]
	s_waitcnt lgkmcnt(8)
	v_mul_f64 v[36:37], v[250:251], v[116:117]
	v_fmac_f64_e32 v[36:37], v[252:253], v[114:115]
	s_waitcnt lgkmcnt(7)
	v_mul_f64 v[38:39], v[30:31], v[120:121]
	v_add_f64 v[34:35], v[34:35], v[36:37]
	s_waitcnt lgkmcnt(5)
	v_mul_f64 v[42:43], v[22:23], v[122:123]
	v_mul_f64 v[116:117], v[252:253], v[116:117]
	v_fmac_f64_e32 v[42:43], v[24:25], v[124:125]
	v_fma_f64 v[248:249], v[110:111], v[106:107], -v[108:109]
	v_mul_f64 v[40:41], v[26:27], v[126:127]
	v_fma_f64 v[250:251], v[250:251], v[114:115], -v[116:117]
	s_waitcnt lgkmcnt(3)
	v_mul_f64 v[46:47], v[14:15], v[128:129]
	v_mul_f64 v[24:25], v[24:25], v[122:123]
	v_fmac_f64_e32 v[46:47], v[16:17], v[130:131]
	v_fma_f64 v[22:23], v[22:23], v[124:125], -v[24:25]
	v_mul_f64 v[44:45], v[18:19], v[132:133]
	v_mul_f64 v[16:17], v[16:17], v[128:129]
	s_waitcnt lgkmcnt(1)
	v_mul_f64 v[50:51], v[6:7], v[134:135]
	v_fma_f64 v[14:15], v[14:15], v[130:131], -v[16:17]
	v_fmac_f64_e32 v[50:51], v[8:9], v[136:137]
	v_mul_f64 v[8:9], v[8:9], v[134:135]
	v_mul_f64 v[48:49], v[10:11], v[142:143]
	v_fma_f64 v[6:7], v[6:7], v[136:137], -v[8:9]
	s_waitcnt lgkmcnt(0)
	v_mul_f64 v[52:53], v[2:3], v[138:139]
	v_fmac_f64_e32 v[38:39], v[32:33], v[154:155]
	v_add_f64 v[34:35], v[34:35], v[38:39]
	v_fmac_f64_e32 v[40:41], v[28:29], v[152:153]
	v_add_f64 v[34:35], v[34:35], v[40:41]
	;; [unrolled: 2-line block ×3, first 2 shown]
	v_add_f64 v[34:35], v[34:35], v[44:45]
	v_fmac_f64_e32 v[48:49], v[12:13], v[148:149]
	v_add_f64 v[34:35], v[34:35], v[46:47]
	v_add_f64 v[34:35], v[34:35], v[48:49]
	v_fmac_f64_e32 v[52:53], v[4:5], v[146:147]
	v_add_f64 v[34:35], v[34:35], v[50:51]
	v_add_f64 v[42:43], v[34:35], v[52:53]
	ds_read_b128 v[38:41], v1 offset:1296
	ds_read_b128 v[34:37], v1 offset:1312
	buffer_load_dword v231, off, s[0:3], 0 offset:828
	buffer_load_dword v230, off, s[0:3], 0 offset:824
	;; [unrolled: 1-line block ×8, first 2 shown]
	ds_read_b128 v[110:113], v1 offset:1584
	ds_read_b128 v[106:109], v1 offset:1600
	s_waitcnt lgkmcnt(3)
	v_mul_f64 v[44:45], v[38:39], v[144:145]
	v_fmac_f64_e32 v[44:45], v[40:41], v[156:157]
	v_add_f64 v[46:47], v[42:43], v[44:45]
	ds_read_b128 v[42:45], v1 offset:1328
	s_waitcnt lgkmcnt(3)
	v_mul_f64 v[48:49], v[34:35], v[174:175]
	v_fmac_f64_e32 v[48:49], v[36:37], v[178:179]
	v_add_f64 v[50:51], v[46:47], v[48:49]
	;; [unrolled: 5-line block ×3, first 2 shown]
	ds_read_b128 v[50:53], v1 offset:1360
	s_waitcnt vmcnt(62) lgkmcnt(1)
	v_mul_f64 v[56:57], v[46:47], v[182:183]
	v_fmac_f64_e32 v[56:57], v[48:49], v[186:187]
	v_add_f64 v[58:59], v[54:55], v[56:57]
	ds_read_b128 v[54:57], v1 offset:1376
	s_waitcnt lgkmcnt(1)
	v_mul_f64 v[60:61], v[50:51], v[162:163]
	v_fmac_f64_e32 v[60:61], v[52:53], v[164:165]
	v_add_f64 v[62:63], v[58:59], v[60:61]
	ds_read_b128 v[58:61], v1 offset:1392
	s_waitcnt vmcnt(58) lgkmcnt(1)
	v_mul_f64 v[64:65], v[54:55], v[190:191]
	s_waitcnt vmcnt(56)
	v_fmac_f64_e32 v[64:65], v[56:57], v[194:195]
	v_add_f64 v[66:67], v[62:63], v[64:65]
	ds_read_b128 v[62:65], v1 offset:1408
	s_waitcnt lgkmcnt(1)
	v_mul_f64 v[68:69], v[58:59], v[166:167]
	v_fmac_f64_e32 v[68:69], v[60:61], v[168:169]
	v_add_f64 v[70:71], v[66:67], v[68:69]
	ds_read_b128 v[66:69], v1 offset:1424
	s_waitcnt vmcnt(50) lgkmcnt(1)
	v_mul_f64 v[72:73], v[62:63], v[198:199]
	s_waitcnt vmcnt(48)
	;; [unrolled: 11-line block ×5, first 2 shown]
	v_fmac_f64_e32 v[96:97], v[88:89], v[228:229]
	v_add_f64 v[98:99], v[94:95], v[96:97]
	ds_read_b128 v[94:97], v1 offset:1536
	s_waitcnt lgkmcnt(1)
	v_mul_f64 v[100:101], v[90:91], v[192:193]
	v_fmac_f64_e32 v[100:101], v[92:93], v[196:197]
	v_add_f64 v[118:119], v[98:99], v[100:101]
	ds_read_b128 v[98:101], v1 offset:1552
	ds_read_b128 v[102:105], v1 offset:1568
	;; [unrolled: 1-line block ×3, first 2 shown]
	buffer_load_dword v252, off, s[0:3], 0 offset:328
	buffer_load_dword v253, off, s[0:3], 0 offset:332
	s_waitcnt vmcnt(20) lgkmcnt(3)
	v_mul_f64 v[212:213], v[94:95], v[232:233]
	s_waitcnt vmcnt(18)
	v_fmac_f64_e32 v[212:213], v[96:97], v[236:237]
	v_add_f64 v[118:119], v[118:119], v[212:213]
	s_waitcnt lgkmcnt(2)
	v_mul_f64 v[212:213], v[98:99], v[200:201]
	v_fmac_f64_e32 v[212:213], v[100:101], v[204:205]
	v_add_f64 v[118:119], v[118:119], v[212:213]
	s_waitcnt vmcnt(12) lgkmcnt(1)
	v_mul_f64 v[212:213], v[102:103], v[238:239]
	s_waitcnt vmcnt(10)
	v_fmac_f64_e32 v[212:213], v[104:105], v[240:241]
	v_add_f64 v[118:119], v[118:119], v[212:213]
	v_mul_f64 v[212:213], v[110:111], v[208:209]
	v_fmac_f64_e32 v[212:213], v[112:113], v[220:221]
	v_add_f64 v[118:119], v[118:119], v[212:213]
	s_waitcnt vmcnt(4)
	v_mul_f64 v[212:213], v[106:107], v[242:243]
	v_mul_f64 v[32:33], v[32:33], v[120:121]
	s_waitcnt vmcnt(2)
	v_fmac_f64_e32 v[212:213], v[108:109], v[244:245]
	v_add_f64 v[118:119], v[118:119], v[212:213]
	s_waitcnt lgkmcnt(0)
	v_mul_f64 v[212:213], v[114:115], v[230:231]
	v_fmac_f64_e32 v[212:213], v[116:117], v[234:235]
	v_add_f64 v[246:247], v[118:119], v[212:213]
	v_add_f64 v[118:119], v[248:249], 0
	;; [unrolled: 1-line block ×3, first 2 shown]
	v_fma_f64 v[30:31], v[30:31], v[154:155], -v[32:33]
	v_mul_f64 v[28:29], v[28:29], v[126:127]
	v_add_f64 v[30:31], v[118:119], v[30:31]
	v_fma_f64 v[26:27], v[26:27], v[152:153], -v[28:29]
	v_add_f64 v[26:27], v[30:31], v[26:27]
	v_mul_f64 v[20:21], v[20:21], v[132:133]
	v_add_f64 v[22:23], v[26:27], v[22:23]
	v_fma_f64 v[18:19], v[18:19], v[150:151], -v[20:21]
	v_add_f64 v[18:19], v[22:23], v[18:19]
	;; [unrolled: 4-line block ×3, first 2 shown]
	v_mul_f64 v[4:5], v[4:5], v[138:139]
	v_add_f64 v[6:7], v[10:11], v[6:7]
	v_fma_f64 v[2:3], v[2:3], v[146:147], -v[4:5]
	v_mul_f64 v[4:5], v[40:41], v[144:145]
	v_add_f64 v[2:3], v[6:7], v[2:3]
	v_fma_f64 v[4:5], v[38:39], v[156:157], -v[4:5]
	v_add_f64 v[2:3], v[2:3], v[4:5]
	v_mul_f64 v[4:5], v[36:37], v[174:175]
	v_fma_f64 v[4:5], v[34:35], v[178:179], -v[4:5]
	v_add_f64 v[2:3], v[2:3], v[4:5]
	v_mul_f64 v[4:5], v[44:45], v[158:159]
	;; [unrolled: 3-line block ×20, first 2 shown]
	v_fma_f64 v[4:5], v[114:115], v[234:235], -v[4:5]
	v_add_f64 v[2:3], v[2:3], v[4:5]
	v_add_f64 v[2:3], v[140:141], -v[2:3]
	s_waitcnt vmcnt(0)
	v_add_f64 v[4:5], v[252:253], -v[246:247]
	buffer_store_dword v3, off, s[0:3], 0 offset:324
	buffer_store_dword v2, off, s[0:3], 0 offset:320
	buffer_store_dword v5, off, s[0:3], 0 offset:332
	buffer_store_dword v4, off, s[0:3], 0 offset:328
	s_and_saveexec_b64 s[4:5], vcc
	s_cbranch_execz .LBB114_283
; %bb.282:
	v_accvgpr_read_b32 v0, a134
	buffer_load_dword v2, v0, s[0:3], 0 offen
	buffer_load_dword v3, v0, s[0:3], 0 offen offset:4
	buffer_load_dword v4, v0, s[0:3], 0 offen offset:8
	;; [unrolled: 1-line block ×3, first 2 shown]
	v_accvgpr_read_b32 v0, a153
	buffer_store_dword v1, off, s[0:3], 0 offset:304
	buffer_store_dword v1, off, s[0:3], 0 offset:308
	;; [unrolled: 1-line block ×4, first 2 shown]
	s_waitcnt vmcnt(4)
	ds_write_b128 v0, v[2:5]
.LBB114_283:
	s_or_b64 exec, exec, s[4:5]
	s_waitcnt lgkmcnt(0)
	; wave barrier
	s_waitcnt lgkmcnt(0)
	buffer_load_dword v112, off, s[0:3], 0 offset:320
	buffer_load_dword v113, off, s[0:3], 0 offset:324
	;; [unrolled: 1-line block ×36, first 2 shown]
	ds_read_b128 v[102:105], v1 offset:1120
	ds_read_b128 v[106:109], v1 offset:1136
	;; [unrolled: 1-line block ×9, first 2 shown]
	buffer_load_dword v145, off, s[0:3], 0 offset:492
	buffer_load_dword v144, off, s[0:3], 0 offset:488
	;; [unrolled: 1-line block ×78, first 2 shown]
	v_accvgpr_read_b32 v218, a152
	v_cmp_lt_u32_e32 vcc, 17, v218
	s_waitcnt vmcnt(62) lgkmcnt(8)
	v_mul_f64 v[26:27], v[102:103], v[246:247]
	v_fmac_f64_e32 v[26:27], v[104:105], v[112:113]
	v_add_f64 v[26:27], v[26:27], 0
	v_mul_f64 v[104:105], v[104:105], v[246:247]
	s_waitcnt lgkmcnt(7)
	v_mul_f64 v[28:29], v[106:107], v[248:249]
	v_fmac_f64_e32 v[28:29], v[108:109], v[110:111]
	s_waitcnt lgkmcnt(6)
	v_mul_f64 v[30:31], v[114:115], v[244:245]
	v_add_f64 v[26:27], v[26:27], v[28:29]
	s_waitcnt lgkmcnt(4)
	v_mul_f64 v[34:35], v[18:19], v[120:121]
	v_fma_f64 v[246:247], v[102:103], v[112:113], -v[104:105]
	v_fmac_f64_e32 v[34:35], v[20:21], v[122:123]
	v_mul_f64 v[108:109], v[108:109], v[248:249]
	v_mul_f64 v[32:33], v[22:23], v[124:125]
	v_fma_f64 v[248:249], v[106:107], v[110:111], -v[108:109]
	s_waitcnt lgkmcnt(2)
	v_mul_f64 v[38:39], v[10:11], v[126:127]
	v_mul_f64 v[20:21], v[20:21], v[120:121]
	v_fmac_f64_e32 v[38:39], v[12:13], v[128:129]
	v_fma_f64 v[18:19], v[18:19], v[122:123], -v[20:21]
	v_mul_f64 v[36:37], v[14:15], v[132:133]
	v_mul_f64 v[12:13], v[12:13], v[126:127]
	s_waitcnt lgkmcnt(1)
	v_mul_f64 v[40:41], v[6:7], v[130:131]
	v_fma_f64 v[10:11], v[10:11], v[128:129], -v[12:13]
	v_fmac_f64_e32 v[30:31], v[116:117], v[250:251]
	v_add_f64 v[26:27], v[26:27], v[30:31]
	v_fmac_f64_e32 v[32:33], v[24:25], v[140:141]
	v_add_f64 v[26:27], v[26:27], v[32:33]
	;; [unrolled: 2-line block ×3, first 2 shown]
	v_add_f64 v[26:27], v[26:27], v[36:37]
	v_fmac_f64_e32 v[40:41], v[8:9], v[136:137]
	v_add_f64 v[30:31], v[26:27], v[38:39]
	v_add_f64 v[30:31], v[30:31], v[40:41]
	s_waitcnt lgkmcnt(0)
	v_mul_f64 v[32:33], v[2:3], v[134:135]
	v_fmac_f64_e32 v[32:33], v[4:5], v[142:143]
	ds_read_b128 v[26:29], v1 offset:1264
	v_add_f64 v[34:35], v[30:31], v[32:33]
	ds_read_b128 v[30:33], v1 offset:1280
	buffer_load_dword v231, off, s[0:3], 0 offset:756
	buffer_load_dword v230, off, s[0:3], 0 offset:752
	v_mul_f64 v[116:117], v[116:117], v[244:245]
	s_waitcnt lgkmcnt(1)
	v_mul_f64 v[36:37], v[26:27], v[148:149]
	v_fmac_f64_e32 v[36:37], v[28:29], v[150:151]
	v_add_f64 v[38:39], v[34:35], v[36:37]
	ds_read_b128 v[34:37], v1 offset:1296
	s_waitcnt lgkmcnt(1)
	v_mul_f64 v[40:41], v[30:31], v[144:145]
	v_fmac_f64_e32 v[40:41], v[32:33], v[146:147]
	v_add_f64 v[42:43], v[38:39], v[40:41]
	ds_read_b128 v[38:41], v1 offset:1312
	;; [unrolled: 5-line block ×4, first 2 shown]
	buffer_load_dword v233, off, s[0:3], 0 offset:812
	buffer_load_dword v235, off, s[0:3], 0 offset:796
	;; [unrolled: 1-line block ×12, first 2 shown]
	s_waitcnt vmcnt(62) lgkmcnt(1)
	v_mul_f64 v[52:53], v[42:43], v[176:177]
	v_fmac_f64_e32 v[52:53], v[44:45], v[180:181]
	v_add_f64 v[54:55], v[50:51], v[52:53]
	ds_read_b128 v[50:53], v1 offset:1360
	s_waitcnt lgkmcnt(1)
	v_mul_f64 v[56:57], v[46:47], v[156:157]
	v_fmac_f64_e32 v[56:57], v[48:49], v[158:159]
	v_add_f64 v[58:59], v[54:55], v[56:57]
	ds_read_b128 v[54:57], v1 offset:1376
	s_waitcnt lgkmcnt(1)
	v_mul_f64 v[60:61], v[50:51], v[184:185]
	s_waitcnt vmcnt(60)
	v_fmac_f64_e32 v[60:61], v[52:53], v[188:189]
	v_add_f64 v[62:63], v[58:59], v[60:61]
	ds_read_b128 v[58:61], v1 offset:1392
	s_waitcnt lgkmcnt(1)
	v_mul_f64 v[64:65], v[54:55], v[164:165]
	v_fmac_f64_e32 v[64:65], v[56:57], v[166:167]
	v_add_f64 v[66:67], v[62:63], v[64:65]
	ds_read_b128 v[62:65], v1 offset:1408
	s_waitcnt vmcnt(54) lgkmcnt(1)
	v_mul_f64 v[68:69], v[58:59], v[192:193]
	s_waitcnt vmcnt(52)
	v_fmac_f64_e32 v[68:69], v[60:61], v[196:197]
	v_add_f64 v[70:71], v[66:67], v[68:69]
	ds_read_b128 v[66:69], v1 offset:1424
	s_waitcnt lgkmcnt(1)
	v_mul_f64 v[72:73], v[62:63], v[168:169]
	v_fmac_f64_e32 v[72:73], v[64:65], v[170:171]
	v_add_f64 v[74:75], v[70:71], v[72:73]
	ds_read_b128 v[70:73], v1 offset:1440
	s_waitcnt vmcnt(46) lgkmcnt(1)
	;; [unrolled: 11-line block ×4, first 2 shown]
	v_mul_f64 v[92:93], v[82:83], v[220:221]
	s_waitcnt vmcnt(28)
	v_fmac_f64_e32 v[92:93], v[84:85], v[222:223]
	v_add_f64 v[98:99], v[90:91], v[92:93]
	ds_read_b128 v[90:93], v1 offset:1520
	ds_read_b128 v[94:97], v1 offset:1536
	s_waitcnt lgkmcnt(2)
	v_mul_f64 v[100:101], v[86:87], v[186:187]
	v_fmac_f64_e32 v[100:101], v[88:89], v[190:191]
	v_add_f64 v[98:99], v[98:99], v[100:101]
	s_waitcnt vmcnt(22) lgkmcnt(1)
	v_mul_f64 v[100:101], v[90:91], v[224:225]
	s_waitcnt vmcnt(20)
	v_fmac_f64_e32 v[100:101], v[92:93], v[226:227]
	v_add_f64 v[98:99], v[98:99], v[100:101]
	s_waitcnt lgkmcnt(0)
	v_mul_f64 v[100:101], v[94:95], v[194:195]
	v_fmac_f64_e32 v[100:101], v[96:97], v[198:199]
	v_add_f64 v[118:119], v[98:99], v[100:101]
	ds_read_b128 v[98:101], v1 offset:1552
	ds_read_b128 v[102:105], v1 offset:1568
	;; [unrolled: 1-line block ×3, first 2 shown]
	v_fma_f64 v[250:251], v[114:115], v[250:251], -v[116:117]
	ds_read_b128 v[114:117], v1 offset:1616
	s_waitcnt vmcnt(14) lgkmcnt(3)
	v_mul_f64 v[112:113], v[98:99], v[228:229]
	s_waitcnt lgkmcnt(2)
	v_mul_f64 v[110:111], v[102:103], v[202:203]
	s_waitcnt vmcnt(12)
	v_fmac_f64_e32 v[112:113], v[100:101], v[230:231]
	v_add_f64 v[112:113], v[118:119], v[112:113]
	v_fmac_f64_e32 v[110:111], v[104:105], v[206:207]
	v_add_f64 v[118:119], v[112:113], v[110:111]
	ds_read_b128 v[110:113], v1 offset:1600
	buffer_load_dword v254, off, s[0:3], 0 offset:304
	buffer_load_dword v255, off, s[0:3], 0 offset:308
	;; [unrolled: 1-line block ×4, first 2 shown]
	v_mul_f64 v[24:25], v[24:25], v[124:125]
	v_fma_f64 v[22:23], v[22:23], v[140:141], -v[24:25]
	v_mul_f64 v[16:17], v[16:17], v[132:133]
	s_waitcnt vmcnt(13) lgkmcnt(2)
	v_mul_f64 v[212:213], v[106:107], v[234:235]
	v_fma_f64 v[14:15], v[14:15], v[138:139], -v[16:17]
	s_waitcnt vmcnt(11)
	v_fmac_f64_e32 v[212:213], v[108:109], v[240:241]
	v_add_f64 v[118:119], v[118:119], v[212:213]
	s_waitcnt vmcnt(10) lgkmcnt(0)
	v_mul_f64 v[212:213], v[110:111], v[232:233]
	s_waitcnt vmcnt(8)
	v_fmac_f64_e32 v[212:213], v[112:113], v[238:239]
	v_add_f64 v[118:119], v[118:119], v[212:213]
	s_waitcnt vmcnt(6)
	v_mul_f64 v[212:213], v[114:115], v[236:237]
	v_mul_f64 v[8:9], v[8:9], v[130:131]
	s_waitcnt vmcnt(4)
	v_fmac_f64_e32 v[212:213], v[116:117], v[242:243]
	v_add_f64 v[244:245], v[118:119], v[212:213]
	v_add_f64 v[118:119], v[246:247], 0
	;; [unrolled: 1-line block ×8, first 2 shown]
	v_fma_f64 v[6:7], v[6:7], v[136:137], -v[8:9]
	v_mul_f64 v[4:5], v[4:5], v[134:135]
	v_add_f64 v[6:7], v[10:11], v[6:7]
	v_fma_f64 v[2:3], v[2:3], v[142:143], -v[4:5]
	v_mul_f64 v[4:5], v[28:29], v[148:149]
	v_add_f64 v[2:3], v[6:7], v[2:3]
	v_fma_f64 v[4:5], v[26:27], v[150:151], -v[4:5]
	v_add_f64 v[2:3], v[2:3], v[4:5]
	v_mul_f64 v[4:5], v[32:33], v[144:145]
	v_fma_f64 v[4:5], v[30:31], v[146:147], -v[4:5]
	v_add_f64 v[2:3], v[2:3], v[4:5]
	v_mul_f64 v[4:5], v[36:37], v[160:161]
	;; [unrolled: 3-line block ×22, first 2 shown]
	v_fma_f64 v[4:5], v[114:115], v[242:243], -v[4:5]
	v_add_f64 v[2:3], v[2:3], v[4:5]
	s_waitcnt vmcnt(2)
	v_add_f64 v[2:3], v[254:255], -v[2:3]
	s_waitcnt vmcnt(0)
	v_add_f64 v[4:5], v[252:253], -v[244:245]
	buffer_store_dword v3, off, s[0:3], 0 offset:308
	buffer_store_dword v2, off, s[0:3], 0 offset:304
	;; [unrolled: 1-line block ×4, first 2 shown]
	s_and_saveexec_b64 s[4:5], vcc
	s_cbranch_execz .LBB114_285
; %bb.284:
	v_accvgpr_read_b32 v0, a135
	buffer_load_dword v2, v0, s[0:3], 0 offen
	buffer_load_dword v3, v0, s[0:3], 0 offen offset:4
	buffer_load_dword v4, v0, s[0:3], 0 offen offset:8
	;; [unrolled: 1-line block ×3, first 2 shown]
	v_mov_b32_e32 v0, 0
	v_accvgpr_read_b32 v1, a153
	buffer_store_dword v0, off, s[0:3], 0 offset:288
	buffer_store_dword v0, off, s[0:3], 0 offset:292
	;; [unrolled: 1-line block ×4, first 2 shown]
	s_waitcnt vmcnt(4)
	ds_write_b128 v1, v[2:5]
.LBB114_285:
	s_or_b64 exec, exec, s[4:5]
	s_waitcnt lgkmcnt(0)
	; wave barrier
	s_waitcnt lgkmcnt(0)
	buffer_load_dword v94, off, s[0:3], 0 offset:304
	buffer_load_dword v95, off, s[0:3], 0 offset:308
	;; [unrolled: 1-line block ×52, first 2 shown]
	v_mov_b32_e32 v1, 0
	ds_read_b128 v[102:105], v1 offset:1104
	ds_read_b128 v[114:117], v1 offset:1120
	;; [unrolled: 1-line block ×10, first 2 shown]
	v_cmp_lt_u32_e32 vcc, 16, v218
	s_waitcnt vmcnt(48) lgkmcnt(9)
	v_mul_f64 v[26:27], v[102:103], v[96:97]
	v_fmac_f64_e32 v[26:27], v[104:105], v[94:95]
	v_add_f64 v[26:27], v[26:27], 0
	v_mul_f64 v[96:97], v[104:105], v[96:97]
	s_waitcnt vmcnt(44) lgkmcnt(8)
	v_mul_f64 v[28:29], v[114:115], v[100:101]
	v_fmac_f64_e32 v[28:29], v[116:117], v[98:99]
	s_waitcnt vmcnt(42) lgkmcnt(7)
	v_mul_f64 v[30:31], v[244:245], v[106:107]
	v_add_f64 v[26:27], v[26:27], v[28:29]
	s_waitcnt vmcnt(40) lgkmcnt(5)
	v_mul_f64 v[34:35], v[22:23], v[122:123]
	v_fma_f64 v[212:213], v[102:103], v[94:95], -v[96:97]
	s_waitcnt vmcnt(38)
	v_fmac_f64_e32 v[34:35], v[24:25], v[126:127]
	v_mul_f64 v[100:101], v[116:117], v[100:101]
	s_waitcnt vmcnt(36)
	v_mul_f64 v[32:33], v[250:251], v[110:111]
	v_fma_f64 v[214:215], v[114:115], v[98:99], -v[100:101]
	s_waitcnt vmcnt(34) lgkmcnt(3)
	v_mul_f64 v[38:39], v[14:15], v[120:121]
	v_mul_f64 v[106:107], v[246:247], v[106:107]
	s_waitcnt vmcnt(32)
	v_fmac_f64_e32 v[38:39], v[16:17], v[124:125]
	v_mul_f64 v[110:111], v[252:253], v[110:111]
	s_waitcnt vmcnt(30)
	v_mul_f64 v[36:37], v[18:19], v[132:133]
	v_mul_f64 v[24:25], v[24:25], v[122:123]
	v_fma_f64 v[22:23], v[22:23], v[126:127], -v[24:25]
	s_waitcnt vmcnt(27) lgkmcnt(2)
	v_mul_f64 v[40:41], v[10:11], v[130:131]
	s_waitcnt vmcnt(26) lgkmcnt(1)
	v_mul_f64 v[42:43], v[6:7], v[128:129]
	v_mul_f64 v[16:17], v[16:17], v[120:121]
	s_waitcnt vmcnt(24)
	v_fmac_f64_e32 v[30:31], v[246:247], v[108:109]
	v_add_f64 v[26:27], v[26:27], v[30:31]
	s_waitcnt vmcnt(22)
	v_fmac_f64_e32 v[32:33], v[252:253], v[112:113]
	v_add_f64 v[26:27], v[26:27], v[32:33]
	;; [unrolled: 3-line block ×3, first 2 shown]
	v_add_f64 v[26:27], v[26:27], v[36:37]
	s_waitcnt vmcnt(18)
	v_fmac_f64_e32 v[40:41], v[12:13], v[134:135]
	v_add_f64 v[26:27], v[26:27], v[38:39]
	v_add_f64 v[26:27], v[26:27], v[40:41]
	s_waitcnt vmcnt(16)
	v_fmac_f64_e32 v[42:43], v[8:9], v[140:141]
	v_add_f64 v[34:35], v[26:27], v[42:43]
	ds_read_b128 v[26:29], v1 offset:1264
	ds_read_b128 v[30:33], v1 offset:1280
	buffer_load_dword v157, off, s[0:3], 0 offset:540
	buffer_load_dword v156, off, s[0:3], 0 offset:536
	;; [unrolled: 1-line block ×56, first 2 shown]
	s_waitcnt vmcnt(62) lgkmcnt(2)
	v_mul_f64 v[36:37], v[2:3], v[144:145]
	v_fmac_f64_e32 v[36:37], v[4:5], v[146:147]
	v_add_f64 v[34:35], v[34:35], v[36:37]
	s_waitcnt lgkmcnt(1)
	v_mul_f64 v[36:37], v[26:27], v[138:139]
	v_fmac_f64_e32 v[36:37], v[28:29], v[142:143]
	v_add_f64 v[34:35], v[34:35], v[36:37]
	s_waitcnt lgkmcnt(0)
	v_mul_f64 v[36:37], v[30:31], v[148:149]
	s_waitcnt vmcnt(60)
	v_fmac_f64_e32 v[36:37], v[32:33], v[152:153]
	v_add_f64 v[42:43], v[34:35], v[36:37]
	ds_read_b128 v[34:37], v1 offset:1296
	buffer_load_dword v201, off, s[0:3], 0 offset:764
	buffer_load_dword v200, off, s[0:3], 0 offset:760
	;; [unrolled: 1-line block ×16, first 2 shown]
	ds_read_b128 v[38:41], v1 offset:1312
	buffer_load_dword v231, off, s[0:3], 0 offset:828
	buffer_load_dword v230, off, s[0:3], 0 offset:824
	;; [unrolled: 1-line block ×8, first 2 shown]
	ds_read_b128 v[98:101], v1 offset:1552
	s_waitcnt vmcnt(62) lgkmcnt(2)
	v_mul_f64 v[44:45], v[34:35], v[150:151]
	v_fmac_f64_e32 v[44:45], v[36:37], v[154:155]
	v_add_f64 v[46:47], v[42:43], v[44:45]
	ds_read_b128 v[42:45], v1 offset:1328
	v_fma_f64 v[248:249], v[244:245], v[108:109], -v[106:107]
	ds_read_b128 v[106:109], v1 offset:1584
	v_fma_f64 v[246:247], v[250:251], v[112:113], -v[110:111]
	v_mul_f64 v[20:21], v[20:21], v[132:133]
	v_fma_f64 v[18:19], v[18:19], v[136:137], -v[20:21]
	v_fma_f64 v[14:15], v[14:15], v[124:125], -v[16:17]
	v_mul_f64 v[12:13], v[12:13], v[130:131]
	v_fma_f64 v[10:11], v[10:11], v[134:135], -v[12:13]
	v_mul_f64 v[8:9], v[8:9], v[128:129]
	;; [unrolled: 2-line block ×3, first 2 shown]
	s_waitcnt lgkmcnt(3)
	v_mul_f64 v[48:49], v[38:39], v[172:173]
	v_fma_f64 v[2:3], v[2:3], v[146:147], -v[4:5]
	v_fmac_f64_e32 v[48:49], v[40:41], v[176:177]
	v_add_f64 v[50:51], v[46:47], v[48:49]
	ds_read_b128 v[46:49], v1 offset:1344
	s_waitcnt lgkmcnt(2)
	v_mul_f64 v[52:53], v[42:43], v[156:157]
	v_fmac_f64_e32 v[52:53], v[44:45], v[158:159]
	v_add_f64 v[54:55], v[50:51], v[52:53]
	ds_read_b128 v[50:53], v1 offset:1360
	s_waitcnt lgkmcnt(1)
	v_mul_f64 v[56:57], v[46:47], v[180:181]
	;; [unrolled: 5-line block ×3, first 2 shown]
	v_fmac_f64_e32 v[60:61], v[52:53], v[162:163]
	v_add_f64 v[62:63], v[58:59], v[60:61]
	ds_read_b128 v[58:61], v1 offset:1392
	s_waitcnt vmcnt(58) lgkmcnt(1)
	v_mul_f64 v[64:65], v[54:55], v[188:189]
	s_waitcnt vmcnt(56)
	v_fmac_f64_e32 v[64:65], v[56:57], v[192:193]
	v_add_f64 v[66:67], v[62:63], v[64:65]
	ds_read_b128 v[62:65], v1 offset:1408
	s_waitcnt lgkmcnt(1)
	v_mul_f64 v[68:69], v[58:59], v[164:165]
	v_fmac_f64_e32 v[68:69], v[60:61], v[166:167]
	v_add_f64 v[70:71], v[66:67], v[68:69]
	ds_read_b128 v[66:69], v1 offset:1424
	s_waitcnt vmcnt(50) lgkmcnt(1)
	v_mul_f64 v[72:73], v[62:63], v[196:197]
	s_waitcnt vmcnt(48)
	v_fmac_f64_e32 v[72:73], v[64:65], v[198:199]
	v_add_f64 v[74:75], v[70:71], v[72:73]
	ds_read_b128 v[70:73], v1 offset:1440
	s_waitcnt lgkmcnt(1)
	v_mul_f64 v[76:77], v[66:67], v[168:169]
	v_fmac_f64_e32 v[76:77], v[68:69], v[170:171]
	v_add_f64 v[78:79], v[74:75], v[76:77]
	ds_read_b128 v[74:77], v1 offset:1456
	s_waitcnt vmcnt(42) lgkmcnt(1)
	v_mul_f64 v[80:81], v[70:71], v[202:203]
	s_waitcnt vmcnt(40)
	v_fmac_f64_e32 v[80:81], v[72:73], v[206:207]
	v_add_f64 v[82:83], v[78:79], v[80:81]
	ds_read_b128 v[78:81], v1 offset:1472
	s_waitcnt lgkmcnt(1)
	v_mul_f64 v[84:85], v[74:75], v[174:175]
	v_fmac_f64_e32 v[84:85], v[76:77], v[178:179]
	v_add_f64 v[90:91], v[82:83], v[84:85]
	ds_read_b128 v[82:85], v1 offset:1488
	ds_read_b128 v[86:89], v1 offset:1504
	s_waitcnt vmcnt(34) lgkmcnt(2)
	v_mul_f64 v[92:93], v[78:79], v[210:211]
	s_waitcnt vmcnt(32)
	v_fmac_f64_e32 v[92:93], v[80:81], v[224:225]
	v_add_f64 v[90:91], v[90:91], v[92:93]
	s_waitcnt lgkmcnt(1)
	v_mul_f64 v[92:93], v[82:83], v[182:183]
	v_fmac_f64_e32 v[92:93], v[84:85], v[186:187]
	v_add_f64 v[90:91], v[90:91], v[92:93]
	s_waitcnt vmcnt(27) lgkmcnt(0)
	v_mul_f64 v[92:93], v[86:87], v[222:223]
	s_waitcnt vmcnt(25)
	v_fmac_f64_e32 v[92:93], v[88:89], v[226:227]
	v_add_f64 v[118:119], v[90:91], v[92:93]
	ds_read_b128 v[90:93], v1 offset:1520
	ds_read_b128 v[94:97], v1 offset:1536
	;; [unrolled: 1-line block ×3, first 2 shown]
	v_mul_f64 v[4:5], v[28:29], v[138:139]
	v_fma_f64 v[4:5], v[26:27], v[142:143], -v[4:5]
	s_waitcnt lgkmcnt(2)
	v_mul_f64 v[102:103], v[90:91], v[190:191]
	s_waitcnt vmcnt(24)
	v_fmac_f64_e32 v[102:103], v[92:93], v[194:195]
	s_waitcnt vmcnt(18) lgkmcnt(1)
	v_mul_f64 v[104:105], v[94:95], v[228:229]
	v_add_f64 v[102:103], v[118:119], v[102:103]
	s_waitcnt vmcnt(16)
	v_fmac_f64_e32 v[104:105], v[96:97], v[232:233]
	v_add_f64 v[102:103], v[102:103], v[104:105]
	v_mul_f64 v[104:105], v[98:99], v[200:201]
	v_fmac_f64_e32 v[104:105], v[100:101], v[204:205]
	v_add_f64 v[114:115], v[102:103], v[104:105]
	ds_read_b128 v[102:105], v1 offset:1568
	s_waitcnt vmcnt(10) lgkmcnt(0)
	v_mul_f64 v[116:117], v[102:103], v[236:237]
	s_waitcnt vmcnt(8)
	v_fmac_f64_e32 v[116:117], v[104:105], v[238:239]
	v_add_f64 v[114:115], v[114:115], v[116:117]
	v_mul_f64 v[116:117], v[106:107], v[208:209]
	v_fmac_f64_e32 v[116:117], v[108:109], v[220:221]
	v_add_f64 v[114:115], v[114:115], v[116:117]
	s_waitcnt vmcnt(2)
	v_mul_f64 v[116:117], v[110:111], v[240:241]
	s_waitcnt vmcnt(0)
	v_fmac_f64_e32 v[116:117], v[112:113], v[242:243]
	v_add_f64 v[118:119], v[114:115], v[116:117]
	ds_read_b128 v[114:117], v1 offset:1616
	buffer_load_dword v252, off, s[0:3], 0 offset:288
	buffer_load_dword v253, off, s[0:3], 0 offset:292
	s_waitcnt lgkmcnt(0)
	v_mul_f64 v[216:217], v[114:115], v[230:231]
	v_fmac_f64_e32 v[216:217], v[116:117], v[234:235]
	v_add_f64 v[244:245], v[118:119], v[216:217]
	v_add_f64 v[118:119], v[212:213], 0
	;; [unrolled: 1-line block ×4, first 2 shown]
	buffer_load_dword v248, off, s[0:3], 0 offset:296
	buffer_load_dword v249, off, s[0:3], 0 offset:300
	v_add_f64 v[118:119], v[118:119], v[246:247]
	v_add_f64 v[22:23], v[118:119], v[22:23]
	;; [unrolled: 1-line block ×8, first 2 shown]
	v_mul_f64 v[4:5], v[32:33], v[148:149]
	v_fma_f64 v[4:5], v[30:31], v[152:153], -v[4:5]
	v_add_f64 v[2:3], v[2:3], v[4:5]
	v_mul_f64 v[4:5], v[36:37], v[150:151]
	v_fma_f64 v[4:5], v[34:35], v[154:155], -v[4:5]
	v_add_f64 v[2:3], v[2:3], v[4:5]
	;; [unrolled: 3-line block ×22, first 2 shown]
	s_waitcnt vmcnt(2)
	v_add_f64 v[2:3], v[252:253], -v[2:3]
	s_waitcnt vmcnt(0)
	v_add_f64 v[4:5], v[248:249], -v[244:245]
	buffer_store_dword v3, off, s[0:3], 0 offset:292
	buffer_store_dword v2, off, s[0:3], 0 offset:288
	;; [unrolled: 1-line block ×4, first 2 shown]
	s_and_saveexec_b64 s[4:5], vcc
	s_cbranch_execz .LBB114_287
; %bb.286:
	v_accvgpr_read_b32 v0, a136
	buffer_load_dword v2, v0, s[0:3], 0 offen
	buffer_load_dword v3, v0, s[0:3], 0 offen offset:4
	buffer_load_dword v4, v0, s[0:3], 0 offen offset:8
	;; [unrolled: 1-line block ×3, first 2 shown]
	v_accvgpr_read_b32 v0, a153
	buffer_store_dword v1, off, s[0:3], 0 offset:272
	buffer_store_dword v1, off, s[0:3], 0 offset:276
	;; [unrolled: 1-line block ×4, first 2 shown]
	s_waitcnt vmcnt(4)
	ds_write_b128 v0, v[2:5]
.LBB114_287:
	s_or_b64 exec, exec, s[4:5]
	s_waitcnt lgkmcnt(0)
	; wave barrier
	s_waitcnt lgkmcnt(0)
	buffer_load_dword v86, off, s[0:3], 0 offset:288
	buffer_load_dword v87, off, s[0:3], 0 offset:292
	;; [unrolled: 1-line block ×42, first 2 shown]
	ds_read_b128 v[94:97], v1 offset:1088
	ds_read_b128 v[106:109], v1 offset:1104
	ds_read_b128 v[114:117], v1 offset:1120
	ds_read_b128 v[244:247], v1 offset:1136
	ds_read_b128 v[248:251], v1 offset:1152
	ds_read_b128 v[22:25], v1 offset:1168
	ds_read_b128 v[18:21], v1 offset:1184
	ds_read_b128 v[14:17], v1 offset:1200
	ds_read_b128 v[10:13], v1 offset:1216
	ds_read_b128 v[2:5], v1 offset:1232
	buffer_load_dword v147, off, s[0:3], 0 offset:436
	buffer_load_dword v146, off, s[0:3], 0 offset:432
	ds_read_b128 v[6:9], v1 offset:1248
	buffer_load_dword v143, off, s[0:3], 0 offset:492
	buffer_load_dword v142, off, s[0:3], 0 offset:488
	;; [unrolled: 1-line block ×80, first 2 shown]
	s_waitcnt vmcnt(62) lgkmcnt(10)
	v_mul_f64 v[26:27], v[94:95], v[88:89]
	v_fmac_f64_e32 v[26:27], v[96:97], v[86:87]
	v_add_f64 v[26:27], v[26:27], 0
	v_mul_f64 v[88:89], v[96:97], v[88:89]
	s_waitcnt lgkmcnt(9)
	v_mul_f64 v[28:29], v[106:107], v[92:93]
	v_fmac_f64_e32 v[28:29], v[108:109], v[90:91]
	s_waitcnt lgkmcnt(8)
	v_mul_f64 v[30:31], v[114:115], v[98:99]
	v_add_f64 v[26:27], v[26:27], v[28:29]
	s_waitcnt lgkmcnt(6)
	v_mul_f64 v[34:35], v[248:249], v[110:111]
	v_fma_f64 v[212:213], v[94:95], v[86:87], -v[88:89]
	v_fmac_f64_e32 v[34:35], v[250:251], v[112:113]
	v_mul_f64 v[92:93], v[108:109], v[92:93]
	v_mul_f64 v[32:33], v[244:245], v[102:103]
	;; [unrolled: 1-line block ×3, first 2 shown]
	s_waitcnt lgkmcnt(4)
	v_mul_f64 v[38:39], v[18:19], v[120:121]
	v_mul_f64 v[102:103], v[246:247], v[102:103]
	v_fmac_f64_e32 v[38:39], v[20:21], v[122:123]
	v_mul_f64 v[110:111], v[250:251], v[110:111]
	v_mul_f64 v[36:37], v[22:23], v[124:125]
	v_fma_f64 v[248:249], v[248:249], v[112:113], -v[110:111]
	s_waitcnt lgkmcnt(2)
	v_mul_f64 v[42:43], v[10:11], v[126:127]
	v_add_f64 v[212:213], v[212:213], 0
	v_mul_f64 v[20:21], v[20:21], v[120:121]
	v_mul_f64 v[40:41], v[14:15], v[132:133]
	v_fma_f64 v[18:19], v[18:19], v[122:123], -v[20:21]
	s_waitcnt lgkmcnt(1)
	v_mul_f64 v[44:45], v[2:3], v[130:131]
	v_fmac_f64_e32 v[30:31], v[116:117], v[100:101]
	v_add_f64 v[26:27], v[26:27], v[30:31]
	v_fmac_f64_e32 v[32:33], v[246:247], v[104:105]
	v_add_f64 v[26:27], v[26:27], v[32:33]
	;; [unrolled: 2-line block ×3, first 2 shown]
	v_add_f64 v[26:27], v[26:27], v[36:37]
	v_fmac_f64_e32 v[40:41], v[16:17], v[134:135]
	v_add_f64 v[26:27], v[26:27], v[38:39]
	v_fmac_f64_e32 v[42:43], v[12:13], v[128:129]
	v_add_f64 v[26:27], v[26:27], v[40:41]
	v_add_f64 v[26:27], v[26:27], v[42:43]
	s_waitcnt lgkmcnt(0)
	v_mul_f64 v[32:33], v[6:7], v[138:139]
	v_fmac_f64_e32 v[44:45], v[4:5], v[146:147]
	v_add_f64 v[30:31], v[26:27], v[44:45]
	ds_read_b128 v[26:29], v1 offset:1264
	v_fmac_f64_e32 v[32:33], v[8:9], v[140:141]
	v_add_f64 v[34:35], v[30:31], v[32:33]
	ds_read_b128 v[30:33], v1 offset:1280
	v_fma_f64 v[214:215], v[114:115], v[100:101], -v[98:99]
	s_waitcnt lgkmcnt(1)
	v_mul_f64 v[36:37], v[26:27], v[148:149]
	v_fmac_f64_e32 v[36:37], v[28:29], v[164:165]
	v_add_f64 v[38:39], v[34:35], v[36:37]
	ds_read_b128 v[34:37], v1 offset:1296
	s_waitcnt lgkmcnt(1)
	v_mul_f64 v[40:41], v[30:31], v[142:143]
	v_fmac_f64_e32 v[40:41], v[32:33], v[144:145]
	v_add_f64 v[42:43], v[38:39], v[40:41]
	ds_read_b128 v[38:41], v1 offset:1312
	;; [unrolled: 5-line block ×4, first 2 shown]
	s_waitcnt vmcnt(58) lgkmcnt(1)
	v_mul_f64 v[52:53], v[42:43], v[176:177]
	s_waitcnt vmcnt(56)
	v_fmac_f64_e32 v[52:53], v[44:45], v[180:181]
	v_add_f64 v[54:55], v[50:51], v[52:53]
	ds_read_b128 v[50:53], v1 offset:1360
	buffer_load_dword v232, off, s[0:3], 0 offset:808
	buffer_load_dword v237, off, s[0:3], 0 offset:796
	;; [unrolled: 1-line block ×8, first 2 shown]
	s_waitcnt lgkmcnt(1)
	v_mul_f64 v[56:57], v[46:47], v[154:155]
	v_fmac_f64_e32 v[56:57], v[48:49], v[156:157]
	v_add_f64 v[58:59], v[54:55], v[56:57]
	ds_read_b128 v[54:57], v1 offset:1376
	s_waitcnt vmcnt(58) lgkmcnt(1)
	v_mul_f64 v[60:61], v[50:51], v[184:185]
	s_waitcnt vmcnt(56)
	v_fmac_f64_e32 v[60:61], v[52:53], v[188:189]
	buffer_load_dword v241, off, s[0:3], 0 offset:828
	buffer_load_dword v240, off, s[0:3], 0 offset:824
	;; [unrolled: 1-line block ×4, first 2 shown]
	v_add_f64 v[62:63], v[58:59], v[60:61]
	ds_read_b128 v[58:61], v1 offset:1392
	s_waitcnt lgkmcnt(1)
	v_mul_f64 v[64:65], v[54:55], v[158:159]
	v_fmac_f64_e32 v[64:65], v[56:57], v[160:161]
	v_add_f64 v[66:67], v[62:63], v[64:65]
	ds_read_b128 v[62:65], v1 offset:1408
	s_waitcnt vmcnt(54) lgkmcnt(1)
	v_mul_f64 v[68:69], v[58:59], v[192:193]
	s_waitcnt vmcnt(52)
	v_fmac_f64_e32 v[68:69], v[60:61], v[196:197]
	v_add_f64 v[70:71], v[66:67], v[68:69]
	ds_read_b128 v[66:69], v1 offset:1424
	s_waitcnt lgkmcnt(1)
	v_mul_f64 v[72:73], v[62:63], v[162:163]
	v_fmac_f64_e32 v[72:73], v[64:65], v[166:167]
	v_add_f64 v[74:75], v[70:71], v[72:73]
	ds_read_b128 v[70:73], v1 offset:1440
	s_waitcnt vmcnt(46) lgkmcnt(1)
	v_mul_f64 v[76:77], v[66:67], v[200:201]
	s_waitcnt vmcnt(44)
	v_fmac_f64_e32 v[76:77], v[68:69], v[204:205]
	v_add_f64 v[82:83], v[74:75], v[76:77]
	ds_read_b128 v[74:77], v1 offset:1456
	ds_read_b128 v[78:81], v1 offset:1472
	s_waitcnt lgkmcnt(2)
	v_mul_f64 v[84:85], v[70:71], v[170:171]
	v_fmac_f64_e32 v[84:85], v[72:73], v[174:175]
	v_add_f64 v[82:83], v[82:83], v[84:85]
	s_waitcnt vmcnt(38) lgkmcnt(1)
	v_mul_f64 v[84:85], v[74:75], v[208:209]
	s_waitcnt vmcnt(36)
	v_fmac_f64_e32 v[84:85], v[76:77], v[210:211]
	v_add_f64 v[82:83], v[82:83], v[84:85]
	s_waitcnt lgkmcnt(0)
	v_mul_f64 v[84:85], v[78:79], v[178:179]
	v_fmac_f64_e32 v[84:85], v[80:81], v[182:183]
	v_add_f64 v[118:119], v[82:83], v[84:85]
	ds_read_b128 v[82:85], v1 offset:1488
	ds_read_b128 v[86:89], v1 offset:1504
	;; [unrolled: 1-line block ×3, first 2 shown]
	v_fma_f64 v[246:247], v[244:245], v[104:105], -v[102:103]
	ds_read_b128 v[102:105], v1 offset:1584
	ds_read_b128 v[110:113], v1 offset:1600
	s_waitcnt vmcnt(30) lgkmcnt(4)
	v_mul_f64 v[94:95], v[82:83], v[220:221]
	s_waitcnt vmcnt(28)
	v_fmac_f64_e32 v[94:95], v[84:85], v[222:223]
	v_add_f64 v[94:95], v[118:119], v[94:95]
	v_fma_f64 v[118:119], v[106:107], v[90:91], -v[92:93]
	ds_read_b128 v[90:93], v1 offset:1520
	s_waitcnt lgkmcnt(4)
	v_mul_f64 v[96:97], v[86:87], v[186:187]
	v_fmac_f64_e32 v[96:97], v[88:89], v[190:191]
	v_add_f64 v[106:107], v[94:95], v[96:97]
	ds_read_b128 v[94:97], v1 offset:1536
	s_waitcnt vmcnt(22) lgkmcnt(1)
	v_mul_f64 v[108:109], v[90:91], v[224:225]
	s_waitcnt vmcnt(20)
	v_fmac_f64_e32 v[108:109], v[92:93], v[226:227]
	v_add_f64 v[106:107], v[106:107], v[108:109]
	v_add_f64 v[118:119], v[212:213], v[118:119]
	s_waitcnt lgkmcnt(0)
	v_mul_f64 v[108:109], v[94:95], v[194:195]
	v_fmac_f64_e32 v[108:109], v[96:97], v[198:199]
	v_add_f64 v[114:115], v[106:107], v[108:109]
	ds_read_b128 v[106:109], v1 offset:1568
	s_waitcnt vmcnt(14)
	v_mul_f64 v[116:117], v[98:99], v[228:229]
	s_waitcnt vmcnt(12)
	v_fmac_f64_e32 v[116:117], v[100:101], v[230:231]
	v_add_f64 v[114:115], v[114:115], v[116:117]
	v_add_f64 v[250:251], v[118:119], v[214:215]
	s_waitcnt lgkmcnt(0)
	v_mul_f64 v[116:117], v[106:107], v[202:203]
	v_fmac_f64_e32 v[116:117], v[108:109], v[206:207]
	v_add_f64 v[114:115], v[114:115], v[116:117]
	v_add_f64 v[118:119], v[250:251], v[246:247]
	v_mul_f64 v[24:25], v[24:25], v[124:125]
	v_add_f64 v[118:119], v[118:119], v[248:249]
	v_fma_f64 v[22:23], v[22:23], v[136:137], -v[24:25]
	v_add_f64 v[22:23], v[118:119], v[22:23]
	v_mul_f64 v[16:17], v[16:17], v[132:133]
	v_add_f64 v[18:19], v[22:23], v[18:19]
	v_fma_f64 v[14:15], v[14:15], v[134:135], -v[16:17]
	v_mul_f64 v[12:13], v[12:13], v[126:127]
	s_waitcnt vmcnt(9)
	v_mul_f64 v[116:117], v[102:103], v[236:237]
	v_add_f64 v[14:15], v[18:19], v[14:15]
	s_waitcnt vmcnt(7)
	v_fmac_f64_e32 v[116:117], v[104:105], v[238:239]
	v_add_f64 v[114:115], v[114:115], v[116:117]
	s_waitcnt vmcnt(5)
	v_mul_f64 v[116:117], v[110:111], v[232:233]
	s_waitcnt vmcnt(4)
	v_fmac_f64_e32 v[116:117], v[112:113], v[234:235]
	v_add_f64 v[216:217], v[114:115], v[116:117]
	ds_read_b128 v[114:117], v1 offset:1616
	buffer_load_dword v254, off, s[0:3], 0 offset:272
	buffer_load_dword v255, off, s[0:3], 0 offset:276
	;; [unrolled: 1-line block ×4, first 2 shown]
	v_fma_f64 v[10:11], v[10:11], v[128:129], -v[12:13]
	v_mul_f64 v[4:5], v[4:5], v[130:131]
	v_add_f64 v[10:11], v[14:15], v[10:11]
	v_fma_f64 v[2:3], v[2:3], v[146:147], -v[4:5]
	v_mul_f64 v[4:5], v[8:9], v[138:139]
	v_add_f64 v[2:3], v[10:11], v[2:3]
	v_fma_f64 v[4:5], v[6:7], v[140:141], -v[4:5]
	v_add_f64 v[2:3], v[2:3], v[4:5]
	v_mul_f64 v[4:5], v[28:29], v[148:149]
	v_fma_f64 v[4:5], v[26:27], v[164:165], -v[4:5]
	v_add_f64 v[2:3], v[2:3], v[4:5]
	v_mul_f64 v[4:5], v[32:33], v[142:143]
	;; [unrolled: 3-line block ×22, first 2 shown]
	v_fma_f64 v[4:5], v[110:111], v[234:235], -v[4:5]
	v_add_f64 v[2:3], v[2:3], v[4:5]
	s_waitcnt vmcnt(6) lgkmcnt(0)
	v_mul_f64 v[4:5], v[116:117], v[240:241]
	s_waitcnt vmcnt(4)
	v_fma_f64 v[4:5], v[114:115], v[242:243], -v[4:5]
	v_mul_f64 v[218:219], v[114:115], v[240:241]
	v_add_f64 v[2:3], v[2:3], v[4:5]
	v_fmac_f64_e32 v[218:219], v[116:117], v[242:243]
	s_waitcnt vmcnt(2)
	v_add_f64 v[2:3], v[254:255], -v[2:3]
	v_accvgpr_read_b32 v254, a152
	v_add_f64 v[244:245], v[216:217], v[218:219]
	v_cmp_lt_u32_e32 vcc, 15, v254
	s_waitcnt vmcnt(0)
	v_add_f64 v[4:5], v[252:253], -v[244:245]
	buffer_store_dword v3, off, s[0:3], 0 offset:276
	buffer_store_dword v2, off, s[0:3], 0 offset:272
	;; [unrolled: 1-line block ×4, first 2 shown]
	s_and_saveexec_b64 s[4:5], vcc
	s_cbranch_execz .LBB114_289
; %bb.288:
	v_accvgpr_read_b32 v0, a137
	buffer_load_dword v2, v0, s[0:3], 0 offen
	buffer_load_dword v3, v0, s[0:3], 0 offen offset:4
	buffer_load_dword v4, v0, s[0:3], 0 offen offset:8
	;; [unrolled: 1-line block ×3, first 2 shown]
	v_mov_b32_e32 v0, 0
	v_accvgpr_read_b32 v1, a153
	buffer_store_dword v0, off, s[0:3], 0 offset:256
	buffer_store_dword v0, off, s[0:3], 0 offset:260
	buffer_store_dword v0, off, s[0:3], 0 offset:264
	buffer_store_dword v0, off, s[0:3], 0 offset:268
	s_waitcnt vmcnt(4)
	ds_write_b128 v1, v[2:5]
.LBB114_289:
	s_or_b64 exec, exec, s[4:5]
	s_waitcnt lgkmcnt(0)
	; wave barrier
	s_waitcnt lgkmcnt(0)
	buffer_load_dword v82, off, s[0:3], 0 offset:272
	buffer_load_dword v83, off, s[0:3], 0 offset:276
	;; [unrolled: 1-line block ×54, first 2 shown]
	v_mov_b32_e32 v1, 0
	ds_read_b128 v[90:93], v1 offset:1072
	ds_read_b128 v[106:109], v1 offset:1088
	;; [unrolled: 1-line block ×9, first 2 shown]
	buffer_load_dword v151, off, s[0:3], 0 offset:500
	buffer_load_dword v150, off, s[0:3], 0 offset:496
	;; [unrolled: 1-line block ×62, first 2 shown]
	v_cmp_lt_u32_e32 vcc, 14, v254
	s_waitcnt vmcnt(62) lgkmcnt(8)
	v_mul_f64 v[14:15], v[90:91], v[84:85]
	v_fmac_f64_e32 v[14:15], v[92:93], v[82:83]
	v_add_f64 v[14:15], v[14:15], 0
	v_mul_f64 v[84:85], v[92:93], v[84:85]
	s_waitcnt lgkmcnt(7)
	v_mul_f64 v[16:17], v[106:107], v[88:89]
	v_fmac_f64_e32 v[16:17], v[108:109], v[86:87]
	s_waitcnt lgkmcnt(6)
	v_mul_f64 v[18:19], v[114:115], v[94:95]
	v_add_f64 v[14:15], v[14:15], v[16:17]
	s_waitcnt lgkmcnt(4)
	v_mul_f64 v[22:23], v[246:247], v[102:103]
	v_fma_f64 v[212:213], v[90:91], v[82:83], -v[84:85]
	v_fmac_f64_e32 v[22:23], v[248:249], v[104:105]
	v_mul_f64 v[88:89], v[108:109], v[88:89]
	v_mul_f64 v[20:21], v[242:243], v[98:99]
	v_fma_f64 v[214:215], v[106:107], v[86:87], -v[88:89]
	s_waitcnt lgkmcnt(2)
	v_mul_f64 v[26:27], v[10:11], v[120:121]
	v_mul_f64 v[94:95], v[116:117], v[94:95]
	v_fmac_f64_e32 v[26:27], v[12:13], v[122:123]
	v_mul_f64 v[98:99], v[244:245], v[98:99]
	v_mul_f64 v[24:25], v[250:251], v[110:111]
	;; [unrolled: 1-line block ×3, first 2 shown]
	s_waitcnt lgkmcnt(1)
	v_mul_f64 v[28:29], v[6:7], v[124:125]
	v_mul_f64 v[110:111], v[252:253], v[110:111]
	v_fmac_f64_e32 v[18:19], v[116:117], v[96:97]
	v_add_f64 v[14:15], v[14:15], v[18:19]
	v_fmac_f64_e32 v[20:21], v[244:245], v[100:101]
	v_add_f64 v[14:15], v[14:15], v[20:21]
	;; [unrolled: 2-line block ×3, first 2 shown]
	v_add_f64 v[14:15], v[14:15], v[24:25]
	v_fmac_f64_e32 v[28:29], v[8:9], v[128:129]
	v_add_f64 v[14:15], v[14:15], v[26:27]
	v_add_f64 v[18:19], v[14:15], v[28:29]
	ds_read_b128 v[14:17], v1 offset:1216
	s_waitcnt lgkmcnt(1)
	v_mul_f64 v[20:21], v[2:3], v[126:127]
	v_fmac_f64_e32 v[20:21], v[4:5], v[130:131]
	v_add_f64 v[22:23], v[18:19], v[20:21]
	ds_read_b128 v[18:21], v1 offset:1232
	s_waitcnt lgkmcnt(1)
	v_mul_f64 v[24:25], v[14:15], v[136:137]
	v_fmac_f64_e32 v[24:25], v[16:17], v[138:139]
	v_add_f64 v[26:27], v[22:23], v[24:25]
	ds_read_b128 v[22:25], v1 offset:1248
	s_waitcnt lgkmcnt(1)
	v_mul_f64 v[28:29], v[18:19], v[132:133]
	v_fmac_f64_e32 v[28:29], v[20:21], v[134:135]
	v_add_f64 v[30:31], v[26:27], v[28:29]
	ds_read_b128 v[26:29], v1 offset:1264
	s_waitcnt lgkmcnt(1)
	v_mul_f64 v[32:33], v[22:23], v[146:147]
	v_fmac_f64_e32 v[32:33], v[24:25], v[148:149]
	v_add_f64 v[34:35], v[30:31], v[32:33]
	ds_read_b128 v[30:33], v1 offset:1280
	s_waitcnt lgkmcnt(1)
	v_mul_f64 v[36:37], v[26:27], v[140:141]
	v_fmac_f64_e32 v[36:37], v[28:29], v[142:143]
	v_add_f64 v[38:39], v[34:35], v[36:37]
	ds_read_b128 v[34:37], v1 offset:1296
	s_waitcnt vmcnt(58) lgkmcnt(1)
	v_mul_f64 v[40:41], v[30:31], v[164:165]
	s_waitcnt vmcnt(56)
	v_fmac_f64_e32 v[40:41], v[32:33], v[168:169]
	v_add_f64 v[42:43], v[38:39], v[40:41]
	ds_read_b128 v[38:41], v1 offset:1312
	s_waitcnt lgkmcnt(1)
	v_mul_f64 v[44:45], v[34:35], v[144:145]
	v_fmac_f64_e32 v[44:45], v[36:37], v[150:151]
	v_add_f64 v[46:47], v[42:43], v[44:45]
	ds_read_b128 v[42:45], v1 offset:1328
	s_waitcnt vmcnt(50) lgkmcnt(1)
	v_mul_f64 v[48:49], v[38:39], v[172:173]
	s_waitcnt vmcnt(48)
	v_fmac_f64_e32 v[48:49], v[40:41], v[176:177]
	v_add_f64 v[50:51], v[46:47], v[48:49]
	ds_read_b128 v[46:49], v1 offset:1344
	buffer_load_dword v221, off, s[0:3], 0 offset:748
	buffer_load_dword v220, off, s[0:3], 0 offset:744
	;; [unrolled: 1-line block ×8, first 2 shown]
	s_waitcnt lgkmcnt(1)
	v_mul_f64 v[52:53], v[42:43], v[152:153]
	v_fmac_f64_e32 v[52:53], v[44:45], v[154:155]
	v_add_f64 v[54:55], v[50:51], v[52:53]
	ds_read_b128 v[50:53], v1 offset:1360
	s_waitcnt vmcnt(50) lgkmcnt(1)
	v_mul_f64 v[56:57], v[46:47], v[180:181]
	s_waitcnt vmcnt(48)
	v_fmac_f64_e32 v[56:57], v[48:49], v[184:185]
	buffer_load_dword v225, off, s[0:3], 0 offset:796
	buffer_load_dword v231, off, s[0:3], 0 offset:780
	;; [unrolled: 1-line block ×12, first 2 shown]
	v_add_f64 v[58:59], v[54:55], v[56:57]
	ds_read_b128 v[54:57], v1 offset:1376
	s_waitcnt lgkmcnt(1)
	v_mul_f64 v[60:61], v[50:51], v[156:157]
	v_fmac_f64_e32 v[60:61], v[52:53], v[158:159]
	v_add_f64 v[62:63], v[58:59], v[60:61]
	ds_read_b128 v[58:61], v1 offset:1392
	s_waitcnt vmcnt(54) lgkmcnt(1)
	v_mul_f64 v[64:65], v[54:55], v[188:189]
	s_waitcnt vmcnt(52)
	v_fmac_f64_e32 v[64:65], v[56:57], v[192:193]
	v_add_f64 v[66:67], v[62:63], v[64:65]
	ds_read_b128 v[62:65], v1 offset:1408
	s_waitcnt lgkmcnt(1)
	v_mul_f64 v[68:69], v[58:59], v[160:161]
	v_fmac_f64_e32 v[68:69], v[60:61], v[162:163]
	v_add_f64 v[70:71], v[66:67], v[68:69]
	ds_read_b128 v[66:69], v1 offset:1424
	s_waitcnt vmcnt(46) lgkmcnt(1)
	v_mul_f64 v[72:73], v[62:63], v[196:197]
	s_waitcnt vmcnt(44)
	v_fmac_f64_e32 v[72:73], v[64:65], v[198:199]
	v_add_f64 v[78:79], v[70:71], v[72:73]
	ds_read_b128 v[70:73], v1 offset:1440
	ds_read_b128 v[74:77], v1 offset:1456
	s_waitcnt lgkmcnt(2)
	v_mul_f64 v[80:81], v[66:67], v[166:167]
	v_fmac_f64_e32 v[80:81], v[68:69], v[170:171]
	v_add_f64 v[78:79], v[78:79], v[80:81]
	s_waitcnt vmcnt(38) lgkmcnt(1)
	v_mul_f64 v[80:81], v[70:71], v[200:201]
	s_waitcnt vmcnt(36)
	v_fmac_f64_e32 v[80:81], v[72:73], v[202:203]
	v_add_f64 v[78:79], v[78:79], v[80:81]
	s_waitcnt lgkmcnt(0)
	v_mul_f64 v[80:81], v[74:75], v[174:175]
	v_fmac_f64_e32 v[80:81], v[76:77], v[178:179]
	v_add_f64 v[118:119], v[78:79], v[80:81]
	ds_read_b128 v[78:81], v1 offset:1472
	ds_read_b128 v[82:85], v1 offset:1488
	;; [unrolled: 1-line block ×3, first 2 shown]
	v_fma_f64 v[216:217], v[242:243], v[100:101], -v[98:99]
	ds_read_b128 v[98:101], v1 offset:1552
	s_waitcnt vmcnt(30) lgkmcnt(3)
	v_mul_f64 v[90:91], v[78:79], v[204:205]
	s_waitcnt vmcnt(28)
	v_fmac_f64_e32 v[90:91], v[80:81], v[206:207]
	s_waitcnt lgkmcnt(2)
	v_mul_f64 v[92:93], v[82:83], v[182:183]
	v_add_f64 v[90:91], v[118:119], v[90:91]
	v_fmac_f64_e32 v[92:93], v[84:85], v[186:187]
	v_add_f64 v[90:91], v[90:91], v[92:93]
	v_fma_f64 v[118:119], v[114:115], v[96:97], -v[94:95]
	ds_read_b128 v[94:97], v1 offset:1536
	s_waitcnt vmcnt(22) lgkmcnt(2)
	v_mul_f64 v[92:93], v[86:87], v[208:209]
	s_waitcnt vmcnt(20)
	v_fmac_f64_e32 v[92:93], v[88:89], v[210:211]
	v_add_f64 v[106:107], v[90:91], v[92:93]
	ds_read_b128 v[90:93], v1 offset:1520
	buffer_load_dword v240, off, s[0:3], 0 offset:824
	v_fma_f64 v[218:219], v[246:247], v[104:105], -v[102:103]
	ds_read_b128 v[102:105], v1 offset:1568
	v_fma_f64 v[250:251], v[250:251], v[112:113], -v[110:111]
	s_waitcnt lgkmcnt(1)
	v_mul_f64 v[108:109], v[90:91], v[190:191]
	v_fmac_f64_e32 v[108:109], v[92:93], v[194:195]
	v_add_f64 v[106:107], v[106:107], v[108:109]
	ds_read_b128 v[110:113], v1 offset:1600
	v_add_f64 v[212:213], v[212:213], 0
	v_add_f64 v[212:213], v[212:213], v[214:215]
	;; [unrolled: 1-line block ×5, first 2 shown]
	v_mul_f64 v[12:13], v[12:13], v[120:121]
	v_add_f64 v[118:119], v[252:253], v[250:251]
	v_fma_f64 v[10:11], v[10:11], v[122:123], -v[12:13]
	v_mul_f64 v[8:9], v[8:9], v[124:125]
	v_add_f64 v[10:11], v[118:119], v[10:11]
	v_fma_f64 v[6:7], v[6:7], v[128:129], -v[8:9]
	;; [unrolled: 3-line block ×3, first 2 shown]
	v_mul_f64 v[4:5], v[16:17], v[136:137]
	v_add_f64 v[2:3], v[6:7], v[2:3]
	s_waitcnt vmcnt(19)
	v_mul_f64 v[108:109], v[94:95], v[220:221]
	v_fma_f64 v[4:5], v[14:15], v[138:139], -v[4:5]
	s_waitcnt vmcnt(17)
	v_fmac_f64_e32 v[108:109], v[96:97], v[222:223]
	v_add_f64 v[106:107], v[106:107], v[108:109]
	s_waitcnt vmcnt(15)
	v_mul_f64 v[108:109], v[98:99], v[226:227]
	s_waitcnt vmcnt(13)
	v_fmac_f64_e32 v[108:109], v[100:101], v[228:229]
	v_add_f64 v[114:115], v[106:107], v[108:109]
	ds_read_b128 v[106:109], v1 offset:1584
	buffer_load_dword v244, off, s[0:3], 0 offset:816
	buffer_load_dword v241, off, s[0:3], 0 offset:828
	;; [unrolled: 1-line block ×3, first 2 shown]
	s_waitcnt vmcnt(13) lgkmcnt(2)
	v_mul_f64 v[116:117], v[102:103], v[230:231]
	s_waitcnt vmcnt(11)
	v_fmac_f64_e32 v[116:117], v[104:105], v[236:237]
	v_add_f64 v[114:115], v[114:115], v[116:117]
	s_waitcnt vmcnt(10) lgkmcnt(0)
	v_mul_f64 v[116:117], v[106:107], v[224:225]
	s_waitcnt vmcnt(8)
	v_fmac_f64_e32 v[116:117], v[108:109], v[234:235]
	v_add_f64 v[114:115], v[114:115], v[116:117]
	s_waitcnt vmcnt(6)
	v_mul_f64 v[116:117], v[110:111], v[232:233]
	s_waitcnt vmcnt(4)
	v_fmac_f64_e32 v[116:117], v[112:113], v[238:239]
	v_add_f64 v[242:243], v[114:115], v[116:117]
	ds_read_b128 v[114:117], v1 offset:1616
	buffer_load_dword v248, off, s[0:3], 0 offset:256
	buffer_load_dword v249, off, s[0:3], 0 offset:260
	v_add_f64 v[2:3], v[2:3], v[4:5]
	v_mul_f64 v[4:5], v[20:21], v[132:133]
	v_fma_f64 v[4:5], v[18:19], v[134:135], -v[4:5]
	v_add_f64 v[2:3], v[2:3], v[4:5]
	v_mul_f64 v[4:5], v[24:25], v[146:147]
	v_fma_f64 v[4:5], v[22:23], v[148:149], -v[4:5]
	;; [unrolled: 3-line block ×22, first 2 shown]
	v_add_f64 v[2:3], v[2:3], v[4:5]
	s_waitcnt vmcnt(3) lgkmcnt(0)
	v_mul_f64 v[246:247], v[114:115], v[240:241]
	s_waitcnt vmcnt(2)
	v_fmac_f64_e32 v[246:247], v[116:117], v[244:245]
	v_add_f64 v[242:243], v[242:243], v[246:247]
	buffer_load_dword v246, off, s[0:3], 0 offset:264
	buffer_load_dword v247, off, s[0:3], 0 offset:268
	v_mul_f64 v[4:5], v[108:109], v[224:225]
	v_fma_f64 v[4:5], v[106:107], v[234:235], -v[4:5]
	v_add_f64 v[2:3], v[2:3], v[4:5]
	v_mul_f64 v[4:5], v[112:113], v[232:233]
	v_fma_f64 v[4:5], v[110:111], v[238:239], -v[4:5]
	v_add_f64 v[2:3], v[2:3], v[4:5]
	;; [unrolled: 3-line block ×3, first 2 shown]
	s_waitcnt vmcnt(2)
	v_add_f64 v[2:3], v[248:249], -v[2:3]
	s_waitcnt vmcnt(0)
	v_add_f64 v[4:5], v[246:247], -v[242:243]
	buffer_store_dword v3, off, s[0:3], 0 offset:260
	buffer_store_dword v2, off, s[0:3], 0 offset:256
	;; [unrolled: 1-line block ×4, first 2 shown]
	s_and_saveexec_b64 s[4:5], vcc
	s_cbranch_execz .LBB114_291
; %bb.290:
	v_accvgpr_read_b32 v0, a138
	buffer_load_dword v2, v0, s[0:3], 0 offen
	buffer_load_dword v3, v0, s[0:3], 0 offen offset:4
	buffer_load_dword v4, v0, s[0:3], 0 offen offset:8
	;; [unrolled: 1-line block ×3, first 2 shown]
	v_accvgpr_read_b32 v0, a153
	buffer_store_dword v1, off, s[0:3], 0 offset:240
	buffer_store_dword v1, off, s[0:3], 0 offset:244
	;; [unrolled: 1-line block ×4, first 2 shown]
	s_waitcnt vmcnt(4)
	ds_write_b128 v0, v[2:5]
.LBB114_291:
	s_or_b64 exec, exec, s[4:5]
	s_waitcnt lgkmcnt(0)
	; wave barrier
	s_waitcnt lgkmcnt(0)
	buffer_load_dword v84, off, s[0:3], 0 offset:256
	buffer_load_dword v85, off, s[0:3], 0 offset:260
	;; [unrolled: 1-line block ×34, first 2 shown]
	ds_read_b128 v[74:77], v1 offset:1056
	ds_read_b128 v[78:81], v1 offset:1072
	;; [unrolled: 1-line block ×8, first 2 shown]
	buffer_load_dword v127, off, s[0:3], 0 offset:372
	buffer_load_dword v126, off, s[0:3], 0 offset:368
	ds_read_b128 v[6:9], v1 offset:1184
	buffer_load_dword v129, off, s[0:3], 0 offset:428
	buffer_load_dword v128, off, s[0:3], 0 offset:424
	;; [unrolled: 1-line block ×80, first 2 shown]
	s_waitcnt vmcnt(62) lgkmcnt(8)
	v_mul_f64 v[10:11], v[74:75], v[106:107]
	v_fmac_f64_e32 v[10:11], v[76:77], v[84:85]
	v_add_f64 v[10:11], v[10:11], 0
	v_mul_f64 v[76:77], v[76:77], v[106:107]
	s_waitcnt lgkmcnt(7)
	v_mul_f64 v[12:13], v[78:79], v[96:97]
	v_fmac_f64_e32 v[12:13], v[80:81], v[82:83]
	s_waitcnt lgkmcnt(6)
	v_mul_f64 v[14:15], v[86:87], v[94:95]
	v_add_f64 v[10:11], v[10:11], v[12:13]
	s_waitcnt lgkmcnt(4)
	v_mul_f64 v[18:19], v[98:99], v[108:109]
	v_fma_f64 v[212:213], v[74:75], v[84:85], -v[76:77]
	v_fmac_f64_e32 v[18:19], v[100:101], v[114:115]
	v_mul_f64 v[80:81], v[80:81], v[96:97]
	v_mul_f64 v[16:17], v[90:91], v[116:117]
	v_fma_f64 v[214:215], v[78:79], v[82:83], -v[80:81]
	s_waitcnt lgkmcnt(2)
	v_mul_f64 v[22:23], v[110:111], v[240:241]
	v_mul_f64 v[100:101], v[100:101], v[108:109]
	v_fma_f64 v[218:219], v[98:99], v[114:115], -v[100:101]
	v_mul_f64 v[20:21], v[102:103], v[244:245]
	v_add_f64 v[212:213], v[212:213], 0
	s_waitcnt lgkmcnt(1)
	v_mul_f64 v[24:25], v[2:3], v[120:121]
	v_add_f64 v[212:213], v[212:213], v[214:215]
	v_fmac_f64_e32 v[14:15], v[88:89], v[250:251]
	v_add_f64 v[10:11], v[10:11], v[14:15]
	v_fmac_f64_e32 v[16:17], v[92:93], v[248:249]
	;; [unrolled: 2-line block ×4, first 2 shown]
	v_add_f64 v[10:11], v[10:11], v[20:21]
	v_add_f64 v[10:11], v[10:11], v[22:23]
	s_waitcnt lgkmcnt(0)
	v_mul_f64 v[16:17], v[6:7], v[122:123]
	v_fmac_f64_e32 v[16:17], v[8:9], v[124:125]
	v_fmac_f64_e32 v[24:25], v[4:5], v[126:127]
	v_add_f64 v[14:15], v[10:11], v[24:25]
	ds_read_b128 v[10:13], v1 offset:1200
	v_add_f64 v[18:19], v[14:15], v[16:17]
	ds_read_b128 v[14:17], v1 offset:1216
	v_mul_f64 v[88:89], v[88:89], v[94:95]
	v_mul_f64 v[92:93], v[92:93], v[116:117]
	s_waitcnt lgkmcnt(1)
	v_mul_f64 v[20:21], v[10:11], v[132:133]
	v_fmac_f64_e32 v[20:21], v[12:13], v[134:135]
	s_waitcnt lgkmcnt(0)
	v_mul_f64 v[24:25], v[14:15], v[128:129]
	v_add_f64 v[22:23], v[18:19], v[20:21]
	ds_read_b128 v[18:21], v1 offset:1232
	v_fmac_f64_e32 v[24:25], v[16:17], v[130:131]
	v_add_f64 v[26:27], v[22:23], v[24:25]
	ds_read_b128 v[22:25], v1 offset:1248
	v_fma_f64 v[216:217], v[90:91], v[248:249], -v[92:93]
	s_waitcnt lgkmcnt(1)
	v_mul_f64 v[28:29], v[18:19], v[144:145]
	v_fmac_f64_e32 v[28:29], v[20:21], v[146:147]
	v_add_f64 v[30:31], v[26:27], v[28:29]
	s_waitcnt lgkmcnt(0)
	v_mul_f64 v[32:33], v[22:23], v[136:137]
	ds_read_b128 v[26:29], v1 offset:1264
	v_fmac_f64_e32 v[32:33], v[24:25], v[138:139]
	v_add_f64 v[34:35], v[30:31], v[32:33]
	ds_read_b128 v[30:33], v1 offset:1280
	v_mul_f64 v[104:105], v[104:105], v[244:245]
	s_waitcnt vmcnt(58) lgkmcnt(1)
	v_mul_f64 v[36:37], v[26:27], v[160:161]
	s_waitcnt vmcnt(56)
	v_fmac_f64_e32 v[36:37], v[28:29], v[164:165]
	v_add_f64 v[38:39], v[34:35], v[36:37]
	s_waitcnt lgkmcnt(0)
	v_mul_f64 v[40:41], v[30:31], v[140:141]
	ds_read_b128 v[34:37], v1 offset:1296
	v_fmac_f64_e32 v[40:41], v[32:33], v[142:143]
	v_add_f64 v[42:43], v[38:39], v[40:41]
	ds_read_b128 v[38:41], v1 offset:1312
	v_mul_f64 v[112:113], v[112:113], v[240:241]
	s_waitcnt vmcnt(50) lgkmcnt(1)
	v_mul_f64 v[44:45], v[34:35], v[168:169]
	s_waitcnt vmcnt(48)
	v_fmac_f64_e32 v[44:45], v[36:37], v[172:173]
	v_add_f64 v[46:47], v[42:43], v[44:45]
	s_waitcnt lgkmcnt(0)
	v_mul_f64 v[48:49], v[38:39], v[148:149]
	v_fmac_f64_e32 v[48:49], v[40:41], v[150:151]
	ds_read_b128 v[42:45], v1 offset:1328
	v_add_f64 v[50:51], v[46:47], v[48:49]
	ds_read_b128 v[46:49], v1 offset:1344
	buffer_load_dword v209, off, s[0:3], 0 offset:748
	buffer_load_dword v211, off, s[0:3], 0 offset:732
	;; [unrolled: 1-line block ×12, first 2 shown]
	v_fma_f64 v[252:253], v[110:111], v[242:243], -v[112:113]
	s_waitcnt vmcnt(54) lgkmcnt(1)
	v_mul_f64 v[52:53], v[42:43], v[176:177]
	s_waitcnt vmcnt(52)
	v_fmac_f64_e32 v[52:53], v[44:45], v[180:181]
	v_add_f64 v[54:55], v[50:51], v[52:53]
	ds_read_b128 v[50:53], v1 offset:1360
	s_waitcnt lgkmcnt(1)
	v_mul_f64 v[56:57], v[46:47], v[152:153]
	v_fmac_f64_e32 v[56:57], v[48:49], v[154:155]
	buffer_load_dword v231, off, s[0:3], 0 offset:780
	buffer_load_dword v230, off, s[0:3], 0 offset:776
	;; [unrolled: 1-line block ×12, first 2 shown]
	v_add_f64 v[58:59], v[54:55], v[56:57]
	ds_read_b128 v[54:57], v1 offset:1376
	s_waitcnt vmcnt(58) lgkmcnt(1)
	v_mul_f64 v[60:61], v[50:51], v[184:185]
	s_waitcnt vmcnt(56)
	v_fmac_f64_e32 v[60:61], v[52:53], v[188:189]
	v_add_f64 v[62:63], v[58:59], v[60:61]
	ds_read_b128 v[58:61], v1 offset:1392
	s_waitcnt lgkmcnt(1)
	v_mul_f64 v[64:65], v[54:55], v[156:157]
	v_fmac_f64_e32 v[64:65], v[56:57], v[158:159]
	v_add_f64 v[70:71], v[62:63], v[64:65]
	ds_read_b128 v[62:65], v1 offset:1408
	ds_read_b128 v[66:69], v1 offset:1424
	s_waitcnt vmcnt(50) lgkmcnt(2)
	v_mul_f64 v[72:73], v[58:59], v[192:193]
	s_waitcnt vmcnt(48)
	v_fmac_f64_e32 v[72:73], v[60:61], v[194:195]
	v_add_f64 v[70:71], v[70:71], v[72:73]
	s_waitcnt lgkmcnt(1)
	v_mul_f64 v[72:73], v[62:63], v[162:163]
	v_fmac_f64_e32 v[72:73], v[64:65], v[166:167]
	v_add_f64 v[70:71], v[70:71], v[72:73]
	s_waitcnt vmcnt(42) lgkmcnt(0)
	v_mul_f64 v[72:73], v[66:67], v[196:197]
	s_waitcnt vmcnt(40)
	v_fmac_f64_e32 v[72:73], v[68:69], v[198:199]
	v_add_f64 v[118:119], v[70:71], v[72:73]
	ds_read_b128 v[70:73], v1 offset:1440
	ds_read_b128 v[74:77], v1 offset:1456
	;; [unrolled: 1-line block ×5, first 2 shown]
	s_waitcnt lgkmcnt(4)
	v_mul_f64 v[84:85], v[70:71], v[170:171]
	v_fmac_f64_e32 v[84:85], v[72:73], v[174:175]
	v_add_f64 v[82:83], v[118:119], v[84:85]
	s_waitcnt vmcnt(34) lgkmcnt(3)
	v_mul_f64 v[84:85], v[74:75], v[200:201]
	s_waitcnt vmcnt(32)
	v_fmac_f64_e32 v[84:85], v[76:77], v[202:203]
	v_add_f64 v[82:83], v[82:83], v[84:85]
	v_fma_f64 v[118:119], v[86:87], v[250:251], -v[88:89]
	ds_read_b128 v[86:89], v1 offset:1504
	s_waitcnt lgkmcnt(3)
	v_mul_f64 v[84:85], v[78:79], v[178:179]
	v_fmac_f64_e32 v[84:85], v[80:81], v[182:183]
	v_add_f64 v[96:97], v[82:83], v[84:85]
	ds_read_b128 v[82:85], v1 offset:1488
	v_fma_f64 v[250:251], v[102:103], v[246:247], -v[104:105]
	ds_read_b128 v[110:113], v1 offset:1600
	v_add_f64 v[118:119], v[212:213], v[118:119]
	v_add_f64 v[118:119], v[118:119], v[216:217]
	s_waitcnt vmcnt(26) lgkmcnt(1)
	v_mul_f64 v[94:95], v[82:83], v[204:205]
	s_waitcnt vmcnt(24)
	v_fmac_f64_e32 v[94:95], v[84:85], v[206:207]
	v_add_f64 v[94:95], v[96:97], v[94:95]
	v_mul_f64 v[96:97], v[86:87], v[186:187]
	v_fmac_f64_e32 v[96:97], v[88:89], v[190:191]
	v_add_f64 v[106:107], v[94:95], v[96:97]
	ds_read_b128 v[94:97], v1 offset:1536
	v_add_f64 v[254:255], v[118:119], v[218:219]
	v_add_f64 v[118:119], v[254:255], v[250:251]
	v_mul_f64 v[4:5], v[4:5], v[120:121]
	v_add_f64 v[118:119], v[118:119], v[252:253]
	ds_read_b128 v[102:105], v1 offset:1584
	v_fma_f64 v[2:3], v[2:3], v[126:127], -v[4:5]
	v_mul_f64 v[4:5], v[8:9], v[122:123]
	v_add_f64 v[2:3], v[118:119], v[2:3]
	v_fma_f64 v[4:5], v[6:7], v[124:125], -v[4:5]
	v_add_f64 v[2:3], v[2:3], v[4:5]
	v_mul_f64 v[4:5], v[12:13], v[132:133]
	v_fma_f64 v[4:5], v[10:11], v[134:135], -v[4:5]
	v_add_f64 v[2:3], v[2:3], v[4:5]
	v_mul_f64 v[4:5], v[16:17], v[128:129]
	s_waitcnt vmcnt(21)
	v_mul_f64 v[108:109], v[90:91], v[210:211]
	v_fma_f64 v[4:5], v[14:15], v[130:131], -v[4:5]
	s_waitcnt vmcnt(19)
	v_fmac_f64_e32 v[108:109], v[92:93], v[224:225]
	v_add_f64 v[106:107], v[106:107], v[108:109]
	s_waitcnt vmcnt(18) lgkmcnt(1)
	v_mul_f64 v[108:109], v[94:95], v[208:209]
	s_waitcnt vmcnt(16)
	v_fmac_f64_e32 v[108:109], v[96:97], v[222:223]
	v_add_f64 v[114:115], v[106:107], v[108:109]
	ds_read_b128 v[106:109], v1 offset:1568
	buffer_load_dword v243, off, s[0:3], 0 offset:828
	buffer_load_dword v242, off, s[0:3], 0 offset:824
	;; [unrolled: 1-line block ×4, first 2 shown]
	s_waitcnt vmcnt(18)
	v_mul_f64 v[116:117], v[98:99], v[220:221]
	s_waitcnt vmcnt(16)
	v_fmac_f64_e32 v[116:117], v[100:101], v[226:227]
	v_add_f64 v[114:115], v[114:115], v[116:117]
	s_waitcnt vmcnt(14) lgkmcnt(0)
	v_mul_f64 v[116:117], v[106:107], v[230:231]
	s_waitcnt vmcnt(12)
	v_fmac_f64_e32 v[116:117], v[108:109], v[232:233]
	v_add_f64 v[114:115], v[114:115], v[116:117]
	s_waitcnt vmcnt(9)
	v_mul_f64 v[116:117], v[102:103], v[236:237]
	s_waitcnt vmcnt(7)
	v_fmac_f64_e32 v[116:117], v[104:105], v[238:239]
	v_add_f64 v[114:115], v[114:115], v[116:117]
	s_waitcnt vmcnt(5)
	v_mul_f64 v[116:117], v[110:111], v[228:229]
	s_waitcnt vmcnt(4)
	v_fmac_f64_e32 v[116:117], v[112:113], v[234:235]
	v_add_f64 v[240:241], v[114:115], v[116:117]
	ds_read_b128 v[114:117], v1 offset:1616
	v_add_f64 v[2:3], v[2:3], v[4:5]
	v_mul_f64 v[4:5], v[20:21], v[144:145]
	v_fma_f64 v[4:5], v[18:19], v[146:147], -v[4:5]
	v_add_f64 v[2:3], v[2:3], v[4:5]
	v_mul_f64 v[4:5], v[24:25], v[136:137]
	v_fma_f64 v[4:5], v[22:23], v[138:139], -v[4:5]
	;; [unrolled: 3-line block ×21, first 2 shown]
	v_add_f64 v[2:3], v[2:3], v[4:5]
	s_waitcnt vmcnt(2) lgkmcnt(0)
	v_mul_f64 v[246:247], v[114:115], v[242:243]
	v_mul_f64 v[4:5], v[108:109], v[230:231]
	s_waitcnt vmcnt(0)
	v_fmac_f64_e32 v[246:247], v[116:117], v[244:245]
	v_add_f64 v[240:241], v[240:241], v[246:247]
	buffer_load_dword v248, off, s[0:3], 0 offset:240
	buffer_load_dword v249, off, s[0:3], 0 offset:244
	;; [unrolled: 1-line block ×4, first 2 shown]
	v_fma_f64 v[4:5], v[106:107], v[232:233], -v[4:5]
	v_add_f64 v[2:3], v[2:3], v[4:5]
	v_mul_f64 v[4:5], v[104:105], v[236:237]
	v_fma_f64 v[4:5], v[102:103], v[238:239], -v[4:5]
	v_add_f64 v[2:3], v[2:3], v[4:5]
	v_mul_f64 v[4:5], v[112:113], v[228:229]
	;; [unrolled: 3-line block ×3, first 2 shown]
	v_fma_f64 v[4:5], v[114:115], v[244:245], -v[4:5]
	v_add_f64 v[2:3], v[2:3], v[4:5]
	v_accvgpr_read_b32 v254, a152
	v_cmp_lt_u32_e32 vcc, 13, v254
	s_waitcnt vmcnt(2)
	v_add_f64 v[2:3], v[248:249], -v[2:3]
	s_waitcnt vmcnt(0)
	v_add_f64 v[4:5], v[246:247], -v[240:241]
	buffer_store_dword v3, off, s[0:3], 0 offset:244
	buffer_store_dword v2, off, s[0:3], 0 offset:240
	;; [unrolled: 1-line block ×4, first 2 shown]
	s_and_saveexec_b64 s[4:5], vcc
	s_cbranch_execz .LBB114_293
; %bb.292:
	v_accvgpr_read_b32 v0, a139
	buffer_load_dword v2, v0, s[0:3], 0 offen
	buffer_load_dword v3, v0, s[0:3], 0 offen offset:4
	buffer_load_dword v4, v0, s[0:3], 0 offen offset:8
	;; [unrolled: 1-line block ×3, first 2 shown]
	v_mov_b32_e32 v0, 0
	v_accvgpr_read_b32 v1, a153
	buffer_store_dword v0, off, s[0:3], 0 offset:224
	buffer_store_dword v0, off, s[0:3], 0 offset:228
	;; [unrolled: 1-line block ×4, first 2 shown]
	s_waitcnt vmcnt(4)
	ds_write_b128 v1, v[2:5]
.LBB114_293:
	s_or_b64 exec, exec, s[4:5]
	s_waitcnt lgkmcnt(0)
	; wave barrier
	s_waitcnt lgkmcnt(0)
	buffer_load_dword v66, off, s[0:3], 0 offset:240
	buffer_load_dword v67, off, s[0:3], 0 offset:244
	;; [unrolled: 1-line block ×55, first 2 shown]
	v_mov_b32_e32 v1, 0
	ds_read_b128 v[74:77], v1 offset:1040
	ds_read_b128 v[86:89], v1 offset:1056
	;; [unrolled: 1-line block ×9, first 2 shown]
	buffer_load_dword v138, off, s[0:3], 0 offset:464
	buffer_load_dword v157, off, s[0:3], 0 offset:460
	;; [unrolled: 1-line block ×61, first 2 shown]
	v_cmp_lt_u32_e32 vcc, 12, v254
	s_waitcnt vmcnt(62) lgkmcnt(8)
	v_mul_f64 v[6:7], v[74:75], v[68:69]
	v_fmac_f64_e32 v[6:7], v[76:77], v[66:67]
	v_add_f64 v[6:7], v[6:7], 0
	v_mul_f64 v[68:69], v[76:77], v[68:69]
	s_waitcnt lgkmcnt(7)
	v_mul_f64 v[8:9], v[86:87], v[72:73]
	v_fmac_f64_e32 v[8:9], v[88:89], v[70:71]
	s_waitcnt lgkmcnt(6)
	v_mul_f64 v[10:11], v[98:99], v[78:79]
	v_add_f64 v[6:7], v[6:7], v[8:9]
	s_waitcnt lgkmcnt(4)
	v_mul_f64 v[14:15], v[114:115], v[90:91]
	v_fma_f64 v[212:213], v[74:75], v[66:67], -v[68:69]
	v_fmac_f64_e32 v[14:15], v[116:117], v[92:93]
	v_mul_f64 v[72:73], v[88:89], v[72:73]
	v_mul_f64 v[12:13], v[110:111], v[82:83]
	v_mul_f64 v[78:79], v[100:101], v[78:79]
	s_waitcnt lgkmcnt(2)
	v_mul_f64 v[18:19], v[244:245], v[102:103]
	v_mul_f64 v[82:83], v[112:113], v[82:83]
	;; [unrolled: 1-line block ×4, first 2 shown]
	v_fma_f64 v[218:219], v[114:115], v[92:93], -v[90:91]
	s_waitcnt lgkmcnt(1)
	v_mul_f64 v[20:21], v[248:249], v[106:107]
	v_fmac_f64_e32 v[20:21], v[250:251], v[108:109]
	v_fmac_f64_e32 v[10:11], v[100:101], v[80:81]
	v_add_f64 v[6:7], v[6:7], v[10:11]
	v_fmac_f64_e32 v[12:13], v[112:113], v[84:85]
	v_add_f64 v[6:7], v[6:7], v[12:13]
	;; [unrolled: 2-line block ×4, first 2 shown]
	v_add_f64 v[6:7], v[6:7], v[18:19]
	v_add_f64 v[10:11], v[6:7], v[20:21]
	ds_read_b128 v[6:9], v1 offset:1184
	s_waitcnt lgkmcnt(1)
	v_mul_f64 v[12:13], v[2:3], v[120:121]
	v_fmac_f64_e32 v[12:13], v[4:5], v[122:123]
	v_add_f64 v[14:15], v[10:11], v[12:13]
	ds_read_b128 v[10:13], v1 offset:1200
	s_waitcnt lgkmcnt(1)
	v_mul_f64 v[16:17], v[6:7], v[128:129]
	v_fmac_f64_e32 v[16:17], v[8:9], v[130:131]
	v_add_f64 v[18:19], v[14:15], v[16:17]
	ds_read_b128 v[14:17], v1 offset:1216
	s_waitcnt lgkmcnt(1)
	v_mul_f64 v[20:21], v[10:11], v[124:125]
	v_fmac_f64_e32 v[20:21], v[12:13], v[126:127]
	v_add_f64 v[22:23], v[18:19], v[20:21]
	ds_read_b128 v[18:21], v1 offset:1232
	s_waitcnt lgkmcnt(1)
	v_mul_f64 v[24:25], v[14:15], v[140:141]
	v_fmac_f64_e32 v[24:25], v[16:17], v[142:143]
	v_add_f64 v[26:27], v[22:23], v[24:25]
	ds_read_b128 v[22:25], v1 offset:1248
	s_waitcnt lgkmcnt(1)
	v_mul_f64 v[28:29], v[18:19], v[132:133]
	v_fmac_f64_e32 v[28:29], v[20:21], v[134:135]
	v_add_f64 v[30:31], v[26:27], v[28:29]
	ds_read_b128 v[26:29], v1 offset:1264
	s_waitcnt vmcnt(58) lgkmcnt(1)
	v_mul_f64 v[32:33], v[22:23], v[156:157]
	s_waitcnt vmcnt(56)
	v_fmac_f64_e32 v[32:33], v[24:25], v[160:161]
	v_add_f64 v[34:35], v[30:31], v[32:33]
	ds_read_b128 v[30:33], v1 offset:1280
	s_waitcnt lgkmcnt(1)
	v_mul_f64 v[36:37], v[26:27], v[136:137]
	v_fmac_f64_e32 v[36:37], v[28:29], v[138:139]
	v_add_f64 v[38:39], v[34:35], v[36:37]
	ds_read_b128 v[34:37], v1 offset:1296
	s_waitcnt vmcnt(50) lgkmcnt(1)
	v_mul_f64 v[40:41], v[30:31], v[164:165]
	s_waitcnt vmcnt(48)
	v_fmac_f64_e32 v[40:41], v[32:33], v[168:169]
	v_add_f64 v[42:43], v[38:39], v[40:41]
	ds_read_b128 v[38:41], v1 offset:1312
	s_waitcnt lgkmcnt(1)
	v_mul_f64 v[44:45], v[34:35], v[144:145]
	v_fmac_f64_e32 v[44:45], v[36:37], v[146:147]
	v_add_f64 v[46:47], v[42:43], v[44:45]
	ds_read_b128 v[42:45], v1 offset:1328
	s_waitcnt vmcnt(42) lgkmcnt(1)
	v_mul_f64 v[48:49], v[38:39], v[172:173]
	s_waitcnt vmcnt(40)
	v_fmac_f64_e32 v[48:49], v[40:41], v[176:177]
	v_add_f64 v[50:51], v[46:47], v[48:49]
	ds_read_b128 v[46:49], v1 offset:1344
	buffer_load_dword v205, off, s[0:3], 0 offset:716
	buffer_load_dword v204, off, s[0:3], 0 offset:712
	;; [unrolled: 1-line block ×4, first 2 shown]
	s_waitcnt lgkmcnt(1)
	v_mul_f64 v[52:53], v[42:43], v[148:149]
	v_fmac_f64_e32 v[52:53], v[44:45], v[150:151]
	v_add_f64 v[54:55], v[50:51], v[52:53]
	ds_read_b128 v[50:53], v1 offset:1360
	buffer_load_dword v209, off, s[0:3], 0 offset:732
	buffer_load_dword v208, off, s[0:3], 0 offset:728
	;; [unrolled: 1-line block ×8, first 2 shown]
	s_waitcnt vmcnt(46) lgkmcnt(1)
	v_mul_f64 v[56:57], v[46:47], v[180:181]
	s_waitcnt vmcnt(44)
	v_fmac_f64_e32 v[56:57], v[48:49], v[184:185]
	v_add_f64 v[58:59], v[54:55], v[56:57]
	ds_read_b128 v[54:57], v1 offset:1376
	buffer_load_dword v227, off, s[0:3], 0 offset:764
	buffer_load_dword v226, off, s[0:3], 0 offset:760
	;; [unrolled: 1-line block ×12, first 2 shown]
	s_waitcnt lgkmcnt(1)
	v_mul_f64 v[60:61], v[50:51], v[152:153]
	v_fmac_f64_e32 v[60:61], v[52:53], v[154:155]
	v_add_f64 v[62:63], v[58:59], v[60:61]
	ds_read_b128 v[58:61], v1 offset:1392
	s_waitcnt vmcnt(50) lgkmcnt(1)
	v_mul_f64 v[64:65], v[54:55], v[188:189]
	s_waitcnt vmcnt(48)
	v_fmac_f64_e32 v[64:65], v[56:57], v[190:191]
	v_add_f64 v[62:63], v[62:63], v[64:65]
	buffer_load_dword v237, off, s[0:3], 0 offset:812
	buffer_load_dword v236, off, s[0:3], 0 offset:808
	;; [unrolled: 1-line block ×4, first 2 shown]
	s_waitcnt lgkmcnt(0)
	v_mul_f64 v[64:65], v[58:59], v[158:159]
	v_fmac_f64_e32 v[64:65], v[60:61], v[162:163]
	v_add_f64 v[118:119], v[62:63], v[64:65]
	ds_read_b128 v[62:65], v1 offset:1408
	ds_read_b128 v[66:69], v1 offset:1424
	v_fma_f64 v[214:215], v[98:99], v[80:81], -v[78:79]
	ds_read_b128 v[78:81], v1 offset:1472
	v_fma_f64 v[216:217], v[110:111], v[84:85], -v[82:83]
	ds_read_b128 v[82:85], v1 offset:1488
	s_waitcnt vmcnt(46) lgkmcnt(3)
	v_mul_f64 v[74:75], v[62:63], v[192:193]
	s_waitcnt vmcnt(44)
	v_fmac_f64_e32 v[74:75], v[64:65], v[194:195]
	v_add_f64 v[74:75], v[118:119], v[74:75]
	v_fma_f64 v[118:119], v[86:87], v[70:71], -v[72:73]
	ds_read_b128 v[70:73], v1 offset:1440
	s_waitcnt lgkmcnt(3)
	v_mul_f64 v[76:77], v[66:67], v[166:167]
	v_fmac_f64_e32 v[76:77], v[68:69], v[170:171]
	v_add_f64 v[86:87], v[74:75], v[76:77]
	ds_read_b128 v[74:77], v1 offset:1456
	s_waitcnt vmcnt(38) lgkmcnt(1)
	v_mul_f64 v[88:89], v[70:71], v[196:197]
	s_waitcnt vmcnt(36)
	v_fmac_f64_e32 v[88:89], v[72:73], v[198:199]
	v_add_f64 v[86:87], v[86:87], v[88:89]
	ds_read_b128 v[90:93], v1 offset:1520
	s_waitcnt lgkmcnt(1)
	v_mul_f64 v[88:89], v[74:75], v[174:175]
	v_fmac_f64_e32 v[88:89], v[76:77], v[178:179]
	v_add_f64 v[86:87], v[86:87], v[88:89]
	s_waitcnt vmcnt(30)
	v_mul_f64 v[88:89], v[78:79], v[200:201]
	s_waitcnt vmcnt(28)
	v_fmac_f64_e32 v[88:89], v[80:81], v[202:203]
	v_add_f64 v[86:87], v[86:87], v[88:89]
	v_mul_f64 v[88:89], v[82:83], v[182:183]
	v_fmac_f64_e32 v[88:89], v[84:85], v[186:187]
	v_add_f64 v[98:99], v[86:87], v[88:89]
	ds_read_b128 v[86:89], v1 offset:1504
	v_mul_f64 v[94:95], v[242:243], v[94:95]
	v_fma_f64 v[252:253], v[240:241], v[96:97], -v[94:95]
	ds_read_b128 v[94:97], v1 offset:1536
	v_mul_f64 v[102:103], v[246:247], v[102:103]
	v_fma_f64 v[246:247], v[244:245], v[104:105], -v[102:103]
	;; [unrolled: 3-line block ×3, first 2 shown]
	v_add_f64 v[212:213], v[212:213], 0
	v_add_f64 v[118:119], v[212:213], v[118:119]
	;; [unrolled: 1-line block ×7, first 2 shown]
	v_mul_f64 v[4:5], v[4:5], v[120:121]
	v_add_f64 v[118:119], v[252:253], v[250:251]
	v_fma_f64 v[2:3], v[2:3], v[122:123], -v[4:5]
	v_mul_f64 v[4:5], v[8:9], v[128:129]
	v_add_f64 v[2:3], v[118:119], v[2:3]
	v_fma_f64 v[4:5], v[6:7], v[130:131], -v[4:5]
	v_add_f64 v[2:3], v[2:3], v[4:5]
	ds_read_b128 v[106:109], v1 offset:1584
	v_mul_f64 v[4:5], v[12:13], v[124:125]
	v_fma_f64 v[4:5], v[10:11], v[126:127], -v[4:5]
	v_add_f64 v[2:3], v[2:3], v[4:5]
	s_waitcnt vmcnt(26) lgkmcnt(3)
	v_mul_f64 v[100:101], v[86:87], v[204:205]
	v_mul_f64 v[4:5], v[16:17], v[140:141]
	s_waitcnt vmcnt(24)
	v_fmac_f64_e32 v[100:101], v[88:89], v[206:207]
	v_add_f64 v[98:99], v[98:99], v[100:101]
	s_waitcnt vmcnt(22)
	v_mul_f64 v[100:101], v[90:91], v[208:209]
	s_waitcnt vmcnt(20)
	v_fmac_f64_e32 v[100:101], v[92:93], v[220:221]
	v_add_f64 v[98:99], v[98:99], v[100:101]
	s_waitcnt vmcnt(18) lgkmcnt(2)
	v_mul_f64 v[100:101], v[94:95], v[210:211]
	s_waitcnt vmcnt(16)
	v_fmac_f64_e32 v[100:101], v[96:97], v[222:223]
	v_add_f64 v[110:111], v[98:99], v[100:101]
	ds_read_b128 v[98:101], v1 offset:1552
	v_fma_f64 v[4:5], v[14:15], v[142:143], -v[4:5]
	v_add_f64 v[2:3], v[2:3], v[4:5]
	v_mul_f64 v[4:5], v[20:21], v[132:133]
	v_fma_f64 v[4:5], v[18:19], v[134:135], -v[4:5]
	s_waitcnt vmcnt(14) lgkmcnt(0)
	v_mul_f64 v[112:113], v[98:99], v[226:227]
	s_waitcnt vmcnt(12)
	v_fmac_f64_e32 v[112:113], v[100:101], v[228:229]
	v_add_f64 v[110:111], v[110:111], v[112:113]
	s_waitcnt vmcnt(9)
	v_mul_f64 v[112:113], v[102:103], v[232:233]
	s_waitcnt vmcnt(7)
	v_fmac_f64_e32 v[112:113], v[104:105], v[234:235]
	v_add_f64 v[110:111], v[110:111], v[112:113]
	s_waitcnt vmcnt(5)
	v_mul_f64 v[112:113], v[106:107], v[224:225]
	s_waitcnt vmcnt(4)
	v_fmac_f64_e32 v[112:113], v[108:109], v[230:231]
	v_add_f64 v[114:115], v[110:111], v[112:113]
	ds_read_b128 v[110:113], v1 offset:1600
	buffer_load_dword v242, off, s[0:3], 0 offset:824
	buffer_load_dword v243, off, s[0:3], 0 offset:828
	;; [unrolled: 1-line block ×4, first 2 shown]
	v_add_f64 v[2:3], v[2:3], v[4:5]
	v_mul_f64 v[4:5], v[24:25], v[156:157]
	v_fma_f64 v[4:5], v[22:23], v[160:161], -v[4:5]
	s_waitcnt vmcnt(6) lgkmcnt(0)
	v_mul_f64 v[116:117], v[110:111], v[236:237]
	s_waitcnt vmcnt(4)
	v_fmac_f64_e32 v[116:117], v[112:113], v[238:239]
	v_add_f64 v[240:241], v[114:115], v[116:117]
	ds_read_b128 v[114:117], v1 offset:1616
	v_add_f64 v[2:3], v[2:3], v[4:5]
	v_mul_f64 v[4:5], v[28:29], v[136:137]
	v_fma_f64 v[4:5], v[26:27], v[138:139], -v[4:5]
	v_add_f64 v[2:3], v[2:3], v[4:5]
	v_mul_f64 v[4:5], v[32:33], v[164:165]
	v_fma_f64 v[4:5], v[30:31], v[168:169], -v[4:5]
	;; [unrolled: 3-line block ×22, first 2 shown]
	v_add_f64 v[2:3], v[2:3], v[4:5]
	s_waitcnt vmcnt(2) lgkmcnt(0)
	v_mul_f64 v[248:249], v[114:115], v[242:243]
	v_mul_f64 v[4:5], v[116:117], v[242:243]
	s_waitcnt vmcnt(0)
	v_fmac_f64_e32 v[248:249], v[116:117], v[244:245]
	v_add_f64 v[240:241], v[240:241], v[248:249]
	buffer_load_dword v248, off, s[0:3], 0 offset:224
	buffer_load_dword v249, off, s[0:3], 0 offset:228
	;; [unrolled: 1-line block ×4, first 2 shown]
	v_fma_f64 v[4:5], v[114:115], v[244:245], -v[4:5]
	v_add_f64 v[2:3], v[2:3], v[4:5]
	s_waitcnt vmcnt(2)
	v_add_f64 v[2:3], v[248:249], -v[2:3]
	s_waitcnt vmcnt(0)
	v_add_f64 v[4:5], v[246:247], -v[240:241]
	buffer_store_dword v3, off, s[0:3], 0 offset:228
	buffer_store_dword v2, off, s[0:3], 0 offset:224
	;; [unrolled: 1-line block ×4, first 2 shown]
	s_and_saveexec_b64 s[4:5], vcc
	s_cbranch_execz .LBB114_295
; %bb.294:
	v_accvgpr_read_b32 v0, a140
	buffer_load_dword v2, v0, s[0:3], 0 offen
	buffer_load_dword v3, v0, s[0:3], 0 offen offset:4
	buffer_load_dword v4, v0, s[0:3], 0 offen offset:8
	;; [unrolled: 1-line block ×3, first 2 shown]
	v_accvgpr_read_b32 v0, a153
	buffer_store_dword v1, off, s[0:3], 0 offset:208
	buffer_store_dword v1, off, s[0:3], 0 offset:212
	;; [unrolled: 1-line block ×4, first 2 shown]
	s_waitcnt vmcnt(4)
	ds_write_b128 v0, v[2:5]
.LBB114_295:
	s_or_b64 exec, exec, s[4:5]
	s_waitcnt lgkmcnt(0)
	; wave barrier
	s_waitcnt lgkmcnt(0)
	buffer_load_dword v66, off, s[0:3], 0 offset:224
	buffer_load_dword v67, off, s[0:3], 0 offset:228
	;; [unrolled: 1-line block ×42, first 2 shown]
	ds_read_b128 v[78:81], v1 offset:1024
	ds_read_b128 v[90:93], v1 offset:1040
	;; [unrolled: 1-line block ×10, first 2 shown]
	buffer_load_dword v131, off, s[0:3], 0 offset:372
	buffer_load_dword v130, off, s[0:3], 0 offset:368
	ds_read_b128 v[6:9], v1 offset:1184
	buffer_load_dword v127, off, s[0:3], 0 offset:428
	buffer_load_dword v126, off, s[0:3], 0 offset:424
	;; [unrolled: 1-line block ×80, first 2 shown]
	s_waitcnt vmcnt(62) lgkmcnt(10)
	v_mul_f64 v[10:11], v[78:79], v[68:69]
	v_fmac_f64_e32 v[10:11], v[80:81], v[66:67]
	v_add_f64 v[10:11], v[10:11], 0
	v_mul_f64 v[68:69], v[80:81], v[68:69]
	s_waitcnt lgkmcnt(9)
	v_mul_f64 v[12:13], v[90:91], v[64:65]
	v_fmac_f64_e32 v[12:13], v[92:93], v[62:63]
	s_waitcnt lgkmcnt(8)
	v_mul_f64 v[14:15], v[102:103], v[70:71]
	v_add_f64 v[10:11], v[10:11], v[12:13]
	s_waitcnt lgkmcnt(6)
	v_mul_f64 v[18:19], v[114:115], v[82:83]
	v_mul_f64 v[64:65], v[92:93], v[64:65]
	v_fmac_f64_e32 v[18:19], v[116:117], v[84:85]
	v_fma_f64 v[214:215], v[90:91], v[62:63], -v[64:65]
	v_mul_f64 v[16:17], v[110:111], v[74:75]
	v_fma_f64 v[212:213], v[78:79], v[66:67], -v[68:69]
	s_waitcnt lgkmcnt(4)
	v_mul_f64 v[22:23], v[244:245], v[94:95]
	v_mul_f64 v[70:71], v[104:105], v[70:71]
	v_fmac_f64_e32 v[22:23], v[246:247], v[96:97]
	v_mul_f64 v[74:75], v[112:113], v[74:75]
	v_mul_f64 v[20:21], v[240:241], v[86:87]
	;; [unrolled: 1-line block ×3, first 2 shown]
	s_waitcnt lgkmcnt(2)
	v_mul_f64 v[26:27], v[252:253], v[106:107]
	v_fma_f64 v[218:219], v[114:115], v[84:85], -v[82:83]
	v_mul_f64 v[86:87], v[242:243], v[86:87]
	v_mul_f64 v[24:25], v[248:249], v[98:99]
	v_mul_f64 v[94:95], v[246:247], v[94:95]
	s_waitcnt lgkmcnt(1)
	v_mul_f64 v[28:29], v[120:121], v[4:5]
	v_fma_f64 v[246:247], v[244:245], v[96:97], -v[94:95]
	v_fmac_f64_e32 v[14:15], v[104:105], v[72:73]
	v_add_f64 v[10:11], v[10:11], v[14:15]
	v_fmac_f64_e32 v[16:17], v[112:113], v[76:77]
	v_add_f64 v[10:11], v[10:11], v[16:17]
	v_fmac_f64_e32 v[20:21], v[242:243], v[88:89]
	v_add_f64 v[10:11], v[10:11], v[18:19]
	v_add_f64 v[10:11], v[10:11], v[20:21]
	v_fmac_f64_e32 v[24:25], v[250:251], v[100:101]
	v_add_f64 v[10:11], v[10:11], v[22:23]
	v_fmac_f64_e32 v[26:27], v[254:255], v[108:109]
	v_add_f64 v[10:11], v[10:11], v[24:25]
	v_add_f64 v[10:11], v[10:11], v[26:27]
	s_waitcnt lgkmcnt(0)
	v_mul_f64 v[16:17], v[6:7], v[2:3]
	v_fmac_f64_e32 v[28:29], v[122:123], v[130:131]
	v_add_f64 v[14:15], v[10:11], v[28:29]
	ds_read_b128 v[10:13], v1 offset:1200
	v_fmac_f64_e32 v[16:17], v[8:9], v[124:125]
	v_add_f64 v[18:19], v[14:15], v[16:17]
	ds_read_b128 v[14:17], v1 offset:1216
	v_fma_f64 v[216:217], v[110:111], v[76:77], -v[74:75]
	s_waitcnt lgkmcnt(1)
	v_mul_f64 v[20:21], v[10:11], v[132:133]
	v_fmac_f64_e32 v[20:21], v[12:13], v[148:149]
	v_add_f64 v[22:23], v[18:19], v[20:21]
	ds_read_b128 v[18:21], v1 offset:1232
	s_waitcnt lgkmcnt(1)
	v_mul_f64 v[24:25], v[14:15], v[126:127]
	v_fmac_f64_e32 v[24:25], v[16:17], v[128:129]
	v_add_f64 v[26:27], v[22:23], v[24:25]
	ds_read_b128 v[22:25], v1 offset:1248
	;; [unrolled: 5-line block ×4, first 2 shown]
	s_waitcnt vmcnt(58) lgkmcnt(1)
	v_mul_f64 v[36:37], v[26:27], v[160:161]
	s_waitcnt vmcnt(56)
	v_fmac_f64_e32 v[36:37], v[28:29], v[164:165]
	v_add_f64 v[38:39], v[34:35], v[36:37]
	ds_read_b128 v[34:37], v1 offset:1296
	s_waitcnt lgkmcnt(1)
	v_mul_f64 v[40:41], v[30:31], v[138:139]
	v_fmac_f64_e32 v[40:41], v[32:33], v[140:141]
	v_add_f64 v[42:43], v[38:39], v[40:41]
	ds_read_b128 v[38:41], v1 offset:1312
	s_waitcnt vmcnt(50) lgkmcnt(1)
	v_mul_f64 v[44:45], v[34:35], v[168:169]
	s_waitcnt vmcnt(48)
	v_fmac_f64_e32 v[44:45], v[36:37], v[172:173]
	v_add_f64 v[46:47], v[42:43], v[44:45]
	ds_read_b128 v[42:45], v1 offset:1328
	s_waitcnt lgkmcnt(1)
	v_mul_f64 v[48:49], v[38:39], v[142:143]
	v_fmac_f64_e32 v[48:49], v[40:41], v[144:145]
	v_add_f64 v[50:51], v[46:47], v[48:49]
	ds_read_b128 v[46:49], v1 offset:1344
	s_waitcnt vmcnt(42) lgkmcnt(1)
	v_mul_f64 v[52:53], v[42:43], v[176:177]
	s_waitcnt vmcnt(40)
	v_fmac_f64_e32 v[52:53], v[44:45], v[180:181]
	v_add_f64 v[54:55], v[50:51], v[52:53]
	ds_read_b128 v[50:53], v1 offset:1360
	s_waitcnt lgkmcnt(1)
	v_mul_f64 v[56:57], v[46:47], v[146:147]
	buffer_load_dword v209, off, s[0:3], 0 offset:732
	buffer_load_dword v208, off, s[0:3], 0 offset:728
	;; [unrolled: 1-line block ×4, first 2 shown]
	v_fmac_f64_e32 v[56:57], v[48:49], v[150:151]
	v_add_f64 v[58:59], v[54:55], v[56:57]
	ds_read_b128 v[54:57], v1 offset:1376
	buffer_load_dword v222, off, s[0:3], 0 offset:744
	buffer_load_dword v224, off, s[0:3], 0 offset:736
	;; [unrolled: 1-line block ×16, first 2 shown]
	s_waitcnt vmcnt(54) lgkmcnt(1)
	v_mul_f64 v[60:61], v[50:51], v[184:185]
	s_waitcnt vmcnt(52)
	v_fmac_f64_e32 v[60:61], v[52:53], v[188:189]
	v_add_f64 v[118:119], v[58:59], v[60:61]
	ds_read_b128 v[58:61], v1 offset:1392
	buffer_load_dword v236, off, s[0:3], 0 offset:808
	buffer_load_dword v238, off, s[0:3], 0 offset:800
	;; [unrolled: 1-line block ×4, first 2 shown]
	ds_read_b128 v[62:65], v1 offset:1408
	s_waitcnt lgkmcnt(2)
	v_mul_f64 v[66:67], v[54:55], v[154:155]
	v_fmac_f64_e32 v[66:67], v[56:57], v[158:159]
	s_waitcnt vmcnt(50) lgkmcnt(1)
	v_mul_f64 v[68:69], v[58:59], v[192:193]
	v_add_f64 v[66:67], v[118:119], v[66:67]
	s_waitcnt vmcnt(48)
	v_fmac_f64_e32 v[68:69], v[60:61], v[194:195]
	v_add_f64 v[66:67], v[66:67], v[68:69]
	v_fma_f64 v[118:119], v[102:103], v[72:73], -v[70:71]
	ds_read_b128 v[70:73], v1 offset:1440
	s_waitcnt lgkmcnt(1)
	v_mul_f64 v[68:69], v[62:63], v[162:163]
	v_fmac_f64_e32 v[68:69], v[64:65], v[166:167]
	v_add_f64 v[78:79], v[66:67], v[68:69]
	ds_read_b128 v[66:69], v1 offset:1424
	ds_read_b128 v[74:77], v1 offset:1456
	;; [unrolled: 1-line block ×3, first 2 shown]
	v_accvgpr_write_b32 a155, v3
	v_accvgpr_write_b32 a154, v2
	s_waitcnt vmcnt(42) lgkmcnt(2)
	v_mul_f64 v[80:81], v[66:67], v[196:197]
	s_waitcnt vmcnt(40)
	v_fmac_f64_e32 v[80:81], v[68:69], v[198:199]
	v_add_f64 v[78:79], v[78:79], v[80:81]
	v_mul_f64 v[80:81], v[70:71], v[170:171]
	v_fmac_f64_e32 v[80:81], v[72:73], v[174:175]
	v_add_f64 v[90:91], v[78:79], v[80:81]
	ds_read_b128 v[78:81], v1 offset:1472
	s_waitcnt vmcnt(34) lgkmcnt(2)
	v_mul_f64 v[92:93], v[74:75], v[200:201]
	s_waitcnt vmcnt(32)
	v_fmac_f64_e32 v[92:93], v[76:77], v[202:203]
	v_fma_f64 v[2:3], v[240:241], v[88:89], -v[86:87]
	ds_read_b128 v[86:89], v1 offset:1504
	ds_read_b128 v[94:97], v1 offset:1536
	v_add_f64 v[90:91], v[90:91], v[92:93]
	s_waitcnt lgkmcnt(2)
	v_mul_f64 v[92:93], v[78:79], v[178:179]
	v_fmac_f64_e32 v[92:93], v[80:81], v[182:183]
	v_add_f64 v[90:91], v[90:91], v[92:93]
	s_waitcnt vmcnt(26)
	v_mul_f64 v[92:93], v[82:83], v[204:205]
	s_waitcnt vmcnt(24)
	v_fmac_f64_e32 v[92:93], v[84:85], v[206:207]
	v_add_f64 v[90:91], v[90:91], v[92:93]
	s_waitcnt lgkmcnt(1)
	v_mul_f64 v[92:93], v[86:87], v[186:187]
	v_fmac_f64_e32 v[92:93], v[88:89], v[190:191]
	v_add_f64 v[102:103], v[90:91], v[92:93]
	ds_read_b128 v[90:93], v1 offset:1520
	v_mul_f64 v[98:99], v[250:251], v[98:99]
	v_fma_f64 v[250:251], v[248:249], v[100:101], -v[98:99]
	ds_read_b128 v[98:101], v1 offset:1552
	v_mul_f64 v[106:107], v[254:255], v[106:107]
	v_fma_f64 v[252:253], v[252:253], v[108:109], -v[106:107]
	v_add_f64 v[212:213], v[212:213], 0
	v_add_f64 v[212:213], v[212:213], v[214:215]
	;; [unrolled: 1-line block ×8, first 2 shown]
	v_mul_f64 v[4:5], v[122:123], v[4:5]
	v_add_f64 v[2:3], v[2:3], v[252:253]
	v_fma_f64 v[4:5], v[120:121], v[130:131], -v[4:5]
	v_add_f64 v[2:3], v[2:3], v[4:5]
	ds_read_b128 v[106:109], v1 offset:1584
	s_waitcnt vmcnt(13) lgkmcnt(1)
	v_mul_f64 v[112:113], v[98:99], v[226:227]
	v_mul_f64 v[104:105], v[90:91], v[208:209]
	s_waitcnt vmcnt(11)
	v_fmac_f64_e32 v[112:113], v[100:101], v[232:233]
	v_fmac_f64_e32 v[104:105], v[92:93], v[210:211]
	v_add_f64 v[102:103], v[102:103], v[104:105]
	v_mul_f64 v[104:105], v[94:95], v[222:223]
	v_fmac_f64_e32 v[104:105], v[96:97], v[224:225]
	v_add_f64 v[110:111], v[102:103], v[104:105]
	ds_read_b128 v[102:105], v1 offset:1568
	v_add_f64 v[110:111], v[110:111], v[112:113]
	s_waitcnt vmcnt(10) lgkmcnt(0)
	v_mul_f64 v[112:113], v[102:103], v[220:221]
	s_waitcnt vmcnt(8)
	v_fmac_f64_e32 v[112:113], v[104:105], v[230:231]
	v_add_f64 v[110:111], v[110:111], v[112:113]
	s_waitcnt vmcnt(6)
	v_mul_f64 v[112:113], v[106:107], v[228:229]
	s_waitcnt vmcnt(4)
	v_fmac_f64_e32 v[112:113], v[108:109], v[234:235]
	v_add_f64 v[114:115], v[110:111], v[112:113]
	ds_read_b128 v[110:113], v1 offset:1600
	buffer_load_dword v243, off, s[0:3], 0 offset:828
	buffer_load_dword v242, off, s[0:3], 0 offset:824
	buffer_load_dword v245, off, s[0:3], 0 offset:820
	buffer_load_dword v244, off, s[0:3], 0 offset:816
	s_waitcnt vmcnt(5) lgkmcnt(0)
	v_mul_f64 v[116:117], v[110:111], v[236:237]
	s_waitcnt vmcnt(4)
	v_fmac_f64_e32 v[116:117], v[112:113], v[238:239]
	v_add_f64 v[240:241], v[114:115], v[116:117]
	ds_read_b128 v[114:117], v1 offset:1616
	v_accvgpr_read_b32 v0, a154
	v_accvgpr_read_b32 v1, a155
	v_mul_f64 v[4:5], v[8:9], v[0:1]
	v_fma_f64 v[4:5], v[6:7], v[124:125], -v[4:5]
	v_add_f64 v[2:3], v[2:3], v[4:5]
	v_mul_f64 v[4:5], v[12:13], v[132:133]
	v_fma_f64 v[4:5], v[10:11], v[148:149], -v[4:5]
	v_add_f64 v[2:3], v[2:3], v[4:5]
	;; [unrolled: 3-line block ×22, first 2 shown]
	v_mul_f64 v[4:5], v[96:97], v[222:223]
	v_fma_f64 v[4:5], v[94:95], v[224:225], -v[4:5]
	s_waitcnt vmcnt(2) lgkmcnt(0)
	v_mul_f64 v[248:249], v[114:115], v[242:243]
	v_add_f64 v[2:3], v[2:3], v[4:5]
	s_waitcnt vmcnt(0)
	v_fmac_f64_e32 v[248:249], v[116:117], v[244:245]
	v_add_f64 v[240:241], v[240:241], v[248:249]
	buffer_load_dword v248, off, s[0:3], 0 offset:208
	buffer_load_dword v249, off, s[0:3], 0 offset:212
	;; [unrolled: 1-line block ×4, first 2 shown]
	v_mul_f64 v[4:5], v[100:101], v[226:227]
	v_fma_f64 v[4:5], v[98:99], v[232:233], -v[4:5]
	v_add_f64 v[2:3], v[2:3], v[4:5]
	v_mul_f64 v[4:5], v[104:105], v[220:221]
	v_fma_f64 v[4:5], v[102:103], v[230:231], -v[4:5]
	v_add_f64 v[2:3], v[2:3], v[4:5]
	;; [unrolled: 3-line block ×5, first 2 shown]
	v_accvgpr_read_b32 v0, a152
	v_cmp_lt_u32_e32 vcc, 11, v0
	s_waitcnt vmcnt(2)
	v_add_f64 v[2:3], v[248:249], -v[2:3]
	s_waitcnt vmcnt(0)
	v_add_f64 v[4:5], v[246:247], -v[240:241]
	buffer_store_dword v3, off, s[0:3], 0 offset:212
	buffer_store_dword v2, off, s[0:3], 0 offset:208
	;; [unrolled: 1-line block ×4, first 2 shown]
	s_and_saveexec_b64 s[4:5], vcc
	s_cbranch_execz .LBB114_297
; %bb.296:
	v_accvgpr_read_b32 v0, a141
	buffer_load_dword v2, v0, s[0:3], 0 offen
	buffer_load_dword v3, v0, s[0:3], 0 offen offset:4
	buffer_load_dword v4, v0, s[0:3], 0 offen offset:8
	buffer_load_dword v5, v0, s[0:3], 0 offen offset:12
	v_mov_b32_e32 v0, 0
	v_accvgpr_read_b32 v1, a153
	buffer_store_dword v0, off, s[0:3], 0 offset:192
	buffer_store_dword v0, off, s[0:3], 0 offset:196
	;; [unrolled: 1-line block ×4, first 2 shown]
	s_waitcnt vmcnt(4)
	ds_write_b128 v1, v[2:5]
.LBB114_297:
	s_or_b64 exec, exec, s[4:5]
	s_waitcnt lgkmcnt(0)
	; wave barrier
	s_waitcnt lgkmcnt(0)
	buffer_load_dword v54, off, s[0:3], 0 offset:208
	buffer_load_dword v55, off, s[0:3], 0 offset:212
	;; [unrolled: 1-line block ×49, first 2 shown]
	s_waitcnt vmcnt(8)
	v_pk_mov_b32 v[2:3], v[0:1], v[0:1] op_sel:[0,1]
	v_mov_b32_e32 v1, 0
	ds_read_b128 v[62:65], v1 offset:1008
	ds_read_b128 v[74:77], v1 offset:1024
	;; [unrolled: 1-line block ×11, first 2 shown]
	s_waitcnt lgkmcnt(10)
	v_mul_f64 v[6:7], v[62:63], v[56:57]
	s_waitcnt lgkmcnt(9)
	v_mul_f64 v[8:9], v[74:75], v[60:61]
	v_fmac_f64_e32 v[6:7], v[64:65], v[54:55]
	s_waitcnt lgkmcnt(8)
	v_mul_f64 v[10:11], v[86:87], v[66:67]
	v_fmac_f64_e32 v[8:9], v[76:77], v[58:59]
	v_add_f64 v[6:7], v[6:7], 0
	s_waitcnt lgkmcnt(7)
	v_mul_f64 v[12:13], v[98:99], v[70:71]
	v_fmac_f64_e32 v[10:11], v[88:89], v[68:69]
	v_add_f64 v[6:7], v[6:7], v[8:9]
	;; [unrolled: 4-line block ×4, first 2 shown]
	buffer_load_dword v128, off, s[0:3], 0 offset:392
	buffer_load_dword v145, off, s[0:3], 0 offset:388
	;; [unrolled: 1-line block ×75, first 2 shown]
	s_waitcnt lgkmcnt(4)
	v_mul_f64 v[18:19], v[236:237], v[90:91]
	v_fmac_f64_e32 v[16:17], v[116:117], v[84:85]
	v_add_f64 v[6:7], v[6:7], v[14:15]
	s_waitcnt lgkmcnt(3)
	v_mul_f64 v[20:21], v[240:241], v[94:95]
	v_fmac_f64_e32 v[18:19], v[238:239], v[92:93]
	v_add_f64 v[6:7], v[6:7], v[16:17]
	;; [unrolled: 4-line block ×4, first 2 shown]
	v_add_f64 v[6:7], v[6:7], v[22:23]
	s_waitcnt vmcnt(62)
	v_fmac_f64_e32 v[24:25], v[250:251], v[108:109]
	v_add_f64 v[10:11], v[6:7], v[24:25]
	ds_read_b128 v[6:9], v1 offset:1184
	s_waitcnt lgkmcnt(1)
	v_mul_f64 v[12:13], v[120:121], v[4:5]
	v_fmac_f64_e32 v[12:13], v[122:123], v[2:3]
	v_add_f64 v[14:15], v[10:11], v[12:13]
	ds_read_b128 v[10:13], v1 offset:1200
	s_waitcnt lgkmcnt(1)
	v_mul_f64 v[16:17], v[6:7], v[128:129]
	v_fmac_f64_e32 v[16:17], v[8:9], v[144:145]
	v_add_f64 v[18:19], v[14:15], v[16:17]
	ds_read_b128 v[14:17], v1 offset:1216
	s_waitcnt lgkmcnt(1)
	v_mul_f64 v[20:21], v[10:11], v[124:125]
	v_fmac_f64_e32 v[20:21], v[12:13], v[126:127]
	v_add_f64 v[22:23], v[18:19], v[20:21]
	ds_read_b128 v[18:21], v1 offset:1232
	s_waitcnt lgkmcnt(1)
	v_mul_f64 v[24:25], v[14:15], v[148:149]
	v_fmac_f64_e32 v[24:25], v[16:17], v[152:153]
	v_add_f64 v[26:27], v[22:23], v[24:25]
	ds_read_b128 v[22:25], v1 offset:1248
	s_waitcnt lgkmcnt(1)
	v_mul_f64 v[28:29], v[18:19], v[130:131]
	v_fmac_f64_e32 v[28:29], v[20:21], v[132:133]
	v_add_f64 v[30:31], v[26:27], v[28:29]
	ds_read_b128 v[26:29], v1 offset:1264
	s_waitcnt vmcnt(58) lgkmcnt(1)
	v_mul_f64 v[32:33], v[22:23], v[156:157]
	s_waitcnt vmcnt(56)
	v_fmac_f64_e32 v[32:33], v[24:25], v[160:161]
	v_add_f64 v[34:35], v[30:31], v[32:33]
	ds_read_b128 v[30:33], v1 offset:1280
	s_waitcnt lgkmcnt(1)
	v_mul_f64 v[36:37], v[26:27], v[134:135]
	v_fmac_f64_e32 v[36:37], v[28:29], v[136:137]
	v_add_f64 v[38:39], v[34:35], v[36:37]
	ds_read_b128 v[34:37], v1 offset:1296
	s_waitcnt vmcnt(50) lgkmcnt(1)
	v_mul_f64 v[40:41], v[30:31], v[164:165]
	s_waitcnt vmcnt(48)
	v_fmac_f64_e32 v[40:41], v[32:33], v[168:169]
	v_add_f64 v[42:43], v[38:39], v[40:41]
	ds_read_b128 v[38:41], v1 offset:1312
	s_waitcnt lgkmcnt(1)
	v_mul_f64 v[44:45], v[34:35], v[138:139]
	;; [unrolled: 11-line block ×3, first 2 shown]
	buffer_load_dword v205, off, s[0:3], 0 offset:716
	buffer_load_dword v204, off, s[0:3], 0 offset:712
	;; [unrolled: 1-line block ×4, first 2 shown]
	v_fmac_f64_e32 v[52:53], v[44:45], v[146:147]
	v_add_f64 v[118:119], v[50:51], v[52:53]
	ds_read_b128 v[50:53], v1 offset:1360
	buffer_load_dword v208, off, s[0:3], 0 offset:728
	buffer_load_dword v210, off, s[0:3], 0 offset:720
	;; [unrolled: 1-line block ×20, first 2 shown]
	s_waitcnt vmcnt(58) lgkmcnt(1)
	v_mul_f64 v[212:213], v[46:47], v[180:181]
	s_waitcnt vmcnt(56)
	v_fmac_f64_e32 v[212:213], v[48:49], v[184:185]
	v_mul_f64 v[56:57], v[64:65], v[56:57]
	v_add_f64 v[118:119], v[118:119], v[212:213]
	v_fma_f64 v[212:213], v[62:63], v[54:55], -v[56:57]
	ds_read_b128 v[54:57], v1 offset:1376
	v_mul_f64 v[60:61], v[76:77], v[60:61]
	v_fma_f64 v[214:215], v[74:75], v[58:59], -v[60:61]
	ds_read_b128 v[58:61], v1 offset:1392
	s_waitcnt lgkmcnt(2)
	v_mul_f64 v[62:63], v[50:51], v[150:151]
	v_fmac_f64_e32 v[62:63], v[52:53], v[154:155]
	s_waitcnt vmcnt(50) lgkmcnt(1)
	v_mul_f64 v[64:65], v[54:55], v[188:189]
	v_add_f64 v[62:63], v[118:119], v[62:63]
	s_waitcnt vmcnt(48)
	v_fmac_f64_e32 v[64:65], v[56:57], v[190:191]
	v_add_f64 v[62:63], v[62:63], v[64:65]
	s_waitcnt lgkmcnt(0)
	v_mul_f64 v[64:65], v[58:59], v[158:159]
	v_fmac_f64_e32 v[64:65], v[60:61], v[162:163]
	v_add_f64 v[74:75], v[62:63], v[64:65]
	ds_read_b128 v[62:65], v1 offset:1408
	v_mul_f64 v[66:67], v[88:89], v[66:67]
	v_fma_f64 v[118:119], v[86:87], v[68:69], -v[66:67]
	ds_read_b128 v[66:69], v1 offset:1424
	v_mul_f64 v[70:71], v[100:101], v[70:71]
	s_waitcnt vmcnt(42) lgkmcnt(1)
	v_mul_f64 v[76:77], v[62:63], v[192:193]
	s_waitcnt vmcnt(40)
	v_fmac_f64_e32 v[76:77], v[64:65], v[194:195]
	v_add_f64 v[74:75], v[74:75], v[76:77]
	v_fma_f64 v[216:217], v[98:99], v[72:73], -v[70:71]
	ds_read_b128 v[70:73], v1 offset:1440
	s_waitcnt lgkmcnt(1)
	v_mul_f64 v[76:77], v[66:67], v[166:167]
	v_fmac_f64_e32 v[76:77], v[68:69], v[170:171]
	v_add_f64 v[86:87], v[74:75], v[76:77]
	ds_read_b128 v[74:77], v1 offset:1456
	v_mul_f64 v[78:79], v[112:113], v[78:79]
	v_fma_f64 v[218:219], v[110:111], v[80:81], -v[78:79]
	ds_read_b128 v[78:81], v1 offset:1472
	s_waitcnt vmcnt(34) lgkmcnt(2)
	v_mul_f64 v[88:89], v[70:71], v[196:197]
	v_mul_f64 v[82:83], v[116:117], v[82:83]
	s_waitcnt vmcnt(32)
	v_fmac_f64_e32 v[88:89], v[72:73], v[198:199]
	v_fma_f64 v[252:253], v[114:115], v[84:85], -v[82:83]
	ds_read_b128 v[82:85], v1 offset:1488
	v_add_f64 v[86:87], v[86:87], v[88:89]
	s_waitcnt lgkmcnt(2)
	v_mul_f64 v[88:89], v[74:75], v[174:175]
	v_fmac_f64_e32 v[88:89], v[76:77], v[178:179]
	v_add_f64 v[86:87], v[86:87], v[88:89]
	s_waitcnt vmcnt(26) lgkmcnt(1)
	v_mul_f64 v[88:89], v[78:79], v[200:201]
	s_waitcnt vmcnt(24)
	v_fmac_f64_e32 v[88:89], v[80:81], v[202:203]
	v_add_f64 v[86:87], v[86:87], v[88:89]
	s_waitcnt lgkmcnt(0)
	v_mul_f64 v[88:89], v[82:83], v[182:183]
	v_fmac_f64_e32 v[88:89], v[84:85], v[186:187]
	v_add_f64 v[98:99], v[86:87], v[88:89]
	ds_read_b128 v[86:89], v1 offset:1504
	v_mul_f64 v[90:91], v[238:239], v[90:91]
	v_fma_f64 v[254:255], v[236:237], v[92:93], -v[90:91]
	ds_read_b128 v[90:93], v1 offset:1520
	v_accvgpr_write_b32 a155, v3
	v_mul_f64 v[94:95], v[242:243], v[94:95]
	v_accvgpr_write_b32 a154, v2
	v_fma_f64 v[2:3], v[240:241], v[96:97], -v[94:95]
	ds_read_b128 v[94:97], v1 offset:1536
	v_mul_f64 v[102:103], v[246:247], v[102:103]
	v_fma_f64 v[246:247], v[244:245], v[104:105], -v[102:103]
	ds_read_b128 v[102:105], v1 offset:1568
	v_mul_f64 v[106:107], v[250:251], v[106:107]
	v_fma_f64 v[250:251], v[248:249], v[108:109], -v[106:107]
	ds_read_b128 v[106:109], v1 offset:1584
	v_add_f64 v[212:213], v[212:213], 0
	v_add_f64 v[212:213], v[212:213], v[214:215]
	;; [unrolled: 1-line block ×6, first 2 shown]
	s_waitcnt vmcnt(22) lgkmcnt(4)
	v_mul_f64 v[100:101], v[86:87], v[204:205]
	v_add_f64 v[118:119], v[118:119], v[254:255]
	s_waitcnt vmcnt(20)
	v_fmac_f64_e32 v[100:101], v[88:89], v[206:207]
	v_add_f64 v[98:99], v[98:99], v[100:101]
	v_add_f64 v[2:3], v[118:119], v[2:3]
	s_waitcnt vmcnt(17) lgkmcnt(3)
	v_mul_f64 v[100:101], v[90:91], v[208:209]
	s_waitcnt vmcnt(16)
	v_fmac_f64_e32 v[100:101], v[92:93], v[210:211]
	v_add_f64 v[110:111], v[98:99], v[100:101]
	ds_read_b128 v[98:101], v1 offset:1552
	s_waitcnt vmcnt(14) lgkmcnt(3)
	v_mul_f64 v[112:113], v[94:95], v[222:223]
	s_waitcnt vmcnt(12)
	v_fmac_f64_e32 v[112:113], v[96:97], v[226:227]
	buffer_load_dword v237, off, s[0:3], 0 offset:812
	buffer_load_dword v236, off, s[0:3], 0 offset:808
	buffer_load_dword v239, off, s[0:3], 0 offset:804
	buffer_load_dword v238, off, s[0:3], 0 offset:800
	v_add_f64 v[110:111], v[110:111], v[112:113]
	s_waitcnt vmcnt(14) lgkmcnt(0)
	v_mul_f64 v[112:113], v[98:99], v[224:225]
	s_waitcnt vmcnt(12)
	v_fmac_f64_e32 v[112:113], v[100:101], v[228:229]
	v_add_f64 v[110:111], v[110:111], v[112:113]
	s_waitcnt vmcnt(9)
	v_mul_f64 v[112:113], v[102:103], v[232:233]
	s_waitcnt vmcnt(7)
	v_fmac_f64_e32 v[112:113], v[104:105], v[234:235]
	v_add_f64 v[110:111], v[110:111], v[112:113]
	s_waitcnt vmcnt(5)
	v_mul_f64 v[112:113], v[106:107], v[220:221]
	s_waitcnt vmcnt(4)
	v_fmac_f64_e32 v[112:113], v[108:109], v[230:231]
	v_add_f64 v[114:115], v[110:111], v[112:113]
	ds_read_b128 v[110:113], v1 offset:1600
	buffer_load_dword v242, off, s[0:3], 0 offset:824
	buffer_load_dword v243, off, s[0:3], 0 offset:828
	;; [unrolled: 1-line block ×4, first 2 shown]
	v_add_f64 v[252:253], v[2:3], v[246:247]
	v_accvgpr_read_b32 v118, a154
	v_mul_f64 v[4:5], v[122:123], v[4:5]
	v_accvgpr_read_b32 v119, a155
	v_add_f64 v[2:3], v[252:253], v[250:251]
	v_fma_f64 v[4:5], v[120:121], v[118:119], -v[4:5]
	v_add_f64 v[2:3], v[2:3], v[4:5]
	v_mul_f64 v[4:5], v[8:9], v[128:129]
	v_fma_f64 v[4:5], v[6:7], v[144:145], -v[4:5]
	v_add_f64 v[2:3], v[2:3], v[4:5]
	v_mul_f64 v[4:5], v[12:13], v[124:125]
	;; [unrolled: 3-line block ×20, first 2 shown]
	s_waitcnt vmcnt(6) lgkmcnt(0)
	v_mul_f64 v[116:117], v[110:111], v[236:237]
	v_fma_f64 v[4:5], v[82:83], v[186:187], -v[4:5]
	s_waitcnt vmcnt(4)
	v_fmac_f64_e32 v[116:117], v[112:113], v[238:239]
	v_add_f64 v[240:241], v[114:115], v[116:117]
	ds_read_b128 v[114:117], v1 offset:1616
	v_add_f64 v[2:3], v[2:3], v[4:5]
	v_mul_f64 v[4:5], v[88:89], v[204:205]
	v_fma_f64 v[4:5], v[86:87], v[206:207], -v[4:5]
	v_add_f64 v[2:3], v[2:3], v[4:5]
	v_mul_f64 v[4:5], v[92:93], v[208:209]
	v_fma_f64 v[4:5], v[90:91], v[210:211], -v[4:5]
	v_add_f64 v[2:3], v[2:3], v[4:5]
	s_waitcnt vmcnt(2) lgkmcnt(0)
	v_mul_f64 v[248:249], v[114:115], v[242:243]
	v_mul_f64 v[4:5], v[96:97], v[222:223]
	s_waitcnt vmcnt(0)
	v_fmac_f64_e32 v[248:249], v[116:117], v[244:245]
	v_add_f64 v[240:241], v[240:241], v[248:249]
	buffer_load_dword v248, off, s[0:3], 0 offset:192
	buffer_load_dword v249, off, s[0:3], 0 offset:196
	;; [unrolled: 1-line block ×4, first 2 shown]
	v_fma_f64 v[4:5], v[94:95], v[226:227], -v[4:5]
	v_add_f64 v[2:3], v[2:3], v[4:5]
	v_mul_f64 v[4:5], v[100:101], v[224:225]
	v_fma_f64 v[4:5], v[98:99], v[228:229], -v[4:5]
	v_add_f64 v[2:3], v[2:3], v[4:5]
	v_mul_f64 v[4:5], v[104:105], v[232:233]
	;; [unrolled: 3-line block ×5, first 2 shown]
	v_fma_f64 v[4:5], v[114:115], v[244:245], -v[4:5]
	v_add_f64 v[2:3], v[2:3], v[4:5]
	v_accvgpr_read_b32 v0, a152
	v_cmp_lt_u32_e32 vcc, 10, v0
	s_waitcnt vmcnt(2)
	v_add_f64 v[2:3], v[248:249], -v[2:3]
	s_waitcnt vmcnt(0)
	v_add_f64 v[4:5], v[246:247], -v[240:241]
	buffer_store_dword v3, off, s[0:3], 0 offset:196
	buffer_store_dword v2, off, s[0:3], 0 offset:192
	;; [unrolled: 1-line block ×4, first 2 shown]
	s_and_saveexec_b64 s[4:5], vcc
	s_cbranch_execz .LBB114_299
; %bb.298:
	v_accvgpr_read_b32 v0, a142
	buffer_load_dword v2, v0, s[0:3], 0 offen
	buffer_load_dword v3, v0, s[0:3], 0 offen offset:4
	buffer_load_dword v4, v0, s[0:3], 0 offen offset:8
	;; [unrolled: 1-line block ×3, first 2 shown]
	v_accvgpr_read_b32 v0, a153
	buffer_store_dword v1, off, s[0:3], 0 offset:176
	buffer_store_dword v1, off, s[0:3], 0 offset:180
	;; [unrolled: 1-line block ×4, first 2 shown]
	s_waitcnt vmcnt(4)
	ds_write_b128 v0, v[2:5]
.LBB114_299:
	s_or_b64 exec, exec, s[4:5]
	s_waitcnt lgkmcnt(0)
	; wave barrier
	s_waitcnt lgkmcnt(0)
	buffer_load_dword v56, off, s[0:3], 0 offset:192
	buffer_load_dword v57, off, s[0:3], 0 offset:196
	;; [unrolled: 1-line block ×42, first 2 shown]
	ds_read_b128 v[78:81], v1 offset:992
	ds_read_b128 v[90:93], v1 offset:1008
	;; [unrolled: 1-line block ×10, first 2 shown]
	buffer_load_dword v105, off, s[0:3], 0 offset:340
	buffer_load_dword v104, off, s[0:3], 0 offset:336
	ds_read_b128 v[106:109], v1 offset:1152
	buffer_load_dword v3, off, s[0:3], 0 offset:396
	buffer_load_dword v2, off, s[0:3], 0 offset:392
	s_waitcnt vmcnt(38) lgkmcnt(9)
	v_mul_f64 v[4:5], v[90:91], v[62:63]
	v_fmac_f64_e32 v[4:5], v[92:93], v[54:55]
	s_waitcnt vmcnt(36) lgkmcnt(8)
	v_mul_f64 v[6:7], v[114:115], v[58:59]
	v_mul_f64 v[58:59], v[116:117], v[58:59]
	s_waitcnt vmcnt(34) lgkmcnt(6)
	v_mul_f64 v[10:11], v[240:241], v[70:71]
	v_mul_f64 v[70:71], v[242:243], v[70:71]
	s_waitcnt vmcnt(32)
	v_fmac_f64_e32 v[10:11], v[242:243], v[72:73]
	v_fma_f64 v[240:241], v[240:241], v[72:73], -v[70:71]
	s_waitcnt vmcnt(30)
	v_mul_f64 v[8:9], v[236:237], v[64:65]
	s_waitcnt vmcnt(28) lgkmcnt(4)
	v_mul_f64 v[14:15], v[248:249], v[82:83]
	v_mul_f64 v[82:83], v[250:251], v[82:83]
	s_waitcnt vmcnt(26)
	v_fmac_f64_e32 v[14:15], v[250:251], v[84:85]
	v_fma_f64 v[248:249], v[248:249], v[84:85], -v[82:83]
	s_waitcnt vmcnt(24)
	v_mul_f64 v[12:13], v[244:245], v[74:75]
	v_mul_f64 v[74:75], v[246:247], v[74:75]
	s_waitcnt vmcnt(22) lgkmcnt(2)
	v_mul_f64 v[18:19], v[212:213], v[94:95]
	v_mul_f64 v[94:95], v[214:215], v[94:95]
	s_waitcnt vmcnt(19)
	v_mul_f64 v[16:17], v[252:253], v[86:87]
	v_mul_f64 v[86:87], v[254:255], v[86:87]
	s_waitcnt vmcnt(17) lgkmcnt(1)
	v_mul_f64 v[20:21], v[98:99], v[102:103]
	s_waitcnt vmcnt(15)
	v_fmac_f64_e32 v[6:7], v[116:117], v[68:69]
	s_waitcnt vmcnt(13)
	v_fmac_f64_e32 v[8:9], v[238:239], v[66:67]
	;; [unrolled: 2-line block ×3, first 2 shown]
	v_fma_f64 v[246:247], v[244:245], v[76:77], -v[74:75]
	s_waitcnt vmcnt(9)
	v_fmac_f64_e32 v[16:17], v[254:255], v[88:89]
	s_waitcnt vmcnt(8)
	v_fmac_f64_e32 v[18:19], v[214:215], v[96:97]
	v_fma_f64 v[254:255], v[252:253], v[88:89], -v[86:87]
	v_fma_f64 v[212:213], v[212:213], v[96:97], -v[94:95]
	s_waitcnt vmcnt(2)
	v_fmac_f64_e32 v[20:21], v[100:101], v[104:105]
	v_mul_f64 v[100:101], v[100:101], v[102:103]
	s_waitcnt vmcnt(0)
	v_pk_mov_b32 v[22:23], v[2:3], v[2:3] op_sel:[0,1]
	buffer_load_dword v3, off, s[0:3], 0 offset:388
	buffer_load_dword v2, off, s[0:3], 0 offset:384
	;; [unrolled: 1-line block ×78, first 2 shown]
	ds_read_b128 v[120:123], v1 offset:1168
	v_accvgpr_write_b32 a155, v23
	v_accvgpr_write_b32 a154, v22
	v_fma_f64 v[250:251], v[98:99], v[104:105], -v[100:101]
	s_waitcnt vmcnt(62)
	v_pk_mov_b32 v[24:25], v[2:3], v[2:3] op_sel:[0,1]
	v_mul_f64 v[2:3], v[78:79], v[60:61]
	v_fmac_f64_e32 v[2:3], v[80:81], v[56:57]
	v_add_f64 v[2:3], v[2:3], 0
	v_add_f64 v[2:3], v[2:3], v[4:5]
	;; [unrolled: 1-line block ×9, first 2 shown]
	s_waitcnt lgkmcnt(1)
	v_mul_f64 v[8:9], v[106:107], v[110:111]
	v_add_f64 v[6:7], v[2:3], v[20:21]
	v_fmac_f64_e32 v[8:9], v[108:109], v[112:113]
	v_add_f64 v[10:11], v[6:7], v[8:9]
	ds_read_b128 v[6:9], v1 offset:1184
	s_waitcnt lgkmcnt(1)
	v_mul_f64 v[12:13], v[120:121], v[124:125]
	v_fmac_f64_e32 v[12:13], v[122:123], v[140:141]
	v_add_f64 v[14:15], v[10:11], v[12:13]
	ds_read_b128 v[10:13], v1 offset:1200
	s_waitcnt lgkmcnt(1)
	v_mul_f64 v[16:17], v[6:7], v[22:23]
	;; [unrolled: 5-line block ×3, first 2 shown]
	v_fmac_f64_e32 v[20:21], v[12:13], v[148:149]
	v_add_f64 v[22:23], v[18:19], v[20:21]
	ds_read_b128 v[18:21], v1 offset:1232
	v_accvgpr_write_b32 a157, v25
	v_accvgpr_write_b32 a156, v24
	s_waitcnt lgkmcnt(1)
	v_mul_f64 v[24:25], v[14:15], v[126:127]
	v_fmac_f64_e32 v[24:25], v[16:17], v[128:129]
	v_add_f64 v[26:27], v[22:23], v[24:25]
	ds_read_b128 v[22:25], v1 offset:1248
	s_waitcnt vmcnt(58) lgkmcnt(1)
	v_mul_f64 v[28:29], v[18:19], v[152:153]
	s_waitcnt vmcnt(56)
	v_fmac_f64_e32 v[28:29], v[20:21], v[156:157]
	v_add_f64 v[30:31], v[26:27], v[28:29]
	ds_read_b128 v[26:29], v1 offset:1264
	s_waitcnt lgkmcnt(1)
	v_mul_f64 v[32:33], v[22:23], v[130:131]
	v_fmac_f64_e32 v[32:33], v[24:25], v[132:133]
	v_add_f64 v[34:35], v[30:31], v[32:33]
	ds_read_b128 v[30:33], v1 offset:1280
	s_waitcnt vmcnt(50) lgkmcnt(1)
	v_mul_f64 v[36:37], v[26:27], v[160:161]
	s_waitcnt vmcnt(48)
	v_fmac_f64_e32 v[36:37], v[28:29], v[164:165]
	v_add_f64 v[38:39], v[34:35], v[36:37]
	ds_read_b128 v[34:37], v1 offset:1296
	;; [unrolled: 11-line block ×4, first 2 shown]
	buffer_load_dword v200, off, s[0:3], 0 offset:712
	buffer_load_dword v205, off, s[0:3], 0 offset:700
	;; [unrolled: 1-line block ×8, first 2 shown]
	s_waitcnt lgkmcnt(1)
	v_mul_f64 v[208:209], v[46:47], v[146:147]
	v_fmac_f64_e32 v[208:209], v[48:49], v[150:151]
	v_add_f64 v[118:119], v[118:119], v[208:209]
	buffer_load_dword v209, off, s[0:3], 0 offset:732
	buffer_load_dword v208, off, s[0:3], 0 offset:728
	buffer_load_dword v211, off, s[0:3], 0 offset:724
	buffer_load_dword v210, off, s[0:3], 0 offset:720
	buffer_load_dword v223, off, s[0:3], 0 offset:748
	buffer_load_dword v222, off, s[0:3], 0 offset:744
	buffer_load_dword v225, off, s[0:3], 0 offset:740
	buffer_load_dword v224, off, s[0:3], 0 offset:736
	buffer_load_dword v220, off, s[0:3], 0 offset:776
	buffer_load_dword v229, off, s[0:3], 0 offset:764
	buffer_load_dword v228, off, s[0:3], 0 offset:760
	buffer_load_dword v233, off, s[0:3], 0 offset:756
	buffer_load_dword v232, off, s[0:3], 0 offset:752
	buffer_load_dword v226, off, s[0:3], 0 offset:768
	buffer_load_dword v221, off, s[0:3], 0 offset:780
	buffer_load_dword v227, off, s[0:3], 0 offset:772
	buffer_load_dword v231, off, s[0:3], 0 offset:796
	buffer_load_dword v230, off, s[0:3], 0 offset:792
	buffer_load_dword v235, off, s[0:3], 0 offset:788
	buffer_load_dword v234, off, s[0:3], 0 offset:784
	v_mul_f64 v[60:61], v[80:81], v[60:61]
	s_waitcnt vmcnt(54) lgkmcnt(0)
	v_mul_f64 v[216:217], v[50:51], v[184:185]
	v_fma_f64 v[218:219], v[78:79], v[56:57], -v[60:61]
	v_mul_f64 v[56:57], v[92:93], v[62:63]
	v_fma_f64 v[2:3], v[90:91], v[54:55], -v[56:57]
	s_waitcnt vmcnt(52)
	v_fmac_f64_e32 v[216:217], v[52:53], v[186:187]
	ds_read_b128 v[54:57], v1 offset:1376
	v_add_f64 v[4:5], v[118:119], v[216:217]
	v_fma_f64 v[118:119], v[114:115], v[68:69], -v[58:59]
	ds_read_b128 v[58:61], v1 offset:1392
	v_mul_f64 v[62:63], v[238:239], v[64:65]
	v_fma_f64 v[216:217], v[236:237], v[66:67], -v[62:63]
	ds_read_b128 v[62:65], v1 offset:1408
	ds_read_b128 v[70:73], v1 offset:1440
	s_waitcnt lgkmcnt(3)
	v_mul_f64 v[68:69], v[54:55], v[154:155]
	v_fmac_f64_e32 v[68:69], v[56:57], v[158:159]
	s_waitcnt vmcnt(46) lgkmcnt(2)
	v_mul_f64 v[66:67], v[58:59], v[188:189]
	v_add_f64 v[4:5], v[4:5], v[68:69]
	s_waitcnt vmcnt(44)
	v_fmac_f64_e32 v[66:67], v[60:61], v[190:191]
	v_add_f64 v[4:5], v[4:5], v[66:67]
	s_waitcnt lgkmcnt(1)
	v_mul_f64 v[66:67], v[62:63], v[162:163]
	v_fmac_f64_e32 v[66:67], v[64:65], v[166:167]
	v_add_f64 v[4:5], v[4:5], v[66:67]
	ds_read_b128 v[66:69], v1 offset:1424
	ds_read_b128 v[74:77], v1 offset:1456
	;; [unrolled: 1-line block ×5, first 2 shown]
	s_waitcnt vmcnt(38) lgkmcnt(4)
	v_mul_f64 v[78:79], v[66:67], v[192:193]
	s_waitcnt vmcnt(36)
	v_fmac_f64_e32 v[78:79], v[68:69], v[194:195]
	v_add_f64 v[4:5], v[4:5], v[78:79]
	v_mul_f64 v[78:79], v[70:71], v[170:171]
	v_fmac_f64_e32 v[78:79], v[72:73], v[174:175]
	v_add_f64 v[4:5], v[4:5], v[78:79]
	s_waitcnt vmcnt(30) lgkmcnt(3)
	v_mul_f64 v[78:79], v[74:75], v[196:197]
	s_waitcnt vmcnt(28)
	v_fmac_f64_e32 v[78:79], v[76:77], v[198:199]
	v_add_f64 v[4:5], v[4:5], v[78:79]
	ds_read_b128 v[78:81], v1 offset:1472
	v_mul_f64 v[108:109], v[108:109], v[110:111]
	v_fma_f64 v[252:253], v[106:107], v[112:113], -v[108:109]
	ds_read_b128 v[98:101], v1 offset:1552
	ds_read_b128 v[106:109], v1 offset:1584
	s_waitcnt lgkmcnt(2)
	v_mul_f64 v[90:91], v[78:79], v[178:179]
	v_fmac_f64_e32 v[90:91], v[80:81], v[182:183]
	v_add_f64 v[4:5], v[4:5], v[90:91]
	s_waitcnt vmcnt(25)
	v_mul_f64 v[90:91], v[82:83], v[204:205]
	s_waitcnt vmcnt(23)
	v_fmac_f64_e32 v[90:91], v[84:85], v[206:207]
	v_add_f64 v[4:5], v[4:5], v[90:91]
	s_waitcnt vmcnt(21)
	v_mul_f64 v[90:91], v[86:87], v[200:201]
	s_waitcnt vmcnt(20)
	v_fmac_f64_e32 v[90:91], v[88:89], v[202:203]
	v_add_f64 v[4:5], v[4:5], v[90:91]
	ds_read_b128 v[90:93], v1 offset:1520
	s_waitcnt vmcnt(14)
	v_mul_f64 v[102:103], v[94:95], v[222:223]
	s_waitcnt vmcnt(9) lgkmcnt(2)
	v_mul_f64 v[110:111], v[98:99], v[228:229]
	v_fmac_f64_e32 v[102:103], v[96:97], v[224:225]
	s_waitcnt vmcnt(7)
	v_fmac_f64_e32 v[110:111], v[100:101], v[232:233]
	s_waitcnt lgkmcnt(0)
	v_mul_f64 v[114:115], v[90:91], v[208:209]
	v_fmac_f64_e32 v[114:115], v[92:93], v[210:211]
	v_add_f64 v[4:5], v[4:5], v[114:115]
	v_add_f64 v[4:5], v[4:5], v[102:103]
	ds_read_b128 v[102:105], v1 offset:1568
	buffer_load_dword v236, off, s[0:3], 0 offset:808
	buffer_load_dword v237, off, s[0:3], 0 offset:812
	;; [unrolled: 1-line block ×4, first 2 shown]
	v_add_f64 v[4:5], v[4:5], v[110:111]
	s_waitcnt vmcnt(9) lgkmcnt(0)
	v_mul_f64 v[110:111], v[102:103], v[220:221]
	s_waitcnt vmcnt(8)
	v_fmac_f64_e32 v[110:111], v[104:105], v[226:227]
	v_add_f64 v[4:5], v[4:5], v[110:111]
	s_waitcnt vmcnt(6)
	v_mul_f64 v[110:111], v[106:107], v[230:231]
	s_waitcnt vmcnt(4)
	v_fmac_f64_e32 v[110:111], v[108:109], v[234:235]
	v_add_f64 v[4:5], v[4:5], v[110:111]
	ds_read_b128 v[110:113], v1 offset:1600
	buffer_load_dword v243, off, s[0:3], 0 offset:828
	buffer_load_dword v242, off, s[0:3], 0 offset:824
	;; [unrolled: 1-line block ×4, first 2 shown]
	s_waitcnt vmcnt(6) lgkmcnt(0)
	v_mul_f64 v[114:115], v[110:111], v[236:237]
	s_waitcnt vmcnt(4)
	v_fmac_f64_e32 v[114:115], v[112:113], v[238:239]
	v_add_f64 v[4:5], v[4:5], v[114:115]
	ds_read_b128 v[114:117], v1 offset:1616
	v_accvgpr_read_b32 v0, a154
	v_accvgpr_read_b32 v1, a155
	v_mul_f64 v[8:9], v[8:9], v[0:1]
	v_accvgpr_read_b32 v0, a156
	v_accvgpr_read_b32 v1, a157
	v_fma_f64 v[6:7], v[6:7], v[0:1], -v[8:9]
	s_waitcnt vmcnt(2) lgkmcnt(0)
	v_mul_f64 v[214:215], v[114:115], v[242:243]
	v_accvgpr_read_b32 v0, a152
	s_waitcnt vmcnt(0)
	v_fmac_f64_e32 v[214:215], v[116:117], v[244:245]
	v_add_f64 v[4:5], v[4:5], v[214:215]
	v_add_f64 v[214:215], v[218:219], 0
	;; [unrolled: 1-line block ×8, first 2 shown]
	buffer_load_dword v248, off, s[0:3], 0 offset:176
	buffer_load_dword v249, off, s[0:3], 0 offset:180
	;; [unrolled: 1-line block ×4, first 2 shown]
	v_add_f64 v[2:3], v[2:3], v[254:255]
	v_add_f64 v[254:255], v[2:3], v[212:213]
	;; [unrolled: 1-line block ×3, first 2 shown]
	v_mul_f64 v[118:119], v[122:123], v[124:125]
	v_add_f64 v[2:3], v[2:3], v[252:253]
	v_fma_f64 v[118:119], v[120:121], v[140:141], -v[118:119]
	v_add_f64 v[2:3], v[2:3], v[118:119]
	v_add_f64 v[2:3], v[2:3], v[6:7]
	v_mul_f64 v[6:7], v[12:13], v[144:145]
	v_fma_f64 v[6:7], v[10:11], v[148:149], -v[6:7]
	v_add_f64 v[2:3], v[2:3], v[6:7]
	v_mul_f64 v[6:7], v[16:17], v[126:127]
	v_fma_f64 v[6:7], v[14:15], v[128:129], -v[6:7]
	v_add_f64 v[2:3], v[2:3], v[6:7]
	v_mul_f64 v[6:7], v[20:21], v[152:153]
	v_fma_f64 v[6:7], v[18:19], v[156:157], -v[6:7]
	v_add_f64 v[2:3], v[2:3], v[6:7]
	v_mul_f64 v[6:7], v[24:25], v[130:131]
	v_fma_f64 v[6:7], v[22:23], v[132:133], -v[6:7]
	v_add_f64 v[2:3], v[2:3], v[6:7]
	v_mul_f64 v[6:7], v[28:29], v[160:161]
	v_fma_f64 v[6:7], v[26:27], v[164:165], -v[6:7]
	v_add_f64 v[2:3], v[2:3], v[6:7]
	v_mul_f64 v[6:7], v[32:33], v[134:135]
	v_fma_f64 v[6:7], v[30:31], v[136:137], -v[6:7]
	v_add_f64 v[2:3], v[2:3], v[6:7]
	v_mul_f64 v[6:7], v[36:37], v[168:169]
	v_fma_f64 v[6:7], v[34:35], v[172:173], -v[6:7]
	v_add_f64 v[2:3], v[2:3], v[6:7]
	v_mul_f64 v[6:7], v[40:41], v[138:139]
	v_fma_f64 v[6:7], v[38:39], v[142:143], -v[6:7]
	v_add_f64 v[2:3], v[2:3], v[6:7]
	v_mul_f64 v[6:7], v[44:45], v[176:177]
	v_fma_f64 v[6:7], v[42:43], v[180:181], -v[6:7]
	v_add_f64 v[2:3], v[2:3], v[6:7]
	v_mul_f64 v[6:7], v[48:49], v[146:147]
	v_fma_f64 v[6:7], v[46:47], v[150:151], -v[6:7]
	v_add_f64 v[2:3], v[2:3], v[6:7]
	v_mul_f64 v[6:7], v[52:53], v[184:185]
	v_fma_f64 v[6:7], v[50:51], v[186:187], -v[6:7]
	v_add_f64 v[2:3], v[2:3], v[6:7]
	v_mul_f64 v[6:7], v[56:57], v[154:155]
	v_fma_f64 v[6:7], v[54:55], v[158:159], -v[6:7]
	v_add_f64 v[2:3], v[2:3], v[6:7]
	v_mul_f64 v[6:7], v[60:61], v[188:189]
	v_fma_f64 v[6:7], v[58:59], v[190:191], -v[6:7]
	v_add_f64 v[2:3], v[2:3], v[6:7]
	v_mul_f64 v[6:7], v[64:65], v[162:163]
	v_fma_f64 v[6:7], v[62:63], v[166:167], -v[6:7]
	v_add_f64 v[2:3], v[2:3], v[6:7]
	v_mul_f64 v[6:7], v[68:69], v[192:193]
	v_fma_f64 v[6:7], v[66:67], v[194:195], -v[6:7]
	v_add_f64 v[2:3], v[2:3], v[6:7]
	v_mul_f64 v[6:7], v[72:73], v[170:171]
	v_fma_f64 v[6:7], v[70:71], v[174:175], -v[6:7]
	v_add_f64 v[2:3], v[2:3], v[6:7]
	v_mul_f64 v[6:7], v[76:77], v[196:197]
	v_fma_f64 v[6:7], v[74:75], v[198:199], -v[6:7]
	v_add_f64 v[2:3], v[2:3], v[6:7]
	v_mul_f64 v[6:7], v[80:81], v[178:179]
	v_fma_f64 v[6:7], v[78:79], v[182:183], -v[6:7]
	v_add_f64 v[2:3], v[2:3], v[6:7]
	v_mul_f64 v[6:7], v[84:85], v[204:205]
	v_fma_f64 v[6:7], v[82:83], v[206:207], -v[6:7]
	v_add_f64 v[2:3], v[2:3], v[6:7]
	v_mul_f64 v[6:7], v[88:89], v[200:201]
	v_fma_f64 v[6:7], v[86:87], v[202:203], -v[6:7]
	v_add_f64 v[2:3], v[2:3], v[6:7]
	v_mul_f64 v[6:7], v[92:93], v[208:209]
	v_fma_f64 v[6:7], v[90:91], v[210:211], -v[6:7]
	v_add_f64 v[2:3], v[2:3], v[6:7]
	v_mul_f64 v[6:7], v[96:97], v[222:223]
	v_fma_f64 v[6:7], v[94:95], v[224:225], -v[6:7]
	v_add_f64 v[2:3], v[2:3], v[6:7]
	v_mul_f64 v[6:7], v[100:101], v[228:229]
	v_fma_f64 v[6:7], v[98:99], v[232:233], -v[6:7]
	v_add_f64 v[2:3], v[2:3], v[6:7]
	v_mul_f64 v[6:7], v[104:105], v[220:221]
	v_fma_f64 v[6:7], v[102:103], v[226:227], -v[6:7]
	v_add_f64 v[2:3], v[2:3], v[6:7]
	v_mul_f64 v[6:7], v[108:109], v[230:231]
	v_fma_f64 v[6:7], v[106:107], v[234:235], -v[6:7]
	v_add_f64 v[2:3], v[2:3], v[6:7]
	v_mul_f64 v[6:7], v[112:113], v[236:237]
	v_fma_f64 v[6:7], v[110:111], v[238:239], -v[6:7]
	v_add_f64 v[2:3], v[2:3], v[6:7]
	v_mul_f64 v[6:7], v[116:117], v[242:243]
	v_fma_f64 v[6:7], v[114:115], v[244:245], -v[6:7]
	v_add_f64 v[2:3], v[2:3], v[6:7]
	s_waitcnt vmcnt(2)
	v_add_f64 v[2:3], v[248:249], -v[2:3]
	v_cmp_lt_u32_e32 vcc, 9, v0
	s_waitcnt vmcnt(0)
	v_add_f64 v[4:5], v[246:247], -v[4:5]
	buffer_store_dword v3, off, s[0:3], 0 offset:180
	buffer_store_dword v2, off, s[0:3], 0 offset:176
	;; [unrolled: 1-line block ×4, first 2 shown]
	s_and_saveexec_b64 s[4:5], vcc
	s_cbranch_execz .LBB114_301
; %bb.300:
	v_accvgpr_read_b32 v0, a143
	buffer_load_dword v2, v0, s[0:3], 0 offen
	buffer_load_dword v3, v0, s[0:3], 0 offen offset:4
	buffer_load_dword v4, v0, s[0:3], 0 offen offset:8
	;; [unrolled: 1-line block ×3, first 2 shown]
	v_mov_b32_e32 v0, 0
	v_accvgpr_read_b32 v1, a153
	buffer_store_dword v0, off, s[0:3], 0 offset:160
	buffer_store_dword v0, off, s[0:3], 0 offset:164
	;; [unrolled: 1-line block ×4, first 2 shown]
	s_waitcnt vmcnt(4)
	ds_write_b128 v1, v[2:5]
.LBB114_301:
	s_or_b64 exec, exec, s[4:5]
	s_waitcnt lgkmcnt(0)
	; wave barrier
	s_waitcnt lgkmcnt(0)
	buffer_load_dword v54, off, s[0:3], 0 offset:176
	buffer_load_dword v55, off, s[0:3], 0 offset:180
	;; [unrolled: 1-line block ×46, first 2 shown]
	v_mov_b32_e32 v1, 0
	v_accvgpr_read_b32 v0, a152
	v_cmp_lt_u32_e32 vcc, 8, v0
	s_waitcnt vmcnt(0)
	v_pk_mov_b32 v[22:23], v[2:3], v[2:3] op_sel:[0,1]
	buffer_load_dword v3, off, s[0:3], 0 offset:372
	buffer_load_dword v2, off, s[0:3], 0 offset:368
	;; [unrolled: 1-line block ×3, first 2 shown]
	ds_read_b128 v[94:97], v1 offset:976
	ds_read_b128 v[108:111], v1 offset:992
	;; [unrolled: 1-line block ×11, first 2 shown]
	s_waitcnt lgkmcnt(9)
	v_mul_f64 v[4:5], v[108:109], v[62:63]
	v_fmac_f64_e32 v[4:5], v[110:111], v[58:59]
	s_waitcnt lgkmcnt(8)
	v_mul_f64 v[6:7], v[112:113], v[60:61]
	s_waitcnt lgkmcnt(7)
	v_mul_f64 v[8:9], v[212:213], v[68:69]
	v_fmac_f64_e32 v[6:7], v[114:115], v[84:85]
	s_waitcnt lgkmcnt(6)
	v_mul_f64 v[10:11], v[236:237], v[64:65]
	v_fmac_f64_e32 v[8:9], v[214:215], v[82:83]
	;; [unrolled: 3-line block ×7, first 2 shown]
	v_fmac_f64_e32 v[20:21], v[218:219], v[92:93]
	v_accvgpr_write_b32 a155, v23
	v_accvgpr_write_b32 a154, v22
	v_mul_f64 v[62:63], v[110:111], v[62:63]
	v_mul_f64 v[74:75], v[246:247], v[74:75]
	v_fma_f64 v[246:247], v[244:245], v[76:77], -v[74:75]
	v_mul_f64 v[78:79], v[250:251], v[78:79]
	v_fma_f64 v[248:249], v[248:249], v[80:81], -v[78:79]
	;; [unrolled: 2-line block ×4, first 2 shown]
	s_waitcnt vmcnt(1)
	v_pk_mov_b32 v[24:25], v[2:3], v[2:3] op_sel:[0,1]
	v_mul_f64 v[2:3], v[94:95], v[56:57]
	v_fmac_f64_e32 v[2:3], v[96:97], v[54:55]
	v_add_f64 v[2:3], v[2:3], 0
	v_add_f64 v[2:3], v[2:3], v[4:5]
	buffer_load_dword v106, off, s[0:3], 0 offset:360
	buffer_load_dword v233, off, s[0:3], 0 offset:356
	;; [unrolled: 1-line block ×75, first 2 shown]
	v_add_f64 v[2:3], v[2:3], v[6:7]
	v_add_f64 v[2:3], v[2:3], v[8:9]
	;; [unrolled: 1-line block ×3, first 2 shown]
	ds_read_b128 v[116:119], v1 offset:1152
	ds_read_b128 v[120:123], v1 offset:1168
	v_add_f64 v[2:3], v[2:3], v[12:13]
	v_add_f64 v[2:3], v[2:3], v[14:15]
	;; [unrolled: 1-line block ×5, first 2 shown]
	s_waitcnt lgkmcnt(0)
	v_mul_f64 v[12:13], v[120:121], v[22:23]
	ds_read_b128 v[196:199], v1 offset:1184
	v_fmac_f64_e32 v[12:13], v[122:123], v[24:25]
	v_accvgpr_write_b32 a157, v25
	v_accvgpr_write_b32 a156, v24
	v_mul_f64 v[56:57], v[96:97], v[56:57]
	s_waitcnt vmcnt(62)
	v_mul_f64 v[8:9], v[116:117], v[106:107]
	v_fmac_f64_e32 v[8:9], v[118:119], v[232:233]
	v_pk_mov_b32 v[26:27], v[4:5], v[4:5] op_sel:[0,1]
	v_mul_f64 v[4:5], v[98:99], v[102:103]
	v_fmac_f64_e32 v[4:5], v[100:101], v[104:105]
	v_add_f64 v[6:7], v[2:3], v[4:5]
	v_add_f64 v[10:11], v[6:7], v[8:9]
	;; [unrolled: 1-line block ×3, first 2 shown]
	ds_read_b128 v[10:13], v1 offset:1200
	s_waitcnt lgkmcnt(1)
	v_mul_f64 v[16:17], v[196:197], v[140:141]
	v_fmac_f64_e32 v[16:17], v[198:199], v[144:145]
	v_add_f64 v[18:19], v[14:15], v[16:17]
	ds_read_b128 v[14:17], v1 offset:1216
	s_waitcnt lgkmcnt(1)
	v_mul_f64 v[20:21], v[10:11], v[26:27]
	v_fmac_f64_e32 v[20:21], v[12:13], v[126:127]
	v_add_f64 v[22:23], v[18:19], v[20:21]
	ds_read_b128 v[18:21], v1 offset:1232
	s_waitcnt vmcnt(58) lgkmcnt(1)
	v_mul_f64 v[24:25], v[14:15], v[148:149]
	v_accvgpr_write_b32 a159, v27
	s_waitcnt vmcnt(56)
	v_fmac_f64_e32 v[24:25], v[16:17], v[152:153]
	v_accvgpr_write_b32 a158, v26
	s_waitcnt lgkmcnt(0)
	v_mul_f64 v[28:29], v[18:19], v[128:129]
	v_add_f64 v[26:27], v[22:23], v[24:25]
	ds_read_b128 v[22:25], v1 offset:1248
	v_fmac_f64_e32 v[28:29], v[20:21], v[130:131]
	v_add_f64 v[30:31], v[26:27], v[28:29]
	ds_read_b128 v[26:29], v1 offset:1264
	v_fma_f64 v[6:7], v[94:95], v[54:55], -v[56:57]
	s_waitcnt vmcnt(50) lgkmcnt(1)
	v_mul_f64 v[32:33], v[22:23], v[156:157]
	s_waitcnt vmcnt(48)
	v_fmac_f64_e32 v[32:33], v[24:25], v[160:161]
	v_add_f64 v[34:35], v[30:31], v[32:33]
	s_waitcnt lgkmcnt(0)
	v_mul_f64 v[36:37], v[26:27], v[132:133]
	ds_read_b128 v[30:33], v1 offset:1280
	v_fmac_f64_e32 v[36:37], v[28:29], v[134:135]
	v_add_f64 v[38:39], v[34:35], v[36:37]
	ds_read_b128 v[34:37], v1 offset:1296
	v_fma_f64 v[94:95], v[108:109], v[58:59], -v[62:63]
	s_waitcnt vmcnt(42) lgkmcnt(1)
	v_mul_f64 v[40:41], v[30:31], v[164:165]
	s_waitcnt vmcnt(40)
	v_fmac_f64_e32 v[40:41], v[32:33], v[168:169]
	v_add_f64 v[42:43], v[38:39], v[40:41]
	s_waitcnt lgkmcnt(0)
	v_mul_f64 v[44:45], v[34:35], v[136:137]
	ds_read_b128 v[38:41], v1 offset:1312
	v_fmac_f64_e32 v[44:45], v[36:37], v[138:139]
	v_add_f64 v[46:47], v[42:43], v[44:45]
	ds_read_b128 v[42:45], v1 offset:1328
	v_mul_f64 v[58:59], v[114:115], v[60:61]
	s_waitcnt vmcnt(34) lgkmcnt(1)
	v_mul_f64 v[48:49], v[38:39], v[172:173]
	s_waitcnt vmcnt(32)
	v_fmac_f64_e32 v[48:49], v[40:41], v[176:177]
	v_add_f64 v[50:51], v[46:47], v[48:49]
	s_waitcnt lgkmcnt(0)
	v_mul_f64 v[52:53], v[42:43], v[142:143]
	v_fmac_f64_e32 v[52:53], v[44:45], v[146:147]
	ds_read_b128 v[46:49], v1 offset:1344
	v_add_f64 v[200:201], v[50:51], v[52:53]
	ds_read_b128 v[50:53], v1 offset:1360
	buffer_load_dword v9, off, s[0:3], 0 offset:684
	buffer_load_dword v8, off, s[0:3], 0 offset:680
	;; [unrolled: 1-line block ×4, first 2 shown]
	v_fma_f64 v[96:97], v[112:113], v[84:85], -v[58:59]
	s_waitcnt vmcnt(30) lgkmcnt(1)
	v_mul_f64 v[202:203], v[46:47], v[180:181]
	s_waitcnt vmcnt(28)
	v_fmac_f64_e32 v[202:203], v[48:49], v[182:183]
	v_add_f64 v[234:235], v[200:201], v[202:203]
	buffer_load_dword v202, off, s[0:3], 0 offset:696
	buffer_load_dword v204, off, s[0:3], 0 offset:688
	;; [unrolled: 1-line block ×12, first 2 shown]
	ds_read_b128 v[54:57], v1 offset:1376
	buffer_load_dword v221, off, s[0:3], 0 offset:748
	buffer_load_dword v220, off, s[0:3], 0 offset:744
	buffer_load_dword v223, off, s[0:3], 0 offset:740
	buffer_load_dword v222, off, s[0:3], 0 offset:736
	buffer_load_dword v224, off, s[0:3], 0 offset:760
	buffer_load_dword v226, off, s[0:3], 0 offset:752
	buffer_load_dword v225, off, s[0:3], 0 offset:764
	buffer_load_dword v227, off, s[0:3], 0 offset:756
	buffer_load_dword v229, off, s[0:3], 0 offset:780
	buffer_load_dword v228, off, s[0:3], 0 offset:776
	buffer_load_dword v231, off, s[0:3], 0 offset:772
	buffer_load_dword v230, off, s[0:3], 0 offset:768
	s_waitcnt lgkmcnt(1)
	v_mul_f64 v[4:5], v[50:51], v[150:151]
	v_fmac_f64_e32 v[4:5], v[52:53], v[154:155]
	v_mul_f64 v[58:59], v[214:215], v[68:69]
	v_add_f64 v[4:5], v[234:235], v[4:5]
	v_fma_f64 v[2:3], v[212:213], v[82:83], -v[58:59]
	buffer_load_dword v212, off, s[0:3], 0 offset:792
	buffer_load_dword v234, off, s[0:3], 0 offset:784
	;; [unrolled: 1-line block ×4, first 2 shown]
	s_waitcnt vmcnt(50) lgkmcnt(0)
	v_mul_f64 v[58:59], v[54:55], v[184:185]
	s_waitcnt vmcnt(48)
	v_fmac_f64_e32 v[58:59], v[56:57], v[186:187]
	v_add_f64 v[4:5], v[4:5], v[58:59]
	ds_read_b128 v[58:61], v1 offset:1392
	v_mul_f64 v[62:63], v[238:239], v[64:65]
	v_fma_f64 v[236:237], v[236:237], v[66:67], -v[62:63]
	ds_read_b128 v[62:65], v1 offset:1408
	v_mul_f64 v[66:67], v[242:243], v[70:71]
	v_fma_f64 v[240:241], v[240:241], v[72:73], -v[66:67]
	ds_read_b128 v[66:69], v1 offset:1424
	ds_read_b128 v[74:77], v1 offset:1456
	s_waitcnt lgkmcnt(3)
	v_mul_f64 v[82:83], v[58:59], v[158:159]
	v_fmac_f64_e32 v[82:83], v[60:61], v[162:163]
	s_waitcnt vmcnt(42) lgkmcnt(2)
	v_mul_f64 v[70:71], v[62:63], v[188:189]
	v_add_f64 v[4:5], v[4:5], v[82:83]
	s_waitcnt vmcnt(40)
	v_fmac_f64_e32 v[70:71], v[64:65], v[190:191]
	v_add_f64 v[4:5], v[4:5], v[70:71]
	s_waitcnt lgkmcnt(1)
	v_mul_f64 v[70:71], v[66:67], v[166:167]
	v_fmac_f64_e32 v[70:71], v[68:69], v[170:171]
	v_add_f64 v[4:5], v[4:5], v[70:71]
	ds_read_b128 v[70:73], v1 offset:1440
	ds_read_b128 v[78:81], v1 offset:1472
	ds_read_b128 v[90:93], v1 offset:1520
	ds_read_b128 v[214:217], v1 offset:1536
	v_mul_f64 v[100:101], v[100:101], v[102:103]
	s_waitcnt vmcnt(34) lgkmcnt(3)
	v_mul_f64 v[82:83], v[70:71], v[192:193]
	s_waitcnt vmcnt(32)
	v_fmac_f64_e32 v[82:83], v[72:73], v[194:195]
	v_add_f64 v[4:5], v[4:5], v[82:83]
	v_mul_f64 v[82:83], v[74:75], v[174:175]
	v_fmac_f64_e32 v[82:83], v[76:77], v[178:179]
	v_add_f64 v[4:5], v[4:5], v[82:83]
	v_fma_f64 v[254:255], v[98:99], v[104:105], -v[100:101]
	ds_read_b128 v[98:101], v1 offset:1552
	v_mul_f64 v[102:103], v[118:119], v[106:107]
	v_fma_f64 v[250:251], v[116:117], v[232:233], -v[102:103]
	ds_read_b128 v[102:105], v1 offset:1568
	v_add_f64 v[6:7], v[6:7], 0
	v_add_f64 v[6:7], v[6:7], v[94:95]
	;; [unrolled: 1-line block ×9, first 2 shown]
	v_accvgpr_read_b32 v6, a154
	ds_read_b128 v[86:89], v1 offset:1504
	v_add_f64 v[2:3], v[2:3], v[218:219]
	v_accvgpr_read_b32 v7, a155
	v_accvgpr_read_b32 v94, a156
	v_add_f64 v[252:253], v[2:3], v[254:255]
	v_mul_f64 v[6:7], v[122:123], v[6:7]
	v_accvgpr_read_b32 v95, a157
	v_add_f64 v[2:3], v[252:253], v[250:251]
	v_fma_f64 v[6:7], v[120:121], v[94:95], -v[6:7]
	v_add_f64 v[2:3], v[2:3], v[6:7]
	v_mul_f64 v[6:7], v[198:199], v[140:141]
	v_fma_f64 v[6:7], v[196:197], v[144:145], -v[6:7]
	v_add_f64 v[2:3], v[2:3], v[6:7]
	v_accvgpr_read_b32 v6, a158
	v_accvgpr_read_b32 v7, a159
	v_mul_f64 v[6:7], v[12:13], v[6:7]
	s_waitcnt vmcnt(30) lgkmcnt(5)
	v_mul_f64 v[82:83], v[78:79], v[8:9]
	v_fma_f64 v[6:7], v[10:11], v[126:127], -v[6:7]
	s_waitcnt vmcnt(28)
	v_fmac_f64_e32 v[82:83], v[80:81], v[124:125]
	v_add_f64 v[4:5], v[4:5], v[82:83]
	ds_read_b128 v[82:85], v1 offset:1488
	v_add_f64 v[2:3], v[2:3], v[6:7]
	s_waitcnt vmcnt(9) lgkmcnt(3)
	v_mul_f64 v[106:107], v[98:99], v[224:225]
	s_waitcnt vmcnt(8)
	v_fmac_f64_e32 v[106:107], v[100:101], v[226:227]
	v_mul_f64 v[6:7], v[16:17], v[148:149]
	s_waitcnt lgkmcnt(0)
	v_mul_f64 v[108:109], v[82:83], v[202:203]
	v_fmac_f64_e32 v[108:109], v[84:85], v[204:205]
	v_add_f64 v[4:5], v[4:5], v[108:109]
	v_mul_f64 v[108:109], v[86:87], v[206:207]
	v_fmac_f64_e32 v[108:109], v[88:89], v[210:211]
	v_add_f64 v[4:5], v[4:5], v[108:109]
	;; [unrolled: 3-line block ×4, first 2 shown]
	v_add_f64 v[4:5], v[4:5], v[106:107]
	s_waitcnt vmcnt(6)
	v_mul_f64 v[106:107], v[102:103], v[228:229]
	s_waitcnt vmcnt(4)
	v_fmac_f64_e32 v[106:107], v[104:105], v[230:231]
	v_add_f64 v[4:5], v[4:5], v[106:107]
	ds_read_b128 v[106:109], v1 offset:1584
	v_fma_f64 v[6:7], v[14:15], v[152:153], -v[6:7]
	v_add_f64 v[2:3], v[2:3], v[6:7]
	v_mul_f64 v[6:7], v[20:21], v[128:129]
	v_fma_f64 v[6:7], v[18:19], v[130:131], -v[6:7]
	s_waitcnt vmcnt(1) lgkmcnt(0)
	v_mul_f64 v[110:111], v[106:107], v[212:213]
	s_waitcnt vmcnt(0)
	v_fmac_f64_e32 v[110:111], v[108:109], v[234:235]
	v_add_f64 v[114:115], v[4:5], v[110:111]
	buffer_load_dword v5, off, s[0:3], 0 offset:812
	buffer_load_dword v4, off, s[0:3], 0 offset:808
	;; [unrolled: 1-line block ×4, first 2 shown]
	ds_read_b128 v[110:113], v1 offset:1600
	buffer_load_dword v242, off, s[0:3], 0 offset:824
	buffer_load_dword v243, off, s[0:3], 0 offset:828
	;; [unrolled: 1-line block ×4, first 2 shown]
	v_add_f64 v[2:3], v[2:3], v[6:7]
	v_mul_f64 v[6:7], v[24:25], v[156:157]
	v_fma_f64 v[6:7], v[22:23], v[160:161], -v[6:7]
	v_add_f64 v[2:3], v[2:3], v[6:7]
	v_mul_f64 v[6:7], v[28:29], v[132:133]
	v_fma_f64 v[6:7], v[26:27], v[134:135], -v[6:7]
	v_add_f64 v[2:3], v[2:3], v[6:7]
	v_mul_f64 v[6:7], v[32:33], v[164:165]
	v_fma_f64 v[6:7], v[30:31], v[168:169], -v[6:7]
	v_add_f64 v[2:3], v[2:3], v[6:7]
	v_mul_f64 v[6:7], v[36:37], v[136:137]
	v_fma_f64 v[6:7], v[34:35], v[138:139], -v[6:7]
	v_add_f64 v[2:3], v[2:3], v[6:7]
	v_mul_f64 v[6:7], v[40:41], v[172:173]
	v_fma_f64 v[6:7], v[38:39], v[176:177], -v[6:7]
	v_add_f64 v[2:3], v[2:3], v[6:7]
	v_mul_f64 v[6:7], v[44:45], v[142:143]
	v_fma_f64 v[6:7], v[42:43], v[146:147], -v[6:7]
	v_add_f64 v[2:3], v[2:3], v[6:7]
	v_mul_f64 v[6:7], v[48:49], v[180:181]
	v_fma_f64 v[6:7], v[46:47], v[182:183], -v[6:7]
	v_add_f64 v[2:3], v[2:3], v[6:7]
	v_mul_f64 v[6:7], v[52:53], v[150:151]
	v_fma_f64 v[6:7], v[50:51], v[154:155], -v[6:7]
	v_add_f64 v[2:3], v[2:3], v[6:7]
	v_mul_f64 v[6:7], v[56:57], v[184:185]
	v_fma_f64 v[6:7], v[54:55], v[186:187], -v[6:7]
	v_add_f64 v[2:3], v[2:3], v[6:7]
	v_mul_f64 v[6:7], v[60:61], v[158:159]
	v_fma_f64 v[6:7], v[58:59], v[162:163], -v[6:7]
	v_add_f64 v[2:3], v[2:3], v[6:7]
	v_mul_f64 v[6:7], v[64:65], v[188:189]
	v_fma_f64 v[6:7], v[62:63], v[190:191], -v[6:7]
	v_add_f64 v[2:3], v[2:3], v[6:7]
	v_mul_f64 v[6:7], v[68:69], v[166:167]
	v_fma_f64 v[6:7], v[66:67], v[170:171], -v[6:7]
	v_add_f64 v[2:3], v[2:3], v[6:7]
	v_mul_f64 v[6:7], v[72:73], v[192:193]
	v_fma_f64 v[6:7], v[70:71], v[194:195], -v[6:7]
	v_add_f64 v[2:3], v[2:3], v[6:7]
	v_mul_f64 v[6:7], v[76:77], v[174:175]
	v_fma_f64 v[6:7], v[74:75], v[178:179], -v[6:7]
	v_add_f64 v[2:3], v[2:3], v[6:7]
	v_mul_f64 v[6:7], v[80:81], v[8:9]
	v_fma_f64 v[6:7], v[78:79], v[124:125], -v[6:7]
	v_add_f64 v[2:3], v[2:3], v[6:7]
	v_mul_f64 v[6:7], v[84:85], v[202:203]
	v_fma_f64 v[6:7], v[82:83], v[204:205], -v[6:7]
	v_add_f64 v[2:3], v[2:3], v[6:7]
	v_mul_f64 v[6:7], v[88:89], v[206:207]
	v_fma_f64 v[6:7], v[86:87], v[210:211], -v[6:7]
	v_add_f64 v[2:3], v[2:3], v[6:7]
	v_mul_f64 v[6:7], v[92:93], v[200:201]
	v_fma_f64 v[6:7], v[90:91], v[208:209], -v[6:7]
	v_add_f64 v[2:3], v[2:3], v[6:7]
	v_mul_f64 v[6:7], v[216:217], v[220:221]
	v_fma_f64 v[6:7], v[214:215], v[222:223], -v[6:7]
	v_add_f64 v[2:3], v[2:3], v[6:7]
	v_mul_f64 v[6:7], v[100:101], v[224:225]
	v_fma_f64 v[6:7], v[98:99], v[226:227], -v[6:7]
	v_add_f64 v[2:3], v[2:3], v[6:7]
	v_mul_f64 v[6:7], v[104:105], v[228:229]
	v_fma_f64 v[6:7], v[102:103], v[230:231], -v[6:7]
	v_add_f64 v[2:3], v[2:3], v[6:7]
	v_mul_f64 v[6:7], v[108:109], v[212:213]
	v_fma_f64 v[6:7], v[106:107], v[234:235], -v[6:7]
	v_add_f64 v[2:3], v[2:3], v[6:7]
	s_waitcnt vmcnt(6) lgkmcnt(0)
	v_mul_f64 v[116:117], v[110:111], v[4:5]
	v_mul_f64 v[4:5], v[112:113], v[4:5]
	s_waitcnt vmcnt(4)
	v_fmac_f64_e32 v[116:117], v[112:113], v[238:239]
	v_add_f64 v[118:119], v[114:115], v[116:117]
	ds_read_b128 v[114:117], v1 offset:1616
	buffer_load_dword v248, off, s[0:3], 0 offset:160
	buffer_load_dword v249, off, s[0:3], 0 offset:164
	;; [unrolled: 1-line block ×4, first 2 shown]
	v_fma_f64 v[4:5], v[110:111], v[238:239], -v[4:5]
	v_add_f64 v[2:3], v[2:3], v[4:5]
	s_waitcnt vmcnt(6) lgkmcnt(0)
	v_mul_f64 v[4:5], v[116:117], v[242:243]
	v_mul_f64 v[232:233], v[114:115], v[242:243]
	s_waitcnt vmcnt(4)
	v_fma_f64 v[4:5], v[114:115], v[244:245], -v[4:5]
	v_fmac_f64_e32 v[232:233], v[116:117], v[244:245]
	v_add_f64 v[2:3], v[2:3], v[4:5]
	v_add_f64 v[118:119], v[118:119], v[232:233]
	s_waitcnt vmcnt(2)
	v_add_f64 v[2:3], v[248:249], -v[2:3]
	s_waitcnt vmcnt(0)
	v_add_f64 v[4:5], v[246:247], -v[118:119]
	buffer_store_dword v3, off, s[0:3], 0 offset:164
	buffer_store_dword v2, off, s[0:3], 0 offset:160
	;; [unrolled: 1-line block ×4, first 2 shown]
	s_and_saveexec_b64 s[4:5], vcc
	s_cbranch_execz .LBB114_303
; %bb.302:
	v_accvgpr_read_b32 v0, a144
	buffer_load_dword v2, v0, s[0:3], 0 offen
	buffer_load_dword v3, v0, s[0:3], 0 offen offset:4
	buffer_load_dword v4, v0, s[0:3], 0 offen offset:8
	;; [unrolled: 1-line block ×3, first 2 shown]
	v_accvgpr_read_b32 v0, a153
	buffer_store_dword v1, off, s[0:3], 0 offset:144
	buffer_store_dword v1, off, s[0:3], 0 offset:148
	;; [unrolled: 1-line block ×4, first 2 shown]
	s_waitcnt vmcnt(4)
	ds_write_b128 v0, v[2:5]
.LBB114_303:
	s_or_b64 exec, exec, s[4:5]
	s_waitcnt lgkmcnt(0)
	; wave barrier
	s_waitcnt lgkmcnt(0)
	buffer_load_dword v58, off, s[0:3], 0 offset:160
	buffer_load_dword v59, off, s[0:3], 0 offset:164
	;; [unrolled: 1-line block ×42, first 2 shown]
	ds_read_b128 v[110:113], v1 offset:960
	ds_read_b128 v[114:117], v1 offset:976
	ds_read_b128 v[212:215], v1 offset:992
	ds_read_b128 v[216:219], v1 offset:1008
	ds_read_b128 v[232:235], v1 offset:1024
	ds_read_b128 v[236:239], v1 offset:1040
	ds_read_b128 v[240:243], v1 offset:1056
	ds_read_b128 v[244:247], v1 offset:1072
	ds_read_b128 v[248:251], v1 offset:1088
	ds_read_b128 v[82:85], v1 offset:1104
	buffer_load_dword v221, off, s[0:3], 0 offset:308
	buffer_load_dword v220, off, s[0:3], 0 offset:304
	ds_read_b128 v[90:93], v1 offset:1120
	buffer_load_dword v105, off, s[0:3], 0 offset:364
	buffer_load_dword v104, off, s[0:3], 0 offset:360
	;; [unrolled: 1-line block ×6, first 2 shown]
	s_waitcnt vmcnt(46) lgkmcnt(10)
	v_mul_f64 v[2:3], v[110:111], v[60:61]
	v_fmac_f64_e32 v[2:3], v[112:113], v[58:59]
	v_add_f64 v[2:3], v[2:3], 0
	v_mul_f64 v[60:61], v[112:113], v[60:61]
	s_waitcnt vmcnt(42) lgkmcnt(9)
	v_mul_f64 v[4:5], v[114:115], v[62:63]
	v_fmac_f64_e32 v[4:5], v[116:117], v[56:57]
	v_add_f64 v[2:3], v[2:3], v[4:5]
	buffer_load_dword v223, off, s[0:3], 0 offset:340
	buffer_load_dword v222, off, s[0:3], 0 offset:336
	;; [unrolled: 1-line block ×4, first 2 shown]
	s_waitcnt vmcnt(44) lgkmcnt(8)
	v_mul_f64 v[6:7], v[212:213], v[54:55]
	s_waitcnt vmcnt(42) lgkmcnt(6)
	v_mul_f64 v[10:11], v[232:233], v[64:65]
	s_waitcnt vmcnt(40)
	v_fmac_f64_e32 v[10:11], v[234:235], v[66:67]
	v_mul_f64 v[54:55], v[214:215], v[54:55]
	s_waitcnt vmcnt(38)
	v_mul_f64 v[8:9], v[216:217], v[68:69]
	s_waitcnt vmcnt(36) lgkmcnt(4)
	v_mul_f64 v[14:15], v[240:241], v[70:71]
	s_waitcnt vmcnt(34)
	v_fmac_f64_e32 v[14:15], v[242:243], v[72:73]
	s_waitcnt vmcnt(32)
	v_mul_f64 v[12:13], v[236:237], v[74:75]
	s_waitcnt vmcnt(30) lgkmcnt(2)
	v_mul_f64 v[18:19], v[248:249], v[78:79]
	v_mul_f64 v[78:79], v[250:251], v[78:79]
	s_waitcnt vmcnt(27)
	v_mul_f64 v[16:17], v[244:245], v[76:77]
	s_waitcnt vmcnt(25) lgkmcnt(1)
	v_mul_f64 v[20:21], v[82:83], v[86:87]
	s_waitcnt vmcnt(23)
	v_fmac_f64_e32 v[6:7], v[214:215], v[100:101]
	v_add_f64 v[2:3], v[2:3], v[6:7]
	s_waitcnt vmcnt(21)
	v_fmac_f64_e32 v[8:9], v[218:219], v[98:99]
	v_add_f64 v[2:3], v[2:3], v[8:9]
	;; [unrolled: 3-line block ×3, first 2 shown]
	v_add_f64 v[2:3], v[2:3], v[12:13]
	s_waitcnt vmcnt(17)
	v_fmac_f64_e32 v[16:17], v[246:247], v[88:89]
	v_add_f64 v[2:3], v[2:3], v[14:15]
	s_waitcnt vmcnt(16)
	v_fmac_f64_e32 v[18:19], v[250:251], v[80:81]
	v_add_f64 v[2:3], v[2:3], v[16:17]
	v_add_f64 v[2:3], v[2:3], v[18:19]
	v_fma_f64 v[212:213], v[212:213], v[100:101], -v[54:55]
	s_waitcnt vmcnt(10)
	v_fmac_f64_e32 v[20:21], v[84:85], v[220:221]
	v_add_f64 v[2:3], v[2:3], v[20:21]
	v_mul_f64 v[54:55], v[218:219], v[68:69]
	v_fma_f64 v[54:55], v[216:217], v[98:99], -v[54:55]
	v_fma_f64 v[248:249], v[248:249], v[80:81], -v[78:79]
	v_mul_f64 v[84:85], v[84:85], v[86:87]
	v_fma_f64 v[220:221], v[82:83], v[220:221], -v[84:85]
	s_waitcnt vmcnt(0)
	v_pk_mov_b32 v[18:19], v[4:5], v[4:5] op_sel:[0,1]
	buffer_load_dword v5, off, s[0:3], 0 offset:388
	buffer_load_dword v4, off, s[0:3], 0 offset:384
	v_accvgpr_write_b32 a155, v19
	v_accvgpr_write_b32 a154, v18
	s_waitcnt vmcnt(0)
	v_pk_mov_b32 v[22:23], v[4:5], v[4:5] op_sel:[0,1]
	buffer_load_dword v137, off, s[0:3], 0 offset:380
	buffer_load_dword v136, off, s[0:3], 0 offset:376
	;; [unrolled: 1-line block ×6, first 2 shown]
	v_accvgpr_write_b32 a157, v23
	v_accvgpr_write_b32 a156, v22
	s_waitcnt vmcnt(0)
	v_pk_mov_b32 v[26:27], v[4:5], v[4:5] op_sel:[0,1]
	buffer_load_dword v5, off, s[0:3], 0 offset:420
	buffer_load_dword v4, off, s[0:3], 0 offset:416
	v_accvgpr_write_b32 a159, v27
	v_accvgpr_write_b32 a158, v26
	s_waitcnt vmcnt(0)
	v_pk_mov_b32 v[28:29], v[4:5], v[4:5] op_sel:[0,1]
	buffer_load_dword v145, off, s[0:3], 0 offset:412
	buffer_load_dword v144, off, s[0:3], 0 offset:408
	;; [unrolled: 1-line block ×6, first 2 shown]
	v_accvgpr_write_b32 a161, v29
	v_accvgpr_write_b32 a160, v28
	s_waitcnt vmcnt(0)
	v_pk_mov_b32 v[34:35], v[4:5], v[4:5] op_sel:[0,1]
	buffer_load_dword v5, off, s[0:3], 0 offset:452
	buffer_load_dword v4, off, s[0:3], 0 offset:448
	;; [unrolled: 1-line block ×54, first 2 shown]
	ds_read_b128 v[252:255], v1 offset:1136
	ds_read_b128 v[118:121], v1 offset:1152
	ds_read_b128 v[126:129], v1 offset:1168
	ds_read_b128 v[192:195], v1 offset:1184
	ds_read_b128 v[122:125], v1 offset:1200
	v_accvgpr_write_b32 a163, v35
	s_waitcnt lgkmcnt(3)
	v_mul_f64 v[8:9], v[118:119], v[104:105]
	v_fmac_f64_e32 v[8:9], v[120:121], v[106:107]
	s_waitcnt lgkmcnt(2)
	v_mul_f64 v[12:13], v[126:127], v[136:137]
	v_fmac_f64_e32 v[12:13], v[128:129], v[140:141]
	;; [unrolled: 3-line block ×3, first 2 shown]
	v_accvgpr_write_b32 a162, v34
	s_waitcnt vmcnt(52)
	v_pk_mov_b32 v[36:37], v[4:5], v[4:5] op_sel:[0,1]
	v_mul_f64 v[4:5], v[90:91], v[96:97]
	v_fmac_f64_e32 v[4:5], v[92:93], v[102:103]
	v_add_f64 v[2:3], v[2:3], v[4:5]
	v_mul_f64 v[4:5], v[252:253], v[108:109]
	v_fmac_f64_e32 v[4:5], v[254:255], v[222:223]
	v_add_f64 v[6:7], v[2:3], v[4:5]
	v_add_f64 v[10:11], v[6:7], v[8:9]
	;; [unrolled: 1-line block ×4, first 2 shown]
	ds_read_b128 v[14:17], v1 offset:1216
	s_waitcnt lgkmcnt(1)
	v_mul_f64 v[20:21], v[122:123], v[144:145]
	v_fmac_f64_e32 v[20:21], v[124:125], v[148:149]
	v_add_f64 v[22:23], v[18:19], v[20:21]
	ds_read_b128 v[18:21], v1 offset:1232
	s_waitcnt lgkmcnt(1)
	v_mul_f64 v[24:25], v[14:15], v[26:27]
	v_fmac_f64_e32 v[24:25], v[16:17], v[28:29]
	v_add_f64 v[26:27], v[22:23], v[24:25]
	ds_read_b128 v[22:25], v1 offset:1248
	s_waitcnt vmcnt(50) lgkmcnt(1)
	v_mul_f64 v[28:29], v[18:19], v[152:153]
	s_waitcnt vmcnt(48)
	v_fmac_f64_e32 v[28:29], v[20:21], v[156:157]
	v_add_f64 v[30:31], v[26:27], v[28:29]
	ds_read_b128 v[26:29], v1 offset:1264
	s_waitcnt lgkmcnt(1)
	v_mul_f64 v[32:33], v[22:23], v[34:35]
	v_fmac_f64_e32 v[32:33], v[24:25], v[36:37]
	v_accvgpr_write_b32 a165, v37
	v_accvgpr_write_b32 a164, v36
	v_add_f64 v[34:35], v[30:31], v[32:33]
	ds_read_b128 v[30:33], v1 offset:1280
	s_waitcnt vmcnt(42) lgkmcnt(1)
	v_mul_f64 v[36:37], v[26:27], v[160:161]
	s_waitcnt vmcnt(40)
	v_fmac_f64_e32 v[36:37], v[28:29], v[164:165]
	v_add_f64 v[38:39], v[34:35], v[36:37]
	ds_read_b128 v[34:37], v1 offset:1296
	s_waitcnt lgkmcnt(1)
	v_mul_f64 v[40:41], v[30:31], v[132:133]
	v_fmac_f64_e32 v[40:41], v[32:33], v[134:135]
	v_add_f64 v[42:43], v[38:39], v[40:41]
	ds_read_b128 v[38:41], v1 offset:1312
	s_waitcnt vmcnt(34) lgkmcnt(1)
	v_mul_f64 v[44:45], v[34:35], v[168:169]
	s_waitcnt vmcnt(32)
	v_fmac_f64_e32 v[44:45], v[36:37], v[172:173]
	v_add_f64 v[46:47], v[42:43], v[44:45]
	ds_read_b128 v[42:45], v1 offset:1328
	s_waitcnt lgkmcnt(1)
	v_mul_f64 v[48:49], v[38:39], v[138:139]
	v_fmac_f64_e32 v[48:49], v[40:41], v[142:143]
	v_add_f64 v[50:51], v[46:47], v[48:49]
	ds_read_b128 v[46:49], v1 offset:1344
	s_waitcnt vmcnt(26) lgkmcnt(1)
	v_mul_f64 v[52:53], v[42:43], v[176:177]
	s_waitcnt vmcnt(24)
	v_fmac_f64_e32 v[52:53], v[44:45], v[178:179]
	v_add_f64 v[2:3], v[50:51], v[52:53]
	ds_read_b128 v[50:53], v1 offset:1360
	buffer_load_dword v13, off, s[0:3], 0 offset:668
	buffer_load_dword v12, off, s[0:3], 0 offset:664
	;; [unrolled: 1-line block ×32, first 2 shown]
	s_waitcnt lgkmcnt(1)
	v_mul_f64 v[4:5], v[46:47], v[146:147]
	v_fma_f64 v[6:7], v[110:111], v[58:59], -v[60:61]
	v_mul_f64 v[58:59], v[116:117], v[62:63]
	v_fmac_f64_e32 v[4:5], v[48:49], v[150:151]
	v_fma_f64 v[224:225], v[114:115], v[56:57], -v[58:59]
	v_add_f64 v[56:57], v[2:3], v[4:5]
	v_mul_f64 v[2:3], v[234:235], v[64:65]
	v_fma_f64 v[2:3], v[232:233], v[66:67], -v[2:3]
	buffer_load_dword v233, off, s[0:3], 0 offset:796
	buffer_load_dword v232, off, s[0:3], 0 offset:792
	;; [unrolled: 1-line block ×4, first 2 shown]
	ds_read_b128 v[8:11], v1 offset:1376
	ds_read_b128 v[58:61], v1 offset:1392
	s_waitcnt vmcnt(54) lgkmcnt(2)
	v_mul_f64 v[4:5], v[50:51], v[180:181]
	s_waitcnt vmcnt(52)
	v_fmac_f64_e32 v[4:5], v[52:53], v[182:183]
	v_add_f64 v[4:5], v[56:57], v[4:5]
	s_waitcnt lgkmcnt(1)
	v_mul_f64 v[62:63], v[8:9], v[154:155]
	v_fmac_f64_e32 v[62:63], v[10:11], v[158:159]
	v_add_f64 v[4:5], v[4:5], v[62:63]
	ds_read_b128 v[62:65], v1 offset:1408
	v_mul_f64 v[66:67], v[242:243], v[70:71]
	s_waitcnt vmcnt(46) lgkmcnt(1)
	v_mul_f64 v[70:71], v[58:59], v[184:185]
	v_fma_f64 v[240:241], v[240:241], v[72:73], -v[66:67]
	ds_read_b128 v[66:69], v1 offset:1424
	s_waitcnt vmcnt(44)
	v_fmac_f64_e32 v[70:71], v[60:61], v[186:187]
	v_add_f64 v[4:5], v[4:5], v[70:71]
	v_mul_f64 v[70:71], v[246:247], v[76:77]
	v_fma_f64 v[246:247], v[244:245], v[88:89], -v[70:71]
	ds_read_b128 v[70:73], v1 offset:1440
	ds_read_b128 v[78:81], v1 offset:1472
	v_mul_f64 v[56:57], v[238:239], v[74:75]
	s_waitcnt lgkmcnt(3)
	v_mul_f64 v[74:75], v[62:63], v[162:163]
	v_fmac_f64_e32 v[74:75], v[64:65], v[166:167]
	v_add_f64 v[4:5], v[4:5], v[74:75]
	s_waitcnt vmcnt(38) lgkmcnt(2)
	v_mul_f64 v[74:75], v[66:67], v[188:189]
	s_waitcnt vmcnt(36)
	v_fmac_f64_e32 v[74:75], v[68:69], v[190:191]
	v_add_f64 v[4:5], v[4:5], v[74:75]
	s_waitcnt lgkmcnt(1)
	v_mul_f64 v[74:75], v[70:71], v[170:171]
	v_fmac_f64_e32 v[74:75], v[72:73], v[174:175]
	v_add_f64 v[4:5], v[4:5], v[74:75]
	ds_read_b128 v[74:77], v1 offset:1456
	ds_read_b128 v[82:85], v1 offset:1488
	v_mul_f64 v[92:93], v[92:93], v[96:97]
	v_fma_f64 v[250:251], v[90:91], v[102:103], -v[92:93]
	v_fma_f64 v[56:57], v[236:237], v[94:95], -v[56:57]
	ds_read_b128 v[98:101], v1 offset:1536
	v_mul_f64 v[96:97], v[254:255], v[108:109]
	v_fma_f64 v[222:223], v[252:253], v[222:223], -v[96:97]
	v_mul_f64 v[102:103], v[120:121], v[104:105]
	v_fma_f64 v[252:253], v[118:119], v[106:107], -v[102:103]
	ds_read_b128 v[102:105], v1 offset:1568
	v_add_f64 v[6:7], v[6:7], 0
	v_add_f64 v[6:7], v[6:7], v[224:225]
	;; [unrolled: 1-line block ×8, first 2 shown]
	ds_read_b128 v[90:93], v1 offset:1520
	v_add_f64 v[2:3], v[2:3], v[248:249]
	v_add_f64 v[2:3], v[2:3], v[220:221]
	;; [unrolled: 1-line block ×4, first 2 shown]
	v_mul_f64 v[6:7], v[128:129], v[136:137]
	v_add_f64 v[2:3], v[2:3], v[252:253]
	v_fma_f64 v[6:7], v[126:127], v[140:141], -v[6:7]
	v_add_f64 v[2:3], v[2:3], v[6:7]
	s_waitcnt vmcnt(25) lgkmcnt(3)
	v_mul_f64 v[94:95], v[82:83], v[202:203]
	s_waitcnt vmcnt(23)
	v_fmac_f64_e32 v[94:95], v[84:85], v[208:209]
	v_mul_f64 v[88:89], v[74:75], v[12:13]
	v_fmac_f64_e32 v[88:89], v[76:77], v[130:131]
	v_mul_f64 v[86:87], v[78:79], v[198:199]
	v_add_f64 v[4:5], v[4:5], v[88:89]
	v_fmac_f64_e32 v[86:87], v[80:81], v[200:201]
	v_add_f64 v[4:5], v[4:5], v[86:87]
	ds_read_b128 v[86:89], v1 offset:1504
	v_add_f64 v[4:5], v[4:5], v[94:95]
	s_waitcnt vmcnt(22) lgkmcnt(0)
	v_mul_f64 v[94:95], v[86:87], v[196:197]
	s_waitcnt vmcnt(20)
	v_fmac_f64_e32 v[94:95], v[88:89], v[206:207]
	v_add_f64 v[4:5], v[4:5], v[94:95]
	s_waitcnt vmcnt(18)
	v_mul_f64 v[94:95], v[90:91], v[204:205]
	s_waitcnt vmcnt(16)
	v_fmac_f64_e32 v[94:95], v[92:93], v[210:211]
	v_add_f64 v[4:5], v[4:5], v[94:95]
	ds_read_b128 v[94:97], v1 offset:1552
	s_waitcnt vmcnt(13)
	v_mul_f64 v[106:107], v[98:99], v[214:215]
	s_waitcnt vmcnt(12)
	v_fmac_f64_e32 v[106:107], v[100:101], v[216:217]
	v_add_f64 v[4:5], v[4:5], v[106:107]
	s_waitcnt vmcnt(9) lgkmcnt(0)
	v_mul_f64 v[106:107], v[94:95], v[228:229]
	s_waitcnt vmcnt(7)
	v_fmac_f64_e32 v[106:107], v[96:97], v[230:231]
	v_add_f64 v[4:5], v[4:5], v[106:107]
	s_waitcnt vmcnt(5)
	v_mul_f64 v[106:107], v[102:103], v[218:219]
	s_waitcnt vmcnt(4)
	v_fmac_f64_e32 v[106:107], v[104:105], v[226:227]
	v_add_f64 v[4:5], v[4:5], v[106:107]
	ds_read_b128 v[106:109], v1 offset:1584
	buffer_load_dword v236, off, s[0:3], 0 offset:808
	buffer_load_dword v237, off, s[0:3], 0 offset:812
	;; [unrolled: 1-line block ×4, first 2 shown]
	s_waitcnt vmcnt(6) lgkmcnt(0)
	v_mul_f64 v[110:111], v[106:107], v[232:233]
	s_waitcnt vmcnt(4)
	v_fmac_f64_e32 v[110:111], v[108:109], v[234:235]
	v_add_f64 v[4:5], v[4:5], v[110:111]
	ds_read_b128 v[110:113], v1 offset:1600
	buffer_load_dword v243, off, s[0:3], 0 offset:828
	buffer_load_dword v242, off, s[0:3], 0 offset:824
	;; [unrolled: 1-line block ×4, first 2 shown]
	s_waitcnt vmcnt(6) lgkmcnt(0)
	v_mul_f64 v[114:115], v[110:111], v[236:237]
	s_waitcnt vmcnt(4)
	v_fmac_f64_e32 v[114:115], v[112:113], v[238:239]
	v_add_f64 v[4:5], v[4:5], v[114:115]
	ds_read_b128 v[114:117], v1 offset:1616
	buffer_load_dword v248, off, s[0:3], 0 offset:144
	buffer_load_dword v249, off, s[0:3], 0 offset:148
	;; [unrolled: 1-line block ×4, first 2 shown]
	v_accvgpr_read_b32 v0, a154
	v_accvgpr_read_b32 v1, a155
	v_mul_f64 v[6:7], v[194:195], v[0:1]
	v_accvgpr_read_b32 v0, a156
	v_accvgpr_read_b32 v1, a157
	v_fma_f64 v[6:7], v[192:193], v[0:1], -v[6:7]
	v_add_f64 v[2:3], v[2:3], v[6:7]
	v_mul_f64 v[6:7], v[124:125], v[144:145]
	v_accvgpr_read_b32 v0, a158
	v_fma_f64 v[6:7], v[122:123], v[148:149], -v[6:7]
	v_accvgpr_read_b32 v1, a159
	v_add_f64 v[2:3], v[2:3], v[6:7]
	v_mul_f64 v[6:7], v[16:17], v[0:1]
	v_accvgpr_read_b32 v0, a160
	v_accvgpr_read_b32 v1, a161
	v_fma_f64 v[6:7], v[14:15], v[0:1], -v[6:7]
	v_add_f64 v[2:3], v[2:3], v[6:7]
	v_mul_f64 v[6:7], v[20:21], v[152:153]
	v_accvgpr_read_b32 v0, a162
	v_fma_f64 v[6:7], v[18:19], v[156:157], -v[6:7]
	v_accvgpr_read_b32 v1, a163
	v_add_f64 v[2:3], v[2:3], v[6:7]
	v_mul_f64 v[6:7], v[24:25], v[0:1]
	v_accvgpr_read_b32 v0, a164
	v_accvgpr_read_b32 v1, a165
	v_fma_f64 v[6:7], v[22:23], v[0:1], -v[6:7]
	v_add_f64 v[2:3], v[2:3], v[6:7]
	v_mul_f64 v[6:7], v[28:29], v[160:161]
	v_fma_f64 v[6:7], v[26:27], v[164:165], -v[6:7]
	v_add_f64 v[2:3], v[2:3], v[6:7]
	v_mul_f64 v[6:7], v[32:33], v[132:133]
	;; [unrolled: 3-line block ×22, first 2 shown]
	v_fma_f64 v[6:7], v[110:111], v[238:239], -v[6:7]
	v_add_f64 v[2:3], v[2:3], v[6:7]
	s_waitcnt vmcnt(6) lgkmcnt(0)
	v_mul_f64 v[6:7], v[116:117], v[242:243]
	v_mul_f64 v[118:119], v[114:115], v[242:243]
	s_waitcnt vmcnt(4)
	v_fma_f64 v[6:7], v[114:115], v[244:245], -v[6:7]
	v_fmac_f64_e32 v[118:119], v[116:117], v[244:245]
	v_add_f64 v[2:3], v[2:3], v[6:7]
	v_accvgpr_read_b32 v0, a152
	v_add_f64 v[4:5], v[4:5], v[118:119]
	s_waitcnt vmcnt(2)
	v_add_f64 v[2:3], v[248:249], -v[2:3]
	v_cmp_lt_u32_e32 vcc, 7, v0
	s_waitcnt vmcnt(0)
	v_add_f64 v[4:5], v[246:247], -v[4:5]
	buffer_store_dword v3, off, s[0:3], 0 offset:148
	buffer_store_dword v2, off, s[0:3], 0 offset:144
	;; [unrolled: 1-line block ×4, first 2 shown]
	s_and_saveexec_b64 s[4:5], vcc
	s_cbranch_execz .LBB114_305
; %bb.304:
	v_accvgpr_read_b32 v0, a145
	buffer_load_dword v2, v0, s[0:3], 0 offen
	buffer_load_dword v3, v0, s[0:3], 0 offen offset:4
	buffer_load_dword v4, v0, s[0:3], 0 offen offset:8
	;; [unrolled: 1-line block ×3, first 2 shown]
	v_mov_b32_e32 v0, 0
	v_accvgpr_read_b32 v1, a153
	buffer_store_dword v0, off, s[0:3], 0 offset:128
	buffer_store_dword v0, off, s[0:3], 0 offset:132
	;; [unrolled: 1-line block ×4, first 2 shown]
	s_waitcnt vmcnt(4)
	ds_write_b128 v1, v[2:5]
.LBB114_305:
	s_or_b64 exec, exec, s[4:5]
	s_waitcnt lgkmcnt(0)
	; wave barrier
	s_waitcnt lgkmcnt(0)
	buffer_load_dword v50, off, s[0:3], 0 offset:144
	buffer_load_dword v51, off, s[0:3], 0 offset:148
	buffer_load_dword v56, off, s[0:3], 0 offset:152
	buffer_load_dword v57, off, s[0:3], 0 offset:156
	buffer_load_dword v52, off, s[0:3], 0 offset:160
	buffer_load_dword v53, off, s[0:3], 0 offset:164
	buffer_load_dword v58, off, s[0:3], 0 offset:168
	buffer_load_dword v59, off, s[0:3], 0 offset:172
	buffer_load_dword v204, off, s[0:3], 0 offset:184
	buffer_load_dword v205, off, s[0:3], 0 offset:188
	buffer_load_dword v63, off, s[0:3], 0 offset:220
	buffer_load_dword v62, off, s[0:3], 0 offset:216
	buffer_load_dword v61, off, s[0:3], 0 offset:212
	buffer_load_dword v60, off, s[0:3], 0 offset:208
	buffer_load_dword v65, off, s[0:3], 0 offset:204
	buffer_load_dword v64, off, s[0:3], 0 offset:200
	buffer_load_dword v67, off, s[0:3], 0 offset:252
	buffer_load_dword v66, off, s[0:3], 0 offset:248
	buffer_load_dword v71, off, s[0:3], 0 offset:244
	buffer_load_dword v70, off, s[0:3], 0 offset:240
	buffer_load_dword v77, off, s[0:3], 0 offset:236
	buffer_load_dword v76, off, s[0:3], 0 offset:232
	buffer_load_dword v69, off, s[0:3], 0 offset:268
	buffer_load_dword v68, off, s[0:3], 0 offset:264
	buffer_load_dword v82, off, s[0:3], 0 offset:176
	buffer_load_dword v83, off, s[0:3], 0 offset:180
	buffer_load_dword v81, off, s[0:3], 0 offset:196
	buffer_load_dword v80, off, s[0:3], 0 offset:192
	buffer_load_dword v79, off, s[0:3], 0 offset:228
	buffer_load_dword v78, off, s[0:3], 0 offset:224
	buffer_load_dword v73, off, s[0:3], 0 offset:260
	buffer_load_dword v72, off, s[0:3], 0 offset:256
	buffer_load_dword v74, off, s[0:3], 0 offset:280
	buffer_load_dword v84, off, s[0:3], 0 offset:272
	buffer_load_dword v85, off, s[0:3], 0 offset:276
	buffer_load_dword v75, off, s[0:3], 0 offset:284
	buffer_load_dword v87, off, s[0:3], 0 offset:316
	buffer_load_dword v86, off, s[0:3], 0 offset:312
	buffer_load_dword v89, off, s[0:3], 0 offset:308
	buffer_load_dword v88, off, s[0:3], 0 offset:304
	buffer_load_dword v91, off, s[0:3], 0 offset:300
	buffer_load_dword v90, off, s[0:3], 0 offset:296
	buffer_load_dword v93, off, s[0:3], 0 offset:292
	buffer_load_dword v92, off, s[0:3], 0 offset:288
	buffer_load_dword v95, off, s[0:3], 0 offset:348
	buffer_load_dword v94, off, s[0:3], 0 offset:344
	buffer_load_dword v97, off, s[0:3], 0 offset:340
	buffer_load_dword v96, off, s[0:3], 0 offset:336
	buffer_load_dword v99, off, s[0:3], 0 offset:332
	buffer_load_dword v98, off, s[0:3], 0 offset:328
	buffer_load_dword v101, off, s[0:3], 0 offset:324
	buffer_load_dword v100, off, s[0:3], 0 offset:320
	buffer_load_dword v3, off, s[0:3], 0 offset:380
	buffer_load_dword v2, off, s[0:3], 0 offset:376
	v_mov_b32_e32 v1, 0
	ds_read_b128 v[102:105], v1 offset:944
	ds_read_b128 v[106:109], v1 offset:960
	;; [unrolled: 1-line block ×9, first 2 shown]
	v_accvgpr_read_b32 v0, a152
	v_cmp_lt_u32_e32 vcc, 6, v0
	s_waitcnt vmcnt(46) lgkmcnt(7)
	v_mul_f64 v[4:5], v[106:107], v[58:59]
	v_fmac_f64_e32 v[4:5], v[108:109], v[52:53]
	s_waitcnt vmcnt(44) lgkmcnt(6)
	v_mul_f64 v[6:7], v[110:111], v[204:205]
	s_waitcnt vmcnt(42) lgkmcnt(4)
	v_mul_f64 v[10:11], v[208:209], v[62:63]
	s_waitcnt vmcnt(40)
	v_fmac_f64_e32 v[10:11], v[210:211], v[60:61]
	s_waitcnt vmcnt(38)
	v_mul_f64 v[8:9], v[114:115], v[64:65]
	s_waitcnt vmcnt(36) lgkmcnt(2)
	v_mul_f64 v[14:15], v[216:217], v[66:67]
	s_waitcnt vmcnt(34)
	v_fmac_f64_e32 v[14:15], v[218:219], v[70:71]
	s_waitcnt vmcnt(32)
	;; [unrolled: 6-line block ×3, first 2 shown]
	v_fmac_f64_e32 v[8:9], v[116:117], v[80:81]
	s_waitcnt vmcnt(24)
	v_fmac_f64_e32 v[12:13], v[214:215], v[78:79]
	s_waitcnt vmcnt(22)
	;; [unrolled: 2-line block ×3, first 2 shown]
	v_pk_mov_b32 v[18:19], v[2:3], v[2:3] op_sel:[0,1]
	v_mul_f64 v[2:3], v[102:103], v[56:57]
	v_fmac_f64_e32 v[2:3], v[104:105], v[50:51]
	v_add_f64 v[2:3], v[2:3], 0
	v_add_f64 v[2:3], v[2:3], v[4:5]
	buffer_load_dword v5, off, s[0:3], 0 offset:372
	buffer_load_dword v4, off, s[0:3], 0 offset:368
	v_add_f64 v[2:3], v[2:3], v[6:7]
	v_add_f64 v[2:3], v[2:3], v[8:9]
	;; [unrolled: 1-line block ×6, first 2 shown]
	v_accvgpr_write_b32 a155, v19
	v_accvgpr_write_b32 a154, v18
	s_waitcnt vmcnt(0)
	v_pk_mov_b32 v[14:15], v[4:5], v[4:5] op_sel:[0,1]
	buffer_load_dword v55, off, s[0:3], 0 offset:364
	buffer_load_dword v54, off, s[0:3], 0 offset:360
	;; [unrolled: 1-line block ×6, first 2 shown]
	v_accvgpr_write_b32 a157, v15
	v_accvgpr_write_b32 a156, v14
	s_waitcnt vmcnt(0)
	v_pk_mov_b32 v[22:23], v[4:5], v[4:5] op_sel:[0,1]
	buffer_load_dword v5, off, s[0:3], 0 offset:404
	buffer_load_dword v4, off, s[0:3], 0 offset:400
	v_accvgpr_write_b32 a159, v23
	v_accvgpr_write_b32 a158, v22
	s_waitcnt vmcnt(0)
	v_pk_mov_b32 v[24:25], v[4:5], v[4:5] op_sel:[0,1]
	buffer_load_dword v141, off, s[0:3], 0 offset:396
	buffer_load_dword v140, off, s[0:3], 0 offset:392
	;; [unrolled: 1-line block ×52, first 2 shown]
	ds_read_b128 v[240:243], v1 offset:1088
	ds_read_b128 v[244:247], v1 offset:1104
	;; [unrolled: 1-line block ×7, first 2 shown]
	v_accvgpr_write_b32 a161, v25
	v_accvgpr_write_b32 a160, v24
	s_waitcnt lgkmcnt(2)
	v_mul_f64 v[8:9], v[118:119], v[54:55]
	v_fmac_f64_e32 v[8:9], v[120:121], v[200:201]
	s_waitcnt lgkmcnt(1)
	v_mul_f64 v[12:13], v[126:127], v[18:19]
	v_fmac_f64_e32 v[12:13], v[128:129], v[14:15]
	v_mul_f64 v[54:55], v[120:121], v[54:55]
	s_waitcnt vmcnt(46)
	v_pk_mov_b32 v[30:31], v[4:5], v[4:5] op_sel:[0,1]
	v_mul_f64 v[4:5], v[236:237], v[74:75]
	v_fmac_f64_e32 v[4:5], v[238:239], v[84:85]
	v_add_f64 v[2:3], v[2:3], v[4:5]
	v_mul_f64 v[4:5], v[240:241], v[90:91]
	v_fmac_f64_e32 v[4:5], v[242:243], v[92:93]
	v_add_f64 v[2:3], v[2:3], v[4:5]
	;; [unrolled: 3-line block ×5, first 2 shown]
	v_add_f64 v[10:11], v[6:7], v[8:9]
	v_add_f64 v[14:15], v[10:11], v[12:13]
	ds_read_b128 v[10:13], v1 offset:1200
	s_waitcnt lgkmcnt(1)
	v_mul_f64 v[16:17], v[122:123], v[140:141]
	v_fmac_f64_e32 v[16:17], v[124:125], v[144:145]
	v_add_f64 v[18:19], v[14:15], v[16:17]
	ds_read_b128 v[14:17], v1 offset:1216
	s_waitcnt lgkmcnt(1)
	v_mul_f64 v[20:21], v[10:11], v[22:23]
	v_fmac_f64_e32 v[20:21], v[12:13], v[24:25]
	v_add_f64 v[22:23], v[18:19], v[20:21]
	ds_read_b128 v[18:21], v1 offset:1232
	s_waitcnt vmcnt(42) lgkmcnt(1)
	v_mul_f64 v[24:25], v[14:15], v[148:149]
	s_waitcnt vmcnt(40)
	v_fmac_f64_e32 v[24:25], v[16:17], v[152:153]
	v_add_f64 v[26:27], v[22:23], v[24:25]
	ds_read_b128 v[22:25], v1 offset:1248
	s_waitcnt lgkmcnt(1)
	v_mul_f64 v[28:29], v[18:19], v[30:31]
	v_accvgpr_write_b32 a163, v31
	v_fmac_f64_e32 v[28:29], v[20:21], v[130:131]
	v_accvgpr_write_b32 a162, v30
	v_add_f64 v[30:31], v[26:27], v[28:29]
	ds_read_b128 v[26:29], v1 offset:1264
	s_waitcnt vmcnt(34) lgkmcnt(1)
	v_mul_f64 v[32:33], v[22:23], v[156:157]
	s_waitcnt vmcnt(32)
	v_fmac_f64_e32 v[32:33], v[24:25], v[160:161]
	v_add_f64 v[34:35], v[30:31], v[32:33]
	ds_read_b128 v[30:33], v1 offset:1280
	s_waitcnt lgkmcnt(1)
	v_mul_f64 v[36:37], v[26:27], v[132:133]
	v_fmac_f64_e32 v[36:37], v[28:29], v[134:135]
	v_add_f64 v[38:39], v[34:35], v[36:37]
	ds_read_b128 v[34:37], v1 offset:1296
	s_waitcnt vmcnt(26) lgkmcnt(1)
	v_mul_f64 v[40:41], v[30:31], v[164:165]
	s_waitcnt vmcnt(24)
	v_fmac_f64_e32 v[40:41], v[32:33], v[166:167]
	v_add_f64 v[42:43], v[38:39], v[40:41]
	ds_read_b128 v[38:41], v1 offset:1312
	s_waitcnt lgkmcnt(1)
	v_mul_f64 v[44:45], v[34:35], v[136:137]
	v_fmac_f64_e32 v[44:45], v[36:37], v[138:139]
	v_add_f64 v[46:47], v[42:43], v[44:45]
	ds_read_b128 v[42:45], v1 offset:1328
	buffer_load_dword v181, off, s[0:3], 0 offset:636
	buffer_load_dword v183, off, s[0:3], 0 offset:620
	;; [unrolled: 1-line block ×8, first 2 shown]
	s_waitcnt vmcnt(26) lgkmcnt(1)
	v_mul_f64 v[48:49], v[38:39], v[168:169]
	s_waitcnt vmcnt(24)
	v_fmac_f64_e32 v[48:49], v[40:41], v[170:171]
	v_add_f64 v[192:193], v[46:47], v[48:49]
	ds_read_b128 v[46:49], v1 offset:1344
	buffer_load_dword v189, off, s[0:3], 0 offset:652
	buffer_load_dword v188, off, s[0:3], 0 offset:648
	;; [unrolled: 1-line block ×4, first 2 shown]
	s_waitcnt lgkmcnt(1)
	v_mul_f64 v[194:195], v[42:43], v[142:143]
	v_fmac_f64_e32 v[194:195], v[44:45], v[146:147]
	v_add_f64 v[2:3], v[192:193], v[194:195]
	buffer_load_dword v193, off, s[0:3], 0 offset:668
	buffer_load_dword v192, off, s[0:3], 0 offset:664
	buffer_load_dword v197, off, s[0:3], 0 offset:660
	buffer_load_dword v196, off, s[0:3], 0 offset:656
	buffer_load_dword v195, off, s[0:3], 0 offset:684
	buffer_load_dword v194, off, s[0:3], 0 offset:680
	buffer_load_dword v199, off, s[0:3], 0 offset:676
	buffer_load_dword v198, off, s[0:3], 0 offset:672
	v_mul_f64 v[4:5], v[104:105], v[56:57]
	buffer_load_dword v56, off, s[0:3], 0 offset:696
	buffer_load_dword v202, off, s[0:3], 0 offset:688
	;; [unrolled: 1-line block ×4, first 2 shown]
	v_fma_f64 v[6:7], v[102:103], v[50:51], -v[4:5]
	v_mul_f64 v[50:51], v[108:109], v[58:59]
	v_fma_f64 v[102:103], v[106:107], v[52:53], -v[50:51]
	v_mul_f64 v[50:51], v[112:113], v[204:205]
	v_fma_f64 v[104:105], v[110:111], v[82:83], -v[50:51]
	buffer_load_dword v205, off, s[0:3], 0 offset:716
	buffer_load_dword v204, off, s[0:3], 0 offset:712
	;; [unrolled: 1-line block ×4, first 2 shown]
	v_mul_f64 v[50:51], v[116:117], v[64:65]
	v_fma_f64 v[64:65], v[114:115], v[80:81], -v[50:51]
	v_mul_f64 v[50:51], v[210:211], v[62:63]
	buffer_load_dword v211, off, s[0:3], 0 offset:732
	buffer_load_dword v210, off, s[0:3], 0 offset:728
	;; [unrolled: 1-line block ×4, first 2 shown]
	v_fma_f64 v[62:63], v[208:209], v[60:61], -v[50:51]
	buffer_load_dword v209, off, s[0:3], 0 offset:764
	buffer_load_dword v223, off, s[0:3], 0 offset:748
	;; [unrolled: 1-line block ×12, first 2 shown]
	ds_read_b128 v[50:53], v1 offset:1360
	v_mul_f64 v[60:61], v[214:215], v[76:77]
	v_fma_f64 v[4:5], v[212:213], v[78:79], -v[60:61]
	ds_read_b128 v[212:215], v1 offset:1376
	s_waitcnt vmcnt(54) lgkmcnt(2)
	v_mul_f64 v[58:59], v[46:47], v[172:173]
	s_waitcnt vmcnt(52)
	v_fmac_f64_e32 v[58:59], v[48:49], v[174:175]
	s_waitcnt lgkmcnt(1)
	v_mul_f64 v[8:9], v[50:51], v[150:151]
	v_add_f64 v[2:3], v[2:3], v[58:59]
	v_fmac_f64_e32 v[8:9], v[52:53], v[154:155]
	v_add_f64 v[2:3], v[2:3], v[8:9]
	s_waitcnt vmcnt(46) lgkmcnt(0)
	v_mul_f64 v[8:9], v[212:213], v[176:177]
	s_waitcnt vmcnt(44)
	v_fmac_f64_e32 v[8:9], v[214:215], v[178:179]
	ds_read_b128 v[58:61], v1 offset:1392
	v_add_f64 v[2:3], v[2:3], v[8:9]
	v_mul_f64 v[8:9], v[218:219], v[66:67]
	v_fma_f64 v[8:9], v[216:217], v[70:71], -v[8:9]
	ds_read_b128 v[216:219], v1 offset:1408
	v_mul_f64 v[66:67], v[234:235], v[68:69]
	v_fma_f64 v[232:233], v[232:233], v[72:73], -v[66:67]
	ds_read_b128 v[66:69], v1 offset:1424
	s_waitcnt lgkmcnt(2)
	v_mul_f64 v[70:71], v[58:59], v[158:159]
	v_fmac_f64_e32 v[70:71], v[60:61], v[162:163]
	v_add_f64 v[2:3], v[2:3], v[70:71]
	v_mul_f64 v[74:75], v[238:239], v[74:75]
	v_fma_f64 v[234:235], v[236:237], v[84:85], -v[74:75]
	ds_read_b128 v[74:77], v1 offset:1456
	v_mul_f64 v[78:79], v[242:243], v[90:91]
	v_fma_f64 v[240:241], v[240:241], v[92:93], -v[78:79]
	v_mul_f64 v[86:87], v[246:247], v[86:87]
	v_fma_f64 v[246:247], v[244:245], v[88:89], -v[86:87]
	;; [unrolled: 2-line block ×3, first 2 shown]
	v_add_f64 v[6:7], v[6:7], 0
	v_add_f64 v[6:7], v[6:7], v[102:103]
	;; [unrolled: 1-line block ×3, first 2 shown]
	ds_read_b128 v[78:81], v1 offset:1472
	v_add_f64 v[6:7], v[6:7], v[64:65]
	v_add_f64 v[6:7], v[6:7], v[62:63]
	;; [unrolled: 1-line block ×8, first 2 shown]
	v_accvgpr_read_b32 v6, a154
	v_accvgpr_read_b32 v7, a155
	ds_read_b128 v[86:89], v1 offset:1504
	v_accvgpr_read_b32 v8, a156
	v_mul_f64 v[6:7], v[128:129], v[6:7]
	v_accvgpr_read_b32 v9, a157
	s_waitcnt vmcnt(41) lgkmcnt(4)
	v_mul_f64 v[70:71], v[216:217], v[182:183]
	v_fma_f64 v[6:7], v[126:127], v[8:9], -v[6:7]
	s_waitcnt vmcnt(39)
	v_fmac_f64_e32 v[70:71], v[218:219], v[186:187]
	v_add_f64 v[2:3], v[2:3], v[70:71]
	s_waitcnt vmcnt(38) lgkmcnt(3)
	v_mul_f64 v[70:71], v[66:67], v[180:181]
	s_waitcnt vmcnt(36)
	v_fmac_f64_e32 v[70:71], v[68:69], v[184:185]
	v_add_f64 v[2:3], v[2:3], v[70:71]
	ds_read_b128 v[70:73], v1 offset:1440
	ds_read_b128 v[94:97], v1 offset:1536
	v_accvgpr_read_b32 v8, a160
	v_accvgpr_read_b32 v9, a161
	s_waitcnt vmcnt(34) lgkmcnt(1)
	v_mul_f64 v[82:83], v[70:71], v[188:189]
	s_waitcnt vmcnt(32)
	v_fmac_f64_e32 v[82:83], v[72:73], v[190:191]
	v_add_f64 v[2:3], v[2:3], v[82:83]
	s_waitcnt vmcnt(30)
	v_mul_f64 v[82:83], v[74:75], v[192:193]
	s_waitcnt vmcnt(28)
	v_fmac_f64_e32 v[82:83], v[76:77], v[196:197]
	v_add_f64 v[2:3], v[2:3], v[82:83]
	s_waitcnt vmcnt(26)
	v_mul_f64 v[82:83], v[78:79], v[194:195]
	s_waitcnt vmcnt(24)
	v_fmac_f64_e32 v[82:83], v[80:81], v[198:199]
	v_add_f64 v[2:3], v[2:3], v[82:83]
	ds_read_b128 v[82:85], v1 offset:1488
	s_waitcnt vmcnt(21) lgkmcnt(0)
	v_mul_f64 v[90:91], v[82:83], v[56:57]
	s_waitcnt vmcnt(20)
	v_fmac_f64_e32 v[90:91], v[84:85], v[202:203]
	v_add_f64 v[106:107], v[2:3], v[90:91]
	v_mul_f64 v[90:91], v[250:251], v[98:99]
	v_fma_f64 v[248:249], v[248:249], v[100:101], -v[90:91]
	ds_read_b128 v[90:93], v1 offset:1520
	s_waitcnt vmcnt(18)
	v_mul_f64 v[98:99], v[86:87], v[204:205]
	s_waitcnt vmcnt(16)
	v_fmac_f64_e32 v[98:99], v[88:89], v[206:207]
	v_add_f64 v[98:99], v[106:107], v[98:99]
	v_fma_f64 v[250:251], v[118:119], v[200:201], -v[54:55]
	s_waitcnt vmcnt(14) lgkmcnt(0)
	v_mul_f64 v[100:101], v[90:91], v[210:211]
	s_waitcnt vmcnt(12)
	v_fmac_f64_e32 v[100:101], v[92:93], v[220:221]
	v_add_f64 v[106:107], v[98:99], v[100:101]
	ds_read_b128 v[98:101], v1 offset:1552
	ds_read_b128 v[118:121], v1 offset:1568
	s_waitcnt vmcnt(9)
	v_mul_f64 v[54:55], v[94:95], v[222:223]
	s_waitcnt vmcnt(7)
	v_fmac_f64_e32 v[54:55], v[96:97], v[228:229]
	v_add_f64 v[54:55], v[106:107], v[54:55]
	s_waitcnt vmcnt(6) lgkmcnt(1)
	v_mul_f64 v[106:107], v[98:99], v[208:209]
	s_waitcnt vmcnt(4)
	v_fmac_f64_e32 v[106:107], v[100:101], v[226:227]
	v_add_f64 v[54:55], v[54:55], v[106:107]
	s_waitcnt vmcnt(2) lgkmcnt(0)
	v_mul_f64 v[106:107], v[118:119], v[224:225]
	buffer_load_dword v2, off, s[0:3], 0 offset:792
	s_waitcnt vmcnt(1)
	v_fmac_f64_e32 v[106:107], v[120:121], v[230:231]
	v_add_f64 v[110:111], v[54:55], v[106:107]
	buffer_load_dword v54, off, s[0:3], 0 offset:784
	buffer_load_dword v3, off, s[0:3], 0 offset:796
	;; [unrolled: 1-line block ×3, first 2 shown]
	ds_read_b128 v[106:109], v1 offset:1584
	buffer_load_dword v237, off, s[0:3], 0 offset:812
	buffer_load_dword v236, off, s[0:3], 0 offset:808
	buffer_load_dword v239, off, s[0:3], 0 offset:804
	buffer_load_dword v238, off, s[0:3], 0 offset:800
	v_add_f64 v[4:5], v[4:5], v[248:249]
	v_add_f64 v[252:253], v[4:5], v[252:253]
	;; [unrolled: 1-line block ×4, first 2 shown]
	v_mul_f64 v[6:7], v[124:125], v[140:141]
	v_fma_f64 v[6:7], v[122:123], v[144:145], -v[6:7]
	v_add_f64 v[4:5], v[4:5], v[6:7]
	v_accvgpr_read_b32 v6, a158
	v_accvgpr_read_b32 v7, a159
	v_mul_f64 v[6:7], v[12:13], v[6:7]
	v_fma_f64 v[6:7], v[10:11], v[8:9], -v[6:7]
	v_add_f64 v[4:5], v[4:5], v[6:7]
	v_mul_f64 v[6:7], v[16:17], v[148:149]
	v_fma_f64 v[6:7], v[14:15], v[152:153], -v[6:7]
	v_add_f64 v[4:5], v[4:5], v[6:7]
	v_accvgpr_read_b32 v6, a162
	v_accvgpr_read_b32 v7, a163
	v_mul_f64 v[6:7], v[20:21], v[6:7]
	v_fma_f64 v[6:7], v[18:19], v[130:131], -v[6:7]
	v_add_f64 v[4:5], v[4:5], v[6:7]
	v_mul_f64 v[6:7], v[24:25], v[156:157]
	v_fma_f64 v[6:7], v[22:23], v[160:161], -v[6:7]
	v_add_f64 v[4:5], v[4:5], v[6:7]
	;; [unrolled: 3-line block ×19, first 2 shown]
	v_mul_f64 v[6:7], v[96:97], v[222:223]
	v_fma_f64 v[6:7], v[94:95], v[228:229], -v[6:7]
	s_waitcnt vmcnt(5) lgkmcnt(0)
	v_mul_f64 v[112:113], v[106:107], v[2:3]
	s_waitcnt vmcnt(4)
	v_fmac_f64_e32 v[112:113], v[108:109], v[54:55]
	v_add_f64 v[114:115], v[110:111], v[112:113]
	ds_read_b128 v[110:113], v1 offset:1600
	buffer_load_dword v242, off, s[0:3], 0 offset:824
	buffer_load_dword v243, off, s[0:3], 0 offset:828
	;; [unrolled: 1-line block ×4, first 2 shown]
	v_add_f64 v[4:5], v[4:5], v[6:7]
	v_mul_f64 v[6:7], v[100:101], v[208:209]
	v_fma_f64 v[6:7], v[98:99], v[226:227], -v[6:7]
	s_waitcnt vmcnt(6) lgkmcnt(0)
	v_mul_f64 v[116:117], v[110:111], v[236:237]
	s_waitcnt vmcnt(4)
	v_fmac_f64_e32 v[116:117], v[112:113], v[238:239]
	v_add_f64 v[200:201], v[114:115], v[116:117]
	ds_read_b128 v[114:117], v1 offset:1616
	buffer_load_dword v248, off, s[0:3], 0 offset:128
	buffer_load_dword v249, off, s[0:3], 0 offset:132
	;; [unrolled: 1-line block ×4, first 2 shown]
	v_add_f64 v[4:5], v[4:5], v[6:7]
	v_mul_f64 v[6:7], v[120:121], v[224:225]
	v_fma_f64 v[6:7], v[118:119], v[230:231], -v[6:7]
	v_mul_f64 v[2:3], v[108:109], v[2:3]
	v_add_f64 v[4:5], v[4:5], v[6:7]
	v_fma_f64 v[2:3], v[106:107], v[54:55], -v[2:3]
	v_add_f64 v[2:3], v[4:5], v[2:3]
	v_mul_f64 v[4:5], v[112:113], v[236:237]
	v_fma_f64 v[4:5], v[110:111], v[238:239], -v[4:5]
	v_add_f64 v[2:3], v[2:3], v[4:5]
	s_waitcnt vmcnt(6) lgkmcnt(0)
	v_mul_f64 v[4:5], v[116:117], v[242:243]
	v_mul_f64 v[254:255], v[114:115], v[242:243]
	s_waitcnt vmcnt(4)
	v_fma_f64 v[4:5], v[114:115], v[244:245], -v[4:5]
	v_fmac_f64_e32 v[254:255], v[116:117], v[244:245]
	v_add_f64 v[2:3], v[2:3], v[4:5]
	v_add_f64 v[200:201], v[200:201], v[254:255]
	s_waitcnt vmcnt(2)
	v_add_f64 v[2:3], v[248:249], -v[2:3]
	s_waitcnt vmcnt(0)
	v_add_f64 v[4:5], v[246:247], -v[200:201]
	buffer_store_dword v3, off, s[0:3], 0 offset:132
	buffer_store_dword v2, off, s[0:3], 0 offset:128
	;; [unrolled: 1-line block ×4, first 2 shown]
	s_and_saveexec_b64 s[4:5], vcc
	s_cbranch_execz .LBB114_307
; %bb.306:
	v_accvgpr_read_b32 v0, a146
	buffer_load_dword v2, v0, s[0:3], 0 offen
	buffer_load_dword v3, v0, s[0:3], 0 offen offset:4
	buffer_load_dword v4, v0, s[0:3], 0 offen offset:8
	;; [unrolled: 1-line block ×3, first 2 shown]
	v_accvgpr_read_b32 v0, a153
	buffer_store_dword v1, off, s[0:3], 0 offset:112
	buffer_store_dword v1, off, s[0:3], 0 offset:116
	;; [unrolled: 1-line block ×4, first 2 shown]
	s_waitcnt vmcnt(4)
	ds_write_b128 v0, v[2:5]
.LBB114_307:
	s_or_b64 exec, exec, s[4:5]
	s_waitcnt lgkmcnt(0)
	; wave barrier
	s_waitcnt lgkmcnt(0)
	buffer_load_dword v186, off, s[0:3], 0 offset:128
	buffer_load_dword v187, off, s[0:3], 0 offset:132
	;; [unrolled: 1-line block ×36, first 2 shown]
	ds_read_b128 v[82:85], v1 offset:928
	ds_read_b128 v[78:81], v1 offset:944
	ds_read_b128 v[74:77], v1 offset:960
	ds_read_b128 v[70:73], v1 offset:976
	ds_read_b128 v[62:65], v1 offset:992
	ds_read_b128 v[50:53], v1 offset:1008
	ds_read_b128 v[54:57], v1 offset:1024
	ds_read_b128 v[58:61], v1 offset:1040
	ds_read_b128 v[66:69], v1 offset:1056
	buffer_load_dword v235, off, s[0:3], 0 offset:300
	buffer_load_dword v234, off, s[0:3], 0 offset:296
	;; [unrolled: 1-line block ×19, first 2 shown]
	s_waitcnt vmcnt(51) lgkmcnt(8)
	v_mul_f64 v[2:3], v[82:83], v[194:195]
	v_fmac_f64_e32 v[2:3], v[84:85], v[186:187]
	v_add_f64 v[2:3], v[2:3], 0
	s_waitcnt vmcnt(47) lgkmcnt(7)
	v_mul_f64 v[4:5], v[78:79], v[198:199]
	v_fmac_f64_e32 v[4:5], v[80:81], v[196:197]
	v_add_f64 v[2:3], v[2:3], v[4:5]
	buffer_load_dword v244, off, s[0:3], 0 offset:352
	buffer_load_dword v99, off, s[0:3], 0 offset:348
	;; [unrolled: 1-line block ×7, first 2 shown]
	s_waitcnt vmcnt(52) lgkmcnt(6)
	v_mul_f64 v[6:7], v[74:75], v[202:203]
	s_waitcnt vmcnt(50) lgkmcnt(4)
	v_mul_f64 v[10:11], v[62:63], v[220:221]
	s_waitcnt vmcnt(48)
	v_fmac_f64_e32 v[10:11], v[64:65], v[222:223]
	v_mul_f64 v[80:81], v[80:81], v[198:199]
	s_waitcnt vmcnt(46)
	v_mul_f64 v[8:9], v[70:71], v[204:205]
	v_fma_f64 v[78:79], v[78:79], v[196:197], -v[80:81]
	s_waitcnt vmcnt(44) lgkmcnt(2)
	v_mul_f64 v[14:15], v[54:55], v[104:105]
	v_mul_f64 v[64:65], v[64:65], v[220:221]
	s_waitcnt vmcnt(42)
	v_fmac_f64_e32 v[14:15], v[56:57], v[108:109]
	v_fma_f64 v[220:221], v[62:63], v[222:223], -v[64:65]
	s_waitcnt vmcnt(40)
	v_mul_f64 v[12:13], v[50:51], v[112:113]
	s_waitcnt vmcnt(38) lgkmcnt(1)
	v_mul_f64 v[16:17], v[58:59], v[106:107]
	s_waitcnt vmcnt(36)
	v_fmac_f64_e32 v[6:7], v[76:77], v[200:201]
	v_add_f64 v[2:3], v[2:3], v[6:7]
	s_waitcnt vmcnt(34)
	v_fmac_f64_e32 v[8:9], v[72:73], v[116:117]
	v_add_f64 v[2:3], v[2:3], v[8:9]
	;; [unrolled: 3-line block ×3, first 2 shown]
	v_add_f64 v[2:3], v[2:3], v[12:13]
	s_waitcnt vmcnt(30)
	v_fmac_f64_e32 v[16:17], v[60:61], v[110:111]
	v_add_f64 v[2:3], v[2:3], v[14:15]
	v_add_f64 v[2:3], v[2:3], v[16:17]
	v_mul_f64 v[76:77], v[76:77], v[202:203]
	v_fma_f64 v[80:81], v[74:75], v[200:201], -v[76:77]
	v_mul_f64 v[72:73], v[72:73], v[204:205]
	v_mul_f64 v[52:53], v[52:53], v[112:113]
	;; [unrolled: 1-line block ×3, first 2 shown]
	v_fma_f64 v[116:117], v[70:71], v[116:117], -v[72:73]
	s_waitcnt vmcnt(0)
	v_pk_mov_b32 v[18:19], v[4:5], v[4:5] op_sel:[0,1]
	buffer_load_dword v5, off, s[0:3], 0 offset:388
	buffer_load_dword v4, off, s[0:3], 0 offset:384
	v_accvgpr_write_b32 a155, v19
	v_accvgpr_write_b32 a154, v18
	s_waitcnt vmcnt(0)
	v_pk_mov_b32 v[20:21], v[4:5], v[4:5] op_sel:[0,1]
	buffer_load_dword v137, off, s[0:3], 0 offset:380
	buffer_load_dword v136, off, s[0:3], 0 offset:376
	;; [unrolled: 1-line block ×6, first 2 shown]
	v_accvgpr_write_b32 a157, v21
	v_accvgpr_write_b32 a156, v20
	s_waitcnt vmcnt(0)
	v_pk_mov_b32 v[26:27], v[4:5], v[4:5] op_sel:[0,1]
	buffer_load_dword v5, off, s[0:3], 0 offset:420
	buffer_load_dword v4, off, s[0:3], 0 offset:416
	v_accvgpr_write_b32 a159, v27
	v_accvgpr_write_b32 a158, v26
	s_waitcnt vmcnt(0)
	v_pk_mov_b32 v[28:29], v[4:5], v[4:5] op_sel:[0,1]
	buffer_load_dword v145, off, s[0:3], 0 offset:412
	buffer_load_dword v144, off, s[0:3], 0 offset:408
	;; [unrolled: 1-line block ×6, first 2 shown]
	v_accvgpr_write_b32 a161, v29
	v_accvgpr_write_b32 a160, v28
	s_waitcnt vmcnt(0)
	v_pk_mov_b32 v[34:35], v[4:5], v[4:5] op_sel:[0,1]
	buffer_load_dword v255, off, s[0:3], 0 offset:452
	buffer_load_dword v254, off, s[0:3], 0 offset:448
	;; [unrolled: 1-line block ×38, first 2 shown]
	ds_read_b128 v[212:215], v1 offset:1072
	ds_read_b128 v[216:219], v1 offset:1088
	;; [unrolled: 1-line block ×9, first 2 shown]
	v_accvgpr_write_b32 a163, v35
	s_waitcnt lgkmcnt(3)
	v_mul_f64 v[8:9], v[94:95], v[242:243]
	v_fmac_f64_e32 v[8:9], v[96:97], v[244:245]
	s_waitcnt lgkmcnt(2)
	v_mul_f64 v[12:13], v[130:131], v[136:137]
	v_fmac_f64_e32 v[12:13], v[132:133], v[140:141]
	;; [unrolled: 3-line block ×3, first 2 shown]
	v_accvgpr_write_b32 a162, v34
	v_mul_f64 v[70:71], v[214:215], v[238:239]
	v_mul_f64 v[96:97], v[96:97], v[242:243]
	s_waitcnt vmcnt(30)
	v_pk_mov_b32 v[42:43], v[4:5], v[4:5] op_sel:[0,1]
	v_mul_f64 v[4:5], v[66:67], v[102:103]
	v_fmac_f64_e32 v[4:5], v[68:69], v[232:233]
	v_add_f64 v[2:3], v[2:3], v[4:5]
	v_mul_f64 v[4:5], v[212:213], v[238:239]
	v_fmac_f64_e32 v[4:5], v[214:215], v[240:241]
	v_add_f64 v[2:3], v[2:3], v[4:5]
	v_mul_f64 v[4:5], v[216:217], v[234:235]
	v_fmac_f64_e32 v[4:5], v[218:219], v[236:237]
	v_add_f64 v[2:3], v[2:3], v[4:5]
	v_mul_f64 v[4:5], v[118:119], v[250:251]
	v_fmac_f64_e32 v[4:5], v[120:121], v[252:253]
	v_add_f64 v[2:3], v[2:3], v[4:5]
	v_mul_f64 v[4:5], v[86:87], v[246:247]
	v_fmac_f64_e32 v[4:5], v[88:89], v[248:249]
	v_add_f64 v[2:3], v[2:3], v[4:5]
	v_mul_f64 v[4:5], v[90:91], v[98:99]
	v_fmac_f64_e32 v[4:5], v[92:93], v[100:101]
	v_add_f64 v[6:7], v[2:3], v[4:5]
	v_add_f64 v[10:11], v[6:7], v[8:9]
	v_add_f64 v[14:15], v[10:11], v[12:13]
	;; [unrolled: 1-line block ×3, first 2 shown]
	ds_read_b128 v[14:17], v1 offset:1216
	s_waitcnt lgkmcnt(1)
	v_mul_f64 v[20:21], v[122:123], v[144:145]
	v_fmac_f64_e32 v[20:21], v[124:125], v[148:149]
	v_add_f64 v[22:23], v[18:19], v[20:21]
	ds_read_b128 v[18:21], v1 offset:1232
	s_waitcnt lgkmcnt(1)
	v_mul_f64 v[24:25], v[14:15], v[26:27]
	v_fmac_f64_e32 v[24:25], v[16:17], v[28:29]
	v_add_f64 v[26:27], v[22:23], v[24:25]
	;; [unrolled: 5-line block ×4, first 2 shown]
	ds_read_b128 v[30:33], v1 offset:1280
	s_waitcnt vmcnt(26) lgkmcnt(1)
	v_mul_f64 v[36:37], v[26:27], v[160:161]
	s_waitcnt vmcnt(24)
	v_fmac_f64_e32 v[36:37], v[28:29], v[162:163]
	v_add_f64 v[38:39], v[34:35], v[36:37]
	ds_read_b128 v[34:37], v1 offset:1296
	s_waitcnt lgkmcnt(1)
	v_mul_f64 v[40:41], v[30:31], v[42:43]
	v_accvgpr_write_b32 a165, v43
	v_fmac_f64_e32 v[40:41], v[32:33], v[134:135]
	v_accvgpr_write_b32 a164, v42
	v_add_f64 v[42:43], v[38:39], v[40:41]
	ds_read_b128 v[38:41], v1 offset:1312
	s_waitcnt vmcnt(18) lgkmcnt(1)
	v_mul_f64 v[44:45], v[34:35], v[164:165]
	s_waitcnt vmcnt(16)
	v_fmac_f64_e32 v[44:45], v[36:37], v[166:167]
	v_add_f64 v[46:47], v[42:43], v[44:45]
	ds_read_b128 v[42:45], v1 offset:1328
	buffer_load_dword v177, off, s[0:3], 0 offset:604
	buffer_load_dword v176, off, s[0:3], 0 offset:600
	buffer_load_dword v179, off, s[0:3], 0 offset:596
	buffer_load_dword v178, off, s[0:3], 0 offset:592
	s_waitcnt lgkmcnt(1)
	v_mul_f64 v[48:49], v[38:39], v[138:139]
	v_fmac_f64_e32 v[48:49], v[40:41], v[142:143]
	v_add_f64 v[180:181], v[46:47], v[48:49]
	ds_read_b128 v[46:49], v1 offset:1344
	buffer_load_dword v183, off, s[0:3], 0 offset:620
	buffer_load_dword v182, off, s[0:3], 0 offset:616
	;; [unrolled: 1-line block ×4, first 2 shown]
	s_waitcnt vmcnt(18) lgkmcnt(1)
	v_mul_f64 v[188:189], v[42:43], v[168:169]
	s_waitcnt vmcnt(16)
	v_fmac_f64_e32 v[188:189], v[44:45], v[170:171]
	v_add_f64 v[2:3], v[180:181], v[188:189]
	buffer_load_dword v181, off, s[0:3], 0 offset:652
	buffer_load_dword v189, off, s[0:3], 0 offset:636
	buffer_load_dword v188, off, s[0:3], 0 offset:632
	buffer_load_dword v193, off, s[0:3], 0 offset:628
	buffer_load_dword v192, off, s[0:3], 0 offset:624
	buffer_load_dword v180, off, s[0:3], 0 offset:648
	buffer_load_dword v191, off, s[0:3], 0 offset:644
	buffer_load_dword v190, off, s[0:3], 0 offset:640
	v_mul_f64 v[4:5], v[84:85], v[194:195]
	v_fma_f64 v[10:11], v[82:83], v[186:187], -v[4:5]
	buffer_load_dword v186, off, s[0:3], 0 offset:680
	buffer_load_dword v195, off, s[0:3], 0 offset:668
	;; [unrolled: 1-line block ×20, first 2 shown]
	s_waitcnt lgkmcnt(0)
	v_mul_f64 v[8:9], v[46:47], v[146:147]
	v_fmac_f64_e32 v[8:9], v[48:49], v[150:151]
	v_fma_f64 v[6:7], v[50:51], v[114:115], -v[52:53]
	buffer_load_dword v223, off, s[0:3], 0 offset:748
	buffer_load_dword v222, off, s[0:3], 0 offset:744
	;; [unrolled: 1-line block ×12, first 2 shown]
	v_add_f64 v[2:3], v[2:3], v[8:9]
	ds_read_b128 v[50:53], v1 offset:1360
	v_mul_f64 v[8:9], v[56:57], v[104:105]
	v_fma_f64 v[8:9], v[54:55], v[108:109], -v[8:9]
	ds_read_b128 v[54:57], v1 offset:1376
	v_fma_f64 v[4:5], v[58:59], v[110:111], -v[60:61]
	ds_read_b128 v[58:61], v1 offset:1392
	s_waitcnt vmcnt(50) lgkmcnt(2)
	v_mul_f64 v[62:63], v[50:51], v[172:173]
	s_waitcnt vmcnt(48)
	v_fmac_f64_e32 v[62:63], v[52:53], v[174:175]
	s_waitcnt lgkmcnt(1)
	v_mul_f64 v[12:13], v[54:55], v[154:155]
	v_add_f64 v[2:3], v[2:3], v[62:63]
	ds_read_b128 v[62:65], v1 offset:1408
	v_fmac_f64_e32 v[12:13], v[56:57], v[158:159]
	v_add_f64 v[2:3], v[2:3], v[12:13]
	v_fma_f64 v[240:241], v[212:213], v[240:241], -v[70:71]
	v_mul_f64 v[82:83], v[218:219], v[234:235]
	v_mul_f64 v[88:89], v[88:89], v[246:247]
	v_fma_f64 v[246:247], v[86:87], v[248:249], -v[88:89]
	ds_read_b128 v[86:89], v1 offset:1520
	v_mul_f64 v[92:93], v[92:93], v[98:99]
	v_add_f64 v[10:11], v[10:11], 0
	v_add_f64 v[10:11], v[10:11], v[78:79]
	;; [unrolled: 1-line block ×8, first 2 shown]
	v_mul_f64 v[6:7], v[132:133], v[136:137]
	v_fma_f64 v[6:7], v[130:131], v[140:141], -v[6:7]
	ds_read_b128 v[70:73], v1 offset:1440
	ds_read_b128 v[212:215], v1 offset:1504
	s_waitcnt vmcnt(46) lgkmcnt(4)
	v_mul_f64 v[12:13], v[58:59], v[176:177]
	s_waitcnt vmcnt(44)
	v_fmac_f64_e32 v[12:13], v[60:61], v[178:179]
	v_add_f64 v[2:3], v[2:3], v[12:13]
	v_mul_f64 v[12:13], v[68:69], v[102:103]
	v_fma_f64 v[12:13], v[66:67], v[232:233], -v[12:13]
	ds_read_b128 v[66:69], v1 offset:1424
	s_waitcnt vmcnt(42) lgkmcnt(4)
	v_mul_f64 v[74:75], v[62:63], v[182:183]
	s_waitcnt vmcnt(40)
	v_fmac_f64_e32 v[74:75], v[64:65], v[184:185]
	v_add_f64 v[2:3], v[2:3], v[74:75]
	v_fma_f64 v[232:233], v[216:217], v[236:237], -v[82:83]
	s_waitcnt vmcnt(37) lgkmcnt(0)
	v_mul_f64 v[74:75], v[66:67], v[188:189]
	s_waitcnt vmcnt(35)
	v_fmac_f64_e32 v[74:75], v[68:69], v[192:193]
	v_add_f64 v[2:3], v[2:3], v[74:75]
	s_waitcnt vmcnt(34)
	v_mul_f64 v[74:75], v[70:71], v[180:181]
	s_waitcnt vmcnt(32)
	v_fmac_f64_e32 v[74:75], v[72:73], v[190:191]
	v_add_f64 v[2:3], v[2:3], v[74:75]
	ds_read_b128 v[74:77], v1 offset:1456
	ds_read_b128 v[216:219], v1 offset:1472
	v_add_f64 v[4:5], v[4:5], v[12:13]
	v_add_f64 v[4:5], v[4:5], v[240:241]
	;; [unrolled: 1-line block ×3, first 2 shown]
	s_waitcnt vmcnt(29) lgkmcnt(1)
	v_mul_f64 v[82:83], v[74:75], v[194:195]
	s_waitcnt vmcnt(27)
	v_fmac_f64_e32 v[82:83], v[76:77], v[198:199]
	v_add_f64 v[2:3], v[2:3], v[82:83]
	v_mul_f64 v[82:83], v[120:121], v[250:251]
	v_fma_f64 v[118:119], v[118:119], v[252:253], -v[82:83]
	ds_read_b128 v[82:85], v1 offset:1488
	s_waitcnt vmcnt(25) lgkmcnt(1)
	v_mul_f64 v[102:103], v[216:217], v[186:187]
	s_waitcnt vmcnt(24)
	v_fmac_f64_e32 v[102:103], v[218:219], v[196:197]
	v_add_f64 v[2:3], v[2:3], v[102:103]
	v_fma_f64 v[250:251], v[90:91], v[100:101], -v[92:93]
	s_waitcnt vmcnt(21) lgkmcnt(0)
	v_mul_f64 v[102:103], v[82:83], v[202:203]
	s_waitcnt vmcnt(19)
	v_fmac_f64_e32 v[102:103], v[84:85], v[208:209]
	v_add_f64 v[2:3], v[2:3], v[102:103]
	s_waitcnt vmcnt(18)
	v_mul_f64 v[102:103], v[212:213], v[200:201]
	s_waitcnt vmcnt(16)
	v_fmac_f64_e32 v[102:103], v[214:215], v[206:207]
	v_add_f64 v[2:3], v[2:3], v[102:103]
	ds_read_b128 v[98:101], v1 offset:1536
	s_waitcnt vmcnt(14)
	v_mul_f64 v[102:103], v[86:87], v[204:205]
	s_waitcnt vmcnt(12)
	v_fmac_f64_e32 v[102:103], v[88:89], v[210:211]
	v_add_f64 v[2:3], v[2:3], v[102:103]
	ds_read_b128 v[90:93], v1 offset:1552
	ds_read_b128 v[102:105], v1 offset:1568
	buffer_load_dword v121, off, s[0:3], 0 offset:796
	buffer_load_dword v120, off, s[0:3], 0 offset:792
	;; [unrolled: 1-line block ×4, first 2 shown]
	ds_read_b128 v[106:109], v1 offset:1584
	buffer_load_dword v236, off, s[0:3], 0 offset:808
	buffer_load_dword v237, off, s[0:3], 0 offset:812
	;; [unrolled: 1-line block ×4, first 2 shown]
	v_fma_f64 v[252:253], v[94:95], v[244:245], -v[96:97]
	ds_read_b128 v[110:113], v1 offset:1600
	buffer_load_dword v243, off, s[0:3], 0 offset:828
	buffer_load_dword v242, off, s[0:3], 0 offset:824
	;; [unrolled: 1-line block ×4, first 2 shown]
	s_waitcnt vmcnt(22) lgkmcnt(4)
	v_mul_f64 v[94:95], v[98:99], v[222:223]
	s_waitcnt vmcnt(20)
	v_fmac_f64_e32 v[94:95], v[100:101], v[224:225]
	v_add_f64 v[2:3], v[2:3], v[94:95]
	s_waitcnt vmcnt(17) lgkmcnt(3)
	v_mul_f64 v[94:95], v[90:91], v[228:229]
	s_waitcnt vmcnt(15)
	v_fmac_f64_e32 v[94:95], v[92:93], v[230:231]
	v_add_f64 v[2:3], v[2:3], v[94:95]
	;; [unrolled: 5-line block ×3, first 2 shown]
	v_add_f64 v[4:5], v[4:5], v[118:119]
	v_add_f64 v[118:119], v[4:5], v[246:247]
	;; [unrolled: 1-line block ×5, first 2 shown]
	s_waitcnt vmcnt(10) lgkmcnt(1)
	v_mul_f64 v[94:95], v[106:107], v[120:121]
	s_waitcnt vmcnt(8)
	v_fmac_f64_e32 v[94:95], v[108:109], v[234:235]
	v_add_f64 v[2:3], v[2:3], v[94:95]
	s_waitcnt vmcnt(6) lgkmcnt(0)
	v_mul_f64 v[94:95], v[110:111], v[236:237]
	s_waitcnt vmcnt(4)
	v_fmac_f64_e32 v[94:95], v[112:113], v[238:239]
	v_add_f64 v[2:3], v[2:3], v[94:95]
	ds_read_b128 v[94:97], v1 offset:1616
	v_accvgpr_read_b32 v0, a154
	v_accvgpr_read_b32 v1, a155
	v_mul_f64 v[6:7], v[128:129], v[0:1]
	v_accvgpr_read_b32 v0, a156
	s_waitcnt vmcnt(2) lgkmcnt(0)
	v_mul_f64 v[248:249], v[94:95], v[242:243]
	s_waitcnt vmcnt(0)
	v_fmac_f64_e32 v[248:249], v[96:97], v[244:245]
	v_add_f64 v[2:3], v[2:3], v[248:249]
	buffer_load_dword v248, off, s[0:3], 0 offset:112
	buffer_load_dword v249, off, s[0:3], 0 offset:116
	;; [unrolled: 1-line block ×4, first 2 shown]
	v_accvgpr_read_b32 v1, a157
	v_fma_f64 v[6:7], v[126:127], v[0:1], -v[6:7]
	v_add_f64 v[4:5], v[4:5], v[6:7]
	v_mul_f64 v[6:7], v[124:125], v[144:145]
	v_accvgpr_read_b32 v0, a158
	v_fma_f64 v[6:7], v[122:123], v[148:149], -v[6:7]
	v_accvgpr_read_b32 v1, a159
	v_add_f64 v[4:5], v[4:5], v[6:7]
	v_mul_f64 v[6:7], v[16:17], v[0:1]
	v_accvgpr_read_b32 v0, a160
	v_accvgpr_read_b32 v1, a161
	v_fma_f64 v[6:7], v[14:15], v[0:1], -v[6:7]
	v_add_f64 v[4:5], v[4:5], v[6:7]
	v_mul_f64 v[6:7], v[20:21], v[152:153]
	v_accvgpr_read_b32 v0, a162
	v_fma_f64 v[6:7], v[18:19], v[156:157], -v[6:7]
	v_accvgpr_read_b32 v1, a163
	v_add_f64 v[4:5], v[4:5], v[6:7]
	v_mul_f64 v[6:7], v[24:25], v[0:1]
	v_fma_f64 v[6:7], v[22:23], v[254:255], -v[6:7]
	v_add_f64 v[4:5], v[4:5], v[6:7]
	v_mul_f64 v[6:7], v[28:29], v[160:161]
	v_accvgpr_read_b32 v0, a164
	v_fma_f64 v[6:7], v[26:27], v[162:163], -v[6:7]
	v_accvgpr_read_b32 v1, a165
	v_add_f64 v[4:5], v[4:5], v[6:7]
	v_mul_f64 v[6:7], v[32:33], v[0:1]
	v_fma_f64 v[6:7], v[30:31], v[134:135], -v[6:7]
	v_add_f64 v[4:5], v[4:5], v[6:7]
	v_mul_f64 v[6:7], v[36:37], v[164:165]
	v_fma_f64 v[6:7], v[34:35], v[166:167], -v[6:7]
	v_add_f64 v[4:5], v[4:5], v[6:7]
	v_mul_f64 v[6:7], v[40:41], v[138:139]
	v_fma_f64 v[6:7], v[38:39], v[142:143], -v[6:7]
	v_add_f64 v[4:5], v[4:5], v[6:7]
	v_mul_f64 v[6:7], v[44:45], v[168:169]
	v_fma_f64 v[6:7], v[42:43], v[170:171], -v[6:7]
	v_add_f64 v[4:5], v[4:5], v[6:7]
	v_mul_f64 v[6:7], v[48:49], v[146:147]
	v_fma_f64 v[6:7], v[46:47], v[150:151], -v[6:7]
	v_add_f64 v[4:5], v[4:5], v[6:7]
	v_mul_f64 v[6:7], v[52:53], v[172:173]
	v_fma_f64 v[6:7], v[50:51], v[174:175], -v[6:7]
	v_add_f64 v[4:5], v[4:5], v[6:7]
	v_mul_f64 v[6:7], v[56:57], v[154:155]
	v_fma_f64 v[6:7], v[54:55], v[158:159], -v[6:7]
	v_add_f64 v[4:5], v[4:5], v[6:7]
	v_mul_f64 v[6:7], v[60:61], v[176:177]
	v_fma_f64 v[6:7], v[58:59], v[178:179], -v[6:7]
	v_add_f64 v[4:5], v[4:5], v[6:7]
	v_mul_f64 v[6:7], v[64:65], v[182:183]
	v_fma_f64 v[6:7], v[62:63], v[184:185], -v[6:7]
	v_add_f64 v[4:5], v[4:5], v[6:7]
	v_mul_f64 v[6:7], v[68:69], v[188:189]
	v_fma_f64 v[6:7], v[66:67], v[192:193], -v[6:7]
	v_add_f64 v[4:5], v[4:5], v[6:7]
	v_mul_f64 v[6:7], v[72:73], v[180:181]
	v_fma_f64 v[6:7], v[70:71], v[190:191], -v[6:7]
	v_add_f64 v[4:5], v[4:5], v[6:7]
	v_mul_f64 v[6:7], v[76:77], v[194:195]
	v_fma_f64 v[6:7], v[74:75], v[198:199], -v[6:7]
	v_add_f64 v[4:5], v[4:5], v[6:7]
	v_mul_f64 v[6:7], v[218:219], v[186:187]
	v_fma_f64 v[6:7], v[216:217], v[196:197], -v[6:7]
	v_add_f64 v[4:5], v[4:5], v[6:7]
	v_mul_f64 v[6:7], v[84:85], v[202:203]
	v_fma_f64 v[6:7], v[82:83], v[208:209], -v[6:7]
	v_add_f64 v[4:5], v[4:5], v[6:7]
	v_mul_f64 v[6:7], v[214:215], v[200:201]
	v_fma_f64 v[6:7], v[212:213], v[206:207], -v[6:7]
	v_add_f64 v[4:5], v[4:5], v[6:7]
	v_mul_f64 v[6:7], v[88:89], v[204:205]
	v_fma_f64 v[6:7], v[86:87], v[210:211], -v[6:7]
	v_add_f64 v[4:5], v[4:5], v[6:7]
	v_mul_f64 v[6:7], v[100:101], v[222:223]
	v_fma_f64 v[6:7], v[98:99], v[224:225], -v[6:7]
	v_add_f64 v[4:5], v[4:5], v[6:7]
	v_mul_f64 v[6:7], v[92:93], v[228:229]
	v_fma_f64 v[6:7], v[90:91], v[230:231], -v[6:7]
	v_add_f64 v[4:5], v[4:5], v[6:7]
	v_mul_f64 v[6:7], v[104:105], v[114:115]
	v_fma_f64 v[6:7], v[102:103], v[226:227], -v[6:7]
	v_add_f64 v[4:5], v[4:5], v[6:7]
	v_mul_f64 v[6:7], v[108:109], v[120:121]
	v_fma_f64 v[6:7], v[106:107], v[234:235], -v[6:7]
	v_add_f64 v[4:5], v[4:5], v[6:7]
	v_mul_f64 v[6:7], v[112:113], v[236:237]
	v_fma_f64 v[6:7], v[110:111], v[238:239], -v[6:7]
	v_add_f64 v[4:5], v[4:5], v[6:7]
	v_mul_f64 v[6:7], v[96:97], v[242:243]
	v_fma_f64 v[6:7], v[94:95], v[244:245], -v[6:7]
	v_add_f64 v[4:5], v[4:5], v[6:7]
	v_accvgpr_read_b32 v0, a152
	s_waitcnt vmcnt(2)
	v_add_f64 v[4:5], v[248:249], -v[4:5]
	v_cmp_lt_u32_e32 vcc, 5, v0
	s_waitcnt vmcnt(0)
	v_add_f64 v[2:3], v[246:247], -v[2:3]
	buffer_store_dword v5, off, s[0:3], 0 offset:116
	buffer_store_dword v4, off, s[0:3], 0 offset:112
	;; [unrolled: 1-line block ×4, first 2 shown]
	s_and_saveexec_b64 s[4:5], vcc
	s_cbranch_execz .LBB114_309
; %bb.308:
	v_accvgpr_read_b32 v0, a147
	buffer_load_dword v2, v0, s[0:3], 0 offen
	buffer_load_dword v3, v0, s[0:3], 0 offen offset:4
	buffer_load_dword v4, v0, s[0:3], 0 offen offset:8
	;; [unrolled: 1-line block ×3, first 2 shown]
	v_mov_b32_e32 v0, 0
	v_accvgpr_read_b32 v1, a153
	buffer_store_dword v0, off, s[0:3], 0 offset:96
	buffer_store_dword v0, off, s[0:3], 0 offset:100
	;; [unrolled: 1-line block ×4, first 2 shown]
	s_waitcnt vmcnt(4)
	ds_write_b128 v1, v[2:5]
.LBB114_309:
	s_or_b64 exec, exec, s[4:5]
	s_waitcnt lgkmcnt(0)
	; wave barrier
	s_waitcnt lgkmcnt(0)
	buffer_load_dword v56, off, s[0:3], 0 offset:112
	buffer_load_dword v57, off, s[0:3], 0 offset:116
	;; [unrolled: 1-line block ×36, first 2 shown]
	v_mov_b32_e32 v1, 0
	buffer_load_dword v87, off, s[0:3], 0 offset:284
	buffer_load_dword v86, off, s[0:3], 0 offset:280
	;; [unrolled: 1-line block ×18, first 2 shown]
	ds_read_b128 v[110:113], v1 offset:912
	ds_read_b128 v[114:117], v1 offset:928
	;; [unrolled: 1-line block ×9, first 2 shown]
	v_accvgpr_read_b32 v0, a152
	v_cmp_lt_u32_e32 vcc, 4, v0
	s_waitcnt vmcnt(50) lgkmcnt(8)
	v_mul_f64 v[2:3], v[110:111], v[58:59]
	v_fmac_f64_e32 v[2:3], v[112:113], v[56:57]
	v_add_f64 v[2:3], v[2:3], 0
	s_waitcnt vmcnt(46) lgkmcnt(7)
	v_mul_f64 v[4:5], v[114:115], v[54:55]
	v_fmac_f64_e32 v[4:5], v[116:117], v[52:53]
	v_add_f64 v[2:3], v[2:3], v[4:5]
	buffer_load_dword v105, off, s[0:3], 0 offset:340
	buffer_load_dword v104, off, s[0:3], 0 offset:336
	buffer_load_dword v225, off, s[0:3], 0 offset:332
	buffer_load_dword v224, off, s[0:3], 0 offset:328
	buffer_load_dword v231, off, s[0:3], 0 offset:324
	buffer_load_dword v230, off, s[0:3], 0 offset:320
	buffer_load_dword v5, off, s[0:3], 0 offset:380
	buffer_load_dword v4, off, s[0:3], 0 offset:376
	s_waitcnt vmcnt(52) lgkmcnt(6)
	v_mul_f64 v[6:7], v[196:197], v[50:51]
	s_waitcnt vmcnt(50) lgkmcnt(4)
	v_mul_f64 v[10:11], v[204:205], v[60:61]
	s_waitcnt vmcnt(48)
	v_fmac_f64_e32 v[10:11], v[206:207], v[62:63]
	s_waitcnt vmcnt(46)
	v_mul_f64 v[8:9], v[200:201], v[64:65]
	s_waitcnt vmcnt(44) lgkmcnt(2)
	v_mul_f64 v[14:15], v[212:213], v[74:75]
	s_waitcnt vmcnt(42)
	v_fmac_f64_e32 v[14:15], v[214:215], v[72:73]
	s_waitcnt vmcnt(40)
	v_mul_f64 v[12:13], v[208:209], v[76:77]
	s_waitcnt vmcnt(38) lgkmcnt(1)
	v_mul_f64 v[16:17], v[216:217], v[68:69]
	s_waitcnt vmcnt(36)
	v_fmac_f64_e32 v[6:7], v[198:199], v[82:83]
	v_add_f64 v[2:3], v[2:3], v[6:7]
	s_waitcnt vmcnt(34)
	v_fmac_f64_e32 v[8:9], v[202:203], v[80:81]
	v_add_f64 v[2:3], v[2:3], v[8:9]
	;; [unrolled: 3-line block ×3, first 2 shown]
	v_add_f64 v[2:3], v[2:3], v[12:13]
	v_add_f64 v[2:3], v[2:3], v[14:15]
	s_waitcnt vmcnt(30)
	v_fmac_f64_e32 v[16:17], v[218:219], v[70:71]
	v_add_f64 v[2:3], v[2:3], v[16:17]
	s_waitcnt vmcnt(0)
	v_pk_mov_b32 v[8:9], v[4:5], v[4:5] op_sel:[0,1]
	buffer_load_dword v5, off, s[0:3], 0 offset:372
	buffer_load_dword v4, off, s[0:3], 0 offset:368
	v_accvgpr_write_b32 a155, v9
	v_accvgpr_write_b32 a154, v8
	s_waitcnt vmcnt(0)
	v_pk_mov_b32 v[14:15], v[4:5], v[4:5] op_sel:[0,1]
	buffer_load_dword v107, off, s[0:3], 0 offset:364
	buffer_load_dword v106, off, s[0:3], 0 offset:360
	;; [unrolled: 1-line block ×6, first 2 shown]
	v_accvgpr_write_b32 a157, v15
	v_accvgpr_write_b32 a156, v14
	s_waitcnt vmcnt(0)
	v_pk_mov_b32 v[20:21], v[4:5], v[4:5] op_sel:[0,1]
	buffer_load_dword v5, off, s[0:3], 0 offset:404
	buffer_load_dword v4, off, s[0:3], 0 offset:400
	v_accvgpr_write_b32 a159, v21
	v_accvgpr_write_b32 a158, v20
	s_waitcnt vmcnt(0)
	v_pk_mov_b32 v[22:23], v[4:5], v[4:5] op_sel:[0,1]
	buffer_load_dword v141, off, s[0:3], 0 offset:396
	buffer_load_dword v140, off, s[0:3], 0 offset:392
	;; [unrolled: 1-line block ×44, first 2 shown]
	ds_read_b128 v[236:239], v1 offset:1056
	ds_read_b128 v[240:243], v1 offset:1072
	;; [unrolled: 1-line block ×10, first 2 shown]
	v_accvgpr_write_b32 a161, v23
	v_accvgpr_write_b32 a160, v22
	s_waitcnt lgkmcnt(2)
	v_mul_f64 v[10:11], v[122:123], v[8:9]
	v_fmac_f64_e32 v[10:11], v[124:125], v[14:15]
	s_waitcnt lgkmcnt(0)
	v_mul_f64 v[18:19], v[130:131], v[20:21]
	v_fmac_f64_e32 v[18:19], v[132:133], v[22:23]
	s_waitcnt vmcnt(42)
	v_mul_f64 v[14:15], v[126:127], v[140:141]
	s_waitcnt vmcnt(40)
	v_fmac_f64_e32 v[14:15], v[128:129], v[144:145]
	s_waitcnt vmcnt(38)
	v_accvgpr_write_b32 a163, v5
	v_accvgpr_write_b32 a162, v4
	s_waitcnt vmcnt(30)
	v_pk_mov_b32 v[36:37], v[6:7], v[6:7] op_sel:[0,1]
	v_mul_f64 v[6:7], v[232:233], v[66:67]
	v_fmac_f64_e32 v[6:7], v[234:235], v[84:85]
	v_add_f64 v[2:3], v[2:3], v[6:7]
	v_mul_f64 v[6:7], v[236:237], v[90:91]
	v_fmac_f64_e32 v[6:7], v[238:239], v[92:93]
	v_add_f64 v[2:3], v[2:3], v[6:7]
	;; [unrolled: 3-line block ×8, first 2 shown]
	v_add_f64 v[2:3], v[2:3], v[10:11]
	v_add_f64 v[2:3], v[2:3], v[14:15]
	ds_read_b128 v[14:17], v1 offset:1216
	v_add_f64 v[2:3], v[2:3], v[18:19]
	ds_read_b128 v[18:21], v1 offset:1232
	v_accvgpr_write_b32 a165, v37
	v_accvgpr_write_b32 a164, v36
	s_waitcnt lgkmcnt(1)
	v_mul_f64 v[22:23], v[14:15], v[148:149]
	v_fmac_f64_e32 v[22:23], v[16:17], v[152:153]
	v_add_f64 v[2:3], v[2:3], v[22:23]
	ds_read_b128 v[22:25], v1 offset:1248
	s_waitcnt lgkmcnt(1)
	v_mul_f64 v[26:27], v[18:19], v[4:5]
	v_fmac_f64_e32 v[26:27], v[20:21], v[12:13]
	v_add_f64 v[2:3], v[2:3], v[26:27]
	ds_read_b128 v[26:29], v1 offset:1264
	s_waitcnt vmcnt(26) lgkmcnt(1)
	v_mul_f64 v[30:31], v[22:23], v[156:157]
	s_waitcnt vmcnt(24)
	v_fmac_f64_e32 v[30:31], v[24:25], v[158:159]
	v_add_f64 v[2:3], v[2:3], v[30:31]
	ds_read_b128 v[30:33], v1 offset:1280
	s_waitcnt lgkmcnt(1)
	v_mul_f64 v[34:35], v[26:27], v[36:37]
	v_fmac_f64_e32 v[34:35], v[28:29], v[134:135]
	v_add_f64 v[2:3], v[2:3], v[34:35]
	ds_read_b128 v[34:37], v1 offset:1296
	s_waitcnt vmcnt(18) lgkmcnt(1)
	v_mul_f64 v[38:39], v[30:31], v[160:161]
	s_waitcnt vmcnt(16)
	;; [unrolled: 11-line block ×3, first 2 shown]
	v_fmac_f64_e32 v[46:47], v[40:41], v[166:167]
	v_add_f64 v[2:3], v[2:3], v[46:47]
	ds_read_b128 v[46:49], v1 offset:1344
	buffer_load_dword v173, off, s[0:3], 0 offset:588
	buffer_load_dword v172, off, s[0:3], 0 offset:584
	;; [unrolled: 1-line block ×4, first 2 shown]
	s_waitcnt lgkmcnt(1)
	v_mul_f64 v[174:175], v[42:43], v[142:143]
	v_fmac_f64_e32 v[174:175], v[44:45], v[146:147]
	v_add_f64 v[2:3], v[2:3], v[174:175]
	buffer_load_dword v179, off, s[0:3], 0 offset:604
	buffer_load_dword v178, off, s[0:3], 0 offset:600
	;; [unrolled: 1-line block ×20, first 2 shown]
	v_mul_f64 v[4:5], v[112:113], v[58:59]
	v_mul_f64 v[6:7], v[116:117], v[54:55]
	v_fma_f64 v[8:9], v[110:111], v[56:57], -v[4:5]
	v_fma_f64 v[110:111], v[114:115], v[52:53], -v[6:7]
	v_mul_f64 v[6:7], v[198:199], v[50:51]
	v_fma_f64 v[112:113], v[196:197], v[82:83], -v[6:7]
	buffer_load_dword v197, off, s[0:3], 0 offset:684
	buffer_load_dword v196, off, s[0:3], 0 offset:680
	;; [unrolled: 1-line block ×4, first 2 shown]
	v_mul_f64 v[6:7], v[202:203], v[64:65]
	v_fma_f64 v[114:115], v[200:201], v[80:81], -v[6:7]
	v_mul_f64 v[6:7], v[206:207], v[60:61]
	v_fma_f64 v[116:117], v[204:205], v[62:63], -v[6:7]
	buffer_load_dword v201, off, s[0:3], 0 offset:700
	buffer_load_dword v200, off, s[0:3], 0 offset:696
	;; [unrolled: 1-line block ×8, first 2 shown]
	ds_read_b128 v[50:53], v1 offset:1360
	v_mul_f64 v[54:55], v[214:215], v[74:75]
	buffer_load_dword v215, off, s[0:3], 0 offset:732
	buffer_load_dword v214, off, s[0:3], 0 offset:728
	;; [unrolled: 1-line block ×4, first 2 shown]
	v_mul_f64 v[6:7], v[210:211], v[76:77]
	v_fma_f64 v[6:7], v[208:209], v[78:79], -v[6:7]
	v_fma_f64 v[4:5], v[212:213], v[72:73], -v[54:55]
	buffer_load_dword v208, off, s[0:3], 0 offset:760
	buffer_load_dword v227, off, s[0:3], 0 offset:748
	;; [unrolled: 1-line block ×8, first 2 shown]
	v_mul_f64 v[56:57], v[218:219], v[68:69]
	v_fma_f64 v[218:219], v[216:217], v[70:71], -v[56:57]
	buffer_load_dword v211, off, s[0:3], 0 offset:780
	buffer_load_dword v210, off, s[0:3], 0 offset:776
	;; [unrolled: 1-line block ×4, first 2 shown]
	s_waitcnt vmcnt(54) lgkmcnt(1)
	v_mul_f64 v[54:55], v[46:47], v[168:169]
	s_waitcnt vmcnt(52)
	v_fmac_f64_e32 v[54:55], v[48:49], v[170:171]
	v_add_f64 v[2:3], v[2:3], v[54:55]
	s_waitcnt lgkmcnt(0)
	v_mul_f64 v[54:55], v[50:51], v[150:151]
	v_fmac_f64_e32 v[54:55], v[52:53], v[154:155]
	v_add_f64 v[2:3], v[2:3], v[54:55]
	ds_read_b128 v[54:57], v1 offset:1376
	v_mul_f64 v[58:59], v[234:235], v[66:67]
	v_fma_f64 v[232:233], v[232:233], v[84:85], -v[58:59]
	ds_read_b128 v[58:61], v1 offset:1392
	v_mul_f64 v[70:71], v[242:243], v[86:87]
	v_fma_f64 v[240:241], v[240:241], v[88:89], -v[70:71]
	;; [unrolled: 3-line block ×3, first 2 shown]
	v_mul_f64 v[86:87], v[254:255], v[224:225]
	v_fma_f64 v[252:253], v[252:253], v[230:231], -v[86:87]
	ds_read_b128 v[86:89], v1 offset:1504
	v_mul_f64 v[94:95], v[120:121], v[94:95]
	v_fma_f64 v[254:255], v[118:119], v[104:105], -v[94:95]
	ds_read_b128 v[94:97], v1 offset:1536
	v_mul_f64 v[98:99], v[222:223], v[106:107]
	v_fma_f64 v[98:99], v[220:221], v[108:109], -v[98:99]
	v_accvgpr_write_b32 a167, v99
	v_accvgpr_write_b32 a166, v98
	v_add_f64 v[8:9], v[8:9], 0
	v_add_f64 v[8:9], v[8:9], v[110:111]
	;; [unrolled: 1-line block ×9, first 2 shown]
	v_accvgpr_read_b32 v6, a154
	v_accvgpr_read_b32 v7, a155
	;; [unrolled: 1-line block ×3, first 2 shown]
	v_mul_f64 v[6:7], v[124:125], v[6:7]
	v_accvgpr_read_b32 v9, a157
	v_fma_f64 v[6:7], v[122:123], v[8:9], -v[6:7]
	v_accvgpr_read_b32 v8, a160
	v_accvgpr_read_b32 v9, a161
	ds_read_b128 v[82:85], v1 offset:1488
	s_waitcnt vmcnt(50) lgkmcnt(5)
	v_mul_f64 v[62:63], v[54:55], v[172:173]
	s_waitcnt vmcnt(48)
	v_fmac_f64_e32 v[62:63], v[56:57], v[176:177]
	v_add_f64 v[2:3], v[2:3], v[62:63]
	v_mul_f64 v[62:63], v[238:239], v[90:91]
	v_fma_f64 v[234:235], v[236:237], v[92:93], -v[62:63]
	ds_read_b128 v[62:65], v1 offset:1408
	s_waitcnt vmcnt(46) lgkmcnt(5)
	v_mul_f64 v[66:67], v[58:59], v[178:179]
	s_waitcnt vmcnt(44)
	v_fmac_f64_e32 v[66:67], v[60:61], v[180:181]
	v_add_f64 v[2:3], v[2:3], v[66:67]
	ds_read_b128 v[66:69], v1 offset:1424
	s_waitcnt vmcnt(41) lgkmcnt(1)
	v_mul_f64 v[74:75], v[62:63], v[184:185]
	s_waitcnt vmcnt(39)
	v_fmac_f64_e32 v[74:75], v[64:65], v[188:189]
	v_add_f64 v[2:3], v[2:3], v[74:75]
	v_mul_f64 v[74:75], v[246:247], v[100:101]
	v_fma_f64 v[246:247], v[244:245], v[102:103], -v[74:75]
	ds_read_b128 v[74:77], v1 offset:1456
	s_waitcnt vmcnt(38) lgkmcnt(1)
	v_mul_f64 v[78:79], v[66:67], v[174:175]
	s_waitcnt vmcnt(36)
	v_fmac_f64_e32 v[78:79], v[68:69], v[186:187]
	v_add_f64 v[2:3], v[2:3], v[78:79]
	s_waitcnt vmcnt(33)
	v_mul_f64 v[78:79], v[70:71], v[192:193]
	s_waitcnt vmcnt(31)
	v_fmac_f64_e32 v[78:79], v[72:73], v[194:195]
	v_add_f64 v[2:3], v[2:3], v[78:79]
	s_waitcnt vmcnt(29) lgkmcnt(0)
	v_mul_f64 v[78:79], v[74:75], v[182:183]
	s_waitcnt vmcnt(28)
	v_fmac_f64_e32 v[78:79], v[76:77], v[190:191]
	v_add_f64 v[2:3], v[2:3], v[78:79]
	ds_read_b128 v[78:81], v1 offset:1472
	ds_read_b128 v[98:101], v1 offset:1552
	v_add_f64 v[4:5], v[4:5], v[234:235]
	v_add_f64 v[4:5], v[4:5], v[240:241]
	;; [unrolled: 1-line block ×3, first 2 shown]
	s_waitcnt vmcnt(26) lgkmcnt(1)
	v_mul_f64 v[90:91], v[78:79], v[196:197]
	s_waitcnt vmcnt(24)
	v_fmac_f64_e32 v[90:91], v[80:81], v[198:199]
	v_add_f64 v[2:3], v[2:3], v[90:91]
	s_waitcnt vmcnt(22)
	v_mul_f64 v[90:91], v[82:83], v[200:201]
	s_waitcnt vmcnt(20)
	v_fmac_f64_e32 v[90:91], v[84:85], v[204:205]
	v_add_f64 v[2:3], v[2:3], v[90:91]
	s_waitcnt vmcnt(18)
	v_mul_f64 v[90:91], v[86:87], v[202:203]
	s_waitcnt vmcnt(16)
	v_fmac_f64_e32 v[90:91], v[88:89], v[206:207]
	v_add_f64 v[2:3], v[2:3], v[90:91]
	ds_read_b128 v[90:93], v1 offset:1520
	v_add_f64 v[4:5], v[4:5], v[248:249]
	v_add_f64 v[4:5], v[4:5], v[252:253]
	;; [unrolled: 1-line block ×3, first 2 shown]
	v_accvgpr_read_b32 v4, a166
	s_waitcnt vmcnt(14) lgkmcnt(0)
	v_mul_f64 v[102:103], v[90:91], v[214:215]
	s_waitcnt vmcnt(12)
	v_fmac_f64_e32 v[102:103], v[92:93], v[10:11]
	v_add_f64 v[2:3], v[2:3], v[102:103]
	s_waitcnt vmcnt(9)
	v_mul_f64 v[102:103], v[94:95], v[226:227]
	s_waitcnt vmcnt(7)
	v_fmac_f64_e32 v[102:103], v[96:97], v[228:229]
	v_add_f64 v[2:3], v[2:3], v[102:103]
	s_waitcnt vmcnt(5)
	v_mul_f64 v[102:103], v[98:99], v[208:209]
	s_waitcnt vmcnt(4)
	v_fmac_f64_e32 v[102:103], v[100:101], v[212:213]
	v_add_f64 v[2:3], v[2:3], v[102:103]
	ds_read_b128 v[102:105], v1 offset:1568
	v_accvgpr_read_b32 v5, a167
	v_add_f64 v[4:5], v[252:253], v[4:5]
	v_add_f64 v[4:5], v[4:5], v[6:7]
	v_mul_f64 v[6:7], v[128:129], v[140:141]
	s_waitcnt vmcnt(2) lgkmcnt(0)
	v_mul_f64 v[106:107], v[102:103], v[210:211]
	s_waitcnt vmcnt(0)
	v_fmac_f64_e32 v[106:107], v[104:105], v[216:217]
	v_add_f64 v[118:119], v[2:3], v[106:107]
	buffer_load_dword v2, off, s[0:3], 0 offset:792
	buffer_load_dword v3, off, s[0:3], 0 offset:796
	;; [unrolled: 1-line block ×4, first 2 shown]
	ds_read_b128 v[106:109], v1 offset:1584
	buffer_load_dword v237, off, s[0:3], 0 offset:812
	buffer_load_dword v236, off, s[0:3], 0 offset:808
	;; [unrolled: 1-line block ×4, first 2 shown]
	v_fma_f64 v[6:7], v[126:127], v[144:145], -v[6:7]
	v_add_f64 v[4:5], v[4:5], v[6:7]
	v_accvgpr_read_b32 v6, a158
	v_accvgpr_read_b32 v7, a159
	v_mul_f64 v[6:7], v[132:133], v[6:7]
	v_fma_f64 v[6:7], v[130:131], v[8:9], -v[6:7]
	v_add_f64 v[4:5], v[4:5], v[6:7]
	v_mul_f64 v[6:7], v[16:17], v[148:149]
	v_fma_f64 v[6:7], v[14:15], v[152:153], -v[6:7]
	v_add_f64 v[4:5], v[4:5], v[6:7]
	v_accvgpr_read_b32 v6, a162
	v_accvgpr_read_b32 v7, a163
	v_mul_f64 v[6:7], v[20:21], v[6:7]
	v_fma_f64 v[6:7], v[18:19], v[12:13], -v[6:7]
	v_add_f64 v[4:5], v[4:5], v[6:7]
	v_mul_f64 v[6:7], v[24:25], v[156:157]
	;; [unrolled: 8-line block ×3, first 2 shown]
	v_fma_f64 v[6:7], v[30:31], v[162:163], -v[6:7]
	v_add_f64 v[4:5], v[4:5], v[6:7]
	v_mul_f64 v[6:7], v[36:37], v[136:137]
	v_fma_f64 v[6:7], v[34:35], v[138:139], -v[6:7]
	v_add_f64 v[4:5], v[4:5], v[6:7]
	v_mul_f64 v[6:7], v[40:41], v[164:165]
	;; [unrolled: 3-line block ×17, first 2 shown]
	s_waitcnt vmcnt(6) lgkmcnt(0)
	v_mul_f64 v[120:121], v[106:107], v[2:3]
	v_fma_f64 v[6:7], v[98:99], v[212:213], -v[6:7]
	s_waitcnt vmcnt(4)
	v_fmac_f64_e32 v[120:121], v[108:109], v[224:225]
	v_add_f64 v[220:221], v[118:119], v[120:121]
	ds_read_b128 v[118:121], v1 offset:1600
	buffer_load_dword v242, off, s[0:3], 0 offset:824
	buffer_load_dword v243, off, s[0:3], 0 offset:828
	;; [unrolled: 1-line block ×4, first 2 shown]
	v_add_f64 v[4:5], v[4:5], v[6:7]
	v_mul_f64 v[6:7], v[104:105], v[210:211]
	v_fma_f64 v[6:7], v[102:103], v[216:217], -v[6:7]
	s_waitcnt vmcnt(6) lgkmcnt(0)
	v_mul_f64 v[222:223], v[118:119], v[236:237]
	s_waitcnt vmcnt(4)
	v_fmac_f64_e32 v[222:223], v[120:121], v[238:239]
	v_add_f64 v[230:231], v[220:221], v[222:223]
	ds_read_b128 v[220:223], v1 offset:1616
	buffer_load_dword v248, off, s[0:3], 0 offset:96
	buffer_load_dword v249, off, s[0:3], 0 offset:100
	;; [unrolled: 1-line block ×4, first 2 shown]
	v_mul_f64 v[2:3], v[108:109], v[2:3]
	v_add_f64 v[4:5], v[4:5], v[6:7]
	v_fma_f64 v[2:3], v[106:107], v[224:225], -v[2:3]
	v_add_f64 v[2:3], v[4:5], v[2:3]
	v_mul_f64 v[4:5], v[120:121], v[236:237]
	v_fma_f64 v[4:5], v[118:119], v[238:239], -v[4:5]
	v_add_f64 v[2:3], v[2:3], v[4:5]
	s_waitcnt vmcnt(6) lgkmcnt(0)
	v_mul_f64 v[4:5], v[222:223], v[242:243]
	v_mul_f64 v[250:251], v[220:221], v[242:243]
	s_waitcnt vmcnt(4)
	v_fma_f64 v[4:5], v[220:221], v[244:245], -v[4:5]
	v_fmac_f64_e32 v[250:251], v[222:223], v[244:245]
	v_add_f64 v[2:3], v[2:3], v[4:5]
	v_add_f64 v[230:231], v[230:231], v[250:251]
	s_waitcnt vmcnt(2)
	v_add_f64 v[2:3], v[248:249], -v[2:3]
	s_waitcnt vmcnt(0)
	v_add_f64 v[4:5], v[246:247], -v[230:231]
	buffer_store_dword v3, off, s[0:3], 0 offset:100
	buffer_store_dword v2, off, s[0:3], 0 offset:96
	;; [unrolled: 1-line block ×4, first 2 shown]
	s_and_saveexec_b64 s[4:5], vcc
	s_cbranch_execz .LBB114_311
; %bb.310:
	v_accvgpr_read_b32 v0, a148
	buffer_load_dword v2, v0, s[0:3], 0 offen
	buffer_load_dword v3, v0, s[0:3], 0 offen offset:4
	buffer_load_dword v4, v0, s[0:3], 0 offen offset:8
	;; [unrolled: 1-line block ×3, first 2 shown]
	v_accvgpr_read_b32 v0, a153
	buffer_store_dword v1, off, s[0:3], 0 offset:80
	buffer_store_dword v1, off, s[0:3], 0 offset:84
	;; [unrolled: 1-line block ×4, first 2 shown]
	s_waitcnt vmcnt(4)
	ds_write_b128 v0, v[2:5]
.LBB114_311:
	s_or_b64 exec, exec, s[4:5]
	s_waitcnt lgkmcnt(0)
	; wave barrier
	s_waitcnt lgkmcnt(0)
	buffer_load_dword v60, off, s[0:3], 0 offset:96
	buffer_load_dword v61, off, s[0:3], 0 offset:100
	;; [unrolled: 1-line block ×42, first 2 shown]
	ds_read_b128 v[114:117], v1 offset:896
	ds_read_b128 v[182:185], v1 offset:912
	;; [unrolled: 1-line block ×10, first 2 shown]
	buffer_load_dword v221, off, s[0:3], 0 offset:244
	buffer_load_dword v220, off, s[0:3], 0 offset:240
	ds_read_b128 v[62:65], v1 offset:1056
	buffer_load_dword v101, off, s[0:3], 0 offset:300
	buffer_load_dword v100, off, s[0:3], 0 offset:296
	;; [unrolled: 1-line block ×6, first 2 shown]
	s_waitcnt vmcnt(46) lgkmcnt(10)
	v_mul_f64 v[2:3], v[114:115], v[176:177]
	v_fmac_f64_e32 v[2:3], v[116:117], v[60:61]
	v_add_f64 v[2:3], v[2:3], 0
	s_waitcnt vmcnt(42) lgkmcnt(9)
	v_mul_f64 v[4:5], v[182:183], v[58:59]
	v_fmac_f64_e32 v[4:5], v[184:185], v[50:51]
	v_add_f64 v[2:3], v[2:3], v[4:5]
	buffer_load_dword v223, off, s[0:3], 0 offset:276
	buffer_load_dword v222, off, s[0:3], 0 offset:272
	;; [unrolled: 1-line block ×20, first 2 shown]
	s_waitcnt vmcnt(60) lgkmcnt(8)
	v_mul_f64 v[6:7], v[186:187], v[52:53]
	s_waitcnt vmcnt(58) lgkmcnt(6)
	v_mul_f64 v[10:11], v[200:201], v[68:69]
	s_waitcnt vmcnt(56)
	v_fmac_f64_e32 v[10:11], v[202:203], v[70:71]
	v_mul_f64 v[58:59], v[184:185], v[58:59]
	s_waitcnt vmcnt(54)
	v_mul_f64 v[8:9], v[194:195], v[72:73]
	s_waitcnt vmcnt(52) lgkmcnt(4)
	v_mul_f64 v[14:15], v[208:209], v[74:75]
	s_waitcnt vmcnt(50)
	v_fmac_f64_e32 v[14:15], v[210:211], v[76:77]
	s_waitcnt vmcnt(48)
	v_mul_f64 v[12:13], v[204:205], v[78:79]
	s_waitcnt vmcnt(46) lgkmcnt(2)
	v_mul_f64 v[18:19], v[216:217], v[82:83]
	s_waitcnt vmcnt(43)
	v_mul_f64 v[16:17], v[212:213], v[86:87]
	s_waitcnt vmcnt(41) lgkmcnt(1)
	v_mul_f64 v[20:21], v[54:55], v[80:81]
	s_waitcnt vmcnt(39)
	v_fmac_f64_e32 v[6:7], v[188:189], v[96:97]
	v_add_f64 v[2:3], v[2:3], v[6:7]
	s_waitcnt vmcnt(37)
	v_fmac_f64_e32 v[8:9], v[196:197], v[92:93]
	v_add_f64 v[2:3], v[2:3], v[8:9]
	;; [unrolled: 3-line block ×3, first 2 shown]
	v_add_f64 v[2:3], v[2:3], v[12:13]
	s_waitcnt vmcnt(33)
	v_fmac_f64_e32 v[16:17], v[214:215], v[88:89]
	v_add_f64 v[2:3], v[2:3], v[14:15]
	s_waitcnt vmcnt(32)
	v_fmac_f64_e32 v[18:19], v[218:219], v[84:85]
	v_add_f64 v[2:3], v[2:3], v[16:17]
	v_add_f64 v[2:3], v[2:3], v[18:19]
	s_waitcnt vmcnt(26)
	v_fmac_f64_e32 v[20:21], v[56:57], v[220:221]
	v_add_f64 v[2:3], v[2:3], v[20:21]
	v_mul_f64 v[56:57], v[56:57], v[80:81]
	s_waitcnt vmcnt(0)
	v_pk_mov_b32 v[18:19], v[4:5], v[4:5] op_sel:[0,1]
	buffer_load_dword v5, off, s[0:3], 0 offset:388
	buffer_load_dword v4, off, s[0:3], 0 offset:384
	v_accvgpr_write_b32 a159, v19
	v_accvgpr_write_b32 a158, v18
	s_waitcnt vmcnt(0)
	v_pk_mov_b32 v[22:23], v[4:5], v[4:5] op_sel:[0,1]
	buffer_load_dword v5, off, s[0:3], 0 offset:380
	buffer_load_dword v4, off, s[0:3], 0 offset:376
	v_accvgpr_write_b32 a161, v23
	v_accvgpr_write_b32 a160, v22
	;; [unrolled: 6-line block ×5, first 2 shown]
	s_waitcnt vmcnt(0)
	v_pk_mov_b32 v[28:29], v[4:5], v[4:5] op_sel:[0,1]
	buffer_load_dword v145, off, s[0:3], 0 offset:412
	buffer_load_dword v144, off, s[0:3], 0 offset:408
	buffer_load_dword v149, off, s[0:3], 0 offset:404
	buffer_load_dword v148, off, s[0:3], 0 offset:400
	buffer_load_dword v5, off, s[0:3], 0 offset:460
	buffer_load_dword v4, off, s[0:3], 0 offset:456
	v_accvgpr_write_b32 a165, v29
	v_accvgpr_write_b32 a164, v28
	s_waitcnt vmcnt(0)
	v_pk_mov_b32 v[34:35], v[4:5], v[4:5] op_sel:[0,1]
	buffer_load_dword v5, off, s[0:3], 0 offset:452
	buffer_load_dword v4, off, s[0:3], 0 offset:448
	v_accvgpr_write_b32 a167, v35
	v_accvgpr_write_b32 a166, v34
	s_waitcnt vmcnt(0)
	v_pk_mov_b32 v[36:37], v[4:5], v[4:5] op_sel:[0,1]
	buffer_load_dword v153, off, s[0:3], 0 offset:444
	buffer_load_dword v152, off, s[0:3], 0 offset:440
	buffer_load_dword v157, off, s[0:3], 0 offset:436
	buffer_load_dword v156, off, s[0:3], 0 offset:432
	buffer_load_dword v5, off, s[0:3], 0 offset:492
	buffer_load_dword v4, off, s[0:3], 0 offset:488
	v_accvgpr_write_b32 a169, v37
	v_accvgpr_write_b32 a168, v36
	s_waitcnt vmcnt(0)
	v_pk_mov_b32 v[42:43], v[4:5], v[4:5] op_sel:[0,1]
	buffer_load_dword v5, off, s[0:3], 0 offset:484
	buffer_load_dword v4, off, s[0:3], 0 offset:480
	;; [unrolled: 1-line block ×30, first 2 shown]
	ds_read_b128 v[234:237], v1 offset:1072
	ds_read_b128 v[238:241], v1 offset:1088
	;; [unrolled: 1-line block ×10, first 2 shown]
	s_waitcnt lgkmcnt(4)
	v_mul_f64 v[8:9], v[118:119], v[106:107]
	v_fmac_f64_e32 v[8:9], v[120:121], v[108:109]
	s_waitcnt lgkmcnt(3)
	v_mul_f64 v[12:13], v[138:139], v[14:15]
	v_fmac_f64_e32 v[12:13], v[140:141], v[16:17]
	;; [unrolled: 3-line block ×4, first 2 shown]
	ds_read_b128 v[122:125], v1 offset:1232
	s_waitcnt lgkmcnt(1)
	v_mul_f64 v[24:25], v[126:127], v[26:27]
	v_fmac_f64_e32 v[24:25], v[128:129], v[28:29]
	v_accvgpr_write_b32 a171, v43
	v_accvgpr_write_b32 a170, v42
	s_waitcnt vmcnt(28)
	v_pk_mov_b32 v[44:45], v[4:5], v[4:5] op_sel:[0,1]
	v_mul_f64 v[4:5], v[62:63], v[94:95]
	v_fmac_f64_e32 v[4:5], v[64:65], v[98:99]
	v_add_f64 v[2:3], v[2:3], v[4:5]
	v_mul_f64 v[4:5], v[234:235], v[104:105]
	v_fmac_f64_e32 v[4:5], v[236:237], v[222:223]
	v_add_f64 v[2:3], v[2:3], v[4:5]
	;; [unrolled: 3-line block ×6, first 2 shown]
	v_add_f64 v[10:11], v[6:7], v[8:9]
	v_add_f64 v[14:15], v[10:11], v[12:13]
	;; [unrolled: 1-line block ×5, first 2 shown]
	ds_read_b128 v[22:25], v1 offset:1248
	s_waitcnt lgkmcnt(1)
	v_mul_f64 v[28:29], v[122:123], v[152:153]
	v_fmac_f64_e32 v[28:29], v[124:125], v[156:157]
	v_add_f64 v[30:31], v[26:27], v[28:29]
	ds_read_b128 v[26:29], v1 offset:1264
	s_waitcnt lgkmcnt(1)
	v_mul_f64 v[32:33], v[22:23], v[34:35]
	v_fmac_f64_e32 v[32:33], v[24:25], v[36:37]
	v_add_f64 v[34:35], v[30:31], v[32:33]
	ds_read_b128 v[30:33], v1 offset:1280
	s_waitcnt vmcnt(26) lgkmcnt(1)
	v_mul_f64 v[36:37], v[26:27], v[160:161]
	s_waitcnt vmcnt(24)
	v_fmac_f64_e32 v[36:37], v[28:29], v[162:163]
	v_add_f64 v[38:39], v[34:35], v[36:37]
	ds_read_b128 v[34:37], v1 offset:1296
	s_waitcnt lgkmcnt(1)
	v_mul_f64 v[40:41], v[30:31], v[42:43]
	v_fmac_f64_e32 v[40:41], v[32:33], v[44:45]
	v_add_f64 v[46:47], v[38:39], v[40:41]
	ds_read_b128 v[38:41], v1 offset:1312
	v_accvgpr_write_b32 a173, v45
	v_accvgpr_write_b32 a172, v44
	ds_read_b128 v[42:45], v1 offset:1328
	s_waitcnt vmcnt(18) lgkmcnt(2)
	v_mul_f64 v[48:49], v[34:35], v[164:165]
	s_waitcnt vmcnt(16)
	v_fmac_f64_e32 v[48:49], v[36:37], v[166:167]
	v_add_f64 v[46:47], v[46:47], v[48:49]
	s_waitcnt lgkmcnt(1)
	v_mul_f64 v[48:49], v[38:39], v[254:255]
	v_fmac_f64_e32 v[48:49], v[40:41], v[142:143]
	v_add_f64 v[46:47], v[46:47], v[48:49]
	s_waitcnt vmcnt(10) lgkmcnt(0)
	v_mul_f64 v[48:49], v[42:43], v[168:169]
	s_waitcnt vmcnt(8)
	v_fmac_f64_e32 v[48:49], v[44:45], v[170:171]
	v_add_f64 v[2:3], v[46:47], v[48:49]
	ds_read_b128 v[46:49], v1 offset:1344
	v_mul_f64 v[4:5], v[116:117], v[176:177]
	buffer_load_dword v177, off, s[0:3], 0 offset:604
	buffer_load_dword v176, off, s[0:3], 0 offset:600
	;; [unrolled: 1-line block ×5, first 2 shown]
	v_fma_f64 v[18:19], v[114:115], v[60:61], -v[4:5]
	v_fma_f64 v[114:115], v[182:183], v[50:51], -v[58:59]
	buffer_load_dword v182, off, s[0:3], 0 offset:608
	buffer_load_dword v179, off, s[0:3], 0 offset:620
	;; [unrolled: 1-line block ×3, first 2 shown]
	v_mul_f64 v[50:51], v[188:189], v[52:53]
	v_fma_f64 v[116:117], v[186:187], v[96:97], -v[50:51]
	buffer_load_dword v187, off, s[0:3], 0 offset:636
	buffer_load_dword v186, off, s[0:3], 0 offset:632
	;; [unrolled: 1-line block ×8, first 2 shown]
	v_mul_f64 v[50:51], v[196:197], v[72:73]
	v_fma_f64 v[14:15], v[194:195], v[92:93], -v[50:51]
	buffer_load_dword v184, off, s[0:3], 0 offset:680
	buffer_load_dword v197, off, s[0:3], 0 offset:668
	;; [unrolled: 1-line block ×8, first 2 shown]
	v_mul_f64 v[8:9], v[202:203], v[68:69]
	v_fma_f64 v[10:11], v[200:201], v[70:71], -v[8:9]
	buffer_load_dword v201, off, s[0:3], 0 offset:700
	buffer_load_dword v200, off, s[0:3], 0 offset:696
	;; [unrolled: 1-line block ×4, first 2 shown]
	v_mul_f64 v[12:13], v[210:211], v[74:75]
	v_mul_f64 v[50:51], v[206:207], v[78:79]
	v_fma_f64 v[12:13], v[208:209], v[76:77], -v[12:13]
	buffer_load_dword v206, off, s[0:3], 0 offset:712
	buffer_load_dword v208, off, s[0:3], 0 offset:704
	;; [unrolled: 1-line block ×4, first 2 shown]
	v_fma_f64 v[8:9], v[204:205], v[90:91], -v[50:51]
	v_mul_f64 v[50:51], v[214:215], v[86:87]
	v_fma_f64 v[210:211], v[212:213], v[88:89], -v[50:51]
	buffer_load_dword v205, off, s[0:3], 0 offset:748
	buffer_load_dword v213, off, s[0:3], 0 offset:732
	;; [unrolled: 1-line block ×12, first 2 shown]
	ds_read_b128 v[50:53], v1 offset:1360
	v_mul_f64 v[58:59], v[218:219], v[82:83]
	v_fma_f64 v[6:7], v[216:217], v[84:85], -v[58:59]
	buffer_load_dword v216, off, s[0:3], 0 offset:776
	buffer_load_dword v218, off, s[0:3], 0 offset:768
	buffer_load_dword v217, off, s[0:3], 0 offset:780
	buffer_load_dword v219, off, s[0:3], 0 offset:772
	v_fma_f64 v[4:5], v[54:55], v[220:221], -v[56:57]
	ds_read_b128 v[54:57], v1 offset:1376
	ds_read_b128 v[58:61], v1 offset:1392
	s_waitcnt lgkmcnt(3)
	v_mul_f64 v[16:17], v[46:47], v[146:147]
	v_fmac_f64_e32 v[16:17], v[48:49], v[150:151]
	v_add_f64 v[2:3], v[2:3], v[16:17]
	s_waitcnt vmcnt(50) lgkmcnt(2)
	v_mul_f64 v[16:17], v[50:51], v[172:173]
	s_waitcnt vmcnt(48)
	v_fmac_f64_e32 v[16:17], v[52:53], v[174:175]
	v_add_f64 v[2:3], v[2:3], v[16:17]
	s_waitcnt lgkmcnt(1)
	v_mul_f64 v[16:17], v[54:55], v[154:155]
	v_fmac_f64_e32 v[16:17], v[56:57], v[158:159]
	v_add_f64 v[2:3], v[2:3], v[16:17]
	v_mul_f64 v[16:17], v[64:65], v[94:95]
	v_fma_f64 v[16:17], v[62:63], v[98:99], -v[16:17]
	ds_read_b128 v[62:65], v1 offset:1408
	v_mul_f64 v[74:75], v[240:241], v[100:101]
	v_fma_f64 v[240:241], v[238:239], v[102:103], -v[74:75]
	v_mul_f64 v[86:87], v[248:249], v[110:111]
	v_fma_f64 v[246:247], v[246:247], v[112:113], -v[86:87]
	;; [unrolled: 2-line block ×3, first 2 shown]
	v_add_f64 v[18:19], v[18:19], 0
	v_add_f64 v[18:19], v[18:19], v[114:115]
	;; [unrolled: 1-line block ×10, first 2 shown]
	ds_read_b128 v[74:77], v1 offset:1456
	v_add_f64 v[4:5], v[4:5], v[16:17]
	ds_read_b128 v[86:89], v1 offset:1504
	ds_read_b128 v[94:97], v1 offset:1536
	;; [unrolled: 1-line block ×3, first 2 shown]
	s_waitcnt vmcnt(46) lgkmcnt(5)
	v_mul_f64 v[20:21], v[58:59], v[176:177]
	s_waitcnt vmcnt(44)
	v_fmac_f64_e32 v[20:21], v[60:61], v[180:181]
	v_add_f64 v[2:3], v[2:3], v[20:21]
	v_mul_f64 v[20:21], v[236:237], v[104:105]
	v_fma_f64 v[20:21], v[234:235], v[222:223], -v[20:21]
	ds_read_b128 v[220:223], v1 offset:1424
	s_waitcnt vmcnt(41) lgkmcnt(5)
	v_mul_f64 v[70:71], v[62:63], v[178:179]
	s_waitcnt vmcnt(40)
	v_fmac_f64_e32 v[70:71], v[64:65], v[182:183]
	v_add_f64 v[2:3], v[2:3], v[70:71]
	ds_read_b128 v[70:73], v1 offset:1440
	s_waitcnt vmcnt(38) lgkmcnt(1)
	v_mul_f64 v[78:79], v[220:221], v[186:187]
	s_waitcnt vmcnt(36)
	v_fmac_f64_e32 v[78:79], v[222:223], v[190:191]
	v_add_f64 v[2:3], v[2:3], v[78:79]
	v_mul_f64 v[78:79], v[244:245], v[230:231]
	v_fma_f64 v[234:235], v[242:243], v[232:233], -v[78:79]
	ds_read_b128 v[78:81], v1 offset:1472
	s_waitcnt vmcnt(34) lgkmcnt(1)
	v_mul_f64 v[82:83], v[70:71], v[188:189]
	s_waitcnt vmcnt(32)
	v_fmac_f64_e32 v[82:83], v[72:73], v[192:193]
	v_add_f64 v[2:3], v[2:3], v[82:83]
	s_waitcnt vmcnt(29)
	v_mul_f64 v[82:83], v[74:75], v[196:197]
	s_waitcnt vmcnt(27)
	v_fmac_f64_e32 v[82:83], v[76:77], v[198:199]
	v_add_f64 v[2:3], v[2:3], v[82:83]
	s_waitcnt vmcnt(25) lgkmcnt(0)
	v_mul_f64 v[82:83], v[78:79], v[184:185]
	s_waitcnt vmcnt(24)
	v_fmac_f64_e32 v[82:83], v[80:81], v[194:195]
	v_add_f64 v[2:3], v[2:3], v[82:83]
	ds_read_b128 v[82:85], v1 offset:1488
	s_waitcnt vmcnt(17)
	v_mul_f64 v[66:67], v[86:87], v[206:207]
	s_waitcnt vmcnt(16)
	v_fmac_f64_e32 v[66:67], v[88:89], v[208:209]
	ds_read_b128 v[102:105], v1 offset:1568
	v_add_f64 v[4:5], v[4:5], v[20:21]
	s_waitcnt lgkmcnt(1)
	v_mul_f64 v[90:91], v[82:83], v[200:201]
	v_fmac_f64_e32 v[90:91], v[84:85], v[202:203]
	v_add_f64 v[2:3], v[2:3], v[90:91]
	ds_read_b128 v[90:93], v1 offset:1520
	v_add_f64 v[2:3], v[2:3], v[66:67]
	v_mul_f64 v[66:67], v[120:121], v[106:107]
	buffer_load_dword v121, off, s[0:3], 0 offset:796
	buffer_load_dword v120, off, s[0:3], 0 offset:792
	;; [unrolled: 1-line block ×4, first 2 shown]
	v_fma_f64 v[252:253], v[118:119], v[108:109], -v[66:67]
	s_waitcnt vmcnt(17) lgkmcnt(0)
	v_mul_f64 v[66:67], v[90:91], v[212:213]
	s_waitcnt vmcnt(15)
	v_fmac_f64_e32 v[66:67], v[92:93], v[226:227]
	v_add_f64 v[2:3], v[2:3], v[66:67]
	s_waitcnt vmcnt(14)
	v_mul_f64 v[66:67], v[94:95], v[204:205]
	s_waitcnt vmcnt(12)
	v_fmac_f64_e32 v[66:67], v[96:97], v[68:69]
	ds_read_b128 v[106:109], v1 offset:1584
	v_add_f64 v[2:3], v[2:3], v[66:67]
	s_waitcnt vmcnt(10)
	v_mul_f64 v[66:67], v[98:99], v[214:215]
	s_waitcnt vmcnt(8)
	v_fmac_f64_e32 v[66:67], v[100:101], v[228:229]
	v_add_f64 v[2:3], v[2:3], v[66:67]
	s_waitcnt vmcnt(5)
	v_mul_f64 v[66:67], v[102:103], v[216:217]
	s_waitcnt vmcnt(4)
	v_fmac_f64_e32 v[66:67], v[104:105], v[218:219]
	v_add_f64 v[2:3], v[2:3], v[66:67]
	v_add_f64 v[4:5], v[4:5], v[240:241]
	;; [unrolled: 1-line block ×3, first 2 shown]
	s_waitcnt vmcnt(2) lgkmcnt(0)
	v_mul_f64 v[66:67], v[106:107], v[120:121]
	s_waitcnt vmcnt(0)
	v_fmac_f64_e32 v[66:67], v[108:109], v[236:237]
	v_add_f64 v[66:67], v[2:3], v[66:67]
	buffer_load_dword v238, off, s[0:3], 0 offset:808
	buffer_load_dword v239, off, s[0:3], 0 offset:812
	buffer_load_dword v2, off, s[0:3], 0 offset:800
	buffer_load_dword v3, off, s[0:3], 0 offset:804
	ds_read_b128 v[110:113], v1 offset:1600
	buffer_load_dword v243, off, s[0:3], 0 offset:828
	buffer_load_dword v242, off, s[0:3], 0 offset:824
	buffer_load_dword v245, off, s[0:3], 0 offset:820
	buffer_load_dword v244, off, s[0:3], 0 offset:816
	ds_read_b128 v[230:233], v1 offset:1616
	v_accvgpr_read_b32 v0, a154
	v_accvgpr_read_b32 v1, a155
	v_mul_f64 v[6:7], v[140:141], v[0:1]
	v_accvgpr_read_b32 v0, a156
	v_accvgpr_read_b32 v1, a157
	v_fma_f64 v[6:7], v[138:139], v[0:1], -v[6:7]
	v_accvgpr_read_b32 v0, a158
	v_accvgpr_read_b32 v1, a159
	s_waitcnt vmcnt(6) lgkmcnt(1)
	v_mul_f64 v[118:119], v[110:111], v[238:239]
	s_waitcnt vmcnt(4)
	v_fmac_f64_e32 v[118:119], v[112:113], v[2:3]
	v_add_f64 v[66:67], v[66:67], v[118:119]
	s_waitcnt vmcnt(2) lgkmcnt(0)
	v_mul_f64 v[118:119], v[230:231], v[242:243]
	s_waitcnt vmcnt(0)
	v_fmac_f64_e32 v[118:119], v[232:233], v[244:245]
	v_add_f64 v[66:67], v[66:67], v[118:119]
	v_add_f64 v[118:119], v[4:5], v[246:247]
	buffer_load_dword v248, off, s[0:3], 0 offset:80
	buffer_load_dword v249, off, s[0:3], 0 offset:84
	;; [unrolled: 1-line block ×4, first 2 shown]
	v_add_f64 v[4:5], v[118:119], v[250:251]
	v_add_f64 v[4:5], v[4:5], v[252:253]
	;; [unrolled: 1-line block ×3, first 2 shown]
	v_mul_f64 v[6:7], v[136:137], v[0:1]
	v_accvgpr_read_b32 v0, a160
	v_accvgpr_read_b32 v1, a161
	v_fma_f64 v[6:7], v[134:135], v[0:1], -v[6:7]
	v_add_f64 v[4:5], v[4:5], v[6:7]
	v_mul_f64 v[6:7], v[132:133], v[144:145]
	v_accvgpr_read_b32 v0, a162
	v_fma_f64 v[6:7], v[130:131], v[148:149], -v[6:7]
	v_accvgpr_read_b32 v1, a163
	v_add_f64 v[4:5], v[4:5], v[6:7]
	v_mul_f64 v[6:7], v[128:129], v[0:1]
	v_accvgpr_read_b32 v0, a164
	v_accvgpr_read_b32 v1, a165
	v_fma_f64 v[6:7], v[126:127], v[0:1], -v[6:7]
	v_add_f64 v[4:5], v[4:5], v[6:7]
	v_mul_f64 v[6:7], v[124:125], v[152:153]
	v_accvgpr_read_b32 v0, a166
	v_fma_f64 v[6:7], v[122:123], v[156:157], -v[6:7]
	v_accvgpr_read_b32 v1, a167
	v_add_f64 v[4:5], v[4:5], v[6:7]
	;; [unrolled: 10-line block ×3, first 2 shown]
	v_mul_f64 v[6:7], v[32:33], v[0:1]
	v_accvgpr_read_b32 v0, a172
	v_accvgpr_read_b32 v1, a173
	v_fma_f64 v[6:7], v[30:31], v[0:1], -v[6:7]
	v_add_f64 v[4:5], v[4:5], v[6:7]
	v_mul_f64 v[6:7], v[36:37], v[164:165]
	v_fma_f64 v[6:7], v[34:35], v[166:167], -v[6:7]
	v_add_f64 v[4:5], v[4:5], v[6:7]
	v_mul_f64 v[6:7], v[40:41], v[254:255]
	v_fma_f64 v[6:7], v[38:39], v[142:143], -v[6:7]
	v_add_f64 v[4:5], v[4:5], v[6:7]
	v_mul_f64 v[6:7], v[44:45], v[168:169]
	v_fma_f64 v[6:7], v[42:43], v[170:171], -v[6:7]
	v_add_f64 v[4:5], v[4:5], v[6:7]
	v_mul_f64 v[6:7], v[48:49], v[146:147]
	v_fma_f64 v[6:7], v[46:47], v[150:151], -v[6:7]
	v_add_f64 v[4:5], v[4:5], v[6:7]
	v_mul_f64 v[6:7], v[52:53], v[172:173]
	v_fma_f64 v[6:7], v[50:51], v[174:175], -v[6:7]
	v_add_f64 v[4:5], v[4:5], v[6:7]
	v_mul_f64 v[6:7], v[56:57], v[154:155]
	v_fma_f64 v[6:7], v[54:55], v[158:159], -v[6:7]
	v_add_f64 v[4:5], v[4:5], v[6:7]
	v_mul_f64 v[6:7], v[60:61], v[176:177]
	v_fma_f64 v[6:7], v[58:59], v[180:181], -v[6:7]
	v_add_f64 v[4:5], v[4:5], v[6:7]
	v_mul_f64 v[6:7], v[64:65], v[178:179]
	v_fma_f64 v[6:7], v[62:63], v[182:183], -v[6:7]
	v_add_f64 v[4:5], v[4:5], v[6:7]
	v_mul_f64 v[6:7], v[222:223], v[186:187]
	v_fma_f64 v[6:7], v[220:221], v[190:191], -v[6:7]
	v_add_f64 v[4:5], v[4:5], v[6:7]
	v_mul_f64 v[6:7], v[72:73], v[188:189]
	v_fma_f64 v[6:7], v[70:71], v[192:193], -v[6:7]
	v_add_f64 v[4:5], v[4:5], v[6:7]
	v_mul_f64 v[6:7], v[76:77], v[196:197]
	v_fma_f64 v[6:7], v[74:75], v[198:199], -v[6:7]
	v_add_f64 v[4:5], v[4:5], v[6:7]
	v_mul_f64 v[6:7], v[80:81], v[184:185]
	v_fma_f64 v[6:7], v[78:79], v[194:195], -v[6:7]
	v_add_f64 v[4:5], v[4:5], v[6:7]
	v_mul_f64 v[6:7], v[84:85], v[200:201]
	v_fma_f64 v[6:7], v[82:83], v[202:203], -v[6:7]
	v_add_f64 v[4:5], v[4:5], v[6:7]
	v_mul_f64 v[6:7], v[88:89], v[206:207]
	v_fma_f64 v[6:7], v[86:87], v[208:209], -v[6:7]
	v_add_f64 v[4:5], v[4:5], v[6:7]
	v_mul_f64 v[6:7], v[92:93], v[212:213]
	v_fma_f64 v[6:7], v[90:91], v[226:227], -v[6:7]
	v_add_f64 v[4:5], v[4:5], v[6:7]
	v_mul_f64 v[6:7], v[96:97], v[204:205]
	v_fma_f64 v[6:7], v[94:95], v[68:69], -v[6:7]
	v_add_f64 v[4:5], v[4:5], v[6:7]
	v_mul_f64 v[6:7], v[100:101], v[214:215]
	v_fma_f64 v[6:7], v[98:99], v[228:229], -v[6:7]
	v_add_f64 v[4:5], v[4:5], v[6:7]
	v_mul_f64 v[6:7], v[104:105], v[216:217]
	v_fma_f64 v[6:7], v[102:103], v[218:219], -v[6:7]
	v_add_f64 v[4:5], v[4:5], v[6:7]
	v_mul_f64 v[6:7], v[108:109], v[120:121]
	v_fma_f64 v[6:7], v[106:107], v[236:237], -v[6:7]
	v_add_f64 v[4:5], v[4:5], v[6:7]
	v_mul_f64 v[6:7], v[112:113], v[238:239]
	v_fma_f64 v[2:3], v[110:111], v[2:3], -v[6:7]
	v_add_f64 v[2:3], v[4:5], v[2:3]
	v_mul_f64 v[4:5], v[232:233], v[242:243]
	v_fma_f64 v[4:5], v[230:231], v[244:245], -v[4:5]
	v_add_f64 v[2:3], v[2:3], v[4:5]
	v_accvgpr_read_b32 v0, a152
	s_waitcnt vmcnt(2)
	v_add_f64 v[2:3], v[248:249], -v[2:3]
	v_cmp_lt_u32_e32 vcc, 3, v0
	s_waitcnt vmcnt(0)
	v_add_f64 v[4:5], v[246:247], -v[66:67]
	buffer_store_dword v3, off, s[0:3], 0 offset:84
	buffer_store_dword v2, off, s[0:3], 0 offset:80
	;; [unrolled: 1-line block ×4, first 2 shown]
	s_and_saveexec_b64 s[4:5], vcc
	s_cbranch_execz .LBB114_313
; %bb.312:
	v_accvgpr_read_b32 v0, a149
	buffer_load_dword v2, v0, s[0:3], 0 offen
	buffer_load_dword v3, v0, s[0:3], 0 offen offset:4
	buffer_load_dword v4, v0, s[0:3], 0 offen offset:8
	;; [unrolled: 1-line block ×3, first 2 shown]
	v_mov_b32_e32 v0, 0
	v_accvgpr_read_b32 v1, a153
	buffer_store_dword v0, off, s[0:3], 0 offset:64
	buffer_store_dword v0, off, s[0:3], 0 offset:68
	;; [unrolled: 1-line block ×4, first 2 shown]
	s_waitcnt vmcnt(4)
	ds_write_b128 v1, v[2:5]
.LBB114_313:
	s_or_b64 exec, exec, s[4:5]
	s_waitcnt lgkmcnt(0)
	; wave barrier
	s_waitcnt lgkmcnt(0)
	buffer_load_dword v48, off, s[0:3], 0 offset:80
	buffer_load_dword v49, off, s[0:3], 0 offset:84
	buffer_load_dword v52, off, s[0:3], 0 offset:88
	buffer_load_dword v53, off, s[0:3], 0 offset:92
	buffer_load_dword v176, off, s[0:3], 0 offset:96
	buffer_load_dword v177, off, s[0:3], 0 offset:100
	buffer_load_dword v54, off, s[0:3], 0 offset:104
	buffer_load_dword v55, off, s[0:3], 0 offset:108
	buffer_load_dword v46, off, s[0:3], 0 offset:120
	buffer_load_dword v47, off, s[0:3], 0 offset:124
	buffer_load_dword v189, off, s[0:3], 0 offset:156
	buffer_load_dword v188, off, s[0:3], 0 offset:152
	buffer_load_dword v57, off, s[0:3], 0 offset:148
	buffer_load_dword v56, off, s[0:3], 0 offset:144
	buffer_load_dword v65, off, s[0:3], 0 offset:140
	buffer_load_dword v64, off, s[0:3], 0 offset:136
	buffer_load_dword v67, off, s[0:3], 0 offset:188
	buffer_load_dword v66, off, s[0:3], 0 offset:184
	buffer_load_dword v69, off, s[0:3], 0 offset:180
	buffer_load_dword v68, off, s[0:3], 0 offset:176
	buffer_load_dword v71, off, s[0:3], 0 offset:172
	buffer_load_dword v70, off, s[0:3], 0 offset:168
	buffer_load_dword v77, off, s[0:3], 0 offset:220
	buffer_load_dword v76, off, s[0:3], 0 offset:216
	buffer_load_dword v74, off, s[0:3], 0 offset:208
	buffer_load_dword v79, off, s[0:3], 0 offset:204
	buffer_load_dword v78, off, s[0:3], 0 offset:200
	buffer_load_dword v73, off, s[0:3], 0 offset:236
	buffer_load_dword v72, off, s[0:3], 0 offset:232
	buffer_load_dword v90, off, s[0:3], 0 offset:112
	buffer_load_dword v91, off, s[0:3], 0 offset:116
	buffer_load_dword v221, off, s[0:3], 0 offset:132
	buffer_load_dword v220, off, s[0:3], 0 offset:128
	buffer_load_dword v83, off, s[0:3], 0 offset:164
	buffer_load_dword v82, off, s[0:3], 0 offset:160
	buffer_load_dword v81, off, s[0:3], 0 offset:196
	buffer_load_dword v80, off, s[0:3], 0 offset:192
	buffer_load_dword v75, off, s[0:3], 0 offset:212
	buffer_load_dword v84, off, s[0:3], 0 offset:248
	buffer_load_dword v86, off, s[0:3], 0 offset:240
	buffer_load_dword v87, off, s[0:3], 0 offset:244
	buffer_load_dword v85, off, s[0:3], 0 offset:252
	v_mov_b32_e32 v1, 0
	buffer_load_dword v99, off, s[0:3], 0 offset:228
	buffer_load_dword v98, off, s[0:3], 0 offset:224
	;; [unrolled: 1-line block ×7, first 2 shown]
	ds_read_b128 v[112:115], v1 offset:880
	ds_read_b128 v[116:119], v1 offset:896
	;; [unrolled: 1-line block ×11, first 2 shown]
	v_accvgpr_read_b32 v0, a152
	v_cmp_lt_u32_e32 vcc, 2, v0
	s_waitcnt vmcnt(45) lgkmcnt(10)
	v_mul_f64 v[2:3], v[112:113], v[52:53]
	v_fmac_f64_e32 v[2:3], v[114:115], v[48:49]
	v_add_f64 v[2:3], v[2:3], 0
	s_waitcnt vmcnt(41) lgkmcnt(9)
	v_mul_f64 v[4:5], v[116:117], v[54:55]
	v_fmac_f64_e32 v[4:5], v[118:119], v[176:177]
	v_add_f64 v[2:3], v[2:3], v[4:5]
	buffer_load_dword v96, off, s[0:3], 0 offset:264
	buffer_load_dword v51, off, s[0:3], 0 offset:260
	buffer_load_dword v50, off, s[0:3], 0 offset:256
	buffer_load_dword v109, off, s[0:3], 0 offset:316
	buffer_load_dword v108, off, s[0:3], 0 offset:312
	buffer_load_dword v111, off, s[0:3], 0 offset:308
	buffer_load_dword v110, off, s[0:3], 0 offset:304
	buffer_load_dword v179, off, s[0:3], 0 offset:300
	buffer_load_dword v178, off, s[0:3], 0 offset:296
	buffer_load_dword v63, off, s[0:3], 0 offset:292
	buffer_load_dword v62, off, s[0:3], 0 offset:288
	buffer_load_dword v101, off, s[0:3], 0 offset:348
	buffer_load_dword v100, off, s[0:3], 0 offset:344
	buffer_load_dword v103, off, s[0:3], 0 offset:340
	buffer_load_dword v102, off, s[0:3], 0 offset:336
	buffer_load_dword v195, off, s[0:3], 0 offset:332
	buffer_load_dword v194, off, s[0:3], 0 offset:328
	buffer_load_dword v89, off, s[0:3], 0 offset:324
	buffer_load_dword v88, off, s[0:3], 0 offset:320
	buffer_load_dword v5, off, s[0:3], 0 offset:380
	buffer_load_dword v4, off, s[0:3], 0 offset:376
	s_waitcnt vmcnt(60) lgkmcnt(8)
	v_mul_f64 v[6:7], v[180:181], v[46:47]
	s_waitcnt vmcnt(58) lgkmcnt(6)
	v_mul_f64 v[10:11], v[190:191], v[188:189]
	s_waitcnt vmcnt(56)
	v_fmac_f64_e32 v[10:11], v[192:193], v[56:57]
	v_mul_f64 v[46:47], v[182:183], v[46:47]
	s_waitcnt vmcnt(54)
	v_mul_f64 v[8:9], v[184:185], v[64:65]
	s_waitcnt vmcnt(52) lgkmcnt(4)
	v_mul_f64 v[14:15], v[200:201], v[66:67]
	s_waitcnt vmcnt(50)
	v_fmac_f64_e32 v[14:15], v[202:203], v[68:69]
	s_waitcnt vmcnt(48)
	v_mul_f64 v[12:13], v[196:197], v[70:71]
	s_waitcnt vmcnt(46) lgkmcnt(2)
	v_mul_f64 v[18:19], v[208:209], v[76:77]
	s_waitcnt vmcnt(43)
	v_mul_f64 v[16:17], v[204:205], v[78:79]
	s_waitcnt vmcnt(41) lgkmcnt(1)
	v_mul_f64 v[20:21], v[212:213], v[72:73]
	s_waitcnt vmcnt(39)
	v_fmac_f64_e32 v[6:7], v[182:183], v[90:91]
	v_add_f64 v[2:3], v[2:3], v[6:7]
	s_waitcnt vmcnt(37)
	v_fmac_f64_e32 v[8:9], v[186:187], v[220:221]
	v_add_f64 v[2:3], v[2:3], v[8:9]
	;; [unrolled: 3-line block ×3, first 2 shown]
	v_add_f64 v[2:3], v[2:3], v[12:13]
	s_waitcnt vmcnt(33)
	v_fmac_f64_e32 v[16:17], v[206:207], v[80:81]
	v_add_f64 v[2:3], v[2:3], v[14:15]
	v_add_f64 v[2:3], v[2:3], v[16:17]
	s_waitcnt vmcnt(32)
	v_fmac_f64_e32 v[18:19], v[210:211], v[74:75]
	v_add_f64 v[2:3], v[2:3], v[18:19]
	s_waitcnt vmcnt(26)
	v_fmac_f64_e32 v[20:21], v[214:215], v[98:99]
	s_waitcnt lgkmcnt(0)
	v_mul_f64 v[6:7], v[58:59], v[84:85]
	v_add_f64 v[2:3], v[2:3], v[20:21]
	v_fmac_f64_e32 v[6:7], v[60:61], v[86:87]
	v_add_f64 v[2:3], v[2:3], v[6:7]
	v_mul_f64 v[60:61], v[60:61], v[84:85]
	s_waitcnt vmcnt(0)
	v_pk_mov_b32 v[8:9], v[4:5], v[4:5] op_sel:[0,1]
	buffer_load_dword v5, off, s[0:3], 0 offset:372
	buffer_load_dword v4, off, s[0:3], 0 offset:368
	v_accvgpr_write_b32 a155, v9
	v_accvgpr_write_b32 a154, v8
	s_waitcnt vmcnt(0)
	v_pk_mov_b32 v[12:13], v[4:5], v[4:5] op_sel:[0,1]
	buffer_load_dword v105, off, s[0:3], 0 offset:364
	buffer_load_dword v104, off, s[0:3], 0 offset:360
	buffer_load_dword v107, off, s[0:3], 0 offset:356
	buffer_load_dword v106, off, s[0:3], 0 offset:352
	buffer_load_dword v5, off, s[0:3], 0 offset:412
	buffer_load_dword v4, off, s[0:3], 0 offset:408
	v_accvgpr_write_b32 a157, v13
	v_accvgpr_write_b32 a156, v12
	s_waitcnt vmcnt(0)
	v_pk_mov_b32 v[16:17], v[4:5], v[4:5] op_sel:[0,1]
	buffer_load_dword v5, off, s[0:3], 0 offset:404
	buffer_load_dword v4, off, s[0:3], 0 offset:400
	v_accvgpr_write_b32 a159, v17
	v_accvgpr_write_b32 a158, v16
	s_waitcnt vmcnt(0)
	v_pk_mov_b32 v[22:23], v[4:5], v[4:5] op_sel:[0,1]
	buffer_load_dword v141, off, s[0:3], 0 offset:396
	buffer_load_dword v140, off, s[0:3], 0 offset:392
	buffer_load_dword v145, off, s[0:3], 0 offset:388
	buffer_load_dword v144, off, s[0:3], 0 offset:384
	buffer_load_dword v5, off, s[0:3], 0 offset:444
	buffer_load_dword v4, off, s[0:3], 0 offset:440
	v_accvgpr_write_b32 a161, v23
	v_accvgpr_write_b32 a160, v22
	;; [unrolled: 16-line block ×3, first 2 shown]
	s_waitcnt vmcnt(0)
	v_pk_mov_b32 v[36:37], v[4:5], v[4:5] op_sel:[0,1]
	buffer_load_dword v5, off, s[0:3], 0 offset:468
	buffer_load_dword v4, off, s[0:3], 0 offset:464
	;; [unrolled: 1-line block ×30, first 2 shown]
	ds_read_b128 v[216:219], v1 offset:1056
	ds_read_b128 v[236:239], v1 offset:1072
	;; [unrolled: 1-line block ×6, first 2 shown]
	s_waitcnt lgkmcnt(5)
	v_mul_f64 v[6:7], v[216:217], v[96:97]
	v_fmac_f64_e32 v[6:7], v[218:219], v[50:51]
	v_add_f64 v[2:3], v[2:3], v[6:7]
	s_waitcnt lgkmcnt(4)
	v_mul_f64 v[6:7], v[236:237], v[92:93]
	v_fmac_f64_e32 v[6:7], v[238:239], v[94:95]
	v_add_f64 v[2:3], v[2:3], v[6:7]
	;; [unrolled: 4-line block ×3, first 2 shown]
	s_waitcnt lgkmcnt(2)
	v_mul_f64 v[6:7], v[244:245], v[108:109]
	v_fmac_f64_e32 v[6:7], v[246:247], v[110:111]
	ds_read_b128 v[172:175], v1 offset:1152
	ds_read_b128 v[120:123], v1 offset:1168
	v_add_f64 v[2:3], v[2:3], v[6:7]
	s_waitcnt lgkmcnt(3)
	v_mul_f64 v[6:7], v[248:249], v[194:195]
	v_fmac_f64_e32 v[6:7], v[250:251], v[88:89]
	ds_read_b128 v[124:127], v1 offset:1184
	ds_read_b128 v[128:131], v1 offset:1200
	v_add_f64 v[2:3], v[2:3], v[6:7]
	s_waitcnt lgkmcnt(4)
	v_mul_f64 v[6:7], v[252:253], v[100:101]
	v_fmac_f64_e32 v[6:7], v[254:255], v[102:103]
	v_add_f64 v[2:3], v[2:3], v[6:7]
	s_waitcnt lgkmcnt(3)
	v_mul_f64 v[6:7], v[172:173], v[104:105]
	v_fmac_f64_e32 v[6:7], v[174:175], v[106:107]
	s_waitcnt lgkmcnt(2)
	v_mul_f64 v[10:11], v[120:121], v[8:9]
	v_add_f64 v[2:3], v[2:3], v[6:7]
	v_fmac_f64_e32 v[10:11], v[122:123], v[12:13]
	s_waitcnt lgkmcnt(1)
	v_mul_f64 v[14:15], v[124:125], v[140:141]
	v_add_f64 v[2:3], v[2:3], v[10:11]
	;; [unrolled: 4-line block ×3, first 2 shown]
	ds_read_b128 v[132:135], v1 offset:1216
	v_fmac_f64_e32 v[18:19], v[130:131], v[22:23]
	v_add_f64 v[2:3], v[2:3], v[18:19]
	ds_read_b128 v[18:21], v1 offset:1232
	v_accvgpr_write_b32 a167, v37
	s_waitcnt lgkmcnt(1)
	v_mul_f64 v[22:23], v[132:133], v[148:149]
	v_fmac_f64_e32 v[22:23], v[134:135], v[152:153]
	v_add_f64 v[2:3], v[2:3], v[22:23]
	s_waitcnt lgkmcnt(0)
	v_mul_f64 v[26:27], v[18:19], v[28:29]
	ds_read_b128 v[22:25], v1 offset:1248
	v_fmac_f64_e32 v[26:27], v[20:21], v[30:31]
	v_add_f64 v[2:3], v[2:3], v[26:27]
	ds_read_b128 v[26:29], v1 offset:1264
	v_accvgpr_write_b32 a166, v36
	s_waitcnt vmcnt(28)
	v_accvgpr_write_b32 a169, v5
	s_waitcnt vmcnt(26) lgkmcnt(1)
	v_mul_f64 v[30:31], v[22:23], v[156:157]
	v_mul_f64 v[6:7], v[118:119], v[54:55]
	s_waitcnt vmcnt(24)
	v_fmac_f64_e32 v[30:31], v[24:25], v[158:159]
	s_waitcnt lgkmcnt(0)
	v_mul_f64 v[34:35], v[26:27], v[36:37]
	v_add_f64 v[2:3], v[2:3], v[30:31]
	ds_read_b128 v[30:33], v1 offset:1280
	v_fmac_f64_e32 v[34:35], v[28:29], v[4:5]
	v_add_f64 v[2:3], v[2:3], v[34:35]
	ds_read_b128 v[34:37], v1 offset:1296
	v_accvgpr_write_b32 a168, v4
	s_waitcnt vmcnt(18) lgkmcnt(1)
	v_mul_f64 v[38:39], v[30:31], v[160:161]
	s_waitcnt vmcnt(16)
	v_fmac_f64_e32 v[38:39], v[32:33], v[162:163]
	v_add_f64 v[2:3], v[2:3], v[38:39]
	s_waitcnt lgkmcnt(0)
	v_mul_f64 v[42:43], v[34:35], v[136:137]
	v_fmac_f64_e32 v[42:43], v[36:37], v[138:139]
	ds_read_b128 v[38:41], v1 offset:1312
	v_add_f64 v[2:3], v[2:3], v[42:43]
	ds_read_b128 v[42:45], v1 offset:1328
	v_mul_f64 v[4:5], v[114:115], v[52:53]
	v_fma_f64 v[114:115], v[116:117], v[176:177], -v[6:7]
	buffer_load_dword v119, off, s[0:3], 0 offset:588
	buffer_load_dword v118, off, s[0:3], 0 offset:584
	;; [unrolled: 1-line block ×8, first 2 shown]
	v_fma_f64 v[116:117], v[180:181], v[90:91], -v[46:47]
	v_mul_f64 v[46:47], v[186:187], v[64:65]
	v_fma_f64 v[12:13], v[184:185], v[220:221], -v[46:47]
	buffer_load_dword v181, off, s[0:3], 0 offset:636
	buffer_load_dword v185, off, s[0:3], 0 offset:620
	;; [unrolled: 1-line block ×6, first 2 shown]
	v_mul_f64 v[46:47], v[192:193], v[188:189]
	buffer_load_dword v189, off, s[0:3], 0 offset:628
	buffer_load_dword v188, off, s[0:3], 0 offset:624
	v_fma_f64 v[10:11], v[190:191], v[56:57], -v[46:47]
	buffer_load_dword v182, off, s[0:3], 0 offset:664
	buffer_load_dword v193, off, s[0:3], 0 offset:652
	;; [unrolled: 1-line block ×8, first 2 shown]
	v_mul_f64 v[54:55], v[198:199], v[70:71]
	v_fma_f64 v[14:15], v[112:113], v[48:49], -v[4:5]
	ds_read_b128 v[46:49], v1 offset:1344
	v_fma_f64 v[8:9], v[196:197], v[82:83], -v[54:55]
	buffer_load_dword v197, off, s[0:3], 0 offset:684
	buffer_load_dword v196, off, s[0:3], 0 offset:680
	;; [unrolled: 1-line block ×4, first 2 shown]
	v_mul_f64 v[54:55], v[202:203], v[66:67]
	v_fma_f64 v[6:7], v[200:201], v[68:69], -v[54:55]
	buffer_load_dword v200, off, s[0:3], 0 offset:696
	buffer_load_dword v202, off, s[0:3], 0 offset:688
	;; [unrolled: 1-line block ×20, first 2 shown]
	v_mul_f64 v[54:55], v[206:207], v[78:79]
	v_mul_f64 v[56:57], v[214:215], v[72:73]
	s_waitcnt vmcnt(58) lgkmcnt(2)
	v_mul_f64 v[112:113], v[38:39], v[164:165]
	v_fma_f64 v[204:205], v[204:205], v[80:81], -v[54:55]
	v_mul_f64 v[54:55], v[210:211], v[76:77]
	v_fma_f64 v[206:207], v[212:213], v[98:99], -v[56:57]
	ds_read_b128 v[212:215], v1 offset:1360
	s_waitcnt vmcnt(56)
	v_fmac_f64_e32 v[112:113], v[40:41], v[166:167]
	v_fma_f64 v[210:211], v[208:209], v[74:75], -v[54:55]
	s_waitcnt lgkmcnt(2)
	v_mul_f64 v[54:55], v[42:43], v[142:143]
	v_add_f64 v[2:3], v[2:3], v[112:113]
	v_fmac_f64_e32 v[54:55], v[44:45], v[146:147]
	v_add_f64 v[2:3], v[2:3], v[54:55]
	s_waitcnt vmcnt(50) lgkmcnt(1)
	v_mul_f64 v[54:55], v[46:47], v[168:169]
	s_waitcnt vmcnt(48)
	v_fmac_f64_e32 v[54:55], v[48:49], v[170:171]
	v_add_f64 v[2:3], v[2:3], v[54:55]
	v_fma_f64 v[208:209], v[58:59], v[86:87], -v[60:61]
	ds_read_b128 v[58:61], v1 offset:1392
	s_waitcnt lgkmcnt(1)
	v_mul_f64 v[54:55], v[212:213], v[150:151]
	v_fmac_f64_e32 v[54:55], v[214:215], v[154:155]
	v_add_f64 v[2:3], v[2:3], v[54:55]
	ds_read_b128 v[54:57], v1 offset:1376
	v_mul_f64 v[70:71], v[238:239], v[92:93]
	v_fma_f64 v[236:237], v[236:237], v[94:95], -v[70:71]
	ds_read_b128 v[70:73], v1 offset:1440
	ds_read_b128 v[82:85], v1 offset:1488
	;; [unrolled: 1-line block ×3, first 2 shown]
	v_mul_f64 v[98:99], v[174:175], v[104:105]
	v_fma_f64 v[98:99], v[172:173], v[106:107], -v[98:99]
	v_accvgpr_write_b32 a171, v99
	v_accvgpr_write_b32 a170, v98
	v_add_f64 v[14:15], v[14:15], 0
	v_add_f64 v[14:15], v[14:15], v[114:115]
	v_add_f64 v[14:15], v[14:15], v[116:117]
	v_add_f64 v[12:13], v[14:15], v[12:13]
	v_add_f64 v[10:11], v[12:13], v[10:11]
	v_add_f64 v[8:9], v[10:11], v[8:9]
	v_add_f64 v[6:7], v[8:9], v[6:7]
	v_add_f64 v[6:7], v[6:7], v[204:205]
	v_add_f64 v[6:7], v[6:7], v[210:211]
	v_add_f64 v[6:7], v[6:7], v[206:207]
	v_add_f64 v[6:7], v[6:7], v[208:209]
	v_accvgpr_read_b32 v8, a154
	v_accvgpr_read_b32 v9, a155
	v_accvgpr_read_b32 v10, a156
	v_mul_f64 v[8:9], v[122:123], v[8:9]
	v_accvgpr_read_b32 v11, a157
	v_fma_f64 v[8:9], v[120:121], v[10:11], -v[8:9]
	v_accvgpr_read_b32 v10, a160
	v_accvgpr_read_b32 v11, a161
	s_waitcnt vmcnt(46) lgkmcnt(3)
	v_mul_f64 v[66:67], v[54:55], v[118:119]
	s_waitcnt vmcnt(44)
	v_fmac_f64_e32 v[66:67], v[56:57], v[52:53]
	v_add_f64 v[2:3], v[2:3], v[66:67]
	v_mul_f64 v[66:67], v[218:219], v[96:97]
	ds_read_b128 v[94:97], v1 offset:1536
	v_fma_f64 v[50:51], v[216:217], v[50:51], -v[66:67]
	ds_read_b128 v[216:219], v1 offset:1408
	s_waitcnt vmcnt(41)
	v_mul_f64 v[66:67], v[58:59], v[16:17]
	s_waitcnt vmcnt(40)
	v_fmac_f64_e32 v[66:67], v[60:61], v[176:177]
	v_add_f64 v[2:3], v[2:3], v[66:67]
	ds_read_b128 v[66:69], v1 offset:1424
	s_waitcnt vmcnt(37) lgkmcnt(1)
	v_mul_f64 v[74:75], v[216:217], v[184:185]
	s_waitcnt vmcnt(35)
	v_fmac_f64_e32 v[74:75], v[218:219], v[186:187]
	v_add_f64 v[2:3], v[2:3], v[74:75]
	v_mul_f64 v[74:75], v[242:243], v[178:179]
	v_fma_f64 v[242:243], v[240:241], v[62:63], -v[74:75]
	ds_read_b128 v[74:77], v1 offset:1456
	s_waitcnt vmcnt(34) lgkmcnt(1)
	v_mul_f64 v[78:79], v[66:67], v[180:181]
	s_waitcnt vmcnt(32)
	v_fmac_f64_e32 v[78:79], v[68:69], v[188:189]
	v_add_f64 v[2:3], v[2:3], v[78:79]
	ds_read_b128 v[78:81], v1 offset:1472
	s_waitcnt vmcnt(29)
	v_mul_f64 v[62:63], v[70:71], v[192:193]
	s_waitcnt vmcnt(27)
	v_fmac_f64_e32 v[62:63], v[72:73], v[64:65]
	v_add_f64 v[2:3], v[2:3], v[62:63]
	s_waitcnt vmcnt(25) lgkmcnt(1)
	v_mul_f64 v[62:63], v[74:75], v[182:183]
	s_waitcnt vmcnt(24)
	v_fmac_f64_e32 v[62:63], v[76:77], v[190:191]
	v_add_f64 v[2:3], v[2:3], v[62:63]
	v_mul_f64 v[62:63], v[246:247], v[108:109]
	v_fma_f64 v[4:5], v[244:245], v[110:111], -v[62:63]
	s_waitcnt vmcnt(22) lgkmcnt(0)
	v_mul_f64 v[62:63], v[78:79], v[196:197]
	s_waitcnt vmcnt(20)
	v_fmac_f64_e32 v[62:63], v[80:81], v[198:199]
	v_add_f64 v[2:3], v[2:3], v[62:63]
	v_mul_f64 v[62:63], v[250:251], v[194:195]
	v_fma_f64 v[248:249], v[248:249], v[88:89], -v[62:63]
	ds_read_b128 v[86:89], v1 offset:1504
	s_waitcnt vmcnt(17)
	v_mul_f64 v[62:63], v[82:83], v[200:201]
	s_waitcnt vmcnt(16)
	v_fmac_f64_e32 v[62:63], v[84:85], v[202:203]
	v_add_f64 v[2:3], v[2:3], v[62:63]
	v_mul_f64 v[62:63], v[254:255], v[100:101]
	v_fma_f64 v[250:251], v[252:253], v[102:103], -v[62:63]
	s_waitcnt vmcnt(14) lgkmcnt(0)
	v_mul_f64 v[62:63], v[86:87], v[222:223]
	s_waitcnt vmcnt(12)
	v_fmac_f64_e32 v[62:63], v[88:89], v[226:227]
	ds_read_b128 v[98:101], v1 offset:1552
	v_add_f64 v[2:3], v[2:3], v[62:63]
	s_waitcnt vmcnt(10)
	v_mul_f64 v[62:63], v[90:91], v[224:225]
	s_waitcnt vmcnt(8)
	v_fmac_f64_e32 v[62:63], v[92:93], v[228:229]
	v_add_f64 v[2:3], v[2:3], v[62:63]
	s_waitcnt vmcnt(5)
	v_mul_f64 v[62:63], v[94:95], v[232:233]
	s_waitcnt vmcnt(3)
	v_fmac_f64_e32 v[62:63], v[96:97], v[234:235]
	v_add_f64 v[2:3], v[2:3], v[62:63]
	s_waitcnt vmcnt(1) lgkmcnt(0)
	v_mul_f64 v[62:63], v[98:99], v[220:221]
	s_waitcnt vmcnt(0)
	v_fmac_f64_e32 v[62:63], v[100:101], v[230:231]
	v_add_f64 v[62:63], v[2:3], v[62:63]
	buffer_load_dword v3, off, s[0:3], 0 offset:780
	buffer_load_dword v2, off, s[0:3], 0 offset:776
	;; [unrolled: 1-line block ×4, first 2 shown]
	ds_read_b128 v[102:105], v1 offset:1568
	v_add_f64 v[6:7], v[6:7], v[50:51]
	v_add_f64 v[6:7], v[6:7], v[236:237]
	;; [unrolled: 1-line block ×6, first 2 shown]
	v_accvgpr_read_b32 v6, a170
	v_accvgpr_read_b32 v7, a171
	v_add_f64 v[6:7], v[210:211], v[6:7]
	v_add_f64 v[6:7], v[6:7], v[8:9]
	v_mul_f64 v[8:9], v[126:127], v[140:141]
	v_fma_f64 v[8:9], v[124:125], v[144:145], -v[8:9]
	v_add_f64 v[6:7], v[6:7], v[8:9]
	v_accvgpr_read_b32 v8, a158
	v_accvgpr_read_b32 v9, a159
	v_mul_f64 v[8:9], v[130:131], v[8:9]
	v_fma_f64 v[8:9], v[128:129], v[10:11], -v[8:9]
	v_add_f64 v[6:7], v[6:7], v[8:9]
	v_mul_f64 v[8:9], v[134:135], v[148:149]
	v_fma_f64 v[8:9], v[132:133], v[152:153], -v[8:9]
	v_add_f64 v[6:7], v[6:7], v[8:9]
	v_accvgpr_read_b32 v8, a162
	v_accvgpr_read_b32 v9, a163
	;; [unrolled: 1-line block ×3, first 2 shown]
	v_mul_f64 v[8:9], v[20:21], v[8:9]
	v_accvgpr_read_b32 v11, a165
	v_fma_f64 v[8:9], v[18:19], v[10:11], -v[8:9]
	v_add_f64 v[6:7], v[6:7], v[8:9]
	v_mul_f64 v[8:9], v[24:25], v[156:157]
	v_fma_f64 v[8:9], v[22:23], v[158:159], -v[8:9]
	v_add_f64 v[6:7], v[6:7], v[8:9]
	v_accvgpr_read_b32 v8, a166
	v_accvgpr_read_b32 v9, a167
	;; [unrolled: 1-line block ×3, first 2 shown]
	v_mul_f64 v[8:9], v[28:29], v[8:9]
	v_accvgpr_read_b32 v11, a169
	v_fma_f64 v[8:9], v[26:27], v[10:11], -v[8:9]
	v_add_f64 v[6:7], v[6:7], v[8:9]
	v_mul_f64 v[8:9], v[32:33], v[160:161]
	v_fma_f64 v[8:9], v[30:31], v[162:163], -v[8:9]
	v_add_f64 v[6:7], v[6:7], v[8:9]
	v_mul_f64 v[8:9], v[36:37], v[136:137]
	;; [unrolled: 3-line block ×13, first 2 shown]
	v_fma_f64 v[8:9], v[78:79], v[198:199], -v[8:9]
	s_waitcnt vmcnt(2) lgkmcnt(0)
	v_mul_f64 v[106:107], v[102:103], v[2:3]
	v_add_f64 v[6:7], v[6:7], v[8:9]
	s_waitcnt vmcnt(0)
	v_fmac_f64_e32 v[106:107], v[104:105], v[178:179]
	v_add_f64 v[110:111], v[62:63], v[106:107]
	buffer_load_dword v194, off, s[0:3], 0 offset:792
	buffer_load_dword v195, off, s[0:3], 0 offset:796
	;; [unrolled: 1-line block ×4, first 2 shown]
	ds_read_b128 v[106:109], v1 offset:1584
	buffer_load_dword v239, off, s[0:3], 0 offset:812
	buffer_load_dword v238, off, s[0:3], 0 offset:808
	;; [unrolled: 1-line block ×4, first 2 shown]
	v_mul_f64 v[8:9], v[84:85], v[200:201]
	v_fma_f64 v[8:9], v[82:83], v[202:203], -v[8:9]
	v_add_f64 v[6:7], v[6:7], v[8:9]
	v_mul_f64 v[8:9], v[88:89], v[222:223]
	v_fma_f64 v[8:9], v[86:87], v[226:227], -v[8:9]
	v_add_f64 v[6:7], v[6:7], v[8:9]
	;; [unrolled: 3-line block ×4, first 2 shown]
	v_mul_f64 v[8:9], v[100:101], v[220:221]
	v_fma_f64 v[8:9], v[98:99], v[230:231], -v[8:9]
	v_mul_f64 v[2:3], v[104:105], v[2:3]
	v_add_f64 v[6:7], v[6:7], v[8:9]
	v_fma_f64 v[2:3], v[102:103], v[178:179], -v[2:3]
	v_add_f64 v[2:3], v[6:7], v[2:3]
	s_waitcnt vmcnt(6) lgkmcnt(0)
	v_mul_f64 v[112:113], v[106:107], v[194:195]
	v_mul_f64 v[6:7], v[108:109], v[194:195]
	s_waitcnt vmcnt(4)
	v_fmac_f64_e32 v[112:113], v[108:109], v[62:63]
	v_add_f64 v[172:173], v[110:111], v[112:113]
	ds_read_b128 v[110:113], v1 offset:1600
	buffer_load_dword v244, off, s[0:3], 0 offset:824
	buffer_load_dword v245, off, s[0:3], 0 offset:828
	;; [unrolled: 1-line block ×4, first 2 shown]
	v_fma_f64 v[6:7], v[106:107], v[62:63], -v[6:7]
	v_add_f64 v[2:3], v[2:3], v[6:7]
	s_waitcnt vmcnt(6) lgkmcnt(0)
	v_mul_f64 v[174:175], v[110:111], v[238:239]
	s_waitcnt vmcnt(4)
	v_fmac_f64_e32 v[174:175], v[112:113], v[240:241]
	v_add_f64 v[254:255], v[172:173], v[174:175]
	ds_read_b128 v[172:175], v1 offset:1616
	buffer_load_dword v4, off, s[0:3], 0 offset:64
	buffer_load_dword v5, off, s[0:3], 0 offset:68
	;; [unrolled: 1-line block ×4, first 2 shown]
	v_mul_f64 v[6:7], v[112:113], v[238:239]
	v_fma_f64 v[6:7], v[110:111], v[240:241], -v[6:7]
	v_add_f64 v[2:3], v[2:3], v[6:7]
	s_waitcnt vmcnt(6) lgkmcnt(0)
	v_mul_f64 v[6:7], v[174:175], v[244:245]
	v_mul_f64 v[252:253], v[172:173], v[244:245]
	s_waitcnt vmcnt(4)
	v_fma_f64 v[6:7], v[172:173], v[246:247], -v[6:7]
	v_fmac_f64_e32 v[252:253], v[174:175], v[246:247]
	v_add_f64 v[2:3], v[2:3], v[6:7]
	v_add_f64 v[254:255], v[254:255], v[252:253]
	s_waitcnt vmcnt(2)
	v_add_f64 v[2:3], v[4:5], -v[2:3]
	s_waitcnt vmcnt(0)
	v_add_f64 v[4:5], v[248:249], -v[254:255]
	buffer_store_dword v3, off, s[0:3], 0 offset:68
	buffer_store_dword v2, off, s[0:3], 0 offset:64
	;; [unrolled: 1-line block ×4, first 2 shown]
	s_and_saveexec_b64 s[4:5], vcc
	s_cbranch_execz .LBB114_315
; %bb.314:
	v_accvgpr_read_b32 v0, a150
	buffer_load_dword v2, v0, s[0:3], 0 offen
	buffer_load_dword v3, v0, s[0:3], 0 offen offset:4
	buffer_load_dword v4, v0, s[0:3], 0 offen offset:8
	;; [unrolled: 1-line block ×3, first 2 shown]
	v_accvgpr_read_b32 v0, a153
	buffer_store_dword v1, off, s[0:3], 0 offset:48
	buffer_store_dword v1, off, s[0:3], 0 offset:52
	;; [unrolled: 1-line block ×4, first 2 shown]
	s_waitcnt vmcnt(4)
	ds_write_b128 v0, v[2:5]
.LBB114_315:
	s_or_b64 exec, exec, s[4:5]
	s_waitcnt lgkmcnt(0)
	; wave barrier
	s_waitcnt lgkmcnt(0)
	buffer_load_dword v42, off, s[0:3], 0 offset:64
	buffer_load_dword v43, off, s[0:3], 0 offset:68
	;; [unrolled: 1-line block ×42, first 2 shown]
	ds_read_b128 v[110:113], v1 offset:864
	ds_read_b128 v[114:117], v1 offset:880
	;; [unrolled: 1-line block ×10, first 2 shown]
	buffer_load_dword v221, off, s[0:3], 0 offset:212
	buffer_load_dword v220, off, s[0:3], 0 offset:208
	ds_read_b128 v[50:53], v1 offset:1024
	buffer_load_dword v89, off, s[0:3], 0 offset:268
	buffer_load_dword v88, off, s[0:3], 0 offset:264
	;; [unrolled: 1-line block ×8, first 2 shown]
	s_waitcnt vmcnt(48) lgkmcnt(10)
	v_mul_f64 v[2:3], v[110:111], v[48:49]
	v_fmac_f64_e32 v[2:3], v[112:113], v[42:43]
	v_add_f64 v[2:3], v[2:3], 0
	s_waitcnt vmcnt(44) lgkmcnt(9)
	v_mul_f64 v[4:5], v[114:115], v[170:171]
	v_fmac_f64_e32 v[4:5], v[116:117], v[44:45]
	v_add_f64 v[2:3], v[2:3], v[4:5]
	buffer_load_dword v107, off, s[0:3], 0 offset:300
	buffer_load_dword v106, off, s[0:3], 0 offset:296
	;; [unrolled: 1-line block ×26, first 2 shown]
	s_waitcnt vmcnt(62) lgkmcnt(8)
	v_mul_f64 v[6:7], v[176:177], v[46:47]
	s_waitcnt lgkmcnt(6)
	v_mul_f64 v[10:11], v[188:189], v[58:59]
	v_fmac_f64_e32 v[10:11], v[190:191], v[222:223]
	v_mul_f64 v[46:47], v[178:179], v[46:47]
	v_mul_f64 v[8:9], v[180:181], v[60:61]
	s_waitcnt vmcnt(60) lgkmcnt(4)
	v_mul_f64 v[14:15], v[196:197], v[224:225]
	s_waitcnt vmcnt(58)
	v_fmac_f64_e32 v[14:15], v[198:199], v[64:65]
	s_waitcnt vmcnt(56)
	v_mul_f64 v[12:13], v[192:193], v[228:229]
	s_waitcnt vmcnt(54) lgkmcnt(2)
	v_mul_f64 v[18:19], v[204:205], v[68:69]
	s_waitcnt vmcnt(51)
	v_mul_f64 v[16:17], v[200:201], v[74:75]
	s_waitcnt vmcnt(49) lgkmcnt(1)
	v_mul_f64 v[20:21], v[208:209], v[72:73]
	s_waitcnt vmcnt(47)
	v_fmac_f64_e32 v[6:7], v[178:179], v[82:83]
	v_add_f64 v[2:3], v[2:3], v[6:7]
	s_waitcnt vmcnt(45)
	v_fmac_f64_e32 v[8:9], v[182:183], v[80:81]
	v_add_f64 v[2:3], v[2:3], v[8:9]
	s_waitcnt vmcnt(43)
	v_fmac_f64_e32 v[12:13], v[194:195], v[78:79]
	v_add_f64 v[2:3], v[2:3], v[10:11]
	v_add_f64 v[2:3], v[2:3], v[12:13]
	s_waitcnt vmcnt(41)
	v_fmac_f64_e32 v[16:17], v[202:203], v[76:77]
	v_add_f64 v[2:3], v[2:3], v[14:15]
	s_waitcnt vmcnt(40)
	v_fmac_f64_e32 v[18:19], v[206:207], v[70:71]
	v_add_f64 v[2:3], v[2:3], v[16:17]
	v_add_f64 v[2:3], v[2:3], v[18:19]
	s_waitcnt vmcnt(34)
	v_fmac_f64_e32 v[20:21], v[210:211], v[220:221]
	v_add_f64 v[2:3], v[2:3], v[20:21]
	s_waitcnt vmcnt(0)
	v_pk_mov_b32 v[18:19], v[4:5], v[4:5] op_sel:[0,1]
	buffer_load_dword v5, off, s[0:3], 0 offset:388
	buffer_load_dword v7, off, s[0:3], 0 offset:380
	;; [unrolled: 1-line block ×3, first 2 shown]
	v_accvgpr_write_b32 a159, v19
	v_accvgpr_write_b32 a158, v18
	s_waitcnt vmcnt(0)
	v_pk_mov_b32 v[14:15], v[6:7], v[6:7] op_sel:[0,1]
	buffer_load_dword v7, off, s[0:3], 0 offset:372
	buffer_load_dword v6, off, s[0:3], 0 offset:368
	buffer_load_dword v4, off, s[0:3], 0 offset:384
	v_accvgpr_write_b32 a155, v15
	v_accvgpr_write_b32 a154, v14
	s_waitcnt vmcnt(1)
	v_pk_mov_b32 v[16:17], v[6:7], v[6:7] op_sel:[0,1]
	s_waitcnt vmcnt(0)
	v_pk_mov_b32 v[22:23], v[4:5], v[4:5] op_sel:[0,1]
	buffer_load_dword v5, off, s[0:3], 0 offset:428
	buffer_load_dword v4, off, s[0:3], 0 offset:424
	v_accvgpr_write_b32 a157, v17
	v_accvgpr_write_b32 a156, v16
	;; [unrolled: 1-line block ×4, first 2 shown]
	s_waitcnt vmcnt(0)
	v_pk_mov_b32 v[26:27], v[4:5], v[4:5] op_sel:[0,1]
	buffer_load_dword v5, off, s[0:3], 0 offset:420
	buffer_load_dword v143, off, s[0:3], 0 offset:412
	;; [unrolled: 1-line block ×6, first 2 shown]
	v_accvgpr_write_b32 a163, v27
	v_accvgpr_write_b32 a162, v26
	s_waitcnt vmcnt(0)
	v_pk_mov_b32 v[28:29], v[4:5], v[4:5] op_sel:[0,1]
	buffer_load_dword v5, off, s[0:3], 0 offset:460
	buffer_load_dword v4, off, s[0:3], 0 offset:456
	v_accvgpr_write_b32 a165, v29
	v_accvgpr_write_b32 a164, v28
	s_waitcnt vmcnt(0)
	v_pk_mov_b32 v[34:35], v[4:5], v[4:5] op_sel:[0,1]
	buffer_load_dword v5, off, s[0:3], 0 offset:452
	buffer_load_dword v151, off, s[0:3], 0 offset:444
	;; [unrolled: 1-line block ×6, first 2 shown]
	v_accvgpr_write_b32 a167, v35
	v_accvgpr_write_b32 a166, v34
	s_waitcnt vmcnt(0)
	v_pk_mov_b32 v[36:37], v[4:5], v[4:5] op_sel:[0,1]
	buffer_load_dword v5, off, s[0:3], 0 offset:492
	buffer_load_dword v4, off, s[0:3], 0 offset:488
	v_accvgpr_write_b32 a169, v37
	v_accvgpr_write_b32 a168, v36
	s_waitcnt vmcnt(0)
	v_pk_mov_b32 v[38:39], v[4:5], v[4:5] op_sel:[0,1]
	buffer_load_dword v5, off, s[0:3], 0 offset:484
	buffer_load_dword v155, off, s[0:3], 0 offset:476
	;; [unrolled: 1-line block ×6, first 2 shown]
	v_accvgpr_write_b32 a171, v39
	v_accvgpr_write_b32 a170, v38
	s_waitcnt vmcnt(0)
	v_pk_mov_b32 v[40:41], v[4:5], v[4:5] op_sel:[0,1]
	buffer_load_dword v5, off, s[0:3], 0 offset:524
	buffer_load_dword v4, off, s[0:3], 0 offset:520
	;; [unrolled: 1-line block ×14, first 2 shown]
	ds_read_b128 v[212:215], v1 offset:1040
	ds_read_b128 v[216:219], v1 offset:1056
	ds_read_b128 v[236:239], v1 offset:1072
	ds_read_b128 v[240:243], v1 offset:1088
	ds_read_b128 v[244:247], v1 offset:1104
	ds_read_b128 v[248:251], v1 offset:1120
	ds_read_b128 v[252:255], v1 offset:1136
	ds_read_b128 v[118:121], v1 offset:1152
	ds_read_b128 v[138:141], v1 offset:1168
	ds_read_b128 v[134:137], v1 offset:1184
	ds_read_b128 v[130:133], v1 offset:1200
	ds_read_b128 v[126:129], v1 offset:1216
	s_waitcnt lgkmcnt(4)
	v_mul_f64 v[8:9], v[118:119], v[98:99]
	v_fmac_f64_e32 v[8:9], v[120:121], v[100:101]
	s_waitcnt lgkmcnt(3)
	v_mul_f64 v[12:13], v[138:139], v[14:15]
	v_fmac_f64_e32 v[12:13], v[140:141], v[16:17]
	;; [unrolled: 3-line block ×3, first 2 shown]
	s_waitcnt lgkmcnt(1)
	v_mul_f64 v[20:21], v[130:131], v[142:143]
	ds_read_b128 v[122:125], v1 offset:1232
	v_fmac_f64_e32 v[20:21], v[132:133], v[146:147]
	s_waitcnt lgkmcnt(1)
	v_mul_f64 v[24:25], v[126:127], v[26:27]
	v_fmac_f64_e32 v[24:25], v[128:129], v[28:29]
	v_accvgpr_write_b32 a173, v41
	v_accvgpr_write_b32 a172, v40
	s_waitcnt vmcnt(12)
	v_pk_mov_b32 v[172:173], v[4:5], v[4:5] op_sel:[0,1]
	v_mul_f64 v[4:5], v[50:51], v[84:85]
	v_fmac_f64_e32 v[4:5], v[52:53], v[86:87]
	v_add_f64 v[2:3], v[2:3], v[4:5]
	v_mul_f64 v[4:5], v[212:213], v[96:97]
	v_fmac_f64_e32 v[4:5], v[214:215], v[54:55]
	v_add_f64 v[2:3], v[2:3], v[4:5]
	;; [unrolled: 3-line block ×8, first 2 shown]
	v_add_f64 v[10:11], v[6:7], v[8:9]
	v_add_f64 v[14:15], v[10:11], v[12:13]
	;; [unrolled: 1-line block ×5, first 2 shown]
	ds_read_b128 v[22:25], v1 offset:1248
	s_waitcnt lgkmcnt(1)
	v_mul_f64 v[28:29], v[122:123], v[150:151]
	v_fmac_f64_e32 v[28:29], v[124:125], v[152:153]
	v_add_f64 v[30:31], v[26:27], v[28:29]
	ds_read_b128 v[26:29], v1 offset:1264
	s_waitcnt lgkmcnt(1)
	v_mul_f64 v[32:33], v[22:23], v[34:35]
	v_fmac_f64_e32 v[32:33], v[24:25], v[36:37]
	v_add_f64 v[34:35], v[30:31], v[32:33]
	;; [unrolled: 5-line block ×3, first 2 shown]
	ds_read_b128 v[34:37], v1 offset:1296
	s_waitcnt lgkmcnt(1)
	v_mul_f64 v[168:169], v[30:31], v[38:39]
	v_fmac_f64_e32 v[168:169], v[32:33], v[40:41]
	ds_read_b128 v[38:41], v1 offset:1312
	v_add_f64 v[166:167], v[166:167], v[168:169]
	s_waitcnt vmcnt(9) lgkmcnt(1)
	v_mul_f64 v[168:169], v[34:35], v[158:159]
	s_waitcnt vmcnt(7)
	v_fmac_f64_e32 v[168:169], v[36:37], v[162:163]
	v_add_f64 v[166:167], v[166:167], v[168:169]
	s_waitcnt lgkmcnt(0)
	v_mul_f64 v[168:169], v[38:39], v[172:173]
	s_waitcnt vmcnt(6)
	v_fmac_f64_e32 v[168:169], v[40:41], v[144:145]
	v_add_f64 v[2:3], v[166:167], v[168:169]
	buffer_load_dword v169, off, s[0:3], 0 offset:548
	buffer_load_dword v168, off, s[0:3], 0 offset:544
	v_accvgpr_write_b32 a175, v173
	v_mul_f64 v[4:5], v[112:113], v[48:49]
	buffer_load_dword v166, off, s[0:3], 0 offset:584
	v_accvgpr_write_b32 a174, v172
	v_fma_f64 v[18:19], v[110:111], v[42:43], -v[4:5]
	v_mul_f64 v[42:43], v[116:117], v[170:171]
	buffer_load_dword v173, off, s[0:3], 0 offset:572
	buffer_load_dword v172, off, s[0:3], 0 offset:568
	buffer_load_dword v175, off, s[0:3], 0 offset:564
	buffer_load_dword v174, off, s[0:3], 0 offset:560
	buffer_load_dword v170, off, s[0:3], 0 offset:576
	buffer_load_dword v167, off, s[0:3], 0 offset:588
	buffer_load_dword v171, off, s[0:3], 0 offset:580
	v_fma_f64 v[230:231], v[114:115], v[44:45], -v[42:43]
	ds_read_b128 v[42:45], v1 offset:1328
	v_fma_f64 v[110:111], v[176:177], v[82:83], -v[46:47]
	v_mul_f64 v[46:47], v[182:183], v[60:61]
	buffer_load_dword v177, off, s[0:3], 0 offset:604
	buffer_load_dword v176, off, s[0:3], 0 offset:600
	;; [unrolled: 1-line block ×4, first 2 shown]
	v_fma_f64 v[112:113], v[180:181], v[80:81], -v[46:47]
	buffer_load_dword v181, off, s[0:3], 0 offset:620
	buffer_load_dword v180, off, s[0:3], 0 offset:616
	;; [unrolled: 1-line block ×8, first 2 shown]
	v_mul_f64 v[46:47], v[190:191], v[58:59]
	v_fma_f64 v[14:15], v[188:189], v[222:223], -v[46:47]
	buffer_load_dword v188, off, s[0:3], 0 offset:648
	v_mul_f64 v[8:9], v[194:195], v[228:229]
	v_fma_f64 v[10:11], v[192:193], v[78:79], -v[8:9]
	buffer_load_dword v192, off, s[0:3], 0 offset:640
	buffer_load_dword v189, off, s[0:3], 0 offset:652
	;; [unrolled: 1-line block ×3, first 2 shown]
	v_mul_f64 v[46:47], v[198:199], v[224:225]
	v_fma_f64 v[8:9], v[196:197], v[64:65], -v[46:47]
	buffer_load_dword v190, off, s[0:3], 0 offset:680
	buffer_load_dword v197, off, s[0:3], 0 offset:668
	;; [unrolled: 1-line block ×8, first 2 shown]
	v_mul_f64 v[46:47], v[202:203], v[74:75]
	v_fma_f64 v[6:7], v[200:201], v[76:77], -v[46:47]
	buffer_load_dword v201, off, s[0:3], 0 offset:700
	buffer_load_dword v200, off, s[0:3], 0 offset:696
	;; [unrolled: 1-line block ×8, first 2 shown]
	v_mul_f64 v[46:47], v[210:211], v[72:73]
	v_mul_f64 v[16:17], v[206:207], v[68:69]
	v_fma_f64 v[210:211], v[208:209], v[220:221], -v[46:47]
	buffer_load_dword v220, off, s[0:3], 0 offset:744
	buffer_load_dword v229, off, s[0:3], 0 offset:732
	;; [unrolled: 1-line block ×12, first 2 shown]
	s_waitcnt vmcnt(56) lgkmcnt(0)
	v_mul_f64 v[12:13], v[42:43], v[160:161]
	s_waitcnt vmcnt(54)
	v_fmac_f64_e32 v[12:13], v[44:45], v[164:165]
	v_add_f64 v[2:3], v[2:3], v[12:13]
	ds_read_b128 v[46:49], v1 offset:1344
	v_mul_f64 v[12:13], v[52:53], v[84:85]
	v_fma_f64 v[12:13], v[50:51], v[86:87], -v[12:13]
	ds_read_b128 v[50:53], v1 offset:1360
	v_mul_f64 v[60:61], v[214:215], v[96:97]
	v_fma_f64 v[16:17], v[204:205], v[70:71], -v[16:17]
	v_fma_f64 v[204:205], v[212:213], v[54:55], -v[60:61]
	ds_read_b128 v[212:215], v1 offset:1376
	s_waitcnt lgkmcnt(2)
	v_mul_f64 v[58:59], v[46:47], v[148:149]
	v_mul_f64 v[74:75], v[242:243], v[106:107]
	v_fma_f64 v[242:243], v[240:241], v[108:109], -v[74:75]
	v_mul_f64 v[78:79], v[246:247], v[226:227]
	v_fma_f64 v[4:5], v[244:245], v[66:67], -v[78:79]
	ds_read_b128 v[78:81], v1 offset:1472
	v_add_f64 v[18:19], v[18:19], 0
	v_add_f64 v[18:19], v[18:19], v[230:231]
	;; [unrolled: 1-line block ×12, first 2 shown]
	ds_read_b128 v[74:77], v1 offset:1456
	s_waitcnt vmcnt(52)
	v_fmac_f64_e32 v[58:59], v[48:49], v[168:169]
	v_add_f64 v[2:3], v[2:3], v[58:59]
	s_waitcnt vmcnt(49) lgkmcnt(3)
	v_mul_f64 v[54:55], v[50:51], v[172:173]
	ds_read_b128 v[58:61], v1 offset:1392
	s_waitcnt vmcnt(47)
	v_fmac_f64_e32 v[54:55], v[52:53], v[174:175]
	v_add_f64 v[2:3], v[2:3], v[54:55]
	s_waitcnt vmcnt(45) lgkmcnt(3)
	v_mul_f64 v[54:55], v[212:213], v[166:167]
	s_waitcnt vmcnt(44)
	v_fmac_f64_e32 v[54:55], v[214:215], v[170:171]
	v_add_f64 v[2:3], v[2:3], v[54:55]
	v_mul_f64 v[54:55], v[218:219], v[88:89]
	v_fma_f64 v[206:207], v[216:217], v[90:91], -v[54:55]
	ds_read_b128 v[216:219], v1 offset:1408
	v_mul_f64 v[54:55], v[238:239], v[56:57]
	v_fma_f64 v[62:63], v[236:237], v[62:63], -v[54:55]
	ds_read_b128 v[54:57], v1 offset:1424
	s_waitcnt vmcnt(42) lgkmcnt(2)
	v_mul_f64 v[70:71], v[58:59], v[176:177]
	s_waitcnt vmcnt(40)
	v_fmac_f64_e32 v[70:71], v[60:61], v[178:179]
	v_add_f64 v[2:3], v[2:3], v[70:71]
	s_waitcnt vmcnt(38) lgkmcnt(1)
	v_mul_f64 v[70:71], v[216:217], v[180:181]
	s_waitcnt vmcnt(36)
	v_fmac_f64_e32 v[70:71], v[218:219], v[184:185]
	v_add_f64 v[2:3], v[2:3], v[70:71]
	;; [unrolled: 5-line block ×3, first 2 shown]
	ds_read_b128 v[70:73], v1 offset:1440
	s_waitcnt vmcnt(25)
	v_mul_f64 v[20:21], v[74:75], v[196:197]
	ds_read_b128 v[86:89], v1 offset:1504
	s_waitcnt vmcnt(23)
	v_fmac_f64_e32 v[20:21], v[76:77], v[198:199]
	v_mul_f64 v[90:91], v[254:255], v[102:103]
	s_waitcnt lgkmcnt(1)
	v_mul_f64 v[82:83], v[70:71], v[188:189]
	v_fmac_f64_e32 v[82:83], v[72:73], v[192:193]
	v_add_f64 v[2:3], v[2:3], v[82:83]
	ds_read_b128 v[82:85], v1 offset:1488
	v_add_f64 v[2:3], v[2:3], v[20:21]
	s_waitcnt vmcnt(21)
	v_mul_f64 v[20:21], v[78:79], v[190:191]
	s_waitcnt vmcnt(20)
	v_fmac_f64_e32 v[20:21], v[80:81], v[194:195]
	v_add_f64 v[2:3], v[2:3], v[20:21]
	s_waitcnt vmcnt(18) lgkmcnt(0)
	v_mul_f64 v[66:67], v[82:83], v[200:201]
	v_mul_f64 v[20:21], v[250:251], v[92:93]
	s_waitcnt vmcnt(16)
	v_fmac_f64_e32 v[66:67], v[84:85], v[202:203]
	v_fma_f64 v[252:253], v[252:253], v[104:105], -v[90:91]
	ds_read_b128 v[90:93], v1 offset:1520
	v_add_f64 v[2:3], v[2:3], v[66:67]
	s_waitcnt vmcnt(14)
	v_mul_f64 v[66:67], v[86:87], v[222:223]
	v_fma_f64 v[20:21], v[248:249], v[94:95], -v[20:21]
	s_waitcnt vmcnt(12)
	v_fmac_f64_e32 v[66:67], v[88:89], v[224:225]
	ds_read_b128 v[94:97], v1 offset:1536
	v_add_f64 v[2:3], v[2:3], v[66:67]
	v_mul_f64 v[66:67], v[120:121], v[98:99]
	v_fma_f64 v[254:255], v[118:119], v[100:101], -v[66:67]
	ds_read_b128 v[98:101], v1 offset:1552
	s_waitcnt vmcnt(9) lgkmcnt(2)
	v_mul_f64 v[66:67], v[90:91], v[228:229]
	s_waitcnt vmcnt(7)
	v_fmac_f64_e32 v[66:67], v[92:93], v[232:233]
	v_add_f64 v[2:3], v[2:3], v[66:67]
	s_waitcnt vmcnt(5) lgkmcnt(1)
	v_mul_f64 v[66:67], v[94:95], v[220:221]
	s_waitcnt vmcnt(4)
	v_fmac_f64_e32 v[66:67], v[96:97], v[64:65]
	v_add_f64 v[2:3], v[2:3], v[66:67]
	;; [unrolled: 5-line block ×3, first 2 shown]
	buffer_load_dword v2, off, s[0:3], 0 offset:776
	buffer_load_dword v3, off, s[0:3], 0 offset:780
	;; [unrolled: 1-line block ×4, first 2 shown]
	ds_read_b128 v[102:105], v1 offset:1568
	buffer_load_dword v237, off, s[0:3], 0 offset:796
	buffer_load_dword v236, off, s[0:3], 0 offset:792
	;; [unrolled: 1-line block ×4, first 2 shown]
	v_add_f64 v[6:7], v[6:7], v[206:207]
	v_add_f64 v[6:7], v[6:7], v[62:63]
	;; [unrolled: 1-line block ×7, first 2 shown]
	s_waitcnt vmcnt(6) lgkmcnt(0)
	v_mul_f64 v[108:109], v[102:103], v[2:3]
	v_mul_f64 v[2:3], v[104:105], v[2:3]
	s_waitcnt vmcnt(4)
	v_fmac_f64_e32 v[108:109], v[104:105], v[66:67]
	v_add_f64 v[114:115], v[106:107], v[108:109]
	ds_read_b128 v[106:109], v1 offset:1584
	buffer_load_dword v238, off, s[0:3], 0 offset:808
	buffer_load_dword v239, off, s[0:3], 0 offset:812
	;; [unrolled: 1-line block ×4, first 2 shown]
	ds_read_b128 v[118:121], v1 offset:1600
	buffer_load_dword v245, off, s[0:3], 0 offset:828
	buffer_load_dword v244, off, s[0:3], 0 offset:824
	;; [unrolled: 1-line block ×4, first 2 shown]
	v_fma_f64 v[2:3], v[102:103], v[66:67], -v[2:3]
	s_waitcnt vmcnt(10) lgkmcnt(1)
	v_mul_f64 v[116:117], v[106:107], v[236:237]
	s_waitcnt vmcnt(8)
	v_fmac_f64_e32 v[116:117], v[108:109], v[208:209]
	v_add_f64 v[114:115], v[114:115], v[116:117]
	s_waitcnt vmcnt(6) lgkmcnt(0)
	v_mul_f64 v[116:117], v[118:119], v[238:239]
	s_waitcnt vmcnt(4)
	v_fmac_f64_e32 v[116:117], v[120:121], v[240:241]
	v_add_f64 v[226:227], v[114:115], v[116:117]
	ds_read_b128 v[114:117], v1 offset:1616
	v_accvgpr_read_b32 v0, a154
	v_accvgpr_read_b32 v1, a155
	v_mul_f64 v[6:7], v[140:141], v[0:1]
	v_accvgpr_read_b32 v0, a156
	s_waitcnt vmcnt(2) lgkmcnt(0)
	v_mul_f64 v[248:249], v[114:115], v[244:245]
	s_waitcnt vmcnt(0)
	v_fmac_f64_e32 v[248:249], v[116:117], v[246:247]
	v_add_f64 v[226:227], v[226:227], v[248:249]
	buffer_load_dword v250, off, s[0:3], 0 offset:48
	buffer_load_dword v251, off, s[0:3], 0 offset:52
	buffer_load_dword v248, off, s[0:3], 0 offset:56
	buffer_load_dword v249, off, s[0:3], 0 offset:60
	v_accvgpr_read_b32 v1, a157
	v_fma_f64 v[6:7], v[138:139], v[0:1], -v[6:7]
	v_accvgpr_read_b32 v0, a158
	v_accvgpr_read_b32 v1, a159
	v_add_f64 v[4:5], v[4:5], v[6:7]
	v_mul_f64 v[6:7], v[136:137], v[0:1]
	v_accvgpr_read_b32 v0, a160
	v_accvgpr_read_b32 v1, a161
	v_fma_f64 v[6:7], v[134:135], v[0:1], -v[6:7]
	v_add_f64 v[4:5], v[4:5], v[6:7]
	v_mul_f64 v[6:7], v[132:133], v[142:143]
	v_accvgpr_read_b32 v0, a162
	v_fma_f64 v[6:7], v[130:131], v[146:147], -v[6:7]
	v_accvgpr_read_b32 v1, a163
	v_add_f64 v[4:5], v[4:5], v[6:7]
	v_mul_f64 v[6:7], v[128:129], v[0:1]
	v_accvgpr_read_b32 v0, a164
	v_accvgpr_read_b32 v1, a165
	v_fma_f64 v[6:7], v[126:127], v[0:1], -v[6:7]
	v_add_f64 v[4:5], v[4:5], v[6:7]
	v_mul_f64 v[6:7], v[124:125], v[150:151]
	v_accvgpr_read_b32 v0, a166
	v_fma_f64 v[6:7], v[122:123], v[152:153], -v[6:7]
	;; [unrolled: 10-line block ×4, first 2 shown]
	v_accvgpr_read_b32 v1, a175
	v_add_f64 v[4:5], v[4:5], v[6:7]
	v_mul_f64 v[6:7], v[40:41], v[0:1]
	v_fma_f64 v[6:7], v[38:39], v[144:145], -v[6:7]
	v_add_f64 v[4:5], v[4:5], v[6:7]
	v_mul_f64 v[6:7], v[44:45], v[160:161]
	v_fma_f64 v[6:7], v[42:43], v[164:165], -v[6:7]
	;; [unrolled: 3-line block ×16, first 2 shown]
	v_add_f64 v[4:5], v[4:5], v[6:7]
	v_add_f64 v[2:3], v[4:5], v[2:3]
	v_mul_f64 v[4:5], v[108:109], v[236:237]
	v_fma_f64 v[4:5], v[106:107], v[208:209], -v[4:5]
	v_add_f64 v[2:3], v[2:3], v[4:5]
	v_mul_f64 v[4:5], v[120:121], v[238:239]
	v_fma_f64 v[4:5], v[118:119], v[240:241], -v[4:5]
	;; [unrolled: 3-line block ×3, first 2 shown]
	v_add_f64 v[2:3], v[2:3], v[4:5]
	v_accvgpr_read_b32 v0, a152
	s_waitcnt vmcnt(2)
	v_add_f64 v[2:3], v[250:251], -v[2:3]
	v_cmp_lt_u32_e32 vcc, 1, v0
	s_waitcnt vmcnt(0)
	v_add_f64 v[4:5], v[248:249], -v[226:227]
	buffer_store_dword v3, off, s[0:3], 0 offset:52
	buffer_store_dword v2, off, s[0:3], 0 offset:48
	;; [unrolled: 1-line block ×4, first 2 shown]
	s_and_saveexec_b64 s[4:5], vcc
	s_cbranch_execz .LBB114_317
; %bb.316:
	v_accvgpr_read_b32 v0, a151
	buffer_load_dword v2, v0, s[0:3], 0 offen
	buffer_load_dword v3, v0, s[0:3], 0 offen offset:4
	buffer_load_dword v4, v0, s[0:3], 0 offen offset:8
	;; [unrolled: 1-line block ×3, first 2 shown]
	v_mov_b32_e32 v0, 0
	v_accvgpr_read_b32 v1, a153
	buffer_store_dword v0, off, s[0:3], 0 offset:32
	buffer_store_dword v0, off, s[0:3], 0 offset:36
	;; [unrolled: 1-line block ×4, first 2 shown]
	s_waitcnt vmcnt(4)
	ds_write_b128 v1, v[2:5]
.LBB114_317:
	s_or_b64 exec, exec, s[4:5]
	v_mov_b32_e32 v210, 0
	s_waitcnt lgkmcnt(0)
	; wave barrier
	s_waitcnt lgkmcnt(0)
	buffer_load_dword v38, off, s[0:3], 0 offset:48
	buffer_load_dword v39, off, s[0:3], 0 offset:52
	;; [unrolled: 1-line block ×49, first 2 shown]
	ds_read_b128 v[108:111], v210 offset:848
	ds_read_b128 v[112:115], v210 offset:864
	;; [unrolled: 1-line block ×11, first 2 shown]
	buffer_load_dword v84, off, s[0:3], 0 offset:232
	buffer_load_dword v209, off, s[0:3], 0 offset:228
	;; [unrolled: 1-line block ×29, first 2 shown]
	s_waitcnt vmcnt(62) lgkmcnt(10)
	v_mul_f64 v[2:3], v[108:109], v[40:41]
	v_fmac_f64_e32 v[2:3], v[110:111], v[38:39]
	v_add_f64 v[2:3], v[2:3], 0
	v_mul_f64 v[40:41], v[110:111], v[40:41]
	s_waitcnt lgkmcnt(9)
	v_mul_f64 v[4:5], v[112:113], v[46:47]
	v_fmac_f64_e32 v[4:5], v[114:115], v[44:45]
	s_waitcnt lgkmcnt(8)
	v_mul_f64 v[6:7], v[116:117], v[42:43]
	v_add_f64 v[2:3], v[2:3], v[4:5]
	s_waitcnt lgkmcnt(6)
	v_mul_f64 v[10:11], v[146:147], v[48:49]
	v_fma_f64 v[108:109], v[108:109], v[38:39], -v[40:41]
	v_fmac_f64_e32 v[10:11], v[148:149], v[50:51]
	v_mul_f64 v[42:43], v[118:119], v[42:43]
	v_mul_f64 v[8:9], v[136:137], v[52:53]
	;; [unrolled: 1-line block ×3, first 2 shown]
	s_waitcnt vmcnt(60) lgkmcnt(4)
	v_mul_f64 v[14:15], v[156:157], v[56:57]
	v_fma_f64 v[112:113], v[112:113], v[44:45], -v[46:47]
	s_waitcnt vmcnt(58)
	v_fmac_f64_e32 v[14:15], v[158:159], v[54:55]
	v_add_f64 v[108:109], v[108:109], 0
	s_waitcnt vmcnt(56)
	v_mul_f64 v[12:13], v[150:151], v[154:155]
	v_mul_f64 v[46:47], v[152:153], v[154:155]
	s_waitcnt vmcnt(54) lgkmcnt(2)
	v_mul_f64 v[18:19], v[164:165], v[64:65]
	v_add_f64 v[108:109], v[108:109], v[112:113]
	s_waitcnt vmcnt(51)
	v_mul_f64 v[16:17], v[160:161], v[66:67]
	s_waitcnt vmcnt(49) lgkmcnt(1)
	v_mul_f64 v[20:21], v[168:169], v[60:61]
	s_waitcnt vmcnt(47)
	v_fmac_f64_e32 v[6:7], v[118:119], v[74:75]
	v_add_f64 v[2:3], v[2:3], v[6:7]
	s_waitcnt vmcnt(45)
	v_fmac_f64_e32 v[8:9], v[138:139], v[142:143]
	v_add_f64 v[2:3], v[2:3], v[8:9]
	;; [unrolled: 3-line block ×3, first 2 shown]
	v_add_f64 v[2:3], v[2:3], v[12:13]
	v_add_f64 v[2:3], v[2:3], v[14:15]
	s_waitcnt vmcnt(41)
	v_fmac_f64_e32 v[16:17], v[162:163], v[68:69]
	v_add_f64 v[2:3], v[2:3], v[16:17]
	s_waitcnt vmcnt(40)
	v_fmac_f64_e32 v[18:19], v[166:167], v[62:63]
	v_add_f64 v[2:3], v[2:3], v[18:19]
	s_waitcnt vmcnt(34)
	v_fmac_f64_e32 v[20:21], v[170:171], v[98:99]
	s_waitcnt lgkmcnt(0)
	v_mul_f64 v[4:5], v[172:173], v[76:77]
	s_waitcnt vmcnt(0)
	v_pk_mov_b32 v[14:15], v[0:1], v[0:1] op_sel:[0,1]
	buffer_load_dword v1, off, s[0:3], 0 offset:372
	buffer_load_dword v0, off, s[0:3], 0 offset:368
	v_add_f64 v[2:3], v[2:3], v[20:21]
	v_fmac_f64_e32 v[4:5], v[174:175], v[82:83]
	v_add_f64 v[2:3], v[2:3], v[4:5]
	v_accvgpr_write_b32 a155, v15
	v_accvgpr_write_b32 a154, v14
	s_waitcnt vmcnt(0)
	v_pk_mov_b32 v[16:17], v[0:1], v[0:1] op_sel:[0,1]
	buffer_load_dword v95, off, s[0:3], 0 offset:364
	buffer_load_dword v94, off, s[0:3], 0 offset:360
	buffer_load_dword v97, off, s[0:3], 0 offset:356
	buffer_load_dword v96, off, s[0:3], 0 offset:352
	buffer_load_dword v1, off, s[0:3], 0 offset:412
	buffer_load_dword v0, off, s[0:3], 0 offset:408
	v_accvgpr_write_b32 a157, v17
	v_accvgpr_write_b32 a156, v16
	s_waitcnt vmcnt(0)
	v_pk_mov_b32 v[22:23], v[0:1], v[0:1] op_sel:[0,1]
	buffer_load_dword v1, off, s[0:3], 0 offset:404
	buffer_load_dword v0, off, s[0:3], 0 offset:400
	v_accvgpr_write_b32 a159, v23
	v_accvgpr_write_b32 a158, v22
	s_waitcnt vmcnt(0)
	v_pk_mov_b32 v[24:25], v[0:1], v[0:1] op_sel:[0,1]
	buffer_load_dword v239, off, s[0:3], 0 offset:396
	buffer_load_dword v238, off, s[0:3], 0 offset:392
	buffer_load_dword v243, off, s[0:3], 0 offset:388
	buffer_load_dword v242, off, s[0:3], 0 offset:384
	buffer_load_dword v1, off, s[0:3], 0 offset:444
	buffer_load_dword v0, off, s[0:3], 0 offset:440
	v_accvgpr_write_b32 a161, v25
	v_accvgpr_write_b32 a160, v24
	s_waitcnt vmcnt(0)
	v_pk_mov_b32 v[30:31], v[0:1], v[0:1] op_sel:[0,1]
	buffer_load_dword v1, off, s[0:3], 0 offset:436
	buffer_load_dword v0, off, s[0:3], 0 offset:432
	v_accvgpr_write_b32 a163, v31
	v_accvgpr_write_b32 a162, v30
	s_waitcnt vmcnt(0)
	v_pk_mov_b32 v[32:33], v[0:1], v[0:1] op_sel:[0,1]
	buffer_load_dword v247, off, s[0:3], 0 offset:428
	buffer_load_dword v246, off, s[0:3], 0 offset:424
	buffer_load_dword v249, off, s[0:3], 0 offset:420
	buffer_load_dword v248, off, s[0:3], 0 offset:416
	buffer_load_dword v1, off, s[0:3], 0 offset:476
	buffer_load_dword v0, off, s[0:3], 0 offset:472
	v_accvgpr_write_b32 a165, v33
	v_accvgpr_write_b32 a164, v32
	s_waitcnt vmcnt(0)
	v_pk_mov_b32 v[128:129], v[0:1], v[0:1] op_sel:[0,1]
	buffer_load_dword v1, off, s[0:3], 0 offset:468
	buffer_load_dword v0, off, s[0:3], 0 offset:464
	v_accvgpr_write_b32 a167, v129
	v_accvgpr_write_b32 a166, v128
	s_waitcnt vmcnt(0)
	v_pk_mov_b32 v[130:131], v[0:1], v[0:1] op_sel:[0,1]
	buffer_load_dword v251, off, s[0:3], 0 offset:460
	buffer_load_dword v250, off, s[0:3], 0 offset:456
	buffer_load_dword v253, off, s[0:3], 0 offset:452
	buffer_load_dword v252, off, s[0:3], 0 offset:448
	buffer_load_dword v1, off, s[0:3], 0 offset:508
	buffer_load_dword v0, off, s[0:3], 0 offset:504
	v_accvgpr_write_b32 a169, v131
	v_accvgpr_write_b32 a168, v130
	s_waitcnt vmcnt(0)
	v_pk_mov_b32 v[132:133], v[0:1], v[0:1] op_sel:[0,1]
	buffer_load_dword v1, off, s[0:3], 0 offset:500
	buffer_load_dword v0, off, s[0:3], 0 offset:496
	buffer_load_dword v255, off, s[0:3], 0 offset:492
	buffer_load_dword v254, off, s[0:3], 0 offset:488
	;; [unrolled: 1-line block ×12, first 2 shown]
	ds_read_b128 v[180:183], v210 offset:1024
	ds_read_b128 v[184:187], v210 offset:1040
	;; [unrolled: 1-line block ×6, first 2 shown]
	s_waitcnt lgkmcnt(5)
	v_mul_f64 v[4:5], v[180:181], v[84:85]
	v_fmac_f64_e32 v[4:5], v[182:183], v[208:209]
	v_add_f64 v[2:3], v[2:3], v[4:5]
	s_waitcnt lgkmcnt(4)
	v_mul_f64 v[4:5], v[184:185], v[78:79]
	v_fmac_f64_e32 v[4:5], v[186:187], v[80:81]
	v_add_f64 v[2:3], v[2:3], v[4:5]
	;; [unrolled: 4-line block ×3, first 2 shown]
	s_waitcnt lgkmcnt(2)
	v_mul_f64 v[4:5], v[192:193], v[104:105]
	v_fmac_f64_e32 v[4:5], v[194:195], v[106:107]
	ds_read_b128 v[204:207], v210 offset:1120
	ds_read_b128 v[212:215], v210 offset:1136
	v_add_f64 v[2:3], v[2:3], v[4:5]
	s_waitcnt lgkmcnt(3)
	v_mul_f64 v[4:5], v[196:197], v[70:71]
	v_fmac_f64_e32 v[4:5], v[198:199], v[72:73]
	v_add_f64 v[2:3], v[2:3], v[4:5]
	s_waitcnt lgkmcnt(2)
	v_mul_f64 v[4:5], v[200:201], v[86:87]
	ds_read_b128 v[216:219], v210 offset:1152
	ds_read_b128 v[228:231], v210 offset:1168
	v_fmac_f64_e32 v[4:5], v[202:203], v[88:89]
	v_add_f64 v[2:3], v[2:3], v[4:5]
	s_waitcnt lgkmcnt(3)
	v_mul_f64 v[4:5], v[204:205], v[100:101]
	ds_read_b128 v[224:227], v210 offset:1184
	ds_read_b128 v[220:223], v210 offset:1200
	;; [unrolled: 6-line block ×3, first 2 shown]
	v_fmac_f64_e32 v[4:5], v[214:215], v[92:93]
	s_waitcnt lgkmcnt(5)
	v_mul_f64 v[8:9], v[216:217], v[94:95]
	v_add_f64 v[6:7], v[2:3], v[4:5]
	v_fmac_f64_e32 v[8:9], v[218:219], v[96:97]
	s_waitcnt lgkmcnt(4)
	v_mul_f64 v[12:13], v[228:229], v[14:15]
	v_add_f64 v[10:11], v[6:7], v[8:9]
	;; [unrolled: 4-line block ×5, first 2 shown]
	v_fmac_f64_e32 v[24:25], v[126:127], v[248:249]
	v_add_f64 v[26:27], v[22:23], v[24:25]
	ds_read_b128 v[22:25], v210 offset:1248
	s_waitcnt lgkmcnt(1)
	v_mul_f64 v[28:29], v[120:121], v[30:31]
	v_fmac_f64_e32 v[28:29], v[122:123], v[32:33]
	v_add_f64 v[30:31], v[26:27], v[28:29]
	ds_read_b128 v[26:29], v210 offset:1264
	s_waitcnt lgkmcnt(1)
	v_mul_f64 v[32:33], v[22:23], v[250:251]
	;; [unrolled: 5-line block ×3, first 2 shown]
	v_fmac_f64_e32 v[36:37], v[28:29], v[130:131]
	v_add_f64 v[128:129], v[34:35], v[36:37]
	ds_read_b128 v[34:37], v210 offset:1296
	ds_read_b128 v[38:41], v210 offset:1312
	v_accvgpr_write_b32 a171, v133
	v_accvgpr_write_b32 a170, v132
	s_waitcnt vmcnt(10) lgkmcnt(2)
	v_mul_f64 v[110:111], v[30:31], v[254:255]
	v_fma_f64 v[18:19], v[116:117], v[74:75], -v[42:43]
	s_waitcnt vmcnt(8)
	v_fmac_f64_e32 v[110:111], v[32:33], v[234:235]
	v_add_f64 v[110:111], v[128:129], v[110:111]
	s_waitcnt lgkmcnt(1)
	v_mul_f64 v[128:129], v[34:35], v[132:133]
	v_fmac_f64_e32 v[128:129], v[36:37], v[0:1]
	v_add_f64 v[110:111], v[110:111], v[128:129]
	buffer_load_dword v129, off, s[0:3], 0 offset:556
	buffer_load_dword v128, off, s[0:3], 0 offset:552
	;; [unrolled: 1-line block ×4, first 2 shown]
	s_waitcnt vmcnt(6) lgkmcnt(0)
	v_mul_f64 v[132:133], v[38:39], v[236:237]
	v_mul_f64 v[42:43], v[138:139], v[52:53]
	s_waitcnt vmcnt(4)
	v_fmac_f64_e32 v[132:133], v[40:41], v[232:233]
	v_add_f64 v[110:111], v[110:111], v[132:133]
	buffer_load_dword v132, off, s[0:3], 0 offset:568
	buffer_load_dword v134, off, s[0:3], 0 offset:560
	;; [unrolled: 1-line block ×4, first 2 shown]
	v_fma_f64 v[14:15], v[136:137], v[142:143], -v[42:43]
	buffer_load_dword v137, off, s[0:3], 0 offset:604
	buffer_load_dword v139, off, s[0:3], 0 offset:588
	;; [unrolled: 1-line block ×8, first 2 shown]
	v_mul_f64 v[4:5], v[148:149], v[48:49]
	ds_read_b128 v[42:45], v210 offset:1328
	v_fma_f64 v[10:11], v[146:147], v[50:51], -v[4:5]
	buffer_load_dword v118, off, s[0:3], 0 offset:632
	buffer_load_dword v147, off, s[0:3], 0 offset:620
	;; [unrolled: 1-line block ×5, first 2 shown]
	v_fma_f64 v[6:7], v[150:151], v[176:177], -v[46:47]
	buffer_load_dword v150, off, s[0:3], 0 offset:624
	buffer_load_dword v119, off, s[0:3], 0 offset:636
	;; [unrolled: 1-line block ×7, first 2 shown]
	v_mul_f64 v[46:47], v[162:163], v[66:67]
	v_mul_f64 v[8:9], v[158:159], v[56:57]
	v_fma_f64 v[4:5], v[160:161], v[68:69], -v[46:47]
	buffer_load_dword v158, off, s[0:3], 0 offset:664
	buffer_load_dword v160, off, s[0:3], 0 offset:656
	;; [unrolled: 1-line block ×4, first 2 shown]
	v_mul_f64 v[12:13], v[166:167], v[64:65]
	v_fma_f64 v[8:9], v[156:157], v[54:55], -v[8:9]
	v_fma_f64 v[12:13], v[164:165], v[62:63], -v[12:13]
	buffer_load_dword v157, off, s[0:3], 0 offset:700
	buffer_load_dword v163, off, s[0:3], 0 offset:684
	;; [unrolled: 1-line block ×8, first 2 shown]
	v_mul_f64 v[52:53], v[170:171], v[60:61]
	ds_read_b128 v[46:49], v210 offset:1344
	v_fma_f64 v[2:3], v[168:169], v[98:99], -v[52:53]
	buffer_load_dword v169, off, s[0:3], 0 offset:716
	buffer_load_dword v168, off, s[0:3], 0 offset:712
	;; [unrolled: 1-line block ×4, first 2 shown]
	v_mul_f64 v[16:17], v[174:175], v[76:77]
	v_fma_f64 v[16:17], v[172:173], v[82:83], -v[16:17]
	buffer_load_dword v172, off, s[0:3], 0 offset:728
	buffer_load_dword v174, off, s[0:3], 0 offset:720
	;; [unrolled: 1-line block ×8, first 2 shown]
	s_waitcnt lgkmcnt(1)
	v_mul_f64 v[50:51], v[42:43], v[240:241]
	v_fmac_f64_e32 v[50:51], v[44:45], v[244:245]
	v_mul_f64 v[52:53], v[182:183], v[84:85]
	v_add_f64 v[50:51], v[110:111], v[50:51]
	v_fma_f64 v[110:111], v[180:181], v[208:209], -v[52:53]
	buffer_load_dword v180, off, s[0:3], 0 offset:760
	buffer_load_dword v182, off, s[0:3], 0 offset:752
	;; [unrolled: 1-line block ×4, first 2 shown]
	v_mul_f64 v[54:55], v[186:187], v[78:79]
	v_fma_f64 v[208:209], v[184:185], v[80:81], -v[54:55]
	v_mul_f64 v[60:61], v[190:191], v[140:141]
	v_fma_f64 v[140:141], v[188:189], v[58:59], -v[60:61]
	ds_read_b128 v[58:61], v210 offset:1392
	v_mul_f64 v[66:67], v[194:195], v[104:105]
	v_fma_f64 v[106:107], v[192:193], v[106:107], -v[66:67]
	ds_read_b128 v[66:69], v210 offset:1424
	v_accvgpr_write_b32 a173, v1
	v_mul_f64 v[70:71], v[198:199], v[70:71]
	v_accvgpr_write_b32 a172, v0
	v_fma_f64 v[0:1], v[196:197], v[72:73], -v[70:71]
	v_mul_f64 v[78:79], v[202:203], v[86:87]
	v_fma_f64 v[202:203], v[200:201], v[88:89], -v[78:79]
	v_mul_f64 v[82:83], v[206:207], v[100:101]
	v_fma_f64 v[204:205], v[204:205], v[102:103], -v[82:83]
	ds_read_b128 v[82:85], v210 offset:1488
	v_mul_f64 v[90:91], v[214:215], v[90:91]
	v_fma_f64 v[196:197], v[212:213], v[92:93], -v[90:91]
	ds_read_b128 v[90:93], v210 offset:1520
	v_mul_f64 v[94:95], v[218:219], v[94:95]
	v_fma_f64 v[94:95], v[216:217], v[96:97], -v[94:95]
	v_accvgpr_write_b32 a175, v95
	v_accvgpr_write_b32 a174, v94
	v_add_f64 v[18:19], v[108:109], v[18:19]
	v_add_f64 v[14:15], v[18:19], v[14:15]
	;; [unrolled: 1-line block ×5, first 2 shown]
	ds_read_b128 v[54:57], v210 offset:1376
	v_add_f64 v[4:5], v[6:7], v[4:5]
	v_add_f64 v[4:5], v[4:5], v[12:13]
	;; [unrolled: 1-line block ×10, first 2 shown]
	ds_read_b128 v[70:73], v210 offset:1440
	v_add_f64 v[0:1], v[0:1], v[204:205]
	s_waitcnt vmcnt(54) lgkmcnt(6)
	v_mul_f64 v[52:53], v[46:47], v[128:129]
	v_accvgpr_read_b32 v2, a154
	s_waitcnt vmcnt(52)
	v_fmac_f64_e32 v[52:53], v[48:49], v[130:131]
	v_add_f64 v[62:63], v[50:51], v[52:53]
	ds_read_b128 v[50:53], v210 offset:1360
	v_add_f64 v[208:209], v[0:1], v[196:197]
	v_accvgpr_read_b32 v0, a174
	v_accvgpr_read_b32 v3, a155
	;; [unrolled: 1-line block ×3, first 2 shown]
	s_waitcnt vmcnt(49) lgkmcnt(0)
	v_mul_f64 v[64:65], v[50:51], v[132:133]
	s_waitcnt vmcnt(48)
	v_fmac_f64_e32 v[64:65], v[52:53], v[134:135]
	v_add_f64 v[62:63], v[62:63], v[64:65]
	s_waitcnt vmcnt(45)
	v_mul_f64 v[64:65], v[54:55], v[138:139]
	s_waitcnt vmcnt(43)
	v_fmac_f64_e32 v[64:65], v[56:57], v[144:145]
	v_add_f64 v[62:63], v[62:63], v[64:65]
	s_waitcnt vmcnt(42)
	v_mul_f64 v[64:65], v[58:59], v[136:137]
	s_waitcnt vmcnt(40)
	v_fmac_f64_e32 v[64:65], v[60:61], v[142:143]
	v_add_f64 v[74:75], v[62:63], v[64:65]
	ds_read_b128 v[62:65], v210 offset:1408
	ds_read_b128 v[78:81], v210 offset:1472
	;; [unrolled: 1-line block ×3, first 2 shown]
	v_accvgpr_read_b32 v1, a175
	v_mul_f64 v[2:3], v[230:231], v[2:3]
	s_waitcnt vmcnt(37) lgkmcnt(2)
	v_mul_f64 v[76:77], v[62:63], v[146:147]
	s_waitcnt vmcnt(35)
	v_fmac_f64_e32 v[76:77], v[64:65], v[148:149]
	v_add_f64 v[20:21], v[74:75], v[76:77]
	s_waitcnt vmcnt(33)
	v_mul_f64 v[74:75], v[66:67], v[118:119]
	s_waitcnt vmcnt(32)
	v_fmac_f64_e32 v[74:75], v[68:69], v[150:151]
	v_add_f64 v[20:21], v[20:21], v[74:75]
	s_waitcnt vmcnt(30)
	v_mul_f64 v[74:75], v[70:71], v[152:153]
	s_waitcnt vmcnt(28)
	v_fmac_f64_e32 v[74:75], v[72:73], v[154:155]
	v_add_f64 v[20:21], v[20:21], v[74:75]
	ds_read_b128 v[74:77], v210 offset:1456
	v_accvgpr_read_b32 v5, a157
	v_add_f64 v[0:1], v[208:209], v[0:1]
	v_fma_f64 v[2:3], v[228:229], v[4:5], -v[2:3]
	v_add_f64 v[0:1], v[0:1], v[2:3]
	s_waitcnt vmcnt(25) lgkmcnt(0)
	v_mul_f64 v[86:87], v[74:75], v[158:159]
	s_waitcnt vmcnt(24)
	v_fmac_f64_e32 v[86:87], v[76:77], v[160:161]
	v_add_f64 v[20:21], v[20:21], v[86:87]
	s_waitcnt vmcnt(21)
	v_mul_f64 v[86:87], v[78:79], v[162:163]
	s_waitcnt vmcnt(19)
	v_fmac_f64_e32 v[86:87], v[80:81], v[166:167]
	v_add_f64 v[20:21], v[20:21], v[86:87]
	s_waitcnt vmcnt(18)
	v_mul_f64 v[86:87], v[82:83], v[156:157]
	s_waitcnt vmcnt(16)
	v_fmac_f64_e32 v[86:87], v[84:85], v[164:165]
	v_add_f64 v[20:21], v[20:21], v[86:87]
	ds_read_b128 v[86:89], v210 offset:1504
	v_mul_f64 v[2:3], v[226:227], v[238:239]
	v_fma_f64 v[2:3], v[224:225], v[242:243], -v[2:3]
	v_add_f64 v[0:1], v[0:1], v[2:3]
	v_accvgpr_read_b32 v2, a158
	s_waitcnt vmcnt(14) lgkmcnt(0)
	v_mul_f64 v[98:99], v[86:87], v[168:169]
	s_waitcnt vmcnt(12)
	v_fmac_f64_e32 v[98:99], v[88:89], v[170:171]
	v_add_f64 v[20:21], v[20:21], v[98:99]
	s_waitcnt vmcnt(9)
	v_mul_f64 v[98:99], v[90:91], v[172:173]
	s_waitcnt vmcnt(8)
	v_fmac_f64_e32 v[98:99], v[92:93], v[174:175]
	v_add_f64 v[20:21], v[20:21], v[98:99]
	s_waitcnt vmcnt(6)
	v_mul_f64 v[98:99], v[94:95], v[176:177]
	s_waitcnt vmcnt(4)
	v_fmac_f64_e32 v[98:99], v[96:97], v[178:179]
	v_add_f64 v[20:21], v[20:21], v[98:99]
	ds_read_b128 v[98:101], v210 offset:1552
	buffer_load_dword v185, off, s[0:3], 0 offset:780
	buffer_load_dword v184, off, s[0:3], 0 offset:776
	;; [unrolled: 1-line block ×4, first 2 shown]
	v_accvgpr_read_b32 v3, a159
	v_accvgpr_read_b32 v4, a160
	v_mul_f64 v[2:3], v[222:223], v[2:3]
	s_waitcnt vmcnt(5) lgkmcnt(0)
	v_mul_f64 v[102:103], v[98:99], v[180:181]
	s_waitcnt vmcnt(4)
	v_fmac_f64_e32 v[102:103], v[100:101], v[182:183]
	v_add_f64 v[20:21], v[20:21], v[102:103]
	ds_read_b128 v[102:105], v210 offset:1568
	buffer_load_dword v188, off, s[0:3], 0 offset:792
	buffer_load_dword v189, off, s[0:3], 0 offset:796
	buffer_load_dword v190, off, s[0:3], 0 offset:784
	buffer_load_dword v191, off, s[0:3], 0 offset:788
	ds_read_b128 v[212:215], v210 offset:1584
	buffer_load_dword v193, off, s[0:3], 0 offset:812
	buffer_load_dword v192, off, s[0:3], 0 offset:808
	buffer_load_dword v195, off, s[0:3], 0 offset:804
	buffer_load_dword v194, off, s[0:3], 0 offset:800
	;; [unrolled: 5-line block ×3, first 2 shown]
	v_accvgpr_read_b32 v5, a161
	v_fma_f64 v[2:3], v[220:221], v[4:5], -v[2:3]
	v_add_f64 v[0:1], v[0:1], v[2:3]
	v_mul_f64 v[2:3], v[126:127], v[246:247]
	v_fma_f64 v[2:3], v[124:125], v[248:249], -v[2:3]
	v_add_f64 v[0:1], v[0:1], v[2:3]
	v_accvgpr_read_b32 v2, a162
	v_accvgpr_read_b32 v3, a163
	v_accvgpr_read_b32 v4, a164
	v_mul_f64 v[2:3], v[122:123], v[2:3]
	v_accvgpr_read_b32 v5, a165
	v_fma_f64 v[2:3], v[120:121], v[4:5], -v[2:3]
	v_add_f64 v[0:1], v[0:1], v[2:3]
	v_mul_f64 v[2:3], v[24:25], v[250:251]
	v_fma_f64 v[2:3], v[22:23], v[252:253], -v[2:3]
	v_add_f64 v[0:1], v[0:1], v[2:3]
	v_accvgpr_read_b32 v2, a166
	v_accvgpr_read_b32 v3, a167
	v_accvgpr_read_b32 v4, a168
	v_mul_f64 v[2:3], v[28:29], v[2:3]
	;; [unrolled: 10-line block ×3, first 2 shown]
	v_accvgpr_read_b32 v5, a173
	v_fma_f64 v[2:3], v[34:35], v[4:5], -v[2:3]
	v_add_f64 v[0:1], v[0:1], v[2:3]
	v_mul_f64 v[2:3], v[40:41], v[236:237]
	v_fma_f64 v[2:3], v[38:39], v[232:233], -v[2:3]
	v_add_f64 v[0:1], v[0:1], v[2:3]
	v_mul_f64 v[2:3], v[44:45], v[240:241]
	;; [unrolled: 3-line block ×11, first 2 shown]
	v_fma_f64 v[2:3], v[78:79], v[166:167], -v[2:3]
	s_waitcnt vmcnt(14) lgkmcnt(2)
	v_mul_f64 v[114:115], v[102:103], v[184:185]
	v_add_f64 v[0:1], v[0:1], v[2:3]
	s_waitcnt vmcnt(12)
	v_fmac_f64_e32 v[114:115], v[104:105], v[186:187]
	v_add_f64 v[20:21], v[20:21], v[114:115]
	v_mul_f64 v[2:3], v[84:85], v[156:157]
	v_fma_f64 v[2:3], v[82:83], v[164:165], -v[2:3]
	v_add_f64 v[0:1], v[0:1], v[2:3]
	v_mul_f64 v[2:3], v[88:89], v[168:169]
	s_waitcnt vmcnt(10) lgkmcnt(1)
	v_mul_f64 v[114:115], v[212:213], v[188:189]
	v_fma_f64 v[2:3], v[86:87], v[170:171], -v[2:3]
	s_waitcnt vmcnt(8)
	v_fmac_f64_e32 v[114:115], v[214:215], v[190:191]
	v_add_f64 v[20:21], v[20:21], v[114:115]
	s_waitcnt vmcnt(6) lgkmcnt(0)
	v_mul_f64 v[114:115], v[216:217], v[192:193]
	s_waitcnt vmcnt(4)
	v_fmac_f64_e32 v[114:115], v[218:219], v[194:195]
	v_add_f64 v[20:21], v[20:21], v[114:115]
	ds_read_b128 v[114:117], v210 offset:1616
	buffer_load_dword v204, off, s[0:3], 0 offset:32
	buffer_load_dword v205, off, s[0:3], 0 offset:36
	;; [unrolled: 1-line block ×4, first 2 shown]
	v_add_f64 v[0:1], v[0:1], v[2:3]
	v_mul_f64 v[2:3], v[92:93], v[172:173]
	v_fma_f64 v[2:3], v[90:91], v[174:175], -v[2:3]
	v_add_f64 v[0:1], v[0:1], v[2:3]
	v_mul_f64 v[2:3], v[96:97], v[176:177]
	v_fma_f64 v[2:3], v[94:95], v[178:179], -v[2:3]
	;; [unrolled: 3-line block ×6, first 2 shown]
	v_add_f64 v[0:1], v[0:1], v[2:3]
	s_waitcnt vmcnt(6) lgkmcnt(0)
	v_mul_f64 v[2:3], v[116:117], v[198:199]
	v_mul_f64 v[206:207], v[114:115], v[198:199]
	s_waitcnt vmcnt(4)
	v_fma_f64 v[2:3], v[114:115], v[200:201], -v[2:3]
	v_fmac_f64_e32 v[206:207], v[116:117], v[200:201]
	v_add_f64 v[0:1], v[0:1], v[2:3]
	v_add_f64 v[20:21], v[20:21], v[206:207]
	s_waitcnt vmcnt(2)
	v_add_f64 v[0:1], v[204:205], -v[0:1]
	s_waitcnt vmcnt(0)
	v_add_f64 v[2:3], v[202:203], -v[20:21]
	buffer_store_dword v1, off, s[0:3], 0 offset:36
	buffer_store_dword v0, off, s[0:3], 0 offset:32
	;; [unrolled: 1-line block ×4, first 2 shown]
	v_accvgpr_read_b32 v0, a152
	v_cmp_ne_u32_e32 vcc, 0, v0
	s_and_saveexec_b64 s[4:5], vcc
	s_cbranch_execz .LBB114_319
; %bb.318:
	buffer_load_dword v0, off, s[0:3], 0 offset:16
	buffer_load_dword v1, off, s[0:3], 0 offset:20
	;; [unrolled: 1-line block ×4, first 2 shown]
	v_accvgpr_read_b32 v4, a153
	buffer_store_dword v210, off, s[0:3], 0 offset:16
	buffer_store_dword v210, off, s[0:3], 0 offset:20
	;; [unrolled: 1-line block ×4, first 2 shown]
	s_waitcnt vmcnt(4)
	ds_write_b128 v4, v[0:3]
.LBB114_319:
	s_or_b64 exec, exec, s[4:5]
	s_waitcnt lgkmcnt(0)
	; wave barrier
	s_waitcnt lgkmcnt(0)
	buffer_load_dword v28, off, s[0:3], 0 offset:32
	buffer_load_dword v29, off, s[0:3], 0 offset:36
	;; [unrolled: 1-line block ×42, first 2 shown]
	ds_read_b128 v[32:35], v210 offset:832
	ds_read_b128 v[106:109], v210 offset:848
	;; [unrolled: 1-line block ×10, first 2 shown]
	buffer_load_dword v115, off, s[0:3], 0 offset:180
	buffer_load_dword v114, off, s[0:3], 0 offset:176
	ds_read_b128 v[44:47], v210 offset:992
	buffer_load_dword v79, off, s[0:3], 0 offset:236
	buffer_load_dword v78, off, s[0:3], 0 offset:232
	;; [unrolled: 1-line block ×6, first 2 shown]
	s_and_b64 vcc, exec, s[16:17]
	s_waitcnt vmcnt(46) lgkmcnt(10)
	v_mul_f64 v[0:1], v[32:33], v[30:31]
	v_fmac_f64_e32 v[0:1], v[34:35], v[28:29]
	v_add_f64 v[0:1], v[0:1], 0
	v_mul_f64 v[30:31], v[34:35], v[30:31]
	s_waitcnt vmcnt(42) lgkmcnt(9)
	v_mul_f64 v[2:3], v[106:107], v[38:39]
	v_fmac_f64_e32 v[2:3], v[108:109], v[36:37]
	s_waitcnt vmcnt(40) lgkmcnt(8)
	v_mul_f64 v[4:5], v[110:111], v[40:41]
	v_add_f64 v[0:1], v[0:1], v[2:3]
	s_waitcnt vmcnt(38) lgkmcnt(6)
	v_mul_f64 v[8:9], v[136:137], v[48:49]
	v_mul_f64 v[38:39], v[108:109], v[38:39]
	s_waitcnt vmcnt(36)
	v_fmac_f64_e32 v[8:9], v[138:139], v[50:51]
	v_fma_f64 v[152:153], v[106:107], v[36:37], -v[38:39]
	s_waitcnt vmcnt(34)
	v_mul_f64 v[6:7], v[130:131], v[52:53]
	v_mul_f64 v[40:41], v[112:113], v[40:41]
	s_waitcnt vmcnt(32) lgkmcnt(4)
	v_mul_f64 v[12:13], v[146:147], v[54:55]
	v_mul_f64 v[52:53], v[132:133], v[52:53]
	s_waitcnt vmcnt(30)
	v_fmac_f64_e32 v[12:13], v[148:149], v[150:151]
	v_mul_f64 v[48:49], v[138:139], v[48:49]
	s_waitcnt vmcnt(28)
	v_mul_f64 v[10:11], v[142:143], v[58:59]
	s_waitcnt vmcnt(26) lgkmcnt(2)
	v_mul_f64 v[16:17], v[158:159], v[62:63]
	s_waitcnt vmcnt(23)
	v_mul_f64 v[14:15], v[154:155], v[66:67]
	s_waitcnt vmcnt(21) lgkmcnt(1)
	v_mul_f64 v[18:19], v[162:163], v[60:61]
	s_waitcnt vmcnt(19)
	v_fmac_f64_e32 v[4:5], v[112:113], v[42:43]
	v_add_f64 v[0:1], v[0:1], v[4:5]
	s_waitcnt vmcnt(17)
	v_fmac_f64_e32 v[6:7], v[132:133], v[72:73]
	v_add_f64 v[0:1], v[0:1], v[6:7]
	s_waitcnt vmcnt(15)
	v_fmac_f64_e32 v[10:11], v[144:145], v[70:71]
	v_add_f64 v[0:1], v[0:1], v[8:9]
	v_add_f64 v[0:1], v[0:1], v[10:11]
	s_waitcnt vmcnt(13)
	v_fmac_f64_e32 v[14:15], v[156:157], v[68:69]
	v_add_f64 v[0:1], v[0:1], v[12:13]
	s_waitcnt vmcnt(12)
	v_fmac_f64_e32 v[16:17], v[160:161], v[64:65]
	v_add_f64 v[0:1], v[0:1], v[14:15]
	v_add_f64 v[4:5], v[0:1], v[16:17]
	buffer_load_dword v119, off, s[0:3], 0 offset:212
	buffer_load_dword v118, off, s[0:3], 0 offset:208
	;; [unrolled: 1-line block ×36, first 2 shown]
	s_waitcnt vmcnt(42)
	v_fmac_f64_e32 v[18:19], v[164:165], v[114:115]
	s_waitcnt lgkmcnt(0)
	v_mul_f64 v[6:7], v[44:45], v[74:75]
	v_add_f64 v[4:5], v[4:5], v[18:19]
	v_fmac_f64_e32 v[6:7], v[46:47], v[76:77]
	v_add_f64 v[4:5], v[4:5], v[6:7]
	v_fma_f64 v[110:111], v[110:111], v[42:43], -v[40:41]
	v_mul_f64 v[46:47], v[46:47], v[74:75]
	s_waitcnt vmcnt(0)
	v_pk_mov_b32 v[16:17], v[2:3], v[2:3] op_sel:[0,1]
	buffer_load_dword v3, off, s[0:3], 0 offset:388
	buffer_load_dword v2, off, s[0:3], 0 offset:384
	v_accvgpr_write_b32 a157, v17
	v_accvgpr_write_b32 a156, v16
	s_waitcnt vmcnt(0)
	v_pk_mov_b32 v[20:21], v[2:3], v[2:3] op_sel:[0,1]
	buffer_load_dword v3, off, s[0:3], 0 offset:380
	buffer_load_dword v2, off, s[0:3], 0 offset:376
	v_accvgpr_write_b32 a159, v21
	v_accvgpr_write_b32 a158, v20
	;; [unrolled: 6-line block ×5, first 2 shown]
	s_waitcnt vmcnt(0)
	v_pk_mov_b32 v[26:27], v[2:3], v[2:3] op_sel:[0,1]
	buffer_load_dword v243, off, s[0:3], 0 offset:412
	buffer_load_dword v242, off, s[0:3], 0 offset:408
	;; [unrolled: 1-line block ×6, first 2 shown]
	v_accvgpr_write_b32 a163, v27
	v_accvgpr_write_b32 a162, v26
	s_waitcnt vmcnt(0)
	v_pk_mov_b32 v[124:125], v[2:3], v[2:3] op_sel:[0,1]
	buffer_load_dword v3, off, s[0:3], 0 offset:452
	buffer_load_dword v2, off, s[0:3], 0 offset:448
	v_accvgpr_write_b32 a165, v125
	v_accvgpr_write_b32 a164, v124
	s_waitcnt vmcnt(0)
	v_pk_mov_b32 v[134:135], v[2:3], v[2:3] op_sel:[0,1]
	buffer_load_dword v247, off, s[0:3], 0 offset:444
	buffer_load_dword v246, off, s[0:3], 0 offset:440
	;; [unrolled: 1-line block ×6, first 2 shown]
	v_accvgpr_write_b32 a167, v135
	v_accvgpr_write_b32 a166, v134
	s_waitcnt vmcnt(0)
	v_pk_mov_b32 v[140:141], v[2:3], v[2:3] op_sel:[0,1]
	buffer_load_dword v3, off, s[0:3], 0 offset:484
	buffer_load_dword v2, off, s[0:3], 0 offset:480
	v_accvgpr_write_b32 a169, v141
	v_accvgpr_write_b32 a168, v140
	s_waitcnt vmcnt(0)
	v_pk_mov_b32 v[170:171], v[2:3], v[2:3] op_sel:[0,1]
	buffer_load_dword v251, off, s[0:3], 0 offset:476
	buffer_load_dword v250, off, s[0:3], 0 offset:472
	;; [unrolled: 1-line block ×6, first 2 shown]
	v_accvgpr_write_b32 a170, v170
	v_accvgpr_write_b32 a171, v171
	s_waitcnt vmcnt(0)
	v_pk_mov_b32 v[174:175], v[2:3], v[2:3] op_sel:[0,1]
	buffer_load_dword v3, off, s[0:3], 0 offset:516
	buffer_load_dword v2, off, s[0:3], 0 offset:512
	;; [unrolled: 1-line block ×6, first 2 shown]
	ds_read_b128 v[166:169], v210 offset:1008
	ds_read_b128 v[178:181], v210 offset:1024
	;; [unrolled: 1-line block ×6, first 2 shown]
	s_waitcnt lgkmcnt(5)
	v_mul_f64 v[6:7], v[166:167], v[102:103]
	v_fmac_f64_e32 v[6:7], v[168:169], v[118:119]
	v_add_f64 v[4:5], v[4:5], v[6:7]
	s_waitcnt lgkmcnt(4)
	v_mul_f64 v[6:7], v[178:179], v[78:79]
	v_fmac_f64_e32 v[6:7], v[180:181], v[80:81]
	v_add_f64 v[4:5], v[4:5], v[6:7]
	;; [unrolled: 4-line block ×3, first 2 shown]
	s_waitcnt lgkmcnt(2)
	v_mul_f64 v[6:7], v[186:187], v[104:105]
	v_fmac_f64_e32 v[6:7], v[188:189], v[216:217]
	ds_read_b128 v[198:201], v210 offset:1104
	ds_read_b128 v[202:205], v210 offset:1120
	v_add_f64 v[4:5], v[4:5], v[6:7]
	s_waitcnt lgkmcnt(3)
	v_mul_f64 v[6:7], v[190:191], v[0:1]
	v_fmac_f64_e32 v[6:7], v[192:193], v[56:57]
	v_add_f64 v[4:5], v[4:5], v[6:7]
	s_waitcnt lgkmcnt(2)
	v_mul_f64 v[6:7], v[194:195], v[86:87]
	v_fmac_f64_e32 v[6:7], v[196:197], v[98:99]
	ds_read_b128 v[206:209], v210 offset:1136
	ds_read_b128 v[212:215], v210 offset:1152
	v_add_f64 v[4:5], v[4:5], v[6:7]
	s_waitcnt lgkmcnt(3)
	v_mul_f64 v[6:7], v[198:199], v[96:97]
	v_fmac_f64_e32 v[6:7], v[200:201], v[100:101]
	v_add_f64 v[4:5], v[4:5], v[6:7]
	s_waitcnt lgkmcnt(2)
	v_mul_f64 v[6:7], v[202:203], v[82:83]
	ds_read_b128 v[236:239], v210 offset:1168
	ds_read_b128 v[232:235], v210 offset:1184
	v_fmac_f64_e32 v[6:7], v[204:205], v[84:85]
	v_add_f64 v[4:5], v[4:5], v[6:7]
	s_waitcnt lgkmcnt(3)
	v_mul_f64 v[6:7], v[206:207], v[88:89]
	ds_read_b128 v[228:231], v210 offset:1200
	v_fmac_f64_e32 v[6:7], v[208:209], v[90:91]
	buffer_load_dword v117, off, s[0:3], 0 offset:540
	buffer_load_dword v116, off, s[0:3], 0 offset:536
	ds_read_b128 v[224:227], v210 offset:1216
	ds_read_b128 v[220:223], v210 offset:1232
	v_add_f64 v[4:5], v[4:5], v[6:7]
	s_waitcnt lgkmcnt(5)
	v_mul_f64 v[6:7], v[212:213], v[92:93]
	v_fmac_f64_e32 v[6:7], v[214:215], v[94:95]
	s_waitcnt lgkmcnt(4)
	v_mul_f64 v[10:11], v[236:237], v[12:13]
	v_add_f64 v[8:9], v[4:5], v[6:7]
	v_fmac_f64_e32 v[10:11], v[238:239], v[14:15]
	s_waitcnt lgkmcnt(3)
	v_mul_f64 v[14:15], v[232:233], v[16:17]
	v_add_f64 v[12:13], v[8:9], v[10:11]
	;; [unrolled: 4-line block ×3, first 2 shown]
	v_fmac_f64_e32 v[18:19], v[230:231], v[244:245]
	s_waitcnt lgkmcnt(1)
	v_mul_f64 v[22:23], v[224:225], v[24:25]
	ds_read_b128 v[120:123], v210 offset:1248
	v_add_f64 v[20:21], v[16:17], v[18:19]
	v_fmac_f64_e32 v[22:23], v[226:227], v[26:27]
	s_waitcnt lgkmcnt(1)
	v_mul_f64 v[26:27], v[220:221], v[246:247]
	v_add_f64 v[24:25], v[20:21], v[22:23]
	v_fmac_f64_e32 v[26:27], v[222:223], v[248:249]
	v_add_f64 v[126:127], v[24:25], v[26:27]
	ds_read_b128 v[24:27], v210 offset:1264
	s_waitcnt lgkmcnt(1)
	v_mul_f64 v[128:129], v[120:121], v[124:125]
	buffer_load_dword v125, off, s[0:3], 0 offset:532
	buffer_load_dword v124, off, s[0:3], 0 offset:528
	v_fma_f64 v[20:21], v[32:33], v[28:29], -v[30:31]
	ds_read_b128 v[28:31], v210 offset:1280
	v_fmac_f64_e32 v[128:129], v[122:123], v[134:135]
	s_waitcnt lgkmcnt(1)
	v_mul_f64 v[32:33], v[24:25], v[250:251]
	v_add_f64 v[126:127], v[126:127], v[128:129]
	v_fmac_f64_e32 v[32:33], v[26:27], v[252:253]
	v_add_f64 v[126:127], v[126:127], v[32:33]
	ds_read_b128 v[32:35], v210 offset:1296
	s_waitcnt lgkmcnt(1)
	v_mul_f64 v[106:107], v[28:29], v[140:141]
	v_fmac_f64_e32 v[106:107], v[30:31], v[170:171]
	ds_read_b128 v[36:39], v210 offset:1312
	v_add_f64 v[106:107], v[126:127], v[106:107]
	buffer_load_dword v126, off, s[0:3], 0 offset:552
	buffer_load_dword v128, off, s[0:3], 0 offset:544
	;; [unrolled: 1-line block ×4, first 2 shown]
	s_waitcnt vmcnt(10) lgkmcnt(1)
	v_mul_f64 v[108:109], v[32:33], v[254:255]
	s_waitcnt vmcnt(8)
	v_fmac_f64_e32 v[108:109], v[34:35], v[240:241]
	v_add_f64 v[106:107], v[106:107], v[108:109]
	s_waitcnt lgkmcnt(0)
	v_mul_f64 v[108:109], v[36:37], v[174:175]
	v_fmac_f64_e32 v[108:109], v[38:39], v[2:3]
	v_add_f64 v[106:107], v[106:107], v[108:109]
	ds_read_b128 v[40:43], v210 offset:1328
	v_fma_f64 v[108:109], v[130:131], v[72:73], -v[52:53]
	buffer_load_dword v131, off, s[0:3], 0 offset:572
	buffer_load_dword v130, off, s[0:3], 0 offset:568
	;; [unrolled: 1-line block ×6, first 2 shown]
	v_fma_f64 v[16:17], v[136:137], v[50:51], -v[48:49]
	buffer_load_dword v139, off, s[0:3], 0 offset:580
	buffer_load_dword v138, off, s[0:3], 0 offset:576
	;; [unrolled: 1-line block ×6, first 2 shown]
	v_mul_f64 v[48:49], v[144:145], v[58:59]
	v_fma_f64 v[12:13], v[142:143], v[70:71], -v[48:49]
	buffer_load_dword v142, off, s[0:3], 0 offset:616
	buffer_load_dword v144, off, s[0:3], 0 offset:608
	;; [unrolled: 1-line block ×4, first 2 shown]
	v_mul_f64 v[48:49], v[148:149], v[54:55]
	v_fma_f64 v[8:9], v[146:147], v[150:151], -v[48:49]
	buffer_load_dword v146, off, s[0:3], 0 offset:648
	buffer_load_dword v151, off, s[0:3], 0 offset:636
	;; [unrolled: 1-line block ×8, first 2 shown]
	v_mul_f64 v[10:11], v[156:157], v[66:67]
	v_fma_f64 v[10:11], v[154:155], v[68:69], -v[10:11]
	buffer_load_dword v155, off, s[0:3], 0 offset:668
	buffer_load_dword v154, off, s[0:3], 0 offset:664
	;; [unrolled: 1-line block ×4, first 2 shown]
	v_mul_f64 v[50:51], v[160:161], v[62:63]
	v_mul_f64 v[14:15], v[164:165], v[60:61]
	v_fma_f64 v[6:7], v[158:159], v[64:65], -v[50:51]
	v_fma_f64 v[14:15], v[162:163], v[114:115], -v[14:15]
	buffer_load_dword v159, off, s[0:3], 0 offset:684
	buffer_load_dword v158, off, s[0:3], 0 offset:680
	;; [unrolled: 1-line block ×8, first 2 shown]
	v_mul_f64 v[18:19], v[168:169], v[102:103]
	buffer_load_dword v168, off, s[0:3], 0 offset:712
	buffer_load_dword v170, off, s[0:3], 0 offset:704
	;; [unrolled: 1-line block ×4, first 2 shown]
	v_accvgpr_write_b32 a172, v174
	v_accvgpr_write_b32 a173, v175
	v_fma_f64 v[18:19], v[166:167], v[118:119], -v[18:19]
	buffer_load_dword v166, off, s[0:3], 0 offset:744
	buffer_load_dword v175, off, s[0:3], 0 offset:732
	;; [unrolled: 1-line block ×8, first 2 shown]
	v_accvgpr_write_b32 a175, v3
	v_mul_f64 v[50:51], v[180:181], v[78:79]
	v_accvgpr_write_b32 a174, v2
	v_fma_f64 v[4:5], v[44:45], v[76:77], -v[46:47]
	ds_read_b128 v[44:47], v210 offset:1344
	v_fma_f64 v[2:3], v[178:179], v[80:81], -v[50:51]
	buffer_load_dword v179, off, s[0:3], 0 offset:764
	buffer_load_dword v178, off, s[0:3], 0 offset:760
	;; [unrolled: 1-line block ×4, first 2 shown]
	v_mul_f64 v[52:53], v[184:185], v[218:219]
	v_fma_f64 v[172:173], v[182:183], v[172:173], -v[52:53]
	ds_read_b128 v[52:55], v210 offset:1376
	s_waitcnt vmcnt(58) lgkmcnt(2)
	v_mul_f64 v[48:49], v[40:41], v[116:117]
	v_mul_f64 v[62:63], v[188:189], v[104:105]
	v_fma_f64 v[182:183], v[186:187], v[216:217], -v[62:63]
	ds_read_b128 v[216:219], v210 offset:1392
	ds_read_b128 v[64:67], v210 offset:1424
	v_mul_f64 v[68:69], v[196:197], v[86:87]
	v_mul_f64 v[0:1], v[192:193], v[0:1]
	v_fma_f64 v[194:195], v[194:195], v[98:99], -v[68:69]
	v_fma_f64 v[56:57], v[190:191], v[56:57], -v[0:1]
	ds_read_b128 v[72:75], v210 offset:1456
	ds_read_b128 v[76:79], v210 offset:1472
	v_mul_f64 v[80:81], v[204:205], v[82:83]
	v_fma_f64 v[202:203], v[202:203], v[84:85], -v[80:81]
	ds_read_b128 v[80:83], v210 offset:1488
	ds_read_b128 v[84:87], v210 offset:1504
	v_mul_f64 v[92:93], v[214:215], v[92:93]
	v_add_f64 v[20:21], v[20:21], 0
	v_add_f64 v[20:21], v[20:21], v[152:153]
	;; [unrolled: 1-line block ×9, first 2 shown]
	s_waitcnt vmcnt(56)
	v_fmac_f64_e32 v[48:49], v[42:43], v[124:125]
	v_add_f64 v[48:49], v[106:107], v[48:49]
	v_add_f64 v[6:7], v[6:7], v[14:15]
	;; [unrolled: 1-line block ×4, first 2 shown]
	ds_read_b128 v[68:71], v210 offset:1440
	v_add_f64 v[2:3], v[4:5], v[2:3]
	v_add_f64 v[2:3], v[2:3], v[172:173]
	;; [unrolled: 1-line block ×5, first 2 shown]
	v_accvgpr_read_b32 v6, a152
	s_waitcnt vmcnt(53) lgkmcnt(8)
	v_mul_f64 v[22:23], v[44:45], v[126:127]
	s_waitcnt vmcnt(52)
	v_fmac_f64_e32 v[22:23], v[46:47], v[128:129]
	v_add_f64 v[22:23], v[48:49], v[22:23]
	ds_read_b128 v[48:51], v210 offset:1360
	v_accvgpr_read_b32 v7, a153
	v_accvgpr_read_b32 v8, a154
	v_mul_f64 v[6:7], v[238:239], v[6:7]
	v_accvgpr_read_b32 v9, a155
	s_waitcnt vmcnt(50) lgkmcnt(0)
	v_mul_f64 v[60:61], v[48:49], v[130:131]
	s_waitcnt vmcnt(48)
	v_fmac_f64_e32 v[60:61], v[50:51], v[134:135]
	v_add_f64 v[22:23], v[22:23], v[60:61]
	s_waitcnt vmcnt(46)
	v_mul_f64 v[60:61], v[52:53], v[132:133]
	s_waitcnt vmcnt(44)
	v_fmac_f64_e32 v[60:61], v[54:55], v[138:139]
	v_add_f64 v[22:23], v[22:23], v[60:61]
	s_waitcnt vmcnt(42)
	v_mul_f64 v[60:61], v[216:217], v[136:137]
	s_waitcnt vmcnt(40)
	v_fmac_f64_e32 v[60:61], v[218:219], v[140:141]
	v_add_f64 v[22:23], v[22:23], v[60:61]
	ds_read_b128 v[60:63], v210 offset:1408
	v_fma_f64 v[6:7], v[236:237], v[8:9], -v[6:7]
	v_accvgpr_read_b32 v8, a158
	v_accvgpr_read_b32 v9, a159
	s_waitcnt vmcnt(37) lgkmcnt(0)
	v_mul_f64 v[0:1], v[60:61], v[142:143]
	s_waitcnt vmcnt(36)
	v_fmac_f64_e32 v[0:1], v[62:63], v[144:145]
	v_add_f64 v[0:1], v[22:23], v[0:1]
	s_waitcnt vmcnt(33)
	v_mul_f64 v[22:23], v[64:65], v[150:151]
	s_waitcnt vmcnt(31)
	v_fmac_f64_e32 v[22:23], v[66:67], v[58:59]
	v_add_f64 v[0:1], v[0:1], v[22:23]
	s_waitcnt vmcnt(29)
	v_mul_f64 v[22:23], v[68:69], v[146:147]
	s_waitcnt vmcnt(28)
	v_fmac_f64_e32 v[22:23], v[70:71], v[148:149]
	v_add_f64 v[0:1], v[0:1], v[22:23]
	v_mul_f64 v[22:23], v[200:201], v[96:97]
	v_fma_f64 v[200:201], v[198:199], v[100:101], -v[22:23]
	s_waitcnt vmcnt(26)
	v_mul_f64 v[22:23], v[72:73], v[154:155]
	s_waitcnt vmcnt(24)
	v_fmac_f64_e32 v[22:23], v[74:75], v[156:157]
	v_add_f64 v[0:1], v[0:1], v[22:23]
	s_waitcnt vmcnt(22)
	v_mul_f64 v[22:23], v[76:77], v[158:159]
	s_waitcnt vmcnt(20)
	v_fmac_f64_e32 v[22:23], v[78:79], v[162:163]
	v_add_f64 v[0:1], v[0:1], v[22:23]
	;; [unrolled: 5-line block ×3, first 2 shown]
	v_mul_f64 v[22:23], v[208:209], v[88:89]
	v_fma_f64 v[204:205], v[206:207], v[90:91], -v[22:23]
	ds_read_b128 v[88:91], v210 offset:1520
	v_fma_f64 v[206:207], v[212:213], v[94:95], -v[92:93]
	ds_read_b128 v[92:95], v210 offset:1536
	s_waitcnt vmcnt(13)
	v_mul_f64 v[22:23], v[84:85], v[168:169]
	s_waitcnt vmcnt(12)
	v_fmac_f64_e32 v[22:23], v[86:87], v[170:171]
	ds_read_b128 v[96:99], v210 offset:1552
	v_add_f64 v[0:1], v[0:1], v[22:23]
	s_waitcnt vmcnt(9) lgkmcnt(2)
	v_mul_f64 v[22:23], v[88:89], v[174:175]
	s_waitcnt vmcnt(7)
	v_fmac_f64_e32 v[22:23], v[90:91], v[176:177]
	v_add_f64 v[0:1], v[0:1], v[22:23]
	s_waitcnt vmcnt(5) lgkmcnt(1)
	v_mul_f64 v[22:23], v[92:93], v[166:167]
	s_waitcnt vmcnt(4)
	v_fmac_f64_e32 v[22:23], v[94:95], v[118:119]
	;; [unrolled: 5-line block ×3, first 2 shown]
	v_add_f64 v[22:23], v[0:1], v[22:23]
	buffer_load_dword v0, off, s[0:3], 0 offset:776
	buffer_load_dword v1, off, s[0:3], 0 offset:780
	;; [unrolled: 1-line block ×4, first 2 shown]
	ds_read_b128 v[100:103], v210 offset:1568
	buffer_load_dword v187, off, s[0:3], 0 offset:796
	buffer_load_dword v186, off, s[0:3], 0 offset:792
	;; [unrolled: 1-line block ×4, first 2 shown]
	v_add_f64 v[4:5], v[2:3], v[200:201]
	s_waitcnt vmcnt(6) lgkmcnt(0)
	v_mul_f64 v[104:105], v[100:101], v[0:1]
	v_mul_f64 v[0:1], v[102:103], v[0:1]
	s_waitcnt vmcnt(4)
	v_fmac_f64_e32 v[104:105], v[102:103], v[184:185]
	v_add_f64 v[22:23], v[22:23], v[104:105]
	ds_read_b128 v[104:107], v210 offset:1584
	buffer_load_dword v190, off, s[0:3], 0 offset:808
	buffer_load_dword v191, off, s[0:3], 0 offset:812
	;; [unrolled: 1-line block ×4, first 2 shown]
	ds_read_b128 v[212:215], v210 offset:1600
	buffer_load_dword v197, off, s[0:3], 0 offset:828
	buffer_load_dword v196, off, s[0:3], 0 offset:824
	;; [unrolled: 1-line block ×4, first 2 shown]
	v_fma_f64 v[0:1], v[100:101], v[184:185], -v[0:1]
	s_waitcnt vmcnt(10) lgkmcnt(1)
	v_mul_f64 v[112:113], v[104:105], v[186:187]
	s_waitcnt vmcnt(8)
	v_fmac_f64_e32 v[112:113], v[106:107], v[188:189]
	v_add_f64 v[22:23], v[22:23], v[112:113]
	s_waitcnt vmcnt(6) lgkmcnt(0)
	v_mul_f64 v[112:113], v[212:213], v[190:191]
	s_waitcnt vmcnt(4)
	v_fmac_f64_e32 v[112:113], v[214:215], v[192:193]
	v_add_f64 v[22:23], v[22:23], v[112:113]
	ds_read_b128 v[112:115], v210 offset:1616
	buffer_load_dword v2, off, s[0:3], 0 offset:16
	buffer_load_dword v3, off, s[0:3], 0 offset:20
	;; [unrolled: 1-line block ×4, first 2 shown]
	s_waitcnt vmcnt(6) lgkmcnt(0)
	v_mul_f64 v[208:209], v[112:113], v[196:197]
	s_waitcnt vmcnt(4)
	v_fmac_f64_e32 v[208:209], v[114:115], v[198:199]
	v_add_f64 v[22:23], v[22:23], v[208:209]
	v_add_f64 v[208:209], v[4:5], v[202:203]
	;; [unrolled: 1-line block ×5, first 2 shown]
	v_accvgpr_read_b32 v6, a156
	v_accvgpr_read_b32 v7, a157
	v_mul_f64 v[6:7], v[234:235], v[6:7]
	v_fma_f64 v[6:7], v[232:233], v[8:9], -v[6:7]
	v_add_f64 v[4:5], v[4:5], v[6:7]
	v_mul_f64 v[6:7], v[230:231], v[242:243]
	v_fma_f64 v[6:7], v[228:229], v[244:245], -v[6:7]
	v_add_f64 v[4:5], v[4:5], v[6:7]
	v_accvgpr_read_b32 v6, a160
	v_accvgpr_read_b32 v7, a161
	v_accvgpr_read_b32 v8, a162
	v_mul_f64 v[6:7], v[226:227], v[6:7]
	v_accvgpr_read_b32 v9, a163
	v_fma_f64 v[6:7], v[224:225], v[8:9], -v[6:7]
	v_add_f64 v[4:5], v[4:5], v[6:7]
	v_mul_f64 v[6:7], v[222:223], v[246:247]
	v_fma_f64 v[6:7], v[220:221], v[248:249], -v[6:7]
	v_add_f64 v[4:5], v[4:5], v[6:7]
	v_accvgpr_read_b32 v6, a164
	v_accvgpr_read_b32 v7, a165
	v_accvgpr_read_b32 v8, a166
	v_mul_f64 v[6:7], v[122:123], v[6:7]
	v_accvgpr_read_b32 v9, a167
	;; [unrolled: 10-line block ×4, first 2 shown]
	v_fma_f64 v[6:7], v[36:37], v[8:9], -v[6:7]
	v_add_f64 v[4:5], v[4:5], v[6:7]
	v_mul_f64 v[6:7], v[42:43], v[116:117]
	v_fma_f64 v[6:7], v[40:41], v[124:125], -v[6:7]
	v_add_f64 v[4:5], v[4:5], v[6:7]
	v_mul_f64 v[6:7], v[46:47], v[126:127]
	;; [unrolled: 3-line block ×15, first 2 shown]
	v_fma_f64 v[6:7], v[96:97], v[180:181], -v[6:7]
	v_add_f64 v[4:5], v[4:5], v[6:7]
	v_add_f64 v[0:1], v[4:5], v[0:1]
	v_mul_f64 v[4:5], v[106:107], v[186:187]
	v_fma_f64 v[4:5], v[104:105], v[188:189], -v[4:5]
	v_add_f64 v[0:1], v[0:1], v[4:5]
	v_mul_f64 v[4:5], v[214:215], v[190:191]
	v_fma_f64 v[4:5], v[212:213], v[192:193], -v[4:5]
	;; [unrolled: 3-line block ×3, first 2 shown]
	v_add_f64 v[0:1], v[0:1], v[4:5]
	s_waitcnt vmcnt(2)
	v_add_f64 v[0:1], v[2:3], -v[0:1]
	s_waitcnt vmcnt(0)
	v_add_f64 v[2:3], v[200:201], -v[22:23]
	buffer_store_dword v1, off, s[0:3], 0 offset:20
	buffer_store_dword v0, off, s[0:3], 0 offset:16
	;; [unrolled: 1-line block ×4, first 2 shown]
	s_cbranch_vccz .LBB114_421
; %bb.320:
	v_pk_mov_b32 v[0:1], s[10:11], s[10:11] op_sel:[0,1]
	flat_load_dword v0, v[0:1] offset:196
	s_waitcnt vmcnt(0) lgkmcnt(0)
	v_add_u32_e32 v0, -1, v0
	v_cmp_ne_u32_e32 vcc, 49, v0
	s_and_saveexec_b64 s[4:5], vcc
	s_cbranch_execz .LBB114_322
; %bb.321:
	v_mov_b32_e32 v1, 16
	v_accvgpr_read_b32 v9, a103
	v_lshl_add_u32 v0, v0, 4, v1
	buffer_load_dword v1, v9, s[0:3], 0 offen offset:4
	buffer_load_dword v2, v9, s[0:3], 0 offen offset:8
	buffer_load_dword v3, v9, s[0:3], 0 offen offset:12
	buffer_load_dword v4, v0, s[0:3], 0 offen
	buffer_load_dword v5, v0, s[0:3], 0 offen offset:4
	buffer_load_dword v6, v0, s[0:3], 0 offen offset:8
	buffer_load_dword v7, v0, s[0:3], 0 offen offset:12
	buffer_load_dword v8, v9, s[0:3], 0 offen
	s_waitcnt vmcnt(4)
	buffer_store_dword v4, v9, s[0:3], 0 offen
	s_waitcnt vmcnt(4)
	buffer_store_dword v5, v9, s[0:3], 0 offen offset:4
	s_waitcnt vmcnt(4)
	buffer_store_dword v6, v9, s[0:3], 0 offen offset:8
	s_waitcnt vmcnt(4)
	buffer_store_dword v7, v9, s[0:3], 0 offen offset:12
	buffer_store_dword v3, v0, s[0:3], 0 offen offset:12
	buffer_store_dword v2, v0, s[0:3], 0 offen offset:8
	buffer_store_dword v1, v0, s[0:3], 0 offen offset:4
	s_waitcnt vmcnt(7)
	buffer_store_dword v8, v0, s[0:3], 0 offen
.LBB114_322:
	s_or_b64 exec, exec, s[4:5]
	v_pk_mov_b32 v[0:1], s[10:11], s[10:11] op_sel:[0,1]
	flat_load_dword v0, v[0:1] offset:192
	s_waitcnt vmcnt(0) lgkmcnt(0)
	v_add_u32_e32 v0, -1, v0
	v_cmp_ne_u32_e32 vcc, 48, v0
	s_and_saveexec_b64 s[4:5], vcc
	s_cbranch_execz .LBB114_324
; %bb.323:
	v_mov_b32_e32 v1, 16
	v_accvgpr_read_b32 v9, a104
	v_lshl_add_u32 v0, v0, 4, v1
	buffer_load_dword v1, v9, s[0:3], 0 offen offset:4
	buffer_load_dword v2, v9, s[0:3], 0 offen offset:8
	buffer_load_dword v3, v9, s[0:3], 0 offen offset:12
	buffer_load_dword v4, v0, s[0:3], 0 offen
	buffer_load_dword v5, v0, s[0:3], 0 offen offset:4
	buffer_load_dword v6, v0, s[0:3], 0 offen offset:8
	buffer_load_dword v7, v0, s[0:3], 0 offen offset:12
	buffer_load_dword v8, v9, s[0:3], 0 offen
	s_waitcnt vmcnt(4)
	buffer_store_dword v4, v9, s[0:3], 0 offen
	s_waitcnt vmcnt(4)
	buffer_store_dword v5, v9, s[0:3], 0 offen offset:4
	s_waitcnt vmcnt(4)
	buffer_store_dword v6, v9, s[0:3], 0 offen offset:8
	s_waitcnt vmcnt(4)
	buffer_store_dword v7, v9, s[0:3], 0 offen offset:12
	buffer_store_dword v3, v0, s[0:3], 0 offen offset:12
	buffer_store_dword v2, v0, s[0:3], 0 offen offset:8
	buffer_store_dword v1, v0, s[0:3], 0 offen offset:4
	s_waitcnt vmcnt(7)
	buffer_store_dword v8, v0, s[0:3], 0 offen
.LBB114_324:
	s_or_b64 exec, exec, s[4:5]
	;; [unrolled: 34-line block ×49, first 2 shown]
	v_pk_mov_b32 v[0:1], s[10:11], s[10:11] op_sel:[0,1]
	flat_load_dword v0, v[0:1]
	s_waitcnt vmcnt(0) lgkmcnt(0)
	v_add_u32_e32 v0, -1, v0
	v_cmp_ne_u32_e32 vcc, 0, v0
	s_and_saveexec_b64 s[4:5], vcc
	s_cbranch_execz .LBB114_420
; %bb.419:
	v_mov_b32_e32 v1, 16
	v_lshl_add_u32 v0, v0, 4, v1
	buffer_load_dword v1, v0, s[0:3], 0 offen
	buffer_load_dword v2, v0, s[0:3], 0 offen offset:4
	buffer_load_dword v3, v0, s[0:3], 0 offen offset:8
	;; [unrolled: 1-line block ×3, first 2 shown]
	buffer_load_dword v5, off, s[0:3], 0 offset:28
	buffer_load_dword v6, off, s[0:3], 0 offset:24
	;; [unrolled: 1-line block ×4, first 2 shown]
	s_waitcnt vmcnt(7)
	buffer_store_dword v1, off, s[0:3], 0 offset:16
	s_waitcnt vmcnt(7)
	buffer_store_dword v2, off, s[0:3], 0 offset:20
	s_waitcnt vmcnt(7)
	buffer_store_dword v3, off, s[0:3], 0 offset:24
	s_waitcnt vmcnt(7)
	buffer_store_dword v4, off, s[0:3], 0 offset:28
	s_waitcnt vmcnt(7)
	buffer_store_dword v5, v0, s[0:3], 0 offen offset:12
	s_waitcnt vmcnt(7)
	buffer_store_dword v6, v0, s[0:3], 0 offen offset:8
	;; [unrolled: 2-line block ×3, first 2 shown]
	s_waitcnt vmcnt(7)
	buffer_store_dword v8, v0, s[0:3], 0 offen
.LBB114_420:
	s_or_b64 exec, exec, s[4:5]
.LBB114_421:
	buffer_load_dword v0, off, s[0:3], 0 offset:16
	buffer_load_dword v1, off, s[0:3], 0 offset:20
	;; [unrolled: 1-line block ×4, first 2 shown]
	v_accvgpr_read_b32 v5, a1
	v_accvgpr_read_b32 v4, a0
	s_waitcnt vmcnt(0)
	global_store_dwordx4 v[4:5], v[0:3], off
	s_nop 0
	v_accvgpr_read_b32 v3, a151
	buffer_load_dword v0, v3, s[0:3], 0 offen
	buffer_load_dword v1, v3, s[0:3], 0 offen offset:4
	buffer_load_dword v2, v3, s[0:3], 0 offen offset:8
	s_nop 0
	buffer_load_dword v3, v3, s[0:3], 0 offen offset:12
	v_accvgpr_read_b32 v5, a3
	v_accvgpr_read_b32 v4, a2
	s_waitcnt vmcnt(0)
	global_store_dwordx4 v[4:5], v[0:3], off
	s_nop 0
	v_accvgpr_read_b32 v3, a150
	buffer_load_dword v0, v3, s[0:3], 0 offen
	buffer_load_dword v1, v3, s[0:3], 0 offen offset:4
	buffer_load_dword v2, v3, s[0:3], 0 offen offset:8
	s_nop 0
	buffer_load_dword v3, v3, s[0:3], 0 offen offset:12
	;; [unrolled: 11-line block ×9, first 2 shown]
	v_accvgpr_read_b32 v4, a16
	v_accvgpr_read_b32 v5, a17
	s_waitcnt vmcnt(0)
	global_store_dwordx4 v[4:5], v[0:3], off
	v_accvgpr_read_b32 v4, a142
	buffer_load_dword v0, v4, s[0:3], 0 offen
	buffer_load_dword v1, v4, s[0:3], 0 offen offset:4
	buffer_load_dword v2, v4, s[0:3], 0 offen offset:8
	buffer_load_dword v3, v4, s[0:3], 0 offen offset:12
	v_accvgpr_read_b32 v4, a20
	v_accvgpr_read_b32 v5, a21
	s_waitcnt vmcnt(0)
	global_store_dwordx4 v[4:5], v[0:3], off
	v_accvgpr_read_b32 v4, a141
	buffer_load_dword v0, v4, s[0:3], 0 offen
	buffer_load_dword v1, v4, s[0:3], 0 offen offset:4
	buffer_load_dword v2, v4, s[0:3], 0 offen offset:8
	buffer_load_dword v3, v4, s[0:3], 0 offen offset:12
	;; [unrolled: 9-line block ×41, first 2 shown]
	v_accvgpr_read_b32 v4, a62
	v_accvgpr_read_b32 v5, a63
	s_waitcnt vmcnt(0)
	global_store_dwordx4 v[4:5], v[0:3], off
	s_endpgm
	.section	.rodata,"a",@progbits
	.p2align	6, 0x0
	.amdhsa_kernel _ZN9rocsolver6v33100L18getri_kernel_smallILi51E19rocblas_complex_numIdEPKPS3_EEvT1_iilPiilS8_bb
		.amdhsa_group_segment_fixed_size 1640
		.amdhsa_private_segment_fixed_size 848
		.amdhsa_kernarg_size 60
		.amdhsa_user_sgpr_count 8
		.amdhsa_user_sgpr_private_segment_buffer 1
		.amdhsa_user_sgpr_dispatch_ptr 0
		.amdhsa_user_sgpr_queue_ptr 0
		.amdhsa_user_sgpr_kernarg_segment_ptr 1
		.amdhsa_user_sgpr_dispatch_id 0
		.amdhsa_user_sgpr_flat_scratch_init 1
		.amdhsa_user_sgpr_kernarg_preload_length 0
		.amdhsa_user_sgpr_kernarg_preload_offset 0
		.amdhsa_user_sgpr_private_segment_size 0
		.amdhsa_uses_dynamic_stack 0
		.amdhsa_system_sgpr_private_segment_wavefront_offset 1
		.amdhsa_system_sgpr_workgroup_id_x 1
		.amdhsa_system_sgpr_workgroup_id_y 0
		.amdhsa_system_sgpr_workgroup_id_z 0
		.amdhsa_system_sgpr_workgroup_info 0
		.amdhsa_system_vgpr_workitem_id 0
		.amdhsa_next_free_vgpr 432
		.amdhsa_next_free_sgpr 22
		.amdhsa_accum_offset 256
		.amdhsa_reserve_vcc 1
		.amdhsa_reserve_flat_scratch 1
		.amdhsa_float_round_mode_32 0
		.amdhsa_float_round_mode_16_64 0
		.amdhsa_float_denorm_mode_32 3
		.amdhsa_float_denorm_mode_16_64 3
		.amdhsa_dx10_clamp 1
		.amdhsa_ieee_mode 1
		.amdhsa_fp16_overflow 0
		.amdhsa_tg_split 0
		.amdhsa_exception_fp_ieee_invalid_op 0
		.amdhsa_exception_fp_denorm_src 0
		.amdhsa_exception_fp_ieee_div_zero 0
		.amdhsa_exception_fp_ieee_overflow 0
		.amdhsa_exception_fp_ieee_underflow 0
		.amdhsa_exception_fp_ieee_inexact 0
		.amdhsa_exception_int_div_zero 0
	.end_amdhsa_kernel
	.section	.text._ZN9rocsolver6v33100L18getri_kernel_smallILi51E19rocblas_complex_numIdEPKPS3_EEvT1_iilPiilS8_bb,"axG",@progbits,_ZN9rocsolver6v33100L18getri_kernel_smallILi51E19rocblas_complex_numIdEPKPS3_EEvT1_iilPiilS8_bb,comdat
.Lfunc_end114:
	.size	_ZN9rocsolver6v33100L18getri_kernel_smallILi51E19rocblas_complex_numIdEPKPS3_EEvT1_iilPiilS8_bb, .Lfunc_end114-_ZN9rocsolver6v33100L18getri_kernel_smallILi51E19rocblas_complex_numIdEPKPS3_EEvT1_iilPiilS8_bb
                                        ; -- End function
	.section	.AMDGPU.csdata,"",@progbits
; Kernel info:
; codeLenInByte = 164360
; NumSgprs: 28
; NumVgprs: 256
; NumAgprs: 176
; TotalNumVgprs: 432
; ScratchSize: 848
; MemoryBound: 0
; FloatMode: 240
; IeeeMode: 1
; LDSByteSize: 1640 bytes/workgroup (compile time only)
; SGPRBlocks: 3
; VGPRBlocks: 53
; NumSGPRsForWavesPerEU: 28
; NumVGPRsForWavesPerEU: 432
; AccumOffset: 256
; Occupancy: 1
; WaveLimiterHint : 1
; COMPUTE_PGM_RSRC2:SCRATCH_EN: 1
; COMPUTE_PGM_RSRC2:USER_SGPR: 8
; COMPUTE_PGM_RSRC2:TRAP_HANDLER: 0
; COMPUTE_PGM_RSRC2:TGID_X_EN: 1
; COMPUTE_PGM_RSRC2:TGID_Y_EN: 0
; COMPUTE_PGM_RSRC2:TGID_Z_EN: 0
; COMPUTE_PGM_RSRC2:TIDIG_COMP_CNT: 0
; COMPUTE_PGM_RSRC3_GFX90A:ACCUM_OFFSET: 63
; COMPUTE_PGM_RSRC3_GFX90A:TG_SPLIT: 0
	.section	.text._ZN9rocsolver6v33100L18getri_kernel_smallILi52E19rocblas_complex_numIdEPKPS3_EEvT1_iilPiilS8_bb,"axG",@progbits,_ZN9rocsolver6v33100L18getri_kernel_smallILi52E19rocblas_complex_numIdEPKPS3_EEvT1_iilPiilS8_bb,comdat
	.globl	_ZN9rocsolver6v33100L18getri_kernel_smallILi52E19rocblas_complex_numIdEPKPS3_EEvT1_iilPiilS8_bb ; -- Begin function _ZN9rocsolver6v33100L18getri_kernel_smallILi52E19rocblas_complex_numIdEPKPS3_EEvT1_iilPiilS8_bb
	.p2align	8
	.type	_ZN9rocsolver6v33100L18getri_kernel_smallILi52E19rocblas_complex_numIdEPKPS3_EEvT1_iilPiilS8_bb,@function
_ZN9rocsolver6v33100L18getri_kernel_smallILi52E19rocblas_complex_numIdEPKPS3_EEvT1_iilPiilS8_bb: ; @_ZN9rocsolver6v33100L18getri_kernel_smallILi52E19rocblas_complex_numIdEPKPS3_EEvT1_iilPiilS8_bb
; %bb.0:
	s_add_u32 flat_scratch_lo, s6, s9
	s_addc_u32 flat_scratch_hi, s7, 0
	s_add_u32 s0, s0, s9
	v_mov_b32_e32 v255, v0
	s_addc_u32 s1, s1, 0
	v_cmp_gt_u32_e32 vcc, 52, v255
	s_and_saveexec_b64 s[6:7], vcc
	s_cbranch_execz .LBB115_222
; %bb.1:
	s_load_dword s18, s[4:5], 0x38
	s_load_dwordx2 s[6:7], s[4:5], 0x0
	s_load_dwordx4 s[12:15], s[4:5], 0x28
	s_waitcnt lgkmcnt(0)
	s_bitcmp1_b32 s18, 8
	s_cselect_b64 s[16:17], -1, 0
	s_ashr_i32 s9, s8, 31
	s_lshl_b64 s[10:11], s[8:9], 3
	s_add_u32 s6, s6, s10
	s_addc_u32 s7, s7, s11
	s_load_dwordx2 s[6:7], s[6:7], 0x0
	s_bfe_u32 s10, s18, 0x10008
	s_cmp_eq_u32 s10, 0
                                        ; implicit-def: $sgpr10_sgpr11
	s_cbranch_scc1 .LBB115_3
; %bb.2:
	s_load_dword s10, s[4:5], 0x20
	s_load_dwordx2 s[20:21], s[4:5], 0x18
	s_mul_i32 s11, s8, s13
	s_mul_hi_u32 s13, s8, s12
	s_add_i32 s13, s13, s11
	s_mul_i32 s19, s9, s12
	s_add_i32 s13, s13, s19
	s_mul_i32 s12, s8, s12
	s_waitcnt lgkmcnt(0)
	s_ashr_i32 s11, s10, 31
	s_lshl_b64 s[12:13], s[12:13], 2
	s_add_u32 s12, s20, s12
	s_addc_u32 s13, s21, s13
	s_lshl_b64 s[10:11], s[10:11], 2
	s_add_u32 s10, s12, s10
	s_addc_u32 s11, s13, s11
.LBB115_3:
	s_load_dwordx2 s[4:5], s[4:5], 0x8
	v_lshlrev_b32_e32 v1, 4, v255
	s_waitcnt lgkmcnt(0)
	s_ashr_i32 s13, s4, 31
	s_mov_b32 s12, s4
	s_lshl_b64 s[12:13], s[12:13], 4
	s_add_u32 s6, s6, s12
	s_addc_u32 s7, s7, s13
	s_add_i32 s4, s5, s5
	v_add_u32_e32 v2, s4, v255
	v_ashrrev_i32_e32 v3, 31, v2
	v_add_u32_e32 v4, s5, v2
	v_lshlrev_b64 v[2:3], 4, v[2:3]
	v_mov_b32_e32 v0, s7
	v_add_co_u32_e32 v2, vcc, s6, v2
	v_addc_co_u32_e32 v3, vcc, v0, v3, vcc
	global_load_dwordx4 v[56:59], v1, s[6:7]
	global_load_dwordx4 v[64:67], v[2:3], off
	v_add_co_u32_e32 v26, vcc, s6, v1
	s_mov_b32 s12, s5
	s_ashr_i32 s13, s5, 31
	v_addc_co_u32_e32 v27, vcc, 0, v0, vcc
	s_lshl_b64 s[12:13], s[12:13], 4
	v_mov_b32_e32 v0, s13
	v_add_co_u32_e32 v24, vcc, s12, v26
	v_addc_co_u32_e32 v25, vcc, v27, v0, vcc
	global_load_dwordx4 v[60:63], v[24:25], off
	v_accvgpr_write_b32 a61, v3
	v_ashrrev_i32_e32 v5, 31, v4
	v_accvgpr_write_b32 a60, v2
	v_lshlrev_b64 v[2:3], 4, v[4:5]
	v_add_u32_e32 v10, s5, v4
	v_mov_b32_e32 v0, s7
	v_add_co_u32_e32 v4, vcc, s6, v2
	v_addc_co_u32_e32 v5, vcc, v0, v3, vcc
	v_ashrrev_i32_e32 v11, 31, v10
	global_load_dwordx4 v[68:71], v[4:5], off
	v_lshlrev_b64 v[2:3], 4, v[10:11]
	v_add_co_u32_e32 v2, vcc, s6, v2
	v_add_u32_e32 v12, s5, v10
	v_addc_co_u32_e32 v3, vcc, v0, v3, vcc
	global_load_dwordx4 v[72:75], v[2:3], off
	v_accvgpr_write_b32 a63, v3
	v_ashrrev_i32_e32 v13, 31, v12
	v_accvgpr_write_b32 a75, v5
	v_accvgpr_write_b32 a62, v2
	v_lshlrev_b64 v[2:3], 4, v[12:13]
	v_accvgpr_write_b32 a74, v4
	v_add_co_u32_e32 v4, vcc, s6, v2
	v_add_u32_e32 v14, s5, v12
	v_addc_co_u32_e32 v5, vcc, v0, v3, vcc
	v_ashrrev_i32_e32 v15, 31, v14
	global_load_dwordx4 v[76:79], v[4:5], off
	v_lshlrev_b64 v[2:3], 4, v[14:15]
	v_add_co_u32_e32 v2, vcc, s6, v2
	v_add_u32_e32 v16, s5, v14
	v_addc_co_u32_e32 v3, vcc, v0, v3, vcc
	global_load_dwordx4 v[80:83], v[2:3], off
	v_accvgpr_write_b32 a53, v3
	v_ashrrev_i32_e32 v17, 31, v16
	v_accvgpr_write_b32 a65, v5
	v_accvgpr_write_b32 a52, v2
	v_lshlrev_b64 v[2:3], 4, v[16:17]
	v_accvgpr_write_b32 a64, v4
	v_add_co_u32_e32 v4, vcc, s6, v2
	v_add_u32_e32 v18, s5, v16
	v_addc_co_u32_e32 v5, vcc, v0, v3, vcc
	v_ashrrev_i32_e32 v19, 31, v18
	global_load_dwordx4 v[84:87], v[4:5], off
	v_lshlrev_b64 v[2:3], 4, v[18:19]
	v_add_co_u32_e32 v2, vcc, s6, v2
	v_add_u32_e32 v20, s5, v18
	v_addc_co_u32_e32 v3, vcc, v0, v3, vcc
	global_load_dwordx4 v[88:91], v[2:3], off
	v_accvgpr_write_b32 a41, v3
	v_ashrrev_i32_e32 v21, 31, v20
	v_accvgpr_write_b32 a55, v5
	v_accvgpr_write_b32 a40, v2
	v_lshlrev_b64 v[2:3], 4, v[20:21]
	v_add_u32_e32 v22, s5, v20
	v_accvgpr_write_b32 a54, v4
	v_add_co_u32_e32 v4, vcc, s6, v2
	v_add_u32_e32 v96, s5, v22
	v_addc_co_u32_e32 v5, vcc, v0, v3, vcc
	v_add_u32_e32 v98, s5, v96
	v_ashrrev_i32_e32 v23, 31, v22
	global_load_dwordx4 v[92:95], v[4:5], off
	v_add_u32_e32 v100, s5, v98
	v_lshlrev_b64 v[2:3], 4, v[22:23]
	v_add_u32_e32 v102, s5, v100
	v_add_co_u32_e32 v2, vcc, s6, v2
	v_add_u32_e32 v104, s5, v102
	v_addc_co_u32_e32 v3, vcc, v0, v3, vcc
	global_load_dwordx4 v[10:13], v[2:3], off
	v_add_u32_e32 v106, s5, v104
	v_add_u32_e32 v108, s5, v106
	;; [unrolled: 1-line block ×27, first 2 shown]
	v_accvgpr_write_b32 a93, v27
	v_add_u32_e32 v28, s5, v30
	v_accvgpr_write_b32 a92, v26
	v_accvgpr_write_b32 a89, v25
	v_add_u32_e32 v26, s5, v28
	v_accvgpr_write_b32 a88, v24
	v_add_u32_e32 v24, s5, v26
	v_add_u32_e32 v22, s5, v24
	;; [unrolled: 1-line block ×5, first 2 shown]
	v_accvgpr_write_b32 a35, v3
	v_add_u32_e32 v14, s5, v16
	v_accvgpr_write_b32 a34, v2
	v_add_u32_e32 v2, s5, v14
	v_ashrrev_i32_e32 v3, 31, v2
	v_lshlrev_b64 v[2:3], 4, v[2:3]
	v_add_co_u32_e32 v2, vcc, s6, v2
	v_accvgpr_write_b32 a43, v5
	v_addc_co_u32_e32 v3, vcc, v0, v3, vcc
	v_accvgpr_write_b32 a0, v2
	v_ashrrev_i32_e32 v97, 31, v96
	v_accvgpr_write_b32 a42, v4
	v_accvgpr_write_b32 a1, v3
	global_load_dwordx4 v[2:5], v[2:3], off
	s_waitcnt vmcnt(11)
	buffer_store_dword v59, off, s[0:3], 0 offset:28
	buffer_store_dword v58, off, s[0:3], 0 offset:24
	;; [unrolled: 1-line block ×4, first 2 shown]
	s_waitcnt vmcnt(13)
	buffer_store_dword v63, off, s[0:3], 0 offset:44
	buffer_store_dword v62, off, s[0:3], 0 offset:40
	;; [unrolled: 1-line block ×8, first 2 shown]
	s_waitcnt vmcnt(20)
	buffer_store_dword v71, off, s[0:3], 0 offset:76
	buffer_store_dword v70, off, s[0:3], 0 offset:72
	buffer_store_dword v69, off, s[0:3], 0 offset:68
	buffer_store_dword v68, off, s[0:3], 0 offset:64
	s_waitcnt vmcnt(23)
	buffer_store_dword v75, off, s[0:3], 0 offset:92
	buffer_store_dword v74, off, s[0:3], 0 offset:88
	buffer_store_dword v73, off, s[0:3], 0 offset:84
	buffer_store_dword v72, off, s[0:3], 0 offset:80
	;; [unrolled: 5-line block ×7, first 2 shown]
	s_waitcnt vmcnt(41)
	buffer_store_dword v10, off, s[0:3], 0 offset:176
	v_lshlrev_b64 v[56:57], 4, v[96:97]
	v_add_co_u32_e32 v58, vcc, s6, v56
	v_ashrrev_i32_e32 v99, 31, v98
	v_addc_co_u32_e32 v59, vcc, v0, v57, vcc
	v_lshlrev_b64 v[56:57], 4, v[98:99]
	v_add_co_u32_e32 v60, vcc, s6, v56
	v_accvgpr_write_b32 a103, v59
	v_addc_co_u32_e32 v61, vcc, v0, v57, vcc
	v_accvgpr_write_b32 a102, v58
	global_load_dwordx4 v[56:59], v[58:59], off
	v_accvgpr_write_b32 a99, v61
	v_ashrrev_i32_e32 v101, 31, v100
	v_accvgpr_write_b32 a98, v60
	global_load_dwordx4 v[60:63], v[60:61], off
	v_lshlrev_b64 v[64:65], 4, v[100:101]
	v_add_co_u32_e32 v66, vcc, s6, v64
	v_ashrrev_i32_e32 v103, 31, v102
	v_addc_co_u32_e32 v67, vcc, v0, v65, vcc
	v_lshlrev_b64 v[64:65], 4, v[102:103]
	v_add_co_u32_e32 v68, vcc, s6, v64
	v_accvgpr_write_b32 a101, v67
	v_addc_co_u32_e32 v69, vcc, v0, v65, vcc
	v_accvgpr_write_b32 a100, v66
	global_load_dwordx4 v[64:67], v[66:67], off
	v_accvgpr_write_b32 a95, v69
	v_ashrrev_i32_e32 v105, 31, v104
	v_accvgpr_write_b32 a94, v68
	global_load_dwordx4 v[68:71], v[68:69], off
	;; [unrolled: 14-line block ×3, first 2 shown]
	v_lshlrev_b64 v[80:81], 4, v[108:109]
	v_add_co_u32_e32 v82, vcc, s6, v80
	v_ashrrev_i32_e32 v111, 31, v110
	v_addc_co_u32_e32 v83, vcc, v0, v81, vcc
	v_lshlrev_b64 v[80:81], 4, v[110:111]
	v_add_co_u32_e32 v84, vcc, s6, v80
	v_accvgpr_write_b32 a87, v83
	v_addc_co_u32_e32 v85, vcc, v0, v81, vcc
	v_accvgpr_write_b32 a86, v82
	global_load_dwordx4 v[80:83], v[82:83], off
	v_accvgpr_write_b32 a76, v84
	v_accvgpr_write_b32 a77, v85
	global_load_dwordx4 v[84:87], v[84:85], off
	v_ashrrev_i32_e32 v9, 31, v8
	v_lshlrev_b64 v[8:9], 4, v[8:9]
	v_add_co_u32_e32 v8, vcc, s6, v8
	v_addc_co_u32_e32 v9, vcc, v0, v9, vcc
	v_ashrrev_i32_e32 v7, 31, v6
	global_load_dwordx4 v[88:91], v[8:9], off
	v_lshlrev_b64 v[6:7], 4, v[6:7]
	v_add_co_u32_e32 v6, vcc, s6, v6
	v_addc_co_u32_e32 v7, vcc, v0, v7, vcc
	global_load_dwordx4 v[92:95], v[6:7], off
	v_accvgpr_write_b32 a67, v7
	v_ashrrev_i32_e32 v113, 31, v112
	v_accvgpr_write_b32 a79, v9
	v_accvgpr_write_b32 a66, v6
	v_lshlrev_b64 v[6:7], 4, v[112:113]
	v_accvgpr_write_b32 a78, v8
	v_add_co_u32_e32 v8, vcc, s6, v6
	v_addc_co_u32_e32 v9, vcc, v0, v7, vcc
	v_ashrrev_i32_e32 v115, 31, v114
	global_load_dwordx4 v[96:99], v[8:9], off
	v_lshlrev_b64 v[6:7], 4, v[114:115]
	v_add_co_u32_e32 v6, vcc, s6, v6
	v_addc_co_u32_e32 v7, vcc, v0, v7, vcc
	global_load_dwordx4 v[100:103], v[6:7], off
	v_accvgpr_write_b32 a49, v7
	v_ashrrev_i32_e32 v117, 31, v116
	v_accvgpr_write_b32 a69, v9
	v_accvgpr_write_b32 a48, v6
	v_lshlrev_b64 v[6:7], 4, v[116:117]
	v_accvgpr_write_b32 a68, v8
	;; [unrolled: 14-line block ×5, first 2 shown]
	v_add_co_u32_e32 v8, vcc, s6, v6
	v_addc_co_u32_e32 v9, vcc, v0, v7, vcc
	v_ashrrev_i32_e32 v55, 31, v54
	v_lshlrev_b64 v[6:7], 4, v[54:55]
	global_load_dwordx4 v[128:131], v[8:9], off
	v_add_co_u32_e32 v6, vcc, s6, v6
	v_addc_co_u32_e32 v7, vcc, v0, v7, vcc
	v_accvgpr_write_b32 a21, v9
	v_accvgpr_write_b32 a13, v7
	;; [unrolled: 1-line block ×4, first 2 shown]
	global_load_dwordx4 v[6:9], v[6:7], off
	v_ashrrev_i32_e32 v53, 31, v52
	buffer_store_dword v11, off, s[0:3], 0 offset:180
	buffer_store_dword v12, off, s[0:3], 0 offset:184
	buffer_store_dword v13, off, s[0:3], 0 offset:188
	s_waitcnt vmcnt(22)
	buffer_store_dword v56, off, s[0:3], 0 offset:192
	buffer_store_dword v57, off, s[0:3], 0 offset:196
	buffer_store_dword v58, off, s[0:3], 0 offset:200
	buffer_store_dword v59, off, s[0:3], 0 offset:204
	s_waitcnt vmcnt(25)
	buffer_store_dword v63, off, s[0:3], 0 offset:220
	;; [unrolled: 5-line block ×15, first 2 shown]
	buffer_store_dword v114, off, s[0:3], 0 offset:424
	buffer_store_dword v113, off, s[0:3], 0 offset:420
	;; [unrolled: 1-line block ×11, first 2 shown]
	s_waitcnt vmcnt(62)
	buffer_store_dword v127, off, s[0:3], 0 offset:476
	buffer_store_dword v126, off, s[0:3], 0 offset:472
	;; [unrolled: 1-line block ×9, first 2 shown]
	v_lshlrev_b64 v[10:11], 4, v[52:53]
	v_add_co_u32_e32 v12, vcc, s6, v10
	v_ashrrev_i32_e32 v51, 31, v50
	v_addc_co_u32_e32 v13, vcc, v0, v11, vcc
	v_lshlrev_b64 v[10:11], 4, v[50:51]
	v_add_co_u32_e32 v50, vcc, s6, v10
	v_accvgpr_write_b32 a91, v13
	v_addc_co_u32_e32 v51, vcc, v0, v11, vcc
	v_accvgpr_write_b32 a90, v12
	global_load_dwordx4 v[10:13], v[12:13], off
	v_accvgpr_write_b32 a81, v51
	v_ashrrev_i32_e32 v49, 31, v48
	v_accvgpr_write_b32 a80, v50
	global_load_dwordx4 v[50:53], v[50:51], off
	v_lshlrev_b64 v[48:49], 4, v[48:49]
	v_add_co_u32_e32 v48, vcc, s6, v48
	v_ashrrev_i32_e32 v47, 31, v46
	v_addc_co_u32_e32 v49, vcc, v0, v49, vcc
	v_lshlrev_b64 v[46:47], 4, v[46:47]
	v_add_co_u32_e32 v54, vcc, s6, v46
	v_accvgpr_write_b32 a83, v49
	v_addc_co_u32_e32 v55, vcc, v0, v47, vcc
	v_accvgpr_write_b32 a82, v48
	global_load_dwordx4 v[46:49], v[48:49], off
	v_accvgpr_write_b32 a71, v55
	v_ashrrev_i32_e32 v45, 31, v44
	v_accvgpr_write_b32 a70, v54
	global_load_dwordx4 v[54:57], v[54:55], off
	;; [unrolled: 14-line block ×8, first 2 shown]
	v_lshlrev_b64 v[20:21], 4, v[20:21]
	v_add_co_u32_e32 v20, vcc, s6, v20
	v_ashrrev_i32_e32 v19, 31, v18
	v_addc_co_u32_e32 v21, vcc, v0, v21, vcc
	v_lshlrev_b64 v[18:19], 4, v[18:19]
	v_add_co_u32_e32 v82, vcc, s6, v18
	v_accvgpr_write_b32 a10, v20
	v_addc_co_u32_e32 v83, vcc, v0, v19, vcc
	v_accvgpr_write_b32 a11, v21
	global_load_dwordx4 v[18:21], v[20:21], off
	v_accvgpr_write_b32 a4, v82
	v_accvgpr_write_b32 a5, v83
	global_load_dwordx4 v[82:85], v[82:83], off
	v_ashrrev_i32_e32 v17, 31, v16
	v_lshlrev_b64 v[16:17], 4, v[16:17]
	v_add_co_u32_e32 v16, vcc, s6, v16
	v_addc_co_u32_e32 v17, vcc, v0, v17, vcc
	v_ashrrev_i32_e32 v15, 31, v14
	v_accvgpr_write_b32 a6, v16
	v_lshlrev_b64 v[86:87], 4, v[14:15]
	v_accvgpr_write_b32 a7, v17
	global_load_dwordx4 v[14:17], v[16:17], off
	v_add_co_u32_e32 v86, vcc, s6, v86
	v_addc_co_u32_e32 v87, vcc, v0, v87, vcc
	v_accvgpr_write_b32 a2, v86
	v_accvgpr_write_b32 a3, v87
	global_load_dwordx4 v[86:89], v[86:87], off
	v_mov_b32_e32 v0, 16
	buffer_store_dword v8, off, s[0:3], 0 offset:504
	buffer_store_dword v7, off, s[0:3], 0 offset:500
	buffer_store_dword v6, off, s[0:3], 0 offset:496
	s_waitcnt vmcnt(22)
	buffer_store_dword v13, off, s[0:3], 0 offset:524
	buffer_store_dword v12, off, s[0:3], 0 offset:520
	buffer_store_dword v11, off, s[0:3], 0 offset:516
	buffer_store_dword v10, off, s[0:3], 0 offset:512
	s_waitcnt vmcnt(25)
	buffer_store_dword v53, off, s[0:3], 0 offset:540
	;; [unrolled: 5-line block ×15, first 2 shown]
	buffer_store_dword v24, off, s[0:3], 0 offset:744
	buffer_store_dword v23, off, s[0:3], 0 offset:740
	buffer_store_dword v22, off, s[0:3], 0 offset:736
	buffer_store_dword v81, off, s[0:3], 0 offset:764
	buffer_store_dword v80, off, s[0:3], 0 offset:760
	buffer_store_dword v79, off, s[0:3], 0 offset:756
	buffer_store_dword v78, off, s[0:3], 0 offset:752
	buffer_store_dword v21, off, s[0:3], 0 offset:780
	buffer_store_dword v20, off, s[0:3], 0 offset:776
	buffer_store_dword v19, off, s[0:3], 0 offset:772
	buffer_store_dword v18, off, s[0:3], 0 offset:768
	s_waitcnt vmcnt(62)
	buffer_store_dword v85, off, s[0:3], 0 offset:796
	buffer_store_dword v84, off, s[0:3], 0 offset:792
	;; [unrolled: 1-line block ×16, first 2 shown]
	v_add_u32_e32 v2, 16, v0
	v_accvgpr_write_b32 a154, v2
	v_add_u32_e32 v2, 32, v0
	v_accvgpr_write_b32 a153, v2
	;; [unrolled: 2-line block ×49, first 2 shown]
	v_add_u32_e32 v2, 0x320, v0
	v_add_u32_e32 v0, 0x330, v0
	s_bitcmp0_b32 s18, 0
	v_accvgpr_write_b32 a105, v2
	v_accvgpr_write_b32 a104, v0
	s_mov_b64 s[6:7], -1
	s_cbranch_scc1 .LBB115_220
; %bb.4:
	v_cmp_eq_u32_e64 s[4:5], 0, v255
	s_and_saveexec_b64 s[6:7], s[4:5]
	s_cbranch_execz .LBB115_6
; %bb.5:
	v_mov_b32_e32 v0, 0
	ds_write_b32 v0, v0 offset:1664
.LBB115_6:
	s_or_b64 exec, exec, s[6:7]
	v_mov_b32_e32 v0, 16
	v_lshl_add_u32 v12, v255, 4, v0
	s_waitcnt lgkmcnt(0)
	; wave barrier
	s_waitcnt lgkmcnt(0)
	buffer_load_dword v2, v12, s[0:3], 0 offen
	buffer_load_dword v3, v12, s[0:3], 0 offen offset:4
	buffer_load_dword v4, v12, s[0:3], 0 offen offset:8
	;; [unrolled: 1-line block ×3, first 2 shown]
	s_waitcnt vmcnt(2)
	v_cmp_eq_f64_e32 vcc, 0, v[2:3]
	s_waitcnt vmcnt(0)
	v_cmp_eq_f64_e64 s[6:7], 0, v[4:5]
	s_and_b64 s[6:7], vcc, s[6:7]
	s_and_saveexec_b64 s[12:13], s[6:7]
	s_cbranch_execz .LBB115_10
; %bb.7:
	v_mov_b32_e32 v2, 0
	ds_read_b32 v0, v2 offset:1664
	v_add_u32_e32 v3, 1, v255
	s_waitcnt lgkmcnt(0)
	v_readfirstlane_b32 s6, v0
	s_cmp_eq_u32 s6, 0
	s_cselect_b64 s[18:19], -1, 0
	v_cmp_gt_i32_e32 vcc, s6, v3
	s_or_b64 s[18:19], s[18:19], vcc
	s_and_b64 exec, exec, s[18:19]
	s_cbranch_execz .LBB115_10
; %bb.8:
	s_mov_b64 s[18:19], 0
	v_mov_b32_e32 v4, s6
.LBB115_9:                              ; =>This Inner Loop Header: Depth=1
	ds_cmpst_rtn_b32 v4, v2, v4, v3 offset:1664
	s_waitcnt lgkmcnt(0)
	v_cmp_ne_u32_e32 vcc, 0, v4
	v_cmp_le_i32_e64 s[6:7], v4, v3
	s_and_b64 s[6:7], vcc, s[6:7]
	s_and_b64 s[6:7], exec, s[6:7]
	s_or_b64 s[18:19], s[6:7], s[18:19]
	s_andn2_b64 exec, exec, s[18:19]
	s_cbranch_execnz .LBB115_9
.LBB115_10:
	s_or_b64 exec, exec, s[12:13]
	v_mov_b32_e32 v3, 0
	s_waitcnt lgkmcnt(0)
	; wave barrier
	ds_read_b32 v2, v3 offset:1664
	s_and_saveexec_b64 s[6:7], s[4:5]
	s_cbranch_execz .LBB115_12
; %bb.11:
	s_lshl_b64 s[12:13], s[8:9], 2
	s_add_u32 s12, s14, s12
	s_addc_u32 s13, s15, s13
	s_waitcnt lgkmcnt(0)
	global_store_dword v3, v2, s[12:13]
.LBB115_12:
	s_or_b64 exec, exec, s[6:7]
	s_waitcnt lgkmcnt(0)
	v_cmp_ne_u32_e32 vcc, 0, v2
	s_mov_b64 s[6:7], 0
	s_cbranch_vccnz .LBB115_220
; %bb.13:
	buffer_load_dword v7, v12, s[0:3], 0 offen offset:4
	buffer_load_dword v6, v12, s[0:3], 0 offen
	buffer_load_dword v9, v12, s[0:3], 0 offen offset:12
	buffer_load_dword v8, v12, s[0:3], 0 offen offset:8
                                        ; implicit-def: $vgpr10_vgpr11
	s_waitcnt vmcnt(3)
	v_xor_b32_e32 v0, 0x80000000, v7
	s_waitcnt vmcnt(2)
	v_cmp_gt_f64_e32 vcc, 0, v[6:7]
	s_waitcnt vmcnt(1)
	v_xor_b32_e32 v4, 0x80000000, v9
	v_cndmask_b32_e32 v3, v7, v0, vcc
	s_waitcnt vmcnt(0)
	v_cmp_gt_f64_e32 vcc, 0, v[8:9]
	v_mov_b32_e32 v2, v6
	v_cndmask_b32_e32 v5, v9, v4, vcc
	v_mov_b32_e32 v4, v8
	v_cmp_ngt_f64_e32 vcc, v[2:3], v[4:5]
                                        ; implicit-def: $vgpr4_vgpr5
	s_and_saveexec_b64 s[6:7], vcc
	s_xor_b64 s[6:7], exec, s[6:7]
	s_cbranch_execz .LBB115_15
; %bb.14:
	v_div_scale_f64 v[2:3], s[12:13], v[8:9], v[8:9], v[6:7]
	v_rcp_f64_e32 v[4:5], v[2:3]
	v_div_scale_f64 v[10:11], vcc, v[6:7], v[8:9], v[6:7]
	v_fma_f64 v[14:15], -v[2:3], v[4:5], 1.0
	v_fmac_f64_e32 v[4:5], v[4:5], v[14:15]
	v_fma_f64 v[14:15], -v[2:3], v[4:5], 1.0
	v_fmac_f64_e32 v[4:5], v[4:5], v[14:15]
	v_mul_f64 v[14:15], v[10:11], v[4:5]
	v_fma_f64 v[2:3], -v[2:3], v[14:15], v[10:11]
	v_div_fmas_f64 v[2:3], v[2:3], v[4:5], v[14:15]
	v_div_fixup_f64 v[2:3], v[2:3], v[8:9], v[6:7]
	v_fmac_f64_e32 v[8:9], v[6:7], v[2:3]
	v_div_scale_f64 v[4:5], s[12:13], v[8:9], v[8:9], 1.0
	v_rcp_f64_e32 v[6:7], v[4:5]
	v_fma_f64 v[10:11], -v[4:5], v[6:7], 1.0
	v_fmac_f64_e32 v[6:7], v[6:7], v[10:11]
	v_fma_f64 v[10:11], -v[4:5], v[6:7], 1.0
	v_fmac_f64_e32 v[6:7], v[6:7], v[10:11]
	v_div_scale_f64 v[10:11], vcc, 1.0, v[8:9], 1.0
	v_mul_f64 v[14:15], v[10:11], v[6:7]
	v_fma_f64 v[4:5], -v[4:5], v[14:15], v[10:11]
	s_nop 1
	v_div_fmas_f64 v[4:5], v[4:5], v[6:7], v[14:15]
	v_div_fixup_f64 v[4:5], v[4:5], v[8:9], 1.0
	v_mul_f64 v[10:11], v[2:3], v[4:5]
	v_xor_b32_e32 v5, 0x80000000, v5
	v_xor_b32_e32 v3, 0x80000000, v11
	v_mov_b32_e32 v2, v10
                                        ; implicit-def: $vgpr6_vgpr7
                                        ; implicit-def: $vgpr8_vgpr9
.LBB115_15:
	s_andn2_saveexec_b64 s[6:7], s[6:7]
	s_cbranch_execz .LBB115_17
; %bb.16:
	v_div_scale_f64 v[2:3], s[12:13], v[6:7], v[6:7], v[8:9]
	v_rcp_f64_e32 v[4:5], v[2:3]
	v_div_scale_f64 v[10:11], vcc, v[8:9], v[6:7], v[8:9]
	v_fma_f64 v[14:15], -v[2:3], v[4:5], 1.0
	v_fmac_f64_e32 v[4:5], v[4:5], v[14:15]
	v_fma_f64 v[14:15], -v[2:3], v[4:5], 1.0
	v_fmac_f64_e32 v[4:5], v[4:5], v[14:15]
	v_mul_f64 v[14:15], v[10:11], v[4:5]
	v_fma_f64 v[2:3], -v[2:3], v[14:15], v[10:11]
	v_div_fmas_f64 v[2:3], v[2:3], v[4:5], v[14:15]
	v_div_fixup_f64 v[4:5], v[2:3], v[6:7], v[8:9]
	v_fmac_f64_e32 v[6:7], v[8:9], v[4:5]
	v_div_scale_f64 v[2:3], s[12:13], v[6:7], v[6:7], 1.0
	v_rcp_f64_e32 v[8:9], v[2:3]
	v_fma_f64 v[10:11], -v[2:3], v[8:9], 1.0
	v_fmac_f64_e32 v[8:9], v[8:9], v[10:11]
	v_fma_f64 v[10:11], -v[2:3], v[8:9], 1.0
	v_fmac_f64_e32 v[8:9], v[8:9], v[10:11]
	v_div_scale_f64 v[10:11], vcc, 1.0, v[6:7], 1.0
	v_mul_f64 v[14:15], v[10:11], v[8:9]
	v_fma_f64 v[2:3], -v[2:3], v[14:15], v[10:11]
	s_nop 1
	v_div_fmas_f64 v[2:3], v[2:3], v[8:9], v[14:15]
	v_div_fixup_f64 v[10:11], v[2:3], v[6:7], 1.0
	v_xor_b32_e32 v3, 0x80000000, v11
	v_mov_b32_e32 v2, v10
	v_mul_f64 v[4:5], v[4:5], -v[10:11]
.LBB115_17:
	s_or_b64 exec, exec, s[6:7]
	buffer_store_dword v11, v12, s[0:3], 0 offen offset:4
	buffer_store_dword v10, v12, s[0:3], 0 offen
	buffer_store_dword v5, v12, s[0:3], 0 offen offset:12
	buffer_store_dword v4, v12, s[0:3], 0 offen offset:8
	v_accvgpr_read_b32 v0, a154
	buffer_load_dword v11, v0, s[0:3], 0 offen offset:12
	buffer_load_dword v10, v0, s[0:3], 0 offen offset:8
	;; [unrolled: 1-line block ×3, first 2 shown]
	buffer_load_dword v8, v0, s[0:3], 0 offen
	v_xor_b32_e32 v5, 0x80000000, v5
	v_add_u32_e32 v6, 0x340, v1
	ds_write_b128 v1, v[2:5]
	s_waitcnt vmcnt(0)
	ds_write_b128 v1, v[8:11] offset:832
	s_waitcnt lgkmcnt(0)
	; wave barrier
	s_waitcnt lgkmcnt(0)
	s_and_saveexec_b64 s[6:7], s[4:5]
	s_cbranch_execz .LBB115_19
; %bb.18:
	buffer_load_dword v14, v12, s[0:3], 0 offen offset:8
	buffer_load_dword v15, v12, s[0:3], 0 offen offset:12
	buffer_load_dword v16, v12, s[0:3], 0 offen
	buffer_load_dword v17, v12, s[0:3], 0 offen offset:4
	ds_read_b128 v[2:5], v6
	v_mov_b32_e32 v0, 0
	ds_read_b128 v[8:11], v0 offset:16
	s_waitcnt vmcnt(2) lgkmcnt(1)
	v_mul_f64 v[18:19], v[4:5], v[14:15]
	v_mul_f64 v[14:15], v[2:3], v[14:15]
	s_waitcnt vmcnt(0)
	v_fmac_f64_e32 v[14:15], v[4:5], v[16:17]
	v_fma_f64 v[2:3], v[2:3], v[16:17], -v[18:19]
	v_add_f64 v[4:5], v[14:15], 0
	v_add_f64 v[2:3], v[2:3], 0
	s_waitcnt lgkmcnt(0)
	v_mul_f64 v[14:15], v[4:5], v[10:11]
	v_mul_f64 v[10:11], v[2:3], v[10:11]
	v_fma_f64 v[2:3], v[2:3], v[8:9], -v[14:15]
	v_fmac_f64_e32 v[10:11], v[4:5], v[8:9]
	buffer_store_dword v2, off, s[0:3], 0 offset:32
	buffer_store_dword v3, off, s[0:3], 0 offset:36
	;; [unrolled: 1-line block ×4, first 2 shown]
.LBB115_19:
	s_or_b64 exec, exec, s[6:7]
	v_accvgpr_read_b32 v0, a153
	s_waitcnt lgkmcnt(0)
	; wave barrier
	buffer_load_dword v2, v0, s[0:3], 0 offen
	buffer_load_dword v3, v0, s[0:3], 0 offen offset:4
	buffer_load_dword v4, v0, s[0:3], 0 offen offset:8
	;; [unrolled: 1-line block ×3, first 2 shown]
	v_cmp_gt_u32_e32 vcc, 2, v255
	s_waitcnt vmcnt(0)
	ds_write_b128 v6, v[2:5]
	s_waitcnt lgkmcnt(0)
	; wave barrier
	s_waitcnt lgkmcnt(0)
	s_and_saveexec_b64 s[6:7], vcc
	s_cbranch_execz .LBB115_23
; %bb.20:
	buffer_load_dword v8, v12, s[0:3], 0 offen offset:8
	buffer_load_dword v9, v12, s[0:3], 0 offen offset:12
	buffer_load_dword v10, v12, s[0:3], 0 offen
	buffer_load_dword v11, v12, s[0:3], 0 offen offset:4
	ds_read_b128 v[2:5], v6
	s_waitcnt vmcnt(2) lgkmcnt(0)
	v_mul_f64 v[12:13], v[4:5], v[8:9]
	v_mul_f64 v[8:9], v[2:3], v[8:9]
	s_waitcnt vmcnt(0)
	v_fma_f64 v[2:3], v[2:3], v[10:11], -v[12:13]
	v_fmac_f64_e32 v[8:9], v[4:5], v[10:11]
	v_add_f64 v[4:5], v[2:3], 0
	v_add_f64 v[2:3], v[8:9], 0
	s_and_saveexec_b64 s[12:13], s[4:5]
	s_cbranch_execz .LBB115_22
; %bb.21:
	buffer_load_dword v12, off, s[0:3], 0 offset:40
	buffer_load_dword v13, off, s[0:3], 0 offset:44
	;; [unrolled: 1-line block ×4, first 2 shown]
	v_mov_b32_e32 v0, 0
	ds_read_b128 v[8:11], v0 offset:848
	s_waitcnt vmcnt(2) lgkmcnt(0)
	v_mul_f64 v[16:17], v[8:9], v[12:13]
	v_mul_f64 v[12:13], v[10:11], v[12:13]
	s_waitcnt vmcnt(0)
	v_fmac_f64_e32 v[16:17], v[10:11], v[14:15]
	v_fma_f64 v[8:9], v[8:9], v[14:15], -v[12:13]
	v_add_f64 v[2:3], v[2:3], v[16:17]
	v_add_f64 v[4:5], v[4:5], v[8:9]
.LBB115_22:
	s_or_b64 exec, exec, s[12:13]
	v_mov_b32_e32 v0, 0
	ds_read_b128 v[8:11], v0 offset:32
	s_waitcnt lgkmcnt(0)
	v_mul_f64 v[12:13], v[2:3], v[10:11]
	v_mul_f64 v[10:11], v[4:5], v[10:11]
	v_fma_f64 v[4:5], v[4:5], v[8:9], -v[12:13]
	v_fmac_f64_e32 v[10:11], v[2:3], v[8:9]
	buffer_store_dword v5, off, s[0:3], 0 offset:52
	buffer_store_dword v4, off, s[0:3], 0 offset:48
	buffer_store_dword v11, off, s[0:3], 0 offset:60
	buffer_store_dword v10, off, s[0:3], 0 offset:56
.LBB115_23:
	s_or_b64 exec, exec, s[6:7]
	v_accvgpr_read_b32 v0, a152
	s_waitcnt lgkmcnt(0)
	; wave barrier
	buffer_load_dword v2, v0, s[0:3], 0 offen
	buffer_load_dword v3, v0, s[0:3], 0 offen offset:4
	buffer_load_dword v4, v0, s[0:3], 0 offen offset:8
	;; [unrolled: 1-line block ×3, first 2 shown]
	v_cmp_gt_u32_e32 vcc, 3, v255
	v_add_u32_e32 v7, -1, v255
	s_waitcnt vmcnt(0)
	ds_write_b128 v6, v[2:5]
	s_waitcnt lgkmcnt(0)
	; wave barrier
	s_waitcnt lgkmcnt(0)
	s_and_saveexec_b64 s[4:5], vcc
	s_cbranch_execz .LBB115_27
; %bb.24:
	v_pk_mov_b32 v[2:3], 0, 0
	v_add_u32_e32 v8, -1, v255
	v_add_u32_e32 v9, 0x340, v1
	v_add_u32_e32 v10, 16, v1
	s_mov_b64 s[6:7], 0
	v_pk_mov_b32 v[4:5], v[2:3], v[2:3] op_sel:[0,1]
.LBB115_25:                             ; =>This Inner Loop Header: Depth=1
	buffer_load_dword v16, v10, s[0:3], 0 offen offset:8
	buffer_load_dword v17, v10, s[0:3], 0 offen offset:12
	buffer_load_dword v18, v10, s[0:3], 0 offen
	buffer_load_dword v19, v10, s[0:3], 0 offen offset:4
	ds_read_b128 v[12:15], v9
	v_add_u32_e32 v8, 1, v8
	v_cmp_lt_u32_e32 vcc, 1, v8
	v_add_u32_e32 v9, 16, v9
	v_add_u32_e32 v10, 16, v10
	s_or_b64 s[6:7], vcc, s[6:7]
	s_waitcnt vmcnt(2) lgkmcnt(0)
	v_mul_f64 v[20:21], v[14:15], v[16:17]
	v_mul_f64 v[16:17], v[12:13], v[16:17]
	s_waitcnt vmcnt(0)
	v_fma_f64 v[12:13], v[12:13], v[18:19], -v[20:21]
	v_fmac_f64_e32 v[16:17], v[14:15], v[18:19]
	v_add_f64 v[4:5], v[4:5], v[12:13]
	v_add_f64 v[2:3], v[2:3], v[16:17]
	s_andn2_b64 exec, exec, s[6:7]
	s_cbranch_execnz .LBB115_25
; %bb.26:
	s_or_b64 exec, exec, s[6:7]
	v_mov_b32_e32 v0, 0
	ds_read_b128 v[8:11], v0 offset:48
	s_waitcnt lgkmcnt(0)
	v_mul_f64 v[12:13], v[2:3], v[10:11]
	v_mul_f64 v[10:11], v[4:5], v[10:11]
	v_fma_f64 v[4:5], v[4:5], v[8:9], -v[12:13]
	v_fmac_f64_e32 v[10:11], v[2:3], v[8:9]
	buffer_store_dword v5, off, s[0:3], 0 offset:68
	buffer_store_dword v4, off, s[0:3], 0 offset:64
	buffer_store_dword v11, off, s[0:3], 0 offset:76
	buffer_store_dword v10, off, s[0:3], 0 offset:72
.LBB115_27:
	s_or_b64 exec, exec, s[4:5]
	v_accvgpr_read_b32 v0, a151
	s_waitcnt lgkmcnt(0)
	; wave barrier
	buffer_load_dword v2, v0, s[0:3], 0 offen
	buffer_load_dword v3, v0, s[0:3], 0 offen offset:4
	buffer_load_dword v4, v0, s[0:3], 0 offen offset:8
	buffer_load_dword v5, v0, s[0:3], 0 offen offset:12
	v_cmp_gt_u32_e32 vcc, 4, v255
	s_waitcnt vmcnt(0)
	ds_write_b128 v6, v[2:5]
	s_waitcnt lgkmcnt(0)
	; wave barrier
	s_waitcnt lgkmcnt(0)
	s_and_saveexec_b64 s[4:5], vcc
	s_cbranch_execz .LBB115_31
; %bb.28:
	v_pk_mov_b32 v[2:3], 0, 0
	v_add_u32_e32 v8, -1, v255
	v_add_u32_e32 v9, 0x340, v1
	v_add_u32_e32 v10, 16, v1
	s_mov_b64 s[6:7], 0
	v_pk_mov_b32 v[4:5], v[2:3], v[2:3] op_sel:[0,1]
.LBB115_29:                             ; =>This Inner Loop Header: Depth=1
	buffer_load_dword v16, v10, s[0:3], 0 offen offset:8
	buffer_load_dword v17, v10, s[0:3], 0 offen offset:12
	buffer_load_dword v18, v10, s[0:3], 0 offen
	buffer_load_dword v19, v10, s[0:3], 0 offen offset:4
	ds_read_b128 v[12:15], v9
	v_add_u32_e32 v8, 1, v8
	v_cmp_lt_u32_e32 vcc, 2, v8
	v_add_u32_e32 v9, 16, v9
	v_add_u32_e32 v10, 16, v10
	s_or_b64 s[6:7], vcc, s[6:7]
	s_waitcnt vmcnt(2) lgkmcnt(0)
	v_mul_f64 v[20:21], v[14:15], v[16:17]
	v_mul_f64 v[16:17], v[12:13], v[16:17]
	s_waitcnt vmcnt(0)
	v_fma_f64 v[12:13], v[12:13], v[18:19], -v[20:21]
	v_fmac_f64_e32 v[16:17], v[14:15], v[18:19]
	v_add_f64 v[4:5], v[4:5], v[12:13]
	v_add_f64 v[2:3], v[2:3], v[16:17]
	s_andn2_b64 exec, exec, s[6:7]
	s_cbranch_execnz .LBB115_29
; %bb.30:
	s_or_b64 exec, exec, s[6:7]
	v_mov_b32_e32 v0, 0
	ds_read_b128 v[8:11], v0 offset:64
	s_waitcnt lgkmcnt(0)
	v_mul_f64 v[12:13], v[2:3], v[10:11]
	v_mul_f64 v[10:11], v[4:5], v[10:11]
	v_fma_f64 v[4:5], v[4:5], v[8:9], -v[12:13]
	v_fmac_f64_e32 v[10:11], v[2:3], v[8:9]
	buffer_store_dword v5, off, s[0:3], 0 offset:84
	buffer_store_dword v4, off, s[0:3], 0 offset:80
	buffer_store_dword v11, off, s[0:3], 0 offset:92
	buffer_store_dword v10, off, s[0:3], 0 offset:88
.LBB115_31:
	s_or_b64 exec, exec, s[4:5]
	v_accvgpr_read_b32 v0, a150
	s_waitcnt lgkmcnt(0)
	; wave barrier
	buffer_load_dword v2, v0, s[0:3], 0 offen
	buffer_load_dword v3, v0, s[0:3], 0 offen offset:4
	buffer_load_dword v4, v0, s[0:3], 0 offen offset:8
	buffer_load_dword v5, v0, s[0:3], 0 offen offset:12
	v_cmp_gt_u32_e32 vcc, 5, v255
	;; [unrolled: 58-line block ×19, first 2 shown]
	s_waitcnt vmcnt(0)
	ds_write_b128 v6, v[2:5]
	s_waitcnt lgkmcnt(0)
	; wave barrier
	s_waitcnt lgkmcnt(0)
	s_and_saveexec_b64 s[4:5], vcc
	s_cbranch_execz .LBB115_103
; %bb.100:
	v_pk_mov_b32 v[2:3], 0, 0
	v_add_u32_e32 v8, -1, v255
	v_add_u32_e32 v9, 0x340, v1
	v_add_u32_e32 v10, 16, v1
	s_mov_b64 s[6:7], 0
	v_pk_mov_b32 v[4:5], v[2:3], v[2:3] op_sel:[0,1]
.LBB115_101:                            ; =>This Inner Loop Header: Depth=1
	buffer_load_dword v16, v10, s[0:3], 0 offen offset:8
	buffer_load_dword v17, v10, s[0:3], 0 offen offset:12
	buffer_load_dword v18, v10, s[0:3], 0 offen
	buffer_load_dword v19, v10, s[0:3], 0 offen offset:4
	ds_read_b128 v[12:15], v9
	v_add_u32_e32 v8, 1, v8
	v_cmp_lt_u32_e32 vcc, 20, v8
	v_add_u32_e32 v9, 16, v9
	v_add_u32_e32 v10, 16, v10
	s_or_b64 s[6:7], vcc, s[6:7]
	s_waitcnt vmcnt(2) lgkmcnt(0)
	v_mul_f64 v[20:21], v[14:15], v[16:17]
	v_mul_f64 v[16:17], v[12:13], v[16:17]
	s_waitcnt vmcnt(0)
	v_fma_f64 v[12:13], v[12:13], v[18:19], -v[20:21]
	v_fmac_f64_e32 v[16:17], v[14:15], v[18:19]
	v_add_f64 v[4:5], v[4:5], v[12:13]
	v_add_f64 v[2:3], v[2:3], v[16:17]
	s_andn2_b64 exec, exec, s[6:7]
	s_cbranch_execnz .LBB115_101
; %bb.102:
	s_or_b64 exec, exec, s[6:7]
	v_mov_b32_e32 v0, 0
	ds_read_b128 v[8:11], v0 offset:352
	s_waitcnt lgkmcnt(0)
	v_mul_f64 v[12:13], v[2:3], v[10:11]
	v_mul_f64 v[10:11], v[4:5], v[10:11]
	v_fma_f64 v[4:5], v[4:5], v[8:9], -v[12:13]
	v_fmac_f64_e32 v[10:11], v[2:3], v[8:9]
	buffer_store_dword v5, off, s[0:3], 0 offset:372
	buffer_store_dword v4, off, s[0:3], 0 offset:368
	buffer_store_dword v11, off, s[0:3], 0 offset:380
	buffer_store_dword v10, off, s[0:3], 0 offset:376
.LBB115_103:
	s_or_b64 exec, exec, s[4:5]
	v_accvgpr_read_b32 v0, a132
	s_waitcnt lgkmcnt(0)
	; wave barrier
	buffer_load_dword v2, v0, s[0:3], 0 offen
	buffer_load_dword v3, v0, s[0:3], 0 offen offset:4
	buffer_load_dword v4, v0, s[0:3], 0 offen offset:8
	buffer_load_dword v5, v0, s[0:3], 0 offen offset:12
	v_cmp_gt_u32_e32 vcc, 23, v255
	s_waitcnt vmcnt(0)
	ds_write_b128 v6, v[2:5]
	s_waitcnt lgkmcnt(0)
	; wave barrier
	s_waitcnt lgkmcnt(0)
	s_and_saveexec_b64 s[4:5], vcc
	s_cbranch_execz .LBB115_107
; %bb.104:
	v_pk_mov_b32 v[2:3], 0, 0
	v_add_u32_e32 v8, -1, v255
	v_add_u32_e32 v9, 0x340, v1
	v_add_u32_e32 v10, 16, v1
	s_mov_b64 s[6:7], 0
	v_pk_mov_b32 v[4:5], v[2:3], v[2:3] op_sel:[0,1]
.LBB115_105:                            ; =>This Inner Loop Header: Depth=1
	buffer_load_dword v16, v10, s[0:3], 0 offen offset:8
	buffer_load_dword v17, v10, s[0:3], 0 offen offset:12
	buffer_load_dword v18, v10, s[0:3], 0 offen
	buffer_load_dword v19, v10, s[0:3], 0 offen offset:4
	ds_read_b128 v[12:15], v9
	v_add_u32_e32 v8, 1, v8
	v_cmp_lt_u32_e32 vcc, 21, v8
	v_add_u32_e32 v9, 16, v9
	v_add_u32_e32 v10, 16, v10
	s_or_b64 s[6:7], vcc, s[6:7]
	s_waitcnt vmcnt(2) lgkmcnt(0)
	v_mul_f64 v[20:21], v[14:15], v[16:17]
	v_mul_f64 v[16:17], v[12:13], v[16:17]
	s_waitcnt vmcnt(0)
	v_fma_f64 v[12:13], v[12:13], v[18:19], -v[20:21]
	v_fmac_f64_e32 v[16:17], v[14:15], v[18:19]
	v_add_f64 v[4:5], v[4:5], v[12:13]
	v_add_f64 v[2:3], v[2:3], v[16:17]
	s_andn2_b64 exec, exec, s[6:7]
	s_cbranch_execnz .LBB115_105
; %bb.106:
	s_or_b64 exec, exec, s[6:7]
	v_mov_b32_e32 v0, 0
	ds_read_b128 v[8:11], v0 offset:368
	s_waitcnt lgkmcnt(0)
	v_mul_f64 v[12:13], v[2:3], v[10:11]
	v_mul_f64 v[10:11], v[4:5], v[10:11]
	v_fma_f64 v[4:5], v[4:5], v[8:9], -v[12:13]
	v_fmac_f64_e32 v[10:11], v[2:3], v[8:9]
	buffer_store_dword v5, off, s[0:3], 0 offset:388
	buffer_store_dword v4, off, s[0:3], 0 offset:384
	buffer_store_dword v11, off, s[0:3], 0 offset:396
	buffer_store_dword v10, off, s[0:3], 0 offset:392
.LBB115_107:
	s_or_b64 exec, exec, s[4:5]
	v_accvgpr_read_b32 v0, a131
	s_waitcnt lgkmcnt(0)
	; wave barrier
	buffer_load_dword v2, v0, s[0:3], 0 offen
	buffer_load_dword v3, v0, s[0:3], 0 offen offset:4
	buffer_load_dword v4, v0, s[0:3], 0 offen offset:8
	buffer_load_dword v5, v0, s[0:3], 0 offen offset:12
	v_cmp_gt_u32_e32 vcc, 24, v255
	s_waitcnt vmcnt(0)
	ds_write_b128 v6, v[2:5]
	s_waitcnt lgkmcnt(0)
	; wave barrier
	s_waitcnt lgkmcnt(0)
	s_and_saveexec_b64 s[4:5], vcc
	s_cbranch_execz .LBB115_111
; %bb.108:
	v_pk_mov_b32 v[2:3], 0, 0
	v_add_u32_e32 v8, -1, v255
	v_add_u32_e32 v9, 0x340, v1
	v_add_u32_e32 v10, 16, v1
	s_mov_b64 s[6:7], 0
	v_pk_mov_b32 v[4:5], v[2:3], v[2:3] op_sel:[0,1]
.LBB115_109:                            ; =>This Inner Loop Header: Depth=1
	buffer_load_dword v16, v10, s[0:3], 0 offen offset:8
	buffer_load_dword v17, v10, s[0:3], 0 offen offset:12
	buffer_load_dword v18, v10, s[0:3], 0 offen
	buffer_load_dword v19, v10, s[0:3], 0 offen offset:4
	ds_read_b128 v[12:15], v9
	v_add_u32_e32 v8, 1, v8
	v_cmp_lt_u32_e32 vcc, 22, v8
	v_add_u32_e32 v9, 16, v9
	v_add_u32_e32 v10, 16, v10
	s_or_b64 s[6:7], vcc, s[6:7]
	s_waitcnt vmcnt(2) lgkmcnt(0)
	v_mul_f64 v[20:21], v[14:15], v[16:17]
	v_mul_f64 v[16:17], v[12:13], v[16:17]
	s_waitcnt vmcnt(0)
	v_fma_f64 v[12:13], v[12:13], v[18:19], -v[20:21]
	v_fmac_f64_e32 v[16:17], v[14:15], v[18:19]
	v_add_f64 v[4:5], v[4:5], v[12:13]
	v_add_f64 v[2:3], v[2:3], v[16:17]
	s_andn2_b64 exec, exec, s[6:7]
	s_cbranch_execnz .LBB115_109
; %bb.110:
	s_or_b64 exec, exec, s[6:7]
	v_mov_b32_e32 v0, 0
	ds_read_b128 v[8:11], v0 offset:384
	s_waitcnt lgkmcnt(0)
	v_mul_f64 v[12:13], v[2:3], v[10:11]
	v_mul_f64 v[10:11], v[4:5], v[10:11]
	v_fma_f64 v[4:5], v[4:5], v[8:9], -v[12:13]
	v_fmac_f64_e32 v[10:11], v[2:3], v[8:9]
	buffer_store_dword v5, off, s[0:3], 0 offset:404
	buffer_store_dword v4, off, s[0:3], 0 offset:400
	buffer_store_dword v11, off, s[0:3], 0 offset:412
	buffer_store_dword v10, off, s[0:3], 0 offset:408
.LBB115_111:
	s_or_b64 exec, exec, s[4:5]
	v_accvgpr_read_b32 v0, a130
	s_waitcnt lgkmcnt(0)
	; wave barrier
	buffer_load_dword v2, v0, s[0:3], 0 offen
	buffer_load_dword v3, v0, s[0:3], 0 offen offset:4
	buffer_load_dword v4, v0, s[0:3], 0 offen offset:8
	buffer_load_dword v5, v0, s[0:3], 0 offen offset:12
	v_cmp_gt_u32_e32 vcc, 25, v255
	s_waitcnt vmcnt(0)
	ds_write_b128 v6, v[2:5]
	s_waitcnt lgkmcnt(0)
	; wave barrier
	s_waitcnt lgkmcnt(0)
	s_and_saveexec_b64 s[4:5], vcc
	s_cbranch_execz .LBB115_115
; %bb.112:
	v_pk_mov_b32 v[2:3], 0, 0
	v_add_u32_e32 v8, -1, v255
	v_add_u32_e32 v9, 0x340, v1
	v_add_u32_e32 v10, 16, v1
	s_mov_b64 s[6:7], 0
	v_pk_mov_b32 v[4:5], v[2:3], v[2:3] op_sel:[0,1]
.LBB115_113:                            ; =>This Inner Loop Header: Depth=1
	buffer_load_dword v16, v10, s[0:3], 0 offen offset:8
	buffer_load_dword v17, v10, s[0:3], 0 offen offset:12
	buffer_load_dword v18, v10, s[0:3], 0 offen
	buffer_load_dword v19, v10, s[0:3], 0 offen offset:4
	ds_read_b128 v[12:15], v9
	v_add_u32_e32 v8, 1, v8
	v_cmp_lt_u32_e32 vcc, 23, v8
	v_add_u32_e32 v9, 16, v9
	v_add_u32_e32 v10, 16, v10
	s_or_b64 s[6:7], vcc, s[6:7]
	s_waitcnt vmcnt(2) lgkmcnt(0)
	v_mul_f64 v[20:21], v[14:15], v[16:17]
	v_mul_f64 v[16:17], v[12:13], v[16:17]
	s_waitcnt vmcnt(0)
	v_fma_f64 v[12:13], v[12:13], v[18:19], -v[20:21]
	v_fmac_f64_e32 v[16:17], v[14:15], v[18:19]
	v_add_f64 v[4:5], v[4:5], v[12:13]
	v_add_f64 v[2:3], v[2:3], v[16:17]
	s_andn2_b64 exec, exec, s[6:7]
	s_cbranch_execnz .LBB115_113
; %bb.114:
	s_or_b64 exec, exec, s[6:7]
	v_mov_b32_e32 v0, 0
	ds_read_b128 v[8:11], v0 offset:400
	s_waitcnt lgkmcnt(0)
	v_mul_f64 v[12:13], v[2:3], v[10:11]
	v_mul_f64 v[10:11], v[4:5], v[10:11]
	v_fma_f64 v[4:5], v[4:5], v[8:9], -v[12:13]
	v_fmac_f64_e32 v[10:11], v[2:3], v[8:9]
	buffer_store_dword v5, off, s[0:3], 0 offset:420
	buffer_store_dword v4, off, s[0:3], 0 offset:416
	buffer_store_dword v11, off, s[0:3], 0 offset:428
	buffer_store_dword v10, off, s[0:3], 0 offset:424
.LBB115_115:
	s_or_b64 exec, exec, s[4:5]
	v_accvgpr_read_b32 v0, a129
	s_waitcnt lgkmcnt(0)
	; wave barrier
	buffer_load_dword v2, v0, s[0:3], 0 offen
	buffer_load_dword v3, v0, s[0:3], 0 offen offset:4
	buffer_load_dword v4, v0, s[0:3], 0 offen offset:8
	buffer_load_dword v5, v0, s[0:3], 0 offen offset:12
	v_cmp_gt_u32_e32 vcc, 26, v255
	s_waitcnt vmcnt(0)
	ds_write_b128 v6, v[2:5]
	s_waitcnt lgkmcnt(0)
	; wave barrier
	s_waitcnt lgkmcnt(0)
	s_and_saveexec_b64 s[4:5], vcc
	s_cbranch_execz .LBB115_119
; %bb.116:
	v_pk_mov_b32 v[2:3], 0, 0
	v_add_u32_e32 v8, -1, v255
	v_add_u32_e32 v9, 0x340, v1
	v_add_u32_e32 v10, 16, v1
	s_mov_b64 s[6:7], 0
	v_pk_mov_b32 v[4:5], v[2:3], v[2:3] op_sel:[0,1]
.LBB115_117:                            ; =>This Inner Loop Header: Depth=1
	buffer_load_dword v16, v10, s[0:3], 0 offen offset:8
	buffer_load_dword v17, v10, s[0:3], 0 offen offset:12
	buffer_load_dword v18, v10, s[0:3], 0 offen
	buffer_load_dword v19, v10, s[0:3], 0 offen offset:4
	ds_read_b128 v[12:15], v9
	v_add_u32_e32 v8, 1, v8
	v_cmp_lt_u32_e32 vcc, 24, v8
	v_add_u32_e32 v9, 16, v9
	v_add_u32_e32 v10, 16, v10
	s_or_b64 s[6:7], vcc, s[6:7]
	s_waitcnt vmcnt(2) lgkmcnt(0)
	v_mul_f64 v[20:21], v[14:15], v[16:17]
	v_mul_f64 v[16:17], v[12:13], v[16:17]
	s_waitcnt vmcnt(0)
	v_fma_f64 v[12:13], v[12:13], v[18:19], -v[20:21]
	v_fmac_f64_e32 v[16:17], v[14:15], v[18:19]
	v_add_f64 v[4:5], v[4:5], v[12:13]
	v_add_f64 v[2:3], v[2:3], v[16:17]
	s_andn2_b64 exec, exec, s[6:7]
	s_cbranch_execnz .LBB115_117
; %bb.118:
	s_or_b64 exec, exec, s[6:7]
	v_mov_b32_e32 v0, 0
	ds_read_b128 v[8:11], v0 offset:416
	s_waitcnt lgkmcnt(0)
	v_mul_f64 v[12:13], v[2:3], v[10:11]
	v_mul_f64 v[10:11], v[4:5], v[10:11]
	v_fma_f64 v[4:5], v[4:5], v[8:9], -v[12:13]
	v_fmac_f64_e32 v[10:11], v[2:3], v[8:9]
	buffer_store_dword v5, off, s[0:3], 0 offset:436
	buffer_store_dword v4, off, s[0:3], 0 offset:432
	buffer_store_dword v11, off, s[0:3], 0 offset:444
	buffer_store_dword v10, off, s[0:3], 0 offset:440
.LBB115_119:
	s_or_b64 exec, exec, s[4:5]
	v_accvgpr_read_b32 v0, a128
	s_waitcnt lgkmcnt(0)
	; wave barrier
	buffer_load_dword v2, v0, s[0:3], 0 offen
	buffer_load_dword v3, v0, s[0:3], 0 offen offset:4
	buffer_load_dword v4, v0, s[0:3], 0 offen offset:8
	buffer_load_dword v5, v0, s[0:3], 0 offen offset:12
	v_cmp_gt_u32_e32 vcc, 27, v255
	s_waitcnt vmcnt(0)
	ds_write_b128 v6, v[2:5]
	s_waitcnt lgkmcnt(0)
	; wave barrier
	s_waitcnt lgkmcnt(0)
	s_and_saveexec_b64 s[4:5], vcc
	s_cbranch_execz .LBB115_123
; %bb.120:
	v_pk_mov_b32 v[2:3], 0, 0
	v_add_u32_e32 v8, -1, v255
	v_add_u32_e32 v9, 0x340, v1
	v_add_u32_e32 v10, 16, v1
	s_mov_b64 s[6:7], 0
	v_pk_mov_b32 v[4:5], v[2:3], v[2:3] op_sel:[0,1]
.LBB115_121:                            ; =>This Inner Loop Header: Depth=1
	buffer_load_dword v16, v10, s[0:3], 0 offen offset:8
	buffer_load_dword v17, v10, s[0:3], 0 offen offset:12
	buffer_load_dword v18, v10, s[0:3], 0 offen
	buffer_load_dword v19, v10, s[0:3], 0 offen offset:4
	ds_read_b128 v[12:15], v9
	v_add_u32_e32 v8, 1, v8
	v_cmp_lt_u32_e32 vcc, 25, v8
	v_add_u32_e32 v9, 16, v9
	v_add_u32_e32 v10, 16, v10
	s_or_b64 s[6:7], vcc, s[6:7]
	s_waitcnt vmcnt(2) lgkmcnt(0)
	v_mul_f64 v[20:21], v[14:15], v[16:17]
	v_mul_f64 v[16:17], v[12:13], v[16:17]
	s_waitcnt vmcnt(0)
	v_fma_f64 v[12:13], v[12:13], v[18:19], -v[20:21]
	v_fmac_f64_e32 v[16:17], v[14:15], v[18:19]
	v_add_f64 v[4:5], v[4:5], v[12:13]
	v_add_f64 v[2:3], v[2:3], v[16:17]
	s_andn2_b64 exec, exec, s[6:7]
	s_cbranch_execnz .LBB115_121
; %bb.122:
	s_or_b64 exec, exec, s[6:7]
	v_mov_b32_e32 v0, 0
	ds_read_b128 v[8:11], v0 offset:432
	s_waitcnt lgkmcnt(0)
	v_mul_f64 v[12:13], v[2:3], v[10:11]
	v_mul_f64 v[10:11], v[4:5], v[10:11]
	v_fma_f64 v[4:5], v[4:5], v[8:9], -v[12:13]
	v_fmac_f64_e32 v[10:11], v[2:3], v[8:9]
	buffer_store_dword v5, off, s[0:3], 0 offset:452
	buffer_store_dword v4, off, s[0:3], 0 offset:448
	buffer_store_dword v11, off, s[0:3], 0 offset:460
	buffer_store_dword v10, off, s[0:3], 0 offset:456
.LBB115_123:
	s_or_b64 exec, exec, s[4:5]
	v_accvgpr_read_b32 v0, a127
	s_waitcnt lgkmcnt(0)
	; wave barrier
	buffer_load_dword v2, v0, s[0:3], 0 offen
	buffer_load_dword v3, v0, s[0:3], 0 offen offset:4
	buffer_load_dword v4, v0, s[0:3], 0 offen offset:8
	buffer_load_dword v5, v0, s[0:3], 0 offen offset:12
	v_cmp_gt_u32_e32 vcc, 28, v255
	s_waitcnt vmcnt(0)
	ds_write_b128 v6, v[2:5]
	s_waitcnt lgkmcnt(0)
	; wave barrier
	s_waitcnt lgkmcnt(0)
	s_and_saveexec_b64 s[4:5], vcc
	s_cbranch_execz .LBB115_127
; %bb.124:
	v_pk_mov_b32 v[2:3], 0, 0
	v_add_u32_e32 v8, -1, v255
	v_add_u32_e32 v9, 0x340, v1
	v_add_u32_e32 v10, 16, v1
	s_mov_b64 s[6:7], 0
	v_pk_mov_b32 v[4:5], v[2:3], v[2:3] op_sel:[0,1]
.LBB115_125:                            ; =>This Inner Loop Header: Depth=1
	buffer_load_dword v16, v10, s[0:3], 0 offen offset:8
	buffer_load_dword v17, v10, s[0:3], 0 offen offset:12
	buffer_load_dword v18, v10, s[0:3], 0 offen
	buffer_load_dword v19, v10, s[0:3], 0 offen offset:4
	ds_read_b128 v[12:15], v9
	v_add_u32_e32 v8, 1, v8
	v_cmp_lt_u32_e32 vcc, 26, v8
	v_add_u32_e32 v9, 16, v9
	v_add_u32_e32 v10, 16, v10
	s_or_b64 s[6:7], vcc, s[6:7]
	s_waitcnt vmcnt(2) lgkmcnt(0)
	v_mul_f64 v[20:21], v[14:15], v[16:17]
	v_mul_f64 v[16:17], v[12:13], v[16:17]
	s_waitcnt vmcnt(0)
	v_fma_f64 v[12:13], v[12:13], v[18:19], -v[20:21]
	v_fmac_f64_e32 v[16:17], v[14:15], v[18:19]
	v_add_f64 v[4:5], v[4:5], v[12:13]
	v_add_f64 v[2:3], v[2:3], v[16:17]
	s_andn2_b64 exec, exec, s[6:7]
	s_cbranch_execnz .LBB115_125
; %bb.126:
	s_or_b64 exec, exec, s[6:7]
	v_mov_b32_e32 v0, 0
	ds_read_b128 v[8:11], v0 offset:448
	s_waitcnt lgkmcnt(0)
	v_mul_f64 v[12:13], v[2:3], v[10:11]
	v_mul_f64 v[10:11], v[4:5], v[10:11]
	v_fma_f64 v[4:5], v[4:5], v[8:9], -v[12:13]
	v_fmac_f64_e32 v[10:11], v[2:3], v[8:9]
	buffer_store_dword v5, off, s[0:3], 0 offset:468
	buffer_store_dword v4, off, s[0:3], 0 offset:464
	buffer_store_dword v11, off, s[0:3], 0 offset:476
	buffer_store_dword v10, off, s[0:3], 0 offset:472
.LBB115_127:
	s_or_b64 exec, exec, s[4:5]
	v_accvgpr_read_b32 v0, a126
	s_waitcnt lgkmcnt(0)
	; wave barrier
	buffer_load_dword v2, v0, s[0:3], 0 offen
	buffer_load_dword v3, v0, s[0:3], 0 offen offset:4
	buffer_load_dword v4, v0, s[0:3], 0 offen offset:8
	buffer_load_dword v5, v0, s[0:3], 0 offen offset:12
	v_cmp_gt_u32_e32 vcc, 29, v255
	s_waitcnt vmcnt(0)
	ds_write_b128 v6, v[2:5]
	s_waitcnt lgkmcnt(0)
	; wave barrier
	s_waitcnt lgkmcnt(0)
	s_and_saveexec_b64 s[4:5], vcc
	s_cbranch_execz .LBB115_131
; %bb.128:
	v_pk_mov_b32 v[2:3], 0, 0
	v_add_u32_e32 v8, -1, v255
	v_add_u32_e32 v9, 0x340, v1
	v_add_u32_e32 v10, 16, v1
	s_mov_b64 s[6:7], 0
	v_pk_mov_b32 v[4:5], v[2:3], v[2:3] op_sel:[0,1]
.LBB115_129:                            ; =>This Inner Loop Header: Depth=1
	buffer_load_dword v16, v10, s[0:3], 0 offen offset:8
	buffer_load_dword v17, v10, s[0:3], 0 offen offset:12
	buffer_load_dword v18, v10, s[0:3], 0 offen
	buffer_load_dword v19, v10, s[0:3], 0 offen offset:4
	ds_read_b128 v[12:15], v9
	v_add_u32_e32 v8, 1, v8
	v_cmp_lt_u32_e32 vcc, 27, v8
	v_add_u32_e32 v9, 16, v9
	v_add_u32_e32 v10, 16, v10
	s_or_b64 s[6:7], vcc, s[6:7]
	s_waitcnt vmcnt(2) lgkmcnt(0)
	v_mul_f64 v[20:21], v[14:15], v[16:17]
	v_mul_f64 v[16:17], v[12:13], v[16:17]
	s_waitcnt vmcnt(0)
	v_fma_f64 v[12:13], v[12:13], v[18:19], -v[20:21]
	v_fmac_f64_e32 v[16:17], v[14:15], v[18:19]
	v_add_f64 v[4:5], v[4:5], v[12:13]
	v_add_f64 v[2:3], v[2:3], v[16:17]
	s_andn2_b64 exec, exec, s[6:7]
	s_cbranch_execnz .LBB115_129
; %bb.130:
	s_or_b64 exec, exec, s[6:7]
	v_mov_b32_e32 v0, 0
	ds_read_b128 v[8:11], v0 offset:464
	s_waitcnt lgkmcnt(0)
	v_mul_f64 v[12:13], v[2:3], v[10:11]
	v_mul_f64 v[10:11], v[4:5], v[10:11]
	v_fma_f64 v[4:5], v[4:5], v[8:9], -v[12:13]
	v_fmac_f64_e32 v[10:11], v[2:3], v[8:9]
	buffer_store_dword v5, off, s[0:3], 0 offset:484
	buffer_store_dword v4, off, s[0:3], 0 offset:480
	buffer_store_dword v11, off, s[0:3], 0 offset:492
	buffer_store_dword v10, off, s[0:3], 0 offset:488
.LBB115_131:
	s_or_b64 exec, exec, s[4:5]
	v_accvgpr_read_b32 v0, a125
	s_waitcnt lgkmcnt(0)
	; wave barrier
	buffer_load_dword v2, v0, s[0:3], 0 offen
	buffer_load_dword v3, v0, s[0:3], 0 offen offset:4
	buffer_load_dword v4, v0, s[0:3], 0 offen offset:8
	buffer_load_dword v5, v0, s[0:3], 0 offen offset:12
	v_cmp_gt_u32_e32 vcc, 30, v255
	s_waitcnt vmcnt(0)
	ds_write_b128 v6, v[2:5]
	s_waitcnt lgkmcnt(0)
	; wave barrier
	s_waitcnt lgkmcnt(0)
	s_and_saveexec_b64 s[4:5], vcc
	s_cbranch_execz .LBB115_135
; %bb.132:
	v_pk_mov_b32 v[2:3], 0, 0
	v_add_u32_e32 v8, -1, v255
	v_add_u32_e32 v9, 0x340, v1
	v_add_u32_e32 v10, 16, v1
	s_mov_b64 s[6:7], 0
	v_pk_mov_b32 v[4:5], v[2:3], v[2:3] op_sel:[0,1]
.LBB115_133:                            ; =>This Inner Loop Header: Depth=1
	buffer_load_dword v16, v10, s[0:3], 0 offen offset:8
	buffer_load_dword v17, v10, s[0:3], 0 offen offset:12
	buffer_load_dword v18, v10, s[0:3], 0 offen
	buffer_load_dword v19, v10, s[0:3], 0 offen offset:4
	ds_read_b128 v[12:15], v9
	v_add_u32_e32 v8, 1, v8
	v_cmp_lt_u32_e32 vcc, 28, v8
	v_add_u32_e32 v9, 16, v9
	v_add_u32_e32 v10, 16, v10
	s_or_b64 s[6:7], vcc, s[6:7]
	s_waitcnt vmcnt(2) lgkmcnt(0)
	v_mul_f64 v[20:21], v[14:15], v[16:17]
	v_mul_f64 v[16:17], v[12:13], v[16:17]
	s_waitcnt vmcnt(0)
	v_fma_f64 v[12:13], v[12:13], v[18:19], -v[20:21]
	v_fmac_f64_e32 v[16:17], v[14:15], v[18:19]
	v_add_f64 v[4:5], v[4:5], v[12:13]
	v_add_f64 v[2:3], v[2:3], v[16:17]
	s_andn2_b64 exec, exec, s[6:7]
	s_cbranch_execnz .LBB115_133
; %bb.134:
	s_or_b64 exec, exec, s[6:7]
	v_mov_b32_e32 v0, 0
	ds_read_b128 v[8:11], v0 offset:480
	s_waitcnt lgkmcnt(0)
	v_mul_f64 v[12:13], v[2:3], v[10:11]
	v_mul_f64 v[10:11], v[4:5], v[10:11]
	v_fma_f64 v[4:5], v[4:5], v[8:9], -v[12:13]
	v_fmac_f64_e32 v[10:11], v[2:3], v[8:9]
	buffer_store_dword v5, off, s[0:3], 0 offset:500
	buffer_store_dword v4, off, s[0:3], 0 offset:496
	buffer_store_dword v11, off, s[0:3], 0 offset:508
	buffer_store_dword v10, off, s[0:3], 0 offset:504
.LBB115_135:
	s_or_b64 exec, exec, s[4:5]
	v_accvgpr_read_b32 v0, a124
	s_waitcnt lgkmcnt(0)
	; wave barrier
	buffer_load_dword v2, v0, s[0:3], 0 offen
	buffer_load_dword v3, v0, s[0:3], 0 offen offset:4
	buffer_load_dword v4, v0, s[0:3], 0 offen offset:8
	buffer_load_dword v5, v0, s[0:3], 0 offen offset:12
	v_cmp_gt_u32_e32 vcc, 31, v255
	s_waitcnt vmcnt(0)
	ds_write_b128 v6, v[2:5]
	s_waitcnt lgkmcnt(0)
	; wave barrier
	s_waitcnt lgkmcnt(0)
	s_and_saveexec_b64 s[4:5], vcc
	s_cbranch_execz .LBB115_139
; %bb.136:
	v_pk_mov_b32 v[2:3], 0, 0
	v_add_u32_e32 v8, -1, v255
	v_add_u32_e32 v9, 0x340, v1
	v_add_u32_e32 v10, 16, v1
	s_mov_b64 s[6:7], 0
	v_pk_mov_b32 v[4:5], v[2:3], v[2:3] op_sel:[0,1]
.LBB115_137:                            ; =>This Inner Loop Header: Depth=1
	buffer_load_dword v16, v10, s[0:3], 0 offen offset:8
	buffer_load_dword v17, v10, s[0:3], 0 offen offset:12
	buffer_load_dword v18, v10, s[0:3], 0 offen
	buffer_load_dword v19, v10, s[0:3], 0 offen offset:4
	ds_read_b128 v[12:15], v9
	v_add_u32_e32 v8, 1, v8
	v_cmp_lt_u32_e32 vcc, 29, v8
	v_add_u32_e32 v9, 16, v9
	v_add_u32_e32 v10, 16, v10
	s_or_b64 s[6:7], vcc, s[6:7]
	s_waitcnt vmcnt(2) lgkmcnt(0)
	v_mul_f64 v[20:21], v[14:15], v[16:17]
	v_mul_f64 v[16:17], v[12:13], v[16:17]
	s_waitcnt vmcnt(0)
	v_fma_f64 v[12:13], v[12:13], v[18:19], -v[20:21]
	v_fmac_f64_e32 v[16:17], v[14:15], v[18:19]
	v_add_f64 v[4:5], v[4:5], v[12:13]
	v_add_f64 v[2:3], v[2:3], v[16:17]
	s_andn2_b64 exec, exec, s[6:7]
	s_cbranch_execnz .LBB115_137
; %bb.138:
	s_or_b64 exec, exec, s[6:7]
	v_mov_b32_e32 v0, 0
	ds_read_b128 v[8:11], v0 offset:496
	s_waitcnt lgkmcnt(0)
	v_mul_f64 v[12:13], v[2:3], v[10:11]
	v_mul_f64 v[10:11], v[4:5], v[10:11]
	v_fma_f64 v[4:5], v[4:5], v[8:9], -v[12:13]
	v_fmac_f64_e32 v[10:11], v[2:3], v[8:9]
	buffer_store_dword v5, off, s[0:3], 0 offset:516
	buffer_store_dword v4, off, s[0:3], 0 offset:512
	buffer_store_dword v11, off, s[0:3], 0 offset:524
	buffer_store_dword v10, off, s[0:3], 0 offset:520
.LBB115_139:
	s_or_b64 exec, exec, s[4:5]
	v_accvgpr_read_b32 v0, a123
	s_waitcnt lgkmcnt(0)
	; wave barrier
	buffer_load_dword v2, v0, s[0:3], 0 offen
	buffer_load_dword v3, v0, s[0:3], 0 offen offset:4
	buffer_load_dword v4, v0, s[0:3], 0 offen offset:8
	buffer_load_dword v5, v0, s[0:3], 0 offen offset:12
	v_cmp_gt_u32_e32 vcc, 32, v255
	s_waitcnt vmcnt(0)
	ds_write_b128 v6, v[2:5]
	s_waitcnt lgkmcnt(0)
	; wave barrier
	s_waitcnt lgkmcnt(0)
	s_and_saveexec_b64 s[4:5], vcc
	s_cbranch_execz .LBB115_143
; %bb.140:
	v_pk_mov_b32 v[2:3], 0, 0
	v_add_u32_e32 v8, -1, v255
	v_add_u32_e32 v9, 0x340, v1
	v_add_u32_e32 v10, 16, v1
	s_mov_b64 s[6:7], 0
	v_pk_mov_b32 v[4:5], v[2:3], v[2:3] op_sel:[0,1]
.LBB115_141:                            ; =>This Inner Loop Header: Depth=1
	buffer_load_dword v16, v10, s[0:3], 0 offen offset:8
	buffer_load_dword v17, v10, s[0:3], 0 offen offset:12
	buffer_load_dword v18, v10, s[0:3], 0 offen
	buffer_load_dword v19, v10, s[0:3], 0 offen offset:4
	ds_read_b128 v[12:15], v9
	v_add_u32_e32 v8, 1, v8
	v_cmp_lt_u32_e32 vcc, 30, v8
	v_add_u32_e32 v9, 16, v9
	v_add_u32_e32 v10, 16, v10
	s_or_b64 s[6:7], vcc, s[6:7]
	s_waitcnt vmcnt(2) lgkmcnt(0)
	v_mul_f64 v[20:21], v[14:15], v[16:17]
	v_mul_f64 v[16:17], v[12:13], v[16:17]
	s_waitcnt vmcnt(0)
	v_fma_f64 v[12:13], v[12:13], v[18:19], -v[20:21]
	v_fmac_f64_e32 v[16:17], v[14:15], v[18:19]
	v_add_f64 v[4:5], v[4:5], v[12:13]
	v_add_f64 v[2:3], v[2:3], v[16:17]
	s_andn2_b64 exec, exec, s[6:7]
	s_cbranch_execnz .LBB115_141
; %bb.142:
	s_or_b64 exec, exec, s[6:7]
	v_mov_b32_e32 v0, 0
	ds_read_b128 v[8:11], v0 offset:512
	s_waitcnt lgkmcnt(0)
	v_mul_f64 v[12:13], v[2:3], v[10:11]
	v_mul_f64 v[10:11], v[4:5], v[10:11]
	v_fma_f64 v[4:5], v[4:5], v[8:9], -v[12:13]
	v_fmac_f64_e32 v[10:11], v[2:3], v[8:9]
	buffer_store_dword v5, off, s[0:3], 0 offset:532
	buffer_store_dword v4, off, s[0:3], 0 offset:528
	buffer_store_dword v11, off, s[0:3], 0 offset:540
	buffer_store_dword v10, off, s[0:3], 0 offset:536
.LBB115_143:
	s_or_b64 exec, exec, s[4:5]
	v_accvgpr_read_b32 v0, a122
	s_waitcnt lgkmcnt(0)
	; wave barrier
	buffer_load_dword v2, v0, s[0:3], 0 offen
	buffer_load_dword v3, v0, s[0:3], 0 offen offset:4
	buffer_load_dword v4, v0, s[0:3], 0 offen offset:8
	buffer_load_dword v5, v0, s[0:3], 0 offen offset:12
	v_cmp_gt_u32_e32 vcc, 33, v255
	s_waitcnt vmcnt(0)
	ds_write_b128 v6, v[2:5]
	s_waitcnt lgkmcnt(0)
	; wave barrier
	s_waitcnt lgkmcnt(0)
	s_and_saveexec_b64 s[4:5], vcc
	s_cbranch_execz .LBB115_147
; %bb.144:
	v_pk_mov_b32 v[2:3], 0, 0
	v_add_u32_e32 v8, -1, v255
	v_add_u32_e32 v9, 0x340, v1
	v_add_u32_e32 v10, 16, v1
	s_mov_b64 s[6:7], 0
	v_pk_mov_b32 v[4:5], v[2:3], v[2:3] op_sel:[0,1]
.LBB115_145:                            ; =>This Inner Loop Header: Depth=1
	buffer_load_dword v16, v10, s[0:3], 0 offen offset:8
	buffer_load_dword v17, v10, s[0:3], 0 offen offset:12
	buffer_load_dword v18, v10, s[0:3], 0 offen
	buffer_load_dword v19, v10, s[0:3], 0 offen offset:4
	ds_read_b128 v[12:15], v9
	v_add_u32_e32 v8, 1, v8
	v_cmp_lt_u32_e32 vcc, 31, v8
	v_add_u32_e32 v9, 16, v9
	v_add_u32_e32 v10, 16, v10
	s_or_b64 s[6:7], vcc, s[6:7]
	s_waitcnt vmcnt(2) lgkmcnt(0)
	v_mul_f64 v[20:21], v[14:15], v[16:17]
	v_mul_f64 v[16:17], v[12:13], v[16:17]
	s_waitcnt vmcnt(0)
	v_fma_f64 v[12:13], v[12:13], v[18:19], -v[20:21]
	v_fmac_f64_e32 v[16:17], v[14:15], v[18:19]
	v_add_f64 v[4:5], v[4:5], v[12:13]
	v_add_f64 v[2:3], v[2:3], v[16:17]
	s_andn2_b64 exec, exec, s[6:7]
	s_cbranch_execnz .LBB115_145
; %bb.146:
	s_or_b64 exec, exec, s[6:7]
	v_mov_b32_e32 v0, 0
	ds_read_b128 v[8:11], v0 offset:528
	s_waitcnt lgkmcnt(0)
	v_mul_f64 v[12:13], v[2:3], v[10:11]
	v_mul_f64 v[10:11], v[4:5], v[10:11]
	v_fma_f64 v[4:5], v[4:5], v[8:9], -v[12:13]
	v_fmac_f64_e32 v[10:11], v[2:3], v[8:9]
	buffer_store_dword v5, off, s[0:3], 0 offset:548
	buffer_store_dword v4, off, s[0:3], 0 offset:544
	buffer_store_dword v11, off, s[0:3], 0 offset:556
	buffer_store_dword v10, off, s[0:3], 0 offset:552
.LBB115_147:
	s_or_b64 exec, exec, s[4:5]
	v_accvgpr_read_b32 v0, a121
	s_waitcnt lgkmcnt(0)
	; wave barrier
	buffer_load_dword v2, v0, s[0:3], 0 offen
	buffer_load_dword v3, v0, s[0:3], 0 offen offset:4
	buffer_load_dword v4, v0, s[0:3], 0 offen offset:8
	buffer_load_dword v5, v0, s[0:3], 0 offen offset:12
	v_cmp_gt_u32_e32 vcc, 34, v255
	s_waitcnt vmcnt(0)
	ds_write_b128 v6, v[2:5]
	s_waitcnt lgkmcnt(0)
	; wave barrier
	s_waitcnt lgkmcnt(0)
	s_and_saveexec_b64 s[4:5], vcc
	s_cbranch_execz .LBB115_151
; %bb.148:
	v_pk_mov_b32 v[2:3], 0, 0
	v_add_u32_e32 v8, -1, v255
	v_add_u32_e32 v9, 0x340, v1
	v_add_u32_e32 v10, 16, v1
	s_mov_b64 s[6:7], 0
	v_pk_mov_b32 v[4:5], v[2:3], v[2:3] op_sel:[0,1]
.LBB115_149:                            ; =>This Inner Loop Header: Depth=1
	buffer_load_dword v16, v10, s[0:3], 0 offen offset:8
	buffer_load_dword v17, v10, s[0:3], 0 offen offset:12
	buffer_load_dword v18, v10, s[0:3], 0 offen
	buffer_load_dword v19, v10, s[0:3], 0 offen offset:4
	ds_read_b128 v[12:15], v9
	v_add_u32_e32 v8, 1, v8
	v_cmp_lt_u32_e32 vcc, 32, v8
	v_add_u32_e32 v9, 16, v9
	v_add_u32_e32 v10, 16, v10
	s_or_b64 s[6:7], vcc, s[6:7]
	s_waitcnt vmcnt(2) lgkmcnt(0)
	v_mul_f64 v[20:21], v[14:15], v[16:17]
	v_mul_f64 v[16:17], v[12:13], v[16:17]
	s_waitcnt vmcnt(0)
	v_fma_f64 v[12:13], v[12:13], v[18:19], -v[20:21]
	v_fmac_f64_e32 v[16:17], v[14:15], v[18:19]
	v_add_f64 v[4:5], v[4:5], v[12:13]
	v_add_f64 v[2:3], v[2:3], v[16:17]
	s_andn2_b64 exec, exec, s[6:7]
	s_cbranch_execnz .LBB115_149
; %bb.150:
	s_or_b64 exec, exec, s[6:7]
	v_mov_b32_e32 v0, 0
	ds_read_b128 v[8:11], v0 offset:544
	s_waitcnt lgkmcnt(0)
	v_mul_f64 v[12:13], v[2:3], v[10:11]
	v_mul_f64 v[10:11], v[4:5], v[10:11]
	v_fma_f64 v[4:5], v[4:5], v[8:9], -v[12:13]
	v_fmac_f64_e32 v[10:11], v[2:3], v[8:9]
	buffer_store_dword v5, off, s[0:3], 0 offset:564
	buffer_store_dword v4, off, s[0:3], 0 offset:560
	buffer_store_dword v11, off, s[0:3], 0 offset:572
	buffer_store_dword v10, off, s[0:3], 0 offset:568
.LBB115_151:
	s_or_b64 exec, exec, s[4:5]
	v_accvgpr_read_b32 v0, a120
	s_waitcnt lgkmcnt(0)
	; wave barrier
	buffer_load_dword v2, v0, s[0:3], 0 offen
	buffer_load_dword v3, v0, s[0:3], 0 offen offset:4
	buffer_load_dword v4, v0, s[0:3], 0 offen offset:8
	buffer_load_dword v5, v0, s[0:3], 0 offen offset:12
	v_cmp_gt_u32_e32 vcc, 35, v255
	s_waitcnt vmcnt(0)
	ds_write_b128 v6, v[2:5]
	s_waitcnt lgkmcnt(0)
	; wave barrier
	s_waitcnt lgkmcnt(0)
	s_and_saveexec_b64 s[4:5], vcc
	s_cbranch_execz .LBB115_155
; %bb.152:
	v_pk_mov_b32 v[2:3], 0, 0
	v_add_u32_e32 v8, -1, v255
	v_add_u32_e32 v9, 0x340, v1
	v_add_u32_e32 v10, 16, v1
	s_mov_b64 s[6:7], 0
	v_pk_mov_b32 v[4:5], v[2:3], v[2:3] op_sel:[0,1]
.LBB115_153:                            ; =>This Inner Loop Header: Depth=1
	buffer_load_dword v16, v10, s[0:3], 0 offen offset:8
	buffer_load_dword v17, v10, s[0:3], 0 offen offset:12
	buffer_load_dword v18, v10, s[0:3], 0 offen
	buffer_load_dword v19, v10, s[0:3], 0 offen offset:4
	ds_read_b128 v[12:15], v9
	v_add_u32_e32 v8, 1, v8
	v_cmp_lt_u32_e32 vcc, 33, v8
	v_add_u32_e32 v9, 16, v9
	v_add_u32_e32 v10, 16, v10
	s_or_b64 s[6:7], vcc, s[6:7]
	s_waitcnt vmcnt(2) lgkmcnt(0)
	v_mul_f64 v[20:21], v[14:15], v[16:17]
	v_mul_f64 v[16:17], v[12:13], v[16:17]
	s_waitcnt vmcnt(0)
	v_fma_f64 v[12:13], v[12:13], v[18:19], -v[20:21]
	v_fmac_f64_e32 v[16:17], v[14:15], v[18:19]
	v_add_f64 v[4:5], v[4:5], v[12:13]
	v_add_f64 v[2:3], v[2:3], v[16:17]
	s_andn2_b64 exec, exec, s[6:7]
	s_cbranch_execnz .LBB115_153
; %bb.154:
	s_or_b64 exec, exec, s[6:7]
	v_mov_b32_e32 v0, 0
	ds_read_b128 v[8:11], v0 offset:560
	s_waitcnt lgkmcnt(0)
	v_mul_f64 v[12:13], v[2:3], v[10:11]
	v_mul_f64 v[10:11], v[4:5], v[10:11]
	v_fma_f64 v[4:5], v[4:5], v[8:9], -v[12:13]
	v_fmac_f64_e32 v[10:11], v[2:3], v[8:9]
	buffer_store_dword v5, off, s[0:3], 0 offset:580
	buffer_store_dword v4, off, s[0:3], 0 offset:576
	buffer_store_dword v11, off, s[0:3], 0 offset:588
	buffer_store_dword v10, off, s[0:3], 0 offset:584
.LBB115_155:
	s_or_b64 exec, exec, s[4:5]
	v_accvgpr_read_b32 v0, a119
	s_waitcnt lgkmcnt(0)
	; wave barrier
	buffer_load_dword v2, v0, s[0:3], 0 offen
	buffer_load_dword v3, v0, s[0:3], 0 offen offset:4
	buffer_load_dword v4, v0, s[0:3], 0 offen offset:8
	buffer_load_dword v5, v0, s[0:3], 0 offen offset:12
	v_cmp_gt_u32_e32 vcc, 36, v255
	s_waitcnt vmcnt(0)
	ds_write_b128 v6, v[2:5]
	s_waitcnt lgkmcnt(0)
	; wave barrier
	s_waitcnt lgkmcnt(0)
	s_and_saveexec_b64 s[4:5], vcc
	s_cbranch_execz .LBB115_159
; %bb.156:
	v_pk_mov_b32 v[2:3], 0, 0
	v_add_u32_e32 v8, -1, v255
	v_add_u32_e32 v9, 0x340, v1
	v_add_u32_e32 v10, 16, v1
	s_mov_b64 s[6:7], 0
	v_pk_mov_b32 v[4:5], v[2:3], v[2:3] op_sel:[0,1]
.LBB115_157:                            ; =>This Inner Loop Header: Depth=1
	buffer_load_dword v16, v10, s[0:3], 0 offen offset:8
	buffer_load_dword v17, v10, s[0:3], 0 offen offset:12
	buffer_load_dword v18, v10, s[0:3], 0 offen
	buffer_load_dword v19, v10, s[0:3], 0 offen offset:4
	ds_read_b128 v[12:15], v9
	v_add_u32_e32 v8, 1, v8
	v_cmp_lt_u32_e32 vcc, 34, v8
	v_add_u32_e32 v9, 16, v9
	v_add_u32_e32 v10, 16, v10
	s_or_b64 s[6:7], vcc, s[6:7]
	s_waitcnt vmcnt(2) lgkmcnt(0)
	v_mul_f64 v[20:21], v[14:15], v[16:17]
	v_mul_f64 v[16:17], v[12:13], v[16:17]
	s_waitcnt vmcnt(0)
	v_fma_f64 v[12:13], v[12:13], v[18:19], -v[20:21]
	v_fmac_f64_e32 v[16:17], v[14:15], v[18:19]
	v_add_f64 v[4:5], v[4:5], v[12:13]
	v_add_f64 v[2:3], v[2:3], v[16:17]
	s_andn2_b64 exec, exec, s[6:7]
	s_cbranch_execnz .LBB115_157
; %bb.158:
	s_or_b64 exec, exec, s[6:7]
	v_mov_b32_e32 v0, 0
	ds_read_b128 v[8:11], v0 offset:576
	s_waitcnt lgkmcnt(0)
	v_mul_f64 v[12:13], v[2:3], v[10:11]
	v_mul_f64 v[10:11], v[4:5], v[10:11]
	v_fma_f64 v[4:5], v[4:5], v[8:9], -v[12:13]
	v_fmac_f64_e32 v[10:11], v[2:3], v[8:9]
	buffer_store_dword v5, off, s[0:3], 0 offset:596
	buffer_store_dword v4, off, s[0:3], 0 offset:592
	buffer_store_dword v11, off, s[0:3], 0 offset:604
	buffer_store_dword v10, off, s[0:3], 0 offset:600
.LBB115_159:
	s_or_b64 exec, exec, s[4:5]
	v_accvgpr_read_b32 v0, a118
	s_waitcnt lgkmcnt(0)
	; wave barrier
	buffer_load_dword v2, v0, s[0:3], 0 offen
	buffer_load_dword v3, v0, s[0:3], 0 offen offset:4
	buffer_load_dword v4, v0, s[0:3], 0 offen offset:8
	buffer_load_dword v5, v0, s[0:3], 0 offen offset:12
	v_cmp_gt_u32_e32 vcc, 37, v255
	s_waitcnt vmcnt(0)
	ds_write_b128 v6, v[2:5]
	s_waitcnt lgkmcnt(0)
	; wave barrier
	s_waitcnt lgkmcnt(0)
	s_and_saveexec_b64 s[4:5], vcc
	s_cbranch_execz .LBB115_163
; %bb.160:
	v_pk_mov_b32 v[2:3], 0, 0
	v_add_u32_e32 v8, -1, v255
	v_add_u32_e32 v9, 0x340, v1
	v_add_u32_e32 v10, 16, v1
	s_mov_b64 s[6:7], 0
	v_pk_mov_b32 v[4:5], v[2:3], v[2:3] op_sel:[0,1]
.LBB115_161:                            ; =>This Inner Loop Header: Depth=1
	buffer_load_dword v16, v10, s[0:3], 0 offen offset:8
	buffer_load_dword v17, v10, s[0:3], 0 offen offset:12
	buffer_load_dword v18, v10, s[0:3], 0 offen
	buffer_load_dword v19, v10, s[0:3], 0 offen offset:4
	ds_read_b128 v[12:15], v9
	v_add_u32_e32 v8, 1, v8
	v_cmp_lt_u32_e32 vcc, 35, v8
	v_add_u32_e32 v9, 16, v9
	v_add_u32_e32 v10, 16, v10
	s_or_b64 s[6:7], vcc, s[6:7]
	s_waitcnt vmcnt(2) lgkmcnt(0)
	v_mul_f64 v[20:21], v[14:15], v[16:17]
	v_mul_f64 v[16:17], v[12:13], v[16:17]
	s_waitcnt vmcnt(0)
	v_fma_f64 v[12:13], v[12:13], v[18:19], -v[20:21]
	v_fmac_f64_e32 v[16:17], v[14:15], v[18:19]
	v_add_f64 v[4:5], v[4:5], v[12:13]
	v_add_f64 v[2:3], v[2:3], v[16:17]
	s_andn2_b64 exec, exec, s[6:7]
	s_cbranch_execnz .LBB115_161
; %bb.162:
	s_or_b64 exec, exec, s[6:7]
	v_mov_b32_e32 v0, 0
	ds_read_b128 v[8:11], v0 offset:592
	s_waitcnt lgkmcnt(0)
	v_mul_f64 v[12:13], v[2:3], v[10:11]
	v_mul_f64 v[10:11], v[4:5], v[10:11]
	v_fma_f64 v[4:5], v[4:5], v[8:9], -v[12:13]
	v_fmac_f64_e32 v[10:11], v[2:3], v[8:9]
	buffer_store_dword v5, off, s[0:3], 0 offset:612
	buffer_store_dword v4, off, s[0:3], 0 offset:608
	buffer_store_dword v11, off, s[0:3], 0 offset:620
	buffer_store_dword v10, off, s[0:3], 0 offset:616
.LBB115_163:
	s_or_b64 exec, exec, s[4:5]
	v_accvgpr_read_b32 v0, a117
	s_waitcnt lgkmcnt(0)
	; wave barrier
	buffer_load_dword v2, v0, s[0:3], 0 offen
	buffer_load_dword v3, v0, s[0:3], 0 offen offset:4
	buffer_load_dword v4, v0, s[0:3], 0 offen offset:8
	buffer_load_dword v5, v0, s[0:3], 0 offen offset:12
	v_cmp_gt_u32_e32 vcc, 38, v255
	s_waitcnt vmcnt(0)
	ds_write_b128 v6, v[2:5]
	s_waitcnt lgkmcnt(0)
	; wave barrier
	s_waitcnt lgkmcnt(0)
	s_and_saveexec_b64 s[4:5], vcc
	s_cbranch_execz .LBB115_167
; %bb.164:
	v_pk_mov_b32 v[2:3], 0, 0
	v_add_u32_e32 v8, -1, v255
	v_add_u32_e32 v9, 0x340, v1
	v_add_u32_e32 v10, 16, v1
	s_mov_b64 s[6:7], 0
	v_pk_mov_b32 v[4:5], v[2:3], v[2:3] op_sel:[0,1]
.LBB115_165:                            ; =>This Inner Loop Header: Depth=1
	buffer_load_dword v16, v10, s[0:3], 0 offen offset:8
	buffer_load_dword v17, v10, s[0:3], 0 offen offset:12
	buffer_load_dword v18, v10, s[0:3], 0 offen
	buffer_load_dword v19, v10, s[0:3], 0 offen offset:4
	ds_read_b128 v[12:15], v9
	v_add_u32_e32 v8, 1, v8
	v_cmp_lt_u32_e32 vcc, 36, v8
	v_add_u32_e32 v9, 16, v9
	v_add_u32_e32 v10, 16, v10
	s_or_b64 s[6:7], vcc, s[6:7]
	s_waitcnt vmcnt(2) lgkmcnt(0)
	v_mul_f64 v[20:21], v[14:15], v[16:17]
	v_mul_f64 v[16:17], v[12:13], v[16:17]
	s_waitcnt vmcnt(0)
	v_fma_f64 v[12:13], v[12:13], v[18:19], -v[20:21]
	v_fmac_f64_e32 v[16:17], v[14:15], v[18:19]
	v_add_f64 v[4:5], v[4:5], v[12:13]
	v_add_f64 v[2:3], v[2:3], v[16:17]
	s_andn2_b64 exec, exec, s[6:7]
	s_cbranch_execnz .LBB115_165
; %bb.166:
	s_or_b64 exec, exec, s[6:7]
	v_mov_b32_e32 v0, 0
	ds_read_b128 v[8:11], v0 offset:608
	s_waitcnt lgkmcnt(0)
	v_mul_f64 v[12:13], v[2:3], v[10:11]
	v_mul_f64 v[10:11], v[4:5], v[10:11]
	v_fma_f64 v[4:5], v[4:5], v[8:9], -v[12:13]
	v_fmac_f64_e32 v[10:11], v[2:3], v[8:9]
	buffer_store_dword v5, off, s[0:3], 0 offset:628
	buffer_store_dword v4, off, s[0:3], 0 offset:624
	buffer_store_dword v11, off, s[0:3], 0 offset:636
	buffer_store_dword v10, off, s[0:3], 0 offset:632
.LBB115_167:
	s_or_b64 exec, exec, s[4:5]
	v_accvgpr_read_b32 v0, a116
	s_waitcnt lgkmcnt(0)
	; wave barrier
	buffer_load_dword v2, v0, s[0:3], 0 offen
	buffer_load_dword v3, v0, s[0:3], 0 offen offset:4
	buffer_load_dword v4, v0, s[0:3], 0 offen offset:8
	buffer_load_dword v5, v0, s[0:3], 0 offen offset:12
	v_cmp_gt_u32_e32 vcc, 39, v255
	s_waitcnt vmcnt(0)
	ds_write_b128 v6, v[2:5]
	s_waitcnt lgkmcnt(0)
	; wave barrier
	s_waitcnt lgkmcnt(0)
	s_and_saveexec_b64 s[4:5], vcc
	s_cbranch_execz .LBB115_171
; %bb.168:
	v_pk_mov_b32 v[2:3], 0, 0
	v_add_u32_e32 v8, -1, v255
	v_add_u32_e32 v9, 0x340, v1
	v_add_u32_e32 v10, 16, v1
	s_mov_b64 s[6:7], 0
	v_pk_mov_b32 v[4:5], v[2:3], v[2:3] op_sel:[0,1]
.LBB115_169:                            ; =>This Inner Loop Header: Depth=1
	buffer_load_dword v16, v10, s[0:3], 0 offen offset:8
	buffer_load_dword v17, v10, s[0:3], 0 offen offset:12
	buffer_load_dword v18, v10, s[0:3], 0 offen
	buffer_load_dword v19, v10, s[0:3], 0 offen offset:4
	ds_read_b128 v[12:15], v9
	v_add_u32_e32 v8, 1, v8
	v_cmp_lt_u32_e32 vcc, 37, v8
	v_add_u32_e32 v9, 16, v9
	v_add_u32_e32 v10, 16, v10
	s_or_b64 s[6:7], vcc, s[6:7]
	s_waitcnt vmcnt(2) lgkmcnt(0)
	v_mul_f64 v[20:21], v[14:15], v[16:17]
	v_mul_f64 v[16:17], v[12:13], v[16:17]
	s_waitcnt vmcnt(0)
	v_fma_f64 v[12:13], v[12:13], v[18:19], -v[20:21]
	v_fmac_f64_e32 v[16:17], v[14:15], v[18:19]
	v_add_f64 v[4:5], v[4:5], v[12:13]
	v_add_f64 v[2:3], v[2:3], v[16:17]
	s_andn2_b64 exec, exec, s[6:7]
	s_cbranch_execnz .LBB115_169
; %bb.170:
	s_or_b64 exec, exec, s[6:7]
	v_mov_b32_e32 v0, 0
	ds_read_b128 v[8:11], v0 offset:624
	s_waitcnt lgkmcnt(0)
	v_mul_f64 v[12:13], v[2:3], v[10:11]
	v_mul_f64 v[10:11], v[4:5], v[10:11]
	v_fma_f64 v[4:5], v[4:5], v[8:9], -v[12:13]
	v_fmac_f64_e32 v[10:11], v[2:3], v[8:9]
	buffer_store_dword v5, off, s[0:3], 0 offset:644
	buffer_store_dword v4, off, s[0:3], 0 offset:640
	buffer_store_dword v11, off, s[0:3], 0 offset:652
	buffer_store_dword v10, off, s[0:3], 0 offset:648
.LBB115_171:
	s_or_b64 exec, exec, s[4:5]
	v_accvgpr_read_b32 v0, a115
	s_waitcnt lgkmcnt(0)
	; wave barrier
	buffer_load_dword v2, v0, s[0:3], 0 offen
	buffer_load_dword v3, v0, s[0:3], 0 offen offset:4
	buffer_load_dword v4, v0, s[0:3], 0 offen offset:8
	buffer_load_dword v5, v0, s[0:3], 0 offen offset:12
	v_cmp_gt_u32_e32 vcc, 40, v255
	s_waitcnt vmcnt(0)
	ds_write_b128 v6, v[2:5]
	s_waitcnt lgkmcnt(0)
	; wave barrier
	s_waitcnt lgkmcnt(0)
	s_and_saveexec_b64 s[4:5], vcc
	s_cbranch_execz .LBB115_175
; %bb.172:
	v_pk_mov_b32 v[2:3], 0, 0
	v_add_u32_e32 v8, -1, v255
	v_add_u32_e32 v9, 0x340, v1
	v_add_u32_e32 v10, 16, v1
	s_mov_b64 s[6:7], 0
	v_pk_mov_b32 v[4:5], v[2:3], v[2:3] op_sel:[0,1]
.LBB115_173:                            ; =>This Inner Loop Header: Depth=1
	buffer_load_dword v16, v10, s[0:3], 0 offen offset:8
	buffer_load_dword v17, v10, s[0:3], 0 offen offset:12
	buffer_load_dword v18, v10, s[0:3], 0 offen
	buffer_load_dword v19, v10, s[0:3], 0 offen offset:4
	ds_read_b128 v[12:15], v9
	v_add_u32_e32 v8, 1, v8
	v_cmp_lt_u32_e32 vcc, 38, v8
	v_add_u32_e32 v9, 16, v9
	v_add_u32_e32 v10, 16, v10
	s_or_b64 s[6:7], vcc, s[6:7]
	s_waitcnt vmcnt(2) lgkmcnt(0)
	v_mul_f64 v[20:21], v[14:15], v[16:17]
	v_mul_f64 v[16:17], v[12:13], v[16:17]
	s_waitcnt vmcnt(0)
	v_fma_f64 v[12:13], v[12:13], v[18:19], -v[20:21]
	v_fmac_f64_e32 v[16:17], v[14:15], v[18:19]
	v_add_f64 v[4:5], v[4:5], v[12:13]
	v_add_f64 v[2:3], v[2:3], v[16:17]
	s_andn2_b64 exec, exec, s[6:7]
	s_cbranch_execnz .LBB115_173
; %bb.174:
	s_or_b64 exec, exec, s[6:7]
	v_mov_b32_e32 v0, 0
	ds_read_b128 v[8:11], v0 offset:640
	s_waitcnt lgkmcnt(0)
	v_mul_f64 v[12:13], v[2:3], v[10:11]
	v_mul_f64 v[10:11], v[4:5], v[10:11]
	v_fma_f64 v[4:5], v[4:5], v[8:9], -v[12:13]
	v_fmac_f64_e32 v[10:11], v[2:3], v[8:9]
	buffer_store_dword v5, off, s[0:3], 0 offset:660
	buffer_store_dword v4, off, s[0:3], 0 offset:656
	buffer_store_dword v11, off, s[0:3], 0 offset:668
	buffer_store_dword v10, off, s[0:3], 0 offset:664
.LBB115_175:
	s_or_b64 exec, exec, s[4:5]
	v_accvgpr_read_b32 v0, a114
	s_waitcnt lgkmcnt(0)
	; wave barrier
	buffer_load_dword v2, v0, s[0:3], 0 offen
	buffer_load_dword v3, v0, s[0:3], 0 offen offset:4
	buffer_load_dword v4, v0, s[0:3], 0 offen offset:8
	buffer_load_dword v5, v0, s[0:3], 0 offen offset:12
	v_cmp_gt_u32_e32 vcc, 41, v255
	s_waitcnt vmcnt(0)
	ds_write_b128 v6, v[2:5]
	s_waitcnt lgkmcnt(0)
	; wave barrier
	s_waitcnt lgkmcnt(0)
	s_and_saveexec_b64 s[4:5], vcc
	s_cbranch_execz .LBB115_179
; %bb.176:
	v_pk_mov_b32 v[2:3], 0, 0
	v_add_u32_e32 v8, -1, v255
	v_add_u32_e32 v9, 0x340, v1
	v_add_u32_e32 v10, 16, v1
	s_mov_b64 s[6:7], 0
	v_pk_mov_b32 v[4:5], v[2:3], v[2:3] op_sel:[0,1]
.LBB115_177:                            ; =>This Inner Loop Header: Depth=1
	buffer_load_dword v16, v10, s[0:3], 0 offen offset:8
	buffer_load_dword v17, v10, s[0:3], 0 offen offset:12
	buffer_load_dword v18, v10, s[0:3], 0 offen
	buffer_load_dword v19, v10, s[0:3], 0 offen offset:4
	ds_read_b128 v[12:15], v9
	v_add_u32_e32 v8, 1, v8
	v_cmp_lt_u32_e32 vcc, 39, v8
	v_add_u32_e32 v9, 16, v9
	v_add_u32_e32 v10, 16, v10
	s_or_b64 s[6:7], vcc, s[6:7]
	s_waitcnt vmcnt(2) lgkmcnt(0)
	v_mul_f64 v[20:21], v[14:15], v[16:17]
	v_mul_f64 v[16:17], v[12:13], v[16:17]
	s_waitcnt vmcnt(0)
	v_fma_f64 v[12:13], v[12:13], v[18:19], -v[20:21]
	v_fmac_f64_e32 v[16:17], v[14:15], v[18:19]
	v_add_f64 v[4:5], v[4:5], v[12:13]
	v_add_f64 v[2:3], v[2:3], v[16:17]
	s_andn2_b64 exec, exec, s[6:7]
	s_cbranch_execnz .LBB115_177
; %bb.178:
	s_or_b64 exec, exec, s[6:7]
	v_mov_b32_e32 v0, 0
	ds_read_b128 v[8:11], v0 offset:656
	s_waitcnt lgkmcnt(0)
	v_mul_f64 v[12:13], v[2:3], v[10:11]
	v_mul_f64 v[10:11], v[4:5], v[10:11]
	v_fma_f64 v[4:5], v[4:5], v[8:9], -v[12:13]
	v_fmac_f64_e32 v[10:11], v[2:3], v[8:9]
	buffer_store_dword v5, off, s[0:3], 0 offset:676
	buffer_store_dword v4, off, s[0:3], 0 offset:672
	buffer_store_dword v11, off, s[0:3], 0 offset:684
	buffer_store_dword v10, off, s[0:3], 0 offset:680
.LBB115_179:
	s_or_b64 exec, exec, s[4:5]
	v_accvgpr_read_b32 v0, a113
	s_waitcnt lgkmcnt(0)
	; wave barrier
	buffer_load_dword v2, v0, s[0:3], 0 offen
	buffer_load_dword v3, v0, s[0:3], 0 offen offset:4
	buffer_load_dword v4, v0, s[0:3], 0 offen offset:8
	buffer_load_dword v5, v0, s[0:3], 0 offen offset:12
	v_cmp_gt_u32_e32 vcc, 42, v255
	s_waitcnt vmcnt(0)
	ds_write_b128 v6, v[2:5]
	s_waitcnt lgkmcnt(0)
	; wave barrier
	s_waitcnt lgkmcnt(0)
	s_and_saveexec_b64 s[4:5], vcc
	s_cbranch_execz .LBB115_183
; %bb.180:
	v_pk_mov_b32 v[2:3], 0, 0
	v_add_u32_e32 v8, -1, v255
	v_add_u32_e32 v9, 0x340, v1
	v_add_u32_e32 v10, 16, v1
	s_mov_b64 s[6:7], 0
	v_pk_mov_b32 v[4:5], v[2:3], v[2:3] op_sel:[0,1]
.LBB115_181:                            ; =>This Inner Loop Header: Depth=1
	buffer_load_dword v16, v10, s[0:3], 0 offen offset:8
	buffer_load_dword v17, v10, s[0:3], 0 offen offset:12
	buffer_load_dword v18, v10, s[0:3], 0 offen
	buffer_load_dword v19, v10, s[0:3], 0 offen offset:4
	ds_read_b128 v[12:15], v9
	v_add_u32_e32 v8, 1, v8
	v_cmp_lt_u32_e32 vcc, 40, v8
	v_add_u32_e32 v9, 16, v9
	v_add_u32_e32 v10, 16, v10
	s_or_b64 s[6:7], vcc, s[6:7]
	s_waitcnt vmcnt(2) lgkmcnt(0)
	v_mul_f64 v[20:21], v[14:15], v[16:17]
	v_mul_f64 v[16:17], v[12:13], v[16:17]
	s_waitcnt vmcnt(0)
	v_fma_f64 v[12:13], v[12:13], v[18:19], -v[20:21]
	v_fmac_f64_e32 v[16:17], v[14:15], v[18:19]
	v_add_f64 v[4:5], v[4:5], v[12:13]
	v_add_f64 v[2:3], v[2:3], v[16:17]
	s_andn2_b64 exec, exec, s[6:7]
	s_cbranch_execnz .LBB115_181
; %bb.182:
	s_or_b64 exec, exec, s[6:7]
	v_mov_b32_e32 v0, 0
	ds_read_b128 v[8:11], v0 offset:672
	s_waitcnt lgkmcnt(0)
	v_mul_f64 v[12:13], v[2:3], v[10:11]
	v_mul_f64 v[10:11], v[4:5], v[10:11]
	v_fma_f64 v[4:5], v[4:5], v[8:9], -v[12:13]
	v_fmac_f64_e32 v[10:11], v[2:3], v[8:9]
	buffer_store_dword v5, off, s[0:3], 0 offset:692
	buffer_store_dword v4, off, s[0:3], 0 offset:688
	buffer_store_dword v11, off, s[0:3], 0 offset:700
	buffer_store_dword v10, off, s[0:3], 0 offset:696
.LBB115_183:
	s_or_b64 exec, exec, s[4:5]
	v_accvgpr_read_b32 v0, a112
	s_waitcnt lgkmcnt(0)
	; wave barrier
	buffer_load_dword v2, v0, s[0:3], 0 offen
	buffer_load_dword v3, v0, s[0:3], 0 offen offset:4
	buffer_load_dword v4, v0, s[0:3], 0 offen offset:8
	buffer_load_dword v5, v0, s[0:3], 0 offen offset:12
	v_cmp_gt_u32_e32 vcc, 43, v255
	s_waitcnt vmcnt(0)
	ds_write_b128 v6, v[2:5]
	s_waitcnt lgkmcnt(0)
	; wave barrier
	s_waitcnt lgkmcnt(0)
	s_and_saveexec_b64 s[4:5], vcc
	s_cbranch_execz .LBB115_187
; %bb.184:
	v_pk_mov_b32 v[2:3], 0, 0
	v_add_u32_e32 v8, -1, v255
	v_add_u32_e32 v9, 0x340, v1
	v_add_u32_e32 v10, 16, v1
	s_mov_b64 s[6:7], 0
	v_pk_mov_b32 v[4:5], v[2:3], v[2:3] op_sel:[0,1]
.LBB115_185:                            ; =>This Inner Loop Header: Depth=1
	buffer_load_dword v16, v10, s[0:3], 0 offen offset:8
	buffer_load_dword v17, v10, s[0:3], 0 offen offset:12
	buffer_load_dword v18, v10, s[0:3], 0 offen
	buffer_load_dword v19, v10, s[0:3], 0 offen offset:4
	ds_read_b128 v[12:15], v9
	v_add_u32_e32 v8, 1, v8
	v_cmp_lt_u32_e32 vcc, 41, v8
	v_add_u32_e32 v9, 16, v9
	v_add_u32_e32 v10, 16, v10
	s_or_b64 s[6:7], vcc, s[6:7]
	s_waitcnt vmcnt(2) lgkmcnt(0)
	v_mul_f64 v[20:21], v[14:15], v[16:17]
	v_mul_f64 v[16:17], v[12:13], v[16:17]
	s_waitcnt vmcnt(0)
	v_fma_f64 v[12:13], v[12:13], v[18:19], -v[20:21]
	v_fmac_f64_e32 v[16:17], v[14:15], v[18:19]
	v_add_f64 v[4:5], v[4:5], v[12:13]
	v_add_f64 v[2:3], v[2:3], v[16:17]
	s_andn2_b64 exec, exec, s[6:7]
	s_cbranch_execnz .LBB115_185
; %bb.186:
	s_or_b64 exec, exec, s[6:7]
	v_mov_b32_e32 v0, 0
	ds_read_b128 v[8:11], v0 offset:688
	s_waitcnt lgkmcnt(0)
	v_mul_f64 v[12:13], v[2:3], v[10:11]
	v_mul_f64 v[10:11], v[4:5], v[10:11]
	v_fma_f64 v[4:5], v[4:5], v[8:9], -v[12:13]
	v_fmac_f64_e32 v[10:11], v[2:3], v[8:9]
	buffer_store_dword v5, off, s[0:3], 0 offset:708
	buffer_store_dword v4, off, s[0:3], 0 offset:704
	buffer_store_dword v11, off, s[0:3], 0 offset:716
	buffer_store_dword v10, off, s[0:3], 0 offset:712
.LBB115_187:
	s_or_b64 exec, exec, s[4:5]
	v_accvgpr_read_b32 v0, a111
	s_waitcnt lgkmcnt(0)
	; wave barrier
	buffer_load_dword v2, v0, s[0:3], 0 offen
	buffer_load_dword v3, v0, s[0:3], 0 offen offset:4
	buffer_load_dword v4, v0, s[0:3], 0 offen offset:8
	buffer_load_dword v5, v0, s[0:3], 0 offen offset:12
	v_cmp_gt_u32_e32 vcc, 44, v255
	s_waitcnt vmcnt(0)
	ds_write_b128 v6, v[2:5]
	s_waitcnt lgkmcnt(0)
	; wave barrier
	s_waitcnt lgkmcnt(0)
	s_and_saveexec_b64 s[4:5], vcc
	s_cbranch_execz .LBB115_191
; %bb.188:
	v_pk_mov_b32 v[2:3], 0, 0
	v_add_u32_e32 v8, -1, v255
	v_add_u32_e32 v9, 0x340, v1
	v_add_u32_e32 v10, 16, v1
	s_mov_b64 s[6:7], 0
	v_pk_mov_b32 v[4:5], v[2:3], v[2:3] op_sel:[0,1]
.LBB115_189:                            ; =>This Inner Loop Header: Depth=1
	buffer_load_dword v16, v10, s[0:3], 0 offen offset:8
	buffer_load_dword v17, v10, s[0:3], 0 offen offset:12
	buffer_load_dword v18, v10, s[0:3], 0 offen
	buffer_load_dword v19, v10, s[0:3], 0 offen offset:4
	ds_read_b128 v[12:15], v9
	v_add_u32_e32 v8, 1, v8
	v_cmp_lt_u32_e32 vcc, 42, v8
	v_add_u32_e32 v9, 16, v9
	v_add_u32_e32 v10, 16, v10
	s_or_b64 s[6:7], vcc, s[6:7]
	s_waitcnt vmcnt(2) lgkmcnt(0)
	v_mul_f64 v[20:21], v[14:15], v[16:17]
	v_mul_f64 v[16:17], v[12:13], v[16:17]
	s_waitcnt vmcnt(0)
	v_fma_f64 v[12:13], v[12:13], v[18:19], -v[20:21]
	v_fmac_f64_e32 v[16:17], v[14:15], v[18:19]
	v_add_f64 v[4:5], v[4:5], v[12:13]
	v_add_f64 v[2:3], v[2:3], v[16:17]
	s_andn2_b64 exec, exec, s[6:7]
	s_cbranch_execnz .LBB115_189
; %bb.190:
	s_or_b64 exec, exec, s[6:7]
	v_mov_b32_e32 v0, 0
	ds_read_b128 v[8:11], v0 offset:704
	s_waitcnt lgkmcnt(0)
	v_mul_f64 v[12:13], v[2:3], v[10:11]
	v_mul_f64 v[10:11], v[4:5], v[10:11]
	v_fma_f64 v[4:5], v[4:5], v[8:9], -v[12:13]
	v_fmac_f64_e32 v[10:11], v[2:3], v[8:9]
	buffer_store_dword v5, off, s[0:3], 0 offset:724
	buffer_store_dword v4, off, s[0:3], 0 offset:720
	buffer_store_dword v11, off, s[0:3], 0 offset:732
	buffer_store_dword v10, off, s[0:3], 0 offset:728
.LBB115_191:
	s_or_b64 exec, exec, s[4:5]
	v_accvgpr_read_b32 v0, a110
	s_waitcnt lgkmcnt(0)
	; wave barrier
	buffer_load_dword v2, v0, s[0:3], 0 offen
	buffer_load_dword v3, v0, s[0:3], 0 offen offset:4
	buffer_load_dword v4, v0, s[0:3], 0 offen offset:8
	buffer_load_dword v5, v0, s[0:3], 0 offen offset:12
	v_cmp_gt_u32_e32 vcc, 45, v255
	s_waitcnt vmcnt(0)
	ds_write_b128 v6, v[2:5]
	s_waitcnt lgkmcnt(0)
	; wave barrier
	s_waitcnt lgkmcnt(0)
	s_and_saveexec_b64 s[4:5], vcc
	s_cbranch_execz .LBB115_195
; %bb.192:
	v_pk_mov_b32 v[2:3], 0, 0
	v_add_u32_e32 v8, -1, v255
	v_add_u32_e32 v9, 0x340, v1
	v_add_u32_e32 v10, 16, v1
	s_mov_b64 s[6:7], 0
	v_pk_mov_b32 v[4:5], v[2:3], v[2:3] op_sel:[0,1]
.LBB115_193:                            ; =>This Inner Loop Header: Depth=1
	buffer_load_dword v16, v10, s[0:3], 0 offen offset:8
	buffer_load_dword v17, v10, s[0:3], 0 offen offset:12
	buffer_load_dword v18, v10, s[0:3], 0 offen
	buffer_load_dword v19, v10, s[0:3], 0 offen offset:4
	ds_read_b128 v[12:15], v9
	v_add_u32_e32 v8, 1, v8
	v_cmp_lt_u32_e32 vcc, 43, v8
	v_add_u32_e32 v9, 16, v9
	v_add_u32_e32 v10, 16, v10
	s_or_b64 s[6:7], vcc, s[6:7]
	s_waitcnt vmcnt(2) lgkmcnt(0)
	v_mul_f64 v[20:21], v[14:15], v[16:17]
	v_mul_f64 v[16:17], v[12:13], v[16:17]
	s_waitcnt vmcnt(0)
	v_fma_f64 v[12:13], v[12:13], v[18:19], -v[20:21]
	v_fmac_f64_e32 v[16:17], v[14:15], v[18:19]
	v_add_f64 v[4:5], v[4:5], v[12:13]
	v_add_f64 v[2:3], v[2:3], v[16:17]
	s_andn2_b64 exec, exec, s[6:7]
	s_cbranch_execnz .LBB115_193
; %bb.194:
	s_or_b64 exec, exec, s[6:7]
	v_mov_b32_e32 v0, 0
	ds_read_b128 v[8:11], v0 offset:720
	s_waitcnt lgkmcnt(0)
	v_mul_f64 v[12:13], v[2:3], v[10:11]
	v_mul_f64 v[10:11], v[4:5], v[10:11]
	v_fma_f64 v[4:5], v[4:5], v[8:9], -v[12:13]
	v_fmac_f64_e32 v[10:11], v[2:3], v[8:9]
	buffer_store_dword v5, off, s[0:3], 0 offset:740
	buffer_store_dword v4, off, s[0:3], 0 offset:736
	buffer_store_dword v11, off, s[0:3], 0 offset:748
	buffer_store_dword v10, off, s[0:3], 0 offset:744
.LBB115_195:
	s_or_b64 exec, exec, s[4:5]
	v_accvgpr_read_b32 v0, a109
	s_waitcnt lgkmcnt(0)
	; wave barrier
	buffer_load_dword v2, v0, s[0:3], 0 offen
	buffer_load_dword v3, v0, s[0:3], 0 offen offset:4
	buffer_load_dword v4, v0, s[0:3], 0 offen offset:8
	buffer_load_dword v5, v0, s[0:3], 0 offen offset:12
	v_cmp_gt_u32_e32 vcc, 46, v255
	s_waitcnt vmcnt(0)
	ds_write_b128 v6, v[2:5]
	s_waitcnt lgkmcnt(0)
	; wave barrier
	s_waitcnt lgkmcnt(0)
	s_and_saveexec_b64 s[4:5], vcc
	s_cbranch_execz .LBB115_199
; %bb.196:
	v_pk_mov_b32 v[2:3], 0, 0
	v_add_u32_e32 v8, -1, v255
	v_add_u32_e32 v9, 0x340, v1
	v_add_u32_e32 v10, 16, v1
	s_mov_b64 s[6:7], 0
	v_pk_mov_b32 v[4:5], v[2:3], v[2:3] op_sel:[0,1]
.LBB115_197:                            ; =>This Inner Loop Header: Depth=1
	buffer_load_dword v16, v10, s[0:3], 0 offen offset:8
	buffer_load_dword v17, v10, s[0:3], 0 offen offset:12
	buffer_load_dword v18, v10, s[0:3], 0 offen
	buffer_load_dword v19, v10, s[0:3], 0 offen offset:4
	ds_read_b128 v[12:15], v9
	v_add_u32_e32 v8, 1, v8
	v_cmp_lt_u32_e32 vcc, 44, v8
	v_add_u32_e32 v9, 16, v9
	v_add_u32_e32 v10, 16, v10
	s_or_b64 s[6:7], vcc, s[6:7]
	s_waitcnt vmcnt(2) lgkmcnt(0)
	v_mul_f64 v[20:21], v[14:15], v[16:17]
	v_mul_f64 v[16:17], v[12:13], v[16:17]
	s_waitcnt vmcnt(0)
	v_fma_f64 v[12:13], v[12:13], v[18:19], -v[20:21]
	v_fmac_f64_e32 v[16:17], v[14:15], v[18:19]
	v_add_f64 v[4:5], v[4:5], v[12:13]
	v_add_f64 v[2:3], v[2:3], v[16:17]
	s_andn2_b64 exec, exec, s[6:7]
	s_cbranch_execnz .LBB115_197
; %bb.198:
	s_or_b64 exec, exec, s[6:7]
	v_mov_b32_e32 v0, 0
	ds_read_b128 v[8:11], v0 offset:736
	s_waitcnt lgkmcnt(0)
	v_mul_f64 v[12:13], v[2:3], v[10:11]
	v_mul_f64 v[10:11], v[4:5], v[10:11]
	v_fma_f64 v[4:5], v[4:5], v[8:9], -v[12:13]
	v_fmac_f64_e32 v[10:11], v[2:3], v[8:9]
	buffer_store_dword v5, off, s[0:3], 0 offset:756
	buffer_store_dword v4, off, s[0:3], 0 offset:752
	buffer_store_dword v11, off, s[0:3], 0 offset:764
	buffer_store_dword v10, off, s[0:3], 0 offset:760
.LBB115_199:
	s_or_b64 exec, exec, s[4:5]
	v_accvgpr_read_b32 v0, a108
	s_waitcnt lgkmcnt(0)
	; wave barrier
	buffer_load_dword v2, v0, s[0:3], 0 offen
	buffer_load_dword v3, v0, s[0:3], 0 offen offset:4
	buffer_load_dword v4, v0, s[0:3], 0 offen offset:8
	buffer_load_dword v5, v0, s[0:3], 0 offen offset:12
	v_cmp_gt_u32_e32 vcc, 47, v255
	s_waitcnt vmcnt(0)
	ds_write_b128 v6, v[2:5]
	s_waitcnt lgkmcnt(0)
	; wave barrier
	s_waitcnt lgkmcnt(0)
	s_and_saveexec_b64 s[4:5], vcc
	s_cbranch_execz .LBB115_203
; %bb.200:
	v_pk_mov_b32 v[2:3], 0, 0
	v_add_u32_e32 v8, -1, v255
	v_add_u32_e32 v9, 0x340, v1
	v_add_u32_e32 v10, 16, v1
	s_mov_b64 s[6:7], 0
	v_pk_mov_b32 v[4:5], v[2:3], v[2:3] op_sel:[0,1]
.LBB115_201:                            ; =>This Inner Loop Header: Depth=1
	buffer_load_dword v16, v10, s[0:3], 0 offen offset:8
	buffer_load_dword v17, v10, s[0:3], 0 offen offset:12
	buffer_load_dword v18, v10, s[0:3], 0 offen
	buffer_load_dword v19, v10, s[0:3], 0 offen offset:4
	ds_read_b128 v[12:15], v9
	v_add_u32_e32 v8, 1, v8
	v_cmp_lt_u32_e32 vcc, 45, v8
	v_add_u32_e32 v9, 16, v9
	v_add_u32_e32 v10, 16, v10
	s_or_b64 s[6:7], vcc, s[6:7]
	s_waitcnt vmcnt(2) lgkmcnt(0)
	v_mul_f64 v[20:21], v[14:15], v[16:17]
	v_mul_f64 v[16:17], v[12:13], v[16:17]
	s_waitcnt vmcnt(0)
	v_fma_f64 v[12:13], v[12:13], v[18:19], -v[20:21]
	v_fmac_f64_e32 v[16:17], v[14:15], v[18:19]
	v_add_f64 v[4:5], v[4:5], v[12:13]
	v_add_f64 v[2:3], v[2:3], v[16:17]
	s_andn2_b64 exec, exec, s[6:7]
	s_cbranch_execnz .LBB115_201
; %bb.202:
	s_or_b64 exec, exec, s[6:7]
	v_mov_b32_e32 v0, 0
	ds_read_b128 v[8:11], v0 offset:752
	s_waitcnt lgkmcnt(0)
	v_mul_f64 v[12:13], v[2:3], v[10:11]
	v_mul_f64 v[10:11], v[4:5], v[10:11]
	v_fma_f64 v[4:5], v[4:5], v[8:9], -v[12:13]
	v_fmac_f64_e32 v[10:11], v[2:3], v[8:9]
	buffer_store_dword v5, off, s[0:3], 0 offset:772
	buffer_store_dword v4, off, s[0:3], 0 offset:768
	buffer_store_dword v11, off, s[0:3], 0 offset:780
	buffer_store_dword v10, off, s[0:3], 0 offset:776
.LBB115_203:
	s_or_b64 exec, exec, s[4:5]
	v_accvgpr_read_b32 v0, a107
	s_waitcnt lgkmcnt(0)
	; wave barrier
	buffer_load_dword v2, v0, s[0:3], 0 offen
	buffer_load_dword v3, v0, s[0:3], 0 offen offset:4
	buffer_load_dword v4, v0, s[0:3], 0 offen offset:8
	buffer_load_dword v5, v0, s[0:3], 0 offen offset:12
	v_cmp_gt_u32_e32 vcc, 48, v255
	s_waitcnt vmcnt(0)
	ds_write_b128 v6, v[2:5]
	s_waitcnt lgkmcnt(0)
	; wave barrier
	s_waitcnt lgkmcnt(0)
	s_and_saveexec_b64 s[4:5], vcc
	s_cbranch_execz .LBB115_207
; %bb.204:
	v_pk_mov_b32 v[2:3], 0, 0
	v_add_u32_e32 v8, -1, v255
	v_add_u32_e32 v9, 0x340, v1
	v_add_u32_e32 v10, 16, v1
	s_mov_b64 s[6:7], 0
	v_pk_mov_b32 v[4:5], v[2:3], v[2:3] op_sel:[0,1]
.LBB115_205:                            ; =>This Inner Loop Header: Depth=1
	buffer_load_dword v16, v10, s[0:3], 0 offen offset:8
	buffer_load_dword v17, v10, s[0:3], 0 offen offset:12
	buffer_load_dword v18, v10, s[0:3], 0 offen
	buffer_load_dword v19, v10, s[0:3], 0 offen offset:4
	ds_read_b128 v[12:15], v9
	v_add_u32_e32 v8, 1, v8
	v_cmp_lt_u32_e32 vcc, 46, v8
	v_add_u32_e32 v9, 16, v9
	v_add_u32_e32 v10, 16, v10
	s_or_b64 s[6:7], vcc, s[6:7]
	s_waitcnt vmcnt(2) lgkmcnt(0)
	v_mul_f64 v[20:21], v[14:15], v[16:17]
	v_mul_f64 v[16:17], v[12:13], v[16:17]
	s_waitcnt vmcnt(0)
	v_fma_f64 v[12:13], v[12:13], v[18:19], -v[20:21]
	v_fmac_f64_e32 v[16:17], v[14:15], v[18:19]
	v_add_f64 v[4:5], v[4:5], v[12:13]
	v_add_f64 v[2:3], v[2:3], v[16:17]
	s_andn2_b64 exec, exec, s[6:7]
	s_cbranch_execnz .LBB115_205
; %bb.206:
	s_or_b64 exec, exec, s[6:7]
	v_mov_b32_e32 v0, 0
	ds_read_b128 v[8:11], v0 offset:768
	s_waitcnt lgkmcnt(0)
	v_mul_f64 v[12:13], v[2:3], v[10:11]
	v_mul_f64 v[10:11], v[4:5], v[10:11]
	v_fma_f64 v[4:5], v[4:5], v[8:9], -v[12:13]
	v_fmac_f64_e32 v[10:11], v[2:3], v[8:9]
	buffer_store_dword v5, off, s[0:3], 0 offset:788
	buffer_store_dword v4, off, s[0:3], 0 offset:784
	buffer_store_dword v11, off, s[0:3], 0 offset:796
	buffer_store_dword v10, off, s[0:3], 0 offset:792
.LBB115_207:
	s_or_b64 exec, exec, s[4:5]
	v_accvgpr_read_b32 v0, a106
	s_waitcnt lgkmcnt(0)
	; wave barrier
	buffer_load_dword v2, v0, s[0:3], 0 offen
	buffer_load_dword v3, v0, s[0:3], 0 offen offset:4
	buffer_load_dword v4, v0, s[0:3], 0 offen offset:8
	buffer_load_dword v5, v0, s[0:3], 0 offen offset:12
	v_cmp_gt_u32_e32 vcc, 49, v255
	s_waitcnt vmcnt(0)
	ds_write_b128 v6, v[2:5]
	s_waitcnt lgkmcnt(0)
	; wave barrier
	s_waitcnt lgkmcnt(0)
	s_and_saveexec_b64 s[4:5], vcc
	s_cbranch_execz .LBB115_211
; %bb.208:
	v_pk_mov_b32 v[2:3], 0, 0
	v_add_u32_e32 v8, -1, v255
	v_add_u32_e32 v9, 0x340, v1
	v_add_u32_e32 v10, 16, v1
	s_mov_b64 s[6:7], 0
	v_pk_mov_b32 v[4:5], v[2:3], v[2:3] op_sel:[0,1]
.LBB115_209:                            ; =>This Inner Loop Header: Depth=1
	buffer_load_dword v16, v10, s[0:3], 0 offen offset:8
	buffer_load_dword v17, v10, s[0:3], 0 offen offset:12
	buffer_load_dword v18, v10, s[0:3], 0 offen
	buffer_load_dword v19, v10, s[0:3], 0 offen offset:4
	ds_read_b128 v[12:15], v9
	v_add_u32_e32 v8, 1, v8
	v_cmp_lt_u32_e32 vcc, 47, v8
	v_add_u32_e32 v9, 16, v9
	v_add_u32_e32 v10, 16, v10
	s_or_b64 s[6:7], vcc, s[6:7]
	s_waitcnt vmcnt(2) lgkmcnt(0)
	v_mul_f64 v[20:21], v[14:15], v[16:17]
	v_mul_f64 v[16:17], v[12:13], v[16:17]
	s_waitcnt vmcnt(0)
	v_fma_f64 v[12:13], v[12:13], v[18:19], -v[20:21]
	v_fmac_f64_e32 v[16:17], v[14:15], v[18:19]
	v_add_f64 v[4:5], v[4:5], v[12:13]
	v_add_f64 v[2:3], v[2:3], v[16:17]
	s_andn2_b64 exec, exec, s[6:7]
	s_cbranch_execnz .LBB115_209
; %bb.210:
	s_or_b64 exec, exec, s[6:7]
	v_mov_b32_e32 v0, 0
	ds_read_b128 v[8:11], v0 offset:784
	s_waitcnt lgkmcnt(0)
	v_mul_f64 v[12:13], v[2:3], v[10:11]
	v_mul_f64 v[10:11], v[4:5], v[10:11]
	v_fma_f64 v[4:5], v[4:5], v[8:9], -v[12:13]
	v_fmac_f64_e32 v[10:11], v[2:3], v[8:9]
	buffer_store_dword v5, off, s[0:3], 0 offset:804
	buffer_store_dword v4, off, s[0:3], 0 offset:800
	buffer_store_dword v11, off, s[0:3], 0 offset:812
	buffer_store_dword v10, off, s[0:3], 0 offset:808
.LBB115_211:
	s_or_b64 exec, exec, s[4:5]
	v_accvgpr_read_b32 v0, a105
	s_waitcnt lgkmcnt(0)
	; wave barrier
	buffer_load_dword v2, v0, s[0:3], 0 offen
	buffer_load_dword v3, v0, s[0:3], 0 offen offset:4
	buffer_load_dword v4, v0, s[0:3], 0 offen offset:8
	buffer_load_dword v5, v0, s[0:3], 0 offen offset:12
	v_cmp_gt_u32_e32 vcc, 50, v255
	s_waitcnt vmcnt(0)
	ds_write_b128 v6, v[2:5]
	s_waitcnt lgkmcnt(0)
	; wave barrier
	s_waitcnt lgkmcnt(0)
	s_and_saveexec_b64 s[4:5], vcc
	s_cbranch_execz .LBB115_215
; %bb.212:
	v_pk_mov_b32 v[2:3], 0, 0
	v_add_u32_e32 v8, -1, v255
	v_add_u32_e32 v9, 0x340, v1
	v_add_u32_e32 v10, 16, v1
	s_mov_b64 s[6:7], 0
	v_pk_mov_b32 v[4:5], v[2:3], v[2:3] op_sel:[0,1]
.LBB115_213:                            ; =>This Inner Loop Header: Depth=1
	buffer_load_dword v16, v10, s[0:3], 0 offen offset:8
	buffer_load_dword v17, v10, s[0:3], 0 offen offset:12
	buffer_load_dword v18, v10, s[0:3], 0 offen
	buffer_load_dword v19, v10, s[0:3], 0 offen offset:4
	ds_read_b128 v[12:15], v9
	v_add_u32_e32 v8, 1, v8
	v_cmp_lt_u32_e32 vcc, 48, v8
	v_add_u32_e32 v9, 16, v9
	v_add_u32_e32 v10, 16, v10
	s_or_b64 s[6:7], vcc, s[6:7]
	s_waitcnt vmcnt(2) lgkmcnt(0)
	v_mul_f64 v[20:21], v[14:15], v[16:17]
	v_mul_f64 v[16:17], v[12:13], v[16:17]
	s_waitcnt vmcnt(0)
	v_fma_f64 v[12:13], v[12:13], v[18:19], -v[20:21]
	v_fmac_f64_e32 v[16:17], v[14:15], v[18:19]
	v_add_f64 v[4:5], v[4:5], v[12:13]
	v_add_f64 v[2:3], v[2:3], v[16:17]
	s_andn2_b64 exec, exec, s[6:7]
	s_cbranch_execnz .LBB115_213
; %bb.214:
	s_or_b64 exec, exec, s[6:7]
	v_mov_b32_e32 v0, 0
	ds_read_b128 v[8:11], v0 offset:800
	s_waitcnt lgkmcnt(0)
	v_mul_f64 v[12:13], v[2:3], v[10:11]
	v_mul_f64 v[10:11], v[4:5], v[10:11]
	v_fma_f64 v[4:5], v[4:5], v[8:9], -v[12:13]
	v_fmac_f64_e32 v[10:11], v[2:3], v[8:9]
	buffer_store_dword v5, off, s[0:3], 0 offset:820
	buffer_store_dword v4, off, s[0:3], 0 offset:816
	;; [unrolled: 1-line block ×4, first 2 shown]
.LBB115_215:
	s_or_b64 exec, exec, s[4:5]
	v_accvgpr_read_b32 v0, a104
	s_waitcnt lgkmcnt(0)
	; wave barrier
	buffer_load_dword v2, v0, s[0:3], 0 offen
	buffer_load_dword v3, v0, s[0:3], 0 offen offset:4
	buffer_load_dword v4, v0, s[0:3], 0 offen offset:8
	;; [unrolled: 1-line block ×3, first 2 shown]
	v_cmp_ne_u32_e32 vcc, 51, v255
	s_waitcnt vmcnt(0)
	ds_write_b128 v6, v[2:5]
	s_waitcnt lgkmcnt(0)
	; wave barrier
	s_waitcnt lgkmcnt(0)
	s_and_saveexec_b64 s[4:5], vcc
	s_cbranch_execz .LBB115_219
; %bb.216:
	v_pk_mov_b32 v[2:3], 0, 0
	v_add_u32_e32 v6, 0x340, v1
	v_add_u32_e32 v1, 16, v1
	s_mov_b64 s[6:7], 0
	v_pk_mov_b32 v[4:5], v[2:3], v[2:3] op_sel:[0,1]
.LBB115_217:                            ; =>This Inner Loop Header: Depth=1
	buffer_load_dword v12, v1, s[0:3], 0 offen offset:8
	buffer_load_dword v13, v1, s[0:3], 0 offen offset:12
	buffer_load_dword v14, v1, s[0:3], 0 offen
	buffer_load_dword v15, v1, s[0:3], 0 offen offset:4
	ds_read_b128 v[8:11], v6
	v_add_u32_e32 v7, 1, v7
	v_cmp_lt_u32_e32 vcc, 49, v7
	v_add_u32_e32 v6, 16, v6
	v_add_u32_e32 v1, 16, v1
	s_or_b64 s[6:7], vcc, s[6:7]
	s_waitcnt vmcnt(2) lgkmcnt(0)
	v_mul_f64 v[16:17], v[10:11], v[12:13]
	v_mul_f64 v[12:13], v[8:9], v[12:13]
	s_waitcnt vmcnt(0)
	v_fma_f64 v[8:9], v[8:9], v[14:15], -v[16:17]
	v_fmac_f64_e32 v[12:13], v[10:11], v[14:15]
	v_add_f64 v[4:5], v[4:5], v[8:9]
	v_add_f64 v[2:3], v[2:3], v[12:13]
	s_andn2_b64 exec, exec, s[6:7]
	s_cbranch_execnz .LBB115_217
; %bb.218:
	s_or_b64 exec, exec, s[6:7]
	v_mov_b32_e32 v0, 0
	ds_read_b128 v[6:9], v0 offset:816
	s_waitcnt lgkmcnt(0)
	v_mul_f64 v[0:1], v[2:3], v[8:9]
	v_mul_f64 v[8:9], v[4:5], v[8:9]
	v_fma_f64 v[0:1], v[4:5], v[6:7], -v[0:1]
	v_fmac_f64_e32 v[8:9], v[2:3], v[6:7]
	buffer_store_dword v1, off, s[0:3], 0 offset:836
	buffer_store_dword v0, off, s[0:3], 0 offset:832
	;; [unrolled: 1-line block ×4, first 2 shown]
.LBB115_219:
	s_or_b64 exec, exec, s[4:5]
	s_mov_b64 s[6:7], -1
	s_waitcnt lgkmcnt(0)
	; wave barrier
.LBB115_220:
	s_and_b64 vcc, exec, s[6:7]
	s_cbranch_vccz .LBB115_222
; %bb.221:
	s_lshl_b64 s[4:5], s[8:9], 2
	s_add_u32 s4, s14, s4
	s_addc_u32 s5, s15, s5
	v_mov_b32_e32 v0, 0
	global_load_dword v0, v0, s[4:5]
	s_waitcnt vmcnt(0)
	v_cmp_ne_u32_e32 vcc, 0, v0
	s_cbranch_vccz .LBB115_223
.LBB115_222:
	s_endpgm
.LBB115_223:
	v_mov_b32_e32 v0, 0x340
	v_lshl_add_u32 v0, v255, 4, v0
	v_accvgpr_write_b32 a156, v0
	v_cmp_eq_u32_e32 vcc, 51, v255
	s_and_saveexec_b64 s[4:5], vcc
	s_cbranch_execz .LBB115_225
; %bb.224:
	v_accvgpr_read_b32 v0, a105
	buffer_load_dword v2, v0, s[0:3], 0 offen
	buffer_load_dword v3, v0, s[0:3], 0 offen offset:4
	buffer_load_dword v4, v0, s[0:3], 0 offen offset:8
	;; [unrolled: 1-line block ×3, first 2 shown]
	v_mov_b32_e32 v0, 0
	v_accvgpr_read_b32 v1, a156
	buffer_store_dword v0, off, s[0:3], 0 offset:816
	buffer_store_dword v0, off, s[0:3], 0 offset:820
	;; [unrolled: 1-line block ×4, first 2 shown]
	s_waitcnt vmcnt(4)
	ds_write_b128 v1, v[2:5]
.LBB115_225:
	s_or_b64 exec, exec, s[4:5]
	s_waitcnt lgkmcnt(0)
	; wave barrier
	s_waitcnt lgkmcnt(0)
	buffer_load_dword v0, off, s[0:3], 0 offset:840
	buffer_load_dword v1, off, s[0:3], 0 offset:844
	;; [unrolled: 1-line block ×8, first 2 shown]
	v_mov_b32_e32 v2, 0
	ds_read_b128 v[4:7], v2 offset:1648
	v_cmp_lt_u32_e32 vcc, 49, v255
	s_waitcnt vmcnt(6) lgkmcnt(0)
	v_mul_f64 v[14:15], v[4:5], v[0:1]
	v_mul_f64 v[0:1], v[6:7], v[0:1]
	s_waitcnt vmcnt(4)
	v_fma_f64 v[0:1], v[4:5], v[8:9], -v[0:1]
	v_fmac_f64_e32 v[14:15], v[6:7], v[8:9]
	v_add_f64 v[0:1], v[0:1], 0
	v_add_f64 v[4:5], v[14:15], 0
	s_waitcnt vmcnt(2)
	v_add_f64 v[0:1], v[10:11], -v[0:1]
	s_waitcnt vmcnt(0)
	v_add_f64 v[4:5], v[12:13], -v[4:5]
	buffer_store_dword v0, off, s[0:3], 0 offset:816
	buffer_store_dword v1, off, s[0:3], 0 offset:820
	;; [unrolled: 1-line block ×4, first 2 shown]
	s_and_saveexec_b64 s[4:5], vcc
	s_cbranch_execz .LBB115_227
; %bb.226:
	v_accvgpr_read_b32 v0, a106
	buffer_load_dword v4, v0, s[0:3], 0 offen
	buffer_load_dword v5, v0, s[0:3], 0 offen offset:4
	buffer_load_dword v6, v0, s[0:3], 0 offen offset:8
	;; [unrolled: 1-line block ×3, first 2 shown]
	v_accvgpr_read_b32 v0, a156
	buffer_store_dword v2, off, s[0:3], 0 offset:800
	buffer_store_dword v2, off, s[0:3], 0 offset:804
	;; [unrolled: 1-line block ×4, first 2 shown]
	s_waitcnt vmcnt(4)
	ds_write_b128 v0, v[4:7]
.LBB115_227:
	s_or_b64 exec, exec, s[4:5]
	s_waitcnt lgkmcnt(0)
	; wave barrier
	s_waitcnt lgkmcnt(0)
	buffer_load_dword v0, off, s[0:3], 0 offset:824
	buffer_load_dword v1, off, s[0:3], 0 offset:828
	;; [unrolled: 1-line block ×12, first 2 shown]
	ds_read_b128 v[4:7], v2 offset:1632
	ds_read_b128 v[8:11], v2 offset:1648
	v_cmp_lt_u32_e32 vcc, 48, v255
	s_waitcnt vmcnt(10) lgkmcnt(1)
	v_mul_f64 v[2:3], v[4:5], v[0:1]
	v_mul_f64 v[0:1], v[6:7], v[0:1]
	s_waitcnt vmcnt(8) lgkmcnt(0)
	v_mul_f64 v[22:23], v[8:9], v[12:13]
	v_mul_f64 v[12:13], v[10:11], v[12:13]
	s_waitcnt vmcnt(6)
	v_fma_f64 v[0:1], v[4:5], v[14:15], -v[0:1]
	v_fmac_f64_e32 v[2:3], v[6:7], v[14:15]
	s_waitcnt vmcnt(4)
	v_fma_f64 v[4:5], v[8:9], v[16:17], -v[12:13]
	v_add_f64 v[0:1], v[0:1], 0
	v_fmac_f64_e32 v[22:23], v[10:11], v[16:17]
	v_add_f64 v[2:3], v[2:3], 0
	v_add_f64 v[0:1], v[0:1], v[4:5]
	;; [unrolled: 1-line block ×3, first 2 shown]
	s_waitcnt vmcnt(2)
	v_add_f64 v[0:1], v[18:19], -v[0:1]
	s_waitcnt vmcnt(0)
	v_add_f64 v[2:3], v[20:21], -v[2:3]
	buffer_store_dword v0, off, s[0:3], 0 offset:800
	buffer_store_dword v1, off, s[0:3], 0 offset:804
	;; [unrolled: 1-line block ×4, first 2 shown]
	s_and_saveexec_b64 s[4:5], vcc
	s_cbranch_execz .LBB115_229
; %bb.228:
	v_accvgpr_read_b32 v0, a107
	buffer_load_dword v2, v0, s[0:3], 0 offen
	buffer_load_dword v3, v0, s[0:3], 0 offen offset:4
	buffer_load_dword v4, v0, s[0:3], 0 offen offset:8
	;; [unrolled: 1-line block ×3, first 2 shown]
	v_mov_b32_e32 v0, 0
	v_accvgpr_read_b32 v1, a156
	buffer_store_dword v0, off, s[0:3], 0 offset:784
	buffer_store_dword v0, off, s[0:3], 0 offset:788
	;; [unrolled: 1-line block ×4, first 2 shown]
	s_waitcnt vmcnt(4)
	ds_write_b128 v1, v[2:5]
.LBB115_229:
	s_or_b64 exec, exec, s[4:5]
	s_waitcnt lgkmcnt(0)
	; wave barrier
	s_waitcnt lgkmcnt(0)
	buffer_load_dword v0, off, s[0:3], 0 offset:808
	buffer_load_dword v1, off, s[0:3], 0 offset:812
	;; [unrolled: 1-line block ×16, first 2 shown]
	v_mov_b32_e32 v2, 0
	ds_read_b128 v[4:7], v2 offset:1616
	ds_read_b128 v[8:11], v2 offset:1632
	;; [unrolled: 1-line block ×3, first 2 shown]
	v_cmp_lt_u32_e32 vcc, 47, v255
	s_waitcnt vmcnt(14) lgkmcnt(2)
	v_mul_f64 v[30:31], v[4:5], v[0:1]
	v_mul_f64 v[0:1], v[6:7], v[0:1]
	s_waitcnt vmcnt(12) lgkmcnt(1)
	v_mul_f64 v[32:33], v[8:9], v[16:17]
	v_mul_f64 v[16:17], v[10:11], v[16:17]
	s_waitcnt vmcnt(10) lgkmcnt(0)
	v_mul_f64 v[34:35], v[12:13], v[18:19]
	v_mul_f64 v[18:19], v[14:15], v[18:19]
	s_waitcnt vmcnt(8)
	v_fma_f64 v[0:1], v[4:5], v[20:21], -v[0:1]
	v_fmac_f64_e32 v[30:31], v[6:7], v[20:21]
	s_waitcnt vmcnt(6)
	v_fma_f64 v[4:5], v[8:9], v[22:23], -v[16:17]
	v_add_f64 v[0:1], v[0:1], 0
	v_fmac_f64_e32 v[32:33], v[10:11], v[22:23]
	s_waitcnt vmcnt(4)
	v_fma_f64 v[6:7], v[12:13], v[24:25], -v[18:19]
	v_add_f64 v[8:9], v[30:31], 0
	v_add_f64 v[0:1], v[0:1], v[4:5]
	v_fmac_f64_e32 v[34:35], v[14:15], v[24:25]
	v_add_f64 v[8:9], v[8:9], v[32:33]
	v_add_f64 v[0:1], v[0:1], v[6:7]
	;; [unrolled: 1-line block ×3, first 2 shown]
	s_waitcnt vmcnt(2)
	v_add_f64 v[0:1], v[26:27], -v[0:1]
	s_waitcnt vmcnt(0)
	v_add_f64 v[4:5], v[28:29], -v[4:5]
	buffer_store_dword v0, off, s[0:3], 0 offset:784
	buffer_store_dword v1, off, s[0:3], 0 offset:788
	;; [unrolled: 1-line block ×4, first 2 shown]
	s_and_saveexec_b64 s[4:5], vcc
	s_cbranch_execz .LBB115_231
; %bb.230:
	v_accvgpr_read_b32 v0, a108
	buffer_load_dword v4, v0, s[0:3], 0 offen
	buffer_load_dword v5, v0, s[0:3], 0 offen offset:4
	buffer_load_dword v6, v0, s[0:3], 0 offen offset:8
	;; [unrolled: 1-line block ×3, first 2 shown]
	v_accvgpr_read_b32 v0, a156
	buffer_store_dword v2, off, s[0:3], 0 offset:768
	buffer_store_dword v2, off, s[0:3], 0 offset:772
	;; [unrolled: 1-line block ×4, first 2 shown]
	s_waitcnt vmcnt(4)
	ds_write_b128 v0, v[4:7]
.LBB115_231:
	s_or_b64 exec, exec, s[4:5]
	s_waitcnt lgkmcnt(0)
	; wave barrier
	s_waitcnt lgkmcnt(0)
	buffer_load_dword v0, off, s[0:3], 0 offset:792
	buffer_load_dword v1, off, s[0:3], 0 offset:796
	;; [unrolled: 1-line block ×20, first 2 shown]
	ds_read_b128 v[4:7], v2 offset:1600
	ds_read_b128 v[8:11], v2 offset:1616
	;; [unrolled: 1-line block ×4, first 2 shown]
	v_cmp_lt_u32_e32 vcc, 46, v255
	s_waitcnt vmcnt(18) lgkmcnt(3)
	v_mul_f64 v[2:3], v[4:5], v[0:1]
	v_mul_f64 v[0:1], v[6:7], v[0:1]
	s_waitcnt vmcnt(16) lgkmcnt(2)
	v_mul_f64 v[38:39], v[8:9], v[20:21]
	v_mul_f64 v[20:21], v[10:11], v[20:21]
	;; [unrolled: 3-line block ×4, first 2 shown]
	s_waitcnt vmcnt(10)
	v_fma_f64 v[0:1], v[4:5], v[26:27], -v[0:1]
	v_fmac_f64_e32 v[2:3], v[6:7], v[26:27]
	s_waitcnt vmcnt(8)
	v_fma_f64 v[4:5], v[8:9], v[28:29], -v[20:21]
	v_add_f64 v[0:1], v[0:1], 0
	v_fmac_f64_e32 v[38:39], v[10:11], v[28:29]
	s_waitcnt vmcnt(6)
	v_fma_f64 v[6:7], v[12:13], v[30:31], -v[22:23]
	v_add_f64 v[2:3], v[2:3], 0
	v_add_f64 v[0:1], v[0:1], v[4:5]
	v_fmac_f64_e32 v[40:41], v[14:15], v[30:31]
	s_waitcnt vmcnt(4)
	v_fma_f64 v[8:9], v[16:17], v[32:33], -v[24:25]
	v_add_f64 v[2:3], v[2:3], v[38:39]
	v_add_f64 v[0:1], v[0:1], v[6:7]
	v_fmac_f64_e32 v[42:43], v[18:19], v[32:33]
	v_add_f64 v[2:3], v[2:3], v[40:41]
	v_add_f64 v[0:1], v[0:1], v[8:9]
	;; [unrolled: 1-line block ×3, first 2 shown]
	s_waitcnt vmcnt(2)
	v_add_f64 v[0:1], v[34:35], -v[0:1]
	s_waitcnt vmcnt(0)
	v_add_f64 v[2:3], v[36:37], -v[2:3]
	buffer_store_dword v0, off, s[0:3], 0 offset:768
	buffer_store_dword v1, off, s[0:3], 0 offset:772
	buffer_store_dword v2, off, s[0:3], 0 offset:776
	buffer_store_dword v3, off, s[0:3], 0 offset:780
	s_and_saveexec_b64 s[4:5], vcc
	s_cbranch_execz .LBB115_233
; %bb.232:
	v_accvgpr_read_b32 v0, a109
	buffer_load_dword v2, v0, s[0:3], 0 offen
	buffer_load_dword v3, v0, s[0:3], 0 offen offset:4
	buffer_load_dword v4, v0, s[0:3], 0 offen offset:8
	buffer_load_dword v5, v0, s[0:3], 0 offen offset:12
	v_mov_b32_e32 v0, 0
	v_accvgpr_read_b32 v1, a156
	buffer_store_dword v0, off, s[0:3], 0 offset:752
	buffer_store_dword v0, off, s[0:3], 0 offset:756
	;; [unrolled: 1-line block ×4, first 2 shown]
	s_waitcnt vmcnt(4)
	ds_write_b128 v1, v[2:5]
.LBB115_233:
	s_or_b64 exec, exec, s[4:5]
	s_waitcnt lgkmcnt(0)
	; wave barrier
	s_waitcnt lgkmcnt(0)
	buffer_load_dword v0, off, s[0:3], 0 offset:776
	buffer_load_dword v1, off, s[0:3], 0 offset:780
	;; [unrolled: 1-line block ×24, first 2 shown]
	v_mov_b32_e32 v2, 0
	ds_read_b128 v[4:7], v2 offset:1584
	ds_read_b128 v[8:11], v2 offset:1600
	;; [unrolled: 1-line block ×5, first 2 shown]
	v_cmp_lt_u32_e32 vcc, 45, v255
	s_waitcnt vmcnt(22) lgkmcnt(4)
	v_mul_f64 v[46:47], v[4:5], v[0:1]
	v_mul_f64 v[0:1], v[6:7], v[0:1]
	s_waitcnt vmcnt(20) lgkmcnt(3)
	v_mul_f64 v[48:49], v[8:9], v[24:25]
	v_mul_f64 v[24:25], v[10:11], v[24:25]
	;; [unrolled: 3-line block ×4, first 2 shown]
	s_waitcnt vmcnt(13) lgkmcnt(0)
	v_mul_f64 v[54:55], v[20:21], v[28:29]
	s_waitcnt vmcnt(11)
	v_fma_f64 v[0:1], v[4:5], v[34:35], -v[0:1]
	v_fmac_f64_e32 v[46:47], v[6:7], v[34:35]
	s_waitcnt vmcnt(9)
	v_fma_f64 v[4:5], v[8:9], v[36:37], -v[24:25]
	v_add_f64 v[0:1], v[0:1], 0
	v_fmac_f64_e32 v[48:49], v[10:11], v[36:37]
	s_waitcnt vmcnt(7)
	v_fma_f64 v[6:7], v[12:13], v[38:39], -v[26:27]
	v_add_f64 v[12:13], v[46:47], 0
	v_add_f64 v[0:1], v[0:1], v[4:5]
	v_mul_f64 v[28:29], v[22:23], v[28:29]
	v_fmac_f64_e32 v[50:51], v[14:15], v[38:39]
	s_waitcnt vmcnt(5)
	v_fma_f64 v[8:9], v[16:17], v[40:41], -v[32:33]
	v_add_f64 v[12:13], v[12:13], v[48:49]
	v_add_f64 v[0:1], v[0:1], v[6:7]
	v_fmac_f64_e32 v[52:53], v[18:19], v[40:41]
	s_waitcnt vmcnt(4)
	v_fma_f64 v[10:11], v[20:21], v[30:31], -v[28:29]
	v_add_f64 v[4:5], v[12:13], v[50:51]
	v_add_f64 v[0:1], v[0:1], v[8:9]
	v_fmac_f64_e32 v[54:55], v[22:23], v[30:31]
	v_add_f64 v[4:5], v[4:5], v[52:53]
	v_add_f64 v[0:1], v[0:1], v[10:11]
	;; [unrolled: 1-line block ×3, first 2 shown]
	s_waitcnt vmcnt(2)
	v_add_f64 v[0:1], v[42:43], -v[0:1]
	s_waitcnt vmcnt(0)
	v_add_f64 v[4:5], v[44:45], -v[4:5]
	buffer_store_dword v1, off, s[0:3], 0 offset:756
	buffer_store_dword v0, off, s[0:3], 0 offset:752
	;; [unrolled: 1-line block ×4, first 2 shown]
	s_and_saveexec_b64 s[4:5], vcc
	s_cbranch_execz .LBB115_235
; %bb.234:
	v_accvgpr_read_b32 v0, a110
	buffer_load_dword v4, v0, s[0:3], 0 offen
	buffer_load_dword v5, v0, s[0:3], 0 offen offset:4
	buffer_load_dword v6, v0, s[0:3], 0 offen offset:8
	;; [unrolled: 1-line block ×3, first 2 shown]
	v_accvgpr_read_b32 v0, a156
	buffer_store_dword v2, off, s[0:3], 0 offset:736
	buffer_store_dword v2, off, s[0:3], 0 offset:740
	;; [unrolled: 1-line block ×4, first 2 shown]
	s_waitcnt vmcnt(4)
	ds_write_b128 v0, v[4:7]
.LBB115_235:
	s_or_b64 exec, exec, s[4:5]
	s_waitcnt lgkmcnt(0)
	; wave barrier
	s_waitcnt lgkmcnt(0)
	buffer_load_dword v0, off, s[0:3], 0 offset:760
	buffer_load_dword v1, off, s[0:3], 0 offset:764
	;; [unrolled: 1-line block ×28, first 2 shown]
	ds_read_b128 v[4:7], v2 offset:1568
	ds_read_b128 v[8:11], v2 offset:1584
	;; [unrolled: 1-line block ×6, first 2 shown]
	v_cmp_lt_u32_e32 vcc, 44, v255
	s_waitcnt vmcnt(26) lgkmcnt(5)
	v_mul_f64 v[2:3], v[4:5], v[0:1]
	v_mul_f64 v[0:1], v[6:7], v[0:1]
	s_waitcnt vmcnt(24) lgkmcnt(4)
	v_mul_f64 v[54:55], v[8:9], v[28:29]
	v_mul_f64 v[28:29], v[10:11], v[28:29]
	;; [unrolled: 3-line block ×4, first 2 shown]
	s_waitcnt vmcnt(17)
	v_mul_f64 v[58:59], v[16:17], v[36:37]
	v_mul_f64 v[36:37], v[18:19], v[36:37]
	s_waitcnt vmcnt(15) lgkmcnt(0)
	v_mul_f64 v[62:63], v[24:25], v[38:39]
	v_mul_f64 v[38:39], v[26:27], v[38:39]
	s_waitcnt vmcnt(14)
	v_fmac_f64_e32 v[60:61], v[22:23], v[34:35]
	s_waitcnt vmcnt(12)
	v_fma_f64 v[0:1], v[4:5], v[40:41], -v[0:1]
	v_fmac_f64_e32 v[2:3], v[6:7], v[40:41]
	s_waitcnt vmcnt(10)
	v_fma_f64 v[4:5], v[8:9], v[42:43], -v[28:29]
	v_add_f64 v[0:1], v[0:1], 0
	v_fmac_f64_e32 v[54:55], v[10:11], v[42:43]
	s_waitcnt vmcnt(8)
	v_fma_f64 v[6:7], v[12:13], v[44:45], -v[30:31]
	v_add_f64 v[2:3], v[2:3], 0
	v_add_f64 v[0:1], v[0:1], v[4:5]
	v_fmac_f64_e32 v[56:57], v[14:15], v[44:45]
	s_waitcnt vmcnt(6)
	v_fma_f64 v[8:9], v[16:17], v[46:47], -v[36:37]
	v_add_f64 v[2:3], v[2:3], v[54:55]
	v_add_f64 v[0:1], v[0:1], v[6:7]
	v_fmac_f64_e32 v[58:59], v[18:19], v[46:47]
	v_fma_f64 v[10:11], v[20:21], v[34:35], -v[32:33]
	v_add_f64 v[2:3], v[2:3], v[56:57]
	v_add_f64 v[0:1], v[0:1], v[8:9]
	s_waitcnt vmcnt(4)
	v_fma_f64 v[12:13], v[24:25], v[48:49], -v[38:39]
	v_add_f64 v[2:3], v[2:3], v[58:59]
	v_add_f64 v[0:1], v[0:1], v[10:11]
	v_fmac_f64_e32 v[62:63], v[26:27], v[48:49]
	v_add_f64 v[2:3], v[2:3], v[60:61]
	v_add_f64 v[0:1], v[0:1], v[12:13]
	;; [unrolled: 1-line block ×3, first 2 shown]
	s_waitcnt vmcnt(2)
	v_add_f64 v[0:1], v[50:51], -v[0:1]
	s_waitcnt vmcnt(0)
	v_add_f64 v[2:3], v[52:53], -v[2:3]
	buffer_store_dword v1, off, s[0:3], 0 offset:740
	buffer_store_dword v0, off, s[0:3], 0 offset:736
	;; [unrolled: 1-line block ×4, first 2 shown]
	s_and_saveexec_b64 s[4:5], vcc
	s_cbranch_execz .LBB115_237
; %bb.236:
	v_accvgpr_read_b32 v0, a111
	buffer_load_dword v2, v0, s[0:3], 0 offen
	buffer_load_dword v3, v0, s[0:3], 0 offen offset:4
	buffer_load_dword v4, v0, s[0:3], 0 offen offset:8
	;; [unrolled: 1-line block ×3, first 2 shown]
	v_mov_b32_e32 v0, 0
	v_accvgpr_read_b32 v1, a156
	buffer_store_dword v0, off, s[0:3], 0 offset:720
	buffer_store_dword v0, off, s[0:3], 0 offset:724
	;; [unrolled: 1-line block ×4, first 2 shown]
	s_waitcnt vmcnt(4)
	ds_write_b128 v1, v[2:5]
.LBB115_237:
	s_or_b64 exec, exec, s[4:5]
	s_waitcnt lgkmcnt(0)
	; wave barrier
	s_waitcnt lgkmcnt(0)
	buffer_load_dword v0, off, s[0:3], 0 offset:744
	buffer_load_dword v1, off, s[0:3], 0 offset:748
	;; [unrolled: 1-line block ×32, first 2 shown]
	v_mov_b32_e32 v2, 0
	ds_read_b128 v[4:7], v2 offset:1552
	ds_read_b128 v[8:11], v2 offset:1568
	;; [unrolled: 1-line block ×7, first 2 shown]
	v_cmp_lt_u32_e32 vcc, 43, v255
	s_waitcnt vmcnt(30) lgkmcnt(6)
	v_mul_f64 v[62:63], v[4:5], v[0:1]
	v_mul_f64 v[0:1], v[6:7], v[0:1]
	s_waitcnt vmcnt(28) lgkmcnt(5)
	v_mul_f64 v[64:65], v[8:9], v[32:33]
	v_mul_f64 v[32:33], v[10:11], v[32:33]
	;; [unrolled: 3-line block ×4, first 2 shown]
	s_waitcnt vmcnt(21)
	v_mul_f64 v[68:69], v[16:17], v[40:41]
	v_mul_f64 v[40:41], v[18:19], v[40:41]
	s_waitcnt vmcnt(17) lgkmcnt(1)
	v_mul_f64 v[72:73], v[24:25], v[46:47]
	v_mul_f64 v[46:47], v[26:27], v[46:47]
	s_waitcnt vmcnt(16) lgkmcnt(0)
	v_mul_f64 v[74:75], v[28:29], v[42:43]
	v_mul_f64 v[42:43], v[30:31], v[42:43]
	s_waitcnt vmcnt(13)
	v_fma_f64 v[0:1], v[4:5], v[48:49], -v[0:1]
	v_fmac_f64_e32 v[62:63], v[6:7], v[48:49]
	s_waitcnt vmcnt(11)
	v_fma_f64 v[4:5], v[8:9], v[50:51], -v[32:33]
	v_add_f64 v[0:1], v[0:1], 0
	v_fmac_f64_e32 v[64:65], v[10:11], v[50:51]
	s_waitcnt vmcnt(9)
	v_fma_f64 v[6:7], v[12:13], v[52:53], -v[34:35]
	s_waitcnt vmcnt(7)
	v_fma_f64 v[8:9], v[16:17], v[54:55], -v[40:41]
	v_add_f64 v[16:17], v[62:63], 0
	v_add_f64 v[0:1], v[0:1], v[4:5]
	v_fmac_f64_e32 v[66:67], v[14:15], v[52:53]
	v_add_f64 v[16:17], v[16:17], v[64:65]
	v_add_f64 v[0:1], v[0:1], v[6:7]
	v_fmac_f64_e32 v[68:69], v[18:19], v[54:55]
	v_fma_f64 v[10:11], v[20:21], v[38:39], -v[36:37]
	v_add_f64 v[4:5], v[16:17], v[66:67]
	v_add_f64 v[0:1], v[0:1], v[8:9]
	v_fmac_f64_e32 v[70:71], v[22:23], v[38:39]
	s_waitcnt vmcnt(5)
	v_fma_f64 v[12:13], v[24:25], v[56:57], -v[46:47]
	v_add_f64 v[4:5], v[4:5], v[68:69]
	v_add_f64 v[0:1], v[0:1], v[10:11]
	v_fmac_f64_e32 v[72:73], v[26:27], v[56:57]
	s_waitcnt vmcnt(4)
	v_fma_f64 v[14:15], v[28:29], v[44:45], -v[42:43]
	v_add_f64 v[4:5], v[4:5], v[70:71]
	v_add_f64 v[0:1], v[0:1], v[12:13]
	v_fmac_f64_e32 v[74:75], v[30:31], v[44:45]
	v_add_f64 v[4:5], v[4:5], v[72:73]
	v_add_f64 v[0:1], v[0:1], v[14:15]
	;; [unrolled: 1-line block ×3, first 2 shown]
	s_waitcnt vmcnt(2)
	v_add_f64 v[0:1], v[58:59], -v[0:1]
	s_waitcnt vmcnt(0)
	v_add_f64 v[4:5], v[60:61], -v[4:5]
	buffer_store_dword v1, off, s[0:3], 0 offset:724
	buffer_store_dword v0, off, s[0:3], 0 offset:720
	;; [unrolled: 1-line block ×4, first 2 shown]
	s_and_saveexec_b64 s[4:5], vcc
	s_cbranch_execz .LBB115_239
; %bb.238:
	v_accvgpr_read_b32 v0, a112
	buffer_load_dword v4, v0, s[0:3], 0 offen
	buffer_load_dword v5, v0, s[0:3], 0 offen offset:4
	buffer_load_dword v6, v0, s[0:3], 0 offen offset:8
	buffer_load_dword v7, v0, s[0:3], 0 offen offset:12
	v_accvgpr_read_b32 v0, a156
	buffer_store_dword v2, off, s[0:3], 0 offset:704
	buffer_store_dword v2, off, s[0:3], 0 offset:708
	;; [unrolled: 1-line block ×4, first 2 shown]
	s_waitcnt vmcnt(4)
	ds_write_b128 v0, v[4:7]
.LBB115_239:
	s_or_b64 exec, exec, s[4:5]
	s_waitcnt lgkmcnt(0)
	; wave barrier
	s_waitcnt lgkmcnt(0)
	buffer_load_dword v0, off, s[0:3], 0 offset:728
	buffer_load_dword v1, off, s[0:3], 0 offset:732
	;; [unrolled: 1-line block ×36, first 2 shown]
	ds_read_b128 v[4:7], v2 offset:1536
	ds_read_b128 v[8:11], v2 offset:1552
	;; [unrolled: 1-line block ×8, first 2 shown]
	v_cmp_lt_u32_e32 vcc, 42, v255
	s_waitcnt vmcnt(34) lgkmcnt(7)
	v_mul_f64 v[2:3], v[4:5], v[0:1]
	v_mul_f64 v[0:1], v[6:7], v[0:1]
	s_waitcnt vmcnt(32) lgkmcnt(6)
	v_mul_f64 v[70:71], v[8:9], v[36:37]
	v_mul_f64 v[36:37], v[10:11], v[36:37]
	;; [unrolled: 3-line block ×4, first 2 shown]
	s_waitcnt vmcnt(25)
	v_mul_f64 v[74:75], v[16:17], v[44:45]
	v_mul_f64 v[44:45], v[18:19], v[44:45]
	s_waitcnt vmcnt(23) lgkmcnt(1)
	v_mul_f64 v[80:81], v[28:29], v[46:47]
	v_mul_f64 v[46:47], v[30:31], v[46:47]
	s_waitcnt vmcnt(20)
	v_mul_f64 v[78:79], v[24:25], v[50:51]
	v_mul_f64 v[50:51], v[26:27], v[50:51]
	s_waitcnt vmcnt(18) lgkmcnt(0)
	v_mul_f64 v[82:83], v[32:33], v[52:53]
	s_waitcnt vmcnt(17)
	v_fmac_f64_e32 v[76:77], v[22:23], v[42:43]
	s_waitcnt vmcnt(16)
	v_fmac_f64_e32 v[80:81], v[30:31], v[48:49]
	s_waitcnt vmcnt(14)
	v_fma_f64 v[0:1], v[4:5], v[54:55], -v[0:1]
	v_fmac_f64_e32 v[2:3], v[6:7], v[54:55]
	s_waitcnt vmcnt(12)
	v_fma_f64 v[4:5], v[8:9], v[56:57], -v[36:37]
	v_add_f64 v[0:1], v[0:1], 0
	v_fmac_f64_e32 v[70:71], v[10:11], v[56:57]
	s_waitcnt vmcnt(10)
	v_fma_f64 v[6:7], v[12:13], v[58:59], -v[38:39]
	v_add_f64 v[2:3], v[2:3], 0
	v_add_f64 v[0:1], v[0:1], v[4:5]
	v_fmac_f64_e32 v[72:73], v[14:15], v[58:59]
	s_waitcnt vmcnt(8)
	v_fma_f64 v[8:9], v[16:17], v[60:61], -v[44:45]
	v_add_f64 v[2:3], v[2:3], v[70:71]
	v_add_f64 v[0:1], v[0:1], v[6:7]
	v_fmac_f64_e32 v[74:75], v[18:19], v[60:61]
	v_fma_f64 v[10:11], v[20:21], v[42:43], -v[40:41]
	v_add_f64 v[2:3], v[2:3], v[72:73]
	v_add_f64 v[0:1], v[0:1], v[8:9]
	s_waitcnt vmcnt(6)
	v_fma_f64 v[12:13], v[24:25], v[62:63], -v[50:51]
	v_add_f64 v[2:3], v[2:3], v[74:75]
	v_add_f64 v[0:1], v[0:1], v[10:11]
	v_fmac_f64_e32 v[78:79], v[26:27], v[62:63]
	v_fma_f64 v[14:15], v[28:29], v[48:49], -v[46:47]
	v_add_f64 v[2:3], v[2:3], v[76:77]
	v_add_f64 v[0:1], v[0:1], v[12:13]
	v_mul_f64 v[4:5], v[34:35], v[52:53]
	v_add_f64 v[2:3], v[2:3], v[78:79]
	v_add_f64 v[0:1], v[0:1], v[14:15]
	s_waitcnt vmcnt(4)
	v_fma_f64 v[4:5], v[32:33], v[64:65], -v[4:5]
	v_fmac_f64_e32 v[82:83], v[34:35], v[64:65]
	v_add_f64 v[2:3], v[2:3], v[80:81]
	v_add_f64 v[0:1], v[0:1], v[4:5]
	v_add_f64 v[2:3], v[2:3], v[82:83]
	s_waitcnt vmcnt(2)
	v_add_f64 v[0:1], v[66:67], -v[0:1]
	s_waitcnt vmcnt(0)
	v_add_f64 v[2:3], v[68:69], -v[2:3]
	buffer_store_dword v1, off, s[0:3], 0 offset:708
	buffer_store_dword v0, off, s[0:3], 0 offset:704
	;; [unrolled: 1-line block ×4, first 2 shown]
	s_and_saveexec_b64 s[4:5], vcc
	s_cbranch_execz .LBB115_241
; %bb.240:
	v_accvgpr_read_b32 v0, a113
	buffer_load_dword v2, v0, s[0:3], 0 offen
	buffer_load_dword v3, v0, s[0:3], 0 offen offset:4
	buffer_load_dword v4, v0, s[0:3], 0 offen offset:8
	;; [unrolled: 1-line block ×3, first 2 shown]
	v_mov_b32_e32 v0, 0
	v_accvgpr_read_b32 v1, a156
	buffer_store_dword v0, off, s[0:3], 0 offset:688
	buffer_store_dword v0, off, s[0:3], 0 offset:692
	;; [unrolled: 1-line block ×4, first 2 shown]
	s_waitcnt vmcnt(4)
	ds_write_b128 v1, v[2:5]
.LBB115_241:
	s_or_b64 exec, exec, s[4:5]
	s_waitcnt lgkmcnt(0)
	; wave barrier
	s_waitcnt lgkmcnt(0)
	buffer_load_dword v0, off, s[0:3], 0 offset:712
	buffer_load_dword v1, off, s[0:3], 0 offset:716
	;; [unrolled: 1-line block ×40, first 2 shown]
	v_mov_b32_e32 v38, 0
	ds_read_b128 v[2:5], v38 offset:1520
	ds_read_b128 v[6:9], v38 offset:1536
	;; [unrolled: 1-line block ×9, first 2 shown]
	v_cmp_lt_u32_e32 vcc, 41, v255
	s_waitcnt vmcnt(38) lgkmcnt(8)
	v_mul_f64 v[78:79], v[2:3], v[0:1]
	v_mul_f64 v[0:1], v[4:5], v[0:1]
	s_waitcnt vmcnt(36) lgkmcnt(7)
	v_mul_f64 v[80:81], v[6:7], v[40:41]
	v_mul_f64 v[40:41], v[8:9], v[40:41]
	;; [unrolled: 3-line block ×3, first 2 shown]
	s_waitcnt vmcnt(32) lgkmcnt(4)
	v_mul_f64 v[86:87], v[18:19], v[44:45]
	s_waitcnt vmcnt(30)
	v_fmac_f64_e32 v[86:87], v[20:21], v[46:47]
	s_waitcnt vmcnt(28)
	v_mul_f64 v[84:85], v[14:15], v[48:49]
	v_mul_f64 v[48:49], v[16:17], v[48:49]
	s_waitcnt vmcnt(26) lgkmcnt(2)
	v_mul_f64 v[90:91], v[26:27], v[50:51]
	s_waitcnt vmcnt(24)
	v_fmac_f64_e32 v[90:91], v[28:29], v[52:53]
	s_waitcnt vmcnt(22)
	v_mul_f64 v[88:89], v[22:23], v[54:55]
	s_waitcnt vmcnt(18) lgkmcnt(1)
	v_mul_f64 v[92:93], v[30:31], v[60:61]
	s_waitcnt vmcnt(17) lgkmcnt(0)
	v_mul_f64 v[94:95], v[34:35], v[56:57]
	s_waitcnt vmcnt(15)
	v_fma_f64 v[0:1], v[2:3], v[62:63], -v[0:1]
	v_add_f64 v[0:1], v[0:1], 0
	s_waitcnt vmcnt(13)
	v_fma_f64 v[2:3], v[6:7], v[64:65], -v[40:41]
	v_fmac_f64_e32 v[78:79], v[4:5], v[62:63]
	s_waitcnt vmcnt(11)
	v_fma_f64 v[4:5], v[10:11], v[66:67], -v[42:43]
	v_add_f64 v[0:1], v[0:1], v[2:3]
	s_waitcnt vmcnt(9)
	v_fma_f64 v[6:7], v[14:15], v[68:69], -v[48:49]
	v_add_f64 v[0:1], v[0:1], v[4:5]
	v_mul_f64 v[4:5], v[20:21], v[44:45]
	v_add_f64 v[0:1], v[0:1], v[6:7]
	v_fma_f64 v[4:5], v[18:19], v[46:47], -v[4:5]
	v_add_f64 v[0:1], v[0:1], v[4:5]
	v_mul_f64 v[4:5], v[24:25], v[54:55]
	v_fmac_f64_e32 v[80:81], v[8:9], v[64:65]
	v_add_f64 v[8:9], v[78:79], 0
	s_waitcnt vmcnt(7)
	v_fma_f64 v[4:5], v[22:23], v[70:71], -v[4:5]
	v_fmac_f64_e32 v[82:83], v[12:13], v[66:67]
	v_add_f64 v[8:9], v[8:9], v[80:81]
	v_add_f64 v[0:1], v[0:1], v[4:5]
	v_mul_f64 v[4:5], v[28:29], v[50:51]
	v_fmac_f64_e32 v[84:85], v[16:17], v[68:69]
	v_add_f64 v[2:3], v[8:9], v[82:83]
	v_fma_f64 v[4:5], v[26:27], v[52:53], -v[4:5]
	v_add_f64 v[2:3], v[2:3], v[84:85]
	v_add_f64 v[0:1], v[0:1], v[4:5]
	v_mul_f64 v[4:5], v[32:33], v[60:61]
	v_fmac_f64_e32 v[88:89], v[24:25], v[70:71]
	v_add_f64 v[2:3], v[2:3], v[86:87]
	s_waitcnt vmcnt(5)
	v_fma_f64 v[4:5], v[30:31], v[72:73], -v[4:5]
	v_add_f64 v[2:3], v[2:3], v[88:89]
	v_add_f64 v[0:1], v[0:1], v[4:5]
	v_mul_f64 v[4:5], v[36:37], v[56:57]
	v_fmac_f64_e32 v[92:93], v[32:33], v[72:73]
	v_add_f64 v[2:3], v[2:3], v[90:91]
	s_waitcnt vmcnt(4)
	v_fma_f64 v[4:5], v[34:35], v[58:59], -v[4:5]
	v_fmac_f64_e32 v[94:95], v[36:37], v[58:59]
	v_add_f64 v[2:3], v[2:3], v[92:93]
	v_add_f64 v[0:1], v[0:1], v[4:5]
	;; [unrolled: 1-line block ×3, first 2 shown]
	s_waitcnt vmcnt(2)
	v_add_f64 v[0:1], v[74:75], -v[0:1]
	s_waitcnt vmcnt(0)
	v_add_f64 v[2:3], v[76:77], -v[2:3]
	buffer_store_dword v1, off, s[0:3], 0 offset:692
	buffer_store_dword v0, off, s[0:3], 0 offset:688
	;; [unrolled: 1-line block ×4, first 2 shown]
	s_and_saveexec_b64 s[4:5], vcc
	s_cbranch_execz .LBB115_243
; %bb.242:
	v_accvgpr_read_b32 v0, a114
	buffer_load_dword v2, v0, s[0:3], 0 offen
	buffer_load_dword v3, v0, s[0:3], 0 offen offset:4
	buffer_load_dword v4, v0, s[0:3], 0 offen offset:8
	;; [unrolled: 1-line block ×3, first 2 shown]
	v_accvgpr_read_b32 v0, a156
	buffer_store_dword v38, off, s[0:3], 0 offset:672
	buffer_store_dword v38, off, s[0:3], 0 offset:676
	;; [unrolled: 1-line block ×4, first 2 shown]
	s_waitcnt vmcnt(4)
	ds_write_b128 v0, v[2:5]
.LBB115_243:
	s_or_b64 exec, exec, s[4:5]
	s_waitcnt lgkmcnt(0)
	; wave barrier
	s_waitcnt lgkmcnt(0)
	ds_read_b128 v[18:21], v38 offset:1504
	ds_read_b128 v[10:13], v38 offset:1520
	;; [unrolled: 1-line block ×4, first 2 shown]
	buffer_load_dword v44, off, s[0:3], 0 offset:672
	buffer_load_dword v45, off, s[0:3], 0 offset:676
	buffer_load_dword v42, off, s[0:3], 0 offset:680
	buffer_load_dword v43, off, s[0:3], 0 offset:684
	buffer_load_dword v58, off, s[0:3], 0 offset:688
	buffer_load_dword v59, off, s[0:3], 0 offset:692
	buffer_load_dword v62, off, s[0:3], 0 offset:696
	buffer_load_dword v63, off, s[0:3], 0 offset:700
	buffer_load_dword v56, off, s[0:3], 0 offset:704
	buffer_load_dword v57, off, s[0:3], 0 offset:708
	buffer_load_dword v60, off, s[0:3], 0 offset:712
	buffer_load_dword v61, off, s[0:3], 0 offset:716
	buffer_load_dword v46, off, s[0:3], 0 offset:720
	buffer_load_dword v47, off, s[0:3], 0 offset:724
	buffer_load_dword v48, off, s[0:3], 0 offset:728
	buffer_load_dword v49, off, s[0:3], 0 offset:732
	buffer_load_dword v51, off, s[0:3], 0 offset:740
	buffer_load_dword v50, off, s[0:3], 0 offset:736
	buffer_load_dword v53, off, s[0:3], 0 offset:748
	buffer_load_dword v52, off, s[0:3], 0 offset:744
	v_cmp_lt_u32_e32 vcc, 40, v255
	s_waitcnt vmcnt(12) lgkmcnt(3)
	v_mul_f64 v[0:1], v[18:19], v[62:63]
	v_fmac_f64_e32 v[0:1], v[20:21], v[58:59]
	v_add_f64 v[0:1], v[0:1], 0
	v_mul_f64 v[20:21], v[20:21], v[62:63]
	s_waitcnt vmcnt(8) lgkmcnt(2)
	v_mul_f64 v[14:15], v[10:11], v[60:61]
	v_fmac_f64_e32 v[14:15], v[12:13], v[56:57]
	v_add_f64 v[0:1], v[0:1], v[14:15]
	v_fma_f64 v[18:19], v[18:19], v[58:59], -v[20:21]
	s_waitcnt vmcnt(4) lgkmcnt(1)
	v_mul_f64 v[14:15], v[6:7], v[48:49]
	v_fmac_f64_e32 v[14:15], v[8:9], v[46:47]
	v_add_f64 v[0:1], v[0:1], v[14:15]
	s_waitcnt vmcnt(0) lgkmcnt(0)
	v_mul_f64 v[14:15], v[2:3], v[52:53]
	v_fmac_f64_e32 v[14:15], v[4:5], v[50:51]
	v_add_f64 v[0:1], v[0:1], v[14:15]
	ds_read_b128 v[14:17], v38 offset:1568
	buffer_load_dword v55, off, s[0:3], 0 offset:756
	buffer_load_dword v54, off, s[0:3], 0 offset:752
	;; [unrolled: 1-line block ×4, first 2 shown]
	v_mul_f64 v[12:13], v[12:13], v[60:61]
	v_add_f64 v[18:19], v[18:19], 0
	v_fma_f64 v[10:11], v[10:11], v[56:57], -v[12:13]
	v_mul_f64 v[8:9], v[8:9], v[48:49]
	v_add_f64 v[10:11], v[18:19], v[10:11]
	v_fma_f64 v[6:7], v[6:7], v[46:47], -v[8:9]
	;; [unrolled: 3-line block ×3, first 2 shown]
	v_add_f64 v[2:3], v[6:7], v[2:3]
	s_waitcnt vmcnt(0) lgkmcnt(0)
	v_mul_f64 v[22:23], v[14:15], v[64:65]
	v_fmac_f64_e32 v[22:23], v[16:17], v[54:55]
	v_add_f64 v[0:1], v[0:1], v[22:23]
	ds_read_b128 v[22:25], v38 offset:1584
	buffer_load_dword v67, off, s[0:3], 0 offset:772
	buffer_load_dword v66, off, s[0:3], 0 offset:768
	buffer_load_dword v69, off, s[0:3], 0 offset:780
	buffer_load_dword v68, off, s[0:3], 0 offset:776
	v_mul_f64 v[4:5], v[16:17], v[64:65]
	v_fma_f64 v[4:5], v[14:15], v[54:55], -v[4:5]
	v_add_f64 v[2:3], v[2:3], v[4:5]
	s_waitcnt vmcnt(0) lgkmcnt(0)
	v_mul_f64 v[26:27], v[22:23], v[68:69]
	v_fmac_f64_e32 v[26:27], v[24:25], v[66:67]
	v_add_f64 v[0:1], v[0:1], v[26:27]
	ds_read_b128 v[26:29], v38 offset:1600
	buffer_load_dword v71, off, s[0:3], 0 offset:788
	buffer_load_dword v70, off, s[0:3], 0 offset:784
	buffer_load_dword v73, off, s[0:3], 0 offset:796
	buffer_load_dword v72, off, s[0:3], 0 offset:792
	v_mul_f64 v[4:5], v[24:25], v[68:69]
	v_fma_f64 v[4:5], v[22:23], v[66:67], -v[4:5]
	;; [unrolled: 12-line block ×5, first 2 shown]
	v_add_f64 v[2:3], v[2:3], v[4:5]
	s_waitcnt vmcnt(0) lgkmcnt(0)
	v_mul_f64 v[4:5], v[40:41], v[84:85]
	v_mul_f64 v[86:87], v[38:39], v[84:85]
	v_fma_f64 v[4:5], v[38:39], v[82:83], -v[4:5]
	v_fmac_f64_e32 v[86:87], v[40:41], v[82:83]
	v_add_f64 v[2:3], v[2:3], v[4:5]
	v_add_f64 v[0:1], v[0:1], v[86:87]
	v_add_f64 v[2:3], v[44:45], -v[2:3]
	v_add_f64 v[0:1], v[42:43], -v[0:1]
	buffer_store_dword v3, off, s[0:3], 0 offset:676
	buffer_store_dword v2, off, s[0:3], 0 offset:672
	buffer_store_dword v1, off, s[0:3], 0 offset:684
	buffer_store_dword v0, off, s[0:3], 0 offset:680
	s_and_saveexec_b64 s[4:5], vcc
	s_cbranch_execz .LBB115_245
; %bb.244:
	v_accvgpr_read_b32 v0, a115
	buffer_load_dword v2, v0, s[0:3], 0 offen
	buffer_load_dword v3, v0, s[0:3], 0 offen offset:4
	buffer_load_dword v4, v0, s[0:3], 0 offen offset:8
	;; [unrolled: 1-line block ×3, first 2 shown]
	v_mov_b32_e32 v0, 0
	v_accvgpr_read_b32 v1, a156
	buffer_store_dword v0, off, s[0:3], 0 offset:656
	buffer_store_dword v0, off, s[0:3], 0 offset:660
	;; [unrolled: 1-line block ×4, first 2 shown]
	s_waitcnt vmcnt(4)
	ds_write_b128 v1, v[2:5]
.LBB115_245:
	s_or_b64 exec, exec, s[4:5]
	v_mov_b32_e32 v96, 0
	s_waitcnt lgkmcnt(0)
	; wave barrier
	s_waitcnt lgkmcnt(0)
	ds_read_b128 v[14:17], v96 offset:1488
	ds_read_b128 v[10:13], v96 offset:1504
	;; [unrolled: 1-line block ×4, first 2 shown]
	buffer_load_dword v48, off, s[0:3], 0 offset:656
	buffer_load_dword v49, off, s[0:3], 0 offset:660
	;; [unrolled: 1-line block ×20, first 2 shown]
	v_cmp_lt_u32_e32 vcc, 39, v255
	s_waitcnt vmcnt(12) lgkmcnt(3)
	v_mul_f64 v[0:1], v[14:15], v[56:57]
	v_fmac_f64_e32 v[0:1], v[16:17], v[50:51]
	v_add_f64 v[0:1], v[0:1], 0
	v_mul_f64 v[16:17], v[16:17], v[56:57]
	s_waitcnt vmcnt(8) lgkmcnt(2)
	v_mul_f64 v[18:19], v[10:11], v[58:59]
	v_fmac_f64_e32 v[18:19], v[12:13], v[52:53]
	v_add_f64 v[0:1], v[0:1], v[18:19]
	v_fma_f64 v[14:15], v[14:15], v[50:51], -v[16:17]
	s_waitcnt vmcnt(4) lgkmcnt(1)
	v_mul_f64 v[18:19], v[6:7], v[60:61]
	v_fmac_f64_e32 v[18:19], v[8:9], v[54:55]
	v_add_f64 v[0:1], v[0:1], v[18:19]
	s_waitcnt vmcnt(0) lgkmcnt(0)
	v_mul_f64 v[18:19], v[2:3], v[64:65]
	v_fmac_f64_e32 v[18:19], v[4:5], v[62:63]
	v_add_f64 v[0:1], v[0:1], v[18:19]
	ds_read_b128 v[18:21], v96 offset:1552
	buffer_load_dword v67, off, s[0:3], 0 offset:740
	buffer_load_dword v66, off, s[0:3], 0 offset:736
	;; [unrolled: 1-line block ×4, first 2 shown]
	v_mul_f64 v[12:13], v[12:13], v[58:59]
	v_add_f64 v[14:15], v[14:15], 0
	v_fma_f64 v[10:11], v[10:11], v[52:53], -v[12:13]
	v_mul_f64 v[8:9], v[8:9], v[60:61]
	v_add_f64 v[10:11], v[14:15], v[10:11]
	v_fma_f64 v[6:7], v[6:7], v[54:55], -v[8:9]
	;; [unrolled: 3-line block ×3, first 2 shown]
	v_add_f64 v[2:3], v[6:7], v[2:3]
	s_waitcnt vmcnt(0) lgkmcnt(0)
	v_mul_f64 v[22:23], v[18:19], v[68:69]
	v_fmac_f64_e32 v[22:23], v[20:21], v[66:67]
	v_add_f64 v[0:1], v[0:1], v[22:23]
	ds_read_b128 v[22:25], v96 offset:1568
	buffer_load_dword v71, off, s[0:3], 0 offset:756
	buffer_load_dword v70, off, s[0:3], 0 offset:752
	buffer_load_dword v73, off, s[0:3], 0 offset:764
	buffer_load_dword v72, off, s[0:3], 0 offset:760
	v_mul_f64 v[4:5], v[20:21], v[68:69]
	v_fma_f64 v[4:5], v[18:19], v[66:67], -v[4:5]
	v_add_f64 v[2:3], v[2:3], v[4:5]
	s_waitcnt vmcnt(0) lgkmcnt(0)
	v_mul_f64 v[26:27], v[22:23], v[72:73]
	v_fmac_f64_e32 v[26:27], v[24:25], v[70:71]
	v_add_f64 v[0:1], v[0:1], v[26:27]
	ds_read_b128 v[26:29], v96 offset:1584
	buffer_load_dword v75, off, s[0:3], 0 offset:772
	buffer_load_dword v74, off, s[0:3], 0 offset:768
	buffer_load_dword v77, off, s[0:3], 0 offset:780
	buffer_load_dword v76, off, s[0:3], 0 offset:776
	v_mul_f64 v[4:5], v[24:25], v[72:73]
	v_fma_f64 v[4:5], v[22:23], v[70:71], -v[4:5]
	;; [unrolled: 12-line block ×6, first 2 shown]
	v_add_f64 v[2:3], v[2:3], v[4:5]
	s_waitcnt vmcnt(0) lgkmcnt(0)
	v_mul_f64 v[4:5], v[44:45], v[92:93]
	v_mul_f64 v[0:1], v[42:43], v[92:93]
	v_fma_f64 v[4:5], v[42:43], v[90:91], -v[4:5]
	v_fmac_f64_e32 v[0:1], v[44:45], v[90:91]
	v_add_f64 v[2:3], v[2:3], v[4:5]
	v_add_f64 v[0:1], v[94:95], v[0:1]
	v_add_f64 v[2:3], v[48:49], -v[2:3]
	v_add_f64 v[0:1], v[46:47], -v[0:1]
	buffer_store_dword v3, off, s[0:3], 0 offset:660
	buffer_store_dword v2, off, s[0:3], 0 offset:656
	;; [unrolled: 1-line block ×4, first 2 shown]
	s_and_saveexec_b64 s[4:5], vcc
	s_cbranch_execz .LBB115_247
; %bb.246:
	v_accvgpr_read_b32 v0, a116
	buffer_load_dword v2, v0, s[0:3], 0 offen
	buffer_load_dword v3, v0, s[0:3], 0 offen offset:4
	buffer_load_dword v4, v0, s[0:3], 0 offen offset:8
	;; [unrolled: 1-line block ×3, first 2 shown]
	v_accvgpr_read_b32 v0, a156
	buffer_store_dword v96, off, s[0:3], 0 offset:640
	buffer_store_dword v96, off, s[0:3], 0 offset:644
	;; [unrolled: 1-line block ×4, first 2 shown]
	s_waitcnt vmcnt(4)
	ds_write_b128 v0, v[2:5]
.LBB115_247:
	s_or_b64 exec, exec, s[4:5]
	s_waitcnt lgkmcnt(0)
	; wave barrier
	s_waitcnt lgkmcnt(0)
	ds_read_b128 v[14:17], v96 offset:1472
	ds_read_b128 v[10:13], v96 offset:1488
	ds_read_b128 v[6:9], v96 offset:1504
	ds_read_b128 v[2:5], v96 offset:1520
	buffer_load_dword v48, off, s[0:3], 0 offset:640
	buffer_load_dword v49, off, s[0:3], 0 offset:644
	;; [unrolled: 1-line block ×20, first 2 shown]
	v_cmp_lt_u32_e32 vcc, 38, v255
	s_waitcnt vmcnt(12) lgkmcnt(3)
	v_mul_f64 v[0:1], v[14:15], v[56:57]
	v_fmac_f64_e32 v[0:1], v[16:17], v[50:51]
	v_add_f64 v[0:1], v[0:1], 0
	v_mul_f64 v[16:17], v[16:17], v[56:57]
	s_waitcnt vmcnt(8) lgkmcnt(2)
	v_mul_f64 v[18:19], v[10:11], v[58:59]
	v_fmac_f64_e32 v[18:19], v[12:13], v[52:53]
	v_add_f64 v[0:1], v[0:1], v[18:19]
	v_fma_f64 v[14:15], v[14:15], v[50:51], -v[16:17]
	s_waitcnt vmcnt(4) lgkmcnt(1)
	v_mul_f64 v[18:19], v[6:7], v[60:61]
	v_fmac_f64_e32 v[18:19], v[8:9], v[54:55]
	v_add_f64 v[0:1], v[0:1], v[18:19]
	s_waitcnt vmcnt(0) lgkmcnt(0)
	v_mul_f64 v[18:19], v[2:3], v[64:65]
	v_fmac_f64_e32 v[18:19], v[4:5], v[62:63]
	v_add_f64 v[0:1], v[0:1], v[18:19]
	ds_read_b128 v[18:21], v96 offset:1536
	buffer_load_dword v67, off, s[0:3], 0 offset:724
	buffer_load_dword v66, off, s[0:3], 0 offset:720
	;; [unrolled: 1-line block ×4, first 2 shown]
	v_mul_f64 v[12:13], v[12:13], v[58:59]
	v_add_f64 v[14:15], v[14:15], 0
	v_fma_f64 v[10:11], v[10:11], v[52:53], -v[12:13]
	v_mul_f64 v[8:9], v[8:9], v[60:61]
	v_add_f64 v[10:11], v[14:15], v[10:11]
	v_fma_f64 v[6:7], v[6:7], v[54:55], -v[8:9]
	;; [unrolled: 3-line block ×3, first 2 shown]
	v_add_f64 v[2:3], v[6:7], v[2:3]
	s_waitcnt vmcnt(0) lgkmcnt(0)
	v_mul_f64 v[22:23], v[18:19], v[68:69]
	v_fmac_f64_e32 v[22:23], v[20:21], v[66:67]
	v_add_f64 v[0:1], v[0:1], v[22:23]
	ds_read_b128 v[22:25], v96 offset:1552
	buffer_load_dword v71, off, s[0:3], 0 offset:740
	buffer_load_dword v70, off, s[0:3], 0 offset:736
	buffer_load_dword v73, off, s[0:3], 0 offset:748
	buffer_load_dword v72, off, s[0:3], 0 offset:744
	v_mul_f64 v[4:5], v[20:21], v[68:69]
	v_fma_f64 v[4:5], v[18:19], v[66:67], -v[4:5]
	v_add_f64 v[2:3], v[2:3], v[4:5]
	s_waitcnt vmcnt(0) lgkmcnt(0)
	v_mul_f64 v[26:27], v[22:23], v[72:73]
	v_fmac_f64_e32 v[26:27], v[24:25], v[70:71]
	v_add_f64 v[0:1], v[0:1], v[26:27]
	ds_read_b128 v[26:29], v96 offset:1568
	buffer_load_dword v75, off, s[0:3], 0 offset:756
	buffer_load_dword v74, off, s[0:3], 0 offset:752
	buffer_load_dword v77, off, s[0:3], 0 offset:764
	buffer_load_dword v76, off, s[0:3], 0 offset:760
	v_mul_f64 v[4:5], v[24:25], v[72:73]
	v_fma_f64 v[4:5], v[22:23], v[70:71], -v[4:5]
	;; [unrolled: 12-line block ×7, first 2 shown]
	v_add_f64 v[2:3], v[2:3], v[4:5]
	s_waitcnt vmcnt(0) lgkmcnt(0)
	v_mul_f64 v[4:5], v[96:97], v[100:101]
	v_mul_f64 v[102:103], v[94:95], v[100:101]
	v_fma_f64 v[4:5], v[94:95], v[98:99], -v[4:5]
	v_fmac_f64_e32 v[102:103], v[96:97], v[98:99]
	v_add_f64 v[2:3], v[2:3], v[4:5]
	v_add_f64 v[0:1], v[0:1], v[102:103]
	v_add_f64 v[2:3], v[48:49], -v[2:3]
	v_add_f64 v[0:1], v[46:47], -v[0:1]
	buffer_store_dword v3, off, s[0:3], 0 offset:644
	buffer_store_dword v2, off, s[0:3], 0 offset:640
	;; [unrolled: 1-line block ×4, first 2 shown]
	s_and_saveexec_b64 s[4:5], vcc
	s_cbranch_execz .LBB115_249
; %bb.248:
	v_accvgpr_read_b32 v0, a117
	buffer_load_dword v2, v0, s[0:3], 0 offen
	buffer_load_dword v3, v0, s[0:3], 0 offen offset:4
	buffer_load_dword v4, v0, s[0:3], 0 offen offset:8
	;; [unrolled: 1-line block ×3, first 2 shown]
	v_mov_b32_e32 v0, 0
	v_accvgpr_read_b32 v1, a156
	buffer_store_dword v0, off, s[0:3], 0 offset:624
	buffer_store_dword v0, off, s[0:3], 0 offset:628
	;; [unrolled: 1-line block ×4, first 2 shown]
	s_waitcnt vmcnt(4)
	ds_write_b128 v1, v[2:5]
.LBB115_249:
	s_or_b64 exec, exec, s[4:5]
	s_waitcnt lgkmcnt(0)
	; wave barrier
	s_waitcnt lgkmcnt(0)
	buffer_load_dword v2, off, s[0:3], 0 offset:640
	buffer_load_dword v3, off, s[0:3], 0 offset:644
	buffer_load_dword v6, off, s[0:3], 0 offset:648
	buffer_load_dword v7, off, s[0:3], 0 offset:652
	buffer_load_dword v4, off, s[0:3], 0 offset:656
	buffer_load_dword v5, off, s[0:3], 0 offset:660
	buffer_load_dword v8, off, s[0:3], 0 offset:664
	buffer_load_dword v9, off, s[0:3], 0 offset:668
	buffer_load_dword v10, off, s[0:3], 0 offset:680
	buffer_load_dword v11, off, s[0:3], 0 offset:684
	buffer_load_dword v13, off, s[0:3], 0 offset:700
	buffer_load_dword v12, off, s[0:3], 0 offset:696
	buffer_load_dword v15, off, s[0:3], 0 offset:748
	buffer_load_dword v14, off, s[0:3], 0 offset:744
	buffer_load_dword v17, off, s[0:3], 0 offset:740
	buffer_load_dword v19, off, s[0:3], 0 offset:732
	buffer_load_dword v18, off, s[0:3], 0 offset:728
	buffer_load_dword v21, off, s[0:3], 0 offset:716
	buffer_load_dword v20, off, s[0:3], 0 offset:712
	buffer_load_dword v23, off, s[0:3], 0 offset:708
	buffer_load_dword v22, off, s[0:3], 0 offset:704
	buffer_load_dword v28, off, s[0:3], 0 offset:672
	buffer_load_dword v29, off, s[0:3], 0 offset:676
	buffer_load_dword v27, off, s[0:3], 0 offset:692
	buffer_load_dword v26, off, s[0:3], 0 offset:688
	buffer_load_dword v25, off, s[0:3], 0 offset:724
	buffer_load_dword v24, off, s[0:3], 0 offset:720
	buffer_load_dword v16, off, s[0:3], 0 offset:736
	buffer_load_dword v1, off, s[0:3], 0 offset:780
	buffer_load_dword v85, off, s[0:3], 0 offset:772
	buffer_load_dword v87, off, s[0:3], 0 offset:764
	buffer_load_dword v86, off, s[0:3], 0 offset:760
	buffer_load_dword v89, off, s[0:3], 0 offset:756
	buffer_load_dword v88, off, s[0:3], 0 offset:752
	buffer_load_dword v0, off, s[0:3], 0 offset:776
	buffer_load_dword v84, off, s[0:3], 0 offset:768
	buffer_load_dword v91, off, s[0:3], 0 offset:812
	buffer_load_dword v93, off, s[0:3], 0 offset:804
	buffer_load_dword v95, off, s[0:3], 0 offset:796
	buffer_load_dword v94, off, s[0:3], 0 offset:792
	buffer_load_dword v97, off, s[0:3], 0 offset:788
	buffer_load_dword v96, off, s[0:3], 0 offset:784
	buffer_load_dword v90, off, s[0:3], 0 offset:808
	buffer_load_dword v92, off, s[0:3], 0 offset:800
	buffer_load_dword v99, off, s[0:3], 0 offset:844
	buffer_load_dword v101, off, s[0:3], 0 offset:836
	buffer_load_dword v103, off, s[0:3], 0 offset:828
	buffer_load_dword v102, off, s[0:3], 0 offset:824
	buffer_load_dword v105, off, s[0:3], 0 offset:820
	buffer_load_dword v104, off, s[0:3], 0 offset:816
	buffer_load_dword v98, off, s[0:3], 0 offset:840
	buffer_load_dword v100, off, s[0:3], 0 offset:832
	buffer_load_dword v106, off, s[0:3], 0 offset:624
	buffer_load_dword v107, off, s[0:3], 0 offset:628
	buffer_load_dword v108, off, s[0:3], 0 offset:632
	buffer_load_dword v109, off, s[0:3], 0 offset:636
	v_mov_b32_e32 v30, 0
	ds_read_b128 v[32:35], v30 offset:1456
	ds_read_b128 v[36:39], v30 offset:1472
	;; [unrolled: 1-line block ×9, first 2 shown]
	v_cmp_lt_u32_e32 vcc, 37, v255
	s_waitcnt vmcnt(52) lgkmcnt(8)
	v_mul_f64 v[64:65], v[32:33], v[6:7]
	v_fmac_f64_e32 v[64:65], v[34:35], v[2:3]
	v_add_f64 v[64:65], v[64:65], 0
	v_mul_f64 v[6:7], v[34:35], v[6:7]
	s_waitcnt vmcnt(48) lgkmcnt(7)
	v_mul_f64 v[66:67], v[36:37], v[8:9]
	v_fmac_f64_e32 v[66:67], v[38:39], v[4:5]
	s_waitcnt vmcnt(46) lgkmcnt(6)
	v_mul_f64 v[68:69], v[40:41], v[10:11]
	v_add_f64 v[64:65], v[64:65], v[66:67]
	s_waitcnt vmcnt(44) lgkmcnt(5)
	v_mul_f64 v[70:71], v[44:45], v[12:13]
	v_fma_f64 v[2:3], v[32:33], v[2:3], -v[6:7]
	v_mul_f64 v[6:7], v[38:39], v[8:9]
	v_add_f64 v[2:3], v[2:3], 0
	v_fma_f64 v[4:5], v[36:37], v[4:5], -v[6:7]
	s_waitcnt vmcnt(39) lgkmcnt(3)
	v_mul_f64 v[74:75], v[52:53], v[18:19]
	v_add_f64 v[2:3], v[2:3], v[4:5]
	s_waitcnt vmcnt(37)
	v_mul_f64 v[72:73], v[48:49], v[20:21]
	v_mul_f64 v[4:5], v[42:43], v[10:11]
	s_waitcnt vmcnt(35)
	v_fmac_f64_e32 v[72:73], v[50:51], v[22:23]
	s_waitcnt lgkmcnt(2)
	v_mul_f64 v[76:77], v[56:57], v[14:15]
	s_waitcnt vmcnt(33)
	v_fmac_f64_e32 v[68:69], v[42:43], v[28:29]
	v_add_f64 v[64:65], v[64:65], v[68:69]
	s_waitcnt vmcnt(31)
	v_fmac_f64_e32 v[70:71], v[46:47], v[26:27]
	v_add_f64 v[64:65], v[64:65], v[70:71]
	;; [unrolled: 3-line block ×3, first 2 shown]
	v_fma_f64 v[4:5], v[40:41], v[28:29], -v[4:5]
	s_waitcnt vmcnt(28)
	v_fmac_f64_e32 v[76:77], v[58:59], v[16:17]
	v_add_f64 v[64:65], v[64:65], v[74:75]
	v_add_f64 v[2:3], v[2:3], v[4:5]
	v_mul_f64 v[4:5], v[46:47], v[12:13]
	v_add_f64 v[68:69], v[64:65], v[76:77]
	ds_read_b128 v[64:67], v30 offset:1584
	s_waitcnt vmcnt(24) lgkmcnt(2)
	v_mul_f64 v[70:71], v[60:61], v[86:87]
	v_fma_f64 v[4:5], v[44:45], v[26:27], -v[4:5]
	s_waitcnt vmcnt(22)
	v_fmac_f64_e32 v[70:71], v[62:63], v[88:89]
	v_add_f64 v[2:3], v[2:3], v[4:5]
	v_mul_f64 v[4:5], v[50:51], v[20:21]
	v_add_f64 v[72:73], v[68:69], v[70:71]
	ds_read_b128 v[68:71], v30 offset:1600
	v_fma_f64 v[4:5], v[48:49], v[22:23], -v[4:5]
	v_add_f64 v[2:3], v[2:3], v[4:5]
	v_mul_f64 v[4:5], v[54:55], v[18:19]
	v_fma_f64 v[4:5], v[52:53], v[24:25], -v[4:5]
	s_waitcnt vmcnt(21) lgkmcnt(1)
	v_mul_f64 v[74:75], v[64:65], v[0:1]
	v_add_f64 v[2:3], v[2:3], v[4:5]
	v_mul_f64 v[4:5], v[58:59], v[14:15]
	s_waitcnt vmcnt(20)
	v_fmac_f64_e32 v[74:75], v[66:67], v[84:85]
	v_fma_f64 v[4:5], v[56:57], v[16:17], -v[4:5]
	v_add_f64 v[76:77], v[72:73], v[74:75]
	ds_read_b128 v[72:75], v30 offset:1616
	s_waitcnt vmcnt(16) lgkmcnt(1)
	v_mul_f64 v[78:79], v[68:69], v[94:95]
	v_add_f64 v[2:3], v[2:3], v[4:5]
	v_mul_f64 v[4:5], v[62:63], v[86:87]
	s_waitcnt vmcnt(14)
	v_fmac_f64_e32 v[78:79], v[70:71], v[96:97]
	v_fma_f64 v[4:5], v[60:61], v[88:89], -v[4:5]
	v_mul_f64 v[0:1], v[66:67], v[0:1]
	v_add_f64 v[110:111], v[76:77], v[78:79]
	ds_read_b128 v[76:79], v30 offset:1632
	v_add_f64 v[2:3], v[2:3], v[4:5]
	v_fma_f64 v[0:1], v[64:65], v[84:85], -v[0:1]
	v_add_f64 v[0:1], v[2:3], v[0:1]
	v_mul_f64 v[2:3], v[70:71], v[94:95]
	v_fma_f64 v[2:3], v[68:69], v[96:97], -v[2:3]
	v_add_f64 v[0:1], v[0:1], v[2:3]
	s_waitcnt vmcnt(13) lgkmcnt(1)
	v_mul_f64 v[2:3], v[74:75], v[90:91]
	v_mul_f64 v[112:113], v[72:73], v[90:91]
	s_waitcnt vmcnt(12)
	v_fma_f64 v[2:3], v[72:73], v[92:93], -v[2:3]
	v_fmac_f64_e32 v[112:113], v[74:75], v[92:93]
	v_add_f64 v[0:1], v[0:1], v[2:3]
	s_waitcnt vmcnt(8) lgkmcnt(0)
	v_mul_f64 v[2:3], v[78:79], v[102:103]
	v_add_f64 v[110:111], v[110:111], v[112:113]
	v_mul_f64 v[112:113], v[76:77], v[102:103]
	s_waitcnt vmcnt(6)
	v_fma_f64 v[2:3], v[76:77], v[104:105], -v[2:3]
	v_fmac_f64_e32 v[112:113], v[78:79], v[104:105]
	v_add_f64 v[0:1], v[0:1], v[2:3]
	s_waitcnt vmcnt(5)
	v_mul_f64 v[2:3], v[82:83], v[98:99]
	v_add_f64 v[110:111], v[110:111], v[112:113]
	v_mul_f64 v[112:113], v[80:81], v[98:99]
	s_waitcnt vmcnt(4)
	v_fma_f64 v[2:3], v[80:81], v[100:101], -v[2:3]
	v_fmac_f64_e32 v[112:113], v[82:83], v[100:101]
	v_add_f64 v[0:1], v[0:1], v[2:3]
	v_add_f64 v[110:111], v[110:111], v[112:113]
	s_waitcnt vmcnt(2)
	v_add_f64 v[0:1], v[106:107], -v[0:1]
	s_waitcnt vmcnt(0)
	v_add_f64 v[2:3], v[108:109], -v[110:111]
	buffer_store_dword v1, off, s[0:3], 0 offset:628
	buffer_store_dword v0, off, s[0:3], 0 offset:624
	;; [unrolled: 1-line block ×4, first 2 shown]
	s_and_saveexec_b64 s[4:5], vcc
	s_cbranch_execz .LBB115_251
; %bb.250:
	v_accvgpr_read_b32 v0, a118
	buffer_load_dword v2, v0, s[0:3], 0 offen
	buffer_load_dword v3, v0, s[0:3], 0 offen offset:4
	buffer_load_dword v4, v0, s[0:3], 0 offen offset:8
	buffer_load_dword v5, v0, s[0:3], 0 offen offset:12
	v_accvgpr_read_b32 v0, a156
	buffer_store_dword v30, off, s[0:3], 0 offset:608
	buffer_store_dword v30, off, s[0:3], 0 offset:612
	;; [unrolled: 1-line block ×4, first 2 shown]
	s_waitcnt vmcnt(4)
	ds_write_b128 v0, v[2:5]
.LBB115_251:
	s_or_b64 exec, exec, s[4:5]
	s_waitcnt lgkmcnt(0)
	; wave barrier
	s_waitcnt lgkmcnt(0)
	buffer_load_dword v2, off, s[0:3], 0 offset:624
	buffer_load_dword v3, off, s[0:3], 0 offset:628
	;; [unrolled: 1-line block ×60, first 2 shown]
	ds_read_b128 v[32:35], v30 offset:1440
	ds_read_b128 v[36:39], v30 offset:1456
	;; [unrolled: 1-line block ×8, first 2 shown]
	v_cmp_lt_u32_e32 vcc, 36, v255
	ds_read_b128 v[84:87], v30 offset:1648
	s_waitcnt vmcnt(56) lgkmcnt(8)
	v_mul_f64 v[64:65], v[32:33], v[6:7]
	v_fmac_f64_e32 v[64:65], v[34:35], v[2:3]
	v_add_f64 v[64:65], v[64:65], 0
	v_mul_f64 v[6:7], v[34:35], v[6:7]
	s_waitcnt vmcnt(52) lgkmcnt(7)
	v_mul_f64 v[66:67], v[36:37], v[8:9]
	v_fmac_f64_e32 v[66:67], v[38:39], v[4:5]
	s_waitcnt vmcnt(50) lgkmcnt(6)
	v_mul_f64 v[68:69], v[40:41], v[10:11]
	v_add_f64 v[64:65], v[64:65], v[66:67]
	s_waitcnt vmcnt(48) lgkmcnt(4)
	v_mul_f64 v[72:73], v[48:49], v[12:13]
	v_fma_f64 v[2:3], v[32:33], v[2:3], -v[6:7]
	s_waitcnt vmcnt(46)
	v_fmac_f64_e32 v[72:73], v[50:51], v[14:15]
	v_mul_f64 v[6:7], v[38:39], v[8:9]
	s_waitcnt vmcnt(44)
	v_mul_f64 v[70:71], v[44:45], v[16:17]
	v_add_f64 v[2:3], v[2:3], 0
	v_fma_f64 v[4:5], v[36:37], v[4:5], -v[6:7]
	v_add_f64 v[2:3], v[2:3], v[4:5]
	s_waitcnt vmcnt(40) lgkmcnt(3)
	v_mul_f64 v[74:75], v[52:53], v[22:23]
	v_mul_f64 v[4:5], v[42:43], v[10:11]
	s_waitcnt vmcnt(38)
	v_fmac_f64_e32 v[68:69], v[42:43], v[28:29]
	v_add_f64 v[64:65], v[64:65], v[68:69]
	s_waitcnt vmcnt(36)
	v_fmac_f64_e32 v[70:71], v[46:47], v[26:27]
	v_add_f64 v[64:65], v[64:65], v[70:71]
	;; [unrolled: 3-line block ×3, first 2 shown]
	s_waitcnt vmcnt(33) lgkmcnt(2)
	v_mul_f64 v[66:67], v[56:57], v[18:19]
	v_add_f64 v[64:65], v[64:65], v[74:75]
	s_waitcnt vmcnt(32)
	v_fmac_f64_e32 v[66:67], v[58:59], v[20:21]
	v_add_f64 v[68:69], v[64:65], v[66:67]
	ds_read_b128 v[64:67], v30 offset:1568
	v_fma_f64 v[4:5], v[40:41], v[28:29], -v[4:5]
	v_add_f64 v[2:3], v[2:3], v[4:5]
	v_mul_f64 v[4:5], v[46:47], v[16:17]
	s_waitcnt vmcnt(28) lgkmcnt(2)
	v_mul_f64 v[70:71], v[60:61], v[90:91]
	v_fma_f64 v[4:5], v[44:45], v[26:27], -v[4:5]
	s_waitcnt vmcnt(26)
	v_fmac_f64_e32 v[70:71], v[62:63], v[92:93]
	v_add_f64 v[2:3], v[2:3], v[4:5]
	v_mul_f64 v[4:5], v[50:51], v[12:13]
	v_add_f64 v[72:73], v[68:69], v[70:71]
	ds_read_b128 v[68:71], v30 offset:1584
	s_waitcnt vmcnt(25) lgkmcnt(1)
	v_mul_f64 v[74:75], v[64:65], v[0:1]
	v_fma_f64 v[4:5], v[48:49], v[14:15], -v[4:5]
	s_waitcnt vmcnt(24)
	v_fmac_f64_e32 v[74:75], v[66:67], v[88:89]
	v_add_f64 v[2:3], v[2:3], v[4:5]
	v_mul_f64 v[4:5], v[54:55], v[22:23]
	v_add_f64 v[76:77], v[72:73], v[74:75]
	ds_read_b128 v[72:75], v30 offset:1600
	v_fma_f64 v[4:5], v[52:53], v[24:25], -v[4:5]
	v_add_f64 v[2:3], v[2:3], v[4:5]
	v_mul_f64 v[4:5], v[58:59], v[18:19]
	v_fma_f64 v[4:5], v[56:57], v[20:21], -v[4:5]
	s_waitcnt vmcnt(20) lgkmcnt(1)
	v_mul_f64 v[78:79], v[68:69], v[98:99]
	v_add_f64 v[2:3], v[2:3], v[4:5]
	v_mul_f64 v[4:5], v[62:63], v[90:91]
	s_waitcnt vmcnt(18)
	v_fmac_f64_e32 v[78:79], v[70:71], v[100:101]
	v_fma_f64 v[4:5], v[60:61], v[92:93], -v[4:5]
	v_mul_f64 v[0:1], v[66:67], v[0:1]
	v_add_f64 v[80:81], v[76:77], v[78:79]
	ds_read_b128 v[76:79], v30 offset:1616
	s_waitcnt vmcnt(17) lgkmcnt(1)
	v_mul_f64 v[82:83], v[72:73], v[94:95]
	v_add_f64 v[2:3], v[2:3], v[4:5]
	v_fma_f64 v[0:1], v[64:65], v[88:89], -v[0:1]
	s_waitcnt vmcnt(16)
	v_fmac_f64_e32 v[82:83], v[74:75], v[96:97]
	v_add_f64 v[0:1], v[2:3], v[0:1]
	v_mul_f64 v[2:3], v[70:71], v[98:99]
	v_add_f64 v[118:119], v[80:81], v[82:83]
	ds_read_b128 v[80:83], v30 offset:1632
	v_fma_f64 v[2:3], v[68:69], v[100:101], -v[2:3]
	v_add_f64 v[0:1], v[0:1], v[2:3]
	v_mul_f64 v[2:3], v[74:75], v[94:95]
	v_fma_f64 v[2:3], v[72:73], v[96:97], -v[2:3]
	v_add_f64 v[0:1], v[0:1], v[2:3]
	s_waitcnt vmcnt(12) lgkmcnt(1)
	v_mul_f64 v[2:3], v[78:79], v[106:107]
	v_mul_f64 v[120:121], v[76:77], v[106:107]
	s_waitcnt vmcnt(10)
	v_fma_f64 v[2:3], v[76:77], v[108:109], -v[2:3]
	v_fmac_f64_e32 v[120:121], v[78:79], v[108:109]
	v_add_f64 v[0:1], v[0:1], v[2:3]
	s_waitcnt vmcnt(9) lgkmcnt(0)
	v_mul_f64 v[2:3], v[82:83], v[102:103]
	v_add_f64 v[30:31], v[118:119], v[120:121]
	v_mul_f64 v[118:119], v[80:81], v[102:103]
	s_waitcnt vmcnt(8)
	v_fma_f64 v[2:3], v[80:81], v[104:105], -v[2:3]
	v_fmac_f64_e32 v[118:119], v[82:83], v[104:105]
	v_add_f64 v[0:1], v[0:1], v[2:3]
	s_waitcnt vmcnt(6)
	v_mul_f64 v[2:3], v[86:87], v[110:111]
	v_add_f64 v[30:31], v[30:31], v[118:119]
	v_mul_f64 v[118:119], v[84:85], v[110:111]
	s_waitcnt vmcnt(4)
	v_fma_f64 v[2:3], v[84:85], v[112:113], -v[2:3]
	v_fmac_f64_e32 v[118:119], v[86:87], v[112:113]
	v_add_f64 v[0:1], v[0:1], v[2:3]
	v_add_f64 v[30:31], v[30:31], v[118:119]
	s_waitcnt vmcnt(2)
	v_add_f64 v[0:1], v[114:115], -v[0:1]
	s_waitcnt vmcnt(0)
	v_add_f64 v[2:3], v[116:117], -v[30:31]
	buffer_store_dword v1, off, s[0:3], 0 offset:612
	buffer_store_dword v0, off, s[0:3], 0 offset:608
	buffer_store_dword v3, off, s[0:3], 0 offset:620
	buffer_store_dword v2, off, s[0:3], 0 offset:616
	s_and_saveexec_b64 s[4:5], vcc
	s_cbranch_execz .LBB115_253
; %bb.252:
	v_accvgpr_read_b32 v0, a119
	buffer_load_dword v2, v0, s[0:3], 0 offen
	buffer_load_dword v3, v0, s[0:3], 0 offen offset:4
	buffer_load_dword v4, v0, s[0:3], 0 offen offset:8
	;; [unrolled: 1-line block ×3, first 2 shown]
	v_mov_b32_e32 v0, 0
	v_accvgpr_read_b32 v1, a156
	buffer_store_dword v0, off, s[0:3], 0 offset:592
	buffer_store_dword v0, off, s[0:3], 0 offset:596
	;; [unrolled: 1-line block ×4, first 2 shown]
	s_waitcnt vmcnt(4)
	ds_write_b128 v1, v[2:5]
.LBB115_253:
	s_or_b64 exec, exec, s[4:5]
	s_waitcnt lgkmcnt(0)
	; wave barrier
	s_waitcnt lgkmcnt(0)
	buffer_load_dword v2, off, s[0:3], 0 offset:608
	buffer_load_dword v3, off, s[0:3], 0 offset:612
	;; [unrolled: 1-line block ×64, first 2 shown]
	v_mov_b32_e32 v46, 0
	ds_read_b128 v[38:41], v46 offset:1424
	ds_read_b128 v[42:45], v46 offset:1440
	;; [unrolled: 1-line block ×7, first 2 shown]
	v_cmp_lt_u32_e32 vcc, 35, v255
	s_waitcnt vmcnt(60) lgkmcnt(6)
	v_mul_f64 v[64:65], v[38:39], v[4:5]
	v_fmac_f64_e32 v[64:65], v[40:41], v[2:3]
	s_waitcnt vmcnt(58) lgkmcnt(5)
	v_mul_f64 v[66:67], v[42:43], v[6:7]
	v_add_f64 v[64:65], v[64:65], 0
	s_waitcnt vmcnt(56) lgkmcnt(4)
	v_mul_f64 v[68:69], v[48:49], v[8:9]
	v_mul_f64 v[4:5], v[40:41], v[4:5]
	s_waitcnt vmcnt(54) lgkmcnt(2)
	v_mul_f64 v[72:73], v[56:57], v[10:11]
	v_fma_f64 v[2:3], v[38:39], v[2:3], -v[4:5]
	v_mul_f64 v[4:5], v[44:45], v[6:7]
	s_waitcnt vmcnt(51)
	v_mul_f64 v[70:71], v[52:53], v[14:15]
	v_add_f64 v[2:3], v[2:3], 0
	s_waitcnt vmcnt(49)
	v_fmac_f64_e32 v[66:67], v[44:45], v[20:21]
	v_add_f64 v[64:65], v[64:65], v[66:67]
	s_waitcnt vmcnt(47)
	v_fmac_f64_e32 v[68:69], v[50:51], v[18:19]
	;; [unrolled: 3-line block ×4, first 2 shown]
	v_add_f64 v[68:69], v[64:65], v[72:73]
	ds_read_b128 v[64:67], v46 offset:1520
	s_waitcnt vmcnt(40) lgkmcnt(2)
	v_mul_f64 v[70:71], v[60:61], v[26:27]
	v_fma_f64 v[4:5], v[42:43], v[20:21], -v[4:5]
	s_waitcnt vmcnt(38)
	v_fmac_f64_e32 v[70:71], v[62:63], v[28:29]
	v_add_f64 v[72:73], v[68:69], v[70:71]
	ds_read_b128 v[68:71], v46 offset:1536
	s_waitcnt vmcnt(37) lgkmcnt(1)
	v_mul_f64 v[74:75], v[64:65], v[22:23]
	s_waitcnt vmcnt(36)
	v_fmac_f64_e32 v[74:75], v[66:67], v[24:25]
	v_add_f64 v[76:77], v[72:73], v[74:75]
	ds_read_b128 v[72:75], v46 offset:1552
	s_waitcnt vmcnt(32) lgkmcnt(1)
	v_mul_f64 v[78:79], v[68:69], v[34:35]
	v_add_f64 v[2:3], v[2:3], v[4:5]
	v_mul_f64 v[4:5], v[50:51], v[8:9]
	s_waitcnt vmcnt(30)
	v_fmac_f64_e32 v[78:79], v[70:71], v[36:37]
	v_fma_f64 v[4:5], v[48:49], v[18:19], -v[4:5]
	v_add_f64 v[80:81], v[76:77], v[78:79]
	ds_read_b128 v[76:79], v46 offset:1568
	v_add_f64 v[2:3], v[2:3], v[4:5]
	v_mul_f64 v[4:5], v[54:55], v[14:15]
	v_fma_f64 v[4:5], v[52:53], v[16:17], -v[4:5]
	v_add_f64 v[2:3], v[2:3], v[4:5]
	v_mul_f64 v[4:5], v[58:59], v[10:11]
	s_waitcnt vmcnt(29) lgkmcnt(1)
	v_mul_f64 v[82:83], v[72:73], v[30:31]
	v_fma_f64 v[4:5], v[56:57], v[12:13], -v[4:5]
	s_waitcnt vmcnt(28)
	v_fmac_f64_e32 v[82:83], v[74:75], v[32:33]
	v_add_f64 v[2:3], v[2:3], v[4:5]
	v_mul_f64 v[4:5], v[62:63], v[26:27]
	v_add_f64 v[84:85], v[80:81], v[82:83]
	ds_read_b128 v[80:83], v46 offset:1584
	s_waitcnt vmcnt(24) lgkmcnt(1)
	v_mul_f64 v[86:87], v[76:77], v[102:103]
	v_fma_f64 v[4:5], v[60:61], v[28:29], -v[4:5]
	s_waitcnt vmcnt(22)
	v_fmac_f64_e32 v[86:87], v[78:79], v[104:105]
	v_add_f64 v[2:3], v[2:3], v[4:5]
	v_mul_f64 v[4:5], v[66:67], v[22:23]
	v_add_f64 v[88:89], v[84:85], v[86:87]
	ds_read_b128 v[84:87], v46 offset:1600
	v_fma_f64 v[4:5], v[64:65], v[24:25], -v[4:5]
	v_add_f64 v[2:3], v[2:3], v[4:5]
	v_mul_f64 v[4:5], v[70:71], v[34:35]
	v_fma_f64 v[4:5], v[68:69], v[36:37], -v[4:5]
	s_waitcnt vmcnt(21) lgkmcnt(1)
	v_mul_f64 v[90:91], v[80:81], v[0:1]
	v_add_f64 v[2:3], v[2:3], v[4:5]
	v_mul_f64 v[4:5], v[74:75], v[30:31]
	s_waitcnt vmcnt(20)
	v_fmac_f64_e32 v[90:91], v[82:83], v[100:101]
	v_fma_f64 v[4:5], v[72:73], v[32:33], -v[4:5]
	v_add_f64 v[92:93], v[88:89], v[90:91]
	ds_read_b128 v[88:91], v46 offset:1616
	s_waitcnt vmcnt(16) lgkmcnt(1)
	v_mul_f64 v[94:95], v[84:85], v[110:111]
	v_add_f64 v[2:3], v[2:3], v[4:5]
	v_mul_f64 v[4:5], v[78:79], v[102:103]
	s_waitcnt vmcnt(14)
	v_fmac_f64_e32 v[94:95], v[86:87], v[112:113]
	v_fma_f64 v[4:5], v[76:77], v[104:105], -v[4:5]
	v_mul_f64 v[0:1], v[82:83], v[0:1]
	v_add_f64 v[126:127], v[92:93], v[94:95]
	ds_read_b128 v[92:95], v46 offset:1632
	v_add_f64 v[2:3], v[2:3], v[4:5]
	v_fma_f64 v[0:1], v[80:81], v[100:101], -v[0:1]
	v_add_f64 v[0:1], v[2:3], v[0:1]
	v_mul_f64 v[2:3], v[86:87], v[110:111]
	v_fma_f64 v[2:3], v[84:85], v[112:113], -v[2:3]
	v_add_f64 v[0:1], v[0:1], v[2:3]
	s_waitcnt vmcnt(13) lgkmcnt(1)
	v_mul_f64 v[2:3], v[90:91], v[106:107]
	v_mul_f64 v[128:129], v[88:89], v[106:107]
	s_waitcnt vmcnt(12)
	v_fma_f64 v[2:3], v[88:89], v[108:109], -v[2:3]
	v_fmac_f64_e32 v[128:129], v[90:91], v[108:109]
	v_add_f64 v[0:1], v[0:1], v[2:3]
	s_waitcnt vmcnt(8) lgkmcnt(0)
	v_mul_f64 v[2:3], v[94:95], v[118:119]
	v_add_f64 v[126:127], v[126:127], v[128:129]
	v_mul_f64 v[128:129], v[92:93], v[118:119]
	s_waitcnt vmcnt(6)
	v_fma_f64 v[2:3], v[92:93], v[120:121], -v[2:3]
	v_fmac_f64_e32 v[128:129], v[94:95], v[120:121]
	v_add_f64 v[0:1], v[0:1], v[2:3]
	s_waitcnt vmcnt(5)
	v_mul_f64 v[2:3], v[98:99], v[114:115]
	v_add_f64 v[126:127], v[126:127], v[128:129]
	v_mul_f64 v[128:129], v[96:97], v[114:115]
	s_waitcnt vmcnt(4)
	v_fma_f64 v[2:3], v[96:97], v[116:117], -v[2:3]
	v_fmac_f64_e32 v[128:129], v[98:99], v[116:117]
	v_add_f64 v[0:1], v[0:1], v[2:3]
	v_add_f64 v[126:127], v[126:127], v[128:129]
	s_waitcnt vmcnt(2)
	v_add_f64 v[0:1], v[122:123], -v[0:1]
	s_waitcnt vmcnt(0)
	v_add_f64 v[2:3], v[124:125], -v[126:127]
	buffer_store_dword v1, off, s[0:3], 0 offset:596
	buffer_store_dword v0, off, s[0:3], 0 offset:592
	;; [unrolled: 1-line block ×4, first 2 shown]
	s_and_saveexec_b64 s[4:5], vcc
	s_cbranch_execz .LBB115_255
; %bb.254:
	v_accvgpr_read_b32 v0, a120
	buffer_load_dword v2, v0, s[0:3], 0 offen
	buffer_load_dword v3, v0, s[0:3], 0 offen offset:4
	buffer_load_dword v4, v0, s[0:3], 0 offen offset:8
	;; [unrolled: 1-line block ×3, first 2 shown]
	v_accvgpr_read_b32 v0, a156
	buffer_store_dword v46, off, s[0:3], 0 offset:576
	buffer_store_dword v46, off, s[0:3], 0 offset:580
	;; [unrolled: 1-line block ×4, first 2 shown]
	s_waitcnt vmcnt(4)
	ds_write_b128 v0, v[2:5]
.LBB115_255:
	s_or_b64 exec, exec, s[4:5]
	s_waitcnt lgkmcnt(0)
	; wave barrier
	s_waitcnt lgkmcnt(0)
	buffer_load_dword v2, off, s[0:3], 0 offset:592
	buffer_load_dword v3, off, s[0:3], 0 offset:596
	;; [unrolled: 1-line block ×64, first 2 shown]
	ds_read_b128 v[48:51], v46 offset:1408
	ds_read_b128 v[52:55], v46 offset:1424
	;; [unrolled: 1-line block ×4, first 2 shown]
	buffer_load_dword v130, off, s[0:3], 0 offset:576
	buffer_load_dword v131, off, s[0:3], 0 offset:580
	;; [unrolled: 1-line block ×4, first 2 shown]
	v_cmp_lt_u32_e32 vcc, 34, v255
	ds_read_b128 v[108:111], v46 offset:1648
	s_waitcnt vmcnt(62) lgkmcnt(4)
	v_mul_f64 v[64:65], v[48:49], v[4:5]
	v_fmac_f64_e32 v[64:65], v[50:51], v[2:3]
	v_add_f64 v[64:65], v[64:65], 0
	s_waitcnt lgkmcnt(2)
	v_mul_f64 v[68:69], v[56:57], v[6:7]
	v_mul_f64 v[4:5], v[50:51], v[4:5]
	v_fma_f64 v[2:3], v[48:49], v[2:3], -v[4:5]
	s_waitcnt vmcnt(58) lgkmcnt(1)
	v_mul_f64 v[70:71], v[60:61], v[12:13]
	v_add_f64 v[2:3], v[2:3], 0
	s_waitcnt vmcnt(56)
	v_mul_f64 v[66:67], v[52:53], v[18:19]
	v_mul_f64 v[4:5], v[54:55], v[18:19]
	s_waitcnt vmcnt(53)
	v_fmac_f64_e32 v[68:69], v[58:59], v[16:17]
	s_waitcnt vmcnt(52)
	v_fmac_f64_e32 v[66:67], v[54:55], v[20:21]
	v_add_f64 v[72:73], v[64:65], v[66:67]
	ds_read_b128 v[64:67], v46 offset:1472
	v_add_f64 v[68:69], v[72:73], v[68:69]
	s_waitcnt vmcnt(50)
	v_fmac_f64_e32 v[70:71], v[62:63], v[14:15]
	v_add_f64 v[72:73], v[68:69], v[70:71]
	ds_read_b128 v[68:71], v46 offset:1488
	s_waitcnt vmcnt(49) lgkmcnt(1)
	v_mul_f64 v[74:75], v[64:65], v[8:9]
	s_waitcnt vmcnt(48)
	v_fmac_f64_e32 v[74:75], v[66:67], v[10:11]
	v_add_f64 v[76:77], v[72:73], v[74:75]
	ds_read_b128 v[72:75], v46 offset:1504
	s_waitcnt vmcnt(44) lgkmcnt(1)
	v_mul_f64 v[78:79], v[68:69], v[26:27]
	;; [unrolled: 6-line block ×3, first 2 shown]
	s_waitcnt vmcnt(40)
	v_fmac_f64_e32 v[82:83], v[74:75], v[24:25]
	v_add_f64 v[84:85], v[80:81], v[82:83]
	ds_read_b128 v[80:83], v46 offset:1536
	v_fma_f64 v[4:5], v[52:53], v[20:21], -v[4:5]
	s_waitcnt vmcnt(36) lgkmcnt(1)
	v_mul_f64 v[86:87], v[76:77], v[34:35]
	v_add_f64 v[2:3], v[2:3], v[4:5]
	v_mul_f64 v[4:5], v[58:59], v[6:7]
	s_waitcnt vmcnt(34)
	v_fmac_f64_e32 v[86:87], v[78:79], v[36:37]
	v_fma_f64 v[4:5], v[56:57], v[16:17], -v[4:5]
	v_add_f64 v[88:89], v[84:85], v[86:87]
	ds_read_b128 v[84:87], v46 offset:1552
	s_waitcnt vmcnt(33) lgkmcnt(1)
	v_mul_f64 v[90:91], v[80:81], v[30:31]
	v_add_f64 v[2:3], v[2:3], v[4:5]
	v_mul_f64 v[4:5], v[62:63], v[12:13]
	s_waitcnt vmcnt(32)
	v_fmac_f64_e32 v[90:91], v[82:83], v[32:33]
	v_fma_f64 v[4:5], v[60:61], v[14:15], -v[4:5]
	v_add_f64 v[92:93], v[88:89], v[90:91]
	ds_read_b128 v[88:91], v46 offset:1568
	v_add_f64 v[2:3], v[2:3], v[4:5]
	v_mul_f64 v[4:5], v[66:67], v[8:9]
	v_fma_f64 v[4:5], v[64:65], v[10:11], -v[4:5]
	v_add_f64 v[2:3], v[2:3], v[4:5]
	v_mul_f64 v[4:5], v[70:71], v[26:27]
	s_waitcnt vmcnt(28) lgkmcnt(1)
	v_mul_f64 v[94:95], v[84:85], v[42:43]
	v_fma_f64 v[4:5], v[68:69], v[28:29], -v[4:5]
	s_waitcnt vmcnt(26)
	v_fmac_f64_e32 v[94:95], v[86:87], v[44:45]
	v_add_f64 v[2:3], v[2:3], v[4:5]
	v_mul_f64 v[4:5], v[74:75], v[22:23]
	v_add_f64 v[96:97], v[92:93], v[94:95]
	ds_read_b128 v[92:95], v46 offset:1584
	s_waitcnt vmcnt(25) lgkmcnt(1)
	v_mul_f64 v[98:99], v[88:89], v[38:39]
	v_fma_f64 v[4:5], v[72:73], v[24:25], -v[4:5]
	s_waitcnt vmcnt(24)
	v_fmac_f64_e32 v[98:99], v[90:91], v[40:41]
	v_add_f64 v[2:3], v[2:3], v[4:5]
	v_mul_f64 v[4:5], v[78:79], v[34:35]
	v_add_f64 v[100:101], v[96:97], v[98:99]
	ds_read_b128 v[96:99], v46 offset:1600
	v_fma_f64 v[4:5], v[76:77], v[36:37], -v[4:5]
	v_add_f64 v[2:3], v[2:3], v[4:5]
	v_mul_f64 v[4:5], v[82:83], v[30:31]
	v_fma_f64 v[4:5], v[80:81], v[32:33], -v[4:5]
	s_waitcnt vmcnt(20) lgkmcnt(1)
	v_mul_f64 v[102:103], v[92:93], v[114:115]
	v_add_f64 v[2:3], v[2:3], v[4:5]
	v_mul_f64 v[4:5], v[86:87], v[42:43]
	s_waitcnt vmcnt(18)
	v_fmac_f64_e32 v[102:103], v[94:95], v[116:117]
	v_fma_f64 v[4:5], v[84:85], v[44:45], -v[4:5]
	v_add_f64 v[104:105], v[100:101], v[102:103]
	ds_read_b128 v[100:103], v46 offset:1616
	s_waitcnt vmcnt(17) lgkmcnt(1)
	v_mul_f64 v[106:107], v[96:97], v[0:1]
	v_add_f64 v[2:3], v[2:3], v[4:5]
	v_mul_f64 v[4:5], v[90:91], v[38:39]
	s_waitcnt vmcnt(16)
	v_fmac_f64_e32 v[106:107], v[98:99], v[112:113]
	v_fma_f64 v[4:5], v[88:89], v[40:41], -v[4:5]
	v_add_f64 v[134:135], v[104:105], v[106:107]
	ds_read_b128 v[104:107], v46 offset:1632
	v_add_f64 v[2:3], v[2:3], v[4:5]
	v_mul_f64 v[4:5], v[94:95], v[114:115]
	v_fma_f64 v[4:5], v[92:93], v[116:117], -v[4:5]
	v_mul_f64 v[0:1], v[98:99], v[0:1]
	v_add_f64 v[2:3], v[2:3], v[4:5]
	v_fma_f64 v[0:1], v[96:97], v[112:113], -v[0:1]
	v_add_f64 v[0:1], v[2:3], v[0:1]
	s_waitcnt vmcnt(12) lgkmcnt(1)
	v_mul_f64 v[2:3], v[102:103], v[122:123]
	v_mul_f64 v[136:137], v[100:101], v[122:123]
	s_waitcnt vmcnt(10)
	v_fma_f64 v[2:3], v[100:101], v[124:125], -v[2:3]
	v_fmac_f64_e32 v[136:137], v[102:103], v[124:125]
	v_add_f64 v[0:1], v[0:1], v[2:3]
	s_waitcnt vmcnt(9) lgkmcnt(0)
	v_mul_f64 v[2:3], v[106:107], v[118:119]
	v_add_f64 v[46:47], v[134:135], v[136:137]
	v_mul_f64 v[134:135], v[104:105], v[118:119]
	s_waitcnt vmcnt(8)
	v_fma_f64 v[2:3], v[104:105], v[120:121], -v[2:3]
	v_fmac_f64_e32 v[134:135], v[106:107], v[120:121]
	v_add_f64 v[0:1], v[0:1], v[2:3]
	s_waitcnt vmcnt(6)
	v_mul_f64 v[2:3], v[110:111], v[126:127]
	v_add_f64 v[46:47], v[46:47], v[134:135]
	v_mul_f64 v[134:135], v[108:109], v[126:127]
	s_waitcnt vmcnt(4)
	v_fma_f64 v[2:3], v[108:109], v[128:129], -v[2:3]
	v_fmac_f64_e32 v[134:135], v[110:111], v[128:129]
	v_add_f64 v[0:1], v[0:1], v[2:3]
	v_add_f64 v[46:47], v[46:47], v[134:135]
	s_waitcnt vmcnt(2)
	v_add_f64 v[0:1], v[130:131], -v[0:1]
	s_waitcnt vmcnt(0)
	v_add_f64 v[2:3], v[132:133], -v[46:47]
	buffer_store_dword v1, off, s[0:3], 0 offset:580
	buffer_store_dword v0, off, s[0:3], 0 offset:576
	;; [unrolled: 1-line block ×4, first 2 shown]
	s_and_saveexec_b64 s[4:5], vcc
	s_cbranch_execz .LBB115_257
; %bb.256:
	v_accvgpr_read_b32 v0, a121
	buffer_load_dword v2, v0, s[0:3], 0 offen
	buffer_load_dword v3, v0, s[0:3], 0 offen offset:4
	buffer_load_dword v4, v0, s[0:3], 0 offen offset:8
	;; [unrolled: 1-line block ×3, first 2 shown]
	v_mov_b32_e32 v0, 0
	v_accvgpr_read_b32 v1, a156
	buffer_store_dword v0, off, s[0:3], 0 offset:560
	buffer_store_dword v0, off, s[0:3], 0 offset:564
	;; [unrolled: 1-line block ×4, first 2 shown]
	s_waitcnt vmcnt(4)
	ds_write_b128 v1, v[2:5]
.LBB115_257:
	s_or_b64 exec, exec, s[4:5]
	s_waitcnt lgkmcnt(0)
	; wave barrier
	s_waitcnt lgkmcnt(0)
	buffer_load_dword v2, off, s[0:3], 0 offset:576
	buffer_load_dword v3, off, s[0:3], 0 offset:580
	;; [unrolled: 1-line block ×68, first 2 shown]
	v_mov_b32_e32 v52, 0
	buffer_load_dword v138, off, s[0:3], 0 offset:560
	buffer_load_dword v139, off, s[0:3], 0 offset:564
	;; [unrolled: 1-line block ×3, first 2 shown]
	ds_read_b128 v[46:49], v52 offset:1392
	ds_read_b128 v[54:57], v52 offset:1408
	buffer_load_dword v141, off, s[0:3], 0 offset:572
	ds_read_b128 v[58:61], v52 offset:1424
	ds_read_b128 v[62:65], v52 offset:1440
	;; [unrolled: 1-line block ×3, first 2 shown]
	v_cmp_lt_u32_e32 vcc, 33, v255
	s_waitcnt vmcnt(62) lgkmcnt(4)
	v_mul_f64 v[66:67], v[46:47], v[6:7]
	v_fmac_f64_e32 v[66:67], v[48:49], v[2:3]
	v_add_f64 v[66:67], v[66:67], 0
	v_mul_f64 v[6:7], v[48:49], v[6:7]
	s_waitcnt lgkmcnt(3)
	v_mul_f64 v[68:69], v[54:55], v[10:11]
	v_fmac_f64_e32 v[68:69], v[56:57], v[4:5]
	v_add_f64 v[66:67], v[66:67], v[68:69]
	v_fma_f64 v[2:3], v[46:47], v[2:3], -v[6:7]
	s_waitcnt vmcnt(60) lgkmcnt(2)
	v_mul_f64 v[68:69], v[58:59], v[12:13]
	v_fmac_f64_e32 v[68:69], v[60:61], v[8:9]
	v_add_f64 v[70:71], v[66:67], v[68:69]
	ds_read_b128 v[66:69], v52 offset:1456
	s_waitcnt vmcnt(56) lgkmcnt(2)
	v_mul_f64 v[72:73], v[62:63], v[18:19]
	v_mul_f64 v[6:7], v[56:57], v[10:11]
	s_waitcnt vmcnt(54)
	v_fmac_f64_e32 v[72:73], v[64:65], v[20:21]
	v_add_f64 v[74:75], v[70:71], v[72:73]
	ds_read_b128 v[70:73], v52 offset:1472
	s_waitcnt vmcnt(53) lgkmcnt(1)
	v_mul_f64 v[76:77], v[66:67], v[14:15]
	s_waitcnt vmcnt(52)
	v_fmac_f64_e32 v[76:77], v[68:69], v[16:17]
	v_add_f64 v[78:79], v[74:75], v[76:77]
	ds_read_b128 v[74:77], v52 offset:1488
	s_waitcnt vmcnt(48) lgkmcnt(1)
	;; [unrolled: 6-line block ×4, first 2 shown]
	v_mul_f64 v[88:89], v[78:79], v[34:35]
	s_waitcnt vmcnt(38)
	v_fmac_f64_e32 v[88:89], v[80:81], v[36:37]
	v_add_f64 v[90:91], v[86:87], v[88:89]
	ds_read_b128 v[86:89], v52 offset:1536
	v_add_f64 v[2:3], v[2:3], 0
	v_fma_f64 v[4:5], v[54:55], v[4:5], -v[6:7]
	v_add_f64 v[2:3], v[2:3], v[4:5]
	v_mul_f64 v[4:5], v[60:61], v[12:13]
	v_fma_f64 v[4:5], v[58:59], v[8:9], -v[4:5]
	s_waitcnt vmcnt(37) lgkmcnt(1)
	v_mul_f64 v[92:93], v[82:83], v[30:31]
	v_add_f64 v[2:3], v[2:3], v[4:5]
	v_mul_f64 v[4:5], v[64:65], v[18:19]
	s_waitcnt vmcnt(36)
	v_fmac_f64_e32 v[92:93], v[84:85], v[32:33]
	v_fma_f64 v[4:5], v[62:63], v[20:21], -v[4:5]
	v_add_f64 v[94:95], v[90:91], v[92:93]
	ds_read_b128 v[90:93], v52 offset:1552
	s_waitcnt vmcnt(32) lgkmcnt(1)
	v_mul_f64 v[96:97], v[86:87], v[42:43]
	v_add_f64 v[2:3], v[2:3], v[4:5]
	v_mul_f64 v[4:5], v[68:69], v[14:15]
	s_waitcnt vmcnt(30)
	v_fmac_f64_e32 v[96:97], v[88:89], v[44:45]
	v_fma_f64 v[4:5], v[66:67], v[16:17], -v[4:5]
	v_add_f64 v[98:99], v[94:95], v[96:97]
	ds_read_b128 v[94:97], v52 offset:1568
	v_add_f64 v[2:3], v[2:3], v[4:5]
	v_mul_f64 v[4:5], v[72:73], v[26:27]
	v_fma_f64 v[4:5], v[70:71], v[28:29], -v[4:5]
	v_add_f64 v[2:3], v[2:3], v[4:5]
	v_mul_f64 v[4:5], v[76:77], v[22:23]
	s_waitcnt vmcnt(29) lgkmcnt(1)
	v_mul_f64 v[100:101], v[90:91], v[38:39]
	v_fma_f64 v[4:5], v[74:75], v[24:25], -v[4:5]
	s_waitcnt vmcnt(28)
	v_fmac_f64_e32 v[100:101], v[92:93], v[40:41]
	v_add_f64 v[2:3], v[2:3], v[4:5]
	v_mul_f64 v[4:5], v[80:81], v[34:35]
	v_add_f64 v[102:103], v[98:99], v[100:101]
	ds_read_b128 v[98:101], v52 offset:1584
	s_waitcnt vmcnt(24) lgkmcnt(1)
	v_mul_f64 v[104:105], v[94:95], v[118:119]
	v_fma_f64 v[4:5], v[78:79], v[36:37], -v[4:5]
	s_waitcnt vmcnt(22)
	v_fmac_f64_e32 v[104:105], v[96:97], v[120:121]
	v_add_f64 v[2:3], v[2:3], v[4:5]
	v_mul_f64 v[4:5], v[84:85], v[30:31]
	v_add_f64 v[106:107], v[102:103], v[104:105]
	ds_read_b128 v[102:105], v52 offset:1600
	v_fma_f64 v[4:5], v[82:83], v[32:33], -v[4:5]
	v_add_f64 v[2:3], v[2:3], v[4:5]
	v_mul_f64 v[4:5], v[88:89], v[42:43]
	v_fma_f64 v[4:5], v[86:87], v[44:45], -v[4:5]
	s_waitcnt vmcnt(21) lgkmcnt(1)
	v_mul_f64 v[108:109], v[98:99], v[0:1]
	v_add_f64 v[2:3], v[2:3], v[4:5]
	v_mul_f64 v[4:5], v[92:93], v[38:39]
	s_waitcnt vmcnt(20)
	v_fmac_f64_e32 v[108:109], v[100:101], v[50:51]
	v_fma_f64 v[4:5], v[90:91], v[40:41], -v[4:5]
	v_add_f64 v[110:111], v[106:107], v[108:109]
	ds_read_b128 v[106:109], v52 offset:1616
	s_waitcnt vmcnt(16) lgkmcnt(1)
	v_mul_f64 v[112:113], v[102:103], v[126:127]
	v_add_f64 v[2:3], v[2:3], v[4:5]
	v_mul_f64 v[4:5], v[96:97], v[118:119]
	s_waitcnt vmcnt(14)
	v_fmac_f64_e32 v[112:113], v[104:105], v[128:129]
	v_fma_f64 v[4:5], v[94:95], v[120:121], -v[4:5]
	v_mul_f64 v[0:1], v[100:101], v[0:1]
	v_add_f64 v[142:143], v[110:111], v[112:113]
	ds_read_b128 v[110:113], v52 offset:1632
	v_add_f64 v[2:3], v[2:3], v[4:5]
	v_fma_f64 v[0:1], v[98:99], v[50:51], -v[0:1]
	v_add_f64 v[0:1], v[2:3], v[0:1]
	v_mul_f64 v[2:3], v[104:105], v[126:127]
	v_fma_f64 v[2:3], v[102:103], v[128:129], -v[2:3]
	v_add_f64 v[0:1], v[0:1], v[2:3]
	s_waitcnt vmcnt(13) lgkmcnt(1)
	v_mul_f64 v[2:3], v[108:109], v[122:123]
	v_mul_f64 v[144:145], v[106:107], v[122:123]
	s_waitcnt vmcnt(12)
	v_fma_f64 v[2:3], v[106:107], v[124:125], -v[2:3]
	v_fmac_f64_e32 v[144:145], v[108:109], v[124:125]
	v_add_f64 v[0:1], v[0:1], v[2:3]
	s_waitcnt vmcnt(8) lgkmcnt(0)
	v_mul_f64 v[2:3], v[112:113], v[134:135]
	v_add_f64 v[142:143], v[142:143], v[144:145]
	v_mul_f64 v[144:145], v[110:111], v[134:135]
	s_waitcnt vmcnt(6)
	v_fma_f64 v[2:3], v[110:111], v[136:137], -v[2:3]
	v_fmac_f64_e32 v[144:145], v[112:113], v[136:137]
	v_add_f64 v[0:1], v[0:1], v[2:3]
	s_waitcnt vmcnt(5)
	v_mul_f64 v[2:3], v[116:117], v[130:131]
	v_add_f64 v[142:143], v[142:143], v[144:145]
	v_mul_f64 v[144:145], v[114:115], v[130:131]
	s_waitcnt vmcnt(4)
	v_fma_f64 v[2:3], v[114:115], v[132:133], -v[2:3]
	v_fmac_f64_e32 v[144:145], v[116:117], v[132:133]
	v_add_f64 v[0:1], v[0:1], v[2:3]
	v_add_f64 v[142:143], v[142:143], v[144:145]
	s_waitcnt vmcnt(2)
	v_add_f64 v[0:1], v[138:139], -v[0:1]
	s_waitcnt vmcnt(0)
	v_add_f64 v[2:3], v[140:141], -v[142:143]
	buffer_store_dword v1, off, s[0:3], 0 offset:564
	buffer_store_dword v0, off, s[0:3], 0 offset:560
	;; [unrolled: 1-line block ×4, first 2 shown]
	s_and_saveexec_b64 s[4:5], vcc
	s_cbranch_execz .LBB115_259
; %bb.258:
	v_accvgpr_read_b32 v0, a122
	buffer_load_dword v2, v0, s[0:3], 0 offen
	buffer_load_dword v3, v0, s[0:3], 0 offen offset:4
	buffer_load_dword v4, v0, s[0:3], 0 offen offset:8
	;; [unrolled: 1-line block ×3, first 2 shown]
	v_accvgpr_read_b32 v0, a156
	buffer_store_dword v52, off, s[0:3], 0 offset:544
	buffer_store_dword v52, off, s[0:3], 0 offset:548
	;; [unrolled: 1-line block ×4, first 2 shown]
	s_waitcnt vmcnt(4)
	ds_write_b128 v0, v[2:5]
.LBB115_259:
	s_or_b64 exec, exec, s[4:5]
	s_waitcnt lgkmcnt(0)
	; wave barrier
	s_waitcnt lgkmcnt(0)
	buffer_load_dword v2, off, s[0:3], 0 offset:560
	buffer_load_dword v3, off, s[0:3], 0 offset:564
	;; [unrolled: 1-line block ×72, first 2 shown]
	ds_read_b128 v[54:57], v52 offset:1376
	buffer_load_dword v146, off, s[0:3], 0 offset:544
	buffer_load_dword v147, off, s[0:3], 0 offset:548
	;; [unrolled: 1-line block ×4, first 2 shown]
	ds_read_b128 v[58:61], v52 offset:1392
	ds_read_b128 v[62:65], v52 offset:1408
	;; [unrolled: 1-line block ×3, first 2 shown]
	v_cmp_lt_u32_e32 vcc, 32, v255
	ds_read_b128 v[122:125], v52 offset:1648
	s_waitcnt vmcnt(62) lgkmcnt(4)
	v_mul_f64 v[70:71], v[54:55], v[8:9]
	v_fmac_f64_e32 v[70:71], v[56:57], v[2:3]
	v_add_f64 v[70:71], v[70:71], 0
	v_mul_f64 v[8:9], v[56:57], v[8:9]
	s_waitcnt lgkmcnt(3)
	v_mul_f64 v[72:73], v[58:59], v[10:11]
	v_fmac_f64_e32 v[72:73], v[60:61], v[4:5]
	v_add_f64 v[70:71], v[70:71], v[72:73]
	v_fma_f64 v[2:3], v[54:55], v[2:3], -v[8:9]
	s_waitcnt lgkmcnt(2)
	v_mul_f64 v[72:73], v[62:63], v[12:13]
	v_fmac_f64_e32 v[72:73], v[64:65], v[6:7]
	v_add_f64 v[74:75], v[70:71], v[72:73]
	ds_read_b128 v[70:73], v52 offset:1440
	s_waitcnt vmcnt(60) lgkmcnt(2)
	v_mul_f64 v[76:77], v[66:67], v[18:19]
	v_mul_f64 v[8:9], v[60:61], v[10:11]
	s_waitcnt vmcnt(58)
	v_fmac_f64_e32 v[76:77], v[68:69], v[20:21]
	v_add_f64 v[78:79], v[74:75], v[76:77]
	ds_read_b128 v[74:77], v52 offset:1456
	s_waitcnt vmcnt(57) lgkmcnt(1)
	v_mul_f64 v[80:81], v[70:71], v[14:15]
	s_waitcnt vmcnt(56)
	v_fmac_f64_e32 v[80:81], v[72:73], v[16:17]
	v_add_f64 v[82:83], v[78:79], v[80:81]
	ds_read_b128 v[78:81], v52 offset:1472
	s_waitcnt vmcnt(52) lgkmcnt(1)
	;; [unrolled: 6-line block ×4, first 2 shown]
	v_mul_f64 v[92:93], v[82:83], v[34:35]
	s_waitcnt vmcnt(42)
	v_fmac_f64_e32 v[92:93], v[84:85], v[36:37]
	v_add_f64 v[2:3], v[2:3], 0
	v_fma_f64 v[4:5], v[58:59], v[4:5], -v[8:9]
	v_add_f64 v[94:95], v[90:91], v[92:93]
	ds_read_b128 v[90:93], v52 offset:1520
	s_waitcnt vmcnt(41) lgkmcnt(1)
	v_mul_f64 v[96:97], v[86:87], v[30:31]
	v_add_f64 v[2:3], v[2:3], v[4:5]
	v_mul_f64 v[4:5], v[64:65], v[12:13]
	s_waitcnt vmcnt(40)
	v_fmac_f64_e32 v[96:97], v[88:89], v[32:33]
	v_fma_f64 v[4:5], v[62:63], v[6:7], -v[4:5]
	v_add_f64 v[98:99], v[94:95], v[96:97]
	ds_read_b128 v[94:97], v52 offset:1536
	v_add_f64 v[2:3], v[2:3], v[4:5]
	v_mul_f64 v[4:5], v[68:69], v[18:19]
	v_fma_f64 v[4:5], v[66:67], v[20:21], -v[4:5]
	v_add_f64 v[2:3], v[2:3], v[4:5]
	v_mul_f64 v[4:5], v[72:73], v[14:15]
	s_waitcnt vmcnt(36) lgkmcnt(1)
	v_mul_f64 v[100:101], v[90:91], v[42:43]
	v_fma_f64 v[4:5], v[70:71], v[16:17], -v[4:5]
	s_waitcnt vmcnt(34)
	v_fmac_f64_e32 v[100:101], v[92:93], v[44:45]
	v_add_f64 v[2:3], v[2:3], v[4:5]
	v_mul_f64 v[4:5], v[76:77], v[26:27]
	v_add_f64 v[102:103], v[98:99], v[100:101]
	ds_read_b128 v[98:101], v52 offset:1552
	s_waitcnt vmcnt(33) lgkmcnt(1)
	v_mul_f64 v[104:105], v[94:95], v[38:39]
	v_fma_f64 v[4:5], v[74:75], v[28:29], -v[4:5]
	s_waitcnt vmcnt(32)
	v_fmac_f64_e32 v[104:105], v[96:97], v[40:41]
	v_add_f64 v[2:3], v[2:3], v[4:5]
	v_mul_f64 v[4:5], v[80:81], v[22:23]
	v_add_f64 v[106:107], v[102:103], v[104:105]
	ds_read_b128 v[102:105], v52 offset:1568
	v_fma_f64 v[4:5], v[78:79], v[24:25], -v[4:5]
	v_add_f64 v[2:3], v[2:3], v[4:5]
	v_mul_f64 v[4:5], v[84:85], v[34:35]
	v_fma_f64 v[4:5], v[82:83], v[36:37], -v[4:5]
	s_waitcnt vmcnt(28) lgkmcnt(1)
	v_mul_f64 v[108:109], v[98:99], v[50:51]
	v_add_f64 v[2:3], v[2:3], v[4:5]
	v_mul_f64 v[4:5], v[88:89], v[30:31]
	s_waitcnt vmcnt(26)
	v_fmac_f64_e32 v[108:109], v[100:101], v[0:1]
	v_fma_f64 v[4:5], v[86:87], v[32:33], -v[4:5]
	v_add_f64 v[110:111], v[106:107], v[108:109]
	ds_read_b128 v[106:109], v52 offset:1584
	s_waitcnt vmcnt(25) lgkmcnt(1)
	v_mul_f64 v[112:113], v[102:103], v[46:47]
	v_add_f64 v[2:3], v[2:3], v[4:5]
	v_mul_f64 v[4:5], v[92:93], v[42:43]
	s_waitcnt vmcnt(24)
	v_fmac_f64_e32 v[112:113], v[104:105], v[48:49]
	v_fma_f64 v[4:5], v[90:91], v[44:45], -v[4:5]
	v_add_f64 v[114:115], v[110:111], v[112:113]
	ds_read_b128 v[110:113], v52 offset:1600
	v_add_f64 v[2:3], v[2:3], v[4:5]
	v_mul_f64 v[4:5], v[96:97], v[38:39]
	v_fma_f64 v[4:5], v[94:95], v[40:41], -v[4:5]
	v_add_f64 v[2:3], v[2:3], v[4:5]
	v_mul_f64 v[4:5], v[100:101], v[50:51]
	s_waitcnt vmcnt(20) lgkmcnt(1)
	v_mul_f64 v[116:117], v[106:107], v[130:131]
	v_fma_f64 v[0:1], v[98:99], v[0:1], -v[4:5]
	s_waitcnt vmcnt(18)
	v_fmac_f64_e32 v[116:117], v[108:109], v[132:133]
	v_add_f64 v[0:1], v[2:3], v[0:1]
	v_mul_f64 v[2:3], v[104:105], v[46:47]
	v_add_f64 v[118:119], v[114:115], v[116:117]
	ds_read_b128 v[114:117], v52 offset:1616
	s_waitcnt vmcnt(17) lgkmcnt(1)
	v_mul_f64 v[120:121], v[110:111], v[126:127]
	v_fma_f64 v[2:3], v[102:103], v[48:49], -v[2:3]
	s_waitcnt vmcnt(16)
	v_fmac_f64_e32 v[120:121], v[112:113], v[128:129]
	v_add_f64 v[0:1], v[0:1], v[2:3]
	v_mul_f64 v[2:3], v[108:109], v[130:131]
	v_add_f64 v[150:151], v[118:119], v[120:121]
	ds_read_b128 v[118:121], v52 offset:1632
	v_fma_f64 v[2:3], v[106:107], v[132:133], -v[2:3]
	v_add_f64 v[0:1], v[0:1], v[2:3]
	v_mul_f64 v[2:3], v[112:113], v[126:127]
	v_fma_f64 v[2:3], v[110:111], v[128:129], -v[2:3]
	v_add_f64 v[0:1], v[0:1], v[2:3]
	s_waitcnt vmcnt(12) lgkmcnt(1)
	v_mul_f64 v[2:3], v[116:117], v[138:139]
	v_mul_f64 v[152:153], v[114:115], v[138:139]
	s_waitcnt vmcnt(10)
	v_fma_f64 v[2:3], v[114:115], v[140:141], -v[2:3]
	v_fmac_f64_e32 v[152:153], v[116:117], v[140:141]
	v_add_f64 v[0:1], v[0:1], v[2:3]
	s_waitcnt vmcnt(9) lgkmcnt(0)
	v_mul_f64 v[2:3], v[120:121], v[134:135]
	v_add_f64 v[52:53], v[150:151], v[152:153]
	v_mul_f64 v[150:151], v[118:119], v[134:135]
	s_waitcnt vmcnt(8)
	v_fma_f64 v[2:3], v[118:119], v[136:137], -v[2:3]
	v_fmac_f64_e32 v[150:151], v[120:121], v[136:137]
	v_add_f64 v[0:1], v[0:1], v[2:3]
	s_waitcnt vmcnt(6)
	v_mul_f64 v[2:3], v[124:125], v[142:143]
	v_add_f64 v[52:53], v[52:53], v[150:151]
	v_mul_f64 v[150:151], v[122:123], v[142:143]
	s_waitcnt vmcnt(4)
	v_fma_f64 v[2:3], v[122:123], v[144:145], -v[2:3]
	v_fmac_f64_e32 v[150:151], v[124:125], v[144:145]
	v_add_f64 v[0:1], v[0:1], v[2:3]
	v_add_f64 v[52:53], v[52:53], v[150:151]
	s_waitcnt vmcnt(2)
	v_add_f64 v[0:1], v[146:147], -v[0:1]
	s_waitcnt vmcnt(0)
	v_add_f64 v[2:3], v[148:149], -v[52:53]
	buffer_store_dword v1, off, s[0:3], 0 offset:548
	buffer_store_dword v0, off, s[0:3], 0 offset:544
	;; [unrolled: 1-line block ×4, first 2 shown]
	s_and_saveexec_b64 s[4:5], vcc
	s_cbranch_execz .LBB115_261
; %bb.260:
	v_accvgpr_read_b32 v0, a123
	buffer_load_dword v2, v0, s[0:3], 0 offen
	buffer_load_dword v3, v0, s[0:3], 0 offen offset:4
	buffer_load_dword v4, v0, s[0:3], 0 offen offset:8
	;; [unrolled: 1-line block ×3, first 2 shown]
	v_mov_b32_e32 v0, 0
	v_accvgpr_read_b32 v1, a156
	buffer_store_dword v0, off, s[0:3], 0 offset:528
	buffer_store_dword v0, off, s[0:3], 0 offset:532
	;; [unrolled: 1-line block ×4, first 2 shown]
	s_waitcnt vmcnt(4)
	ds_write_b128 v1, v[2:5]
.LBB115_261:
	s_or_b64 exec, exec, s[4:5]
	s_waitcnt lgkmcnt(0)
	; wave barrier
	s_waitcnt lgkmcnt(0)
	buffer_load_dword v2, off, s[0:3], 0 offset:544
	buffer_load_dword v3, off, s[0:3], 0 offset:548
	;; [unrolled: 1-line block ×76, first 2 shown]
	v_mov_b32_e32 v54, 0
	ds_read_b128 v[56:59], v54 offset:1360
	buffer_load_dword v154, off, s[0:3], 0 offset:528
	buffer_load_dword v155, off, s[0:3], 0 offset:532
	;; [unrolled: 1-line block ×4, first 2 shown]
	ds_read_b128 v[60:63], v54 offset:1376
	ds_read_b128 v[64:67], v54 offset:1392
	;; [unrolled: 1-line block ×4, first 2 shown]
	v_cmp_lt_u32_e32 vcc, 31, v255
	s_waitcnt vmcnt(62) lgkmcnt(4)
	v_mul_f64 v[72:73], v[56:57], v[8:9]
	v_fmac_f64_e32 v[72:73], v[58:59], v[2:3]
	v_add_f64 v[72:73], v[72:73], 0
	v_mul_f64 v[8:9], v[58:59], v[8:9]
	s_waitcnt lgkmcnt(3)
	v_mul_f64 v[74:75], v[60:61], v[10:11]
	v_fmac_f64_e32 v[74:75], v[62:63], v[4:5]
	v_add_f64 v[72:73], v[72:73], v[74:75]
	v_fma_f64 v[2:3], v[56:57], v[2:3], -v[8:9]
	s_waitcnt lgkmcnt(2)
	v_mul_f64 v[74:75], v[64:65], v[12:13]
	v_fmac_f64_e32 v[74:75], v[66:67], v[6:7]
	v_add_f64 v[76:77], v[72:73], v[74:75]
	ds_read_b128 v[72:75], v54 offset:1424
	s_waitcnt lgkmcnt(2)
	v_mul_f64 v[78:79], v[68:69], v[18:19]
	v_mul_f64 v[8:9], v[62:63], v[10:11]
	v_fmac_f64_e32 v[78:79], v[70:71], v[20:21]
	v_add_f64 v[80:81], v[76:77], v[78:79]
	ds_read_b128 v[76:79], v54 offset:1440
	s_waitcnt vmcnt(61) lgkmcnt(1)
	v_mul_f64 v[82:83], v[72:73], v[14:15]
	s_waitcnt vmcnt(60)
	v_fmac_f64_e32 v[82:83], v[74:75], v[16:17]
	v_add_f64 v[84:85], v[80:81], v[82:83]
	ds_read_b128 v[80:83], v54 offset:1456
	s_waitcnt vmcnt(56) lgkmcnt(1)
	v_mul_f64 v[86:87], v[76:77], v[26:27]
	s_waitcnt vmcnt(54)
	;; [unrolled: 6-line block ×4, first 2 shown]
	v_fmac_f64_e32 v[94:95], v[86:87], v[36:37]
	v_add_f64 v[96:97], v[92:93], v[94:95]
	ds_read_b128 v[92:95], v54 offset:1504
	s_waitcnt vmcnt(45) lgkmcnt(1)
	v_mul_f64 v[98:99], v[88:89], v[30:31]
	v_add_f64 v[2:3], v[2:3], 0
	v_fma_f64 v[4:5], v[60:61], v[4:5], -v[8:9]
	s_waitcnt vmcnt(44)
	v_fmac_f64_e32 v[98:99], v[90:91], v[32:33]
	v_add_f64 v[2:3], v[2:3], v[4:5]
	v_mul_f64 v[4:5], v[66:67], v[12:13]
	v_add_f64 v[100:101], v[96:97], v[98:99]
	ds_read_b128 v[96:99], v54 offset:1520
	s_waitcnt vmcnt(40) lgkmcnt(1)
	v_mul_f64 v[102:103], v[92:93], v[42:43]
	v_fma_f64 v[4:5], v[64:65], v[6:7], -v[4:5]
	s_waitcnt vmcnt(38)
	v_fmac_f64_e32 v[102:103], v[94:95], v[44:45]
	v_add_f64 v[2:3], v[2:3], v[4:5]
	v_mul_f64 v[4:5], v[70:71], v[18:19]
	v_add_f64 v[104:105], v[100:101], v[102:103]
	ds_read_b128 v[100:103], v54 offset:1536
	v_fma_f64 v[4:5], v[68:69], v[20:21], -v[4:5]
	v_add_f64 v[2:3], v[2:3], v[4:5]
	v_mul_f64 v[4:5], v[74:75], v[14:15]
	v_fma_f64 v[4:5], v[72:73], v[16:17], -v[4:5]
	s_waitcnt vmcnt(37) lgkmcnt(1)
	v_mul_f64 v[106:107], v[96:97], v[38:39]
	v_add_f64 v[2:3], v[2:3], v[4:5]
	v_mul_f64 v[4:5], v[78:79], v[26:27]
	s_waitcnt vmcnt(36)
	v_fmac_f64_e32 v[106:107], v[98:99], v[40:41]
	v_fma_f64 v[4:5], v[76:77], v[28:29], -v[4:5]
	v_add_f64 v[108:109], v[104:105], v[106:107]
	ds_read_b128 v[104:107], v54 offset:1552
	s_waitcnt vmcnt(32) lgkmcnt(1)
	v_mul_f64 v[110:111], v[100:101], v[50:51]
	v_add_f64 v[2:3], v[2:3], v[4:5]
	v_mul_f64 v[4:5], v[82:83], v[22:23]
	s_waitcnt vmcnt(30)
	v_fmac_f64_e32 v[110:111], v[102:103], v[52:53]
	v_fma_f64 v[4:5], v[80:81], v[24:25], -v[4:5]
	v_add_f64 v[112:113], v[108:109], v[110:111]
	ds_read_b128 v[108:111], v54 offset:1568
	v_add_f64 v[2:3], v[2:3], v[4:5]
	v_mul_f64 v[4:5], v[86:87], v[34:35]
	v_fma_f64 v[4:5], v[84:85], v[36:37], -v[4:5]
	v_add_f64 v[2:3], v[2:3], v[4:5]
	v_mul_f64 v[4:5], v[90:91], v[30:31]
	s_waitcnt vmcnt(29) lgkmcnt(1)
	v_mul_f64 v[114:115], v[104:105], v[46:47]
	v_fma_f64 v[4:5], v[88:89], v[32:33], -v[4:5]
	s_waitcnt vmcnt(28)
	v_fmac_f64_e32 v[114:115], v[106:107], v[48:49]
	v_add_f64 v[2:3], v[2:3], v[4:5]
	v_mul_f64 v[4:5], v[94:95], v[42:43]
	v_add_f64 v[116:117], v[112:113], v[114:115]
	ds_read_b128 v[112:115], v54 offset:1584
	s_waitcnt vmcnt(24) lgkmcnt(1)
	v_mul_f64 v[118:119], v[108:109], v[134:135]
	v_fma_f64 v[4:5], v[92:93], v[44:45], -v[4:5]
	s_waitcnt vmcnt(22)
	v_fmac_f64_e32 v[118:119], v[110:111], v[136:137]
	v_add_f64 v[2:3], v[2:3], v[4:5]
	v_mul_f64 v[4:5], v[98:99], v[38:39]
	v_add_f64 v[120:121], v[116:117], v[118:119]
	ds_read_b128 v[116:119], v54 offset:1600
	v_fma_f64 v[4:5], v[96:97], v[40:41], -v[4:5]
	v_add_f64 v[2:3], v[2:3], v[4:5]
	v_mul_f64 v[4:5], v[102:103], v[50:51]
	v_fma_f64 v[4:5], v[100:101], v[52:53], -v[4:5]
	s_waitcnt vmcnt(21) lgkmcnt(1)
	v_mul_f64 v[122:123], v[112:113], v[0:1]
	v_add_f64 v[2:3], v[2:3], v[4:5]
	v_mul_f64 v[4:5], v[106:107], v[46:47]
	s_waitcnt vmcnt(20)
	v_fmac_f64_e32 v[122:123], v[114:115], v[132:133]
	v_fma_f64 v[4:5], v[104:105], v[48:49], -v[4:5]
	v_add_f64 v[124:125], v[120:121], v[122:123]
	ds_read_b128 v[120:123], v54 offset:1616
	s_waitcnt vmcnt(16) lgkmcnt(1)
	v_mul_f64 v[126:127], v[116:117], v[142:143]
	v_add_f64 v[2:3], v[2:3], v[4:5]
	v_mul_f64 v[4:5], v[110:111], v[134:135]
	s_waitcnt vmcnt(14)
	v_fmac_f64_e32 v[126:127], v[118:119], v[144:145]
	v_fma_f64 v[4:5], v[108:109], v[136:137], -v[4:5]
	v_mul_f64 v[0:1], v[114:115], v[0:1]
	v_add_f64 v[158:159], v[124:125], v[126:127]
	ds_read_b128 v[124:127], v54 offset:1632
	v_add_f64 v[2:3], v[2:3], v[4:5]
	v_fma_f64 v[0:1], v[112:113], v[132:133], -v[0:1]
	v_add_f64 v[0:1], v[2:3], v[0:1]
	v_mul_f64 v[2:3], v[118:119], v[142:143]
	v_fma_f64 v[2:3], v[116:117], v[144:145], -v[2:3]
	v_add_f64 v[0:1], v[0:1], v[2:3]
	s_waitcnt vmcnt(13) lgkmcnt(1)
	v_mul_f64 v[2:3], v[122:123], v[138:139]
	v_mul_f64 v[160:161], v[120:121], v[138:139]
	s_waitcnt vmcnt(12)
	v_fma_f64 v[2:3], v[120:121], v[140:141], -v[2:3]
	v_fmac_f64_e32 v[160:161], v[122:123], v[140:141]
	v_add_f64 v[0:1], v[0:1], v[2:3]
	s_waitcnt vmcnt(8) lgkmcnt(0)
	v_mul_f64 v[2:3], v[126:127], v[150:151]
	v_add_f64 v[158:159], v[158:159], v[160:161]
	v_mul_f64 v[160:161], v[124:125], v[150:151]
	s_waitcnt vmcnt(6)
	v_fma_f64 v[2:3], v[124:125], v[152:153], -v[2:3]
	v_fmac_f64_e32 v[160:161], v[126:127], v[152:153]
	v_add_f64 v[0:1], v[0:1], v[2:3]
	s_waitcnt vmcnt(5)
	v_mul_f64 v[2:3], v[130:131], v[146:147]
	v_add_f64 v[158:159], v[158:159], v[160:161]
	v_mul_f64 v[160:161], v[128:129], v[146:147]
	s_waitcnt vmcnt(4)
	v_fma_f64 v[2:3], v[128:129], v[148:149], -v[2:3]
	v_fmac_f64_e32 v[160:161], v[130:131], v[148:149]
	v_add_f64 v[0:1], v[0:1], v[2:3]
	v_add_f64 v[158:159], v[158:159], v[160:161]
	s_waitcnt vmcnt(2)
	v_add_f64 v[0:1], v[154:155], -v[0:1]
	s_waitcnt vmcnt(0)
	v_add_f64 v[2:3], v[156:157], -v[158:159]
	buffer_store_dword v1, off, s[0:3], 0 offset:532
	buffer_store_dword v0, off, s[0:3], 0 offset:528
	;; [unrolled: 1-line block ×4, first 2 shown]
	s_and_saveexec_b64 s[4:5], vcc
	s_cbranch_execz .LBB115_263
; %bb.262:
	v_accvgpr_read_b32 v0, a124
	buffer_load_dword v2, v0, s[0:3], 0 offen
	buffer_load_dword v3, v0, s[0:3], 0 offen offset:4
	buffer_load_dword v4, v0, s[0:3], 0 offen offset:8
	;; [unrolled: 1-line block ×3, first 2 shown]
	v_accvgpr_read_b32 v0, a156
	buffer_store_dword v54, off, s[0:3], 0 offset:512
	buffer_store_dword v54, off, s[0:3], 0 offset:516
	;; [unrolled: 1-line block ×4, first 2 shown]
	s_waitcnt vmcnt(4)
	ds_write_b128 v0, v[2:5]
.LBB115_263:
	s_or_b64 exec, exec, s[4:5]
	s_waitcnt lgkmcnt(0)
	; wave barrier
	s_waitcnt lgkmcnt(0)
	buffer_load_dword v2, off, s[0:3], 0 offset:528
	buffer_load_dword v3, off, s[0:3], 0 offset:532
	buffer_load_dword v8, off, s[0:3], 0 offset:536
	buffer_load_dword v9, off, s[0:3], 0 offset:540
	buffer_load_dword v4, off, s[0:3], 0 offset:544
	buffer_load_dword v5, off, s[0:3], 0 offset:548
	buffer_load_dword v10, off, s[0:3], 0 offset:552
	buffer_load_dword v11, off, s[0:3], 0 offset:556
	buffer_load_dword v6, off, s[0:3], 0 offset:560
	buffer_load_dword v7, off, s[0:3], 0 offset:564
	buffer_load_dword v12, off, s[0:3], 0 offset:568
	buffer_load_dword v13, off, s[0:3], 0 offset:572
	buffer_load_dword v15, off, s[0:3], 0 offset:604
	buffer_load_dword v14, off, s[0:3], 0 offset:600
	buffer_load_dword v17, off, s[0:3], 0 offset:596
	buffer_load_dword v16, off, s[0:3], 0 offset:592
	buffer_load_dword v19, off, s[0:3], 0 offset:588
	buffer_load_dword v18, off, s[0:3], 0 offset:584
	buffer_load_dword v21, off, s[0:3], 0 offset:580
	buffer_load_dword v20, off, s[0:3], 0 offset:576
	buffer_load_dword v23, off, s[0:3], 0 offset:636
	buffer_load_dword v22, off, s[0:3], 0 offset:632
	buffer_load_dword v25, off, s[0:3], 0 offset:628
	buffer_load_dword v24, off, s[0:3], 0 offset:624
	buffer_load_dword v27, off, s[0:3], 0 offset:620
	buffer_load_dword v26, off, s[0:3], 0 offset:616
	buffer_load_dword v29, off, s[0:3], 0 offset:612
	buffer_load_dword v28, off, s[0:3], 0 offset:608
	buffer_load_dword v31, off, s[0:3], 0 offset:668
	buffer_load_dword v30, off, s[0:3], 0 offset:664
	buffer_load_dword v33, off, s[0:3], 0 offset:660
	buffer_load_dword v32, off, s[0:3], 0 offset:656
	buffer_load_dword v35, off, s[0:3], 0 offset:652
	buffer_load_dword v34, off, s[0:3], 0 offset:648
	buffer_load_dword v37, off, s[0:3], 0 offset:644
	buffer_load_dword v36, off, s[0:3], 0 offset:640
	buffer_load_dword v39, off, s[0:3], 0 offset:700
	buffer_load_dword v38, off, s[0:3], 0 offset:696
	buffer_load_dword v41, off, s[0:3], 0 offset:692
	buffer_load_dword v40, off, s[0:3], 0 offset:688
	buffer_load_dword v43, off, s[0:3], 0 offset:684
	buffer_load_dword v42, off, s[0:3], 0 offset:680
	buffer_load_dword v45, off, s[0:3], 0 offset:676
	buffer_load_dword v44, off, s[0:3], 0 offset:672
	buffer_load_dword v47, off, s[0:3], 0 offset:732
	buffer_load_dword v46, off, s[0:3], 0 offset:728
	buffer_load_dword v49, off, s[0:3], 0 offset:724
	buffer_load_dword v48, off, s[0:3], 0 offset:720
	buffer_load_dword v51, off, s[0:3], 0 offset:716
	buffer_load_dword v50, off, s[0:3], 0 offset:712
	buffer_load_dword v53, off, s[0:3], 0 offset:708
	buffer_load_dword v52, off, s[0:3], 0 offset:704
	buffer_load_dword v1, off, s[0:3], 0 offset:764
	buffer_load_dword v0, off, s[0:3], 0 offset:760
	buffer_load_dword v137, off, s[0:3], 0 offset:756
	buffer_load_dword v136, off, s[0:3], 0 offset:752
	buffer_load_dword v139, off, s[0:3], 0 offset:748
	buffer_load_dword v138, off, s[0:3], 0 offset:744
	buffer_load_dword v141, off, s[0:3], 0 offset:740
	buffer_load_dword v140, off, s[0:3], 0 offset:736
	buffer_load_dword v143, off, s[0:3], 0 offset:796
	buffer_load_dword v142, off, s[0:3], 0 offset:792
	buffer_load_dword v145, off, s[0:3], 0 offset:788
	buffer_load_dword v144, off, s[0:3], 0 offset:784
	buffer_load_dword v147, off, s[0:3], 0 offset:780
	buffer_load_dword v146, off, s[0:3], 0 offset:776
	buffer_load_dword v149, off, s[0:3], 0 offset:772
	buffer_load_dword v148, off, s[0:3], 0 offset:768
	buffer_load_dword v151, off, s[0:3], 0 offset:828
	buffer_load_dword v150, off, s[0:3], 0 offset:824
	buffer_load_dword v153, off, s[0:3], 0 offset:820
	buffer_load_dword v152, off, s[0:3], 0 offset:816
	buffer_load_dword v155, off, s[0:3], 0 offset:812
	buffer_load_dword v154, off, s[0:3], 0 offset:808
	buffer_load_dword v157, off, s[0:3], 0 offset:804
	buffer_load_dword v156, off, s[0:3], 0 offset:800
	ds_read_b128 v[56:59], v54 offset:1344
	buffer_load_dword v159, off, s[0:3], 0 offset:844
	buffer_load_dword v158, off, s[0:3], 0 offset:840
	;; [unrolled: 1-line block ×8, first 2 shown]
	ds_read_b128 v[60:63], v54 offset:1360
	ds_read_b128 v[64:67], v54 offset:1376
	;; [unrolled: 1-line block ×3, first 2 shown]
	v_cmp_lt_u32_e32 vcc, 30, v255
	ds_read_b128 v[132:135], v54 offset:1648
	s_waitcnt vmcnt(62) lgkmcnt(4)
	v_mul_f64 v[72:73], v[56:57], v[8:9]
	v_fmac_f64_e32 v[72:73], v[58:59], v[2:3]
	v_add_f64 v[72:73], v[72:73], 0
	v_mul_f64 v[8:9], v[58:59], v[8:9]
	s_waitcnt lgkmcnt(3)
	v_mul_f64 v[74:75], v[60:61], v[10:11]
	v_fmac_f64_e32 v[74:75], v[62:63], v[4:5]
	v_add_f64 v[72:73], v[72:73], v[74:75]
	v_fma_f64 v[2:3], v[56:57], v[2:3], -v[8:9]
	s_waitcnt lgkmcnt(2)
	v_mul_f64 v[74:75], v[64:65], v[12:13]
	v_fmac_f64_e32 v[74:75], v[66:67], v[6:7]
	v_add_f64 v[76:77], v[72:73], v[74:75]
	ds_read_b128 v[72:75], v54 offset:1408
	v_mul_f64 v[8:9], v[62:63], v[10:11]
	v_add_f64 v[2:3], v[2:3], 0
	s_waitcnt lgkmcnt(2)
	v_mul_f64 v[78:79], v[68:69], v[18:19]
	v_fma_f64 v[4:5], v[60:61], v[4:5], -v[8:9]
	v_fmac_f64_e32 v[78:79], v[70:71], v[20:21]
	v_add_f64 v[80:81], v[76:77], v[78:79]
	ds_read_b128 v[76:79], v54 offset:1424
	s_waitcnt lgkmcnt(1)
	v_mul_f64 v[82:83], v[72:73], v[14:15]
	v_fmac_f64_e32 v[82:83], v[74:75], v[16:17]
	v_add_f64 v[84:85], v[80:81], v[82:83]
	ds_read_b128 v[80:83], v54 offset:1440
	s_waitcnt vmcnt(58) lgkmcnt(1)
	v_mul_f64 v[86:87], v[76:77], v[26:27]
	s_waitcnt vmcnt(56)
	v_fmac_f64_e32 v[86:87], v[78:79], v[28:29]
	v_add_f64 v[88:89], v[84:85], v[86:87]
	ds_read_b128 v[84:87], v54 offset:1456
	s_waitcnt lgkmcnt(1)
	v_mul_f64 v[90:91], v[80:81], v[22:23]
	v_fmac_f64_e32 v[90:91], v[82:83], v[24:25]
	v_add_f64 v[92:93], v[88:89], v[90:91]
	ds_read_b128 v[88:91], v54 offset:1472
	s_waitcnt vmcnt(50) lgkmcnt(1)
	v_mul_f64 v[94:95], v[84:85], v[34:35]
	s_waitcnt vmcnt(48)
	v_fmac_f64_e32 v[94:95], v[86:87], v[36:37]
	v_add_f64 v[96:97], v[92:93], v[94:95]
	ds_read_b128 v[92:95], v54 offset:1488
	s_waitcnt lgkmcnt(1)
	v_mul_f64 v[98:99], v[88:89], v[30:31]
	v_fmac_f64_e32 v[98:99], v[90:91], v[32:33]
	v_add_f64 v[100:101], v[96:97], v[98:99]
	ds_read_b128 v[96:99], v54 offset:1504
	v_add_f64 v[2:3], v[2:3], v[4:5]
	v_mul_f64 v[4:5], v[66:67], v[12:13]
	s_waitcnt vmcnt(42) lgkmcnt(1)
	v_mul_f64 v[102:103], v[92:93], v[42:43]
	v_fma_f64 v[4:5], v[64:65], v[6:7], -v[4:5]
	s_waitcnt vmcnt(40)
	v_fmac_f64_e32 v[102:103], v[94:95], v[44:45]
	v_add_f64 v[2:3], v[2:3], v[4:5]
	v_mul_f64 v[4:5], v[70:71], v[18:19]
	v_add_f64 v[104:105], v[100:101], v[102:103]
	ds_read_b128 v[100:103], v54 offset:1520
	s_waitcnt lgkmcnt(1)
	v_mul_f64 v[106:107], v[96:97], v[38:39]
	v_fma_f64 v[4:5], v[68:69], v[20:21], -v[4:5]
	v_fmac_f64_e32 v[106:107], v[98:99], v[40:41]
	v_add_f64 v[2:3], v[2:3], v[4:5]
	v_mul_f64 v[4:5], v[74:75], v[14:15]
	v_add_f64 v[108:109], v[104:105], v[106:107]
	ds_read_b128 v[104:107], v54 offset:1536
	v_fma_f64 v[4:5], v[72:73], v[16:17], -v[4:5]
	v_add_f64 v[2:3], v[2:3], v[4:5]
	v_mul_f64 v[4:5], v[78:79], v[26:27]
	v_fma_f64 v[4:5], v[76:77], v[28:29], -v[4:5]
	s_waitcnt vmcnt(34) lgkmcnt(1)
	v_mul_f64 v[110:111], v[100:101], v[50:51]
	v_add_f64 v[2:3], v[2:3], v[4:5]
	v_mul_f64 v[4:5], v[82:83], v[22:23]
	s_waitcnt vmcnt(32)
	v_fmac_f64_e32 v[110:111], v[102:103], v[52:53]
	v_fma_f64 v[4:5], v[80:81], v[24:25], -v[4:5]
	v_add_f64 v[112:113], v[108:109], v[110:111]
	ds_read_b128 v[108:111], v54 offset:1552
	s_waitcnt lgkmcnt(1)
	v_mul_f64 v[114:115], v[104:105], v[46:47]
	v_add_f64 v[2:3], v[2:3], v[4:5]
	v_mul_f64 v[4:5], v[86:87], v[34:35]
	v_fmac_f64_e32 v[114:115], v[106:107], v[48:49]
	v_fma_f64 v[4:5], v[84:85], v[36:37], -v[4:5]
	v_add_f64 v[116:117], v[112:113], v[114:115]
	ds_read_b128 v[112:115], v54 offset:1568
	v_add_f64 v[2:3], v[2:3], v[4:5]
	v_mul_f64 v[4:5], v[90:91], v[30:31]
	v_fma_f64 v[4:5], v[88:89], v[32:33], -v[4:5]
	v_add_f64 v[2:3], v[2:3], v[4:5]
	v_mul_f64 v[4:5], v[94:95], v[42:43]
	s_waitcnt vmcnt(26) lgkmcnt(1)
	v_mul_f64 v[118:119], v[108:109], v[138:139]
	v_fma_f64 v[4:5], v[92:93], v[44:45], -v[4:5]
	s_waitcnt vmcnt(24)
	v_fmac_f64_e32 v[118:119], v[110:111], v[140:141]
	v_add_f64 v[2:3], v[2:3], v[4:5]
	v_mul_f64 v[4:5], v[98:99], v[38:39]
	v_add_f64 v[120:121], v[116:117], v[118:119]
	ds_read_b128 v[116:119], v54 offset:1584
	s_waitcnt lgkmcnt(1)
	v_mul_f64 v[122:123], v[112:113], v[0:1]
	v_fma_f64 v[4:5], v[96:97], v[40:41], -v[4:5]
	v_fmac_f64_e32 v[122:123], v[114:115], v[136:137]
	v_add_f64 v[2:3], v[2:3], v[4:5]
	v_mul_f64 v[4:5], v[102:103], v[50:51]
	v_add_f64 v[124:125], v[120:121], v[122:123]
	ds_read_b128 v[120:123], v54 offset:1600
	v_fma_f64 v[4:5], v[100:101], v[52:53], -v[4:5]
	v_add_f64 v[2:3], v[2:3], v[4:5]
	v_mul_f64 v[4:5], v[106:107], v[46:47]
	v_fma_f64 v[4:5], v[104:105], v[48:49], -v[4:5]
	s_waitcnt vmcnt(18) lgkmcnt(1)
	v_mul_f64 v[126:127], v[116:117], v[146:147]
	v_add_f64 v[2:3], v[2:3], v[4:5]
	v_mul_f64 v[4:5], v[110:111], v[138:139]
	s_waitcnt vmcnt(16)
	v_fmac_f64_e32 v[126:127], v[118:119], v[148:149]
	v_fma_f64 v[4:5], v[108:109], v[140:141], -v[4:5]
	v_mul_f64 v[0:1], v[114:115], v[0:1]
	v_add_f64 v[128:129], v[124:125], v[126:127]
	ds_read_b128 v[124:127], v54 offset:1616
	s_waitcnt lgkmcnt(1)
	v_mul_f64 v[130:131], v[120:121], v[142:143]
	v_add_f64 v[2:3], v[2:3], v[4:5]
	v_fma_f64 v[0:1], v[112:113], v[136:137], -v[0:1]
	v_fmac_f64_e32 v[130:131], v[122:123], v[144:145]
	v_add_f64 v[0:1], v[2:3], v[0:1]
	v_mul_f64 v[2:3], v[118:119], v[146:147]
	v_add_f64 v[166:167], v[128:129], v[130:131]
	ds_read_b128 v[128:131], v54 offset:1632
	v_fma_f64 v[2:3], v[116:117], v[148:149], -v[2:3]
	v_add_f64 v[0:1], v[0:1], v[2:3]
	v_mul_f64 v[2:3], v[122:123], v[142:143]
	v_fma_f64 v[2:3], v[120:121], v[144:145], -v[2:3]
	v_add_f64 v[0:1], v[0:1], v[2:3]
	s_waitcnt vmcnt(10) lgkmcnt(1)
	v_mul_f64 v[2:3], v[126:127], v[154:155]
	v_mul_f64 v[168:169], v[124:125], v[154:155]
	s_waitcnt vmcnt(8)
	v_fma_f64 v[2:3], v[124:125], v[156:157], -v[2:3]
	v_fmac_f64_e32 v[168:169], v[126:127], v[156:157]
	v_add_f64 v[0:1], v[0:1], v[2:3]
	s_waitcnt lgkmcnt(0)
	v_mul_f64 v[2:3], v[130:131], v[150:151]
	v_add_f64 v[54:55], v[166:167], v[168:169]
	v_mul_f64 v[166:167], v[128:129], v[150:151]
	v_fma_f64 v[2:3], v[128:129], v[152:153], -v[2:3]
	v_fmac_f64_e32 v[166:167], v[130:131], v[152:153]
	v_add_f64 v[0:1], v[0:1], v[2:3]
	s_waitcnt vmcnt(6)
	v_mul_f64 v[2:3], v[134:135], v[158:159]
	v_add_f64 v[54:55], v[54:55], v[166:167]
	v_mul_f64 v[166:167], v[132:133], v[158:159]
	s_waitcnt vmcnt(4)
	v_fma_f64 v[2:3], v[132:133], v[160:161], -v[2:3]
	v_fmac_f64_e32 v[166:167], v[134:135], v[160:161]
	v_add_f64 v[0:1], v[0:1], v[2:3]
	v_add_f64 v[54:55], v[54:55], v[166:167]
	s_waitcnt vmcnt(2)
	v_add_f64 v[0:1], v[162:163], -v[0:1]
	s_waitcnt vmcnt(0)
	v_add_f64 v[2:3], v[164:165], -v[54:55]
	buffer_store_dword v1, off, s[0:3], 0 offset:516
	buffer_store_dword v0, off, s[0:3], 0 offset:512
	;; [unrolled: 1-line block ×4, first 2 shown]
	s_and_saveexec_b64 s[4:5], vcc
	s_cbranch_execz .LBB115_265
; %bb.264:
	v_accvgpr_read_b32 v0, a125
	buffer_load_dword v2, v0, s[0:3], 0 offen
	buffer_load_dword v3, v0, s[0:3], 0 offen offset:4
	buffer_load_dword v4, v0, s[0:3], 0 offen offset:8
	;; [unrolled: 1-line block ×3, first 2 shown]
	v_mov_b32_e32 v0, 0
	v_accvgpr_read_b32 v1, a156
	buffer_store_dword v0, off, s[0:3], 0 offset:496
	buffer_store_dword v0, off, s[0:3], 0 offset:500
	;; [unrolled: 1-line block ×4, first 2 shown]
	s_waitcnt vmcnt(4)
	ds_write_b128 v1, v[2:5]
.LBB115_265:
	s_or_b64 exec, exec, s[4:5]
	s_waitcnt lgkmcnt(0)
	; wave barrier
	s_waitcnt lgkmcnt(0)
	buffer_load_dword v4, off, s[0:3], 0 offset:496
	buffer_load_dword v5, off, s[0:3], 0 offset:500
	;; [unrolled: 1-line block ×84, first 2 shown]
	v_mov_b32_e32 v86, 0
	ds_read_b128 v[66:69], v86 offset:1328
	buffer_load_dword v171, off, s[0:3], 0 offset:844
	buffer_load_dword v170, off, s[0:3], 0 offset:840
	;; [unrolled: 1-line block ×4, first 2 shown]
	ds_read_b128 v[70:73], v86 offset:1344
	ds_read_b128 v[74:77], v86 offset:1360
	;; [unrolled: 1-line block ×4, first 2 shown]
	v_cmp_lt_u32_e32 vcc, 29, v255
	s_waitcnt vmcnt(62) lgkmcnt(4)
	v_mul_f64 v[82:83], v[66:67], v[12:13]
	v_fmac_f64_e32 v[82:83], v[68:69], v[6:7]
	s_waitcnt lgkmcnt(3)
	v_mul_f64 v[84:85], v[70:71], v[14:15]
	v_add_f64 v[82:83], v[82:83], 0
	v_fmac_f64_e32 v[84:85], v[72:73], v[8:9]
	v_add_f64 v[82:83], v[82:83], v[84:85]
	s_waitcnt lgkmcnt(2)
	v_mul_f64 v[84:85], v[74:75], v[16:17]
	v_fmac_f64_e32 v[84:85], v[76:77], v[10:11]
	v_add_f64 v[88:89], v[82:83], v[84:85]
	ds_read_b128 v[82:85], v86 offset:1392
	v_mul_f64 v[12:13], v[68:69], v[12:13]
	s_waitcnt lgkmcnt(2)
	v_mul_f64 v[90:91], v[78:79], v[22:23]
	v_fma_f64 v[6:7], v[66:67], v[6:7], -v[12:13]
	v_fmac_f64_e32 v[90:91], v[80:81], v[24:25]
	v_add_f64 v[92:93], v[88:89], v[90:91]
	ds_read_b128 v[88:91], v86 offset:1408
	s_waitcnt lgkmcnt(1)
	v_mul_f64 v[94:95], v[82:83], v[18:19]
	v_fmac_f64_e32 v[94:95], v[84:85], v[20:21]
	v_add_f64 v[96:97], v[92:93], v[94:95]
	ds_read_b128 v[92:95], v86 offset:1424
	s_waitcnt vmcnt(58) lgkmcnt(1)
	v_mul_f64 v[98:99], v[88:89], v[30:31]
	s_waitcnt vmcnt(56)
	v_fmac_f64_e32 v[98:99], v[90:91], v[32:33]
	v_add_f64 v[100:101], v[96:97], v[98:99]
	ds_read_b128 v[96:99], v86 offset:1440
	s_waitcnt lgkmcnt(1)
	v_mul_f64 v[102:103], v[92:93], v[26:27]
	v_fmac_f64_e32 v[102:103], v[94:95], v[28:29]
	v_add_f64 v[104:105], v[100:101], v[102:103]
	ds_read_b128 v[100:103], v86 offset:1456
	s_waitcnt vmcnt(50) lgkmcnt(1)
	v_mul_f64 v[106:107], v[96:97], v[38:39]
	s_waitcnt vmcnt(48)
	v_fmac_f64_e32 v[106:107], v[98:99], v[40:41]
	v_add_f64 v[108:109], v[104:105], v[106:107]
	ds_read_b128 v[104:107], v86 offset:1472
	s_waitcnt lgkmcnt(1)
	v_mul_f64 v[110:111], v[100:101], v[34:35]
	v_fmac_f64_e32 v[110:111], v[102:103], v[36:37]
	v_add_f64 v[112:113], v[108:109], v[110:111]
	ds_read_b128 v[108:111], v86 offset:1488
	s_waitcnt vmcnt(42) lgkmcnt(1)
	v_mul_f64 v[114:115], v[104:105], v[46:47]
	v_mul_f64 v[12:13], v[72:73], v[14:15]
	s_waitcnt vmcnt(40)
	v_fmac_f64_e32 v[114:115], v[106:107], v[48:49]
	v_add_f64 v[6:7], v[6:7], 0
	v_fma_f64 v[8:9], v[70:71], v[8:9], -v[12:13]
	v_add_f64 v[116:117], v[112:113], v[114:115]
	ds_read_b128 v[112:115], v86 offset:1504
	v_add_f64 v[6:7], v[6:7], v[8:9]
	v_mul_f64 v[8:9], v[76:77], v[16:17]
	v_fma_f64 v[8:9], v[74:75], v[10:11], -v[8:9]
	v_add_f64 v[6:7], v[6:7], v[8:9]
	v_mul_f64 v[8:9], v[80:81], v[22:23]
	s_waitcnt lgkmcnt(1)
	v_mul_f64 v[118:119], v[108:109], v[42:43]
	v_fma_f64 v[8:9], v[78:79], v[24:25], -v[8:9]
	v_fmac_f64_e32 v[118:119], v[110:111], v[44:45]
	v_add_f64 v[6:7], v[6:7], v[8:9]
	v_mul_f64 v[8:9], v[84:85], v[18:19]
	v_add_f64 v[120:121], v[116:117], v[118:119]
	ds_read_b128 v[116:119], v86 offset:1520
	s_waitcnt vmcnt(34) lgkmcnt(1)
	v_mul_f64 v[122:123], v[112:113], v[54:55]
	v_fma_f64 v[8:9], v[82:83], v[20:21], -v[8:9]
	s_waitcnt vmcnt(32)
	v_fmac_f64_e32 v[122:123], v[114:115], v[56:57]
	v_add_f64 v[6:7], v[6:7], v[8:9]
	v_mul_f64 v[8:9], v[90:91], v[30:31]
	v_add_f64 v[124:125], v[120:121], v[122:123]
	ds_read_b128 v[120:123], v86 offset:1536
	v_fma_f64 v[8:9], v[88:89], v[32:33], -v[8:9]
	v_add_f64 v[6:7], v[6:7], v[8:9]
	v_mul_f64 v[8:9], v[94:95], v[26:27]
	v_fma_f64 v[8:9], v[92:93], v[28:29], -v[8:9]
	s_waitcnt lgkmcnt(1)
	v_mul_f64 v[126:127], v[116:117], v[50:51]
	v_add_f64 v[6:7], v[6:7], v[8:9]
	v_mul_f64 v[8:9], v[98:99], v[38:39]
	v_fmac_f64_e32 v[126:127], v[118:119], v[52:53]
	v_fma_f64 v[8:9], v[96:97], v[40:41], -v[8:9]
	v_add_f64 v[128:129], v[124:125], v[126:127]
	ds_read_b128 v[124:127], v86 offset:1552
	s_waitcnt vmcnt(26) lgkmcnt(1)
	v_mul_f64 v[130:131], v[120:121], v[62:63]
	v_add_f64 v[6:7], v[6:7], v[8:9]
	v_mul_f64 v[8:9], v[102:103], v[34:35]
	s_waitcnt vmcnt(24)
	v_fmac_f64_e32 v[130:131], v[122:123], v[64:65]
	v_fma_f64 v[8:9], v[100:101], v[36:37], -v[8:9]
	v_add_f64 v[132:133], v[128:129], v[130:131]
	ds_read_b128 v[128:131], v86 offset:1568
	v_add_f64 v[6:7], v[6:7], v[8:9]
	v_mul_f64 v[8:9], v[106:107], v[46:47]
	v_fma_f64 v[8:9], v[104:105], v[48:49], -v[8:9]
	v_add_f64 v[6:7], v[6:7], v[8:9]
	v_mul_f64 v[8:9], v[110:111], v[42:43]
	s_waitcnt lgkmcnt(1)
	v_mul_f64 v[134:135], v[124:125], v[58:59]
	v_fma_f64 v[8:9], v[108:109], v[44:45], -v[8:9]
	v_fmac_f64_e32 v[134:135], v[126:127], v[60:61]
	v_add_f64 v[6:7], v[6:7], v[8:9]
	v_mul_f64 v[8:9], v[114:115], v[54:55]
	v_add_f64 v[136:137], v[132:133], v[134:135]
	ds_read_b128 v[132:135], v86 offset:1584
	s_waitcnt vmcnt(18) lgkmcnt(1)
	v_mul_f64 v[138:139], v[128:129], v[154:155]
	v_fma_f64 v[8:9], v[112:113], v[56:57], -v[8:9]
	s_waitcnt vmcnt(16)
	v_fmac_f64_e32 v[138:139], v[130:131], v[156:157]
	v_add_f64 v[6:7], v[6:7], v[8:9]
	v_mul_f64 v[8:9], v[118:119], v[50:51]
	v_add_f64 v[140:141], v[136:137], v[138:139]
	ds_read_b128 v[136:139], v86 offset:1600
	v_fma_f64 v[8:9], v[116:117], v[52:53], -v[8:9]
	v_add_f64 v[6:7], v[6:7], v[8:9]
	v_mul_f64 v[8:9], v[122:123], v[62:63]
	v_fma_f64 v[8:9], v[120:121], v[64:65], -v[8:9]
	s_waitcnt lgkmcnt(1)
	v_mul_f64 v[142:143], v[132:133], v[0:1]
	v_add_f64 v[6:7], v[6:7], v[8:9]
	v_mul_f64 v[8:9], v[126:127], v[58:59]
	v_fmac_f64_e32 v[142:143], v[134:135], v[152:153]
	v_fma_f64 v[8:9], v[124:125], v[60:61], -v[8:9]
	v_add_f64 v[144:145], v[140:141], v[142:143]
	ds_read_b128 v[140:143], v86 offset:1616
	s_waitcnt vmcnt(10) lgkmcnt(1)
	v_mul_f64 v[146:147], v[136:137], v[162:163]
	v_add_f64 v[6:7], v[6:7], v[8:9]
	v_mul_f64 v[8:9], v[130:131], v[154:155]
	s_waitcnt vmcnt(8)
	v_fmac_f64_e32 v[146:147], v[138:139], v[164:165]
	v_fma_f64 v[8:9], v[128:129], v[156:157], -v[8:9]
	v_mul_f64 v[0:1], v[134:135], v[0:1]
	v_add_f64 v[174:175], v[144:145], v[146:147]
	ds_read_b128 v[144:147], v86 offset:1632
	v_add_f64 v[6:7], v[6:7], v[8:9]
	v_fma_f64 v[0:1], v[132:133], v[152:153], -v[0:1]
	v_add_f64 v[0:1], v[6:7], v[0:1]
	v_mul_f64 v[6:7], v[138:139], v[162:163]
	v_fma_f64 v[6:7], v[136:137], v[164:165], -v[6:7]
	v_add_f64 v[0:1], v[0:1], v[6:7]
	s_waitcnt lgkmcnt(1)
	v_mul_f64 v[6:7], v[142:143], v[158:159]
	v_mul_f64 v[176:177], v[140:141], v[158:159]
	v_fma_f64 v[6:7], v[140:141], v[160:161], -v[6:7]
	v_fmac_f64_e32 v[176:177], v[142:143], v[160:161]
	v_add_f64 v[0:1], v[0:1], v[6:7]
	s_waitcnt vmcnt(6) lgkmcnt(0)
	v_mul_f64 v[6:7], v[146:147], v[166:167]
	v_add_f64 v[174:175], v[174:175], v[176:177]
	v_mul_f64 v[176:177], v[144:145], v[166:167]
	s_waitcnt vmcnt(4)
	v_fma_f64 v[6:7], v[144:145], v[168:169], -v[6:7]
	v_fmac_f64_e32 v[176:177], v[146:147], v[168:169]
	v_add_f64 v[0:1], v[0:1], v[6:7]
	s_waitcnt vmcnt(2)
	v_mul_f64 v[6:7], v[150:151], v[170:171]
	v_add_f64 v[174:175], v[174:175], v[176:177]
	v_mul_f64 v[176:177], v[148:149], v[170:171]
	s_waitcnt vmcnt(0)
	v_fma_f64 v[6:7], v[148:149], v[172:173], -v[6:7]
	v_fmac_f64_e32 v[176:177], v[150:151], v[172:173]
	v_add_f64 v[0:1], v[0:1], v[6:7]
	v_add_f64 v[174:175], v[174:175], v[176:177]
	v_add_f64 v[0:1], v[4:5], -v[0:1]
	v_add_f64 v[2:3], v[2:3], -v[174:175]
	buffer_store_dword v1, off, s[0:3], 0 offset:500
	buffer_store_dword v0, off, s[0:3], 0 offset:496
	;; [unrolled: 1-line block ×4, first 2 shown]
	s_and_saveexec_b64 s[4:5], vcc
	s_cbranch_execz .LBB115_267
; %bb.266:
	v_accvgpr_read_b32 v0, a126
	buffer_load_dword v2, v0, s[0:3], 0 offen
	buffer_load_dword v3, v0, s[0:3], 0 offen offset:4
	buffer_load_dword v4, v0, s[0:3], 0 offen offset:8
	;; [unrolled: 1-line block ×3, first 2 shown]
	v_accvgpr_read_b32 v0, a156
	buffer_store_dword v86, off, s[0:3], 0 offset:480
	buffer_store_dword v86, off, s[0:3], 0 offset:484
	;; [unrolled: 1-line block ×4, first 2 shown]
	s_waitcnt vmcnt(4)
	ds_write_b128 v0, v[2:5]
.LBB115_267:
	s_or_b64 exec, exec, s[4:5]
	s_waitcnt lgkmcnt(0)
	; wave barrier
	s_waitcnt lgkmcnt(0)
	ds_read_b128 v[14:17], v86 offset:1312
	ds_read_b128 v[10:13], v86 offset:1328
	;; [unrolled: 1-line block ×4, first 2 shown]
	buffer_load_dword v20, off, s[0:3], 0 offset:480
	buffer_load_dword v21, off, s[0:3], 0 offset:484
	;; [unrolled: 1-line block ×92, first 2 shown]
	s_waitcnt vmcnt(62) lgkmcnt(3)
	v_mul_f64 v[88:89], v[14:15], v[28:29]
	v_fmac_f64_e32 v[88:89], v[16:17], v[22:23]
	s_waitcnt lgkmcnt(2)
	v_mul_f64 v[90:91], v[10:11], v[30:31]
	v_add_f64 v[88:89], v[88:89], 0
	v_fmac_f64_e32 v[90:91], v[12:13], v[24:25]
	v_add_f64 v[88:89], v[88:89], v[90:91]
	s_waitcnt lgkmcnt(1)
	v_mul_f64 v[90:91], v[6:7], v[32:33]
	v_fmac_f64_e32 v[90:91], v[8:9], v[26:27]
	v_add_f64 v[92:93], v[88:89], v[90:91]
	ds_read_b128 v[88:91], v86 offset:1376
	v_mul_f64 v[16:17], v[16:17], v[28:29]
	v_fma_f64 v[14:15], v[14:15], v[22:23], -v[16:17]
	s_waitcnt lgkmcnt(1)
	v_mul_f64 v[94:95], v[2:3], v[38:39]
	v_mul_f64 v[12:13], v[12:13], v[30:31]
	v_fmac_f64_e32 v[94:95], v[4:5], v[40:41]
	v_add_f64 v[96:97], v[92:93], v[94:95]
	ds_read_b128 v[92:95], v86 offset:1392
	s_waitcnt lgkmcnt(1)
	v_mul_f64 v[98:99], v[88:89], v[34:35]
	v_fmac_f64_e32 v[98:99], v[90:91], v[36:37]
	v_add_f64 v[100:101], v[96:97], v[98:99]
	ds_read_b128 v[96:99], v86 offset:1408
	s_waitcnt lgkmcnt(1)
	v_mul_f64 v[102:103], v[92:93], v[46:47]
	s_waitcnt vmcnt(60)
	v_fmac_f64_e32 v[102:103], v[94:95], v[48:49]
	v_add_f64 v[104:105], v[100:101], v[102:103]
	ds_read_b128 v[100:103], v86 offset:1424
	s_waitcnt lgkmcnt(1)
	v_mul_f64 v[106:107], v[96:97], v[42:43]
	v_fmac_f64_e32 v[106:107], v[98:99], v[44:45]
	v_add_f64 v[108:109], v[104:105], v[106:107]
	ds_read_b128 v[104:107], v86 offset:1440
	s_waitcnt vmcnt(54) lgkmcnt(1)
	v_mul_f64 v[110:111], v[100:101], v[54:55]
	s_waitcnt vmcnt(52)
	v_fmac_f64_e32 v[110:111], v[102:103], v[56:57]
	v_add_f64 v[112:113], v[108:109], v[110:111]
	ds_read_b128 v[108:111], v86 offset:1456
	s_waitcnt lgkmcnt(1)
	v_mul_f64 v[114:115], v[104:105], v[50:51]
	v_fmac_f64_e32 v[114:115], v[106:107], v[52:53]
	v_add_f64 v[116:117], v[112:113], v[114:115]
	ds_read_b128 v[112:115], v86 offset:1472
	s_waitcnt vmcnt(46) lgkmcnt(1)
	v_mul_f64 v[118:119], v[108:109], v[62:63]
	s_waitcnt vmcnt(44)
	v_fmac_f64_e32 v[118:119], v[110:111], v[64:65]
	v_add_f64 v[120:121], v[116:117], v[118:119]
	ds_read_b128 v[116:119], v86 offset:1488
	s_waitcnt lgkmcnt(1)
	v_mul_f64 v[122:123], v[112:113], v[58:59]
	v_fmac_f64_e32 v[122:123], v[114:115], v[60:61]
	v_add_f64 v[124:125], v[120:121], v[122:123]
	ds_read_b128 v[120:123], v86 offset:1504
	v_add_f64 v[14:15], v[14:15], 0
	v_fma_f64 v[10:11], v[10:11], v[24:25], -v[12:13]
	v_mul_f64 v[8:9], v[8:9], v[32:33]
	v_add_f64 v[10:11], v[14:15], v[10:11]
	v_fma_f64 v[6:7], v[6:7], v[26:27], -v[8:9]
	v_mul_f64 v[4:5], v[4:5], v[38:39]
	;; [unrolled: 3-line block ×3, first 2 shown]
	s_waitcnt vmcnt(38) lgkmcnt(1)
	v_mul_f64 v[126:127], v[116:117], v[70:71]
	v_add_f64 v[2:3], v[6:7], v[2:3]
	v_fma_f64 v[4:5], v[88:89], v[36:37], -v[4:5]
	s_waitcnt vmcnt(36)
	v_fmac_f64_e32 v[126:127], v[118:119], v[72:73]
	v_add_f64 v[2:3], v[2:3], v[4:5]
	v_mul_f64 v[4:5], v[94:95], v[46:47]
	v_add_f64 v[128:129], v[124:125], v[126:127]
	ds_read_b128 v[124:127], v86 offset:1520
	s_waitcnt lgkmcnt(1)
	v_mul_f64 v[130:131], v[120:121], v[66:67]
	v_fma_f64 v[4:5], v[92:93], v[48:49], -v[4:5]
	v_fmac_f64_e32 v[130:131], v[122:123], v[68:69]
	v_add_f64 v[2:3], v[2:3], v[4:5]
	v_mul_f64 v[4:5], v[98:99], v[42:43]
	v_add_f64 v[132:133], v[128:129], v[130:131]
	ds_read_b128 v[128:131], v86 offset:1536
	v_fma_f64 v[4:5], v[96:97], v[44:45], -v[4:5]
	v_add_f64 v[2:3], v[2:3], v[4:5]
	v_mul_f64 v[4:5], v[102:103], v[54:55]
	v_fma_f64 v[4:5], v[100:101], v[56:57], -v[4:5]
	s_waitcnt vmcnt(30) lgkmcnt(1)
	v_mul_f64 v[134:135], v[124:125], v[78:79]
	v_add_f64 v[2:3], v[2:3], v[4:5]
	v_mul_f64 v[4:5], v[106:107], v[50:51]
	s_waitcnt vmcnt(28)
	v_fmac_f64_e32 v[134:135], v[126:127], v[80:81]
	v_fma_f64 v[4:5], v[104:105], v[52:53], -v[4:5]
	v_add_f64 v[136:137], v[132:133], v[134:135]
	ds_read_b128 v[132:135], v86 offset:1552
	s_waitcnt lgkmcnt(1)
	v_mul_f64 v[138:139], v[128:129], v[74:75]
	v_add_f64 v[2:3], v[2:3], v[4:5]
	v_mul_f64 v[4:5], v[110:111], v[62:63]
	v_fmac_f64_e32 v[138:139], v[130:131], v[76:77]
	v_fma_f64 v[4:5], v[108:109], v[64:65], -v[4:5]
	v_add_f64 v[140:141], v[136:137], v[138:139]
	ds_read_b128 v[136:139], v86 offset:1568
	v_add_f64 v[2:3], v[2:3], v[4:5]
	v_mul_f64 v[4:5], v[114:115], v[58:59]
	v_fma_f64 v[4:5], v[112:113], v[60:61], -v[4:5]
	v_add_f64 v[2:3], v[2:3], v[4:5]
	v_mul_f64 v[4:5], v[118:119], v[70:71]
	s_waitcnt vmcnt(22) lgkmcnt(1)
	v_mul_f64 v[142:143], v[132:133], v[0:1]
	v_fma_f64 v[4:5], v[116:117], v[72:73], -v[4:5]
	s_waitcnt vmcnt(20)
	v_fmac_f64_e32 v[142:143], v[134:135], v[160:161]
	v_add_f64 v[2:3], v[2:3], v[4:5]
	v_mul_f64 v[4:5], v[122:123], v[66:67]
	v_add_f64 v[144:145], v[140:141], v[142:143]
	ds_read_b128 v[140:143], v86 offset:1584
	s_waitcnt lgkmcnt(1)
	v_mul_f64 v[146:147], v[136:137], v[82:83]
	v_fma_f64 v[4:5], v[120:121], v[68:69], -v[4:5]
	v_fmac_f64_e32 v[146:147], v[138:139], v[84:85]
	v_add_f64 v[2:3], v[2:3], v[4:5]
	v_mul_f64 v[4:5], v[126:127], v[78:79]
	v_add_f64 v[148:149], v[144:145], v[146:147]
	ds_read_b128 v[144:147], v86 offset:1600
	v_fma_f64 v[4:5], v[124:125], v[80:81], -v[4:5]
	v_add_f64 v[2:3], v[2:3], v[4:5]
	v_mul_f64 v[4:5], v[130:131], v[74:75]
	v_fma_f64 v[4:5], v[128:129], v[76:77], -v[4:5]
	v_mul_f64 v[0:1], v[134:135], v[0:1]
	s_waitcnt vmcnt(14) lgkmcnt(1)
	v_mul_f64 v[150:151], v[140:141], v[166:167]
	v_add_f64 v[2:3], v[2:3], v[4:5]
	v_fma_f64 v[0:1], v[132:133], v[160:161], -v[0:1]
	s_waitcnt vmcnt(12)
	v_fmac_f64_e32 v[150:151], v[142:143], v[168:169]
	v_add_f64 v[0:1], v[2:3], v[0:1]
	v_mul_f64 v[2:3], v[138:139], v[82:83]
	v_add_f64 v[152:153], v[148:149], v[150:151]
	ds_read_b128 v[148:151], v86 offset:1616
	s_waitcnt lgkmcnt(1)
	v_mul_f64 v[154:155], v[144:145], v[162:163]
	v_fma_f64 v[2:3], v[136:137], v[84:85], -v[2:3]
	v_fmac_f64_e32 v[154:155], v[146:147], v[164:165]
	v_add_f64 v[0:1], v[0:1], v[2:3]
	v_mul_f64 v[2:3], v[142:143], v[166:167]
	v_add_f64 v[182:183], v[152:153], v[154:155]
	ds_read_b128 v[152:155], v86 offset:1632
	ds_read_b128 v[156:159], v86 offset:1648
	v_fma_f64 v[2:3], v[140:141], v[168:169], -v[2:3]
	v_add_f64 v[0:1], v[0:1], v[2:3]
	v_mul_f64 v[2:3], v[146:147], v[162:163]
	v_fma_f64 v[2:3], v[144:145], v[164:165], -v[2:3]
	v_add_f64 v[0:1], v[0:1], v[2:3]
	s_waitcnt vmcnt(6) lgkmcnt(2)
	v_mul_f64 v[2:3], v[150:151], v[174:175]
	v_mul_f64 v[184:185], v[148:149], v[174:175]
	s_waitcnt vmcnt(4)
	v_fma_f64 v[2:3], v[148:149], v[176:177], -v[2:3]
	v_fmac_f64_e32 v[184:185], v[150:151], v[176:177]
	v_add_f64 v[0:1], v[0:1], v[2:3]
	s_waitcnt lgkmcnt(1)
	v_mul_f64 v[2:3], v[154:155], v[170:171]
	v_add_f64 v[86:87], v[182:183], v[184:185]
	v_mul_f64 v[182:183], v[152:153], v[170:171]
	v_fma_f64 v[2:3], v[152:153], v[172:173], -v[2:3]
	v_fmac_f64_e32 v[182:183], v[154:155], v[172:173]
	v_add_f64 v[0:1], v[0:1], v[2:3]
	s_waitcnt vmcnt(2) lgkmcnt(0)
	v_mul_f64 v[2:3], v[158:159], v[178:179]
	v_add_f64 v[86:87], v[86:87], v[182:183]
	v_mul_f64 v[182:183], v[156:157], v[178:179]
	s_waitcnt vmcnt(0)
	v_fma_f64 v[2:3], v[156:157], v[180:181], -v[2:3]
	v_fmac_f64_e32 v[182:183], v[158:159], v[180:181]
	v_add_f64 v[0:1], v[0:1], v[2:3]
	v_add_f64 v[86:87], v[86:87], v[182:183]
	v_add_f64 v[0:1], v[20:21], -v[0:1]
	v_cmp_lt_u32_e32 vcc, 28, v255
	v_add_f64 v[2:3], v[18:19], -v[86:87]
	buffer_store_dword v1, off, s[0:3], 0 offset:484
	buffer_store_dword v0, off, s[0:3], 0 offset:480
	;; [unrolled: 1-line block ×4, first 2 shown]
	s_and_saveexec_b64 s[4:5], vcc
	s_cbranch_execz .LBB115_269
; %bb.268:
	v_accvgpr_read_b32 v0, a127
	buffer_load_dword v2, v0, s[0:3], 0 offen
	buffer_load_dword v3, v0, s[0:3], 0 offen offset:4
	buffer_load_dword v4, v0, s[0:3], 0 offen offset:8
	;; [unrolled: 1-line block ×3, first 2 shown]
	v_mov_b32_e32 v0, 0
	v_accvgpr_read_b32 v1, a156
	buffer_store_dword v0, off, s[0:3], 0 offset:464
	buffer_store_dword v0, off, s[0:3], 0 offset:468
	;; [unrolled: 1-line block ×4, first 2 shown]
	s_waitcnt vmcnt(4)
	ds_write_b128 v1, v[2:5]
.LBB115_269:
	s_or_b64 exec, exec, s[4:5]
	s_waitcnt lgkmcnt(0)
	; wave barrier
	s_waitcnt lgkmcnt(0)
	buffer_load_dword v9, off, s[0:3], 0 offset:492
	buffer_load_dword v6, off, s[0:3], 0 offset:504
	;; [unrolled: 1-line block ×64, first 2 shown]
	v_mov_b32_e32 v98, 0
	ds_read_b128 v[74:77], v98 offset:1296
	ds_read_b128 v[78:81], v98 offset:1312
	buffer_load_dword v67, off, s[0:3], 0 offset:748
	buffer_load_dword v66, off, s[0:3], 0 offset:744
	;; [unrolled: 1-line block ×8, first 2 shown]
	ds_read_b128 v[82:85], v98 offset:1328
	ds_read_b128 v[86:89], v98 offset:1344
	buffer_load_dword v169, off, s[0:3], 0 offset:780
	buffer_load_dword v168, off, s[0:3], 0 offset:776
	;; [unrolled: 1-line block ×24, first 2 shown]
	ds_read_b128 v[164:167], v98 offset:1648
	v_cmp_lt_u32_e32 vcc, 27, v255
	s_waitcnt vmcnt(62) lgkmcnt(1)
	v_mul_f64 v[94:95], v[86:87], v[22:23]
	v_fmac_f64_e32 v[94:95], v[88:89], v[24:25]
	v_mul_f64 v[90:91], v[78:79], v[6:7]
	v_mul_f64 v[0:1], v[74:75], v[8:9]
	;; [unrolled: 1-line block ×3, first 2 shown]
	v_fmac_f64_e32 v[0:1], v[76:77], v[10:11]
	v_add_f64 v[0:1], v[0:1], 0
	v_fma_f64 v[8:9], v[74:75], v[10:11], -v[8:9]
	v_mul_f64 v[6:7], v[80:81], v[6:7]
	v_add_f64 v[8:9], v[8:9], 0
	v_fmac_f64_e32 v[90:91], v[80:81], v[14:15]
	v_add_f64 v[0:1], v[0:1], v[90:91]
	v_mul_f64 v[90:91], v[82:83], v[16:17]
	v_fmac_f64_e32 v[90:91], v[84:85], v[12:13]
	v_add_f64 v[0:1], v[0:1], v[90:91]
	ds_read_b128 v[90:93], v98 offset:1360
	v_add_f64 v[0:1], v[0:1], v[94:95]
	ds_read_b128 v[94:97], v98 offset:1376
	v_fma_f64 v[6:7], v[78:79], v[14:15], -v[6:7]
	v_add_f64 v[6:7], v[8:9], v[6:7]
	s_waitcnt lgkmcnt(1)
	v_mul_f64 v[100:101], v[90:91], v[18:19]
	v_fmac_f64_e32 v[100:101], v[92:93], v[20:21]
	v_add_f64 v[0:1], v[0:1], v[100:101]
	ds_read_b128 v[100:103], v98 offset:1392
	s_waitcnt lgkmcnt(1)
	v_mul_f64 v[104:105], v[94:95], v[30:31]
	v_fmac_f64_e32 v[104:105], v[96:97], v[32:33]
	v_add_f64 v[0:1], v[0:1], v[104:105]
	ds_read_b128 v[104:107], v98 offset:1408
	;; [unrolled: 5-line block ×3, first 2 shown]
	s_waitcnt vmcnt(58) lgkmcnt(1)
	v_mul_f64 v[112:113], v[104:105], v[38:39]
	s_waitcnt vmcnt(56)
	v_fmac_f64_e32 v[112:113], v[106:107], v[40:41]
	v_add_f64 v[0:1], v[0:1], v[112:113]
	ds_read_b128 v[112:115], v98 offset:1440
	s_waitcnt lgkmcnt(1)
	v_mul_f64 v[116:117], v[108:109], v[34:35]
	v_fmac_f64_e32 v[116:117], v[110:111], v[36:37]
	v_add_f64 v[0:1], v[0:1], v[116:117]
	ds_read_b128 v[116:119], v98 offset:1456
	s_waitcnt vmcnt(50) lgkmcnt(1)
	v_mul_f64 v[120:121], v[112:113], v[46:47]
	s_waitcnt vmcnt(48)
	v_fmac_f64_e32 v[120:121], v[114:115], v[48:49]
	v_add_f64 v[0:1], v[0:1], v[120:121]
	ds_read_b128 v[120:123], v98 offset:1472
	v_mul_f64 v[8:9], v[84:85], v[16:17]
	s_waitcnt lgkmcnt(1)
	v_mul_f64 v[124:125], v[116:117], v[42:43]
	v_fma_f64 v[8:9], v[82:83], v[12:13], -v[8:9]
	v_fmac_f64_e32 v[124:125], v[118:119], v[44:45]
	v_add_f64 v[6:7], v[6:7], v[8:9]
	v_mul_f64 v[8:9], v[88:89], v[22:23]
	v_add_f64 v[0:1], v[0:1], v[124:125]
	ds_read_b128 v[124:127], v98 offset:1488
	s_waitcnt vmcnt(42) lgkmcnt(1)
	v_mul_f64 v[128:129], v[120:121], v[54:55]
	v_fma_f64 v[8:9], v[86:87], v[24:25], -v[8:9]
	s_waitcnt vmcnt(40)
	v_fmac_f64_e32 v[128:129], v[122:123], v[56:57]
	v_add_f64 v[6:7], v[6:7], v[8:9]
	v_mul_f64 v[8:9], v[92:93], v[18:19]
	v_add_f64 v[0:1], v[0:1], v[128:129]
	ds_read_b128 v[128:131], v98 offset:1504
	v_fma_f64 v[8:9], v[90:91], v[20:21], -v[8:9]
	v_add_f64 v[6:7], v[6:7], v[8:9]
	v_mul_f64 v[8:9], v[96:97], v[30:31]
	v_fma_f64 v[8:9], v[94:95], v[32:33], -v[8:9]
	s_waitcnt lgkmcnt(1)
	v_mul_f64 v[132:133], v[124:125], v[50:51]
	v_add_f64 v[6:7], v[6:7], v[8:9]
	v_mul_f64 v[8:9], v[102:103], v[26:27]
	v_fmac_f64_e32 v[132:133], v[126:127], v[52:53]
	v_fma_f64 v[8:9], v[100:101], v[28:29], -v[8:9]
	v_add_f64 v[0:1], v[0:1], v[132:133]
	ds_read_b128 v[132:135], v98 offset:1520
	s_waitcnt vmcnt(34) lgkmcnt(1)
	v_mul_f64 v[136:137], v[128:129], v[62:63]
	v_add_f64 v[6:7], v[6:7], v[8:9]
	v_mul_f64 v[8:9], v[106:107], v[38:39]
	s_waitcnt vmcnt(32)
	v_fmac_f64_e32 v[136:137], v[130:131], v[64:65]
	v_fma_f64 v[8:9], v[104:105], v[40:41], -v[8:9]
	v_add_f64 v[0:1], v[0:1], v[136:137]
	ds_read_b128 v[136:139], v98 offset:1536
	v_add_f64 v[6:7], v[6:7], v[8:9]
	v_mul_f64 v[8:9], v[110:111], v[34:35]
	v_fma_f64 v[8:9], v[108:109], v[36:37], -v[8:9]
	v_add_f64 v[6:7], v[6:7], v[8:9]
	v_mul_f64 v[8:9], v[114:115], v[46:47]
	s_waitcnt lgkmcnt(1)
	v_mul_f64 v[140:141], v[132:133], v[58:59]
	v_fma_f64 v[8:9], v[112:113], v[48:49], -v[8:9]
	v_fmac_f64_e32 v[140:141], v[134:135], v[60:61]
	v_add_f64 v[6:7], v[6:7], v[8:9]
	v_mul_f64 v[8:9], v[118:119], v[42:43]
	v_add_f64 v[0:1], v[0:1], v[140:141]
	ds_read_b128 v[140:143], v98 offset:1552
	s_waitcnt vmcnt(26) lgkmcnt(1)
	v_mul_f64 v[144:145], v[136:137], v[70:71]
	v_fma_f64 v[8:9], v[116:117], v[44:45], -v[8:9]
	s_waitcnt vmcnt(24)
	v_fmac_f64_e32 v[144:145], v[138:139], v[72:73]
	v_add_f64 v[6:7], v[6:7], v[8:9]
	v_mul_f64 v[8:9], v[122:123], v[54:55]
	v_add_f64 v[0:1], v[0:1], v[144:145]
	ds_read_b128 v[144:147], v98 offset:1568
	v_fma_f64 v[8:9], v[120:121], v[56:57], -v[8:9]
	v_add_f64 v[6:7], v[6:7], v[8:9]
	v_mul_f64 v[8:9], v[126:127], v[50:51]
	v_fma_f64 v[8:9], v[124:125], v[52:53], -v[8:9]
	s_waitcnt lgkmcnt(1)
	v_mul_f64 v[148:149], v[140:141], v[66:67]
	v_add_f64 v[6:7], v[6:7], v[8:9]
	v_mul_f64 v[8:9], v[130:131], v[62:63]
	v_fmac_f64_e32 v[148:149], v[142:143], v[68:69]
	v_fma_f64 v[8:9], v[128:129], v[64:65], -v[8:9]
	v_add_f64 v[0:1], v[0:1], v[148:149]
	ds_read_b128 v[148:151], v98 offset:1584
	s_waitcnt vmcnt(18) lgkmcnt(1)
	v_mul_f64 v[152:153], v[144:145], v[172:173]
	v_add_f64 v[6:7], v[6:7], v[8:9]
	v_mul_f64 v[8:9], v[134:135], v[58:59]
	s_waitcnt vmcnt(16)
	v_fmac_f64_e32 v[152:153], v[146:147], v[174:175]
	v_fma_f64 v[8:9], v[132:133], v[60:61], -v[8:9]
	v_add_f64 v[0:1], v[0:1], v[152:153]
	ds_read_b128 v[152:155], v98 offset:1600
	v_add_f64 v[6:7], v[6:7], v[8:9]
	v_mul_f64 v[8:9], v[138:139], v[70:71]
	v_fma_f64 v[8:9], v[136:137], v[72:73], -v[8:9]
	v_add_f64 v[6:7], v[6:7], v[8:9]
	v_mul_f64 v[8:9], v[142:143], v[66:67]
	s_waitcnt lgkmcnt(1)
	v_mul_f64 v[156:157], v[148:149], v[168:169]
	v_fma_f64 v[8:9], v[140:141], v[68:69], -v[8:9]
	v_fmac_f64_e32 v[156:157], v[150:151], v[170:171]
	v_add_f64 v[6:7], v[6:7], v[8:9]
	v_mul_f64 v[8:9], v[146:147], v[172:173]
	v_add_f64 v[0:1], v[0:1], v[156:157]
	ds_read_b128 v[156:159], v98 offset:1616
	s_waitcnt vmcnt(10) lgkmcnt(1)
	v_mul_f64 v[160:161], v[152:153], v[180:181]
	v_fma_f64 v[8:9], v[144:145], v[174:175], -v[8:9]
	s_waitcnt vmcnt(8)
	v_fmac_f64_e32 v[160:161], v[154:155], v[182:183]
	v_add_f64 v[6:7], v[6:7], v[8:9]
	v_mul_f64 v[8:9], v[150:151], v[168:169]
	v_add_f64 v[0:1], v[0:1], v[160:161]
	ds_read_b128 v[160:163], v98 offset:1632
	v_fma_f64 v[8:9], v[148:149], v[170:171], -v[8:9]
	v_add_f64 v[6:7], v[6:7], v[8:9]
	v_mul_f64 v[8:9], v[154:155], v[180:181]
	v_fma_f64 v[8:9], v[152:153], v[182:183], -v[8:9]
	v_add_f64 v[6:7], v[6:7], v[8:9]
	s_waitcnt lgkmcnt(1)
	v_mul_f64 v[8:9], v[158:159], v[176:177]
	v_mul_f64 v[192:193], v[156:157], v[176:177]
	v_fma_f64 v[8:9], v[156:157], v[178:179], -v[8:9]
	v_fmac_f64_e32 v[192:193], v[158:159], v[178:179]
	v_add_f64 v[6:7], v[6:7], v[8:9]
	s_waitcnt vmcnt(2) lgkmcnt(0)
	v_mul_f64 v[8:9], v[162:163], v[188:189]
	v_add_f64 v[0:1], v[0:1], v[192:193]
	v_mul_f64 v[192:193], v[160:161], v[188:189]
	s_waitcnt vmcnt(0)
	v_fma_f64 v[8:9], v[160:161], v[190:191], -v[8:9]
	v_fmac_f64_e32 v[192:193], v[162:163], v[190:191]
	v_add_f64 v[6:7], v[6:7], v[8:9]
	v_mul_f64 v[8:9], v[166:167], v[184:185]
	v_add_f64 v[0:1], v[0:1], v[192:193]
	v_mul_f64 v[192:193], v[164:165], v[184:185]
	v_fma_f64 v[8:9], v[164:165], v[186:187], -v[8:9]
	v_fmac_f64_e32 v[192:193], v[166:167], v[186:187]
	v_add_f64 v[6:7], v[6:7], v[8:9]
	v_add_f64 v[0:1], v[0:1], v[192:193]
	v_add_f64 v[4:5], v[4:5], -v[6:7]
	v_add_f64 v[0:1], v[2:3], -v[0:1]
	buffer_store_dword v5, off, s[0:3], 0 offset:468
	buffer_store_dword v4, off, s[0:3], 0 offset:464
	;; [unrolled: 1-line block ×4, first 2 shown]
	s_and_saveexec_b64 s[4:5], vcc
	s_cbranch_execz .LBB115_271
; %bb.270:
	v_accvgpr_read_b32 v0, a128
	buffer_load_dword v2, v0, s[0:3], 0 offen
	buffer_load_dword v3, v0, s[0:3], 0 offen offset:4
	buffer_load_dword v4, v0, s[0:3], 0 offen offset:8
	;; [unrolled: 1-line block ×3, first 2 shown]
	v_accvgpr_read_b32 v0, a156
	buffer_store_dword v98, off, s[0:3], 0 offset:448
	buffer_store_dword v98, off, s[0:3], 0 offset:452
	;; [unrolled: 1-line block ×4, first 2 shown]
	s_waitcnt vmcnt(4)
	ds_write_b128 v0, v[2:5]
.LBB115_271:
	s_or_b64 exec, exec, s[4:5]
	s_waitcnt lgkmcnt(0)
	; wave barrier
	s_waitcnt lgkmcnt(0)
	buffer_load_dword v22, off, s[0:3], 0 offset:464
	buffer_load_dword v23, off, s[0:3], 0 offset:468
	buffer_load_dword v24, off, s[0:3], 0 offset:472
	buffer_load_dword v25, off, s[0:3], 0 offset:476
	buffer_load_dword v27, off, s[0:3], 0 offset:508
	buffer_load_dword v28, off, s[0:3], 0 offset:480
	buffer_load_dword v32, off, s[0:3], 0 offset:488
	buffer_load_dword v33, off, s[0:3], 0 offset:492
	buffer_load_dword v30, off, s[0:3], 0 offset:496
	buffer_load_dword v26, off, s[0:3], 0 offset:504
	buffer_load_dword v31, off, s[0:3], 0 offset:500
	buffer_load_dword v29, off, s[0:3], 0 offset:484
	buffer_load_dword v20, off, s[0:3], 0 offset:448
	buffer_load_dword v21, off, s[0:3], 0 offset:452
	buffer_load_dword v18, off, s[0:3], 0 offset:456
	buffer_load_dword v19, off, s[0:3], 0 offset:460
	ds_read_b128 v[2:5], v98 offset:1280
	ds_read_b128 v[6:9], v98 offset:1296
	;; [unrolled: 1-line block ×4, first 2 shown]
	buffer_load_dword v35, off, s[0:3], 0 offset:540
	buffer_load_dword v34, off, s[0:3], 0 offset:536
	;; [unrolled: 1-line block ×48, first 2 shown]
	v_cmp_lt_u32_e32 vcc, 26, v255
	s_waitcnt vmcnt(42) lgkmcnt(0)
	v_mul_f64 v[104:105], v[14:15], v[38:39]
	s_waitcnt vmcnt(40)
	v_fmac_f64_e32 v[104:105], v[16:17], v[40:41]
	v_mul_f64 v[0:1], v[2:3], v[24:25]
	v_fmac_f64_e32 v[0:1], v[4:5], v[22:23]
	v_add_f64 v[0:1], v[0:1], 0
	v_mul_f64 v[4:5], v[4:5], v[24:25]
	v_mul_f64 v[82:83], v[6:7], v[32:33]
	v_fma_f64 v[2:3], v[2:3], v[22:23], -v[4:5]
	v_mul_f64 v[100:101], v[10:11], v[26:27]
	v_fmac_f64_e32 v[100:101], v[12:13], v[30:31]
	v_fmac_f64_e32 v[82:83], v[8:9], v[28:29]
	v_add_f64 v[0:1], v[0:1], v[82:83]
	buffer_load_dword v83, off, s[0:3], 0 offset:732
	buffer_load_dword v82, off, s[0:3], 0 offset:728
	;; [unrolled: 1-line block ×32, first 2 shown]
	v_add_f64 v[0:1], v[0:1], v[100:101]
	ds_read_b128 v[100:103], v98 offset:1344
	buffer_load_dword v197, off, s[0:3], 0 offset:844
	buffer_load_dword v196, off, s[0:3], 0 offset:840
	;; [unrolled: 1-line block ×4, first 2 shown]
	v_add_f64 v[0:1], v[0:1], v[104:105]
	ds_read_b128 v[104:107], v98 offset:1360
	v_mul_f64 v[4:5], v[8:9], v[32:33]
	s_waitcnt lgkmcnt(1)
	v_mul_f64 v[108:109], v[100:101], v[34:35]
	v_fmac_f64_e32 v[108:109], v[102:103], v[36:37]
	v_add_f64 v[0:1], v[0:1], v[108:109]
	ds_read_b128 v[108:111], v98 offset:1376
	s_waitcnt vmcnt(62) lgkmcnt(1)
	v_mul_f64 v[112:113], v[104:105], v[46:47]
	v_fmac_f64_e32 v[112:113], v[106:107], v[48:49]
	v_add_f64 v[0:1], v[0:1], v[112:113]
	ds_read_b128 v[112:115], v98 offset:1392
	s_waitcnt lgkmcnt(1)
	v_mul_f64 v[116:117], v[108:109], v[42:43]
	v_fmac_f64_e32 v[116:117], v[110:111], v[44:45]
	v_add_f64 v[0:1], v[0:1], v[116:117]
	ds_read_b128 v[116:119], v98 offset:1408
	s_waitcnt lgkmcnt(1)
	v_mul_f64 v[120:121], v[112:113], v[54:55]
	s_waitcnt vmcnt(60)
	v_fmac_f64_e32 v[120:121], v[114:115], v[56:57]
	v_add_f64 v[0:1], v[0:1], v[120:121]
	ds_read_b128 v[120:123], v98 offset:1424
	s_waitcnt lgkmcnt(1)
	v_mul_f64 v[124:125], v[116:117], v[50:51]
	v_fmac_f64_e32 v[124:125], v[118:119], v[52:53]
	v_add_f64 v[0:1], v[0:1], v[124:125]
	ds_read_b128 v[124:127], v98 offset:1440
	s_waitcnt vmcnt(54) lgkmcnt(1)
	v_mul_f64 v[128:129], v[120:121], v[62:63]
	s_waitcnt vmcnt(52)
	v_fmac_f64_e32 v[128:129], v[122:123], v[64:65]
	v_add_f64 v[0:1], v[0:1], v[128:129]
	ds_read_b128 v[128:131], v98 offset:1456
	s_waitcnt lgkmcnt(1)
	v_mul_f64 v[132:133], v[124:125], v[58:59]
	v_fmac_f64_e32 v[132:133], v[126:127], v[60:61]
	v_add_f64 v[2:3], v[2:3], 0
	v_fma_f64 v[4:5], v[6:7], v[28:29], -v[4:5]
	v_add_f64 v[0:1], v[0:1], v[132:133]
	ds_read_b128 v[132:135], v98 offset:1472
	v_add_f64 v[2:3], v[2:3], v[4:5]
	v_mul_f64 v[4:5], v[12:13], v[26:27]
	v_fma_f64 v[4:5], v[10:11], v[30:31], -v[4:5]
	v_add_f64 v[2:3], v[2:3], v[4:5]
	v_mul_f64 v[4:5], v[16:17], v[38:39]
	s_waitcnt vmcnt(46) lgkmcnt(1)
	v_mul_f64 v[136:137], v[128:129], v[70:71]
	v_fma_f64 v[4:5], v[14:15], v[40:41], -v[4:5]
	s_waitcnt vmcnt(44)
	v_fmac_f64_e32 v[136:137], v[130:131], v[72:73]
	v_add_f64 v[2:3], v[2:3], v[4:5]
	v_mul_f64 v[4:5], v[102:103], v[34:35]
	v_add_f64 v[0:1], v[0:1], v[136:137]
	ds_read_b128 v[136:139], v98 offset:1488
	s_waitcnt lgkmcnt(1)
	v_mul_f64 v[140:141], v[132:133], v[66:67]
	v_fma_f64 v[4:5], v[100:101], v[36:37], -v[4:5]
	v_fmac_f64_e32 v[140:141], v[134:135], v[68:69]
	v_add_f64 v[2:3], v[2:3], v[4:5]
	v_mul_f64 v[4:5], v[106:107], v[46:47]
	v_add_f64 v[0:1], v[0:1], v[140:141]
	ds_read_b128 v[140:143], v98 offset:1504
	v_fma_f64 v[4:5], v[104:105], v[48:49], -v[4:5]
	v_add_f64 v[2:3], v[2:3], v[4:5]
	v_mul_f64 v[4:5], v[110:111], v[42:43]
	v_fma_f64 v[4:5], v[108:109], v[44:45], -v[4:5]
	s_waitcnt vmcnt(38) lgkmcnt(1)
	v_mul_f64 v[144:145], v[136:137], v[78:79]
	v_add_f64 v[2:3], v[2:3], v[4:5]
	v_mul_f64 v[4:5], v[114:115], v[54:55]
	s_waitcnt vmcnt(36)
	v_fmac_f64_e32 v[144:145], v[138:139], v[80:81]
	v_fma_f64 v[4:5], v[112:113], v[56:57], -v[4:5]
	v_add_f64 v[0:1], v[0:1], v[144:145]
	ds_read_b128 v[144:147], v98 offset:1520
	s_waitcnt lgkmcnt(1)
	v_mul_f64 v[148:149], v[140:141], v[74:75]
	v_add_f64 v[2:3], v[2:3], v[4:5]
	v_mul_f64 v[4:5], v[118:119], v[50:51]
	v_fmac_f64_e32 v[148:149], v[142:143], v[76:77]
	v_fma_f64 v[4:5], v[116:117], v[52:53], -v[4:5]
	v_add_f64 v[0:1], v[0:1], v[148:149]
	ds_read_b128 v[148:151], v98 offset:1536
	v_add_f64 v[2:3], v[2:3], v[4:5]
	v_mul_f64 v[4:5], v[122:123], v[62:63]
	v_fma_f64 v[4:5], v[120:121], v[64:65], -v[4:5]
	v_add_f64 v[2:3], v[2:3], v[4:5]
	v_mul_f64 v[4:5], v[126:127], v[58:59]
	s_waitcnt vmcnt(30) lgkmcnt(1)
	v_mul_f64 v[152:153], v[144:145], v[86:87]
	v_fma_f64 v[4:5], v[124:125], v[60:61], -v[4:5]
	s_waitcnt vmcnt(28)
	v_fmac_f64_e32 v[152:153], v[146:147], v[88:89]
	v_add_f64 v[2:3], v[2:3], v[4:5]
	v_mul_f64 v[4:5], v[130:131], v[70:71]
	v_add_f64 v[0:1], v[0:1], v[152:153]
	ds_read_b128 v[152:155], v98 offset:1552
	s_waitcnt lgkmcnt(1)
	v_mul_f64 v[156:157], v[148:149], v[82:83]
	v_fma_f64 v[4:5], v[128:129], v[72:73], -v[4:5]
	v_fmac_f64_e32 v[156:157], v[150:151], v[84:85]
	v_add_f64 v[2:3], v[2:3], v[4:5]
	v_mul_f64 v[4:5], v[134:135], v[66:67]
	v_add_f64 v[0:1], v[0:1], v[156:157]
	ds_read_b128 v[156:159], v98 offset:1568
	v_fma_f64 v[4:5], v[132:133], v[68:69], -v[4:5]
	v_add_f64 v[2:3], v[2:3], v[4:5]
	v_mul_f64 v[4:5], v[138:139], v[78:79]
	v_fma_f64 v[4:5], v[136:137], v[80:81], -v[4:5]
	s_waitcnt vmcnt(22) lgkmcnt(1)
	v_mul_f64 v[160:161], v[152:153], v[94:95]
	v_add_f64 v[2:3], v[2:3], v[4:5]
	v_mul_f64 v[4:5], v[142:143], v[74:75]
	s_waitcnt vmcnt(20)
	v_fmac_f64_e32 v[160:161], v[154:155], v[96:97]
	v_fma_f64 v[4:5], v[140:141], v[76:77], -v[4:5]
	v_add_f64 v[0:1], v[0:1], v[160:161]
	ds_read_b128 v[160:163], v98 offset:1584
	s_waitcnt lgkmcnt(1)
	v_mul_f64 v[164:165], v[156:157], v[90:91]
	v_add_f64 v[2:3], v[2:3], v[4:5]
	v_mul_f64 v[4:5], v[146:147], v[86:87]
	v_fmac_f64_e32 v[164:165], v[158:159], v[92:93]
	v_fma_f64 v[4:5], v[144:145], v[88:89], -v[4:5]
	v_add_f64 v[0:1], v[0:1], v[164:165]
	ds_read_b128 v[164:167], v98 offset:1600
	v_add_f64 v[2:3], v[2:3], v[4:5]
	v_mul_f64 v[4:5], v[150:151], v[82:83]
	v_fma_f64 v[4:5], v[148:149], v[84:85], -v[4:5]
	v_add_f64 v[2:3], v[2:3], v[4:5]
	v_mul_f64 v[4:5], v[154:155], v[94:95]
	s_waitcnt vmcnt(14) lgkmcnt(1)
	v_mul_f64 v[168:169], v[160:161], v[184:185]
	v_fma_f64 v[4:5], v[152:153], v[96:97], -v[4:5]
	s_waitcnt vmcnt(12)
	v_fmac_f64_e32 v[168:169], v[162:163], v[186:187]
	v_add_f64 v[2:3], v[2:3], v[4:5]
	v_mul_f64 v[4:5], v[158:159], v[90:91]
	v_add_f64 v[0:1], v[0:1], v[168:169]
	ds_read_b128 v[168:171], v98 offset:1616
	s_waitcnt lgkmcnt(1)
	v_mul_f64 v[172:173], v[164:165], v[180:181]
	v_fma_f64 v[4:5], v[156:157], v[92:93], -v[4:5]
	v_fmac_f64_e32 v[172:173], v[166:167], v[182:183]
	v_add_f64 v[2:3], v[2:3], v[4:5]
	v_mul_f64 v[4:5], v[162:163], v[184:185]
	v_add_f64 v[0:1], v[0:1], v[172:173]
	ds_read_b128 v[172:175], v98 offset:1632
	v_fma_f64 v[4:5], v[160:161], v[186:187], -v[4:5]
	v_add_f64 v[2:3], v[2:3], v[4:5]
	v_mul_f64 v[4:5], v[166:167], v[180:181]
	ds_read_b128 v[176:179], v98 offset:1648
	v_fma_f64 v[4:5], v[164:165], v[182:183], -v[4:5]
	v_add_f64 v[2:3], v[2:3], v[4:5]
	s_waitcnt vmcnt(6) lgkmcnt(2)
	v_mul_f64 v[4:5], v[170:171], v[192:193]
	s_waitcnt vmcnt(4)
	v_fma_f64 v[4:5], v[168:169], v[194:195], -v[4:5]
	v_mul_f64 v[200:201], v[168:169], v[192:193]
	v_add_f64 v[2:3], v[2:3], v[4:5]
	s_waitcnt lgkmcnt(1)
	v_mul_f64 v[4:5], v[174:175], v[188:189]
	v_fmac_f64_e32 v[200:201], v[170:171], v[194:195]
	v_mul_f64 v[98:99], v[172:173], v[188:189]
	v_fma_f64 v[4:5], v[172:173], v[190:191], -v[4:5]
	v_add_f64 v[0:1], v[0:1], v[200:201]
	v_fmac_f64_e32 v[98:99], v[174:175], v[190:191]
	v_add_f64 v[2:3], v[2:3], v[4:5]
	s_waitcnt vmcnt(2) lgkmcnt(0)
	v_mul_f64 v[4:5], v[178:179], v[196:197]
	v_add_f64 v[0:1], v[0:1], v[98:99]
	v_mul_f64 v[98:99], v[176:177], v[196:197]
	s_waitcnt vmcnt(0)
	v_fma_f64 v[4:5], v[176:177], v[198:199], -v[4:5]
	v_fmac_f64_e32 v[98:99], v[178:179], v[198:199]
	v_add_f64 v[2:3], v[2:3], v[4:5]
	v_add_f64 v[0:1], v[0:1], v[98:99]
	v_add_f64 v[2:3], v[20:21], -v[2:3]
	v_add_f64 v[0:1], v[18:19], -v[0:1]
	buffer_store_dword v3, off, s[0:3], 0 offset:452
	buffer_store_dword v2, off, s[0:3], 0 offset:448
	;; [unrolled: 1-line block ×4, first 2 shown]
	s_and_saveexec_b64 s[4:5], vcc
	s_cbranch_execz .LBB115_273
; %bb.272:
	v_accvgpr_read_b32 v0, a129
	buffer_load_dword v2, v0, s[0:3], 0 offen
	buffer_load_dword v3, v0, s[0:3], 0 offen offset:4
	buffer_load_dword v4, v0, s[0:3], 0 offen offset:8
	;; [unrolled: 1-line block ×3, first 2 shown]
	v_mov_b32_e32 v0, 0
	v_accvgpr_read_b32 v1, a156
	buffer_store_dword v0, off, s[0:3], 0 offset:432
	buffer_store_dword v0, off, s[0:3], 0 offset:436
	;; [unrolled: 1-line block ×4, first 2 shown]
	s_waitcnt vmcnt(4)
	ds_write_b128 v1, v[2:5]
.LBB115_273:
	s_or_b64 exec, exec, s[4:5]
	s_waitcnt lgkmcnt(0)
	; wave barrier
	s_waitcnt lgkmcnt(0)
	buffer_load_dword v22, off, s[0:3], 0 offset:448
	buffer_load_dword v23, off, s[0:3], 0 offset:452
	;; [unrolled: 1-line block ×64, first 2 shown]
	v_mov_b32_e32 v114, 0
	ds_read_b128 v[18:21], v114 offset:1264
	ds_read_b128 v[14:17], v114 offset:1280
	;; [unrolled: 1-line block ×5, first 2 shown]
	v_cmp_lt_u32_e32 vcc, 25, v255
	s_waitcnt vmcnt(60) lgkmcnt(4)
	v_mul_f64 v[0:1], v[18:19], v[26:27]
	v_fmac_f64_e32 v[0:1], v[20:21], v[22:23]
	v_add_f64 v[0:1], v[0:1], 0
	v_mul_f64 v[20:21], v[20:21], v[26:27]
	s_waitcnt vmcnt(56) lgkmcnt(3)
	v_mul_f64 v[86:87], v[14:15], v[28:29]
	v_fmac_f64_e32 v[86:87], v[16:17], v[24:25]
	s_waitcnt vmcnt(54) lgkmcnt(2)
	v_mul_f64 v[88:89], v[10:11], v[30:31]
	v_add_f64 v[0:1], v[0:1], v[86:87]
	v_fma_f64 v[18:19], v[18:19], v[22:23], -v[20:21]
	v_mul_f64 v[16:17], v[16:17], v[28:29]
	s_waitcnt vmcnt(50) lgkmcnt(1)
	v_mul_f64 v[102:103], v[6:7], v[40:41]
	v_add_f64 v[18:19], v[18:19], 0
	s_waitcnt vmcnt(48)
	v_fmac_f64_e32 v[88:89], v[12:13], v[44:45]
	v_add_f64 v[0:1], v[0:1], v[88:89]
	buffer_load_dword v87, off, s[0:3], 0 offset:716
	buffer_load_dword v86, off, s[0:3], 0 offset:712
	;; [unrolled: 1-line block ×40, first 2 shown]
	s_waitcnt vmcnt(62)
	v_fmac_f64_e32 v[102:103], v[8:9], v[42:43]
	v_add_f64 v[0:1], v[0:1], v[102:103]
	ds_read_b128 v[102:105], v114 offset:1344
	s_waitcnt lgkmcnt(1)
	v_mul_f64 v[106:107], v[2:3], v[36:37]
	v_fmac_f64_e32 v[106:107], v[4:5], v[38:39]
	v_add_f64 v[0:1], v[0:1], v[106:107]
	ds_read_b128 v[106:109], v114 offset:1360
	s_waitcnt lgkmcnt(1)
	v_mul_f64 v[110:111], v[102:103], v[50:51]
	;; [unrolled: 5-line block ×5, first 2 shown]
	v_fmac_f64_e32 v[124:125], v[118:119], v[56:57]
	v_add_f64 v[0:1], v[0:1], v[124:125]
	ds_read_b128 v[124:127], v114 offset:1424
	s_waitcnt vmcnt(58) lgkmcnt(1)
	v_mul_f64 v[128:129], v[120:121], v[66:67]
	s_waitcnt vmcnt(56)
	v_fmac_f64_e32 v[128:129], v[122:123], v[68:69]
	v_add_f64 v[0:1], v[0:1], v[128:129]
	ds_read_b128 v[128:131], v114 offset:1440
	s_waitcnt lgkmcnt(1)
	v_mul_f64 v[132:133], v[124:125], v[62:63]
	v_fmac_f64_e32 v[132:133], v[126:127], v[64:65]
	v_add_f64 v[0:1], v[0:1], v[132:133]
	ds_read_b128 v[132:135], v114 offset:1456
	s_waitcnt vmcnt(50) lgkmcnt(1)
	v_mul_f64 v[136:137], v[128:129], v[74:75]
	s_waitcnt vmcnt(48)
	v_fmac_f64_e32 v[136:137], v[130:131], v[76:77]
	v_add_f64 v[0:1], v[0:1], v[136:137]
	ds_read_b128 v[136:139], v114 offset:1472
	v_fma_f64 v[14:15], v[14:15], v[24:25], -v[16:17]
	v_mul_f64 v[12:13], v[12:13], v[30:31]
	v_add_f64 v[14:15], v[18:19], v[14:15]
	v_fma_f64 v[10:11], v[10:11], v[44:45], -v[12:13]
	v_mul_f64 v[8:9], v[8:9], v[40:41]
	s_waitcnt lgkmcnt(1)
	v_mul_f64 v[140:141], v[132:133], v[70:71]
	v_add_f64 v[10:11], v[14:15], v[10:11]
	v_fma_f64 v[6:7], v[6:7], v[42:43], -v[8:9]
	v_mul_f64 v[4:5], v[4:5], v[36:37]
	v_fmac_f64_e32 v[140:141], v[134:135], v[72:73]
	v_add_f64 v[6:7], v[10:11], v[6:7]
	v_fma_f64 v[2:3], v[2:3], v[38:39], -v[4:5]
	v_mul_f64 v[4:5], v[104:105], v[50:51]
	v_add_f64 v[0:1], v[0:1], v[140:141]
	ds_read_b128 v[140:143], v114 offset:1488
	s_waitcnt vmcnt(42) lgkmcnt(1)
	v_mul_f64 v[144:145], v[136:137], v[82:83]
	v_add_f64 v[2:3], v[6:7], v[2:3]
	v_fma_f64 v[4:5], v[102:103], v[52:53], -v[4:5]
	s_waitcnt vmcnt(40)
	v_fmac_f64_e32 v[144:145], v[138:139], v[84:85]
	v_add_f64 v[2:3], v[2:3], v[4:5]
	v_mul_f64 v[4:5], v[108:109], v[46:47]
	v_add_f64 v[0:1], v[0:1], v[144:145]
	ds_read_b128 v[144:147], v114 offset:1504
	v_fma_f64 v[4:5], v[106:107], v[48:49], -v[4:5]
	v_add_f64 v[2:3], v[2:3], v[4:5]
	v_mul_f64 v[4:5], v[112:113], v[58:59]
	v_fma_f64 v[4:5], v[110:111], v[60:61], -v[4:5]
	s_waitcnt lgkmcnt(1)
	v_mul_f64 v[148:149], v[140:141], v[78:79]
	v_add_f64 v[2:3], v[2:3], v[4:5]
	v_mul_f64 v[4:5], v[118:119], v[54:55]
	v_fmac_f64_e32 v[148:149], v[142:143], v[80:81]
	v_fma_f64 v[4:5], v[116:117], v[56:57], -v[4:5]
	v_add_f64 v[0:1], v[0:1], v[148:149]
	ds_read_b128 v[148:151], v114 offset:1520
	s_waitcnt vmcnt(34) lgkmcnt(1)
	v_mul_f64 v[152:153], v[144:145], v[90:91]
	v_add_f64 v[2:3], v[2:3], v[4:5]
	v_mul_f64 v[4:5], v[122:123], v[66:67]
	s_waitcnt vmcnt(32)
	v_fmac_f64_e32 v[152:153], v[146:147], v[92:93]
	v_fma_f64 v[4:5], v[120:121], v[68:69], -v[4:5]
	v_add_f64 v[0:1], v[0:1], v[152:153]
	ds_read_b128 v[152:155], v114 offset:1536
	v_add_f64 v[2:3], v[2:3], v[4:5]
	v_mul_f64 v[4:5], v[126:127], v[62:63]
	v_fma_f64 v[4:5], v[124:125], v[64:65], -v[4:5]
	v_add_f64 v[2:3], v[2:3], v[4:5]
	v_mul_f64 v[4:5], v[130:131], v[74:75]
	s_waitcnt lgkmcnt(1)
	v_mul_f64 v[156:157], v[148:149], v[86:87]
	v_fma_f64 v[4:5], v[128:129], v[76:77], -v[4:5]
	v_fmac_f64_e32 v[156:157], v[150:151], v[88:89]
	v_add_f64 v[2:3], v[2:3], v[4:5]
	v_mul_f64 v[4:5], v[134:135], v[70:71]
	v_add_f64 v[0:1], v[0:1], v[156:157]
	ds_read_b128 v[156:159], v114 offset:1552
	s_waitcnt vmcnt(26) lgkmcnt(1)
	v_mul_f64 v[160:161], v[152:153], v[98:99]
	v_fma_f64 v[4:5], v[132:133], v[72:73], -v[4:5]
	s_waitcnt vmcnt(24)
	v_fmac_f64_e32 v[160:161], v[154:155], v[100:101]
	v_add_f64 v[2:3], v[2:3], v[4:5]
	v_mul_f64 v[4:5], v[138:139], v[82:83]
	v_add_f64 v[0:1], v[0:1], v[160:161]
	ds_read_b128 v[160:163], v114 offset:1568
	v_fma_f64 v[4:5], v[136:137], v[84:85], -v[4:5]
	v_add_f64 v[2:3], v[2:3], v[4:5]
	v_mul_f64 v[4:5], v[142:143], v[78:79]
	v_fma_f64 v[4:5], v[140:141], v[80:81], -v[4:5]
	s_waitcnt lgkmcnt(1)
	v_mul_f64 v[164:165], v[156:157], v[94:95]
	v_add_f64 v[2:3], v[2:3], v[4:5]
	v_mul_f64 v[4:5], v[146:147], v[90:91]
	v_fmac_f64_e32 v[164:165], v[158:159], v[96:97]
	v_fma_f64 v[4:5], v[144:145], v[92:93], -v[4:5]
	v_add_f64 v[0:1], v[0:1], v[164:165]
	ds_read_b128 v[164:167], v114 offset:1584
	s_waitcnt vmcnt(18) lgkmcnt(1)
	v_mul_f64 v[168:169], v[160:161], v[188:189]
	v_add_f64 v[2:3], v[2:3], v[4:5]
	v_mul_f64 v[4:5], v[150:151], v[86:87]
	s_waitcnt vmcnt(16)
	v_fmac_f64_e32 v[168:169], v[162:163], v[190:191]
	v_fma_f64 v[4:5], v[148:149], v[88:89], -v[4:5]
	v_add_f64 v[0:1], v[0:1], v[168:169]
	ds_read_b128 v[168:171], v114 offset:1600
	v_add_f64 v[2:3], v[2:3], v[4:5]
	v_mul_f64 v[4:5], v[154:155], v[98:99]
	v_fma_f64 v[4:5], v[152:153], v[100:101], -v[4:5]
	v_add_f64 v[2:3], v[2:3], v[4:5]
	v_mul_f64 v[4:5], v[158:159], v[94:95]
	s_waitcnt lgkmcnt(1)
	v_mul_f64 v[172:173], v[164:165], v[184:185]
	v_fma_f64 v[4:5], v[156:157], v[96:97], -v[4:5]
	v_fmac_f64_e32 v[172:173], v[166:167], v[186:187]
	v_add_f64 v[2:3], v[2:3], v[4:5]
	v_mul_f64 v[4:5], v[162:163], v[188:189]
	v_add_f64 v[0:1], v[0:1], v[172:173]
	ds_read_b128 v[172:175], v114 offset:1616
	s_waitcnt vmcnt(10) lgkmcnt(1)
	v_mul_f64 v[176:177], v[168:169], v[196:197]
	v_fma_f64 v[4:5], v[160:161], v[190:191], -v[4:5]
	s_waitcnt vmcnt(8)
	v_fmac_f64_e32 v[176:177], v[170:171], v[198:199]
	v_add_f64 v[2:3], v[2:3], v[4:5]
	v_mul_f64 v[4:5], v[166:167], v[184:185]
	v_add_f64 v[0:1], v[0:1], v[176:177]
	ds_read_b128 v[176:179], v114 offset:1632
	ds_read_b128 v[180:183], v114 offset:1648
	v_fma_f64 v[4:5], v[164:165], v[186:187], -v[4:5]
	v_add_f64 v[2:3], v[2:3], v[4:5]
	v_mul_f64 v[4:5], v[170:171], v[196:197]
	v_fma_f64 v[4:5], v[168:169], v[198:199], -v[4:5]
	v_add_f64 v[2:3], v[2:3], v[4:5]
	s_waitcnt lgkmcnt(2)
	v_mul_f64 v[4:5], v[174:175], v[192:193]
	v_mul_f64 v[208:209], v[172:173], v[192:193]
	v_fma_f64 v[4:5], v[172:173], v[194:195], -v[4:5]
	v_fmac_f64_e32 v[208:209], v[174:175], v[194:195]
	v_add_f64 v[2:3], v[2:3], v[4:5]
	s_waitcnt vmcnt(2) lgkmcnt(1)
	v_mul_f64 v[4:5], v[178:179], v[204:205]
	v_add_f64 v[0:1], v[0:1], v[208:209]
	v_mul_f64 v[208:209], v[176:177], v[204:205]
	s_waitcnt vmcnt(0)
	v_fma_f64 v[4:5], v[176:177], v[206:207], -v[4:5]
	v_fmac_f64_e32 v[208:209], v[178:179], v[206:207]
	v_add_f64 v[2:3], v[2:3], v[4:5]
	s_waitcnt lgkmcnt(0)
	v_mul_f64 v[4:5], v[182:183], v[200:201]
	v_add_f64 v[0:1], v[0:1], v[208:209]
	v_mul_f64 v[208:209], v[180:181], v[200:201]
	v_fma_f64 v[4:5], v[180:181], v[202:203], -v[4:5]
	v_fmac_f64_e32 v[208:209], v[182:183], v[202:203]
	v_add_f64 v[2:3], v[2:3], v[4:5]
	v_add_f64 v[0:1], v[0:1], v[208:209]
	v_add_f64 v[2:3], v[34:35], -v[2:3]
	v_add_f64 v[0:1], v[32:33], -v[0:1]
	buffer_store_dword v3, off, s[0:3], 0 offset:436
	buffer_store_dword v2, off, s[0:3], 0 offset:432
	;; [unrolled: 1-line block ×4, first 2 shown]
	s_and_saveexec_b64 s[4:5], vcc
	s_cbranch_execz .LBB115_275
; %bb.274:
	v_accvgpr_read_b32 v0, a130
	buffer_load_dword v2, v0, s[0:3], 0 offen
	buffer_load_dword v3, v0, s[0:3], 0 offen offset:4
	buffer_load_dword v4, v0, s[0:3], 0 offen offset:8
	;; [unrolled: 1-line block ×3, first 2 shown]
	v_accvgpr_read_b32 v0, a156
	buffer_store_dword v114, off, s[0:3], 0 offset:416
	buffer_store_dword v114, off, s[0:3], 0 offset:420
	;; [unrolled: 1-line block ×4, first 2 shown]
	s_waitcnt vmcnt(4)
	ds_write_b128 v0, v[2:5]
.LBB115_275:
	s_or_b64 exec, exec, s[4:5]
	s_waitcnt lgkmcnt(0)
	; wave barrier
	s_waitcnt lgkmcnt(0)
	buffer_load_dword v26, off, s[0:3], 0 offset:432
	buffer_load_dword v27, off, s[0:3], 0 offset:436
	;; [unrolled: 1-line block ×24, first 2 shown]
	ds_read_b128 v[22:25], v114 offset:1248
	ds_read_b128 v[18:21], v114 offset:1264
	;; [unrolled: 1-line block ×6, first 2 shown]
	buffer_load_dword v51, off, s[0:3], 0 offset:540
	buffer_load_dword v50, off, s[0:3], 0 offset:536
	;; [unrolled: 1-line block ×40, first 2 shown]
	v_cmp_lt_u32_e32 vcc, 24, v255
	s_waitcnt vmcnt(34) lgkmcnt(0)
	v_mul_f64 v[120:121], v[14:15], v[54:55]
	s_waitcnt vmcnt(32)
	v_fmac_f64_e32 v[120:121], v[16:17], v[56:57]
	v_mul_f64 v[0:1], v[22:23], v[28:29]
	v_fmac_f64_e32 v[0:1], v[24:25], v[26:27]
	v_mul_f64 v[90:91], v[18:19], v[30:31]
	v_add_f64 v[0:1], v[0:1], 0
	v_mul_f64 v[92:93], v[10:11], v[32:33]
	v_mul_f64 v[24:25], v[24:25], v[28:29]
	v_mul_f64 v[116:117], v[2:3], v[38:39]
	v_fma_f64 v[22:23], v[22:23], v[26:27], -v[24:25]
	v_add_f64 v[22:23], v[22:23], 0
	v_mul_f64 v[94:95], v[6:7], v[42:43]
	v_fmac_f64_e32 v[90:91], v[20:21], v[48:49]
	v_add_f64 v[0:1], v[0:1], v[90:91]
	v_fmac_f64_e32 v[92:93], v[12:13], v[46:47]
	v_add_f64 v[0:1], v[0:1], v[92:93]
	;; [unrolled: 2-line block ×3, first 2 shown]
	buffer_load_dword v91, off, s[0:3], 0 offset:700
	buffer_load_dword v90, off, s[0:3], 0 offset:696
	;; [unrolled: 1-line block ×40, first 2 shown]
	v_fmac_f64_e32 v[116:117], v[4:5], v[40:41]
	v_add_f64 v[0:1], v[0:1], v[116:117]
	ds_read_b128 v[116:119], v114 offset:1344
	buffer_load_dword v213, off, s[0:3], 0 offset:844
	buffer_load_dword v212, off, s[0:3], 0 offset:840
	;; [unrolled: 1-line block ×4, first 2 shown]
	v_add_f64 v[0:1], v[0:1], v[120:121]
	ds_read_b128 v[120:123], v114 offset:1360
	v_mul_f64 v[20:21], v[20:21], v[30:31]
	s_waitcnt lgkmcnt(1)
	v_mul_f64 v[124:125], v[116:117], v[50:51]
	v_fmac_f64_e32 v[124:125], v[118:119], v[52:53]
	v_add_f64 v[0:1], v[0:1], v[124:125]
	ds_read_b128 v[124:127], v114 offset:1376
	s_waitcnt vmcnt(62) lgkmcnt(1)
	v_mul_f64 v[128:129], v[120:121], v[62:63]
	v_fmac_f64_e32 v[128:129], v[122:123], v[64:65]
	v_add_f64 v[0:1], v[0:1], v[128:129]
	ds_read_b128 v[128:131], v114 offset:1392
	s_waitcnt lgkmcnt(1)
	v_mul_f64 v[132:133], v[124:125], v[58:59]
	v_fmac_f64_e32 v[132:133], v[126:127], v[60:61]
	v_add_f64 v[0:1], v[0:1], v[132:133]
	ds_read_b128 v[132:135], v114 offset:1408
	s_waitcnt lgkmcnt(1)
	v_mul_f64 v[136:137], v[128:129], v[70:71]
	s_waitcnt vmcnt(60)
	v_fmac_f64_e32 v[136:137], v[130:131], v[72:73]
	v_add_f64 v[0:1], v[0:1], v[136:137]
	ds_read_b128 v[136:139], v114 offset:1424
	s_waitcnt lgkmcnt(1)
	v_mul_f64 v[140:141], v[132:133], v[66:67]
	v_fmac_f64_e32 v[140:141], v[134:135], v[68:69]
	v_add_f64 v[0:1], v[0:1], v[140:141]
	ds_read_b128 v[140:143], v114 offset:1440
	s_waitcnt vmcnt(54) lgkmcnt(1)
	v_mul_f64 v[144:145], v[136:137], v[78:79]
	s_waitcnt vmcnt(52)
	v_fmac_f64_e32 v[144:145], v[138:139], v[80:81]
	v_add_f64 v[0:1], v[0:1], v[144:145]
	ds_read_b128 v[144:147], v114 offset:1456
	s_waitcnt lgkmcnt(1)
	v_mul_f64 v[148:149], v[140:141], v[74:75]
	v_fmac_f64_e32 v[148:149], v[142:143], v[76:77]
	v_fma_f64 v[18:19], v[18:19], v[48:49], -v[20:21]
	v_mul_f64 v[12:13], v[12:13], v[32:33]
	v_add_f64 v[0:1], v[0:1], v[148:149]
	ds_read_b128 v[148:151], v114 offset:1472
	v_add_f64 v[18:19], v[22:23], v[18:19]
	v_fma_f64 v[10:11], v[10:11], v[46:47], -v[12:13]
	v_mul_f64 v[8:9], v[8:9], v[42:43]
	v_add_f64 v[10:11], v[18:19], v[10:11]
	v_fma_f64 v[6:7], v[6:7], v[44:45], -v[8:9]
	v_mul_f64 v[4:5], v[4:5], v[38:39]
	;; [unrolled: 3-line block ×3, first 2 shown]
	s_waitcnt vmcnt(46) lgkmcnt(1)
	v_mul_f64 v[152:153], v[144:145], v[86:87]
	v_add_f64 v[2:3], v[6:7], v[2:3]
	v_fma_f64 v[4:5], v[14:15], v[56:57], -v[4:5]
	s_waitcnt vmcnt(44)
	v_fmac_f64_e32 v[152:153], v[146:147], v[88:89]
	v_add_f64 v[2:3], v[2:3], v[4:5]
	v_mul_f64 v[4:5], v[118:119], v[50:51]
	v_add_f64 v[0:1], v[0:1], v[152:153]
	ds_read_b128 v[152:155], v114 offset:1488
	s_waitcnt lgkmcnt(1)
	v_mul_f64 v[156:157], v[148:149], v[82:83]
	v_fma_f64 v[4:5], v[116:117], v[52:53], -v[4:5]
	v_fmac_f64_e32 v[156:157], v[150:151], v[84:85]
	v_add_f64 v[2:3], v[2:3], v[4:5]
	v_mul_f64 v[4:5], v[122:123], v[62:63]
	v_add_f64 v[0:1], v[0:1], v[156:157]
	ds_read_b128 v[156:159], v114 offset:1504
	v_fma_f64 v[4:5], v[120:121], v[64:65], -v[4:5]
	v_add_f64 v[2:3], v[2:3], v[4:5]
	v_mul_f64 v[4:5], v[126:127], v[58:59]
	v_fma_f64 v[4:5], v[124:125], v[60:61], -v[4:5]
	s_waitcnt vmcnt(38) lgkmcnt(1)
	v_mul_f64 v[160:161], v[152:153], v[94:95]
	v_add_f64 v[2:3], v[2:3], v[4:5]
	v_mul_f64 v[4:5], v[130:131], v[70:71]
	s_waitcnt vmcnt(36)
	v_fmac_f64_e32 v[160:161], v[154:155], v[96:97]
	v_fma_f64 v[4:5], v[128:129], v[72:73], -v[4:5]
	v_add_f64 v[0:1], v[0:1], v[160:161]
	ds_read_b128 v[160:163], v114 offset:1520
	s_waitcnt lgkmcnt(1)
	v_mul_f64 v[164:165], v[156:157], v[90:91]
	v_add_f64 v[2:3], v[2:3], v[4:5]
	v_mul_f64 v[4:5], v[134:135], v[66:67]
	v_fmac_f64_e32 v[164:165], v[158:159], v[92:93]
	v_fma_f64 v[4:5], v[132:133], v[68:69], -v[4:5]
	v_add_f64 v[0:1], v[0:1], v[164:165]
	ds_read_b128 v[164:167], v114 offset:1536
	v_add_f64 v[2:3], v[2:3], v[4:5]
	v_mul_f64 v[4:5], v[138:139], v[78:79]
	v_fma_f64 v[4:5], v[136:137], v[80:81], -v[4:5]
	v_add_f64 v[2:3], v[2:3], v[4:5]
	v_mul_f64 v[4:5], v[142:143], v[74:75]
	s_waitcnt vmcnt(30) lgkmcnt(1)
	v_mul_f64 v[168:169], v[160:161], v[102:103]
	v_fma_f64 v[4:5], v[140:141], v[76:77], -v[4:5]
	s_waitcnt vmcnt(28)
	v_fmac_f64_e32 v[168:169], v[162:163], v[104:105]
	v_add_f64 v[2:3], v[2:3], v[4:5]
	v_mul_f64 v[4:5], v[146:147], v[86:87]
	v_add_f64 v[0:1], v[0:1], v[168:169]
	ds_read_b128 v[168:171], v114 offset:1552
	s_waitcnt lgkmcnt(1)
	v_mul_f64 v[172:173], v[164:165], v[98:99]
	v_fma_f64 v[4:5], v[144:145], v[88:89], -v[4:5]
	v_fmac_f64_e32 v[172:173], v[166:167], v[100:101]
	v_add_f64 v[2:3], v[2:3], v[4:5]
	v_mul_f64 v[4:5], v[150:151], v[82:83]
	v_add_f64 v[0:1], v[0:1], v[172:173]
	ds_read_b128 v[172:175], v114 offset:1568
	v_fma_f64 v[4:5], v[148:149], v[84:85], -v[4:5]
	v_add_f64 v[2:3], v[2:3], v[4:5]
	v_mul_f64 v[4:5], v[154:155], v[94:95]
	v_fma_f64 v[4:5], v[152:153], v[96:97], -v[4:5]
	s_waitcnt vmcnt(22) lgkmcnt(1)
	v_mul_f64 v[176:177], v[168:169], v[110:111]
	v_add_f64 v[2:3], v[2:3], v[4:5]
	v_mul_f64 v[4:5], v[158:159], v[90:91]
	s_waitcnt vmcnt(20)
	v_fmac_f64_e32 v[176:177], v[170:171], v[112:113]
	v_fma_f64 v[4:5], v[156:157], v[92:93], -v[4:5]
	v_add_f64 v[0:1], v[0:1], v[176:177]
	ds_read_b128 v[176:179], v114 offset:1584
	s_waitcnt lgkmcnt(1)
	v_mul_f64 v[180:181], v[172:173], v[106:107]
	v_add_f64 v[2:3], v[2:3], v[4:5]
	v_mul_f64 v[4:5], v[162:163], v[102:103]
	v_fmac_f64_e32 v[180:181], v[174:175], v[108:109]
	v_fma_f64 v[4:5], v[160:161], v[104:105], -v[4:5]
	v_add_f64 v[0:1], v[0:1], v[180:181]
	ds_read_b128 v[180:183], v114 offset:1600
	v_add_f64 v[2:3], v[2:3], v[4:5]
	v_mul_f64 v[4:5], v[166:167], v[98:99]
	v_fma_f64 v[4:5], v[164:165], v[100:101], -v[4:5]
	v_add_f64 v[2:3], v[2:3], v[4:5]
	v_mul_f64 v[4:5], v[170:171], v[110:111]
	s_waitcnt vmcnt(14) lgkmcnt(1)
	v_mul_f64 v[184:185], v[176:177], v[200:201]
	v_fma_f64 v[4:5], v[168:169], v[112:113], -v[4:5]
	s_waitcnt vmcnt(12)
	v_fmac_f64_e32 v[184:185], v[178:179], v[202:203]
	v_add_f64 v[2:3], v[2:3], v[4:5]
	v_mul_f64 v[4:5], v[174:175], v[106:107]
	v_add_f64 v[0:1], v[0:1], v[184:185]
	ds_read_b128 v[184:187], v114 offset:1616
	s_waitcnt lgkmcnt(1)
	v_mul_f64 v[188:189], v[180:181], v[196:197]
	v_fma_f64 v[4:5], v[172:173], v[108:109], -v[4:5]
	v_fmac_f64_e32 v[188:189], v[182:183], v[198:199]
	v_add_f64 v[2:3], v[2:3], v[4:5]
	v_mul_f64 v[4:5], v[178:179], v[200:201]
	v_add_f64 v[0:1], v[0:1], v[188:189]
	ds_read_b128 v[188:191], v114 offset:1632
	v_fma_f64 v[4:5], v[176:177], v[202:203], -v[4:5]
	v_add_f64 v[2:3], v[2:3], v[4:5]
	v_mul_f64 v[4:5], v[182:183], v[196:197]
	ds_read_b128 v[192:195], v114 offset:1648
	v_fma_f64 v[4:5], v[180:181], v[198:199], -v[4:5]
	v_add_f64 v[2:3], v[2:3], v[4:5]
	s_waitcnt vmcnt(6) lgkmcnt(2)
	v_mul_f64 v[4:5], v[186:187], v[208:209]
	s_waitcnt vmcnt(4)
	v_fma_f64 v[4:5], v[184:185], v[210:211], -v[4:5]
	v_mul_f64 v[216:217], v[184:185], v[208:209]
	v_add_f64 v[2:3], v[2:3], v[4:5]
	s_waitcnt lgkmcnt(1)
	v_mul_f64 v[4:5], v[190:191], v[204:205]
	v_fmac_f64_e32 v[216:217], v[186:187], v[210:211]
	v_mul_f64 v[114:115], v[188:189], v[204:205]
	v_fma_f64 v[4:5], v[188:189], v[206:207], -v[4:5]
	v_add_f64 v[0:1], v[0:1], v[216:217]
	v_fmac_f64_e32 v[114:115], v[190:191], v[206:207]
	v_add_f64 v[2:3], v[2:3], v[4:5]
	s_waitcnt vmcnt(2) lgkmcnt(0)
	v_mul_f64 v[4:5], v[194:195], v[212:213]
	v_add_f64 v[0:1], v[0:1], v[114:115]
	v_mul_f64 v[114:115], v[192:193], v[212:213]
	s_waitcnt vmcnt(0)
	v_fma_f64 v[4:5], v[192:193], v[214:215], -v[4:5]
	v_fmac_f64_e32 v[114:115], v[194:195], v[214:215]
	v_add_f64 v[2:3], v[2:3], v[4:5]
	v_add_f64 v[0:1], v[0:1], v[114:115]
	v_add_f64 v[2:3], v[36:37], -v[2:3]
	v_add_f64 v[0:1], v[34:35], -v[0:1]
	buffer_store_dword v3, off, s[0:3], 0 offset:420
	buffer_store_dword v2, off, s[0:3], 0 offset:416
	;; [unrolled: 1-line block ×4, first 2 shown]
	s_and_saveexec_b64 s[4:5], vcc
	s_cbranch_execz .LBB115_277
; %bb.276:
	v_accvgpr_read_b32 v0, a131
	buffer_load_dword v2, v0, s[0:3], 0 offen
	buffer_load_dword v3, v0, s[0:3], 0 offen offset:4
	buffer_load_dword v4, v0, s[0:3], 0 offen offset:8
	;; [unrolled: 1-line block ×3, first 2 shown]
	v_mov_b32_e32 v0, 0
	v_accvgpr_read_b32 v1, a156
	buffer_store_dword v0, off, s[0:3], 0 offset:400
	buffer_store_dword v0, off, s[0:3], 0 offset:404
	;; [unrolled: 1-line block ×4, first 2 shown]
	s_waitcnt vmcnt(4)
	ds_write_b128 v1, v[2:5]
.LBB115_277:
	s_or_b64 exec, exec, s[4:5]
	s_waitcnt lgkmcnt(0)
	; wave barrier
	s_waitcnt lgkmcnt(0)
	buffer_load_dword v30, off, s[0:3], 0 offset:416
	buffer_load_dword v31, off, s[0:3], 0 offset:420
	;; [unrolled: 1-line block ×56, first 2 shown]
	v_mov_b32_e32 v134, 0
	ds_read_b128 v[26:29], v134 offset:1232
	ds_read_b128 v[22:25], v134 offset:1248
	;; [unrolled: 1-line block ×7, first 2 shown]
	v_cmp_lt_u32_e32 vcc, 23, v255
	s_waitcnt vmcnt(52) lgkmcnt(6)
	v_mul_f64 v[0:1], v[26:27], v[34:35]
	v_fmac_f64_e32 v[0:1], v[28:29], v[30:31]
	v_add_f64 v[0:1], v[0:1], 0
	v_mul_f64 v[28:29], v[28:29], v[34:35]
	s_waitcnt vmcnt(48) lgkmcnt(5)
	v_mul_f64 v[86:87], v[22:23], v[36:37]
	v_fmac_f64_e32 v[86:87], v[24:25], v[32:33]
	s_waitcnt vmcnt(46) lgkmcnt(4)
	v_mul_f64 v[88:89], v[18:19], v[38:39]
	v_add_f64 v[0:1], v[0:1], v[86:87]
	s_waitcnt vmcnt(44) lgkmcnt(2)
	v_mul_f64 v[92:93], v[10:11], v[40:41]
	v_fma_f64 v[26:27], v[26:27], v[30:31], -v[28:29]
	s_waitcnt vmcnt(42)
	v_fmac_f64_e32 v[92:93], v[12:13], v[42:43]
	v_mul_f64 v[24:25], v[24:25], v[36:37]
	s_waitcnt vmcnt(40)
	v_mul_f64 v[90:91], v[14:15], v[48:49]
	v_add_f64 v[26:27], v[26:27], 0
	v_fma_f64 v[22:23], v[22:23], v[32:33], -v[24:25]
	v_add_f64 v[22:23], v[26:27], v[22:23]
	s_waitcnt vmcnt(36) lgkmcnt(1)
	v_mul_f64 v[110:111], v[6:7], v[54:55]
	v_mul_f64 v[12:13], v[12:13], v[40:41]
	s_waitcnt vmcnt(34)
	v_fmac_f64_e32 v[88:89], v[20:21], v[60:61]
	v_add_f64 v[0:1], v[0:1], v[88:89]
	s_waitcnt vmcnt(32)
	v_fmac_f64_e32 v[90:91], v[16:17], v[58:59]
	v_add_f64 v[0:1], v[0:1], v[90:91]
	v_add_f64 v[116:117], v[0:1], v[92:93]
	buffer_load_dword v87, off, s[0:3], 0 offset:652
	buffer_load_dword v86, off, s[0:3], 0 offset:648
	;; [unrolled: 1-line block ×56, first 2 shown]
	ds_read_b128 v[124:127], v134 offset:1344
	ds_read_b128 v[128:131], v134 offset:1360
	v_mul_f64 v[20:21], v[20:21], v[38:39]
	v_fma_f64 v[18:19], v[18:19], v[60:61], -v[20:21]
	v_mul_f64 v[16:17], v[16:17], v[48:49]
	s_waitcnt vmcnt(62)
	v_fmac_f64_e32 v[110:111], v[8:9], v[56:57]
	v_add_f64 v[18:19], v[22:23], v[18:19]
	v_fma_f64 v[14:15], v[14:15], v[58:59], -v[16:17]
	v_add_f64 v[110:111], v[116:117], v[110:111]
	s_waitcnt lgkmcnt(2)
	v_mul_f64 v[116:117], v[2:3], v[50:51]
	v_add_f64 v[14:15], v[18:19], v[14:15]
	v_fma_f64 v[10:11], v[10:11], v[42:43], -v[12:13]
	v_mul_f64 v[8:9], v[8:9], v[54:55]
	v_fmac_f64_e32 v[116:117], v[4:5], v[52:53]
	ds_read_b128 v[136:139], v134 offset:1376
	ds_read_b128 v[140:143], v134 offset:1392
	v_add_f64 v[10:11], v[14:15], v[10:11]
	v_fma_f64 v[6:7], v[6:7], v[56:57], -v[8:9]
	v_mul_f64 v[4:5], v[4:5], v[50:51]
	v_add_f64 v[110:111], v[110:111], v[116:117]
	s_waitcnt lgkmcnt(3)
	v_mul_f64 v[116:117], v[124:125], v[66:67]
	v_add_f64 v[6:7], v[10:11], v[6:7]
	v_fma_f64 v[2:3], v[2:3], v[52:53], -v[4:5]
	v_mul_f64 v[4:5], v[126:127], v[66:67]
	v_fmac_f64_e32 v[116:117], v[126:127], v[68:69]
	v_add_f64 v[2:3], v[6:7], v[2:3]
	v_fma_f64 v[4:5], v[124:125], v[68:69], -v[4:5]
	v_add_f64 v[110:111], v[110:111], v[116:117]
	s_waitcnt lgkmcnt(2)
	v_mul_f64 v[116:117], v[128:129], v[62:63]
	v_add_f64 v[2:3], v[2:3], v[4:5]
	v_mul_f64 v[4:5], v[130:131], v[62:63]
	v_fmac_f64_e32 v[116:117], v[130:131], v[64:65]
	ds_read_b128 v[144:147], v134 offset:1408
	ds_read_b128 v[148:151], v134 offset:1424
	v_fma_f64 v[4:5], v[128:129], v[64:65], -v[4:5]
	v_add_f64 v[110:111], v[110:111], v[116:117]
	s_waitcnt lgkmcnt(3)
	v_mul_f64 v[116:117], v[136:137], v[74:75]
	v_add_f64 v[2:3], v[2:3], v[4:5]
	v_mul_f64 v[4:5], v[138:139], v[74:75]
	v_fmac_f64_e32 v[116:117], v[138:139], v[76:77]
	v_fma_f64 v[4:5], v[136:137], v[76:77], -v[4:5]
	v_add_f64 v[110:111], v[110:111], v[116:117]
	s_waitcnt lgkmcnt(2)
	v_mul_f64 v[116:117], v[140:141], v[70:71]
	v_add_f64 v[2:3], v[2:3], v[4:5]
	v_mul_f64 v[4:5], v[142:143], v[70:71]
	v_fmac_f64_e32 v[116:117], v[142:143], v[72:73]
	ds_read_b128 v[152:155], v134 offset:1440
	ds_read_b128 v[156:159], v134 offset:1456
	v_fma_f64 v[4:5], v[140:141], v[72:73], -v[4:5]
	v_add_f64 v[110:111], v[110:111], v[116:117]
	s_waitcnt vmcnt(58) lgkmcnt(3)
	v_mul_f64 v[116:117], v[144:145], v[82:83]
	v_add_f64 v[2:3], v[2:3], v[4:5]
	v_mul_f64 v[4:5], v[146:147], v[82:83]
	s_waitcnt vmcnt(56)
	v_fmac_f64_e32 v[116:117], v[146:147], v[84:85]
	v_fma_f64 v[4:5], v[144:145], v[84:85], -v[4:5]
	v_add_f64 v[110:111], v[110:111], v[116:117]
	s_waitcnt lgkmcnt(2)
	v_mul_f64 v[116:117], v[148:149], v[78:79]
	v_add_f64 v[2:3], v[2:3], v[4:5]
	v_mul_f64 v[4:5], v[150:151], v[78:79]
	v_fmac_f64_e32 v[116:117], v[150:151], v[80:81]
	ds_read_b128 v[160:163], v134 offset:1472
	ds_read_b128 v[164:167], v134 offset:1488
	v_fma_f64 v[4:5], v[148:149], v[80:81], -v[4:5]
	v_add_f64 v[110:111], v[110:111], v[116:117]
	s_waitcnt vmcnt(50) lgkmcnt(3)
	v_mul_f64 v[116:117], v[152:153], v[90:91]
	v_add_f64 v[2:3], v[2:3], v[4:5]
	v_mul_f64 v[4:5], v[154:155], v[90:91]
	s_waitcnt vmcnt(48)
	;; [unrolled: 17-line block ×7, first 2 shown]
	v_fma_f64 v[2:3], v[192:193], v[216:217], -v[2:3]
	v_fmac_f64_e32 v[116:117], v[194:195], v[216:217]
	v_add_f64 v[0:1], v[0:1], v[2:3]
	s_waitcnt lgkmcnt(2)
	v_mul_f64 v[2:3], v[198:199], v[210:211]
	v_add_f64 v[110:111], v[110:111], v[116:117]
	v_mul_f64 v[116:117], v[196:197], v[210:211]
	v_fma_f64 v[2:3], v[196:197], v[212:213], -v[2:3]
	v_fmac_f64_e32 v[116:117], v[198:199], v[212:213]
	v_add_f64 v[0:1], v[0:1], v[2:3]
	s_waitcnt vmcnt(2) lgkmcnt(1)
	v_mul_f64 v[2:3], v[202:203], v[222:223]
	v_add_f64 v[110:111], v[110:111], v[116:117]
	v_mul_f64 v[116:117], v[200:201], v[222:223]
	s_waitcnt vmcnt(0)
	v_fma_f64 v[2:3], v[200:201], v[224:225], -v[2:3]
	v_fmac_f64_e32 v[116:117], v[202:203], v[224:225]
	v_add_f64 v[0:1], v[0:1], v[2:3]
	s_waitcnt lgkmcnt(0)
	v_mul_f64 v[2:3], v[206:207], v[218:219]
	v_add_f64 v[110:111], v[110:111], v[116:117]
	v_mul_f64 v[116:117], v[204:205], v[218:219]
	v_fma_f64 v[2:3], v[204:205], v[220:221], -v[2:3]
	v_fmac_f64_e32 v[116:117], v[206:207], v[220:221]
	v_add_f64 v[0:1], v[0:1], v[2:3]
	v_add_f64 v[110:111], v[110:111], v[116:117]
	v_add_f64 v[0:1], v[46:47], -v[0:1]
	v_add_f64 v[2:3], v[44:45], -v[110:111]
	buffer_store_dword v1, off, s[0:3], 0 offset:404
	buffer_store_dword v0, off, s[0:3], 0 offset:400
	;; [unrolled: 1-line block ×4, first 2 shown]
	s_and_saveexec_b64 s[4:5], vcc
	s_cbranch_execz .LBB115_279
; %bb.278:
	v_accvgpr_read_b32 v0, a132
	buffer_load_dword v2, v0, s[0:3], 0 offen
	buffer_load_dword v3, v0, s[0:3], 0 offen offset:4
	buffer_load_dword v4, v0, s[0:3], 0 offen offset:8
	;; [unrolled: 1-line block ×3, first 2 shown]
	v_accvgpr_read_b32 v0, a156
	buffer_store_dword v134, off, s[0:3], 0 offset:384
	buffer_store_dword v134, off, s[0:3], 0 offset:388
	;; [unrolled: 1-line block ×4, first 2 shown]
	s_waitcnt vmcnt(4)
	ds_write_b128 v0, v[2:5]
.LBB115_279:
	s_or_b64 exec, exec, s[4:5]
	s_waitcnt lgkmcnt(0)
	; wave barrier
	s_waitcnt lgkmcnt(0)
	buffer_load_dword v34, off, s[0:3], 0 offset:400
	buffer_load_dword v35, off, s[0:3], 0 offset:404
	;; [unrolled: 1-line block ×32, first 2 shown]
	ds_read_b128 v[30:33], v134 offset:1216
	ds_read_b128 v[26:29], v134 offset:1232
	;; [unrolled: 1-line block ×8, first 2 shown]
	buffer_load_dword v67, off, s[0:3], 0 offset:540
	buffer_load_dword v66, off, s[0:3], 0 offset:536
	;; [unrolled: 1-line block ×24, first 2 shown]
	v_cmp_lt_u32_e32 vcc, 22, v255
	s_waitcnt vmcnt(52) lgkmcnt(7)
	v_mul_f64 v[0:1], v[30:31], v[38:39]
	v_fmac_f64_e32 v[0:1], v[32:33], v[34:35]
	v_add_f64 v[0:1], v[0:1], 0
	v_mul_f64 v[32:33], v[32:33], v[38:39]
	s_waitcnt vmcnt(48) lgkmcnt(6)
	v_mul_f64 v[90:91], v[26:27], v[40:41]
	v_fmac_f64_e32 v[90:91], v[28:29], v[36:37]
	s_waitcnt vmcnt(46) lgkmcnt(5)
	v_mul_f64 v[92:93], v[22:23], v[42:43]
	v_add_f64 v[0:1], v[0:1], v[90:91]
	s_waitcnt vmcnt(44) lgkmcnt(4)
	v_mul_f64 v[94:95], v[18:19], v[48:49]
	v_fma_f64 v[30:31], v[30:31], v[34:35], -v[32:33]
	s_waitcnt vmcnt(42) lgkmcnt(1)
	v_mul_f64 v[122:123], v[2:3], v[50:51]
	v_mul_f64 v[28:29], v[28:29], v[40:41]
	s_waitcnt vmcnt(18) lgkmcnt(0)
	v_mul_f64 v[138:139], v[14:15], v[70:71]
	v_mul_f64 v[98:99], v[6:7], v[54:55]
	s_waitcnt vmcnt(16)
	v_fmac_f64_e32 v[138:139], v[16:17], v[72:73]
	v_mul_f64 v[96:97], v[10:11], v[56:57]
	v_add_f64 v[30:31], v[30:31], 0
	v_fmac_f64_e32 v[96:97], v[12:13], v[58:59]
	v_fma_f64 v[26:27], v[26:27], v[36:37], -v[28:29]
	v_fmac_f64_e32 v[92:93], v[24:25], v[64:65]
	v_add_f64 v[0:1], v[0:1], v[92:93]
	v_fmac_f64_e32 v[94:95], v[20:21], v[62:63]
	v_add_f64 v[0:1], v[0:1], v[94:95]
	;; [unrolled: 2-line block ×3, first 2 shown]
	v_add_f64 v[124:125], v[0:1], v[98:99]
	buffer_load_dword v91, off, s[0:3], 0 offset:636
	buffer_load_dword v90, off, s[0:3], 0 offset:632
	;; [unrolled: 1-line block ×56, first 2 shown]
	v_fmac_f64_e32 v[122:123], v[4:5], v[52:53]
	v_add_f64 v[136:137], v[124:125], v[122:123]
	ds_read_b128 v[122:125], v134 offset:1344
	buffer_load_dword v227, off, s[0:3], 0 offset:844
	buffer_load_dword v226, off, s[0:3], 0 offset:840
	;; [unrolled: 1-line block ×4, first 2 shown]
	v_add_f64 v[140:141], v[136:137], v[138:139]
	ds_read_b128 v[136:139], v134 offset:1360
	v_mul_f64 v[24:25], v[24:25], v[42:43]
	s_waitcnt lgkmcnt(1)
	v_mul_f64 v[142:143], v[122:123], v[66:67]
	v_fmac_f64_e32 v[142:143], v[124:125], v[68:69]
	v_add_f64 v[144:145], v[140:141], v[142:143]
	ds_read_b128 v[140:143], v134 offset:1376
	s_waitcnt vmcnt(62) lgkmcnt(1)
	v_mul_f64 v[146:147], v[136:137], v[78:79]
	v_fmac_f64_e32 v[146:147], v[138:139], v[80:81]
	v_add_f64 v[148:149], v[144:145], v[146:147]
	ds_read_b128 v[144:147], v134 offset:1392
	s_waitcnt lgkmcnt(1)
	v_mul_f64 v[150:151], v[140:141], v[74:75]
	v_fmac_f64_e32 v[150:151], v[142:143], v[76:77]
	v_add_f64 v[152:153], v[148:149], v[150:151]
	ds_read_b128 v[148:151], v134 offset:1408
	s_waitcnt lgkmcnt(1)
	v_mul_f64 v[154:155], v[144:145], v[86:87]
	s_waitcnt vmcnt(60)
	v_fmac_f64_e32 v[154:155], v[146:147], v[88:89]
	v_add_f64 v[156:157], v[152:153], v[154:155]
	ds_read_b128 v[152:155], v134 offset:1424
	s_waitcnt lgkmcnt(1)
	v_mul_f64 v[158:159], v[148:149], v[82:83]
	v_fmac_f64_e32 v[158:159], v[150:151], v[84:85]
	v_add_f64 v[160:161], v[156:157], v[158:159]
	ds_read_b128 v[156:159], v134 offset:1440
	v_add_f64 v[26:27], v[30:31], v[26:27]
	v_fma_f64 v[22:23], v[22:23], v[64:65], -v[24:25]
	s_waitcnt vmcnt(54) lgkmcnt(1)
	v_mul_f64 v[162:163], v[152:153], v[94:95]
	v_mul_f64 v[20:21], v[20:21], v[48:49]
	s_waitcnt vmcnt(52)
	v_fmac_f64_e32 v[162:163], v[154:155], v[96:97]
	v_add_f64 v[164:165], v[160:161], v[162:163]
	ds_read_b128 v[160:163], v134 offset:1456
	s_waitcnt lgkmcnt(1)
	v_mul_f64 v[166:167], v[156:157], v[90:91]
	v_fmac_f64_e32 v[166:167], v[158:159], v[92:93]
	v_add_f64 v[168:169], v[164:165], v[166:167]
	ds_read_b128 v[164:167], v134 offset:1472
	v_add_f64 v[22:23], v[26:27], v[22:23]
	v_fma_f64 v[18:19], v[18:19], v[62:63], -v[20:21]
	v_mul_f64 v[12:13], v[12:13], v[56:57]
	v_add_f64 v[18:19], v[22:23], v[18:19]
	v_fma_f64 v[10:11], v[10:11], v[58:59], -v[12:13]
	v_mul_f64 v[8:9], v[8:9], v[54:55]
	;; [unrolled: 3-line block ×3, first 2 shown]
	s_waitcnt vmcnt(46) lgkmcnt(1)
	v_mul_f64 v[170:171], v[160:161], v[102:103]
	v_add_f64 v[6:7], v[10:11], v[6:7]
	v_fma_f64 v[2:3], v[2:3], v[52:53], -v[4:5]
	v_mul_f64 v[4:5], v[16:17], v[70:71]
	s_waitcnt vmcnt(44)
	v_fmac_f64_e32 v[170:171], v[162:163], v[104:105]
	v_add_f64 v[2:3], v[6:7], v[2:3]
	v_fma_f64 v[4:5], v[14:15], v[72:73], -v[4:5]
	v_add_f64 v[172:173], v[168:169], v[170:171]
	ds_read_b128 v[168:171], v134 offset:1488
	s_waitcnt lgkmcnt(1)
	v_mul_f64 v[174:175], v[164:165], v[98:99]
	v_add_f64 v[2:3], v[2:3], v[4:5]
	v_mul_f64 v[4:5], v[124:125], v[66:67]
	v_fmac_f64_e32 v[174:175], v[166:167], v[100:101]
	v_fma_f64 v[4:5], v[122:123], v[68:69], -v[4:5]
	v_add_f64 v[176:177], v[172:173], v[174:175]
	ds_read_b128 v[172:175], v134 offset:1504
	v_add_f64 v[2:3], v[2:3], v[4:5]
	v_mul_f64 v[4:5], v[138:139], v[78:79]
	v_fma_f64 v[4:5], v[136:137], v[80:81], -v[4:5]
	v_add_f64 v[2:3], v[2:3], v[4:5]
	v_mul_f64 v[4:5], v[142:143], v[74:75]
	s_waitcnt vmcnt(38) lgkmcnt(1)
	v_mul_f64 v[178:179], v[168:169], v[110:111]
	v_fma_f64 v[4:5], v[140:141], v[76:77], -v[4:5]
	s_waitcnt vmcnt(36)
	v_fmac_f64_e32 v[178:179], v[170:171], v[112:113]
	v_add_f64 v[2:3], v[2:3], v[4:5]
	v_mul_f64 v[4:5], v[146:147], v[86:87]
	v_add_f64 v[180:181], v[176:177], v[178:179]
	ds_read_b128 v[176:179], v134 offset:1520
	s_waitcnt lgkmcnt(1)
	v_mul_f64 v[182:183], v[172:173], v[106:107]
	v_fma_f64 v[4:5], v[144:145], v[88:89], -v[4:5]
	v_fmac_f64_e32 v[182:183], v[174:175], v[108:109]
	v_add_f64 v[2:3], v[2:3], v[4:5]
	v_mul_f64 v[4:5], v[150:151], v[82:83]
	v_add_f64 v[184:185], v[180:181], v[182:183]
	ds_read_b128 v[180:183], v134 offset:1536
	v_fma_f64 v[4:5], v[148:149], v[84:85], -v[4:5]
	v_add_f64 v[2:3], v[2:3], v[4:5]
	v_mul_f64 v[4:5], v[154:155], v[94:95]
	v_fma_f64 v[4:5], v[152:153], v[96:97], -v[4:5]
	s_waitcnt vmcnt(30) lgkmcnt(1)
	v_mul_f64 v[186:187], v[176:177], v[118:119]
	v_add_f64 v[2:3], v[2:3], v[4:5]
	v_mul_f64 v[4:5], v[158:159], v[90:91]
	s_waitcnt vmcnt(28)
	v_fmac_f64_e32 v[186:187], v[178:179], v[120:121]
	v_fma_f64 v[4:5], v[156:157], v[92:93], -v[4:5]
	v_add_f64 v[188:189], v[184:185], v[186:187]
	ds_read_b128 v[184:187], v134 offset:1552
	s_waitcnt lgkmcnt(1)
	v_mul_f64 v[190:191], v[180:181], v[114:115]
	v_add_f64 v[2:3], v[2:3], v[4:5]
	v_mul_f64 v[4:5], v[162:163], v[102:103]
	v_fmac_f64_e32 v[190:191], v[182:183], v[116:117]
	v_fma_f64 v[4:5], v[160:161], v[104:105], -v[4:5]
	v_add_f64 v[192:193], v[188:189], v[190:191]
	ds_read_b128 v[188:191], v134 offset:1568
	v_add_f64 v[2:3], v[2:3], v[4:5]
	v_mul_f64 v[4:5], v[166:167], v[98:99]
	v_fma_f64 v[4:5], v[164:165], v[100:101], -v[4:5]
	v_add_f64 v[2:3], v[2:3], v[4:5]
	v_mul_f64 v[4:5], v[170:171], v[110:111]
	s_waitcnt vmcnt(22) lgkmcnt(1)
	v_mul_f64 v[194:195], v[184:185], v[130:131]
	v_fma_f64 v[4:5], v[168:169], v[112:113], -v[4:5]
	s_waitcnt vmcnt(20)
	v_fmac_f64_e32 v[194:195], v[186:187], v[132:133]
	v_add_f64 v[2:3], v[2:3], v[4:5]
	v_mul_f64 v[4:5], v[174:175], v[106:107]
	v_add_f64 v[196:197], v[192:193], v[194:195]
	ds_read_b128 v[192:195], v134 offset:1584
	s_waitcnt lgkmcnt(1)
	v_mul_f64 v[198:199], v[188:189], v[126:127]
	v_fma_f64 v[4:5], v[172:173], v[108:109], -v[4:5]
	v_fmac_f64_e32 v[198:199], v[190:191], v[128:129]
	v_add_f64 v[2:3], v[2:3], v[4:5]
	v_mul_f64 v[4:5], v[178:179], v[118:119]
	v_add_f64 v[200:201], v[196:197], v[198:199]
	ds_read_b128 v[196:199], v134 offset:1600
	v_fma_f64 v[4:5], v[176:177], v[120:121], -v[4:5]
	v_add_f64 v[2:3], v[2:3], v[4:5]
	v_mul_f64 v[4:5], v[182:183], v[114:115]
	v_fma_f64 v[4:5], v[180:181], v[116:117], -v[4:5]
	s_waitcnt vmcnt(14) lgkmcnt(1)
	v_mul_f64 v[202:203], v[192:193], v[210:211]
	v_add_f64 v[2:3], v[2:3], v[4:5]
	v_mul_f64 v[4:5], v[186:187], v[130:131]
	s_waitcnt vmcnt(12)
	v_fmac_f64_e32 v[202:203], v[194:195], v[212:213]
	v_fma_f64 v[4:5], v[184:185], v[132:133], -v[4:5]
	v_add_f64 v[204:205], v[200:201], v[202:203]
	ds_read_b128 v[200:203], v134 offset:1616
	s_waitcnt lgkmcnt(1)
	v_mul_f64 v[206:207], v[196:197], v[0:1]
	v_add_f64 v[2:3], v[2:3], v[4:5]
	v_mul_f64 v[4:5], v[190:191], v[126:127]
	v_fmac_f64_e32 v[206:207], v[198:199], v[208:209]
	v_fma_f64 v[4:5], v[188:189], v[128:129], -v[4:5]
	v_add_f64 v[230:231], v[204:205], v[206:207]
	ds_read_b128 v[204:207], v134 offset:1632
	v_add_f64 v[2:3], v[2:3], v[4:5]
	v_mul_f64 v[4:5], v[194:195], v[210:211]
	v_fma_f64 v[4:5], v[192:193], v[212:213], -v[4:5]
	v_mul_f64 v[0:1], v[198:199], v[0:1]
	ds_read_b128 v[222:225], v134 offset:1648
	v_add_f64 v[2:3], v[2:3], v[4:5]
	v_fma_f64 v[0:1], v[196:197], v[208:209], -v[0:1]
	v_add_f64 v[0:1], v[2:3], v[0:1]
	s_waitcnt vmcnt(6) lgkmcnt(2)
	v_mul_f64 v[2:3], v[202:203], v[218:219]
	v_mul_f64 v[232:233], v[200:201], v[218:219]
	s_waitcnt vmcnt(4)
	v_fma_f64 v[2:3], v[200:201], v[220:221], -v[2:3]
	v_fmac_f64_e32 v[232:233], v[202:203], v[220:221]
	v_add_f64 v[0:1], v[0:1], v[2:3]
	s_waitcnt lgkmcnt(1)
	v_mul_f64 v[2:3], v[206:207], v[214:215]
	v_add_f64 v[134:135], v[230:231], v[232:233]
	v_mul_f64 v[230:231], v[204:205], v[214:215]
	v_fma_f64 v[2:3], v[204:205], v[216:217], -v[2:3]
	v_fmac_f64_e32 v[230:231], v[206:207], v[216:217]
	v_add_f64 v[0:1], v[0:1], v[2:3]
	s_waitcnt vmcnt(2) lgkmcnt(0)
	v_mul_f64 v[2:3], v[224:225], v[226:227]
	v_add_f64 v[134:135], v[134:135], v[230:231]
	v_mul_f64 v[230:231], v[222:223], v[226:227]
	s_waitcnt vmcnt(0)
	v_fma_f64 v[2:3], v[222:223], v[228:229], -v[2:3]
	v_fmac_f64_e32 v[230:231], v[224:225], v[228:229]
	v_add_f64 v[0:1], v[0:1], v[2:3]
	v_add_f64 v[134:135], v[134:135], v[230:231]
	v_add_f64 v[0:1], v[46:47], -v[0:1]
	v_add_f64 v[2:3], v[44:45], -v[134:135]
	buffer_store_dword v1, off, s[0:3], 0 offset:388
	buffer_store_dword v0, off, s[0:3], 0 offset:384
	;; [unrolled: 1-line block ×4, first 2 shown]
	s_and_saveexec_b64 s[4:5], vcc
	s_cbranch_execz .LBB115_281
; %bb.280:
	v_accvgpr_read_b32 v0, a133
	buffer_load_dword v2, v0, s[0:3], 0 offen
	buffer_load_dword v3, v0, s[0:3], 0 offen offset:4
	buffer_load_dword v4, v0, s[0:3], 0 offen offset:8
	;; [unrolled: 1-line block ×3, first 2 shown]
	v_mov_b32_e32 v0, 0
	v_accvgpr_read_b32 v1, a156
	buffer_store_dword v0, off, s[0:3], 0 offset:368
	buffer_store_dword v0, off, s[0:3], 0 offset:372
	;; [unrolled: 1-line block ×4, first 2 shown]
	s_waitcnt vmcnt(4)
	ds_write_b128 v1, v[2:5]
.LBB115_281:
	s_or_b64 exec, exec, s[4:5]
	s_waitcnt lgkmcnt(0)
	; wave barrier
	s_waitcnt lgkmcnt(0)
	buffer_load_dword v38, off, s[0:3], 0 offset:384
	buffer_load_dword v39, off, s[0:3], 0 offset:388
	;; [unrolled: 1-line block ×48, first 2 shown]
	v_mov_b32_e32 v150, 0
	ds_read_b128 v[34:37], v150 offset:1200
	ds_read_b128 v[30:33], v150 offset:1216
	;; [unrolled: 1-line block ×9, first 2 shown]
	v_cmp_lt_u32_e32 vcc, 21, v255
	s_waitcnt vmcnt(44) lgkmcnt(8)
	v_mul_f64 v[0:1], v[34:35], v[42:43]
	v_fmac_f64_e32 v[0:1], v[36:37], v[38:39]
	v_add_f64 v[0:1], v[0:1], 0
	v_mul_f64 v[36:37], v[36:37], v[42:43]
	s_waitcnt vmcnt(40) lgkmcnt(7)
	v_mul_f64 v[86:87], v[30:31], v[44:45]
	v_fmac_f64_e32 v[86:87], v[32:33], v[40:41]
	s_waitcnt vmcnt(38) lgkmcnt(6)
	v_mul_f64 v[88:89], v[26:27], v[46:47]
	v_add_f64 v[0:1], v[0:1], v[86:87]
	s_waitcnt vmcnt(36) lgkmcnt(4)
	v_mul_f64 v[92:93], v[18:19], v[48:49]
	v_fma_f64 v[34:35], v[34:35], v[38:39], -v[36:37]
	s_waitcnt vmcnt(34)
	v_fmac_f64_e32 v[92:93], v[20:21], v[50:51]
	v_mul_f64 v[32:33], v[32:33], v[44:45]
	s_waitcnt vmcnt(32)
	v_mul_f64 v[90:91], v[22:23], v[52:53]
	v_add_f64 v[34:35], v[34:35], 0
	s_waitcnt vmcnt(30) lgkmcnt(2)
	v_mul_f64 v[96:97], v[10:11], v[54:55]
	v_fma_f64 v[30:31], v[30:31], v[40:41], -v[32:33]
	s_waitcnt vmcnt(28)
	v_fmac_f64_e32 v[96:97], v[12:13], v[56:57]
	v_add_f64 v[30:31], v[34:35], v[30:31]
	s_waitcnt vmcnt(26)
	v_mul_f64 v[94:95], v[14:15], v[58:59]
	v_mul_f64 v[20:21], v[20:21], v[48:49]
	v_fma_f64 v[18:19], v[18:19], v[50:51], -v[20:21]
	v_mul_f64 v[12:13], v[12:13], v[54:55]
	s_waitcnt vmcnt(22) lgkmcnt(1)
	v_mul_f64 v[110:111], v[6:7], v[68:69]
	v_fma_f64 v[10:11], v[10:11], v[56:57], -v[12:13]
	s_waitcnt vmcnt(20)
	v_fmac_f64_e32 v[88:89], v[28:29], v[76:77]
	v_add_f64 v[0:1], v[0:1], v[88:89]
	s_waitcnt vmcnt(18)
	v_fmac_f64_e32 v[90:91], v[24:25], v[74:75]
	v_add_f64 v[0:1], v[0:1], v[90:91]
	;; [unrolled: 3-line block ×3, first 2 shown]
	v_add_f64 v[0:1], v[0:1], v[94:95]
	v_add_f64 v[112:113], v[0:1], v[96:97]
	buffer_load_dword v87, off, s[0:3], 0 offset:588
	buffer_load_dword v86, off, s[0:3], 0 offset:584
	;; [unrolled: 1-line block ×72, first 2 shown]
	s_waitcnt vmcnt(62)
	v_fmac_f64_e32 v[110:111], v[8:9], v[70:71]
	v_add_f64 v[142:143], v[112:113], v[110:111]
	ds_read_b128 v[110:113], v150 offset:1344
	s_waitcnt lgkmcnt(1)
	v_mul_f64 v[144:145], v[2:3], v[64:65]
	v_fmac_f64_e32 v[144:145], v[4:5], v[66:67]
	v_add_f64 v[146:147], v[142:143], v[144:145]
	ds_read_b128 v[142:145], v150 offset:1360
	s_waitcnt lgkmcnt(1)
	v_mul_f64 v[148:149], v[110:111], v[82:83]
	;; [unrolled: 5-line block ×5, first 2 shown]
	v_fmac_f64_e32 v[162:163], v[154:155], v[88:89]
	v_add_f64 v[164:165], v[160:161], v[162:163]
	ds_read_b128 v[160:163], v150 offset:1424
	s_waitcnt vmcnt(58) lgkmcnt(1)
	v_mul_f64 v[166:167], v[156:157], v[98:99]
	s_waitcnt vmcnt(56)
	v_fmac_f64_e32 v[166:167], v[158:159], v[100:101]
	v_add_f64 v[168:169], v[164:165], v[166:167]
	ds_read_b128 v[164:167], v150 offset:1440
	s_waitcnt lgkmcnt(1)
	v_mul_f64 v[170:171], v[160:161], v[94:95]
	v_fmac_f64_e32 v[170:171], v[162:163], v[96:97]
	v_add_f64 v[172:173], v[168:169], v[170:171]
	ds_read_b128 v[168:171], v150 offset:1456
	s_waitcnt vmcnt(50) lgkmcnt(1)
	v_mul_f64 v[174:175], v[164:165], v[106:107]
	v_mul_f64 v[28:29], v[28:29], v[46:47]
	s_waitcnt vmcnt(48)
	v_fmac_f64_e32 v[174:175], v[166:167], v[108:109]
	v_fma_f64 v[26:27], v[26:27], v[76:77], -v[28:29]
	v_mul_f64 v[24:25], v[24:25], v[52:53]
	v_add_f64 v[176:177], v[172:173], v[174:175]
	ds_read_b128 v[172:175], v150 offset:1472
	v_add_f64 v[26:27], v[30:31], v[26:27]
	v_fma_f64 v[22:23], v[22:23], v[74:75], -v[24:25]
	v_add_f64 v[22:23], v[26:27], v[22:23]
	v_mul_f64 v[16:17], v[16:17], v[58:59]
	v_add_f64 v[18:19], v[22:23], v[18:19]
	v_fma_f64 v[14:15], v[14:15], v[72:73], -v[16:17]
	s_waitcnt lgkmcnt(1)
	v_mul_f64 v[178:179], v[168:169], v[102:103]
	v_add_f64 v[14:15], v[18:19], v[14:15]
	v_mul_f64 v[8:9], v[8:9], v[68:69]
	v_fmac_f64_e32 v[178:179], v[170:171], v[104:105]
	v_add_f64 v[10:11], v[14:15], v[10:11]
	v_fma_f64 v[6:7], v[6:7], v[70:71], -v[8:9]
	v_mul_f64 v[4:5], v[4:5], v[64:65]
	v_add_f64 v[180:181], v[176:177], v[178:179]
	ds_read_b128 v[176:179], v150 offset:1488
	s_waitcnt vmcnt(42) lgkmcnt(1)
	v_mul_f64 v[182:183], v[172:173], v[118:119]
	v_add_f64 v[6:7], v[10:11], v[6:7]
	v_fma_f64 v[2:3], v[2:3], v[66:67], -v[4:5]
	v_mul_f64 v[4:5], v[112:113], v[82:83]
	s_waitcnt vmcnt(40)
	v_fmac_f64_e32 v[182:183], v[174:175], v[120:121]
	v_add_f64 v[2:3], v[6:7], v[2:3]
	v_fma_f64 v[4:5], v[110:111], v[84:85], -v[4:5]
	v_add_f64 v[184:185], v[180:181], v[182:183]
	ds_read_b128 v[180:183], v150 offset:1504
	v_add_f64 v[2:3], v[2:3], v[4:5]
	v_mul_f64 v[4:5], v[144:145], v[78:79]
	v_fma_f64 v[4:5], v[142:143], v[80:81], -v[4:5]
	v_add_f64 v[2:3], v[2:3], v[4:5]
	v_mul_f64 v[4:5], v[148:149], v[90:91]
	s_waitcnt lgkmcnt(1)
	v_mul_f64 v[186:187], v[176:177], v[114:115]
	v_fma_f64 v[4:5], v[146:147], v[92:93], -v[4:5]
	v_fmac_f64_e32 v[186:187], v[178:179], v[116:117]
	v_add_f64 v[2:3], v[2:3], v[4:5]
	v_mul_f64 v[4:5], v[154:155], v[86:87]
	v_add_f64 v[188:189], v[184:185], v[186:187]
	ds_read_b128 v[184:187], v150 offset:1520
	s_waitcnt vmcnt(34) lgkmcnt(1)
	v_mul_f64 v[190:191], v[180:181], v[126:127]
	v_fma_f64 v[4:5], v[152:153], v[88:89], -v[4:5]
	s_waitcnt vmcnt(32)
	v_fmac_f64_e32 v[190:191], v[182:183], v[128:129]
	v_add_f64 v[2:3], v[2:3], v[4:5]
	v_mul_f64 v[4:5], v[158:159], v[98:99]
	v_add_f64 v[192:193], v[188:189], v[190:191]
	ds_read_b128 v[188:191], v150 offset:1536
	v_fma_f64 v[4:5], v[156:157], v[100:101], -v[4:5]
	v_add_f64 v[2:3], v[2:3], v[4:5]
	v_mul_f64 v[4:5], v[162:163], v[94:95]
	v_fma_f64 v[4:5], v[160:161], v[96:97], -v[4:5]
	s_waitcnt lgkmcnt(1)
	v_mul_f64 v[194:195], v[184:185], v[122:123]
	v_add_f64 v[2:3], v[2:3], v[4:5]
	v_mul_f64 v[4:5], v[166:167], v[106:107]
	v_fmac_f64_e32 v[194:195], v[186:187], v[124:125]
	v_fma_f64 v[4:5], v[164:165], v[108:109], -v[4:5]
	v_add_f64 v[196:197], v[192:193], v[194:195]
	ds_read_b128 v[192:195], v150 offset:1552
	s_waitcnt vmcnt(26) lgkmcnt(1)
	v_mul_f64 v[198:199], v[188:189], v[134:135]
	v_add_f64 v[2:3], v[2:3], v[4:5]
	v_mul_f64 v[4:5], v[170:171], v[102:103]
	s_waitcnt vmcnt(24)
	v_fmac_f64_e32 v[198:199], v[190:191], v[136:137]
	v_fma_f64 v[4:5], v[168:169], v[104:105], -v[4:5]
	v_add_f64 v[200:201], v[196:197], v[198:199]
	ds_read_b128 v[196:199], v150 offset:1568
	v_add_f64 v[2:3], v[2:3], v[4:5]
	v_mul_f64 v[4:5], v[174:175], v[118:119]
	v_fma_f64 v[4:5], v[172:173], v[120:121], -v[4:5]
	v_add_f64 v[2:3], v[2:3], v[4:5]
	v_mul_f64 v[4:5], v[178:179], v[114:115]
	s_waitcnt lgkmcnt(1)
	v_mul_f64 v[202:203], v[192:193], v[130:131]
	v_fma_f64 v[4:5], v[176:177], v[116:117], -v[4:5]
	v_fmac_f64_e32 v[202:203], v[194:195], v[132:133]
	v_add_f64 v[2:3], v[2:3], v[4:5]
	v_mul_f64 v[4:5], v[182:183], v[126:127]
	v_add_f64 v[204:205], v[200:201], v[202:203]
	ds_read_b128 v[200:203], v150 offset:1584
	s_waitcnt vmcnt(18) lgkmcnt(1)
	v_mul_f64 v[206:207], v[196:197], v[0:1]
	v_fma_f64 v[4:5], v[180:181], v[128:129], -v[4:5]
	s_waitcnt vmcnt(16)
	v_fmac_f64_e32 v[206:207], v[198:199], v[208:209]
	v_add_f64 v[2:3], v[2:3], v[4:5]
	v_mul_f64 v[4:5], v[186:187], v[122:123]
	v_add_f64 v[222:223], v[204:205], v[206:207]
	ds_read_b128 v[204:207], v150 offset:1600
	v_fma_f64 v[4:5], v[184:185], v[124:125], -v[4:5]
	v_add_f64 v[2:3], v[2:3], v[4:5]
	v_mul_f64 v[4:5], v[190:191], v[134:135]
	v_fma_f64 v[4:5], v[188:189], v[136:137], -v[4:5]
	s_waitcnt lgkmcnt(1)
	v_mul_f64 v[224:225], v[200:201], v[138:139]
	v_add_f64 v[2:3], v[2:3], v[4:5]
	v_mul_f64 v[4:5], v[194:195], v[130:131]
	v_fmac_f64_e32 v[224:225], v[202:203], v[140:141]
	v_fma_f64 v[4:5], v[192:193], v[132:133], -v[4:5]
	v_mul_f64 v[0:1], v[198:199], v[0:1]
	v_add_f64 v[226:227], v[222:223], v[224:225]
	ds_read_b128 v[222:225], v150 offset:1616
	s_waitcnt vmcnt(10) lgkmcnt(1)
	v_mul_f64 v[228:229], v[204:205], v[214:215]
	v_add_f64 v[2:3], v[2:3], v[4:5]
	v_fma_f64 v[0:1], v[196:197], v[208:209], -v[0:1]
	s_waitcnt vmcnt(8)
	v_fmac_f64_e32 v[228:229], v[206:207], v[216:217]
	v_add_f64 v[0:1], v[2:3], v[0:1]
	v_mul_f64 v[2:3], v[202:203], v[138:139]
	v_add_f64 v[238:239], v[226:227], v[228:229]
	ds_read_b128 v[226:229], v150 offset:1632
	ds_read_b128 v[230:233], v150 offset:1648
	v_fma_f64 v[2:3], v[200:201], v[140:141], -v[2:3]
	v_add_f64 v[0:1], v[0:1], v[2:3]
	v_mul_f64 v[2:3], v[206:207], v[214:215]
	v_fma_f64 v[2:3], v[204:205], v[216:217], -v[2:3]
	v_add_f64 v[0:1], v[0:1], v[2:3]
	s_waitcnt lgkmcnt(2)
	v_mul_f64 v[2:3], v[224:225], v[210:211]
	v_mul_f64 v[240:241], v[222:223], v[210:211]
	v_fma_f64 v[2:3], v[222:223], v[212:213], -v[2:3]
	v_fmac_f64_e32 v[240:241], v[224:225], v[212:213]
	v_add_f64 v[0:1], v[0:1], v[2:3]
	s_waitcnt vmcnt(2) lgkmcnt(1)
	v_mul_f64 v[2:3], v[228:229], v[234:235]
	v_add_f64 v[238:239], v[238:239], v[240:241]
	v_mul_f64 v[240:241], v[226:227], v[234:235]
	s_waitcnt vmcnt(0)
	v_fma_f64 v[2:3], v[226:227], v[236:237], -v[2:3]
	v_fmac_f64_e32 v[240:241], v[228:229], v[236:237]
	v_add_f64 v[0:1], v[0:1], v[2:3]
	s_waitcnt lgkmcnt(0)
	v_mul_f64 v[2:3], v[232:233], v[218:219]
	v_add_f64 v[238:239], v[238:239], v[240:241]
	v_mul_f64 v[240:241], v[230:231], v[218:219]
	v_fma_f64 v[2:3], v[230:231], v[220:221], -v[2:3]
	v_fmac_f64_e32 v[240:241], v[232:233], v[220:221]
	v_add_f64 v[0:1], v[0:1], v[2:3]
	v_add_f64 v[238:239], v[238:239], v[240:241]
	v_add_f64 v[0:1], v[62:63], -v[0:1]
	v_add_f64 v[2:3], v[60:61], -v[238:239]
	buffer_store_dword v1, off, s[0:3], 0 offset:372
	buffer_store_dword v0, off, s[0:3], 0 offset:368
	;; [unrolled: 1-line block ×4, first 2 shown]
	s_and_saveexec_b64 s[4:5], vcc
	s_cbranch_execz .LBB115_283
; %bb.282:
	v_accvgpr_read_b32 v0, a134
	buffer_load_dword v2, v0, s[0:3], 0 offen
	buffer_load_dword v3, v0, s[0:3], 0 offen offset:4
	buffer_load_dword v4, v0, s[0:3], 0 offen offset:8
	;; [unrolled: 1-line block ×3, first 2 shown]
	v_accvgpr_read_b32 v0, a156
	buffer_store_dword v150, off, s[0:3], 0 offset:352
	buffer_store_dword v150, off, s[0:3], 0 offset:356
	buffer_store_dword v150, off, s[0:3], 0 offset:360
	buffer_store_dword v150, off, s[0:3], 0 offset:364
	s_waitcnt vmcnt(4)
	ds_write_b128 v0, v[2:5]
.LBB115_283:
	s_or_b64 exec, exec, s[4:5]
	s_waitcnt lgkmcnt(0)
	; wave barrier
	s_waitcnt lgkmcnt(0)
	buffer_load_dword v48, off, s[0:3], 0 offset:368
	buffer_load_dword v49, off, s[0:3], 0 offset:372
	;; [unrolled: 1-line block ×40, first 2 shown]
	ds_read_b128 v[38:41], v150 offset:1184
	ds_read_b128 v[34:37], v150 offset:1200
	;; [unrolled: 1-line block ×10, first 2 shown]
	buffer_load_dword v83, off, s[0:3], 0 offset:540
	buffer_load_dword v82, off, s[0:3], 0 offset:536
	;; [unrolled: 1-line block ×8, first 2 shown]
	v_cmp_lt_u32_e32 vcc, 20, v255
	s_waitcnt vmcnt(44) lgkmcnt(9)
	v_mul_f64 v[0:1], v[38:39], v[50:51]
	v_fmac_f64_e32 v[0:1], v[40:41], v[48:49]
	v_add_f64 v[0:1], v[0:1], 0
	v_mul_f64 v[40:41], v[40:41], v[50:51]
	s_waitcnt vmcnt(40) lgkmcnt(8)
	v_mul_f64 v[90:91], v[34:35], v[44:45]
	v_fmac_f64_e32 v[90:91], v[36:37], v[42:43]
	s_waitcnt vmcnt(38) lgkmcnt(7)
	v_mul_f64 v[92:93], v[30:31], v[46:47]
	v_add_f64 v[0:1], v[0:1], v[90:91]
	s_waitcnt vmcnt(36) lgkmcnt(5)
	v_mul_f64 v[96:97], v[22:23], v[52:53]
	v_mul_f64 v[36:37], v[36:37], v[44:45]
	s_waitcnt vmcnt(34)
	v_fmac_f64_e32 v[96:97], v[24:25], v[54:55]
	v_fma_f64 v[34:35], v[34:35], v[42:43], -v[36:37]
	s_waitcnt vmcnt(32)
	v_mul_f64 v[94:95], v[26:27], v[56:57]
	v_mul_f64 v[24:25], v[24:25], v[52:53]
	s_waitcnt vmcnt(30) lgkmcnt(4)
	v_mul_f64 v[98:99], v[18:19], v[62:63]
	v_fma_f64 v[22:23], v[22:23], v[54:55], -v[24:25]
	s_waitcnt vmcnt(28) lgkmcnt(1)
	v_mul_f64 v[122:123], v[2:3], v[64:65]
	s_waitcnt vmcnt(25)
	v_mul_f64 v[102:103], v[6:7], v[68:69]
	s_waitcnt vmcnt(23)
	;; [unrolled: 2-line block ×3, first 2 shown]
	v_fmac_f64_e32 v[100:101], v[12:13], v[72:73]
	v_mul_f64 v[12:13], v[12:13], v[70:71]
	s_waitcnt vmcnt(19)
	v_fmac_f64_e32 v[92:93], v[32:33], v[80:81]
	v_add_f64 v[0:1], v[0:1], v[92:93]
	s_waitcnt vmcnt(17)
	v_fmac_f64_e32 v[94:95], v[28:29], v[78:79]
	v_add_f64 v[0:1], v[0:1], v[94:95]
	;; [unrolled: 3-line block ×3, first 2 shown]
	v_add_f64 v[0:1], v[0:1], v[98:99]
	s_waitcnt vmcnt(13)
	v_fmac_f64_e32 v[102:103], v[8:9], v[74:75]
	v_add_f64 v[0:1], v[0:1], v[100:101]
	v_add_f64 v[124:125], v[0:1], v[102:103]
	buffer_load_dword v91, off, s[0:3], 0 offset:572
	buffer_load_dword v90, off, s[0:3], 0 offset:568
	;; [unrolled: 1-line block ×72, first 2 shown]
	s_waitcnt vmcnt(62)
	v_fmac_f64_e32 v[122:123], v[4:5], v[66:67]
	v_add_f64 v[152:153], v[124:125], v[122:123]
	ds_read_b128 v[122:125], v150 offset:1344
	buffer_load_dword v235, off, s[0:3], 0 offset:844
	buffer_load_dword v234, off, s[0:3], 0 offset:840
	;; [unrolled: 1-line block ×4, first 2 shown]
	s_waitcnt lgkmcnt(1)
	v_mul_f64 v[154:155], v[14:15], v[86:87]
	v_fmac_f64_e32 v[154:155], v[16:17], v[88:89]
	v_add_f64 v[156:157], v[152:153], v[154:155]
	ds_read_b128 v[152:155], v150 offset:1360
	s_waitcnt lgkmcnt(1)
	v_mul_f64 v[158:159], v[122:123], v[82:83]
	v_fmac_f64_e32 v[158:159], v[124:125], v[84:85]
	v_add_f64 v[160:161], v[156:157], v[158:159]
	ds_read_b128 v[156:159], v150 offset:1376
	v_mul_f64 v[32:33], v[32:33], v[46:47]
	s_waitcnt lgkmcnt(1)
	v_mul_f64 v[162:163], v[152:153], v[94:95]
	v_fma_f64 v[30:31], v[30:31], v[80:81], -v[32:33]
	v_fmac_f64_e32 v[162:163], v[154:155], v[96:97]
	v_add_f64 v[164:165], v[160:161], v[162:163]
	ds_read_b128 v[160:163], v150 offset:1392
	s_waitcnt lgkmcnt(1)
	v_mul_f64 v[166:167], v[156:157], v[90:91]
	v_fmac_f64_e32 v[166:167], v[158:159], v[92:93]
	v_add_f64 v[168:169], v[164:165], v[166:167]
	ds_read_b128 v[164:167], v150 offset:1408
	s_waitcnt vmcnt(62) lgkmcnt(1)
	v_mul_f64 v[170:171], v[160:161], v[102:103]
	s_waitcnt vmcnt(60)
	v_fmac_f64_e32 v[170:171], v[162:163], v[104:105]
	v_add_f64 v[172:173], v[168:169], v[170:171]
	ds_read_b128 v[168:171], v150 offset:1424
	s_waitcnt lgkmcnt(1)
	v_mul_f64 v[174:175], v[164:165], v[98:99]
	v_fmac_f64_e32 v[174:175], v[166:167], v[100:101]
	v_add_f64 v[176:177], v[172:173], v[174:175]
	ds_read_b128 v[172:175], v150 offset:1440
	s_waitcnt vmcnt(54) lgkmcnt(1)
	v_mul_f64 v[178:179], v[168:169], v[110:111]
	s_waitcnt vmcnt(52)
	;; [unrolled: 11-line block ×7, first 2 shown]
	v_fmac_f64_e32 v[232:233], v[224:225], v[212:213]
	v_add_f64 v[238:239], v[230:231], v[232:233]
	ds_read_b128 v[230:233], v150 offset:1616
	s_waitcnt lgkmcnt(1)
	v_mul_f64 v[240:241], v[226:227], v[0:1]
	v_fmac_f64_e32 v[240:241], v[228:229], v[208:209]
	v_add_f64 v[238:239], v[238:239], v[240:241]
	v_fma_f64 v[240:241], v[38:39], v[48:49], -v[40:41]
	ds_read_b128 v[38:41], v150 offset:1632
	ds_read_b128 v[48:51], v150 offset:1648
	s_waitcnt vmcnt(6) lgkmcnt(2)
	v_mul_f64 v[242:243], v[230:231], v[218:219]
	s_waitcnt vmcnt(4)
	v_fmac_f64_e32 v[242:243], v[232:233], v[220:221]
	v_add_f64 v[150:151], v[238:239], v[242:243]
	s_waitcnt lgkmcnt(1)
	v_mul_f64 v[238:239], v[38:39], v[214:215]
	v_fmac_f64_e32 v[238:239], v[40:41], v[216:217]
	v_add_f64 v[150:151], v[150:151], v[238:239]
	s_waitcnt vmcnt(2) lgkmcnt(0)
	v_mul_f64 v[238:239], v[48:49], v[234:235]
	s_waitcnt vmcnt(0)
	v_fmac_f64_e32 v[238:239], v[50:51], v[236:237]
	v_add_f64 v[150:151], v[150:151], v[238:239]
	v_add_f64 v[238:239], v[240:241], 0
	;; [unrolled: 1-line block ×3, first 2 shown]
	v_mul_f64 v[28:29], v[28:29], v[56:57]
	v_add_f64 v[30:31], v[34:35], v[30:31]
	v_fma_f64 v[26:27], v[26:27], v[78:79], -v[28:29]
	v_add_f64 v[26:27], v[30:31], v[26:27]
	v_mul_f64 v[20:21], v[20:21], v[62:63]
	v_add_f64 v[22:23], v[26:27], v[22:23]
	v_fma_f64 v[18:19], v[18:19], v[76:77], -v[20:21]
	v_add_f64 v[18:19], v[22:23], v[18:19]
	v_fma_f64 v[10:11], v[10:11], v[72:73], -v[12:13]
	v_mul_f64 v[8:9], v[8:9], v[68:69]
	v_add_f64 v[10:11], v[18:19], v[10:11]
	v_fma_f64 v[6:7], v[6:7], v[74:75], -v[8:9]
	v_mul_f64 v[4:5], v[4:5], v[64:65]
	;; [unrolled: 3-line block ×3, first 2 shown]
	v_add_f64 v[2:3], v[6:7], v[2:3]
	v_fma_f64 v[4:5], v[14:15], v[88:89], -v[4:5]
	v_add_f64 v[2:3], v[2:3], v[4:5]
	v_mul_f64 v[4:5], v[124:125], v[82:83]
	v_fma_f64 v[4:5], v[122:123], v[84:85], -v[4:5]
	v_add_f64 v[2:3], v[2:3], v[4:5]
	v_mul_f64 v[4:5], v[154:155], v[94:95]
	;; [unrolled: 3-line block ×16, first 2 shown]
	v_fma_f64 v[4:5], v[222:223], v[212:213], -v[4:5]
	v_mul_f64 v[0:1], v[228:229], v[0:1]
	v_add_f64 v[2:3], v[2:3], v[4:5]
	v_fma_f64 v[0:1], v[226:227], v[208:209], -v[0:1]
	v_add_f64 v[0:1], v[2:3], v[0:1]
	v_mul_f64 v[2:3], v[232:233], v[218:219]
	v_fma_f64 v[2:3], v[230:231], v[220:221], -v[2:3]
	v_add_f64 v[0:1], v[0:1], v[2:3]
	v_mul_f64 v[2:3], v[40:41], v[214:215]
	;; [unrolled: 3-line block ×3, first 2 shown]
	v_fma_f64 v[2:3], v[48:49], v[236:237], -v[2:3]
	v_add_f64 v[0:1], v[0:1], v[2:3]
	v_add_f64 v[0:1], v[60:61], -v[0:1]
	v_add_f64 v[2:3], v[58:59], -v[150:151]
	buffer_store_dword v1, off, s[0:3], 0 offset:356
	buffer_store_dword v0, off, s[0:3], 0 offset:352
	;; [unrolled: 1-line block ×4, first 2 shown]
	s_and_saveexec_b64 s[4:5], vcc
	s_cbranch_execz .LBB115_285
; %bb.284:
	v_accvgpr_read_b32 v0, a135
	buffer_load_dword v2, v0, s[0:3], 0 offen
	buffer_load_dword v3, v0, s[0:3], 0 offen offset:4
	buffer_load_dword v4, v0, s[0:3], 0 offen offset:8
	;; [unrolled: 1-line block ×3, first 2 shown]
	v_mov_b32_e32 v0, 0
	v_accvgpr_read_b32 v1, a156
	buffer_store_dword v0, off, s[0:3], 0 offset:336
	buffer_store_dword v0, off, s[0:3], 0 offset:340
	;; [unrolled: 1-line block ×4, first 2 shown]
	s_waitcnt vmcnt(4)
	ds_write_b128 v1, v[2:5]
.LBB115_285:
	s_or_b64 exec, exec, s[4:5]
	s_waitcnt lgkmcnt(0)
	; wave barrier
	s_waitcnt lgkmcnt(0)
	buffer_load_dword v106, off, s[0:3], 0 offset:352
	buffer_load_dword v107, off, s[0:3], 0 offset:356
	;; [unrolled: 1-line block ×49, first 2 shown]
	v_mov_b32_e32 v254, 0
	ds_read_b128 v[110:113], v254 offset:1168
	ds_read_b128 v[250:253], v254 offset:1184
	;; [unrolled: 1-line block ×10, first 2 shown]
	buffer_load_dword v158, off, s[0:3], 0 offset:544
	buffer_load_dword v173, off, s[0:3], 0 offset:540
	;; [unrolled: 1-line block ×69, first 2 shown]
	v_accvgpr_write_b32 a155, v255
	v_cmp_lt_u32_e32 vcc, 19, v255
	s_waitcnt vmcnt(62) lgkmcnt(9)
	v_mul_f64 v[0:1], v[110:111], v[108:109]
	v_fmac_f64_e32 v[0:1], v[112:113], v[106:107]
	v_add_f64 v[0:1], v[0:1], 0
	v_mul_f64 v[108:109], v[112:113], v[108:109]
	s_waitcnt lgkmcnt(8)
	v_mul_f64 v[34:35], v[250:251], v[116:117]
	v_fmac_f64_e32 v[34:35], v[252:253], v[114:115]
	s_waitcnt lgkmcnt(7)
	v_mul_f64 v[36:37], v[30:31], v[118:119]
	v_add_f64 v[0:1], v[0:1], v[34:35]
	s_waitcnt lgkmcnt(5)
	v_mul_f64 v[40:41], v[22:23], v[120:121]
	v_mul_f64 v[116:117], v[252:253], v[116:117]
	v_fmac_f64_e32 v[40:41], v[24:25], v[122:123]
	v_fma_f64 v[248:249], v[110:111], v[106:107], -v[108:109]
	v_mul_f64 v[38:39], v[26:27], v[124:125]
	v_fma_f64 v[250:251], v[250:251], v[114:115], -v[116:117]
	s_waitcnt lgkmcnt(3)
	v_mul_f64 v[44:45], v[14:15], v[126:127]
	v_mul_f64 v[24:25], v[24:25], v[120:121]
	v_fmac_f64_e32 v[44:45], v[16:17], v[128:129]
	v_fma_f64 v[22:23], v[22:23], v[122:123], -v[24:25]
	v_mul_f64 v[42:43], v[18:19], v[130:131]
	v_mul_f64 v[16:17], v[16:17], v[126:127]
	s_waitcnt lgkmcnt(1)
	v_mul_f64 v[48:49], v[6:7], v[132:133]
	v_fma_f64 v[14:15], v[14:15], v[128:129], -v[16:17]
	v_fmac_f64_e32 v[48:49], v[8:9], v[134:135]
	v_mul_f64 v[8:9], v[8:9], v[132:133]
	v_mul_f64 v[46:47], v[10:11], v[140:141]
	v_fma_f64 v[6:7], v[6:7], v[134:135], -v[8:9]
	s_waitcnt lgkmcnt(0)
	v_mul_f64 v[50:51], v[2:3], v[136:137]
	v_fmac_f64_e32 v[36:37], v[32:33], v[152:153]
	v_add_f64 v[0:1], v[0:1], v[36:37]
	v_fmac_f64_e32 v[38:39], v[28:29], v[150:151]
	v_add_f64 v[0:1], v[0:1], v[38:39]
	v_add_f64 v[0:1], v[0:1], v[40:41]
	ds_read_b128 v[38:41], v254 offset:1328
	ds_read_b128 v[34:37], v254 offset:1344
	buffer_load_dword v231, off, s[0:3], 0 offset:844
	buffer_load_dword v230, off, s[0:3], 0 offset:840
	;; [unrolled: 1-line block ×8, first 2 shown]
	v_fmac_f64_e32 v[42:43], v[20:21], v[148:149]
	v_add_f64 v[0:1], v[0:1], v[42:43]
	v_fmac_f64_e32 v[46:47], v[12:13], v[146:147]
	v_add_f64 v[0:1], v[0:1], v[44:45]
	v_add_f64 v[0:1], v[0:1], v[46:47]
	v_fmac_f64_e32 v[50:51], v[4:5], v[144:145]
	v_add_f64 v[0:1], v[0:1], v[48:49]
	s_waitcnt lgkmcnt(1)
	v_mul_f64 v[42:43], v[38:39], v[142:143]
	v_add_f64 v[0:1], v[0:1], v[50:51]
	v_fmac_f64_e32 v[42:43], v[40:41], v[154:155]
	v_add_f64 v[0:1], v[0:1], v[42:43]
	ds_read_b128 v[42:45], v254 offset:1360
	s_waitcnt lgkmcnt(1)
	v_mul_f64 v[46:47], v[34:35], v[172:173]
	v_fmac_f64_e32 v[46:47], v[36:37], v[176:177]
	v_add_f64 v[0:1], v[0:1], v[46:47]
	ds_read_b128 v[46:49], v254 offset:1376
	s_waitcnt lgkmcnt(1)
	v_mul_f64 v[50:51], v[42:43], v[156:157]
	v_fmac_f64_e32 v[50:51], v[44:45], v[158:159]
	v_add_f64 v[0:1], v[0:1], v[50:51]
	ds_read_b128 v[50:53], v254 offset:1392
	s_waitcnt vmcnt(62) lgkmcnt(1)
	v_mul_f64 v[54:55], v[46:47], v[180:181]
	v_fmac_f64_e32 v[54:55], v[48:49], v[184:185]
	v_add_f64 v[0:1], v[0:1], v[54:55]
	ds_read_b128 v[54:57], v254 offset:1408
	s_waitcnt lgkmcnt(1)
	v_mul_f64 v[58:59], v[50:51], v[160:161]
	v_fmac_f64_e32 v[58:59], v[52:53], v[162:163]
	v_add_f64 v[0:1], v[0:1], v[58:59]
	ds_read_b128 v[58:61], v254 offset:1424
	s_waitcnt vmcnt(58) lgkmcnt(1)
	v_mul_f64 v[62:63], v[54:55], v[188:189]
	s_waitcnt vmcnt(56)
	v_fmac_f64_e32 v[62:63], v[56:57], v[192:193]
	v_add_f64 v[0:1], v[0:1], v[62:63]
	ds_read_b128 v[62:65], v254 offset:1440
	s_waitcnt lgkmcnt(1)
	v_mul_f64 v[66:67], v[58:59], v[164:165]
	v_fmac_f64_e32 v[66:67], v[60:61], v[166:167]
	v_add_f64 v[0:1], v[0:1], v[66:67]
	ds_read_b128 v[66:69], v254 offset:1456
	s_waitcnt vmcnt(50) lgkmcnt(1)
	v_mul_f64 v[70:71], v[62:63], v[196:197]
	s_waitcnt vmcnt(48)
	v_fmac_f64_e32 v[70:71], v[64:65], v[200:201]
	v_add_f64 v[0:1], v[0:1], v[70:71]
	ds_read_b128 v[70:73], v254 offset:1472
	s_waitcnt lgkmcnt(1)
	v_mul_f64 v[74:75], v[66:67], v[168:169]
	v_fmac_f64_e32 v[74:75], v[68:69], v[170:171]
	v_add_f64 v[0:1], v[0:1], v[74:75]
	ds_read_b128 v[74:77], v254 offset:1488
	s_waitcnt vmcnt(42) lgkmcnt(1)
	v_mul_f64 v[78:79], v[70:71], v[204:205]
	s_waitcnt vmcnt(40)
	v_fmac_f64_e32 v[78:79], v[72:73], v[208:209]
	v_add_f64 v[0:1], v[0:1], v[78:79]
	ds_read_b128 v[78:81], v254 offset:1504
	s_waitcnt lgkmcnt(1)
	v_mul_f64 v[82:83], v[74:75], v[174:175]
	v_fmac_f64_e32 v[82:83], v[76:77], v[178:179]
	v_add_f64 v[0:1], v[0:1], v[82:83]
	ds_read_b128 v[82:85], v254 offset:1520
	s_waitcnt vmcnt(34) lgkmcnt(1)
	v_mul_f64 v[86:87], v[78:79], v[222:223]
	s_waitcnt vmcnt(32)
	v_fmac_f64_e32 v[86:87], v[80:81], v[224:225]
	v_add_f64 v[0:1], v[0:1], v[86:87]
	ds_read_b128 v[86:89], v254 offset:1536
	s_waitcnt lgkmcnt(1)
	v_mul_f64 v[90:91], v[82:83], v[182:183]
	v_fmac_f64_e32 v[90:91], v[84:85], v[186:187]
	v_add_f64 v[0:1], v[0:1], v[90:91]
	ds_read_b128 v[90:93], v254 offset:1552
	s_waitcnt vmcnt(26) lgkmcnt(1)
	v_mul_f64 v[94:95], v[86:87], v[226:227]
	s_waitcnt vmcnt(24)
	v_fmac_f64_e32 v[94:95], v[88:89], v[228:229]
	v_add_f64 v[0:1], v[0:1], v[94:95]
	ds_read_b128 v[94:97], v254 offset:1568
	s_waitcnt lgkmcnt(1)
	v_mul_f64 v[98:99], v[90:91], v[190:191]
	v_fmac_f64_e32 v[98:99], v[92:93], v[194:195]
	v_add_f64 v[0:1], v[0:1], v[98:99]
	ds_read_b128 v[98:101], v254 offset:1584
	ds_read_b128 v[102:105], v254 offset:1600
	;; [unrolled: 1-line block ×5, first 2 shown]
	buffer_load_dword v252, off, s[0:3], 0 offset:344
	buffer_load_dword v253, off, s[0:3], 0 offset:348
	s_waitcnt vmcnt(20) lgkmcnt(5)
	v_mul_f64 v[210:211], v[94:95], v[232:233]
	s_waitcnt vmcnt(18)
	v_fmac_f64_e32 v[210:211], v[96:97], v[236:237]
	v_add_f64 v[0:1], v[0:1], v[210:211]
	s_waitcnt lgkmcnt(4)
	v_mul_f64 v[210:211], v[98:99], v[198:199]
	v_fmac_f64_e32 v[210:211], v[100:101], v[202:203]
	v_add_f64 v[0:1], v[0:1], v[210:211]
	s_waitcnt vmcnt(12) lgkmcnt(3)
	v_mul_f64 v[210:211], v[102:103], v[238:239]
	s_waitcnt vmcnt(10)
	v_fmac_f64_e32 v[210:211], v[104:105], v[240:241]
	v_add_f64 v[0:1], v[0:1], v[210:211]
	s_waitcnt lgkmcnt(2)
	v_mul_f64 v[210:211], v[110:111], v[206:207]
	v_fmac_f64_e32 v[210:211], v[112:113], v[212:213]
	v_add_f64 v[0:1], v[0:1], v[210:211]
	s_waitcnt vmcnt(4) lgkmcnt(1)
	v_mul_f64 v[210:211], v[106:107], v[242:243]
	s_waitcnt vmcnt(2)
	v_fmac_f64_e32 v[210:211], v[108:109], v[244:245]
	v_add_f64 v[0:1], v[0:1], v[210:211]
	s_waitcnt lgkmcnt(0)
	v_mul_f64 v[210:211], v[114:115], v[230:231]
	v_fmac_f64_e32 v[210:211], v[116:117], v[234:235]
	v_add_f64 v[246:247], v[0:1], v[210:211]
	v_add_f64 v[0:1], v[248:249], 0
	v_mul_f64 v[32:33], v[32:33], v[118:119]
	v_add_f64 v[0:1], v[0:1], v[250:251]
	v_fma_f64 v[30:31], v[30:31], v[152:153], -v[32:33]
	v_mul_f64 v[28:29], v[28:29], v[124:125]
	v_add_f64 v[0:1], v[0:1], v[30:31]
	v_fma_f64 v[26:27], v[26:27], v[150:151], -v[28:29]
	v_add_f64 v[0:1], v[0:1], v[26:27]
	v_mul_f64 v[20:21], v[20:21], v[130:131]
	v_add_f64 v[0:1], v[0:1], v[22:23]
	v_fma_f64 v[18:19], v[18:19], v[148:149], -v[20:21]
	v_add_f64 v[0:1], v[0:1], v[18:19]
	;; [unrolled: 4-line block ×4, first 2 shown]
	v_mul_f64 v[2:3], v[40:41], v[142:143]
	v_fma_f64 v[2:3], v[38:39], v[154:155], -v[2:3]
	v_add_f64 v[0:1], v[0:1], v[2:3]
	v_mul_f64 v[2:3], v[36:37], v[172:173]
	v_fma_f64 v[2:3], v[34:35], v[176:177], -v[2:3]
	v_add_f64 v[0:1], v[0:1], v[2:3]
	;; [unrolled: 3-line block ×21, first 2 shown]
	v_add_f64 v[0:1], v[138:139], -v[0:1]
	s_waitcnt vmcnt(0)
	v_add_f64 v[2:3], v[252:253], -v[246:247]
	buffer_store_dword v1, off, s[0:3], 0 offset:340
	buffer_store_dword v0, off, s[0:3], 0 offset:336
	;; [unrolled: 1-line block ×4, first 2 shown]
	s_and_saveexec_b64 s[4:5], vcc
	s_cbranch_execz .LBB115_287
; %bb.286:
	v_accvgpr_read_b32 v0, a136
	buffer_load_dword v2, v0, s[0:3], 0 offen
	buffer_load_dword v3, v0, s[0:3], 0 offen offset:4
	buffer_load_dword v4, v0, s[0:3], 0 offen offset:8
	;; [unrolled: 1-line block ×3, first 2 shown]
	v_accvgpr_read_b32 v0, a156
	buffer_store_dword v254, off, s[0:3], 0 offset:320
	buffer_store_dword v254, off, s[0:3], 0 offset:324
	;; [unrolled: 1-line block ×4, first 2 shown]
	s_waitcnt vmcnt(4)
	ds_write_b128 v0, v[2:5]
.LBB115_287:
	s_or_b64 exec, exec, s[4:5]
	s_waitcnt lgkmcnt(0)
	; wave barrier
	s_waitcnt lgkmcnt(0)
	buffer_load_dword v112, off, s[0:3], 0 offset:336
	buffer_load_dword v113, off, s[0:3], 0 offset:340
	;; [unrolled: 1-line block ×36, first 2 shown]
	ds_read_b128 v[102:105], v254 offset:1152
	ds_read_b128 v[106:109], v254 offset:1168
	;; [unrolled: 1-line block ×9, first 2 shown]
	buffer_load_dword v143, off, s[0:3], 0 offset:508
	buffer_load_dword v142, off, s[0:3], 0 offset:504
	;; [unrolled: 1-line block ×78, first 2 shown]
	v_accvgpr_read_b32 v218, a155
	v_cmp_lt_u32_e32 vcc, 18, v218
	s_waitcnt vmcnt(62) lgkmcnt(8)
	v_mul_f64 v[0:1], v[102:103], v[246:247]
	v_fmac_f64_e32 v[0:1], v[104:105], v[112:113]
	v_add_f64 v[0:1], v[0:1], 0
	v_mul_f64 v[104:105], v[104:105], v[246:247]
	s_waitcnt lgkmcnt(7)
	v_mul_f64 v[26:27], v[106:107], v[248:249]
	v_fmac_f64_e32 v[26:27], v[108:109], v[110:111]
	s_waitcnt lgkmcnt(6)
	v_mul_f64 v[28:29], v[114:115], v[244:245]
	v_add_f64 v[0:1], v[0:1], v[26:27]
	s_waitcnt lgkmcnt(4)
	v_mul_f64 v[32:33], v[18:19], v[118:119]
	v_fma_f64 v[246:247], v[102:103], v[112:113], -v[104:105]
	v_fmac_f64_e32 v[32:33], v[20:21], v[120:121]
	v_mul_f64 v[108:109], v[108:109], v[248:249]
	v_mul_f64 v[30:31], v[22:23], v[122:123]
	v_fma_f64 v[248:249], v[106:107], v[110:111], -v[108:109]
	s_waitcnt lgkmcnt(2)
	v_mul_f64 v[36:37], v[10:11], v[124:125]
	v_mul_f64 v[20:21], v[20:21], v[118:119]
	v_fmac_f64_e32 v[36:37], v[12:13], v[126:127]
	v_fma_f64 v[18:19], v[18:19], v[120:121], -v[20:21]
	v_mul_f64 v[34:35], v[14:15], v[130:131]
	v_mul_f64 v[12:13], v[12:13], v[124:125]
	s_waitcnt lgkmcnt(1)
	v_mul_f64 v[38:39], v[6:7], v[128:129]
	v_fma_f64 v[10:11], v[10:11], v[126:127], -v[12:13]
	v_fmac_f64_e32 v[28:29], v[116:117], v[250:251]
	v_add_f64 v[0:1], v[0:1], v[28:29]
	v_fmac_f64_e32 v[30:31], v[24:25], v[138:139]
	v_add_f64 v[0:1], v[0:1], v[30:31]
	;; [unrolled: 2-line block ×3, first 2 shown]
	v_add_f64 v[0:1], v[0:1], v[34:35]
	v_fmac_f64_e32 v[38:39], v[8:9], v[134:135]
	v_add_f64 v[0:1], v[0:1], v[36:37]
	v_add_f64 v[0:1], v[0:1], v[38:39]
	s_waitcnt lgkmcnt(0)
	v_mul_f64 v[30:31], v[2:3], v[132:133]
	v_fmac_f64_e32 v[30:31], v[4:5], v[140:141]
	ds_read_b128 v[26:29], v254 offset:1296
	v_add_f64 v[0:1], v[0:1], v[30:31]
	ds_read_b128 v[30:33], v254 offset:1312
	buffer_load_dword v231, off, s[0:3], 0 offset:772
	buffer_load_dword v230, off, s[0:3], 0 offset:768
	v_mul_f64 v[116:117], v[116:117], v[244:245]
	s_waitcnt lgkmcnt(1)
	v_mul_f64 v[34:35], v[26:27], v[146:147]
	v_fmac_f64_e32 v[34:35], v[28:29], v[148:149]
	v_add_f64 v[0:1], v[0:1], v[34:35]
	ds_read_b128 v[34:37], v254 offset:1328
	s_waitcnt lgkmcnt(1)
	v_mul_f64 v[38:39], v[30:31], v[142:143]
	v_fmac_f64_e32 v[38:39], v[32:33], v[144:145]
	v_add_f64 v[0:1], v[0:1], v[38:39]
	ds_read_b128 v[38:41], v254 offset:1344
	;; [unrolled: 5-line block ×4, first 2 shown]
	buffer_load_dword v233, off, s[0:3], 0 offset:828
	buffer_load_dword v235, off, s[0:3], 0 offset:812
	;; [unrolled: 1-line block ×12, first 2 shown]
	s_waitcnt vmcnt(62) lgkmcnt(1)
	v_mul_f64 v[50:51], v[42:43], v[174:175]
	v_fmac_f64_e32 v[50:51], v[44:45], v[178:179]
	v_add_f64 v[0:1], v[0:1], v[50:51]
	ds_read_b128 v[50:53], v254 offset:1392
	s_waitcnt lgkmcnt(1)
	v_mul_f64 v[54:55], v[46:47], v[154:155]
	v_fmac_f64_e32 v[54:55], v[48:49], v[156:157]
	v_add_f64 v[0:1], v[0:1], v[54:55]
	ds_read_b128 v[54:57], v254 offset:1408
	s_waitcnt lgkmcnt(1)
	v_mul_f64 v[58:59], v[50:51], v[182:183]
	s_waitcnt vmcnt(60)
	v_fmac_f64_e32 v[58:59], v[52:53], v[186:187]
	v_add_f64 v[0:1], v[0:1], v[58:59]
	ds_read_b128 v[58:61], v254 offset:1424
	s_waitcnt lgkmcnt(1)
	v_mul_f64 v[62:63], v[54:55], v[162:163]
	v_fmac_f64_e32 v[62:63], v[56:57], v[164:165]
	v_add_f64 v[0:1], v[0:1], v[62:63]
	ds_read_b128 v[62:65], v254 offset:1440
	s_waitcnt vmcnt(54) lgkmcnt(1)
	v_mul_f64 v[66:67], v[58:59], v[190:191]
	s_waitcnt vmcnt(52)
	v_fmac_f64_e32 v[66:67], v[60:61], v[194:195]
	v_add_f64 v[0:1], v[0:1], v[66:67]
	ds_read_b128 v[66:69], v254 offset:1456
	s_waitcnt lgkmcnt(1)
	v_mul_f64 v[70:71], v[62:63], v[166:167]
	v_fmac_f64_e32 v[70:71], v[64:65], v[168:169]
	v_add_f64 v[0:1], v[0:1], v[70:71]
	ds_read_b128 v[70:73], v254 offset:1472
	s_waitcnt vmcnt(46) lgkmcnt(1)
	;; [unrolled: 11-line block ×4, first 2 shown]
	v_mul_f64 v[90:91], v[82:83], v[212:213]
	s_waitcnt vmcnt(28)
	v_fmac_f64_e32 v[90:91], v[84:85], v[222:223]
	v_add_f64 v[0:1], v[0:1], v[90:91]
	ds_read_b128 v[90:93], v254 offset:1552
	ds_read_b128 v[94:97], v254 offset:1568
	s_waitcnt lgkmcnt(2)
	v_mul_f64 v[98:99], v[86:87], v[184:185]
	v_fmac_f64_e32 v[98:99], v[88:89], v[188:189]
	v_add_f64 v[0:1], v[0:1], v[98:99]
	s_waitcnt vmcnt(22) lgkmcnt(1)
	v_mul_f64 v[98:99], v[90:91], v[224:225]
	s_waitcnt vmcnt(20)
	v_fmac_f64_e32 v[98:99], v[92:93], v[226:227]
	v_add_f64 v[0:1], v[0:1], v[98:99]
	s_waitcnt lgkmcnt(0)
	v_mul_f64 v[98:99], v[94:95], v[192:193]
	v_fmac_f64_e32 v[98:99], v[96:97], v[196:197]
	v_add_f64 v[0:1], v[0:1], v[98:99]
	ds_read_b128 v[98:101], v254 offset:1584
	ds_read_b128 v[102:105], v254 offset:1600
	;; [unrolled: 1-line block ×3, first 2 shown]
	v_fma_f64 v[250:251], v[114:115], v[250:251], -v[116:117]
	ds_read_b128 v[114:117], v254 offset:1648
	s_waitcnt vmcnt(14) lgkmcnt(3)
	v_mul_f64 v[112:113], v[98:99], v[228:229]
	s_waitcnt lgkmcnt(2)
	v_mul_f64 v[110:111], v[102:103], v[200:201]
	s_waitcnt vmcnt(12)
	v_fmac_f64_e32 v[112:113], v[100:101], v[230:231]
	v_add_f64 v[0:1], v[0:1], v[112:113]
	v_fmac_f64_e32 v[110:111], v[104:105], v[204:205]
	v_add_f64 v[0:1], v[0:1], v[110:111]
	ds_read_b128 v[110:113], v254 offset:1632
	buffer_load_dword v254, off, s[0:3], 0 offset:320
	buffer_load_dword v255, off, s[0:3], 0 offset:324
	;; [unrolled: 1-line block ×4, first 2 shown]
	v_mul_f64 v[24:25], v[24:25], v[122:123]
	v_fma_f64 v[22:23], v[22:23], v[138:139], -v[24:25]
	v_mul_f64 v[16:17], v[16:17], v[130:131]
	s_waitcnt vmcnt(13) lgkmcnt(2)
	v_mul_f64 v[210:211], v[106:107], v[234:235]
	v_fma_f64 v[14:15], v[14:15], v[136:137], -v[16:17]
	s_waitcnt vmcnt(11)
	v_fmac_f64_e32 v[210:211], v[108:109], v[240:241]
	v_add_f64 v[0:1], v[0:1], v[210:211]
	s_waitcnt vmcnt(10) lgkmcnt(0)
	v_mul_f64 v[210:211], v[110:111], v[232:233]
	s_waitcnt vmcnt(8)
	v_fmac_f64_e32 v[210:211], v[112:113], v[238:239]
	v_add_f64 v[0:1], v[0:1], v[210:211]
	s_waitcnt vmcnt(6)
	v_mul_f64 v[210:211], v[114:115], v[236:237]
	v_mul_f64 v[8:9], v[8:9], v[128:129]
	s_waitcnt vmcnt(4)
	v_fmac_f64_e32 v[210:211], v[116:117], v[242:243]
	v_add_f64 v[244:245], v[0:1], v[210:211]
	v_add_f64 v[0:1], v[246:247], 0
	;; [unrolled: 1-line block ×8, first 2 shown]
	v_fma_f64 v[6:7], v[6:7], v[134:135], -v[8:9]
	v_mul_f64 v[4:5], v[4:5], v[132:133]
	v_add_f64 v[0:1], v[0:1], v[6:7]
	v_fma_f64 v[2:3], v[2:3], v[140:141], -v[4:5]
	v_add_f64 v[0:1], v[0:1], v[2:3]
	v_mul_f64 v[2:3], v[28:29], v[146:147]
	v_fma_f64 v[2:3], v[26:27], v[148:149], -v[2:3]
	v_add_f64 v[0:1], v[0:1], v[2:3]
	v_mul_f64 v[2:3], v[32:33], v[142:143]
	v_fma_f64 v[2:3], v[30:31], v[144:145], -v[2:3]
	v_add_f64 v[0:1], v[0:1], v[2:3]
	v_mul_f64 v[2:3], v[36:37], v[158:159]
	v_fma_f64 v[2:3], v[34:35], v[160:161], -v[2:3]
	v_add_f64 v[0:1], v[0:1], v[2:3]
	v_mul_f64 v[2:3], v[40:41], v[150:151]
	v_fma_f64 v[2:3], v[38:39], v[152:153], -v[2:3]
	v_add_f64 v[0:1], v[0:1], v[2:3]
	v_mul_f64 v[2:3], v[44:45], v[174:175]
	v_fma_f64 v[2:3], v[42:43], v[178:179], -v[2:3]
	v_add_f64 v[0:1], v[0:1], v[2:3]
	v_mul_f64 v[2:3], v[48:49], v[154:155]
	v_fma_f64 v[2:3], v[46:47], v[156:157], -v[2:3]
	v_add_f64 v[0:1], v[0:1], v[2:3]
	v_mul_f64 v[2:3], v[52:53], v[182:183]
	v_fma_f64 v[2:3], v[50:51], v[186:187], -v[2:3]
	v_add_f64 v[0:1], v[0:1], v[2:3]
	v_mul_f64 v[2:3], v[56:57], v[162:163]
	v_fma_f64 v[2:3], v[54:55], v[164:165], -v[2:3]
	v_add_f64 v[0:1], v[0:1], v[2:3]
	v_mul_f64 v[2:3], v[60:61], v[190:191]
	v_fma_f64 v[2:3], v[58:59], v[194:195], -v[2:3]
	v_add_f64 v[0:1], v[0:1], v[2:3]
	v_mul_f64 v[2:3], v[64:65], v[166:167]
	v_fma_f64 v[2:3], v[62:63], v[168:169], -v[2:3]
	v_add_f64 v[0:1], v[0:1], v[2:3]
	v_mul_f64 v[2:3], v[68:69], v[198:199]
	v_fma_f64 v[2:3], v[66:67], v[202:203], -v[2:3]
	v_add_f64 v[0:1], v[0:1], v[2:3]
	v_mul_f64 v[2:3], v[72:73], v[170:171]
	v_fma_f64 v[2:3], v[70:71], v[172:173], -v[2:3]
	v_add_f64 v[0:1], v[0:1], v[2:3]
	v_mul_f64 v[2:3], v[76:77], v[206:207]
	v_fma_f64 v[2:3], v[74:75], v[208:209], -v[2:3]
	v_add_f64 v[0:1], v[0:1], v[2:3]
	v_mul_f64 v[2:3], v[80:81], v[176:177]
	v_fma_f64 v[2:3], v[78:79], v[180:181], -v[2:3]
	v_add_f64 v[0:1], v[0:1], v[2:3]
	v_mul_f64 v[2:3], v[84:85], v[212:213]
	v_fma_f64 v[2:3], v[82:83], v[222:223], -v[2:3]
	v_add_f64 v[0:1], v[0:1], v[2:3]
	v_mul_f64 v[2:3], v[88:89], v[184:185]
	v_fma_f64 v[2:3], v[86:87], v[188:189], -v[2:3]
	v_add_f64 v[0:1], v[0:1], v[2:3]
	v_mul_f64 v[2:3], v[92:93], v[224:225]
	v_fma_f64 v[2:3], v[90:91], v[226:227], -v[2:3]
	v_add_f64 v[0:1], v[0:1], v[2:3]
	v_mul_f64 v[2:3], v[96:97], v[192:193]
	v_fma_f64 v[2:3], v[94:95], v[196:197], -v[2:3]
	v_add_f64 v[0:1], v[0:1], v[2:3]
	v_mul_f64 v[2:3], v[100:101], v[228:229]
	v_fma_f64 v[2:3], v[98:99], v[230:231], -v[2:3]
	v_add_f64 v[0:1], v[0:1], v[2:3]
	v_mul_f64 v[2:3], v[104:105], v[200:201]
	v_fma_f64 v[2:3], v[102:103], v[204:205], -v[2:3]
	v_add_f64 v[0:1], v[0:1], v[2:3]
	v_mul_f64 v[2:3], v[108:109], v[234:235]
	v_fma_f64 v[2:3], v[106:107], v[240:241], -v[2:3]
	v_add_f64 v[0:1], v[0:1], v[2:3]
	v_mul_f64 v[2:3], v[112:113], v[232:233]
	v_fma_f64 v[2:3], v[110:111], v[238:239], -v[2:3]
	v_add_f64 v[0:1], v[0:1], v[2:3]
	v_mul_f64 v[2:3], v[116:117], v[236:237]
	v_fma_f64 v[2:3], v[114:115], v[242:243], -v[2:3]
	v_add_f64 v[0:1], v[0:1], v[2:3]
	s_waitcnt vmcnt(2)
	v_add_f64 v[0:1], v[254:255], -v[0:1]
	s_waitcnt vmcnt(0)
	v_add_f64 v[2:3], v[252:253], -v[244:245]
	buffer_store_dword v1, off, s[0:3], 0 offset:324
	buffer_store_dword v0, off, s[0:3], 0 offset:320
	;; [unrolled: 1-line block ×4, first 2 shown]
	s_and_saveexec_b64 s[4:5], vcc
	s_cbranch_execz .LBB115_289
; %bb.288:
	v_accvgpr_read_b32 v0, a137
	buffer_load_dword v2, v0, s[0:3], 0 offen
	buffer_load_dword v3, v0, s[0:3], 0 offen offset:4
	buffer_load_dword v4, v0, s[0:3], 0 offen offset:8
	;; [unrolled: 1-line block ×3, first 2 shown]
	v_mov_b32_e32 v0, 0
	v_accvgpr_read_b32 v1, a156
	buffer_store_dword v0, off, s[0:3], 0 offset:304
	buffer_store_dword v0, off, s[0:3], 0 offset:308
	;; [unrolled: 1-line block ×4, first 2 shown]
	s_waitcnt vmcnt(4)
	ds_write_b128 v1, v[2:5]
.LBB115_289:
	s_or_b64 exec, exec, s[4:5]
	s_waitcnt lgkmcnt(0)
	; wave barrier
	s_waitcnt lgkmcnt(0)
	buffer_load_dword v94, off, s[0:3], 0 offset:320
	buffer_load_dword v95, off, s[0:3], 0 offset:324
	;; [unrolled: 1-line block ×52, first 2 shown]
	v_mov_b32_e32 v254, 0
	ds_read_b128 v[102:105], v254 offset:1136
	ds_read_b128 v[114:117], v254 offset:1152
	;; [unrolled: 1-line block ×10, first 2 shown]
	v_cmp_lt_u32_e32 vcc, 17, v218
	s_waitcnt vmcnt(48) lgkmcnt(9)
	v_mul_f64 v[0:1], v[102:103], v[96:97]
	v_fmac_f64_e32 v[0:1], v[104:105], v[94:95]
	v_add_f64 v[0:1], v[0:1], 0
	v_mul_f64 v[96:97], v[104:105], v[96:97]
	s_waitcnt vmcnt(44) lgkmcnt(8)
	v_mul_f64 v[26:27], v[114:115], v[100:101]
	v_fmac_f64_e32 v[26:27], v[116:117], v[98:99]
	s_waitcnt vmcnt(42) lgkmcnt(7)
	v_mul_f64 v[28:29], v[244:245], v[106:107]
	v_add_f64 v[0:1], v[0:1], v[26:27]
	s_waitcnt vmcnt(40) lgkmcnt(5)
	v_mul_f64 v[32:33], v[22:23], v[120:121]
	v_fma_f64 v[210:211], v[102:103], v[94:95], -v[96:97]
	s_waitcnt vmcnt(38)
	v_fmac_f64_e32 v[32:33], v[24:25], v[124:125]
	v_mul_f64 v[100:101], v[116:117], v[100:101]
	s_waitcnt vmcnt(36)
	v_mul_f64 v[30:31], v[250:251], v[110:111]
	v_fma_f64 v[214:215], v[114:115], v[98:99], -v[100:101]
	s_waitcnt vmcnt(34) lgkmcnt(3)
	v_mul_f64 v[36:37], v[14:15], v[118:119]
	v_mul_f64 v[106:107], v[246:247], v[106:107]
	s_waitcnt vmcnt(32)
	v_fmac_f64_e32 v[36:37], v[16:17], v[122:123]
	v_mul_f64 v[110:111], v[252:253], v[110:111]
	s_waitcnt vmcnt(30)
	v_mul_f64 v[34:35], v[18:19], v[130:131]
	v_mul_f64 v[24:25], v[24:25], v[120:121]
	v_fma_f64 v[22:23], v[22:23], v[124:125], -v[24:25]
	s_waitcnt vmcnt(27) lgkmcnt(2)
	v_mul_f64 v[38:39], v[10:11], v[128:129]
	s_waitcnt vmcnt(26) lgkmcnt(1)
	v_mul_f64 v[40:41], v[6:7], v[126:127]
	v_mul_f64 v[16:17], v[16:17], v[118:119]
	s_waitcnt vmcnt(24)
	v_fmac_f64_e32 v[28:29], v[246:247], v[108:109]
	v_add_f64 v[0:1], v[0:1], v[28:29]
	s_waitcnt vmcnt(22)
	v_fmac_f64_e32 v[30:31], v[252:253], v[112:113]
	v_add_f64 v[0:1], v[0:1], v[30:31]
	v_add_f64 v[0:1], v[0:1], v[32:33]
	ds_read_b128 v[26:29], v254 offset:1296
	ds_read_b128 v[30:33], v254 offset:1312
	buffer_load_dword v155, off, s[0:3], 0 offset:556
	buffer_load_dword v154, off, s[0:3], 0 offset:552
	;; [unrolled: 1-line block ×56, first 2 shown]
	s_waitcnt vmcnt(62)
	v_fmac_f64_e32 v[34:35], v[20:21], v[134:135]
	v_add_f64 v[0:1], v[0:1], v[34:35]
	v_fmac_f64_e32 v[38:39], v[12:13], v[132:133]
	v_add_f64 v[0:1], v[0:1], v[36:37]
	v_add_f64 v[0:1], v[0:1], v[38:39]
	v_fmac_f64_e32 v[40:41], v[8:9], v[138:139]
	s_waitcnt lgkmcnt(2)
	v_mul_f64 v[34:35], v[2:3], v[142:143]
	v_add_f64 v[0:1], v[0:1], v[40:41]
	v_fmac_f64_e32 v[34:35], v[4:5], v[144:145]
	v_add_f64 v[0:1], v[0:1], v[34:35]
	s_waitcnt lgkmcnt(1)
	v_mul_f64 v[34:35], v[26:27], v[136:137]
	v_fmac_f64_e32 v[34:35], v[28:29], v[140:141]
	v_add_f64 v[0:1], v[0:1], v[34:35]
	s_waitcnt lgkmcnt(0)
	v_mul_f64 v[34:35], v[30:31], v[146:147]
	s_waitcnt vmcnt(60)
	v_fmac_f64_e32 v[34:35], v[32:33], v[150:151]
	v_add_f64 v[0:1], v[0:1], v[34:35]
	ds_read_b128 v[34:37], v254 offset:1328
	buffer_load_dword v199, off, s[0:3], 0 offset:780
	buffer_load_dword v198, off, s[0:3], 0 offset:776
	;; [unrolled: 1-line block ×16, first 2 shown]
	ds_read_b128 v[38:41], v254 offset:1344
	buffer_load_dword v231, off, s[0:3], 0 offset:844
	buffer_load_dword v230, off, s[0:3], 0 offset:840
	;; [unrolled: 1-line block ×8, first 2 shown]
	ds_read_b128 v[98:101], v254 offset:1584
	s_waitcnt vmcnt(62) lgkmcnt(2)
	v_mul_f64 v[42:43], v[34:35], v[148:149]
	v_fmac_f64_e32 v[42:43], v[36:37], v[152:153]
	v_add_f64 v[0:1], v[0:1], v[42:43]
	ds_read_b128 v[42:45], v254 offset:1360
	v_fma_f64 v[248:249], v[244:245], v[108:109], -v[106:107]
	ds_read_b128 v[106:109], v254 offset:1616
	v_fma_f64 v[246:247], v[250:251], v[112:113], -v[110:111]
	v_mul_f64 v[20:21], v[20:21], v[130:131]
	s_waitcnt lgkmcnt(3)
	v_mul_f64 v[46:47], v[38:39], v[170:171]
	v_fma_f64 v[18:19], v[18:19], v[134:135], -v[20:21]
	v_fmac_f64_e32 v[46:47], v[40:41], v[174:175]
	v_add_f64 v[0:1], v[0:1], v[46:47]
	ds_read_b128 v[46:49], v254 offset:1376
	s_waitcnt lgkmcnt(2)
	v_mul_f64 v[50:51], v[42:43], v[154:155]
	v_fmac_f64_e32 v[50:51], v[44:45], v[156:157]
	v_add_f64 v[0:1], v[0:1], v[50:51]
	ds_read_b128 v[50:53], v254 offset:1392
	s_waitcnt lgkmcnt(1)
	v_mul_f64 v[54:55], v[46:47], v[178:179]
	;; [unrolled: 5-line block ×3, first 2 shown]
	v_fmac_f64_e32 v[58:59], v[52:53], v[160:161]
	v_add_f64 v[0:1], v[0:1], v[58:59]
	ds_read_b128 v[58:61], v254 offset:1424
	s_waitcnt vmcnt(58) lgkmcnt(1)
	v_mul_f64 v[62:63], v[54:55], v[186:187]
	s_waitcnt vmcnt(56)
	v_fmac_f64_e32 v[62:63], v[56:57], v[190:191]
	v_add_f64 v[0:1], v[0:1], v[62:63]
	ds_read_b128 v[62:65], v254 offset:1440
	s_waitcnt lgkmcnt(1)
	v_mul_f64 v[66:67], v[58:59], v[162:163]
	v_fmac_f64_e32 v[66:67], v[60:61], v[164:165]
	v_add_f64 v[0:1], v[0:1], v[66:67]
	ds_read_b128 v[66:69], v254 offset:1456
	s_waitcnt vmcnt(50) lgkmcnt(1)
	v_mul_f64 v[70:71], v[62:63], v[194:195]
	s_waitcnt vmcnt(48)
	v_fmac_f64_e32 v[70:71], v[64:65], v[196:197]
	v_add_f64 v[0:1], v[0:1], v[70:71]
	ds_read_b128 v[70:73], v254 offset:1472
	s_waitcnt lgkmcnt(1)
	v_mul_f64 v[74:75], v[66:67], v[166:167]
	;; [unrolled: 11-line block ×3, first 2 shown]
	v_fmac_f64_e32 v[82:83], v[76:77], v[176:177]
	v_add_f64 v[0:1], v[0:1], v[82:83]
	ds_read_b128 v[82:85], v254 offset:1520
	ds_read_b128 v[86:89], v254 offset:1536
	s_waitcnt vmcnt(34) lgkmcnt(2)
	v_mul_f64 v[90:91], v[78:79], v[208:209]
	s_waitcnt vmcnt(32)
	v_fmac_f64_e32 v[90:91], v[80:81], v[224:225]
	v_add_f64 v[0:1], v[0:1], v[90:91]
	s_waitcnt lgkmcnt(1)
	v_mul_f64 v[90:91], v[82:83], v[180:181]
	v_fmac_f64_e32 v[90:91], v[84:85], v[184:185]
	v_add_f64 v[0:1], v[0:1], v[90:91]
	s_waitcnt vmcnt(27) lgkmcnt(0)
	v_mul_f64 v[90:91], v[86:87], v[222:223]
	s_waitcnt vmcnt(25)
	v_fmac_f64_e32 v[90:91], v[88:89], v[226:227]
	v_add_f64 v[0:1], v[0:1], v[90:91]
	ds_read_b128 v[90:93], v254 offset:1552
	ds_read_b128 v[94:97], v254 offset:1568
	v_fma_f64 v[14:15], v[14:15], v[122:123], -v[16:17]
	v_mul_f64 v[12:13], v[12:13], v[128:129]
	v_fma_f64 v[10:11], v[10:11], v[132:133], -v[12:13]
	s_waitcnt lgkmcnt(1)
	v_mul_f64 v[102:103], v[90:91], v[188:189]
	s_waitcnt vmcnt(24)
	v_fmac_f64_e32 v[102:103], v[92:93], v[192:193]
	v_add_f64 v[0:1], v[0:1], v[102:103]
	s_waitcnt vmcnt(18) lgkmcnt(0)
	v_mul_f64 v[102:103], v[94:95], v[228:229]
	s_waitcnt vmcnt(16)
	v_fmac_f64_e32 v[102:103], v[96:97], v[232:233]
	v_add_f64 v[0:1], v[0:1], v[102:103]
	v_mul_f64 v[102:103], v[98:99], v[198:199]
	v_fmac_f64_e32 v[102:103], v[100:101], v[202:203]
	v_add_f64 v[0:1], v[0:1], v[102:103]
	ds_read_b128 v[102:105], v254 offset:1600
	ds_read_b128 v[110:113], v254 offset:1632
	v_mul_f64 v[8:9], v[8:9], v[126:127]
	v_fma_f64 v[6:7], v[6:7], v[138:139], -v[8:9]
	v_mul_f64 v[4:5], v[4:5], v[142:143]
	s_waitcnt vmcnt(10) lgkmcnt(1)
	v_mul_f64 v[114:115], v[102:103], v[236:237]
	s_waitcnt vmcnt(8)
	v_fmac_f64_e32 v[114:115], v[104:105], v[238:239]
	v_add_f64 v[0:1], v[0:1], v[114:115]
	v_mul_f64 v[114:115], v[106:107], v[206:207]
	v_fmac_f64_e32 v[114:115], v[108:109], v[212:213]
	v_add_f64 v[0:1], v[0:1], v[114:115]
	s_waitcnt vmcnt(2) lgkmcnt(0)
	v_mul_f64 v[114:115], v[110:111], v[240:241]
	s_waitcnt vmcnt(0)
	v_fmac_f64_e32 v[114:115], v[112:113], v[242:243]
	v_add_f64 v[0:1], v[0:1], v[114:115]
	ds_read_b128 v[114:117], v254 offset:1648
	buffer_load_dword v252, off, s[0:3], 0 offset:304
	buffer_load_dword v253, off, s[0:3], 0 offset:308
	v_fma_f64 v[2:3], v[2:3], v[144:145], -v[4:5]
	s_waitcnt lgkmcnt(0)
	v_mul_f64 v[216:217], v[114:115], v[230:231]
	v_fmac_f64_e32 v[216:217], v[116:117], v[234:235]
	v_add_f64 v[244:245], v[0:1], v[216:217]
	v_add_f64 v[0:1], v[210:211], 0
	;; [unrolled: 1-line block ×4, first 2 shown]
	buffer_load_dword v248, off, s[0:3], 0 offset:312
	buffer_load_dword v249, off, s[0:3], 0 offset:316
	v_add_f64 v[0:1], v[0:1], v[246:247]
	v_add_f64 v[0:1], v[0:1], v[22:23]
	;; [unrolled: 1-line block ×7, first 2 shown]
	v_mul_f64 v[2:3], v[28:29], v[136:137]
	v_fma_f64 v[2:3], v[26:27], v[140:141], -v[2:3]
	v_add_f64 v[0:1], v[0:1], v[2:3]
	v_mul_f64 v[2:3], v[32:33], v[146:147]
	v_fma_f64 v[2:3], v[30:31], v[150:151], -v[2:3]
	v_add_f64 v[0:1], v[0:1], v[2:3]
	;; [unrolled: 3-line block ×23, first 2 shown]
	s_waitcnt vmcnt(2)
	v_add_f64 v[0:1], v[252:253], -v[0:1]
	s_waitcnt vmcnt(0)
	v_add_f64 v[2:3], v[248:249], -v[244:245]
	buffer_store_dword v1, off, s[0:3], 0 offset:308
	buffer_store_dword v0, off, s[0:3], 0 offset:304
	;; [unrolled: 1-line block ×4, first 2 shown]
	s_and_saveexec_b64 s[4:5], vcc
	s_cbranch_execz .LBB115_291
; %bb.290:
	v_accvgpr_read_b32 v0, a138
	buffer_load_dword v2, v0, s[0:3], 0 offen
	buffer_load_dword v3, v0, s[0:3], 0 offen offset:4
	buffer_load_dword v4, v0, s[0:3], 0 offen offset:8
	;; [unrolled: 1-line block ×3, first 2 shown]
	v_accvgpr_read_b32 v0, a156
	buffer_store_dword v254, off, s[0:3], 0 offset:288
	buffer_store_dword v254, off, s[0:3], 0 offset:292
	;; [unrolled: 1-line block ×4, first 2 shown]
	s_waitcnt vmcnt(4)
	ds_write_b128 v0, v[2:5]
.LBB115_291:
	s_or_b64 exec, exec, s[4:5]
	s_waitcnt lgkmcnt(0)
	; wave barrier
	s_waitcnt lgkmcnt(0)
	buffer_load_dword v86, off, s[0:3], 0 offset:304
	buffer_load_dword v87, off, s[0:3], 0 offset:308
	;; [unrolled: 1-line block ×42, first 2 shown]
	ds_read_b128 v[94:97], v254 offset:1120
	ds_read_b128 v[106:109], v254 offset:1136
	;; [unrolled: 1-line block ×10, first 2 shown]
	buffer_load_dword v145, off, s[0:3], 0 offset:452
	buffer_load_dword v144, off, s[0:3], 0 offset:448
	ds_read_b128 v[6:9], v254 offset:1280
	buffer_load_dword v141, off, s[0:3], 0 offset:508
	buffer_load_dword v140, off, s[0:3], 0 offset:504
	buffer_load_dword v143, off, s[0:3], 0 offset:500
	buffer_load_dword v142, off, s[0:3], 0 offset:496
	buffer_load_dword v147, off, s[0:3], 0 offset:492
	buffer_load_dword v146, off, s[0:3], 0 offset:488
	buffer_load_dword v163, off, s[0:3], 0 offset:484
	buffer_load_dword v162, off, s[0:3], 0 offset:480
	buffer_load_dword v149, off, s[0:3], 0 offset:540
	buffer_load_dword v148, off, s[0:3], 0 offset:536
	buffer_load_dword v151, off, s[0:3], 0 offset:532
	buffer_load_dword v150, off, s[0:3], 0 offset:528
	buffer_load_dword v167, off, s[0:3], 0 offset:524
	buffer_load_dword v166, off, s[0:3], 0 offset:520
	buffer_load_dword v171, off, s[0:3], 0 offset:516
	buffer_load_dword v170, off, s[0:3], 0 offset:512
	buffer_load_dword v153, off, s[0:3], 0 offset:572
	buffer_load_dword v152, off, s[0:3], 0 offset:568
	buffer_load_dword v155, off, s[0:3], 0 offset:564
	buffer_load_dword v154, off, s[0:3], 0 offset:560
	buffer_load_dword v175, off, s[0:3], 0 offset:556
	buffer_load_dword v174, off, s[0:3], 0 offset:552
	buffer_load_dword v179, off, s[0:3], 0 offset:548
	buffer_load_dword v178, off, s[0:3], 0 offset:544
	buffer_load_dword v157, off, s[0:3], 0 offset:604
	buffer_load_dword v156, off, s[0:3], 0 offset:600
	buffer_load_dword v159, off, s[0:3], 0 offset:596
	buffer_load_dword v158, off, s[0:3], 0 offset:592
	buffer_load_dword v183, off, s[0:3], 0 offset:588
	buffer_load_dword v182, off, s[0:3], 0 offset:584
	buffer_load_dword v187, off, s[0:3], 0 offset:580
	buffer_load_dword v186, off, s[0:3], 0 offset:576
	buffer_load_dword v161, off, s[0:3], 0 offset:636
	buffer_load_dword v160, off, s[0:3], 0 offset:632
	buffer_load_dword v165, off, s[0:3], 0 offset:628
	buffer_load_dword v164, off, s[0:3], 0 offset:624
	buffer_load_dword v191, off, s[0:3], 0 offset:620
	buffer_load_dword v190, off, s[0:3], 0 offset:616
	buffer_load_dword v195, off, s[0:3], 0 offset:612
	buffer_load_dword v194, off, s[0:3], 0 offset:608
	buffer_load_dword v169, off, s[0:3], 0 offset:668
	buffer_load_dword v168, off, s[0:3], 0 offset:664
	buffer_load_dword v173, off, s[0:3], 0 offset:660
	buffer_load_dword v172, off, s[0:3], 0 offset:656
	buffer_load_dword v199, off, s[0:3], 0 offset:652
	buffer_load_dword v198, off, s[0:3], 0 offset:648
	buffer_load_dword v203, off, s[0:3], 0 offset:644
	buffer_load_dword v202, off, s[0:3], 0 offset:640
	buffer_load_dword v177, off, s[0:3], 0 offset:700
	buffer_load_dword v176, off, s[0:3], 0 offset:696
	buffer_load_dword v181, off, s[0:3], 0 offset:692
	buffer_load_dword v180, off, s[0:3], 0 offset:688
	buffer_load_dword v207, off, s[0:3], 0 offset:684
	buffer_load_dword v206, off, s[0:3], 0 offset:680
	buffer_load_dword v209, off, s[0:3], 0 offset:676
	buffer_load_dword v208, off, s[0:3], 0 offset:672
	buffer_load_dword v185, off, s[0:3], 0 offset:732
	buffer_load_dword v184, off, s[0:3], 0 offset:728
	buffer_load_dword v189, off, s[0:3], 0 offset:724
	buffer_load_dword v188, off, s[0:3], 0 offset:720
	buffer_load_dword v213, off, s[0:3], 0 offset:716
	buffer_load_dword v212, off, s[0:3], 0 offset:712
	buffer_load_dword v223, off, s[0:3], 0 offset:708
	buffer_load_dword v222, off, s[0:3], 0 offset:704
	buffer_load_dword v193, off, s[0:3], 0 offset:764
	buffer_load_dword v192, off, s[0:3], 0 offset:760
	buffer_load_dword v197, off, s[0:3], 0 offset:756
	buffer_load_dword v196, off, s[0:3], 0 offset:752
	buffer_load_dword v225, off, s[0:3], 0 offset:748
	buffer_load_dword v224, off, s[0:3], 0 offset:744
	buffer_load_dword v227, off, s[0:3], 0 offset:740
	buffer_load_dword v226, off, s[0:3], 0 offset:736
	buffer_load_dword v201, off, s[0:3], 0 offset:796
	buffer_load_dword v200, off, s[0:3], 0 offset:792
	buffer_load_dword v205, off, s[0:3], 0 offset:788
	buffer_load_dword v204, off, s[0:3], 0 offset:784
	buffer_load_dword v229, off, s[0:3], 0 offset:780
	buffer_load_dword v228, off, s[0:3], 0 offset:776
	buffer_load_dword v231, off, s[0:3], 0 offset:772
	buffer_load_dword v230, off, s[0:3], 0 offset:768
	s_waitcnt vmcnt(62) lgkmcnt(10)
	v_mul_f64 v[0:1], v[94:95], v[88:89]
	v_fmac_f64_e32 v[0:1], v[96:97], v[86:87]
	v_add_f64 v[0:1], v[0:1], 0
	v_mul_f64 v[88:89], v[96:97], v[88:89]
	s_waitcnt lgkmcnt(9)
	v_mul_f64 v[26:27], v[106:107], v[92:93]
	v_fmac_f64_e32 v[26:27], v[108:109], v[90:91]
	s_waitcnt lgkmcnt(8)
	v_mul_f64 v[28:29], v[114:115], v[98:99]
	v_add_f64 v[0:1], v[0:1], v[26:27]
	s_waitcnt lgkmcnt(6)
	v_mul_f64 v[32:33], v[248:249], v[110:111]
	v_fma_f64 v[210:211], v[94:95], v[86:87], -v[88:89]
	v_fmac_f64_e32 v[32:33], v[250:251], v[112:113]
	v_mul_f64 v[92:93], v[108:109], v[92:93]
	v_mul_f64 v[30:31], v[244:245], v[102:103]
	v_fma_f64 v[214:215], v[106:107], v[90:91], -v[92:93]
	s_waitcnt lgkmcnt(4)
	v_mul_f64 v[36:37], v[18:19], v[118:119]
	v_mul_f64 v[98:99], v[116:117], v[98:99]
	v_fmac_f64_e32 v[36:37], v[20:21], v[120:121]
	v_mul_f64 v[102:103], v[246:247], v[102:103]
	v_mul_f64 v[34:35], v[22:23], v[122:123]
	;; [unrolled: 1-line block ×3, first 2 shown]
	s_waitcnt lgkmcnt(2)
	v_mul_f64 v[40:41], v[10:11], v[124:125]
	v_fma_f64 v[248:249], v[248:249], v[112:113], -v[110:111]
	v_mul_f64 v[20:21], v[20:21], v[118:119]
	v_mul_f64 v[38:39], v[14:15], v[130:131]
	v_fma_f64 v[18:19], v[18:19], v[120:121], -v[20:21]
	s_waitcnt lgkmcnt(1)
	v_mul_f64 v[42:43], v[2:3], v[128:129]
	v_fmac_f64_e32 v[28:29], v[116:117], v[100:101]
	v_add_f64 v[0:1], v[0:1], v[28:29]
	v_fmac_f64_e32 v[30:31], v[246:247], v[104:105]
	v_add_f64 v[0:1], v[0:1], v[30:31]
	;; [unrolled: 2-line block ×3, first 2 shown]
	v_add_f64 v[0:1], v[0:1], v[34:35]
	ds_read_b128 v[26:29], v254 offset:1296
	v_fmac_f64_e32 v[38:39], v[16:17], v[132:133]
	v_add_f64 v[0:1], v[0:1], v[36:37]
	v_fmac_f64_e32 v[40:41], v[12:13], v[126:127]
	v_add_f64 v[0:1], v[0:1], v[38:39]
	v_add_f64 v[0:1], v[0:1], v[40:41]
	v_fmac_f64_e32 v[42:43], v[4:5], v[144:145]
	s_waitcnt lgkmcnt(1)
	v_mul_f64 v[30:31], v[6:7], v[136:137]
	v_add_f64 v[0:1], v[0:1], v[42:43]
	v_fmac_f64_e32 v[30:31], v[8:9], v[138:139]
	v_add_f64 v[0:1], v[0:1], v[30:31]
	ds_read_b128 v[30:33], v254 offset:1312
	s_waitcnt lgkmcnt(1)
	v_mul_f64 v[34:35], v[26:27], v[146:147]
	v_fmac_f64_e32 v[34:35], v[28:29], v[162:163]
	v_add_f64 v[0:1], v[0:1], v[34:35]
	ds_read_b128 v[34:37], v254 offset:1328
	s_waitcnt lgkmcnt(1)
	v_mul_f64 v[38:39], v[30:31], v[140:141]
	;; [unrolled: 5-line block ×4, first 2 shown]
	v_fmac_f64_e32 v[46:47], v[40:41], v[150:151]
	v_add_f64 v[0:1], v[0:1], v[46:47]
	ds_read_b128 v[46:49], v254 offset:1376
	s_waitcnt vmcnt(58) lgkmcnt(1)
	v_mul_f64 v[50:51], v[42:43], v[174:175]
	s_waitcnt vmcnt(56)
	v_fmac_f64_e32 v[50:51], v[44:45], v[178:179]
	v_add_f64 v[0:1], v[0:1], v[50:51]
	ds_read_b128 v[50:53], v254 offset:1392
	buffer_load_dword v232, off, s[0:3], 0 offset:824
	buffer_load_dword v237, off, s[0:3], 0 offset:812
	;; [unrolled: 1-line block ×8, first 2 shown]
	s_waitcnt lgkmcnt(1)
	v_mul_f64 v[54:55], v[46:47], v[152:153]
	v_fmac_f64_e32 v[54:55], v[48:49], v[154:155]
	v_add_f64 v[0:1], v[0:1], v[54:55]
	ds_read_b128 v[54:57], v254 offset:1408
	buffer_load_dword v241, off, s[0:3], 0 offset:844
	buffer_load_dword v240, off, s[0:3], 0 offset:840
	buffer_load_dword v243, off, s[0:3], 0 offset:836
	buffer_load_dword v242, off, s[0:3], 0 offset:832
	s_waitcnt vmcnt(62) lgkmcnt(1)
	v_mul_f64 v[58:59], v[50:51], v[182:183]
	s_waitcnt vmcnt(60)
	v_fmac_f64_e32 v[58:59], v[52:53], v[186:187]
	v_add_f64 v[0:1], v[0:1], v[58:59]
	ds_read_b128 v[58:61], v254 offset:1424
	s_waitcnt lgkmcnt(1)
	v_mul_f64 v[62:63], v[54:55], v[156:157]
	v_fmac_f64_e32 v[62:63], v[56:57], v[158:159]
	v_add_f64 v[0:1], v[0:1], v[62:63]
	ds_read_b128 v[62:65], v254 offset:1440
	s_waitcnt vmcnt(54) lgkmcnt(1)
	v_mul_f64 v[66:67], v[58:59], v[190:191]
	s_waitcnt vmcnt(52)
	v_fmac_f64_e32 v[66:67], v[60:61], v[194:195]
	v_add_f64 v[0:1], v[0:1], v[66:67]
	ds_read_b128 v[66:69], v254 offset:1456
	s_waitcnt lgkmcnt(1)
	v_mul_f64 v[70:71], v[62:63], v[160:161]
	v_fmac_f64_e32 v[70:71], v[64:65], v[164:165]
	v_add_f64 v[0:1], v[0:1], v[70:71]
	ds_read_b128 v[70:73], v254 offset:1472
	s_waitcnt vmcnt(46) lgkmcnt(1)
	v_mul_f64 v[74:75], v[66:67], v[198:199]
	s_waitcnt vmcnt(44)
	v_fmac_f64_e32 v[74:75], v[68:69], v[202:203]
	v_add_f64 v[0:1], v[0:1], v[74:75]
	ds_read_b128 v[74:77], v254 offset:1488
	ds_read_b128 v[78:81], v254 offset:1504
	s_waitcnt lgkmcnt(2)
	v_mul_f64 v[82:83], v[70:71], v[168:169]
	v_fmac_f64_e32 v[82:83], v[72:73], v[172:173]
	v_add_f64 v[0:1], v[0:1], v[82:83]
	s_waitcnt vmcnt(38) lgkmcnt(1)
	v_mul_f64 v[82:83], v[74:75], v[206:207]
	s_waitcnt vmcnt(36)
	v_fmac_f64_e32 v[82:83], v[76:77], v[208:209]
	v_add_f64 v[0:1], v[0:1], v[82:83]
	s_waitcnt lgkmcnt(0)
	v_mul_f64 v[82:83], v[78:79], v[176:177]
	v_fmac_f64_e32 v[82:83], v[80:81], v[180:181]
	v_add_f64 v[0:1], v[0:1], v[82:83]
	ds_read_b128 v[82:85], v254 offset:1520
	ds_read_b128 v[86:89], v254 offset:1536
	;; [unrolled: 1-line block ×3, first 2 shown]
	v_fma_f64 v[216:217], v[114:115], v[100:101], -v[98:99]
	ds_read_b128 v[98:101], v254 offset:1584
	s_waitcnt vmcnt(30) lgkmcnt(3)
	v_mul_f64 v[94:95], v[82:83], v[212:213]
	s_waitcnt vmcnt(28)
	v_fmac_f64_e32 v[94:95], v[84:85], v[222:223]
	v_add_f64 v[0:1], v[0:1], v[94:95]
	s_waitcnt lgkmcnt(2)
	v_mul_f64 v[94:95], v[86:87], v[184:185]
	v_fmac_f64_e32 v[94:95], v[88:89], v[188:189]
	v_add_f64 v[0:1], v[0:1], v[94:95]
	ds_read_b128 v[94:97], v254 offset:1568
	s_waitcnt vmcnt(22) lgkmcnt(2)
	v_mul_f64 v[106:107], v[90:91], v[224:225]
	s_waitcnt vmcnt(20)
	v_fmac_f64_e32 v[106:107], v[92:93], v[226:227]
	v_add_f64 v[0:1], v[0:1], v[106:107]
	v_fma_f64 v[246:247], v[244:245], v[104:105], -v[102:103]
	s_waitcnt lgkmcnt(0)
	v_mul_f64 v[106:107], v[94:95], v[192:193]
	v_fmac_f64_e32 v[106:107], v[96:97], v[196:197]
	v_add_f64 v[0:1], v[0:1], v[106:107]
	ds_read_b128 v[106:109], v254 offset:1600
	ds_read_b128 v[102:105], v254 offset:1616
	;; [unrolled: 1-line block ×3, first 2 shown]
	s_waitcnt vmcnt(14)
	v_mul_f64 v[114:115], v[98:99], v[228:229]
	s_waitcnt vmcnt(12)
	v_fmac_f64_e32 v[114:115], v[100:101], v[230:231]
	v_add_f64 v[0:1], v[0:1], v[114:115]
	s_waitcnt lgkmcnt(2)
	v_mul_f64 v[114:115], v[106:107], v[200:201]
	v_fmac_f64_e32 v[114:115], v[108:109], v[204:205]
	v_add_f64 v[0:1], v[0:1], v[114:115]
	v_mul_f64 v[24:25], v[24:25], v[122:123]
	v_fma_f64 v[22:23], v[22:23], v[134:135], -v[24:25]
	v_mul_f64 v[16:17], v[16:17], v[130:131]
	v_fma_f64 v[14:15], v[14:15], v[132:133], -v[16:17]
	;; [unrolled: 2-line block ×4, first 2 shown]
	s_waitcnt vmcnt(9) lgkmcnt(1)
	v_mul_f64 v[114:115], v[102:103], v[236:237]
	s_waitcnt vmcnt(7)
	v_fmac_f64_e32 v[114:115], v[104:105], v[238:239]
	v_add_f64 v[0:1], v[0:1], v[114:115]
	s_waitcnt vmcnt(5) lgkmcnt(0)
	v_mul_f64 v[114:115], v[110:111], v[232:233]
	s_waitcnt vmcnt(4)
	v_fmac_f64_e32 v[114:115], v[112:113], v[234:235]
	v_add_f64 v[0:1], v[0:1], v[114:115]
	ds_read_b128 v[114:117], v254 offset:1648
	buffer_load_dword v254, off, s[0:3], 0 offset:288
	buffer_load_dword v255, off, s[0:3], 0 offset:292
	;; [unrolled: 1-line block ×4, first 2 shown]
	s_waitcnt vmcnt(6) lgkmcnt(0)
	v_mul_f64 v[218:219], v[114:115], v[240:241]
	s_waitcnt vmcnt(4)
	v_fmac_f64_e32 v[218:219], v[116:117], v[242:243]
	v_add_f64 v[244:245], v[0:1], v[218:219]
	v_add_f64 v[0:1], v[210:211], 0
	;; [unrolled: 1-line block ×11, first 2 shown]
	v_mul_f64 v[2:3], v[8:9], v[136:137]
	v_fma_f64 v[2:3], v[6:7], v[138:139], -v[2:3]
	v_add_f64 v[0:1], v[0:1], v[2:3]
	v_mul_f64 v[2:3], v[28:29], v[146:147]
	v_fma_f64 v[2:3], v[26:27], v[162:163], -v[2:3]
	v_add_f64 v[0:1], v[0:1], v[2:3]
	;; [unrolled: 3-line block ×24, first 2 shown]
	s_waitcnt vmcnt(2)
	v_add_f64 v[0:1], v[254:255], -v[0:1]
	v_accvgpr_read_b32 v255, a155
	v_cmp_lt_u32_e32 vcc, 16, v255
	s_waitcnt vmcnt(0)
	v_add_f64 v[2:3], v[252:253], -v[244:245]
	buffer_store_dword v1, off, s[0:3], 0 offset:292
	buffer_store_dword v0, off, s[0:3], 0 offset:288
	;; [unrolled: 1-line block ×4, first 2 shown]
	s_and_saveexec_b64 s[4:5], vcc
	s_cbranch_execz .LBB115_293
; %bb.292:
	v_accvgpr_read_b32 v0, a139
	buffer_load_dword v2, v0, s[0:3], 0 offen
	buffer_load_dword v3, v0, s[0:3], 0 offen offset:4
	buffer_load_dword v4, v0, s[0:3], 0 offen offset:8
	;; [unrolled: 1-line block ×3, first 2 shown]
	v_mov_b32_e32 v0, 0
	v_accvgpr_read_b32 v1, a156
	buffer_store_dword v0, off, s[0:3], 0 offset:272
	buffer_store_dword v0, off, s[0:3], 0 offset:276
	;; [unrolled: 1-line block ×4, first 2 shown]
	s_waitcnt vmcnt(4)
	ds_write_b128 v1, v[2:5]
.LBB115_293:
	s_or_b64 exec, exec, s[4:5]
	s_waitcnt lgkmcnt(0)
	; wave barrier
	s_waitcnt lgkmcnt(0)
	buffer_load_dword v82, off, s[0:3], 0 offset:288
	buffer_load_dword v83, off, s[0:3], 0 offset:292
	;; [unrolled: 1-line block ×54, first 2 shown]
	v_mov_b32_e32 v254, 0
	ds_read_b128 v[90:93], v254 offset:1104
	ds_read_b128 v[106:109], v254 offset:1120
	;; [unrolled: 1-line block ×9, first 2 shown]
	buffer_load_dword v149, off, s[0:3], 0 offset:516
	buffer_load_dword v148, off, s[0:3], 0 offset:512
	;; [unrolled: 1-line block ×62, first 2 shown]
	v_cmp_lt_u32_e32 vcc, 15, v255
	s_waitcnt vmcnt(62) lgkmcnt(8)
	v_mul_f64 v[0:1], v[90:91], v[84:85]
	v_fmac_f64_e32 v[0:1], v[92:93], v[82:83]
	v_add_f64 v[0:1], v[0:1], 0
	v_mul_f64 v[84:85], v[92:93], v[84:85]
	s_waitcnt lgkmcnt(7)
	v_mul_f64 v[14:15], v[106:107], v[88:89]
	v_fmac_f64_e32 v[14:15], v[108:109], v[86:87]
	s_waitcnt lgkmcnt(6)
	v_mul_f64 v[16:17], v[114:115], v[94:95]
	v_add_f64 v[0:1], v[0:1], v[14:15]
	s_waitcnt lgkmcnt(4)
	v_mul_f64 v[20:21], v[246:247], v[102:103]
	v_fma_f64 v[210:211], v[90:91], v[82:83], -v[84:85]
	v_fmac_f64_e32 v[20:21], v[248:249], v[104:105]
	v_mul_f64 v[88:89], v[108:109], v[88:89]
	v_mul_f64 v[18:19], v[242:243], v[98:99]
	v_fma_f64 v[214:215], v[106:107], v[86:87], -v[88:89]
	s_waitcnt lgkmcnt(2)
	v_mul_f64 v[24:25], v[10:11], v[118:119]
	v_mul_f64 v[94:95], v[116:117], v[94:95]
	v_fmac_f64_e32 v[24:25], v[12:13], v[120:121]
	v_mul_f64 v[98:99], v[244:245], v[98:99]
	v_mul_f64 v[22:23], v[250:251], v[110:111]
	;; [unrolled: 1-line block ×3, first 2 shown]
	s_waitcnt lgkmcnt(1)
	v_mul_f64 v[26:27], v[6:7], v[122:123]
	v_mul_f64 v[110:111], v[252:253], v[110:111]
	v_fmac_f64_e32 v[16:17], v[116:117], v[96:97]
	v_add_f64 v[0:1], v[0:1], v[16:17]
	v_fmac_f64_e32 v[18:19], v[244:245], v[100:101]
	v_add_f64 v[0:1], v[0:1], v[18:19]
	ds_read_b128 v[14:17], v254 offset:1248
	v_fmac_f64_e32 v[22:23], v[252:253], v[112:113]
	v_add_f64 v[0:1], v[0:1], v[20:21]
	v_add_f64 v[0:1], v[0:1], v[22:23]
	v_fmac_f64_e32 v[26:27], v[8:9], v[126:127]
	v_add_f64 v[0:1], v[0:1], v[24:25]
	s_waitcnt lgkmcnt(1)
	v_mul_f64 v[18:19], v[2:3], v[124:125]
	v_add_f64 v[0:1], v[0:1], v[26:27]
	v_fmac_f64_e32 v[18:19], v[4:5], v[128:129]
	v_add_f64 v[0:1], v[0:1], v[18:19]
	ds_read_b128 v[18:21], v254 offset:1264
	s_waitcnt lgkmcnt(1)
	v_mul_f64 v[22:23], v[14:15], v[134:135]
	v_fmac_f64_e32 v[22:23], v[16:17], v[136:137]
	v_add_f64 v[0:1], v[0:1], v[22:23]
	ds_read_b128 v[22:25], v254 offset:1280
	s_waitcnt lgkmcnt(1)
	v_mul_f64 v[26:27], v[18:19], v[130:131]
	;; [unrolled: 5-line block ×4, first 2 shown]
	v_fmac_f64_e32 v[34:35], v[28:29], v[140:141]
	v_add_f64 v[0:1], v[0:1], v[34:35]
	ds_read_b128 v[34:37], v254 offset:1328
	s_waitcnt vmcnt(58) lgkmcnt(1)
	v_mul_f64 v[38:39], v[30:31], v[162:163]
	s_waitcnt vmcnt(56)
	v_fmac_f64_e32 v[38:39], v[32:33], v[166:167]
	v_add_f64 v[0:1], v[0:1], v[38:39]
	ds_read_b128 v[38:41], v254 offset:1344
	s_waitcnt lgkmcnt(1)
	v_mul_f64 v[42:43], v[34:35], v[142:143]
	v_fmac_f64_e32 v[42:43], v[36:37], v[148:149]
	v_add_f64 v[0:1], v[0:1], v[42:43]
	ds_read_b128 v[42:45], v254 offset:1360
	s_waitcnt vmcnt(50) lgkmcnt(1)
	v_mul_f64 v[46:47], v[38:39], v[170:171]
	s_waitcnt vmcnt(48)
	v_fmac_f64_e32 v[46:47], v[40:41], v[174:175]
	v_add_f64 v[0:1], v[0:1], v[46:47]
	ds_read_b128 v[46:49], v254 offset:1376
	buffer_load_dword v213, off, s[0:3], 0 offset:764
	buffer_load_dword v212, off, s[0:3], 0 offset:760
	;; [unrolled: 1-line block ×8, first 2 shown]
	s_waitcnt lgkmcnt(1)
	v_mul_f64 v[50:51], v[42:43], v[150:151]
	v_fmac_f64_e32 v[50:51], v[44:45], v[152:153]
	v_add_f64 v[0:1], v[0:1], v[50:51]
	ds_read_b128 v[50:53], v254 offset:1392
	s_waitcnt vmcnt(50) lgkmcnt(1)
	v_mul_f64 v[54:55], v[46:47], v[178:179]
	s_waitcnt vmcnt(48)
	v_fmac_f64_e32 v[54:55], v[48:49], v[182:183]
	buffer_load_dword v225, off, s[0:3], 0 offset:812
	buffer_load_dword v231, off, s[0:3], 0 offset:796
	;; [unrolled: 1-line block ×12, first 2 shown]
	v_add_f64 v[0:1], v[0:1], v[54:55]
	ds_read_b128 v[54:57], v254 offset:1408
	s_waitcnt lgkmcnt(1)
	v_mul_f64 v[58:59], v[50:51], v[154:155]
	v_fmac_f64_e32 v[58:59], v[52:53], v[156:157]
	v_add_f64 v[0:1], v[0:1], v[58:59]
	ds_read_b128 v[58:61], v254 offset:1424
	s_waitcnt vmcnt(54) lgkmcnt(1)
	v_mul_f64 v[62:63], v[54:55], v[186:187]
	s_waitcnt vmcnt(52)
	v_fmac_f64_e32 v[62:63], v[56:57], v[190:191]
	v_add_f64 v[0:1], v[0:1], v[62:63]
	ds_read_b128 v[62:65], v254 offset:1440
	s_waitcnt lgkmcnt(1)
	v_mul_f64 v[66:67], v[58:59], v[158:159]
	v_fmac_f64_e32 v[66:67], v[60:61], v[160:161]
	v_add_f64 v[0:1], v[0:1], v[66:67]
	ds_read_b128 v[66:69], v254 offset:1456
	s_waitcnt vmcnt(46) lgkmcnt(1)
	v_mul_f64 v[70:71], v[62:63], v[194:195]
	s_waitcnt vmcnt(44)
	v_fmac_f64_e32 v[70:71], v[64:65], v[196:197]
	v_add_f64 v[0:1], v[0:1], v[70:71]
	ds_read_b128 v[70:73], v254 offset:1472
	ds_read_b128 v[74:77], v254 offset:1488
	s_waitcnt lgkmcnt(2)
	v_mul_f64 v[78:79], v[66:67], v[164:165]
	v_fmac_f64_e32 v[78:79], v[68:69], v[168:169]
	v_add_f64 v[0:1], v[0:1], v[78:79]
	s_waitcnt vmcnt(38) lgkmcnt(1)
	v_mul_f64 v[78:79], v[70:71], v[198:199]
	s_waitcnt vmcnt(36)
	v_fmac_f64_e32 v[78:79], v[72:73], v[200:201]
	v_add_f64 v[0:1], v[0:1], v[78:79]
	s_waitcnt lgkmcnt(0)
	v_mul_f64 v[78:79], v[74:75], v[172:173]
	v_fmac_f64_e32 v[78:79], v[76:77], v[176:177]
	v_add_f64 v[0:1], v[0:1], v[78:79]
	ds_read_b128 v[78:81], v254 offset:1504
	ds_read_b128 v[82:85], v254 offset:1520
	;; [unrolled: 1-line block ×3, first 2 shown]
	v_fma_f64 v[216:217], v[114:115], v[96:97], -v[94:95]
	ds_read_b128 v[94:97], v254 offset:1568
	s_waitcnt vmcnt(30) lgkmcnt(3)
	v_mul_f64 v[90:91], v[78:79], v[202:203]
	s_waitcnt vmcnt(28)
	v_fmac_f64_e32 v[90:91], v[80:81], v[204:205]
	v_add_f64 v[0:1], v[0:1], v[90:91]
	s_waitcnt lgkmcnt(2)
	v_mul_f64 v[90:91], v[82:83], v[180:181]
	v_fmac_f64_e32 v[90:91], v[84:85], v[184:185]
	v_add_f64 v[0:1], v[0:1], v[90:91]
	s_waitcnt vmcnt(22) lgkmcnt(1)
	v_mul_f64 v[90:91], v[86:87], v[206:207]
	s_waitcnt vmcnt(20)
	v_fmac_f64_e32 v[90:91], v[88:89], v[208:209]
	v_add_f64 v[0:1], v[0:1], v[90:91]
	ds_read_b128 v[90:93], v254 offset:1552
	v_fma_f64 v[218:219], v[242:243], v[100:101], -v[98:99]
	ds_read_b128 v[98:101], v254 offset:1584
	buffer_load_dword v240, off, s[0:3], 0 offset:840
	v_fma_f64 v[220:221], v[246:247], v[104:105], -v[102:103]
	s_waitcnt lgkmcnt(1)
	v_mul_f64 v[106:107], v[90:91], v[188:189]
	v_fmac_f64_e32 v[106:107], v[92:93], v[192:193]
	v_add_f64 v[0:1], v[0:1], v[106:107]
	ds_read_b128 v[102:105], v254 offset:1600
	v_fma_f64 v[250:251], v[250:251], v[112:113], -v[110:111]
	ds_read_b128 v[110:113], v254 offset:1632
	v_mul_f64 v[12:13], v[12:13], v[118:119]
	v_fma_f64 v[10:11], v[10:11], v[120:121], -v[12:13]
	v_mul_f64 v[8:9], v[8:9], v[122:123]
	v_fma_f64 v[6:7], v[6:7], v[126:127], -v[8:9]
	;; [unrolled: 2-line block ×3, first 2 shown]
	s_waitcnt vmcnt(19)
	v_mul_f64 v[106:107], v[94:95], v[212:213]
	s_waitcnt vmcnt(17)
	v_fmac_f64_e32 v[106:107], v[96:97], v[222:223]
	v_add_f64 v[0:1], v[0:1], v[106:107]
	s_waitcnt vmcnt(15) lgkmcnt(2)
	v_mul_f64 v[106:107], v[98:99], v[226:227]
	s_waitcnt vmcnt(13)
	v_fmac_f64_e32 v[106:107], v[100:101], v[228:229]
	v_add_f64 v[0:1], v[0:1], v[106:107]
	ds_read_b128 v[106:109], v254 offset:1616
	buffer_load_dword v244, off, s[0:3], 0 offset:832
	buffer_load_dword v241, off, s[0:3], 0 offset:844
	;; [unrolled: 1-line block ×3, first 2 shown]
	s_waitcnt vmcnt(13) lgkmcnt(2)
	v_mul_f64 v[114:115], v[102:103], v[230:231]
	s_waitcnt vmcnt(11)
	v_fmac_f64_e32 v[114:115], v[104:105], v[236:237]
	v_add_f64 v[0:1], v[0:1], v[114:115]
	s_waitcnt vmcnt(10) lgkmcnt(0)
	v_mul_f64 v[114:115], v[106:107], v[224:225]
	s_waitcnt vmcnt(8)
	v_fmac_f64_e32 v[114:115], v[108:109], v[234:235]
	v_add_f64 v[0:1], v[0:1], v[114:115]
	s_waitcnt vmcnt(6)
	v_mul_f64 v[114:115], v[110:111], v[232:233]
	s_waitcnt vmcnt(4)
	v_fmac_f64_e32 v[114:115], v[112:113], v[238:239]
	v_add_f64 v[0:1], v[0:1], v[114:115]
	ds_read_b128 v[114:117], v254 offset:1648
	buffer_load_dword v248, off, s[0:3], 0 offset:272
	buffer_load_dword v249, off, s[0:3], 0 offset:276
	;; [unrolled: 1-line block ×4, first 2 shown]
	s_waitcnt vmcnt(5) lgkmcnt(0)
	v_mul_f64 v[242:243], v[114:115], v[240:241]
	s_waitcnt vmcnt(4)
	v_fmac_f64_e32 v[242:243], v[116:117], v[244:245]
	v_add_f64 v[242:243], v[0:1], v[242:243]
	v_add_f64 v[0:1], v[210:211], 0
	;; [unrolled: 1-line block ×10, first 2 shown]
	v_mul_f64 v[2:3], v[16:17], v[134:135]
	v_fma_f64 v[2:3], v[14:15], v[136:137], -v[2:3]
	v_add_f64 v[0:1], v[0:1], v[2:3]
	v_mul_f64 v[2:3], v[20:21], v[130:131]
	v_fma_f64 v[2:3], v[18:19], v[132:133], -v[2:3]
	v_add_f64 v[0:1], v[0:1], v[2:3]
	;; [unrolled: 3-line block ×26, first 2 shown]
	s_waitcnt vmcnt(2)
	v_add_f64 v[0:1], v[248:249], -v[0:1]
	s_waitcnt vmcnt(0)
	v_add_f64 v[2:3], v[246:247], -v[242:243]
	buffer_store_dword v1, off, s[0:3], 0 offset:276
	buffer_store_dword v0, off, s[0:3], 0 offset:272
	;; [unrolled: 1-line block ×4, first 2 shown]
	s_and_saveexec_b64 s[4:5], vcc
	s_cbranch_execz .LBB115_295
; %bb.294:
	v_accvgpr_read_b32 v0, a140
	buffer_load_dword v2, v0, s[0:3], 0 offen
	buffer_load_dword v3, v0, s[0:3], 0 offen offset:4
	buffer_load_dword v4, v0, s[0:3], 0 offen offset:8
	;; [unrolled: 1-line block ×3, first 2 shown]
	v_accvgpr_read_b32 v0, a156
	buffer_store_dword v254, off, s[0:3], 0 offset:256
	buffer_store_dword v254, off, s[0:3], 0 offset:260
	;; [unrolled: 1-line block ×4, first 2 shown]
	s_waitcnt vmcnt(4)
	ds_write_b128 v0, v[2:5]
.LBB115_295:
	s_or_b64 exec, exec, s[4:5]
	s_waitcnt lgkmcnt(0)
	; wave barrier
	s_waitcnt lgkmcnt(0)
	buffer_load_dword v84, off, s[0:3], 0 offset:272
	buffer_load_dword v85, off, s[0:3], 0 offset:276
	buffer_load_dword v106, off, s[0:3], 0 offset:280
	buffer_load_dword v107, off, s[0:3], 0 offset:284
	buffer_load_dword v82, off, s[0:3], 0 offset:288
	buffer_load_dword v83, off, s[0:3], 0 offset:292
	buffer_load_dword v96, off, s[0:3], 0 offset:296
	buffer_load_dword v97, off, s[0:3], 0 offset:300
	buffer_load_dword v94, off, s[0:3], 0 offset:312
	buffer_load_dword v95, off, s[0:3], 0 offset:316
	buffer_load_dword v109, off, s[0:3], 0 offset:348
	buffer_load_dword v108, off, s[0:3], 0 offset:344
	buffer_load_dword v115, off, s[0:3], 0 offset:340
	buffer_load_dword v114, off, s[0:3], 0 offset:336
	buffer_load_dword v117, off, s[0:3], 0 offset:332
	buffer_load_dword v116, off, s[0:3], 0 offset:328
	buffer_load_dword v241, off, s[0:3], 0 offset:380
	buffer_load_dword v240, off, s[0:3], 0 offset:376
	buffer_load_dword v242, off, s[0:3], 0 offset:368
	buffer_load_dword v245, off, s[0:3], 0 offset:364
	buffer_load_dword v244, off, s[0:3], 0 offset:360
	buffer_load_dword v119, off, s[0:3], 0 offset:396
	buffer_load_dword v118, off, s[0:3], 0 offset:392
	buffer_load_dword v250, off, s[0:3], 0 offset:304
	buffer_load_dword v251, off, s[0:3], 0 offset:308
	buffer_load_dword v249, off, s[0:3], 0 offset:324
	buffer_load_dword v248, off, s[0:3], 0 offset:320
	buffer_load_dword v247, off, s[0:3], 0 offset:356
	buffer_load_dword v246, off, s[0:3], 0 offset:352
	buffer_load_dword v243, off, s[0:3], 0 offset:372
	buffer_load_dword v120, off, s[0:3], 0 offset:408
	buffer_load_dword v122, off, s[0:3], 0 offset:400
	buffer_load_dword v123, off, s[0:3], 0 offset:404
	buffer_load_dword v121, off, s[0:3], 0 offset:412
	ds_read_b128 v[74:77], v254 offset:1088
	ds_read_b128 v[78:81], v254 offset:1104
	;; [unrolled: 1-line block ×8, first 2 shown]
	buffer_load_dword v125, off, s[0:3], 0 offset:388
	buffer_load_dword v124, off, s[0:3], 0 offset:384
	ds_read_b128 v[6:9], v254 offset:1216
	buffer_load_dword v127, off, s[0:3], 0 offset:444
	buffer_load_dword v126, off, s[0:3], 0 offset:440
	;; [unrolled: 1-line block ×80, first 2 shown]
	s_waitcnt vmcnt(62) lgkmcnt(8)
	v_mul_f64 v[0:1], v[74:75], v[106:107]
	v_fmac_f64_e32 v[0:1], v[76:77], v[84:85]
	v_add_f64 v[0:1], v[0:1], 0
	v_mul_f64 v[76:77], v[76:77], v[106:107]
	s_waitcnt lgkmcnt(7)
	v_mul_f64 v[10:11], v[78:79], v[96:97]
	v_fmac_f64_e32 v[10:11], v[80:81], v[82:83]
	s_waitcnt lgkmcnt(6)
	v_mul_f64 v[12:13], v[86:87], v[94:95]
	v_add_f64 v[0:1], v[0:1], v[10:11]
	s_waitcnt lgkmcnt(4)
	v_mul_f64 v[16:17], v[98:99], v[108:109]
	v_fma_f64 v[210:211], v[74:75], v[84:85], -v[76:77]
	v_fmac_f64_e32 v[16:17], v[100:101], v[114:115]
	v_mul_f64 v[80:81], v[80:81], v[96:97]
	v_mul_f64 v[14:15], v[90:91], v[116:117]
	v_fma_f64 v[214:215], v[78:79], v[82:83], -v[80:81]
	s_waitcnt lgkmcnt(2)
	v_mul_f64 v[20:21], v[110:111], v[240:241]
	v_mul_f64 v[100:101], v[100:101], v[108:109]
	v_fma_f64 v[220:221], v[98:99], v[114:115], -v[100:101]
	v_mul_f64 v[18:19], v[102:103], v[244:245]
	s_waitcnt lgkmcnt(1)
	v_mul_f64 v[22:23], v[2:3], v[118:119]
	v_fmac_f64_e32 v[12:13], v[88:89], v[250:251]
	v_add_f64 v[0:1], v[0:1], v[12:13]
	v_fmac_f64_e32 v[14:15], v[92:93], v[248:249]
	v_add_f64 v[0:1], v[0:1], v[14:15]
	;; [unrolled: 2-line block ×4, first 2 shown]
	v_add_f64 v[0:1], v[0:1], v[20:21]
	s_waitcnt lgkmcnt(0)
	v_mul_f64 v[14:15], v[6:7], v[120:121]
	ds_read_b128 v[10:13], v254 offset:1232
	v_fmac_f64_e32 v[22:23], v[4:5], v[124:125]
	v_add_f64 v[0:1], v[0:1], v[22:23]
	v_fmac_f64_e32 v[14:15], v[8:9], v[122:123]
	v_add_f64 v[0:1], v[0:1], v[14:15]
	ds_read_b128 v[14:17], v254 offset:1248
	s_waitcnt lgkmcnt(1)
	v_mul_f64 v[18:19], v[10:11], v[130:131]
	v_fmac_f64_e32 v[18:19], v[12:13], v[132:133]
	v_add_f64 v[0:1], v[0:1], v[18:19]
	ds_read_b128 v[18:21], v254 offset:1264
	s_waitcnt lgkmcnt(1)
	v_mul_f64 v[22:23], v[14:15], v[126:127]
	;; [unrolled: 5-line block ×4, first 2 shown]
	v_fmac_f64_e32 v[30:31], v[24:25], v[136:137]
	v_add_f64 v[0:1], v[0:1], v[30:31]
	ds_read_b128 v[30:33], v254 offset:1312
	s_waitcnt vmcnt(58) lgkmcnt(1)
	v_mul_f64 v[34:35], v[26:27], v[158:159]
	s_waitcnt vmcnt(56)
	v_fmac_f64_e32 v[34:35], v[28:29], v[162:163]
	v_add_f64 v[0:1], v[0:1], v[34:35]
	ds_read_b128 v[34:37], v254 offset:1328
	s_waitcnt lgkmcnt(1)
	v_mul_f64 v[38:39], v[30:31], v[138:139]
	v_fmac_f64_e32 v[38:39], v[32:33], v[140:141]
	v_add_f64 v[0:1], v[0:1], v[38:39]
	ds_read_b128 v[38:41], v254 offset:1344
	s_waitcnt vmcnt(50) lgkmcnt(1)
	v_mul_f64 v[42:43], v[34:35], v[166:167]
	s_waitcnt vmcnt(48)
	v_fmac_f64_e32 v[42:43], v[36:37], v[170:171]
	v_add_f64 v[0:1], v[0:1], v[42:43]
	ds_read_b128 v[42:45], v254 offset:1360
	s_waitcnt lgkmcnt(1)
	v_mul_f64 v[46:47], v[38:39], v[146:147]
	v_fmac_f64_e32 v[46:47], v[40:41], v[148:149]
	v_add_f64 v[0:1], v[0:1], v[46:47]
	ds_read_b128 v[46:49], v254 offset:1376
	buffer_load_dword v207, off, s[0:3], 0 offset:764
	buffer_load_dword v209, off, s[0:3], 0 offset:748
	;; [unrolled: 1-line block ×12, first 2 shown]
	s_waitcnt vmcnt(54) lgkmcnt(1)
	v_mul_f64 v[50:51], v[42:43], v[174:175]
	s_waitcnt vmcnt(52)
	v_fmac_f64_e32 v[50:51], v[44:45], v[178:179]
	v_add_f64 v[0:1], v[0:1], v[50:51]
	ds_read_b128 v[50:53], v254 offset:1392
	s_waitcnt lgkmcnt(1)
	v_mul_f64 v[54:55], v[46:47], v[150:151]
	v_fmac_f64_e32 v[54:55], v[48:49], v[152:153]
	buffer_load_dword v231, off, s[0:3], 0 offset:796
	buffer_load_dword v230, off, s[0:3], 0 offset:792
	;; [unrolled: 1-line block ×12, first 2 shown]
	v_add_f64 v[0:1], v[0:1], v[54:55]
	ds_read_b128 v[54:57], v254 offset:1408
	s_waitcnt vmcnt(58) lgkmcnt(1)
	v_mul_f64 v[58:59], v[50:51], v[182:183]
	s_waitcnt vmcnt(56)
	v_fmac_f64_e32 v[58:59], v[52:53], v[186:187]
	v_add_f64 v[0:1], v[0:1], v[58:59]
	ds_read_b128 v[58:61], v254 offset:1424
	s_waitcnt lgkmcnt(1)
	v_mul_f64 v[62:63], v[54:55], v[154:155]
	v_fmac_f64_e32 v[62:63], v[56:57], v[156:157]
	v_add_f64 v[0:1], v[0:1], v[62:63]
	ds_read_b128 v[62:65], v254 offset:1440
	ds_read_b128 v[66:69], v254 offset:1456
	s_waitcnt vmcnt(50) lgkmcnt(2)
	v_mul_f64 v[70:71], v[58:59], v[190:191]
	s_waitcnt vmcnt(48)
	v_fmac_f64_e32 v[70:71], v[60:61], v[192:193]
	v_add_f64 v[0:1], v[0:1], v[70:71]
	s_waitcnt lgkmcnt(1)
	v_mul_f64 v[70:71], v[62:63], v[160:161]
	v_fmac_f64_e32 v[70:71], v[64:65], v[164:165]
	v_add_f64 v[0:1], v[0:1], v[70:71]
	s_waitcnt vmcnt(42) lgkmcnt(0)
	v_mul_f64 v[70:71], v[66:67], v[194:195]
	s_waitcnt vmcnt(40)
	v_fmac_f64_e32 v[70:71], v[68:69], v[196:197]
	v_add_f64 v[0:1], v[0:1], v[70:71]
	ds_read_b128 v[70:73], v254 offset:1472
	ds_read_b128 v[74:77], v254 offset:1488
	;; [unrolled: 1-line block ×3, first 2 shown]
	v_mul_f64 v[88:89], v[88:89], v[94:95]
	v_fma_f64 v[216:217], v[86:87], v[250:251], -v[88:89]
	ds_read_b128 v[86:89], v254 offset:1536
	s_waitcnt lgkmcnt(3)
	v_mul_f64 v[84:85], v[70:71], v[168:169]
	v_fmac_f64_e32 v[84:85], v[72:73], v[172:173]
	s_waitcnt vmcnt(34) lgkmcnt(2)
	v_mul_f64 v[82:83], v[74:75], v[198:199]
	v_add_f64 v[0:1], v[0:1], v[84:85]
	s_waitcnt vmcnt(32)
	v_fmac_f64_e32 v[82:83], v[76:77], v[200:201]
	v_add_f64 v[0:1], v[0:1], v[82:83]
	s_waitcnt lgkmcnt(1)
	v_mul_f64 v[82:83], v[78:79], v[176:177]
	v_fmac_f64_e32 v[82:83], v[80:81], v[180:181]
	v_add_f64 v[0:1], v[0:1], v[82:83]
	ds_read_b128 v[82:85], v254 offset:1520
	v_mul_f64 v[92:93], v[92:93], v[116:117]
	v_fma_f64 v[218:219], v[90:91], v[248:249], -v[92:93]
	ds_read_b128 v[90:93], v254 offset:1552
	ds_read_b128 v[98:101], v254 offset:1584
	s_waitcnt vmcnt(26) lgkmcnt(2)
	v_mul_f64 v[94:95], v[82:83], v[202:203]
	s_waitcnt vmcnt(24)
	v_fmac_f64_e32 v[94:95], v[84:85], v[204:205]
	v_add_f64 v[0:1], v[0:1], v[94:95]
	v_mul_f64 v[94:95], v[86:87], v[184:185]
	v_fmac_f64_e32 v[94:95], v[88:89], v[188:189]
	v_add_f64 v[0:1], v[0:1], v[94:95]
	ds_read_b128 v[94:97], v254 offset:1568
	v_mul_f64 v[104:105], v[104:105], v[244:245]
	v_mul_f64 v[112:113], v[112:113], v[240:241]
	v_fma_f64 v[250:251], v[102:103], v[246:247], -v[104:105]
	v_fma_f64 v[252:253], v[110:111], v[242:243], -v[112:113]
	ds_read_b128 v[110:113], v254 offset:1632
	v_mul_f64 v[4:5], v[4:5], v[118:119]
	v_fma_f64 v[2:3], v[2:3], v[124:125], -v[4:5]
	ds_read_b128 v[102:105], v254 offset:1616
	s_waitcnt vmcnt(21) lgkmcnt(4)
	v_mul_f64 v[106:107], v[90:91], v[208:209]
	s_waitcnt vmcnt(19)
	v_fmac_f64_e32 v[106:107], v[92:93], v[224:225]
	v_add_f64 v[0:1], v[0:1], v[106:107]
	s_waitcnt vmcnt(18) lgkmcnt(2)
	v_mul_f64 v[106:107], v[94:95], v[206:207]
	s_waitcnt vmcnt(16)
	v_fmac_f64_e32 v[106:107], v[96:97], v[222:223]
	v_add_f64 v[0:1], v[0:1], v[106:107]
	ds_read_b128 v[106:109], v254 offset:1600
	buffer_load_dword v243, off, s[0:3], 0 offset:844
	buffer_load_dword v242, off, s[0:3], 0 offset:840
	buffer_load_dword v245, off, s[0:3], 0 offset:836
	buffer_load_dword v244, off, s[0:3], 0 offset:832
	s_waitcnt vmcnt(18)
	v_mul_f64 v[114:115], v[98:99], v[212:213]
	s_waitcnt vmcnt(16)
	v_fmac_f64_e32 v[114:115], v[100:101], v[226:227]
	v_add_f64 v[0:1], v[0:1], v[114:115]
	s_waitcnt vmcnt(14) lgkmcnt(0)
	v_mul_f64 v[114:115], v[106:107], v[230:231]
	s_waitcnt vmcnt(12)
	v_fmac_f64_e32 v[114:115], v[108:109], v[232:233]
	v_add_f64 v[0:1], v[0:1], v[114:115]
	s_waitcnt vmcnt(9)
	v_mul_f64 v[114:115], v[102:103], v[236:237]
	s_waitcnt vmcnt(7)
	v_fmac_f64_e32 v[114:115], v[104:105], v[238:239]
	v_add_f64 v[0:1], v[0:1], v[114:115]
	s_waitcnt vmcnt(5)
	v_mul_f64 v[114:115], v[110:111], v[228:229]
	s_waitcnt vmcnt(4)
	v_fmac_f64_e32 v[114:115], v[112:113], v[234:235]
	v_add_f64 v[0:1], v[0:1], v[114:115]
	ds_read_b128 v[114:117], v254 offset:1648
	buffer_load_dword v248, off, s[0:3], 0 offset:256
	buffer_load_dword v249, off, s[0:3], 0 offset:260
	;; [unrolled: 1-line block ×4, first 2 shown]
	s_waitcnt vmcnt(6) lgkmcnt(0)
	v_mul_f64 v[240:241], v[114:115], v[242:243]
	s_waitcnt vmcnt(4)
	v_fmac_f64_e32 v[240:241], v[116:117], v[244:245]
	v_add_f64 v[240:241], v[0:1], v[240:241]
	v_add_f64 v[0:1], v[210:211], 0
	;; [unrolled: 1-line block ×9, first 2 shown]
	v_mul_f64 v[2:3], v[8:9], v[120:121]
	v_fma_f64 v[2:3], v[6:7], v[122:123], -v[2:3]
	v_add_f64 v[0:1], v[0:1], v[2:3]
	v_mul_f64 v[2:3], v[12:13], v[130:131]
	v_fma_f64 v[2:3], v[10:11], v[132:133], -v[2:3]
	v_add_f64 v[0:1], v[0:1], v[2:3]
	;; [unrolled: 3-line block ×28, first 2 shown]
	v_accvgpr_read_b32 v255, a155
	s_waitcnt vmcnt(2)
	v_add_f64 v[0:1], v[248:249], -v[0:1]
	v_cmp_lt_u32_e32 vcc, 14, v255
	s_waitcnt vmcnt(0)
	v_add_f64 v[2:3], v[246:247], -v[240:241]
	buffer_store_dword v1, off, s[0:3], 0 offset:260
	buffer_store_dword v0, off, s[0:3], 0 offset:256
	;; [unrolled: 1-line block ×4, first 2 shown]
	s_and_saveexec_b64 s[4:5], vcc
	s_cbranch_execz .LBB115_297
; %bb.296:
	v_accvgpr_read_b32 v0, a141
	buffer_load_dword v2, v0, s[0:3], 0 offen
	buffer_load_dword v3, v0, s[0:3], 0 offen offset:4
	buffer_load_dword v4, v0, s[0:3], 0 offen offset:8
	buffer_load_dword v5, v0, s[0:3], 0 offen offset:12
	v_mov_b32_e32 v0, 0
	v_accvgpr_read_b32 v1, a156
	buffer_store_dword v0, off, s[0:3], 0 offset:240
	buffer_store_dword v0, off, s[0:3], 0 offset:244
	;; [unrolled: 1-line block ×4, first 2 shown]
	s_waitcnt vmcnt(4)
	ds_write_b128 v1, v[2:5]
.LBB115_297:
	s_or_b64 exec, exec, s[4:5]
	s_waitcnt lgkmcnt(0)
	; wave barrier
	s_waitcnt lgkmcnt(0)
	buffer_load_dword v66, off, s[0:3], 0 offset:256
	buffer_load_dword v67, off, s[0:3], 0 offset:260
	;; [unrolled: 1-line block ×55, first 2 shown]
	v_mov_b32_e32 v254, 0
	ds_read_b128 v[74:77], v254 offset:1072
	ds_read_b128 v[86:89], v254 offset:1088
	;; [unrolled: 1-line block ×9, first 2 shown]
	buffer_load_dword v136, off, s[0:3], 0 offset:480
	buffer_load_dword v155, off, s[0:3], 0 offset:476
	;; [unrolled: 1-line block ×61, first 2 shown]
	v_cmp_lt_u32_e32 vcc, 13, v255
	s_waitcnt vmcnt(62) lgkmcnt(8)
	v_mul_f64 v[0:1], v[74:75], v[68:69]
	v_fmac_f64_e32 v[0:1], v[76:77], v[66:67]
	v_add_f64 v[0:1], v[0:1], 0
	v_mul_f64 v[68:69], v[76:77], v[68:69]
	s_waitcnt lgkmcnt(7)
	v_mul_f64 v[6:7], v[86:87], v[72:73]
	v_fmac_f64_e32 v[6:7], v[88:89], v[70:71]
	s_waitcnt lgkmcnt(6)
	v_mul_f64 v[8:9], v[98:99], v[78:79]
	v_add_f64 v[0:1], v[0:1], v[6:7]
	s_waitcnt lgkmcnt(4)
	v_mul_f64 v[12:13], v[114:115], v[90:91]
	v_fma_f64 v[210:211], v[74:75], v[66:67], -v[68:69]
	v_fmac_f64_e32 v[12:13], v[116:117], v[92:93]
	v_mul_f64 v[72:73], v[88:89], v[72:73]
	v_mul_f64 v[10:11], v[110:111], v[82:83]
	v_fma_f64 v[214:215], v[86:87], v[70:71], -v[72:73]
	s_waitcnt lgkmcnt(2)
	v_mul_f64 v[16:17], v[244:245], v[102:103]
	v_mul_f64 v[78:79], v[100:101], v[78:79]
	;; [unrolled: 1-line block ×5, first 2 shown]
	s_waitcnt lgkmcnt(1)
	v_mul_f64 v[18:19], v[248:249], v[106:107]
	v_fmac_f64_e32 v[18:19], v[250:251], v[108:109]
	v_fmac_f64_e32 v[8:9], v[100:101], v[80:81]
	v_add_f64 v[0:1], v[0:1], v[8:9]
	v_fmac_f64_e32 v[10:11], v[112:113], v[84:85]
	v_add_f64 v[0:1], v[0:1], v[10:11]
	;; [unrolled: 2-line block ×3, first 2 shown]
	ds_read_b128 v[6:9], v254 offset:1216
	v_fmac_f64_e32 v[16:17], v[246:247], v[104:105]
	v_add_f64 v[0:1], v[0:1], v[14:15]
	v_add_f64 v[0:1], v[0:1], v[16:17]
	s_waitcnt lgkmcnt(1)
	v_mul_f64 v[10:11], v[2:3], v[118:119]
	v_add_f64 v[0:1], v[0:1], v[18:19]
	v_fmac_f64_e32 v[10:11], v[4:5], v[120:121]
	v_add_f64 v[0:1], v[0:1], v[10:11]
	ds_read_b128 v[10:13], v254 offset:1232
	s_waitcnt lgkmcnt(1)
	v_mul_f64 v[14:15], v[6:7], v[126:127]
	v_fmac_f64_e32 v[14:15], v[8:9], v[128:129]
	v_add_f64 v[0:1], v[0:1], v[14:15]
	ds_read_b128 v[14:17], v254 offset:1248
	s_waitcnt lgkmcnt(1)
	v_mul_f64 v[18:19], v[10:11], v[122:123]
	;; [unrolled: 5-line block ×4, first 2 shown]
	v_fmac_f64_e32 v[26:27], v[20:21], v[132:133]
	v_add_f64 v[0:1], v[0:1], v[26:27]
	ds_read_b128 v[26:29], v254 offset:1296
	s_waitcnt vmcnt(58) lgkmcnt(1)
	v_mul_f64 v[30:31], v[22:23], v[154:155]
	s_waitcnt vmcnt(56)
	v_fmac_f64_e32 v[30:31], v[24:25], v[158:159]
	v_add_f64 v[0:1], v[0:1], v[30:31]
	ds_read_b128 v[30:33], v254 offset:1312
	s_waitcnt lgkmcnt(1)
	v_mul_f64 v[34:35], v[26:27], v[134:135]
	v_fmac_f64_e32 v[34:35], v[28:29], v[136:137]
	v_add_f64 v[0:1], v[0:1], v[34:35]
	ds_read_b128 v[34:37], v254 offset:1328
	s_waitcnt vmcnt(50) lgkmcnt(1)
	v_mul_f64 v[38:39], v[30:31], v[162:163]
	s_waitcnt vmcnt(48)
	v_fmac_f64_e32 v[38:39], v[32:33], v[166:167]
	v_add_f64 v[0:1], v[0:1], v[38:39]
	ds_read_b128 v[38:41], v254 offset:1344
	s_waitcnt lgkmcnt(1)
	v_mul_f64 v[42:43], v[34:35], v[142:143]
	v_fmac_f64_e32 v[42:43], v[36:37], v[144:145]
	v_add_f64 v[0:1], v[0:1], v[42:43]
	ds_read_b128 v[42:45], v254 offset:1360
	s_waitcnt vmcnt(42) lgkmcnt(1)
	v_mul_f64 v[46:47], v[38:39], v[170:171]
	s_waitcnt vmcnt(40)
	v_fmac_f64_e32 v[46:47], v[40:41], v[174:175]
	v_add_f64 v[0:1], v[0:1], v[46:47]
	ds_read_b128 v[46:49], v254 offset:1376
	buffer_load_dword v203, off, s[0:3], 0 offset:732
	buffer_load_dword v202, off, s[0:3], 0 offset:728
	;; [unrolled: 1-line block ×4, first 2 shown]
	s_waitcnt lgkmcnt(1)
	v_mul_f64 v[50:51], v[42:43], v[146:147]
	v_fmac_f64_e32 v[50:51], v[44:45], v[148:149]
	v_add_f64 v[0:1], v[0:1], v[50:51]
	ds_read_b128 v[50:53], v254 offset:1392
	buffer_load_dword v207, off, s[0:3], 0 offset:748
	buffer_load_dword v206, off, s[0:3], 0 offset:744
	;; [unrolled: 1-line block ×8, first 2 shown]
	s_waitcnt vmcnt(46) lgkmcnt(1)
	v_mul_f64 v[54:55], v[46:47], v[178:179]
	s_waitcnt vmcnt(44)
	v_fmac_f64_e32 v[54:55], v[48:49], v[182:183]
	v_add_f64 v[0:1], v[0:1], v[54:55]
	ds_read_b128 v[54:57], v254 offset:1408
	buffer_load_dword v227, off, s[0:3], 0 offset:780
	buffer_load_dword v226, off, s[0:3], 0 offset:776
	;; [unrolled: 1-line block ×12, first 2 shown]
	s_waitcnt lgkmcnt(1)
	v_mul_f64 v[58:59], v[50:51], v[150:151]
	v_fmac_f64_e32 v[58:59], v[52:53], v[152:153]
	v_add_f64 v[0:1], v[0:1], v[58:59]
	ds_read_b128 v[58:61], v254 offset:1424
	s_waitcnt vmcnt(50) lgkmcnt(1)
	v_mul_f64 v[62:63], v[54:55], v[186:187]
	s_waitcnt vmcnt(48)
	v_fmac_f64_e32 v[62:63], v[56:57], v[188:189]
	v_add_f64 v[0:1], v[0:1], v[62:63]
	buffer_load_dword v237, off, s[0:3], 0 offset:828
	buffer_load_dword v236, off, s[0:3], 0 offset:824
	buffer_load_dword v239, off, s[0:3], 0 offset:820
	buffer_load_dword v238, off, s[0:3], 0 offset:816
	s_waitcnt lgkmcnt(0)
	v_mul_f64 v[62:63], v[58:59], v[156:157]
	v_fmac_f64_e32 v[62:63], v[60:61], v[160:161]
	v_add_f64 v[0:1], v[0:1], v[62:63]
	ds_read_b128 v[62:65], v254 offset:1440
	ds_read_b128 v[66:69], v254 offset:1456
	;; [unrolled: 1-line block ×3, first 2 shown]
	v_fma_f64 v[216:217], v[98:99], v[80:81], -v[78:79]
	ds_read_b128 v[78:81], v254 offset:1504
	s_waitcnt vmcnt(46) lgkmcnt(3)
	v_mul_f64 v[74:75], v[62:63], v[190:191]
	s_waitcnt vmcnt(44)
	v_fmac_f64_e32 v[74:75], v[64:65], v[192:193]
	v_add_f64 v[0:1], v[0:1], v[74:75]
	s_waitcnt lgkmcnt(2)
	v_mul_f64 v[74:75], v[66:67], v[164:165]
	v_fmac_f64_e32 v[74:75], v[68:69], v[168:169]
	v_add_f64 v[0:1], v[0:1], v[74:75]
	ds_read_b128 v[74:77], v254 offset:1488
	s_waitcnt vmcnt(38) lgkmcnt(2)
	v_mul_f64 v[86:87], v[70:71], v[194:195]
	s_waitcnt vmcnt(36)
	v_fmac_f64_e32 v[86:87], v[72:73], v[196:197]
	v_fma_f64 v[218:219], v[110:111], v[84:85], -v[82:83]
	ds_read_b128 v[82:85], v254 offset:1520
	v_add_f64 v[0:1], v[0:1], v[86:87]
	s_waitcnt lgkmcnt(1)
	v_mul_f64 v[86:87], v[74:75], v[172:173]
	v_fmac_f64_e32 v[86:87], v[76:77], v[176:177]
	v_add_f64 v[0:1], v[0:1], v[86:87]
	s_waitcnt vmcnt(30)
	v_mul_f64 v[86:87], v[78:79], v[198:199]
	s_waitcnt vmcnt(28)
	v_fmac_f64_e32 v[86:87], v[80:81], v[200:201]
	v_add_f64 v[0:1], v[0:1], v[86:87]
	s_waitcnt lgkmcnt(0)
	v_mul_f64 v[86:87], v[82:83], v[180:181]
	v_fmac_f64_e32 v[86:87], v[84:85], v[184:185]
	v_add_f64 v[0:1], v[0:1], v[86:87]
	ds_read_b128 v[86:89], v254 offset:1536
	v_fma_f64 v[220:221], v[114:115], v[92:93], -v[90:91]
	ds_read_b128 v[90:93], v254 offset:1552
	v_mul_f64 v[94:95], v[242:243], v[94:95]
	v_fma_f64 v[252:253], v[240:241], v[96:97], -v[94:95]
	ds_read_b128 v[94:97], v254 offset:1568
	v_mul_f64 v[102:103], v[246:247], v[102:103]
	;; [unrolled: 3-line block ×3, first 2 shown]
	v_fma_f64 v[250:251], v[248:249], v[108:109], -v[106:107]
	v_mul_f64 v[4:5], v[4:5], v[118:119]
	v_fma_f64 v[2:3], v[2:3], v[120:121], -v[4:5]
	ds_read_b128 v[106:109], v254 offset:1616
	s_waitcnt vmcnt(26) lgkmcnt(4)
	v_mul_f64 v[98:99], v[86:87], v[202:203]
	s_waitcnt vmcnt(24)
	v_fmac_f64_e32 v[98:99], v[88:89], v[204:205]
	v_add_f64 v[0:1], v[0:1], v[98:99]
	s_waitcnt vmcnt(22) lgkmcnt(3)
	v_mul_f64 v[98:99], v[90:91], v[206:207]
	s_waitcnt vmcnt(20)
	v_fmac_f64_e32 v[98:99], v[92:93], v[212:213]
	v_add_f64 v[0:1], v[0:1], v[98:99]
	;; [unrolled: 5-line block ×3, first 2 shown]
	ds_read_b128 v[98:101], v254 offset:1584
	s_waitcnt vmcnt(14) lgkmcnt(0)
	v_mul_f64 v[110:111], v[98:99], v[226:227]
	s_waitcnt vmcnt(12)
	v_fmac_f64_e32 v[110:111], v[100:101], v[228:229]
	v_add_f64 v[0:1], v[0:1], v[110:111]
	s_waitcnt vmcnt(9)
	v_mul_f64 v[110:111], v[102:103], v[232:233]
	s_waitcnt vmcnt(7)
	v_fmac_f64_e32 v[110:111], v[104:105], v[234:235]
	v_add_f64 v[0:1], v[0:1], v[110:111]
	s_waitcnt vmcnt(5)
	v_mul_f64 v[110:111], v[106:107], v[224:225]
	s_waitcnt vmcnt(4)
	v_fmac_f64_e32 v[110:111], v[108:109], v[230:231]
	v_add_f64 v[0:1], v[0:1], v[110:111]
	ds_read_b128 v[110:113], v254 offset:1632
	buffer_load_dword v242, off, s[0:3], 0 offset:840
	buffer_load_dword v243, off, s[0:3], 0 offset:844
	;; [unrolled: 1-line block ×4, first 2 shown]
	s_waitcnt vmcnt(6) lgkmcnt(0)
	v_mul_f64 v[114:115], v[110:111], v[236:237]
	s_waitcnt vmcnt(4)
	v_fmac_f64_e32 v[114:115], v[112:113], v[238:239]
	v_add_f64 v[0:1], v[0:1], v[114:115]
	ds_read_b128 v[114:117], v254 offset:1648
	buffer_load_dword v248, off, s[0:3], 0 offset:240
	buffer_load_dword v249, off, s[0:3], 0 offset:244
	s_waitcnt vmcnt(4) lgkmcnt(0)
	v_mul_f64 v[240:241], v[114:115], v[242:243]
	s_waitcnt vmcnt(2)
	v_fmac_f64_e32 v[240:241], v[116:117], v[244:245]
	v_add_f64 v[240:241], v[0:1], v[240:241]
	v_add_f64 v[0:1], v[210:211], 0
	;; [unrolled: 1-line block ×8, first 2 shown]
	buffer_load_dword v246, off, s[0:3], 0 offset:248
	buffer_load_dword v247, off, s[0:3], 0 offset:252
	v_add_f64 v[0:1], v[252:253], v[250:251]
	v_add_f64 v[0:1], v[0:1], v[2:3]
	v_mul_f64 v[2:3], v[8:9], v[126:127]
	v_fma_f64 v[2:3], v[6:7], v[128:129], -v[2:3]
	v_add_f64 v[0:1], v[0:1], v[2:3]
	v_mul_f64 v[2:3], v[12:13], v[122:123]
	v_fma_f64 v[2:3], v[10:11], v[124:125], -v[2:3]
	;; [unrolled: 3-line block ×28, first 2 shown]
	v_add_f64 v[0:1], v[0:1], v[2:3]
	s_waitcnt vmcnt(2)
	v_add_f64 v[0:1], v[248:249], -v[0:1]
	s_waitcnt vmcnt(0)
	v_add_f64 v[2:3], v[246:247], -v[240:241]
	buffer_store_dword v1, off, s[0:3], 0 offset:244
	buffer_store_dword v0, off, s[0:3], 0 offset:240
	;; [unrolled: 1-line block ×4, first 2 shown]
	s_and_saveexec_b64 s[4:5], vcc
	s_cbranch_execz .LBB115_299
; %bb.298:
	v_accvgpr_read_b32 v0, a142
	buffer_load_dword v2, v0, s[0:3], 0 offen
	buffer_load_dword v3, v0, s[0:3], 0 offen offset:4
	buffer_load_dword v4, v0, s[0:3], 0 offen offset:8
	;; [unrolled: 1-line block ×3, first 2 shown]
	v_accvgpr_read_b32 v0, a156
	buffer_store_dword v254, off, s[0:3], 0 offset:224
	buffer_store_dword v254, off, s[0:3], 0 offset:228
	buffer_store_dword v254, off, s[0:3], 0 offset:232
	buffer_store_dword v254, off, s[0:3], 0 offset:236
	s_waitcnt vmcnt(4)
	ds_write_b128 v0, v[2:5]
.LBB115_299:
	s_or_b64 exec, exec, s[4:5]
	s_waitcnt lgkmcnt(0)
	; wave barrier
	s_waitcnt lgkmcnt(0)
	buffer_load_dword v66, off, s[0:3], 0 offset:240
	buffer_load_dword v67, off, s[0:3], 0 offset:244
	;; [unrolled: 1-line block ×42, first 2 shown]
	ds_read_b128 v[78:81], v254 offset:1056
	ds_read_b128 v[90:93], v254 offset:1072
	;; [unrolled: 1-line block ×10, first 2 shown]
	buffer_load_dword v129, off, s[0:3], 0 offset:388
	buffer_load_dword v128, off, s[0:3], 0 offset:384
	ds_read_b128 v[6:9], v254 offset:1216
	buffer_load_dword v125, off, s[0:3], 0 offset:444
	buffer_load_dword v124, off, s[0:3], 0 offset:440
	;; [unrolled: 1-line block ×80, first 2 shown]
	s_waitcnt vmcnt(62) lgkmcnt(9)
	v_mul_f64 v[10:11], v[90:91], v[64:65]
	v_fmac_f64_e32 v[10:11], v[92:93], v[62:63]
	s_waitcnt lgkmcnt(8)
	v_mul_f64 v[12:13], v[102:103], v[70:71]
	v_mul_f64 v[64:65], v[92:93], v[64:65]
	s_waitcnt lgkmcnt(6)
	v_mul_f64 v[16:17], v[114:115], v[82:83]
	v_fma_f64 v[218:219], v[90:91], v[62:63], -v[64:65]
	v_fmac_f64_e32 v[16:17], v[116:117], v[84:85]
	v_mul_f64 v[70:71], v[104:105], v[70:71]
	v_mul_f64 v[14:15], v[110:111], v[74:75]
	;; [unrolled: 1-line block ×3, first 2 shown]
	s_waitcnt lgkmcnt(4)
	v_mul_f64 v[20:21], v[244:245], v[94:95]
	v_mul_f64 v[82:83], v[116:117], v[82:83]
	v_fmac_f64_e32 v[20:21], v[246:247], v[96:97]
	v_mul_f64 v[94:95], v[246:247], v[94:95]
	v_mul_f64 v[18:19], v[240:241], v[86:87]
	;; [unrolled: 1-line block ×3, first 2 shown]
	s_waitcnt lgkmcnt(2)
	v_mul_f64 v[24:25], v[214:215], v[106:107]
	v_fma_f64 v[246:247], v[244:245], v[96:97], -v[94:95]
	v_mul_f64 v[22:23], v[248:249], v[98:99]
	v_mul_f64 v[98:99], v[250:251], v[98:99]
	s_waitcnt lgkmcnt(1)
	v_mul_f64 v[26:27], v[118:119], v[4:5]
	v_fmac_f64_e32 v[12:13], v[104:105], v[72:73]
	v_fma_f64 v[220:221], v[102:103], v[72:73], -v[70:71]
	v_fmac_f64_e32 v[14:15], v[112:113], v[76:77]
	v_fma_f64 v[252:253], v[110:111], v[76:77], -v[74:75]
	v_fmac_f64_e32 v[18:19], v[242:243], v[88:89]
	v_fma_f64 v[240:241], v[240:241], v[88:89], -v[86:87]
	v_fmac_f64_e32 v[22:23], v[250:251], v[100:101]
	v_fmac_f64_e32 v[24:25], v[216:217], v[108:109]
	v_fma_f64 v[250:251], v[248:249], v[100:101], -v[98:99]
	v_pk_mov_b32 v[2:3], v[0:1], v[0:1] op_sel:[0,1]
	v_mul_f64 v[0:1], v[78:79], v[68:69]
	v_fmac_f64_e32 v[0:1], v[80:81], v[66:67]
	v_add_f64 v[0:1], v[0:1], 0
	v_add_f64 v[0:1], v[0:1], v[10:11]
	;; [unrolled: 1-line block ×9, first 2 shown]
	v_fmac_f64_e32 v[26:27], v[120:121], v[128:129]
	ds_read_b128 v[10:13], v254 offset:1232
	s_waitcnt lgkmcnt(1)
	v_mul_f64 v[14:15], v[6:7], v[2:3]
	v_add_f64 v[0:1], v[0:1], v[26:27]
	v_fmac_f64_e32 v[14:15], v[8:9], v[122:123]
	v_add_f64 v[0:1], v[0:1], v[14:15]
	ds_read_b128 v[14:17], v254 offset:1248
	s_waitcnt lgkmcnt(1)
	v_mul_f64 v[18:19], v[10:11], v[130:131]
	v_fmac_f64_e32 v[18:19], v[12:13], v[146:147]
	v_add_f64 v[0:1], v[0:1], v[18:19]
	ds_read_b128 v[18:21], v254 offset:1264
	s_waitcnt lgkmcnt(1)
	v_mul_f64 v[22:23], v[14:15], v[124:125]
	;; [unrolled: 5-line block ×4, first 2 shown]
	v_fmac_f64_e32 v[30:31], v[24:25], v[134:135]
	v_add_f64 v[0:1], v[0:1], v[30:31]
	ds_read_b128 v[30:33], v254 offset:1312
	s_waitcnt vmcnt(58) lgkmcnt(1)
	v_mul_f64 v[34:35], v[26:27], v[158:159]
	s_waitcnt vmcnt(56)
	v_fmac_f64_e32 v[34:35], v[28:29], v[162:163]
	v_add_f64 v[0:1], v[0:1], v[34:35]
	ds_read_b128 v[34:37], v254 offset:1328
	s_waitcnt lgkmcnt(1)
	v_mul_f64 v[38:39], v[30:31], v[136:137]
	v_fmac_f64_e32 v[38:39], v[32:33], v[138:139]
	v_add_f64 v[0:1], v[0:1], v[38:39]
	ds_read_b128 v[38:41], v254 offset:1344
	s_waitcnt vmcnt(50) lgkmcnt(1)
	v_mul_f64 v[42:43], v[34:35], v[166:167]
	s_waitcnt vmcnt(48)
	v_fmac_f64_e32 v[42:43], v[36:37], v[170:171]
	v_add_f64 v[0:1], v[0:1], v[42:43]
	ds_read_b128 v[42:45], v254 offset:1360
	s_waitcnt lgkmcnt(1)
	v_mul_f64 v[46:47], v[38:39], v[140:141]
	;; [unrolled: 11-line block ×3, first 2 shown]
	buffer_load_dword v207, off, s[0:3], 0 offset:748
	buffer_load_dword v206, off, s[0:3], 0 offset:744
	;; [unrolled: 1-line block ×4, first 2 shown]
	v_fmac_f64_e32 v[54:55], v[48:49], v[148:149]
	v_add_f64 v[0:1], v[0:1], v[54:55]
	ds_read_b128 v[54:57], v254 offset:1408
	buffer_load_dword v222, off, s[0:3], 0 offset:760
	buffer_load_dword v224, off, s[0:3], 0 offset:752
	;; [unrolled: 1-line block ×16, first 2 shown]
	s_waitcnt vmcnt(54) lgkmcnt(1)
	v_mul_f64 v[58:59], v[50:51], v[182:183]
	s_waitcnt vmcnt(52)
	v_fmac_f64_e32 v[58:59], v[52:53], v[186:187]
	v_add_f64 v[0:1], v[0:1], v[58:59]
	ds_read_b128 v[58:61], v254 offset:1424
	buffer_load_dword v236, off, s[0:3], 0 offset:824
	buffer_load_dword v238, off, s[0:3], 0 offset:816
	;; [unrolled: 1-line block ×4, first 2 shown]
	v_mul_f64 v[68:69], v[80:81], v[68:69]
	ds_read_b128 v[62:65], v254 offset:1440
	ds_read_b128 v[70:73], v254 offset:1472
	v_fma_f64 v[210:211], v[78:79], v[66:67], -v[68:69]
	s_waitcnt lgkmcnt(3)
	v_mul_f64 v[66:67], v[54:55], v[152:153]
	v_fmac_f64_e32 v[66:67], v[56:57], v[156:157]
	v_add_f64 v[0:1], v[0:1], v[66:67]
	s_waitcnt vmcnt(50) lgkmcnt(2)
	v_mul_f64 v[66:67], v[58:59], v[190:191]
	s_waitcnt vmcnt(48)
	v_fmac_f64_e32 v[66:67], v[60:61], v[192:193]
	v_add_f64 v[0:1], v[0:1], v[66:67]
	s_waitcnt lgkmcnt(1)
	v_mul_f64 v[66:67], v[62:63], v[160:161]
	v_fmac_f64_e32 v[66:67], v[64:65], v[164:165]
	v_add_f64 v[0:1], v[0:1], v[66:67]
	ds_read_b128 v[66:69], v254 offset:1456
	ds_read_b128 v[74:77], v254 offset:1488
	v_accvgpr_write_b32 a159, v3
	v_accvgpr_write_b32 a158, v2
	v_fma_f64 v[2:3], v[114:115], v[84:85], -v[82:83]
	s_waitcnt vmcnt(42) lgkmcnt(1)
	v_mul_f64 v[78:79], v[66:67], v[194:195]
	s_waitcnt vmcnt(40)
	v_fmac_f64_e32 v[78:79], v[68:69], v[196:197]
	v_add_f64 v[0:1], v[0:1], v[78:79]
	v_mul_f64 v[78:79], v[70:71], v[168:169]
	v_fmac_f64_e32 v[78:79], v[72:73], v[172:173]
	v_add_f64 v[0:1], v[0:1], v[78:79]
	ds_read_b128 v[78:81], v254 offset:1504
	ds_read_b128 v[82:85], v254 offset:1520
	s_waitcnt vmcnt(34) lgkmcnt(2)
	v_mul_f64 v[90:91], v[74:75], v[198:199]
	s_waitcnt vmcnt(32)
	v_fmac_f64_e32 v[90:91], v[76:77], v[200:201]
	ds_read_b128 v[86:89], v254 offset:1536
	ds_read_b128 v[94:97], v254 offset:1568
	v_add_f64 v[0:1], v[0:1], v[90:91]
	s_waitcnt lgkmcnt(3)
	v_mul_f64 v[90:91], v[78:79], v[176:177]
	v_fmac_f64_e32 v[90:91], v[80:81], v[180:181]
	v_add_f64 v[0:1], v[0:1], v[90:91]
	s_waitcnt vmcnt(26) lgkmcnt(2)
	v_mul_f64 v[90:91], v[82:83], v[202:203]
	s_waitcnt vmcnt(24)
	v_fmac_f64_e32 v[90:91], v[84:85], v[204:205]
	v_add_f64 v[0:1], v[0:1], v[90:91]
	s_waitcnt lgkmcnt(1)
	v_mul_f64 v[90:91], v[86:87], v[184:185]
	v_fmac_f64_e32 v[90:91], v[88:89], v[188:189]
	v_add_f64 v[0:1], v[0:1], v[90:91]
	ds_read_b128 v[90:93], v254 offset:1552
	ds_read_b128 v[98:101], v254 offset:1584
	v_add_f64 v[210:211], v[210:211], 0
	v_add_f64 v[210:211], v[210:211], v[218:219]
	;; [unrolled: 1-line block ×6, first 2 shown]
	s_waitcnt vmcnt(13) lgkmcnt(0)
	v_mul_f64 v[112:113], v[98:99], v[226:227]
	v_mul_f64 v[102:103], v[90:91], v[206:207]
	s_waitcnt vmcnt(11)
	v_fmac_f64_e32 v[112:113], v[100:101], v[232:233]
	v_fmac_f64_e32 v[102:103], v[92:93], v[208:209]
	v_add_f64 v[0:1], v[0:1], v[102:103]
	v_mul_f64 v[102:103], v[94:95], v[222:223]
	v_fmac_f64_e32 v[102:103], v[96:97], v[224:225]
	v_add_f64 v[110:111], v[0:1], v[102:103]
	ds_read_b128 v[102:105], v254 offset:1600
	v_mul_f64 v[0:1], v[216:217], v[106:107]
	v_fma_f64 v[0:1], v[214:215], v[108:109], -v[0:1]
	ds_read_b128 v[106:109], v254 offset:1616
	v_add_f64 v[110:111], v[110:111], v[112:113]
	s_waitcnt vmcnt(10) lgkmcnt(1)
	v_mul_f64 v[112:113], v[102:103], v[212:213]
	s_waitcnt vmcnt(8)
	v_fmac_f64_e32 v[112:113], v[104:105], v[230:231]
	v_add_f64 v[110:111], v[110:111], v[112:113]
	s_waitcnt vmcnt(6) lgkmcnt(0)
	v_mul_f64 v[112:113], v[106:107], v[228:229]
	s_waitcnt vmcnt(4)
	v_fmac_f64_e32 v[112:113], v[108:109], v[234:235]
	v_add_f64 v[114:115], v[110:111], v[112:113]
	ds_read_b128 v[110:113], v254 offset:1632
	buffer_load_dword v243, off, s[0:3], 0 offset:844
	buffer_load_dword v242, off, s[0:3], 0 offset:840
	;; [unrolled: 1-line block ×4, first 2 shown]
	s_waitcnt vmcnt(5) lgkmcnt(0)
	v_mul_f64 v[116:117], v[110:111], v[236:237]
	s_waitcnt vmcnt(4)
	v_fmac_f64_e32 v[116:117], v[112:113], v[238:239]
	v_add_f64 v[214:215], v[114:115], v[116:117]
	ds_read_b128 v[114:117], v254 offset:1648
	v_add_f64 v[254:255], v[2:3], v[246:247]
	buffer_load_dword v248, off, s[0:3], 0 offset:224
	buffer_load_dword v249, off, s[0:3], 0 offset:228
	;; [unrolled: 1-line block ×4, first 2 shown]
	v_add_f64 v[2:3], v[254:255], v[250:251]
	v_add_f64 v[0:1], v[2:3], v[0:1]
	v_mul_f64 v[2:3], v[120:121], v[4:5]
	v_fma_f64 v[2:3], v[118:119], v[128:129], -v[2:3]
	v_add_f64 v[0:1], v[0:1], v[2:3]
	v_accvgpr_read_b32 v2, a158
	v_accvgpr_read_b32 v3, a159
	v_mul_f64 v[2:3], v[8:9], v[2:3]
	v_fma_f64 v[2:3], v[6:7], v[122:123], -v[2:3]
	v_add_f64 v[0:1], v[0:1], v[2:3]
	v_mul_f64 v[2:3], v[12:13], v[130:131]
	v_fma_f64 v[2:3], v[10:11], v[146:147], -v[2:3]
	v_add_f64 v[0:1], v[0:1], v[2:3]
	;; [unrolled: 3-line block ×27, first 2 shown]
	s_waitcnt vmcnt(6) lgkmcnt(0)
	v_mul_f64 v[2:3], v[116:117], v[242:243]
	v_mul_f64 v[216:217], v[114:115], v[242:243]
	s_waitcnt vmcnt(4)
	v_fma_f64 v[2:3], v[114:115], v[244:245], -v[2:3]
	v_fmac_f64_e32 v[216:217], v[116:117], v[244:245]
	v_add_f64 v[0:1], v[0:1], v[2:3]
	v_accvgpr_read_b32 v255, a155
	v_add_f64 v[214:215], v[214:215], v[216:217]
	s_waitcnt vmcnt(2)
	v_add_f64 v[0:1], v[248:249], -v[0:1]
	v_cmp_lt_u32_e32 vcc, 12, v255
	s_waitcnt vmcnt(0)
	v_add_f64 v[2:3], v[246:247], -v[214:215]
	buffer_store_dword v1, off, s[0:3], 0 offset:228
	buffer_store_dword v0, off, s[0:3], 0 offset:224
	buffer_store_dword v3, off, s[0:3], 0 offset:236
	buffer_store_dword v2, off, s[0:3], 0 offset:232
	s_and_saveexec_b64 s[4:5], vcc
	s_cbranch_execz .LBB115_301
; %bb.300:
	v_accvgpr_read_b32 v0, a143
	buffer_load_dword v2, v0, s[0:3], 0 offen
	buffer_load_dword v3, v0, s[0:3], 0 offen offset:4
	buffer_load_dword v4, v0, s[0:3], 0 offen offset:8
	;; [unrolled: 1-line block ×3, first 2 shown]
	v_mov_b32_e32 v0, 0
	v_accvgpr_read_b32 v1, a156
	buffer_store_dword v0, off, s[0:3], 0 offset:208
	buffer_store_dword v0, off, s[0:3], 0 offset:212
	;; [unrolled: 1-line block ×4, first 2 shown]
	s_waitcnt vmcnt(4)
	ds_write_b128 v1, v[2:5]
.LBB115_301:
	s_or_b64 exec, exec, s[4:5]
	s_waitcnt lgkmcnt(0)
	; wave barrier
	s_waitcnt lgkmcnt(0)
	buffer_load_dword v54, off, s[0:3], 0 offset:224
	buffer_load_dword v55, off, s[0:3], 0 offset:228
	;; [unrolled: 1-line block ×49, first 2 shown]
	v_mov_b32_e32 v254, 0
	ds_read_b128 v[62:65], v254 offset:1040
	ds_read_b128 v[74:77], v254 offset:1056
	;; [unrolled: 1-line block ×11, first 2 shown]
	buffer_load_dword v126, off, s[0:3], 0 offset:408
	buffer_load_dword v143, off, s[0:3], 0 offset:404
	;; [unrolled: 1-line block ×75, first 2 shown]
	v_cmp_lt_u32_e32 vcc, 11, v255
	s_waitcnt vmcnt(62) lgkmcnt(9)
	v_mul_f64 v[6:7], v[74:75], v[60:61]
	v_fmac_f64_e32 v[6:7], v[76:77], v[58:59]
	s_waitcnt lgkmcnt(8)
	v_mul_f64 v[8:9], v[86:87], v[66:67]
	v_mul_f64 v[60:61], v[76:77], v[60:61]
	s_waitcnt lgkmcnt(6)
	v_mul_f64 v[12:13], v[110:111], v[78:79]
	v_fma_f64 v[218:219], v[74:75], v[58:59], -v[60:61]
	v_fmac_f64_e32 v[12:13], v[112:113], v[80:81]
	v_mul_f64 v[66:67], v[88:89], v[66:67]
	v_mul_f64 v[10:11], v[98:99], v[70:71]
	;; [unrolled: 1-line block ×3, first 2 shown]
	s_waitcnt lgkmcnt(4)
	v_mul_f64 v[16:17], v[214:215], v[90:91]
	v_mul_f64 v[78:79], v[112:113], v[78:79]
	v_fmac_f64_e32 v[16:17], v[216:217], v[92:93]
	v_fma_f64 v[252:253], v[110:111], v[80:81], -v[78:79]
	v_mul_f64 v[14:15], v[114:115], v[82:83]
	v_mul_f64 v[82:83], v[116:117], v[82:83]
	s_waitcnt lgkmcnt(2)
	v_mul_f64 v[20:21], v[240:241], v[102:103]
	v_mul_f64 v[90:91], v[216:217], v[90:91]
	v_fma_f64 v[214:215], v[214:215], v[92:93], -v[90:91]
	v_mul_f64 v[18:19], v[236:237], v[94:95]
	v_mul_f64 v[94:95], v[238:239], v[94:95]
	s_waitcnt lgkmcnt(1)
	v_mul_f64 v[22:23], v[244:245], v[106:107]
	v_mul_f64 v[102:103], v[242:243], v[102:103]
	v_fmac_f64_e32 v[8:9], v[88:89], v[68:69]
	v_fma_f64 v[220:221], v[86:87], v[68:69], -v[66:67]
	v_fmac_f64_e32 v[10:11], v[100:101], v[72:73]
	v_fma_f64 v[248:249], v[98:99], v[72:73], -v[70:71]
	;; [unrolled: 2-line block ×3, first 2 shown]
	v_fmac_f64_e32 v[18:19], v[238:239], v[96:97]
	v_fmac_f64_e32 v[20:21], v[242:243], v[104:105]
	v_fmac_f64_e32 v[22:23], v[246:247], v[108:109]
	v_fma_f64 v[216:217], v[236:237], v[96:97], -v[94:95]
	v_pk_mov_b32 v[2:3], v[0:1], v[0:1] op_sel:[0,1]
	v_mul_f64 v[0:1], v[62:63], v[56:57]
	v_fmac_f64_e32 v[0:1], v[64:65], v[54:55]
	v_add_f64 v[0:1], v[0:1], 0
	v_add_f64 v[0:1], v[0:1], v[6:7]
	;; [unrolled: 1-line block ×9, first 2 shown]
	ds_read_b128 v[6:9], v254 offset:1216
	s_waitcnt lgkmcnt(1)
	v_mul_f64 v[10:11], v[118:119], v[4:5]
	v_add_f64 v[0:1], v[0:1], v[22:23]
	v_fmac_f64_e32 v[10:11], v[120:121], v[2:3]
	v_add_f64 v[0:1], v[0:1], v[10:11]
	ds_read_b128 v[10:13], v254 offset:1232
	s_waitcnt lgkmcnt(1)
	v_mul_f64 v[14:15], v[6:7], v[126:127]
	v_fmac_f64_e32 v[14:15], v[8:9], v[142:143]
	v_add_f64 v[0:1], v[0:1], v[14:15]
	ds_read_b128 v[14:17], v254 offset:1248
	s_waitcnt lgkmcnt(1)
	v_mul_f64 v[18:19], v[10:11], v[122:123]
	;; [unrolled: 5-line block ×4, first 2 shown]
	v_fmac_f64_e32 v[26:27], v[20:21], v[130:131]
	v_add_f64 v[0:1], v[0:1], v[26:27]
	ds_read_b128 v[26:29], v254 offset:1296
	s_waitcnt vmcnt(58) lgkmcnt(1)
	v_mul_f64 v[30:31], v[22:23], v[154:155]
	s_waitcnt vmcnt(56)
	v_fmac_f64_e32 v[30:31], v[24:25], v[158:159]
	v_add_f64 v[0:1], v[0:1], v[30:31]
	ds_read_b128 v[30:33], v254 offset:1312
	s_waitcnt lgkmcnt(1)
	v_mul_f64 v[34:35], v[26:27], v[132:133]
	v_fmac_f64_e32 v[34:35], v[28:29], v[134:135]
	v_add_f64 v[0:1], v[0:1], v[34:35]
	ds_read_b128 v[34:37], v254 offset:1328
	s_waitcnt vmcnt(50) lgkmcnt(1)
	v_mul_f64 v[38:39], v[30:31], v[162:163]
	s_waitcnt vmcnt(48)
	v_fmac_f64_e32 v[38:39], v[32:33], v[166:167]
	v_add_f64 v[0:1], v[0:1], v[38:39]
	ds_read_b128 v[38:41], v254 offset:1344
	s_waitcnt lgkmcnt(1)
	v_mul_f64 v[42:43], v[34:35], v[136:137]
	;; [unrolled: 11-line block ×3, first 2 shown]
	buffer_load_dword v203, off, s[0:3], 0 offset:732
	buffer_load_dword v202, off, s[0:3], 0 offset:728
	;; [unrolled: 1-line block ×4, first 2 shown]
	v_fmac_f64_e32 v[50:51], v[44:45], v[144:145]
	v_add_f64 v[0:1], v[0:1], v[50:51]
	ds_read_b128 v[50:53], v254 offset:1392
	buffer_load_dword v206, off, s[0:3], 0 offset:744
	buffer_load_dword v208, off, s[0:3], 0 offset:736
	;; [unrolled: 1-line block ×20, first 2 shown]
	s_waitcnt vmcnt(58) lgkmcnt(1)
	v_mul_f64 v[210:211], v[46:47], v[178:179]
	s_waitcnt vmcnt(56)
	v_fmac_f64_e32 v[210:211], v[48:49], v[182:183]
	v_mul_f64 v[56:57], v[64:65], v[56:57]
	v_add_f64 v[0:1], v[0:1], v[210:211]
	v_fma_f64 v[210:211], v[62:63], v[54:55], -v[56:57]
	ds_read_b128 v[54:57], v254 offset:1408
	ds_read_b128 v[58:61], v254 offset:1424
	s_waitcnt lgkmcnt(2)
	v_mul_f64 v[62:63], v[50:51], v[148:149]
	v_fmac_f64_e32 v[62:63], v[52:53], v[152:153]
	v_add_f64 v[0:1], v[0:1], v[62:63]
	s_waitcnt vmcnt(50) lgkmcnt(1)
	v_mul_f64 v[62:63], v[54:55], v[186:187]
	s_waitcnt vmcnt(48)
	v_fmac_f64_e32 v[62:63], v[56:57], v[188:189]
	v_add_f64 v[0:1], v[0:1], v[62:63]
	s_waitcnt lgkmcnt(0)
	v_mul_f64 v[62:63], v[58:59], v[156:157]
	v_fmac_f64_e32 v[62:63], v[60:61], v[160:161]
	v_add_f64 v[0:1], v[0:1], v[62:63]
	ds_read_b128 v[62:65], v254 offset:1440
	ds_read_b128 v[66:69], v254 offset:1456
	;; [unrolled: 1-line block ×5, first 2 shown]
	s_waitcnt vmcnt(42) lgkmcnt(4)
	v_mul_f64 v[74:75], v[62:63], v[190:191]
	s_waitcnt vmcnt(40)
	v_fmac_f64_e32 v[74:75], v[64:65], v[192:193]
	v_add_f64 v[0:1], v[0:1], v[74:75]
	s_waitcnt lgkmcnt(3)
	v_mul_f64 v[74:75], v[66:67], v[164:165]
	v_fmac_f64_e32 v[74:75], v[68:69], v[168:169]
	v_add_f64 v[0:1], v[0:1], v[74:75]
	ds_read_b128 v[74:77], v254 offset:1488
	s_waitcnt vmcnt(34) lgkmcnt(3)
	v_mul_f64 v[86:87], v[70:71], v[194:195]
	s_waitcnt vmcnt(32)
	v_fmac_f64_e32 v[86:87], v[72:73], v[196:197]
	v_add_f64 v[0:1], v[0:1], v[86:87]
	ds_read_b128 v[90:93], v254 offset:1552
	s_waitcnt lgkmcnt(1)
	v_mul_f64 v[86:87], v[74:75], v[172:173]
	v_fmac_f64_e32 v[86:87], v[76:77], v[176:177]
	v_add_f64 v[0:1], v[0:1], v[86:87]
	s_waitcnt vmcnt(26)
	v_mul_f64 v[86:87], v[78:79], v[198:199]
	s_waitcnt vmcnt(24)
	v_fmac_f64_e32 v[86:87], v[80:81], v[200:201]
	v_add_f64 v[0:1], v[0:1], v[86:87]
	v_mul_f64 v[86:87], v[82:83], v[180:181]
	v_fmac_f64_e32 v[86:87], v[84:85], v[184:185]
	v_add_f64 v[0:1], v[0:1], v[86:87]
	ds_read_b128 v[86:89], v254 offset:1536
	ds_read_b128 v[94:97], v254 offset:1568
	v_accvgpr_write_b32 a159, v3
	v_accvgpr_write_b32 a158, v2
	v_fma_f64 v[2:3], v[240:241], v[104:105], -v[102:103]
	ds_read_b128 v[102:105], v254 offset:1600
	v_add_f64 v[210:211], v[210:211], 0
	v_add_f64 v[210:211], v[210:211], v[218:219]
	;; [unrolled: 1-line block ×9, first 2 shown]
	v_mul_f64 v[2:3], v[120:121], v[4:5]
	v_accvgpr_read_b32 v4, a158
	v_accvgpr_read_b32 v5, a159
	v_fma_f64 v[2:3], v[118:119], v[4:5], -v[2:3]
	s_waitcnt vmcnt(22) lgkmcnt(2)
	v_mul_f64 v[98:99], v[86:87], v[202:203]
	s_waitcnt vmcnt(20)
	v_fmac_f64_e32 v[98:99], v[88:89], v[204:205]
	v_add_f64 v[0:1], v[0:1], v[98:99]
	s_waitcnt vmcnt(17)
	v_mul_f64 v[98:99], v[90:91], v[206:207]
	s_waitcnt vmcnt(16)
	v_fmac_f64_e32 v[98:99], v[92:93], v[208:209]
	v_add_f64 v[0:1], v[0:1], v[98:99]
	ds_read_b128 v[98:101], v254 offset:1584
	s_waitcnt vmcnt(14) lgkmcnt(2)
	v_mul_f64 v[110:111], v[94:95], v[222:223]
	s_waitcnt vmcnt(12)
	v_fmac_f64_e32 v[110:111], v[96:97], v[226:227]
	v_add_f64 v[110:111], v[0:1], v[110:111]
	v_mul_f64 v[0:1], v[246:247], v[106:107]
	v_fma_f64 v[0:1], v[244:245], v[108:109], -v[0:1]
	ds_read_b128 v[106:109], v254 offset:1616
	buffer_load_dword v237, off, s[0:3], 0 offset:828
	buffer_load_dword v236, off, s[0:3], 0 offset:824
	;; [unrolled: 1-line block ×4, first 2 shown]
	s_waitcnt vmcnt(14) lgkmcnt(1)
	v_mul_f64 v[112:113], v[98:99], v[224:225]
	s_waitcnt vmcnt(12)
	v_fmac_f64_e32 v[112:113], v[100:101], v[228:229]
	v_add_f64 v[110:111], v[110:111], v[112:113]
	s_waitcnt vmcnt(9)
	v_mul_f64 v[112:113], v[102:103], v[232:233]
	s_waitcnt vmcnt(7)
	v_fmac_f64_e32 v[112:113], v[104:105], v[234:235]
	v_add_f64 v[110:111], v[110:111], v[112:113]
	s_waitcnt vmcnt(5) lgkmcnt(0)
	v_mul_f64 v[112:113], v[106:107], v[212:213]
	s_waitcnt vmcnt(4)
	v_fmac_f64_e32 v[112:113], v[108:109], v[230:231]
	v_add_f64 v[114:115], v[110:111], v[112:113]
	ds_read_b128 v[110:113], v254 offset:1632
	buffer_load_dword v242, off, s[0:3], 0 offset:840
	buffer_load_dword v243, off, s[0:3], 0 offset:844
	;; [unrolled: 1-line block ×4, first 2 shown]
	v_add_f64 v[0:1], v[252:253], v[0:1]
	v_add_f64 v[0:1], v[0:1], v[2:3]
	v_mul_f64 v[2:3], v[8:9], v[126:127]
	v_fma_f64 v[2:3], v[6:7], v[142:143], -v[2:3]
	v_add_f64 v[0:1], v[0:1], v[2:3]
	v_mul_f64 v[2:3], v[12:13], v[122:123]
	v_fma_f64 v[2:3], v[10:11], v[124:125], -v[2:3]
	;; [unrolled: 3-line block ×21, first 2 shown]
	v_add_f64 v[0:1], v[0:1], v[2:3]
	v_mul_f64 v[2:3], v[92:93], v[206:207]
	s_waitcnt vmcnt(6) lgkmcnt(0)
	v_mul_f64 v[116:117], v[110:111], v[236:237]
	v_fma_f64 v[2:3], v[90:91], v[208:209], -v[2:3]
	s_waitcnt vmcnt(4)
	v_fmac_f64_e32 v[116:117], v[112:113], v[238:239]
	v_add_f64 v[240:241], v[114:115], v[116:117]
	ds_read_b128 v[114:117], v254 offset:1648
	buffer_load_dword v248, off, s[0:3], 0 offset:208
	buffer_load_dword v249, off, s[0:3], 0 offset:212
	v_add_f64 v[0:1], v[0:1], v[2:3]
	v_mul_f64 v[2:3], v[96:97], v[222:223]
	v_fma_f64 v[2:3], v[94:95], v[226:227], -v[2:3]
	v_add_f64 v[0:1], v[0:1], v[2:3]
	v_mul_f64 v[2:3], v[100:101], v[224:225]
	s_waitcnt vmcnt(4) lgkmcnt(0)
	v_mul_f64 v[246:247], v[114:115], v[242:243]
	v_fma_f64 v[2:3], v[98:99], v[228:229], -v[2:3]
	s_waitcnt vmcnt(2)
	v_fmac_f64_e32 v[246:247], v[116:117], v[244:245]
	v_add_f64 v[240:241], v[240:241], v[246:247]
	buffer_load_dword v246, off, s[0:3], 0 offset:216
	buffer_load_dword v247, off, s[0:3], 0 offset:220
	v_add_f64 v[0:1], v[0:1], v[2:3]
	v_mul_f64 v[2:3], v[104:105], v[232:233]
	v_fma_f64 v[2:3], v[102:103], v[234:235], -v[2:3]
	v_add_f64 v[0:1], v[0:1], v[2:3]
	v_mul_f64 v[2:3], v[108:109], v[212:213]
	v_fma_f64 v[2:3], v[106:107], v[230:231], -v[2:3]
	;; [unrolled: 3-line block ×4, first 2 shown]
	v_add_f64 v[0:1], v[0:1], v[2:3]
	s_waitcnt vmcnt(2)
	v_add_f64 v[0:1], v[248:249], -v[0:1]
	s_waitcnt vmcnt(0)
	v_add_f64 v[2:3], v[246:247], -v[240:241]
	buffer_store_dword v1, off, s[0:3], 0 offset:212
	buffer_store_dword v0, off, s[0:3], 0 offset:208
	;; [unrolled: 1-line block ×4, first 2 shown]
	s_and_saveexec_b64 s[4:5], vcc
	s_cbranch_execz .LBB115_303
; %bb.302:
	v_accvgpr_read_b32 v0, a144
	buffer_load_dword v2, v0, s[0:3], 0 offen
	buffer_load_dword v3, v0, s[0:3], 0 offen offset:4
	buffer_load_dword v4, v0, s[0:3], 0 offen offset:8
	;; [unrolled: 1-line block ×3, first 2 shown]
	v_accvgpr_read_b32 v0, a156
	buffer_store_dword v254, off, s[0:3], 0 offset:192
	buffer_store_dword v254, off, s[0:3], 0 offset:196
	;; [unrolled: 1-line block ×4, first 2 shown]
	s_waitcnt vmcnt(4)
	ds_write_b128 v0, v[2:5]
.LBB115_303:
	s_or_b64 exec, exec, s[4:5]
	s_waitcnt lgkmcnt(0)
	; wave barrier
	s_waitcnt lgkmcnt(0)
	buffer_load_dword v56, off, s[0:3], 0 offset:208
	buffer_load_dword v57, off, s[0:3], 0 offset:212
	;; [unrolled: 1-line block ×42, first 2 shown]
	ds_read_b128 v[78:81], v254 offset:1024
	ds_read_b128 v[90:93], v254 offset:1040
	;; [unrolled: 1-line block ×10, first 2 shown]
	buffer_load_dword v1, off, s[0:3], 0 offset:356
	buffer_load_dword v0, off, s[0:3], 0 offset:352
	ds_read_b128 v[106:109], v254 offset:1184
	buffer_load_dword v3, off, s[0:3], 0 offset:412
	buffer_load_dword v2, off, s[0:3], 0 offset:408
	s_waitcnt vmcnt(38) lgkmcnt(9)
	v_mul_f64 v[4:5], v[90:91], v[62:63]
	v_fmac_f64_e32 v[4:5], v[92:93], v[54:55]
	s_waitcnt vmcnt(36) lgkmcnt(8)
	v_mul_f64 v[6:7], v[114:115], v[58:59]
	v_mul_f64 v[58:59], v[116:117], v[58:59]
	s_waitcnt vmcnt(34) lgkmcnt(6)
	v_mul_f64 v[10:11], v[236:237], v[70:71]
	v_mul_f64 v[70:71], v[238:239], v[70:71]
	s_waitcnt vmcnt(32)
	v_fmac_f64_e32 v[10:11], v[238:239], v[72:73]
	s_waitcnt vmcnt(30)
	v_mul_f64 v[8:9], v[214:215], v[64:65]
	s_waitcnt vmcnt(28) lgkmcnt(4)
	v_mul_f64 v[14:15], v[244:245], v[82:83]
	v_mul_f64 v[82:83], v[246:247], v[82:83]
	s_waitcnt vmcnt(26)
	v_fmac_f64_e32 v[14:15], v[246:247], v[84:85]
	v_fma_f64 v[246:247], v[244:245], v[84:85], -v[82:83]
	s_waitcnt vmcnt(24)
	v_mul_f64 v[12:13], v[240:241], v[74:75]
	v_mul_f64 v[74:75], v[242:243], v[74:75]
	s_waitcnt vmcnt(22) lgkmcnt(2)
	v_mul_f64 v[18:19], v[218:219], v[94:95]
	v_mul_f64 v[94:95], v[220:221], v[94:95]
	s_waitcnt vmcnt(19)
	v_mul_f64 v[16:17], v[248:249], v[86:87]
	v_mul_f64 v[86:87], v[250:251], v[86:87]
	s_waitcnt vmcnt(17) lgkmcnt(1)
	v_mul_f64 v[20:21], v[98:99], v[102:103]
	s_waitcnt vmcnt(15)
	v_fmac_f64_e32 v[6:7], v[116:117], v[68:69]
	s_waitcnt vmcnt(13)
	v_fmac_f64_e32 v[8:9], v[216:217], v[66:67]
	;; [unrolled: 2-line block ×3, first 2 shown]
	v_fma_f64 v[240:241], v[240:241], v[76:77], -v[74:75]
	s_waitcnt vmcnt(9)
	v_fmac_f64_e32 v[16:17], v[250:251], v[88:89]
	s_waitcnt vmcnt(8)
	v_fmac_f64_e32 v[18:19], v[220:221], v[96:97]
	v_fma_f64 v[248:249], v[248:249], v[88:89], -v[86:87]
	v_fma_f64 v[218:219], v[218:219], v[96:97], -v[94:95]
	s_waitcnt vmcnt(2)
	v_fmac_f64_e32 v[20:21], v[100:101], v[0:1]
	v_mul_f64 v[100:101], v[100:101], v[102:103]
	s_waitcnt vmcnt(0)
	v_pk_mov_b32 v[22:23], v[2:3], v[2:3] op_sel:[0,1]
	buffer_load_dword v3, off, s[0:3], 0 offset:404
	buffer_load_dword v2, off, s[0:3], 0 offset:400
	;; [unrolled: 1-line block ×78, first 2 shown]
	ds_read_b128 v[118:121], v254 offset:1200
	v_accvgpr_write_b32 a159, v23
	v_accvgpr_write_b32 a158, v22
	v_fma_f64 v[250:251], v[98:99], v[0:1], -v[100:101]
	s_waitcnt vmcnt(62)
	v_pk_mov_b32 v[24:25], v[2:3], v[2:3] op_sel:[0,1]
	v_mul_f64 v[2:3], v[78:79], v[60:61]
	v_fmac_f64_e32 v[2:3], v[80:81], v[56:57]
	v_add_f64 v[2:3], v[2:3], 0
	v_add_f64 v[2:3], v[2:3], v[4:5]
	;; [unrolled: 1-line block ×9, first 2 shown]
	s_waitcnt lgkmcnt(1)
	v_mul_f64 v[8:9], v[106:107], v[110:111]
	v_add_f64 v[6:7], v[2:3], v[20:21]
	v_fmac_f64_e32 v[8:9], v[108:109], v[112:113]
	v_add_f64 v[10:11], v[6:7], v[8:9]
	ds_read_b128 v[6:9], v254 offset:1216
	s_waitcnt lgkmcnt(1)
	v_mul_f64 v[12:13], v[118:119], v[122:123]
	v_fmac_f64_e32 v[12:13], v[120:121], v[138:139]
	v_add_f64 v[14:15], v[10:11], v[12:13]
	ds_read_b128 v[10:13], v254 offset:1232
	s_waitcnt lgkmcnt(1)
	v_mul_f64 v[16:17], v[6:7], v[22:23]
	;; [unrolled: 5-line block ×3, first 2 shown]
	v_fmac_f64_e32 v[20:21], v[12:13], v[146:147]
	v_add_f64 v[22:23], v[18:19], v[20:21]
	ds_read_b128 v[18:21], v254 offset:1264
	v_accvgpr_write_b32 a161, v25
	v_accvgpr_write_b32 a160, v24
	s_waitcnt lgkmcnt(1)
	v_mul_f64 v[24:25], v[14:15], v[124:125]
	v_fmac_f64_e32 v[24:25], v[16:17], v[126:127]
	v_add_f64 v[26:27], v[22:23], v[24:25]
	ds_read_b128 v[22:25], v254 offset:1280
	s_waitcnt vmcnt(58) lgkmcnt(1)
	v_mul_f64 v[28:29], v[18:19], v[150:151]
	s_waitcnt vmcnt(56)
	v_fmac_f64_e32 v[28:29], v[20:21], v[154:155]
	v_add_f64 v[30:31], v[26:27], v[28:29]
	ds_read_b128 v[26:29], v254 offset:1296
	s_waitcnt lgkmcnt(1)
	v_mul_f64 v[32:33], v[22:23], v[128:129]
	v_fmac_f64_e32 v[32:33], v[24:25], v[130:131]
	v_add_f64 v[34:35], v[30:31], v[32:33]
	ds_read_b128 v[30:33], v254 offset:1312
	s_waitcnt vmcnt(50) lgkmcnt(1)
	v_mul_f64 v[36:37], v[26:27], v[158:159]
	s_waitcnt vmcnt(48)
	v_fmac_f64_e32 v[36:37], v[28:29], v[162:163]
	v_add_f64 v[38:39], v[34:35], v[36:37]
	ds_read_b128 v[34:37], v254 offset:1328
	;; [unrolled: 11-line block ×4, first 2 shown]
	buffer_load_dword v198, off, s[0:3], 0 offset:728
	buffer_load_dword v203, off, s[0:3], 0 offset:716
	;; [unrolled: 1-line block ×8, first 2 shown]
	s_waitcnt lgkmcnt(1)
	v_mul_f64 v[206:207], v[46:47], v[144:145]
	v_fmac_f64_e32 v[206:207], v[48:49], v[148:149]
	v_add_f64 v[104:105], v[104:105], v[206:207]
	buffer_load_dword v207, off, s[0:3], 0 offset:748
	buffer_load_dword v206, off, s[0:3], 0 offset:744
	;; [unrolled: 1-line block ×20, first 2 shown]
	v_mul_f64 v[60:61], v[80:81], v[60:61]
	s_waitcnt vmcnt(54) lgkmcnt(0)
	v_mul_f64 v[210:211], v[50:51], v[182:183]
	v_fma_f64 v[252:253], v[78:79], v[56:57], -v[60:61]
	v_mul_f64 v[56:57], v[92:93], v[62:63]
	v_fma_f64 v[2:3], v[90:91], v[54:55], -v[56:57]
	s_waitcnt vmcnt(52)
	v_fmac_f64_e32 v[210:211], v[52:53], v[184:185]
	ds_read_b128 v[54:57], v254 offset:1408
	v_add_f64 v[4:5], v[104:105], v[210:211]
	v_fma_f64 v[210:211], v[114:115], v[68:69], -v[58:59]
	ds_read_b128 v[58:61], v254 offset:1424
	v_mul_f64 v[62:63], v[216:217], v[64:65]
	v_fma_f64 v[214:215], v[214:215], v[66:67], -v[62:63]
	ds_read_b128 v[62:65], v254 offset:1440
	s_waitcnt lgkmcnt(2)
	v_mul_f64 v[68:69], v[54:55], v[152:153]
	v_fmac_f64_e32 v[68:69], v[56:57], v[156:157]
	s_waitcnt vmcnt(46) lgkmcnt(1)
	v_mul_f64 v[66:67], v[58:59], v[186:187]
	v_add_f64 v[4:5], v[4:5], v[68:69]
	s_waitcnt vmcnt(44)
	v_fmac_f64_e32 v[66:67], v[60:61], v[188:189]
	v_add_f64 v[4:5], v[4:5], v[66:67]
	v_fma_f64 v[216:217], v[236:237], v[72:73], -v[70:71]
	ds_read_b128 v[70:73], v254 offset:1472
	s_waitcnt lgkmcnt(1)
	v_mul_f64 v[66:67], v[62:63], v[160:161]
	v_fmac_f64_e32 v[66:67], v[64:65], v[164:165]
	v_add_f64 v[4:5], v[4:5], v[66:67]
	ds_read_b128 v[66:69], v254 offset:1456
	ds_read_b128 v[74:77], v254 offset:1488
	;; [unrolled: 1-line block ×5, first 2 shown]
	s_waitcnt vmcnt(38) lgkmcnt(4)
	v_mul_f64 v[78:79], v[66:67], v[190:191]
	s_waitcnt vmcnt(36)
	v_fmac_f64_e32 v[78:79], v[68:69], v[192:193]
	v_add_f64 v[4:5], v[4:5], v[78:79]
	v_mul_f64 v[78:79], v[70:71], v[168:169]
	v_fmac_f64_e32 v[78:79], v[72:73], v[172:173]
	v_add_f64 v[4:5], v[4:5], v[78:79]
	s_waitcnt vmcnt(30) lgkmcnt(3)
	v_mul_f64 v[78:79], v[74:75], v[194:195]
	s_waitcnt vmcnt(28)
	v_fmac_f64_e32 v[78:79], v[76:77], v[196:197]
	v_add_f64 v[4:5], v[4:5], v[78:79]
	ds_read_b128 v[78:81], v254 offset:1504
	ds_read_b128 v[98:101], v254 offset:1584
	s_waitcnt lgkmcnt(1)
	v_mul_f64 v[90:91], v[78:79], v[176:177]
	v_fmac_f64_e32 v[90:91], v[80:81], v[180:181]
	v_add_f64 v[4:5], v[4:5], v[90:91]
	s_waitcnt vmcnt(25)
	v_mul_f64 v[90:91], v[82:83], v[202:203]
	s_waitcnt vmcnt(23)
	v_fmac_f64_e32 v[90:91], v[84:85], v[204:205]
	v_add_f64 v[4:5], v[4:5], v[90:91]
	s_waitcnt vmcnt(21)
	v_mul_f64 v[90:91], v[86:87], v[198:199]
	s_waitcnt vmcnt(20)
	v_fmac_f64_e32 v[90:91], v[88:89], v[200:201]
	v_add_f64 v[4:5], v[4:5], v[90:91]
	ds_read_b128 v[90:93], v254 offset:1552
	s_waitcnt vmcnt(18) lgkmcnt(0)
	v_mul_f64 v[104:105], v[90:91], v[206:207]
	s_waitcnt vmcnt(16)
	v_fmac_f64_e32 v[104:105], v[92:93], v[208:209]
	v_add_f64 v[0:1], v[4:5], v[104:105]
	s_waitcnt vmcnt(14)
	v_mul_f64 v[4:5], v[94:95], v[222:223]
	s_waitcnt vmcnt(12)
	v_fmac_f64_e32 v[4:5], v[96:97], v[224:225]
	ds_read_b128 v[102:105], v254 offset:1600
	v_add_f64 v[4:5], v[0:1], v[4:5]
	v_mul_f64 v[0:1], v[108:109], v[110:111]
	v_fma_f64 v[0:1], v[106:107], v[112:113], -v[0:1]
	ds_read_b128 v[106:109], v254 offset:1616
	buffer_load_dword v236, off, s[0:3], 0 offset:824
	buffer_load_dword v237, off, s[0:3], 0 offset:828
	;; [unrolled: 1-line block ×4, first 2 shown]
	s_waitcnt vmcnt(13)
	v_mul_f64 v[110:111], v[98:99], v[228:229]
	s_waitcnt vmcnt(11)
	v_fmac_f64_e32 v[110:111], v[100:101], v[232:233]
	v_add_f64 v[4:5], v[4:5], v[110:111]
	s_waitcnt vmcnt(9) lgkmcnt(1)
	v_mul_f64 v[110:111], v[102:103], v[212:213]
	s_waitcnt vmcnt(8)
	v_fmac_f64_e32 v[110:111], v[104:105], v[226:227]
	v_add_f64 v[4:5], v[4:5], v[110:111]
	s_waitcnt vmcnt(6) lgkmcnt(0)
	v_mul_f64 v[110:111], v[106:107], v[230:231]
	s_waitcnt vmcnt(4)
	v_fmac_f64_e32 v[110:111], v[108:109], v[234:235]
	v_add_f64 v[4:5], v[4:5], v[110:111]
	ds_read_b128 v[110:113], v254 offset:1632
	buffer_load_dword v243, off, s[0:3], 0 offset:844
	buffer_load_dword v242, off, s[0:3], 0 offset:840
	buffer_load_dword v245, off, s[0:3], 0 offset:836
	buffer_load_dword v244, off, s[0:3], 0 offset:832
	s_waitcnt vmcnt(6) lgkmcnt(0)
	v_mul_f64 v[114:115], v[110:111], v[236:237]
	s_waitcnt vmcnt(4)
	v_fmac_f64_e32 v[114:115], v[112:113], v[238:239]
	v_add_f64 v[4:5], v[4:5], v[114:115]
	ds_read_b128 v[114:117], v254 offset:1648
	s_waitcnt vmcnt(2) lgkmcnt(0)
	v_mul_f64 v[220:221], v[114:115], v[242:243]
	s_waitcnt vmcnt(0)
	v_fmac_f64_e32 v[220:221], v[116:117], v[244:245]
	v_add_f64 v[4:5], v[4:5], v[220:221]
	v_add_f64 v[220:221], v[252:253], 0
	;; [unrolled: 1-line block ×9, first 2 shown]
	buffer_load_dword v248, off, s[0:3], 0 offset:192
	buffer_load_dword v249, off, s[0:3], 0 offset:196
	;; [unrolled: 1-line block ×4, first 2 shown]
	v_add_f64 v[254:255], v[2:3], v[218:219]
	v_add_f64 v[2:3], v[254:255], v[250:251]
	;; [unrolled: 1-line block ×3, first 2 shown]
	v_mul_f64 v[2:3], v[120:121], v[122:123]
	v_fma_f64 v[2:3], v[118:119], v[138:139], -v[2:3]
	v_add_f64 v[0:1], v[0:1], v[2:3]
	v_accvgpr_read_b32 v2, a158
	v_accvgpr_read_b32 v3, a159
	v_mul_f64 v[2:3], v[8:9], v[2:3]
	v_accvgpr_read_b32 v8, a160
	v_accvgpr_read_b32 v9, a161
	v_fma_f64 v[2:3], v[6:7], v[8:9], -v[2:3]
	v_add_f64 v[0:1], v[0:1], v[2:3]
	v_mul_f64 v[2:3], v[12:13], v[142:143]
	v_fma_f64 v[2:3], v[10:11], v[146:147], -v[2:3]
	v_add_f64 v[0:1], v[0:1], v[2:3]
	v_mul_f64 v[2:3], v[16:17], v[124:125]
	;; [unrolled: 3-line block ×27, first 2 shown]
	v_fma_f64 v[2:3], v[114:115], v[244:245], -v[2:3]
	v_add_f64 v[0:1], v[0:1], v[2:3]
	v_accvgpr_read_b32 v255, a155
	s_waitcnt vmcnt(2)
	v_add_f64 v[0:1], v[248:249], -v[0:1]
	v_cmp_lt_u32_e32 vcc, 10, v255
	s_waitcnt vmcnt(0)
	v_add_f64 v[2:3], v[246:247], -v[4:5]
	buffer_store_dword v1, off, s[0:3], 0 offset:196
	buffer_store_dword v0, off, s[0:3], 0 offset:192
	buffer_store_dword v3, off, s[0:3], 0 offset:204
	buffer_store_dword v2, off, s[0:3], 0 offset:200
	s_and_saveexec_b64 s[4:5], vcc
	s_cbranch_execz .LBB115_305
; %bb.304:
	v_accvgpr_read_b32 v0, a145
	buffer_load_dword v2, v0, s[0:3], 0 offen
	buffer_load_dword v3, v0, s[0:3], 0 offen offset:4
	buffer_load_dword v4, v0, s[0:3], 0 offen offset:8
	;; [unrolled: 1-line block ×3, first 2 shown]
	v_mov_b32_e32 v0, 0
	v_accvgpr_read_b32 v1, a156
	buffer_store_dword v0, off, s[0:3], 0 offset:176
	buffer_store_dword v0, off, s[0:3], 0 offset:180
	;; [unrolled: 1-line block ×4, first 2 shown]
	s_waitcnt vmcnt(4)
	ds_write_b128 v1, v[2:5]
.LBB115_305:
	s_or_b64 exec, exec, s[4:5]
	s_waitcnt lgkmcnt(0)
	; wave barrier
	s_waitcnt lgkmcnt(0)
	buffer_load_dword v54, off, s[0:3], 0 offset:192
	buffer_load_dword v55, off, s[0:3], 0 offset:196
	;; [unrolled: 1-line block ×46, first 2 shown]
	v_mov_b32_e32 v254, 0
	v_cmp_lt_u32_e32 vcc, 9, v255
	s_waitcnt vmcnt(0)
	v_pk_mov_b32 v[20:21], v[0:1], v[0:1] op_sel:[0,1]
	buffer_load_dword v1, off, s[0:3], 0 offset:388
	buffer_load_dword v0, off, s[0:3], 0 offset:384
	;; [unrolled: 1-line block ×3, first 2 shown]
	ds_read_b128 v[94:97], v254 offset:1008
	ds_read_b128 v[108:111], v254 offset:1024
	;; [unrolled: 1-line block ×11, first 2 shown]
	buffer_load_dword v106, off, s[0:3], 0 offset:376
	buffer_load_dword v211, off, s[0:3], 0 offset:372
	;; [unrolled: 1-line block ×75, first 2 shown]
	s_waitcnt lgkmcnt(9)
	v_mul_f64 v[2:3], v[108:109], v[116:117]
	s_waitcnt lgkmcnt(8)
	v_mul_f64 v[4:5], v[112:113], v[60:61]
	v_fmac_f64_e32 v[2:3], v[110:111], v[58:59]
	s_waitcnt lgkmcnt(7)
	v_mul_f64 v[6:7], v[214:215], v[68:69]
	v_fmac_f64_e32 v[4:5], v[114:115], v[84:85]
	;; [unrolled: 3-line block ×5, first 2 shown]
	ds_read_b128 v[62:65], v254 offset:1184
	ds_read_b128 v[118:121], v254 offset:1200
	s_waitcnt lgkmcnt(5)
	v_mul_f64 v[14:15], v[244:245], v[78:79]
	v_fmac_f64_e32 v[12:13], v[242:243], v[76:77]
	s_waitcnt lgkmcnt(4)
	v_mul_f64 v[16:17], v[248:249], v[86:87]
	v_fmac_f64_e32 v[14:15], v[246:247], v[80:81]
	s_waitcnt lgkmcnt(3)
	v_mul_f64 v[18:19], v[232:233], v[90:91]
	v_fmac_f64_e32 v[16:17], v[250:251], v[88:89]
	v_fmac_f64_e32 v[18:19], v[234:235], v[92:93]
	v_accvgpr_write_b32 a159, v21
	v_accvgpr_write_b32 a158, v20
	v_mul_f64 v[74:75], v[242:243], v[74:75]
	v_fma_f64 v[240:241], v[240:241], v[76:77], -v[74:75]
	v_mul_f64 v[78:79], v[246:247], v[78:79]
	v_fma_f64 v[246:247], v[244:245], v[80:81], -v[78:79]
	;; [unrolled: 2-line block ×4, first 2 shown]
	s_waitcnt vmcnt(62)
	v_pk_mov_b32 v[22:23], v[0:1], v[0:1] op_sel:[0,1]
	v_mul_f64 v[0:1], v[94:95], v[56:57]
	v_fmac_f64_e32 v[0:1], v[96:97], v[54:55]
	v_add_f64 v[0:1], v[0:1], 0
	v_add_f64 v[0:1], v[0:1], v[2:3]
	;; [unrolled: 1-line block ×9, first 2 shown]
	s_waitcnt lgkmcnt(2)
	v_mul_f64 v[2:3], v[98:99], v[102:103]
	v_add_f64 v[0:1], v[0:1], v[18:19]
	v_fmac_f64_e32 v[2:3], v[100:101], v[104:105]
	s_waitcnt lgkmcnt(1)
	v_mul_f64 v[6:7], v[62:63], v[106:107]
	v_add_f64 v[0:1], v[0:1], v[2:3]
	v_fmac_f64_e32 v[6:7], v[64:65], v[210:211]
	s_waitcnt lgkmcnt(0)
	v_mul_f64 v[10:11], v[118:119], v[20:21]
	v_add_f64 v[0:1], v[0:1], v[6:7]
	ds_read_b128 v[6:9], v254 offset:1216
	v_fmac_f64_e32 v[10:11], v[120:121], v[22:23]
	v_add_f64 v[0:1], v[0:1], v[10:11]
	ds_read_b128 v[10:13], v254 offset:1232
	v_accvgpr_write_b32 a161, v23
	s_waitcnt lgkmcnt(1)
	v_mul_f64 v[14:15], v[6:7], v[138:139]
	v_fmac_f64_e32 v[14:15], v[8:9], v[142:143]
	v_add_f64 v[0:1], v[0:1], v[14:15]
	s_waitcnt lgkmcnt(0)
	v_mul_f64 v[18:19], v[10:11], v[122:123]
	ds_read_b128 v[14:17], v254 offset:1248
	v_fmac_f64_e32 v[18:19], v[12:13], v[124:125]
	v_add_f64 v[0:1], v[0:1], v[18:19]
	ds_read_b128 v[18:21], v254 offset:1264
	v_accvgpr_write_b32 a160, v22
	s_waitcnt vmcnt(58) lgkmcnt(1)
	v_mul_f64 v[22:23], v[14:15], v[146:147]
	s_waitcnt vmcnt(56)
	v_fmac_f64_e32 v[22:23], v[16:17], v[150:151]
	v_add_f64 v[0:1], v[0:1], v[22:23]
	s_waitcnt lgkmcnt(0)
	v_mul_f64 v[26:27], v[18:19], v[126:127]
	ds_read_b128 v[22:25], v254 offset:1280
	v_fmac_f64_e32 v[26:27], v[20:21], v[128:129]
	v_add_f64 v[0:1], v[0:1], v[26:27]
	ds_read_b128 v[26:29], v254 offset:1296
	v_mul_f64 v[56:57], v[96:97], v[56:57]
	s_waitcnt vmcnt(50) lgkmcnt(1)
	v_mul_f64 v[30:31], v[22:23], v[154:155]
	s_waitcnt vmcnt(48)
	v_fmac_f64_e32 v[30:31], v[24:25], v[158:159]
	v_add_f64 v[0:1], v[0:1], v[30:31]
	s_waitcnt lgkmcnt(0)
	v_mul_f64 v[34:35], v[26:27], v[130:131]
	ds_read_b128 v[30:33], v254 offset:1312
	v_fmac_f64_e32 v[34:35], v[28:29], v[132:133]
	v_add_f64 v[0:1], v[0:1], v[34:35]
	ds_read_b128 v[34:37], v254 offset:1328
	v_fma_f64 v[2:3], v[94:95], v[54:55], -v[56:57]
	s_waitcnt vmcnt(42) lgkmcnt(1)
	v_mul_f64 v[38:39], v[30:31], v[162:163]
	s_waitcnt vmcnt(40)
	v_fmac_f64_e32 v[38:39], v[32:33], v[166:167]
	v_add_f64 v[0:1], v[0:1], v[38:39]
	s_waitcnt lgkmcnt(0)
	v_mul_f64 v[42:43], v[34:35], v[134:135]
	ds_read_b128 v[38:41], v254 offset:1344
	v_fmac_f64_e32 v[42:43], v[36:37], v[136:137]
	v_add_f64 v[0:1], v[0:1], v[42:43]
	ds_read_b128 v[42:45], v254 offset:1360
	v_mul_f64 v[94:95], v[110:111], v[116:117]
	s_waitcnt vmcnt(34) lgkmcnt(1)
	v_mul_f64 v[46:47], v[38:39], v[170:171]
	s_waitcnt vmcnt(32)
	v_fmac_f64_e32 v[46:47], v[40:41], v[174:175]
	v_add_f64 v[0:1], v[0:1], v[46:47]
	s_waitcnt lgkmcnt(0)
	v_mul_f64 v[50:51], v[42:43], v[140:141]
	v_fmac_f64_e32 v[50:51], v[44:45], v[144:145]
	ds_read_b128 v[46:49], v254 offset:1376
	v_add_f64 v[0:1], v[0:1], v[50:51]
	ds_read_b128 v[50:53], v254 offset:1392
	buffer_load_dword v195, off, s[0:3], 0 offset:700
	buffer_load_dword v194, off, s[0:3], 0 offset:696
	;; [unrolled: 1-line block ×8, first 2 shown]
	s_waitcnt vmcnt(34) lgkmcnt(1)
	v_mul_f64 v[198:199], v[46:47], v[178:179]
	s_waitcnt vmcnt(32)
	v_fmac_f64_e32 v[198:199], v[48:49], v[180:181]
	v_add_f64 v[0:1], v[0:1], v[198:199]
	buffer_load_dword v199, off, s[0:3], 0 offset:748
	buffer_load_dword v205, off, s[0:3], 0 offset:732
	;; [unrolled: 1-line block ×8, first 2 shown]
	ds_read_b128 v[54:57], v254 offset:1408
	buffer_load_dword v213, off, s[0:3], 0 offset:764
	buffer_load_dword v212, off, s[0:3], 0 offset:760
	buffer_load_dword v223, off, s[0:3], 0 offset:756
	buffer_load_dword v222, off, s[0:3], 0 offset:752
	buffer_load_dword v224, off, s[0:3], 0 offset:776
	buffer_load_dword v226, off, s[0:3], 0 offset:768
	buffer_load_dword v225, off, s[0:3], 0 offset:780
	buffer_load_dword v227, off, s[0:3], 0 offset:772
	buffer_load_dword v229, off, s[0:3], 0 offset:796
	buffer_load_dword v228, off, s[0:3], 0 offset:792
	buffer_load_dword v231, off, s[0:3], 0 offset:788
	buffer_load_dword v230, off, s[0:3], 0 offset:784
	s_waitcnt lgkmcnt(1)
	v_mul_f64 v[4:5], v[50:51], v[148:149]
	v_fma_f64 v[94:95], v[108:109], v[58:59], -v[94:95]
	v_mul_f64 v[58:59], v[114:115], v[60:61]
	v_fma_f64 v[96:97], v[112:113], v[84:85], -v[58:59]
	v_fmac_f64_e32 v[4:5], v[52:53], v[152:153]
	s_waitcnt vmcnt(46) lgkmcnt(0)
	v_mul_f64 v[58:59], v[54:55], v[182:183]
	v_add_f64 v[0:1], v[0:1], v[4:5]
	v_mul_f64 v[4:5], v[216:217], v[68:69]
	s_waitcnt vmcnt(44)
	v_fmac_f64_e32 v[58:59], v[56:57], v[184:185]
	v_fma_f64 v[4:5], v[214:215], v[82:83], -v[4:5]
	buffer_load_dword v214, off, s[0:3], 0 offset:808
	buffer_load_dword v216, off, s[0:3], 0 offset:800
	buffer_load_dword v215, off, s[0:3], 0 offset:812
	buffer_load_dword v217, off, s[0:3], 0 offset:804
	v_add_f64 v[0:1], v[0:1], v[58:59]
	ds_read_b128 v[58:61], v254 offset:1424
	v_mul_f64 v[68:69], v[220:221], v[252:253]
	v_fma_f64 v[252:253], v[218:219], v[66:67], -v[68:69]
	ds_read_b128 v[218:221], v254 offset:1440
	v_mul_f64 v[66:67], v[238:239], v[70:71]
	v_fma_f64 v[108:109], v[236:237], v[72:73], -v[66:67]
	ds_read_b128 v[66:69], v254 offset:1456
	ds_read_b128 v[74:77], v254 offset:1488
	s_waitcnt lgkmcnt(3)
	v_mul_f64 v[82:83], v[58:59], v[156:157]
	v_fmac_f64_e32 v[82:83], v[60:61], v[160:161]
	s_waitcnt vmcnt(42) lgkmcnt(2)
	v_mul_f64 v[70:71], v[218:219], v[186:187]
	v_add_f64 v[0:1], v[0:1], v[82:83]
	s_waitcnt vmcnt(40)
	v_fmac_f64_e32 v[70:71], v[220:221], v[188:189]
	v_add_f64 v[0:1], v[0:1], v[70:71]
	s_waitcnt lgkmcnt(1)
	v_mul_f64 v[70:71], v[66:67], v[164:165]
	v_fmac_f64_e32 v[70:71], v[68:69], v[168:169]
	v_add_f64 v[0:1], v[0:1], v[70:71]
	ds_read_b128 v[70:73], v254 offset:1472
	ds_read_b128 v[78:81], v254 offset:1504
	;; [unrolled: 1-line block ×4, first 2 shown]
	v_mul_f64 v[100:101], v[100:101], v[102:103]
	s_waitcnt vmcnt(34) lgkmcnt(3)
	v_mul_f64 v[82:83], v[70:71], v[190:191]
	s_waitcnt vmcnt(32)
	v_fmac_f64_e32 v[82:83], v[72:73], v[192:193]
	v_add_f64 v[0:1], v[0:1], v[82:83]
	v_mul_f64 v[82:83], v[74:75], v[172:173]
	v_fmac_f64_e32 v[82:83], v[76:77], v[176:177]
	v_add_f64 v[0:1], v[0:1], v[82:83]
	v_fma_f64 v[236:237], v[98:99], v[104:105], -v[100:101]
	ds_read_b128 v[98:101], v254 offset:1584
	ds_read_b128 v[102:105], v254 offset:1600
	v_mul_f64 v[64:65], v[64:65], v[106:107]
	v_fma_f64 v[62:63], v[62:63], v[210:211], -v[64:65]
	v_accvgpr_write_b32 a163, v63
	v_accvgpr_write_b32 a162, v62
	v_add_f64 v[2:3], v[2:3], 0
	ds_read_b128 v[86:89], v254 offset:1536
	v_add_f64 v[2:3], v[2:3], v[94:95]
	v_add_f64 v[2:3], v[2:3], v[96:97]
	;; [unrolled: 1-line block ×9, first 2 shown]
	v_accvgpr_read_b32 v4, a158
	v_add_f64 v[252:253], v[2:3], v[236:237]
	v_accvgpr_read_b32 v2, a162
	v_accvgpr_read_b32 v5, a159
	v_accvgpr_read_b32 v94, a160
	v_accvgpr_read_b32 v3, a163
	v_mul_f64 v[4:5], v[120:121], v[4:5]
	v_accvgpr_read_b32 v95, a161
	v_add_f64 v[2:3], v[252:253], v[2:3]
	v_fma_f64 v[4:5], v[118:119], v[94:95], -v[4:5]
	v_add_f64 v[2:3], v[2:3], v[4:5]
	s_waitcnt vmcnt(30) lgkmcnt(5)
	v_mul_f64 v[82:83], v[78:79], v[194:195]
	v_mul_f64 v[4:5], v[8:9], v[138:139]
	s_waitcnt vmcnt(28)
	v_fmac_f64_e32 v[82:83], v[80:81], v[196:197]
	v_add_f64 v[0:1], v[0:1], v[82:83]
	ds_read_b128 v[82:85], v254 offset:1520
	s_waitcnt vmcnt(9) lgkmcnt(3)
	v_mul_f64 v[62:63], v[98:99], v[224:225]
	s_waitcnt vmcnt(8)
	v_fmac_f64_e32 v[62:63], v[100:101], v[226:227]
	v_fma_f64 v[4:5], v[6:7], v[142:143], -v[4:5]
	v_add_f64 v[2:3], v[2:3], v[4:5]
	s_waitcnt lgkmcnt(0)
	v_mul_f64 v[110:111], v[82:83], v[200:201]
	v_fmac_f64_e32 v[110:111], v[84:85], v[202:203]
	v_add_f64 v[0:1], v[0:1], v[110:111]
	v_mul_f64 v[110:111], v[86:87], v[204:205]
	v_fmac_f64_e32 v[110:111], v[88:89], v[208:209]
	v_add_f64 v[0:1], v[0:1], v[110:111]
	;; [unrolled: 3-line block ×4, first 2 shown]
	v_add_f64 v[0:1], v[0:1], v[62:63]
	s_waitcnt vmcnt(6)
	v_mul_f64 v[62:63], v[102:103], v[228:229]
	s_waitcnt vmcnt(4)
	v_fmac_f64_e32 v[62:63], v[104:105], v[230:231]
	v_add_f64 v[0:1], v[0:1], v[62:63]
	ds_read_b128 v[62:65], v254 offset:1616
	buffer_load_dword v211, off, s[0:3], 0 offset:828
	buffer_load_dword v210, off, s[0:3], 0 offset:824
	;; [unrolled: 1-line block ×4, first 2 shown]
	v_mul_f64 v[4:5], v[12:13], v[122:123]
	v_fma_f64 v[4:5], v[10:11], v[124:125], -v[4:5]
	v_add_f64 v[2:3], v[2:3], v[4:5]
	s_waitcnt vmcnt(5) lgkmcnt(0)
	v_mul_f64 v[110:111], v[62:63], v[214:215]
	s_waitcnt vmcnt(4)
	v_fmac_f64_e32 v[110:111], v[64:65], v[216:217]
	v_add_f64 v[0:1], v[0:1], v[110:111]
	ds_read_b128 v[110:113], v254 offset:1632
	buffer_load_dword v242, off, s[0:3], 0 offset:840
	buffer_load_dword v243, off, s[0:3], 0 offset:844
	buffer_load_dword v244, off, s[0:3], 0 offset:832
	buffer_load_dword v245, off, s[0:3], 0 offset:836
	v_mul_f64 v[4:5], v[16:17], v[146:147]
	v_fma_f64 v[4:5], v[14:15], v[150:151], -v[4:5]
	v_add_f64 v[2:3], v[2:3], v[4:5]
	v_mul_f64 v[4:5], v[20:21], v[126:127]
	v_fma_f64 v[4:5], v[18:19], v[128:129], -v[4:5]
	v_add_f64 v[2:3], v[2:3], v[4:5]
	;; [unrolled: 3-line block ×23, first 2 shown]
	s_waitcnt vmcnt(6) lgkmcnt(0)
	v_mul_f64 v[114:115], v[110:111], v[210:211]
	v_mul_f64 v[4:5], v[64:65], v[214:215]
	s_waitcnt vmcnt(4)
	v_fmac_f64_e32 v[114:115], v[112:113], v[238:239]
	v_add_f64 v[0:1], v[0:1], v[114:115]
	ds_read_b128 v[114:117], v254 offset:1648
	buffer_load_dword v248, off, s[0:3], 0 offset:176
	buffer_load_dword v249, off, s[0:3], 0 offset:180
	;; [unrolled: 1-line block ×4, first 2 shown]
	v_fma_f64 v[4:5], v[62:63], v[216:217], -v[4:5]
	v_add_f64 v[2:3], v[2:3], v[4:5]
	v_mul_f64 v[4:5], v[112:113], v[210:211]
	v_fma_f64 v[4:5], v[110:111], v[238:239], -v[4:5]
	v_add_f64 v[2:3], v[2:3], v[4:5]
	s_waitcnt vmcnt(6) lgkmcnt(0)
	v_mul_f64 v[4:5], v[116:117], v[242:243]
	v_mul_f64 v[106:107], v[114:115], v[242:243]
	s_waitcnt vmcnt(4)
	v_fma_f64 v[4:5], v[114:115], v[244:245], -v[4:5]
	v_fmac_f64_e32 v[106:107], v[116:117], v[244:245]
	v_add_f64 v[2:3], v[2:3], v[4:5]
	v_add_f64 v[0:1], v[0:1], v[106:107]
	s_waitcnt vmcnt(2)
	v_add_f64 v[2:3], v[248:249], -v[2:3]
	s_waitcnt vmcnt(0)
	v_add_f64 v[0:1], v[246:247], -v[0:1]
	buffer_store_dword v3, off, s[0:3], 0 offset:180
	buffer_store_dword v2, off, s[0:3], 0 offset:176
	buffer_store_dword v1, off, s[0:3], 0 offset:188
	buffer_store_dword v0, off, s[0:3], 0 offset:184
	s_and_saveexec_b64 s[4:5], vcc
	s_cbranch_execz .LBB115_307
; %bb.306:
	v_accvgpr_read_b32 v0, a146
	buffer_load_dword v2, v0, s[0:3], 0 offen
	buffer_load_dword v3, v0, s[0:3], 0 offen offset:4
	buffer_load_dword v4, v0, s[0:3], 0 offen offset:8
	;; [unrolled: 1-line block ×3, first 2 shown]
	v_accvgpr_read_b32 v0, a156
	buffer_store_dword v254, off, s[0:3], 0 offset:160
	buffer_store_dword v254, off, s[0:3], 0 offset:164
	;; [unrolled: 1-line block ×4, first 2 shown]
	s_waitcnt vmcnt(4)
	ds_write_b128 v0, v[2:5]
.LBB115_307:
	s_or_b64 exec, exec, s[4:5]
	s_waitcnt lgkmcnt(0)
	; wave barrier
	s_waitcnt lgkmcnt(0)
	buffer_load_dword v58, off, s[0:3], 0 offset:176
	buffer_load_dword v59, off, s[0:3], 0 offset:180
	;; [unrolled: 1-line block ×42, first 2 shown]
	ds_read_b128 v[110:113], v254 offset:992
	ds_read_b128 v[114:117], v254 offset:1008
	ds_read_b128 v[212:215], v254 offset:1024
	ds_read_b128 v[216:219], v254 offset:1040
	ds_read_b128 v[232:235], v254 offset:1056
	ds_read_b128 v[236:239], v254 offset:1072
	ds_read_b128 v[240:243], v254 offset:1088
	ds_read_b128 v[244:247], v254 offset:1104
	ds_read_b128 v[248:251], v254 offset:1120
	ds_read_b128 v[82:85], v254 offset:1136
	buffer_load_dword v1, off, s[0:3], 0 offset:324
	buffer_load_dword v0, off, s[0:3], 0 offset:320
	ds_read_b128 v[90:93], v254 offset:1152
	buffer_load_dword v105, off, s[0:3], 0 offset:380
	buffer_load_dword v104, off, s[0:3], 0 offset:376
	;; [unrolled: 1-line block ×6, first 2 shown]
	s_waitcnt vmcnt(46) lgkmcnt(10)
	v_mul_f64 v[2:3], v[110:111], v[60:61]
	v_fmac_f64_e32 v[2:3], v[112:113], v[58:59]
	v_add_f64 v[2:3], v[2:3], 0
	v_mul_f64 v[60:61], v[112:113], v[60:61]
	s_waitcnt vmcnt(42) lgkmcnt(9)
	v_mul_f64 v[4:5], v[114:115], v[62:63]
	v_fmac_f64_e32 v[4:5], v[116:117], v[56:57]
	v_add_f64 v[2:3], v[2:3], v[4:5]
	buffer_load_dword v253, off, s[0:3], 0 offset:356
	buffer_load_dword v252, off, s[0:3], 0 offset:352
	;; [unrolled: 1-line block ×4, first 2 shown]
	s_waitcnt vmcnt(44) lgkmcnt(8)
	v_mul_f64 v[6:7], v[212:213], v[54:55]
	s_waitcnt vmcnt(42) lgkmcnt(6)
	v_mul_f64 v[10:11], v[232:233], v[64:65]
	s_waitcnt vmcnt(40)
	v_fmac_f64_e32 v[10:11], v[234:235], v[66:67]
	v_mul_f64 v[54:55], v[214:215], v[54:55]
	s_waitcnt vmcnt(38)
	v_mul_f64 v[8:9], v[216:217], v[68:69]
	s_waitcnt vmcnt(36) lgkmcnt(4)
	v_mul_f64 v[14:15], v[240:241], v[70:71]
	s_waitcnt vmcnt(34)
	v_fmac_f64_e32 v[14:15], v[242:243], v[72:73]
	s_waitcnt vmcnt(32)
	v_mul_f64 v[12:13], v[236:237], v[74:75]
	s_waitcnt vmcnt(30) lgkmcnt(2)
	v_mul_f64 v[18:19], v[248:249], v[78:79]
	v_mul_f64 v[78:79], v[250:251], v[78:79]
	s_waitcnt vmcnt(27)
	v_mul_f64 v[16:17], v[244:245], v[76:77]
	s_waitcnt vmcnt(25) lgkmcnt(1)
	v_mul_f64 v[20:21], v[82:83], v[86:87]
	s_waitcnt vmcnt(23)
	v_fmac_f64_e32 v[6:7], v[214:215], v[100:101]
	v_add_f64 v[2:3], v[2:3], v[6:7]
	s_waitcnt vmcnt(21)
	v_fmac_f64_e32 v[8:9], v[218:219], v[98:99]
	v_add_f64 v[2:3], v[2:3], v[8:9]
	;; [unrolled: 3-line block ×3, first 2 shown]
	v_add_f64 v[2:3], v[2:3], v[12:13]
	s_waitcnt vmcnt(17)
	v_fmac_f64_e32 v[16:17], v[246:247], v[88:89]
	v_add_f64 v[2:3], v[2:3], v[14:15]
	s_waitcnt vmcnt(16)
	v_fmac_f64_e32 v[18:19], v[250:251], v[80:81]
	v_add_f64 v[2:3], v[2:3], v[16:17]
	v_add_f64 v[2:3], v[2:3], v[18:19]
	v_fma_f64 v[54:55], v[212:213], v[100:101], -v[54:55]
	s_waitcnt vmcnt(10)
	v_fmac_f64_e32 v[20:21], v[84:85], v[0:1]
	v_add_f64 v[2:3], v[2:3], v[20:21]
	v_fma_f64 v[248:249], v[248:249], v[80:81], -v[78:79]
	v_mul_f64 v[84:85], v[84:85], v[86:87]
	v_fma_f64 v[0:1], v[82:83], v[0:1], -v[84:85]
	s_waitcnt vmcnt(0)
	v_pk_mov_b32 v[18:19], v[4:5], v[4:5] op_sel:[0,1]
	buffer_load_dword v5, off, s[0:3], 0 offset:404
	buffer_load_dword v4, off, s[0:3], 0 offset:400
	v_accvgpr_write_b32 a159, v19
	v_accvgpr_write_b32 a158, v18
	s_waitcnt vmcnt(0)
	v_pk_mov_b32 v[22:23], v[4:5], v[4:5] op_sel:[0,1]
	buffer_load_dword v135, off, s[0:3], 0 offset:396
	buffer_load_dword v134, off, s[0:3], 0 offset:392
	;; [unrolled: 1-line block ×6, first 2 shown]
	v_accvgpr_write_b32 a161, v23
	v_accvgpr_write_b32 a160, v22
	s_waitcnt vmcnt(0)
	v_pk_mov_b32 v[26:27], v[4:5], v[4:5] op_sel:[0,1]
	buffer_load_dword v5, off, s[0:3], 0 offset:436
	buffer_load_dword v4, off, s[0:3], 0 offset:432
	v_accvgpr_write_b32 a163, v27
	v_accvgpr_write_b32 a162, v26
	s_waitcnt vmcnt(0)
	v_pk_mov_b32 v[28:29], v[4:5], v[4:5] op_sel:[0,1]
	buffer_load_dword v143, off, s[0:3], 0 offset:428
	buffer_load_dword v142, off, s[0:3], 0 offset:424
	;; [unrolled: 1-line block ×60, first 2 shown]
	ds_read_b128 v[118:121], v254 offset:1168
	ds_read_b128 v[222:225], v254 offset:1184
	;; [unrolled: 1-line block ×5, first 2 shown]
	v_accvgpr_write_b32 a165, v29
	s_waitcnt lgkmcnt(3)
	v_mul_f64 v[8:9], v[222:223], v[104:105]
	v_fmac_f64_e32 v[8:9], v[224:225], v[106:107]
	s_waitcnt lgkmcnt(2)
	v_mul_f64 v[12:13], v[126:127], v[134:135]
	v_fmac_f64_e32 v[12:13], v[128:129], v[138:139]
	;; [unrolled: 3-line block ×3, first 2 shown]
	v_accvgpr_write_b32 a164, v28
	s_waitcnt vmcnt(46)
	v_pk_mov_b32 v[42:43], v[4:5], v[4:5] op_sel:[0,1]
	v_mul_f64 v[4:5], v[90:91], v[96:97]
	v_fmac_f64_e32 v[4:5], v[92:93], v[102:103]
	v_add_f64 v[2:3], v[2:3], v[4:5]
	v_mul_f64 v[4:5], v[118:119], v[108:109]
	v_fmac_f64_e32 v[4:5], v[120:121], v[252:253]
	v_add_f64 v[6:7], v[2:3], v[4:5]
	v_add_f64 v[10:11], v[6:7], v[8:9]
	;; [unrolled: 1-line block ×4, first 2 shown]
	ds_read_b128 v[14:17], v254 offset:1248
	s_waitcnt lgkmcnt(1)
	v_mul_f64 v[20:21], v[122:123], v[142:143]
	v_fmac_f64_e32 v[20:21], v[124:125], v[146:147]
	v_add_f64 v[22:23], v[18:19], v[20:21]
	ds_read_b128 v[18:21], v254 offset:1264
	s_waitcnt lgkmcnt(1)
	v_mul_f64 v[24:25], v[14:15], v[26:27]
	v_fmac_f64_e32 v[24:25], v[16:17], v[28:29]
	v_add_f64 v[26:27], v[22:23], v[24:25]
	;; [unrolled: 5-line block ×4, first 2 shown]
	ds_read_b128 v[30:33], v254 offset:1312
	s_waitcnt vmcnt(42) lgkmcnt(1)
	v_mul_f64 v[36:37], v[26:27], v[158:159]
	s_waitcnt vmcnt(40)
	v_fmac_f64_e32 v[36:37], v[28:29], v[162:163]
	v_add_f64 v[38:39], v[34:35], v[36:37]
	ds_read_b128 v[34:37], v254 offset:1328
	s_waitcnt lgkmcnt(1)
	v_mul_f64 v[40:41], v[30:31], v[42:43]
	v_accvgpr_write_b32 a167, v43
	v_fmac_f64_e32 v[40:41], v[32:33], v[132:133]
	v_accvgpr_write_b32 a166, v42
	v_add_f64 v[42:43], v[38:39], v[40:41]
	ds_read_b128 v[38:41], v254 offset:1344
	s_waitcnt vmcnt(34) lgkmcnt(1)
	v_mul_f64 v[44:45], v[34:35], v[166:167]
	s_waitcnt vmcnt(32)
	v_fmac_f64_e32 v[44:45], v[36:37], v[170:171]
	v_add_f64 v[46:47], v[42:43], v[44:45]
	ds_read_b128 v[42:45], v254 offset:1360
	s_waitcnt lgkmcnt(1)
	v_mul_f64 v[48:49], v[38:39], v[136:137]
	v_fmac_f64_e32 v[48:49], v[40:41], v[140:141]
	v_add_f64 v[50:51], v[46:47], v[48:49]
	ds_read_b128 v[46:49], v254 offset:1376
	s_waitcnt vmcnt(26) lgkmcnt(1)
	v_mul_f64 v[52:53], v[42:43], v[174:175]
	s_waitcnt vmcnt(24)
	v_fmac_f64_e32 v[52:53], v[44:45], v[176:177]
	v_add_f64 v[2:3], v[50:51], v[52:53]
	ds_read_b128 v[50:53], v254 offset:1392
	buffer_load_dword v13, off, s[0:3], 0 offset:684
	buffer_load_dword v12, off, s[0:3], 0 offset:680
	;; [unrolled: 1-line block ×20, first 2 shown]
	v_fma_f64 v[6:7], v[110:111], v[58:59], -v[60:61]
	v_mul_f64 v[58:59], v[116:117], v[62:63]
	v_fma_f64 v[226:227], v[114:115], v[56:57], -v[58:59]
	v_mul_f64 v[56:57], v[218:219], v[68:69]
	v_fma_f64 v[56:57], v[216:217], v[98:99], -v[56:57]
	buffer_load_dword v214, off, s[0:3], 0 offset:760
	buffer_load_dword v216, off, s[0:3], 0 offset:752
	;; [unrolled: 1-line block ×12, first 2 shown]
	s_waitcnt lgkmcnt(1)
	v_mul_f64 v[4:5], v[46:47], v[144:145]
	v_fmac_f64_e32 v[4:5], v[48:49], v[148:149]
	v_add_f64 v[58:59], v[2:3], v[4:5]
	v_mul_f64 v[2:3], v[234:235], v[64:65]
	v_fma_f64 v[2:3], v[232:233], v[66:67], -v[2:3]
	buffer_load_dword v233, off, s[0:3], 0 offset:812
	buffer_load_dword v232, off, s[0:3], 0 offset:808
	;; [unrolled: 1-line block ×4, first 2 shown]
	ds_read_b128 v[8:11], v254 offset:1408
	s_waitcnt vmcnt(54) lgkmcnt(1)
	v_mul_f64 v[4:5], v[50:51], v[178:179]
	s_waitcnt vmcnt(52)
	v_fmac_f64_e32 v[4:5], v[52:53], v[180:181]
	v_add_f64 v[4:5], v[58:59], v[4:5]
	v_mul_f64 v[58:59], v[238:239], v[74:75]
	v_fma_f64 v[94:95], v[236:237], v[94:95], -v[58:59]
	ds_read_b128 v[58:61], v254 offset:1424
	s_waitcnt lgkmcnt(1)
	v_mul_f64 v[62:63], v[8:9], v[152:153]
	v_fmac_f64_e32 v[62:63], v[10:11], v[156:157]
	v_add_f64 v[4:5], v[4:5], v[62:63]
	ds_read_b128 v[62:65], v254 offset:1440
	v_mul_f64 v[66:67], v[242:243], v[70:71]
	s_waitcnt vmcnt(46) lgkmcnt(1)
	v_mul_f64 v[70:71], v[58:59], v[182:183]
	v_fma_f64 v[240:241], v[240:241], v[72:73], -v[66:67]
	ds_read_b128 v[66:69], v254 offset:1456
	s_waitcnt vmcnt(44)
	v_fmac_f64_e32 v[70:71], v[60:61], v[184:185]
	v_add_f64 v[4:5], v[4:5], v[70:71]
	v_mul_f64 v[70:71], v[246:247], v[76:77]
	v_fma_f64 v[246:247], v[244:245], v[88:89], -v[70:71]
	ds_read_b128 v[70:73], v254 offset:1472
	ds_read_b128 v[78:81], v254 offset:1504
	s_waitcnt lgkmcnt(3)
	v_mul_f64 v[74:75], v[62:63], v[160:161]
	v_fmac_f64_e32 v[74:75], v[64:65], v[164:165]
	v_add_f64 v[4:5], v[4:5], v[74:75]
	s_waitcnt vmcnt(38) lgkmcnt(2)
	v_mul_f64 v[74:75], v[66:67], v[186:187]
	s_waitcnt vmcnt(36)
	v_fmac_f64_e32 v[74:75], v[68:69], v[188:189]
	v_add_f64 v[4:5], v[4:5], v[74:75]
	s_waitcnt lgkmcnt(1)
	v_mul_f64 v[74:75], v[70:71], v[168:169]
	v_fmac_f64_e32 v[74:75], v[72:73], v[172:173]
	v_add_f64 v[4:5], v[4:5], v[74:75]
	ds_read_b128 v[74:77], v254 offset:1488
	ds_read_b128 v[82:85], v254 offset:1520
	v_mul_f64 v[92:93], v[92:93], v[96:97]
	v_fma_f64 v[96:97], v[90:91], v[102:103], -v[92:93]
	v_add_f64 v[6:7], v[6:7], 0
	v_add_f64 v[6:7], v[6:7], v[226:227]
	;; [unrolled: 1-line block ×10, first 2 shown]
	v_mul_f64 v[2:3], v[128:129], v[134:135]
	v_fma_f64 v[2:3], v[126:127], v[138:139], -v[2:3]
	v_accvgpr_read_b32 v6, a160
	ds_read_b128 v[90:93], v254 offset:1552
	v_accvgpr_read_b32 v7, a161
	s_waitcnt vmcnt(25) lgkmcnt(1)
	v_mul_f64 v[98:99], v[82:83], v[200:201]
	s_waitcnt vmcnt(23)
	v_fmac_f64_e32 v[98:99], v[84:85], v[206:207]
	v_mul_f64 v[88:89], v[74:75], v[12:13]
	v_fmac_f64_e32 v[88:89], v[76:77], v[130:131]
	v_mul_f64 v[86:87], v[78:79], v[196:197]
	v_add_f64 v[4:5], v[4:5], v[88:89]
	v_fmac_f64_e32 v[86:87], v[80:81], v[198:199]
	v_add_f64 v[4:5], v[4:5], v[86:87]
	ds_read_b128 v[86:89], v254 offset:1536
	v_add_f64 v[4:5], v[4:5], v[98:99]
	s_waitcnt vmcnt(18) lgkmcnt(1)
	v_mul_f64 v[102:103], v[90:91], v[202:203]
	s_waitcnt vmcnt(16)
	v_fmac_f64_e32 v[102:103], v[92:93], v[208:209]
	s_waitcnt lgkmcnt(0)
	v_mul_f64 v[98:99], v[86:87], v[194:195]
	v_fmac_f64_e32 v[98:99], v[88:89], v[204:205]
	v_add_f64 v[4:5], v[4:5], v[98:99]
	v_mul_f64 v[98:99], v[120:121], v[108:109]
	v_fma_f64 v[250:251], v[118:119], v[252:253], -v[98:99]
	ds_read_b128 v[98:101], v254 offset:1568
	ds_read_b128 v[118:121], v254 offset:1584
	v_add_f64 v[4:5], v[4:5], v[102:103]
	v_mul_f64 v[102:103], v[224:225], v[104:105]
	v_fma_f64 v[252:253], v[222:223], v[106:107], -v[102:103]
	ds_read_b128 v[102:105], v254 offset:1600
	s_waitcnt vmcnt(13) lgkmcnt(2)
	v_mul_f64 v[106:107], v[98:99], v[214:215]
	s_waitcnt vmcnt(12)
	v_fmac_f64_e32 v[106:107], v[100:101], v[216:217]
	v_add_f64 v[4:5], v[4:5], v[106:107]
	s_waitcnt vmcnt(9) lgkmcnt(1)
	v_mul_f64 v[106:107], v[118:119], v[228:229]
	s_waitcnt vmcnt(7)
	v_fmac_f64_e32 v[106:107], v[120:121], v[230:231]
	v_add_f64 v[4:5], v[4:5], v[106:107]
	;; [unrolled: 5-line block ×3, first 2 shown]
	ds_read_b128 v[106:109], v254 offset:1616
	buffer_load_dword v236, off, s[0:3], 0 offset:824
	buffer_load_dword v237, off, s[0:3], 0 offset:828
	;; [unrolled: 1-line block ×4, first 2 shown]
	s_waitcnt vmcnt(6) lgkmcnt(0)
	v_mul_f64 v[110:111], v[106:107], v[232:233]
	s_waitcnt vmcnt(4)
	v_fmac_f64_e32 v[110:111], v[108:109], v[234:235]
	v_add_f64 v[4:5], v[4:5], v[110:111]
	ds_read_b128 v[110:113], v254 offset:1632
	buffer_load_dword v243, off, s[0:3], 0 offset:844
	buffer_load_dword v242, off, s[0:3], 0 offset:840
	;; [unrolled: 1-line block ×4, first 2 shown]
	s_waitcnt vmcnt(6) lgkmcnt(0)
	v_mul_f64 v[114:115], v[110:111], v[236:237]
	s_waitcnt vmcnt(4)
	v_fmac_f64_e32 v[114:115], v[112:113], v[238:239]
	v_add_f64 v[4:5], v[4:5], v[114:115]
	ds_read_b128 v[114:117], v254 offset:1648
	buffer_load_dword v248, off, s[0:3], 0 offset:160
	buffer_load_dword v249, off, s[0:3], 0 offset:164
	;; [unrolled: 1-line block ×4, first 2 shown]
	v_add_f64 v[254:255], v[0:1], v[96:97]
	v_add_f64 v[0:1], v[254:255], v[250:251]
	;; [unrolled: 1-line block ×4, first 2 shown]
	v_accvgpr_read_b32 v2, a158
	v_accvgpr_read_b32 v3, a159
	v_mul_f64 v[2:3], v[192:193], v[2:3]
	v_fma_f64 v[2:3], v[190:191], v[6:7], -v[2:3]
	v_add_f64 v[0:1], v[0:1], v[2:3]
	v_mul_f64 v[2:3], v[124:125], v[142:143]
	v_fma_f64 v[2:3], v[122:123], v[146:147], -v[2:3]
	v_add_f64 v[0:1], v[0:1], v[2:3]
	v_accvgpr_read_b32 v2, a162
	v_accvgpr_read_b32 v3, a163
	;; [unrolled: 1-line block ×3, first 2 shown]
	v_mul_f64 v[2:3], v[16:17], v[2:3]
	v_accvgpr_read_b32 v7, a165
	v_fma_f64 v[2:3], v[14:15], v[6:7], -v[2:3]
	v_add_f64 v[0:1], v[0:1], v[2:3]
	v_mul_f64 v[2:3], v[20:21], v[150:151]
	v_fma_f64 v[2:3], v[18:19], v[154:155], -v[2:3]
	v_add_f64 v[0:1], v[0:1], v[2:3]
	v_mul_f64 v[2:3], v[24:25], v[220:221]
	;; [unrolled: 3-line block ×3, first 2 shown]
	v_fma_f64 v[2:3], v[26:27], v[162:163], -v[2:3]
	v_add_f64 v[0:1], v[0:1], v[2:3]
	v_accvgpr_read_b32 v2, a166
	v_accvgpr_read_b32 v3, a167
	v_mul_f64 v[2:3], v[32:33], v[2:3]
	v_fma_f64 v[2:3], v[30:31], v[132:133], -v[2:3]
	v_add_f64 v[0:1], v[0:1], v[2:3]
	v_mul_f64 v[2:3], v[36:37], v[166:167]
	v_fma_f64 v[2:3], v[34:35], v[170:171], -v[2:3]
	v_add_f64 v[0:1], v[0:1], v[2:3]
	;; [unrolled: 3-line block ×21, first 2 shown]
	s_waitcnt vmcnt(6) lgkmcnt(0)
	v_mul_f64 v[2:3], v[116:117], v[242:243]
	v_mul_f64 v[222:223], v[114:115], v[242:243]
	s_waitcnt vmcnt(4)
	v_fma_f64 v[2:3], v[114:115], v[244:245], -v[2:3]
	v_fmac_f64_e32 v[222:223], v[116:117], v[244:245]
	v_add_f64 v[0:1], v[0:1], v[2:3]
	v_accvgpr_read_b32 v255, a155
	v_add_f64 v[4:5], v[4:5], v[222:223]
	s_waitcnt vmcnt(2)
	v_add_f64 v[0:1], v[248:249], -v[0:1]
	v_cmp_lt_u32_e32 vcc, 8, v255
	s_waitcnt vmcnt(0)
	v_add_f64 v[2:3], v[246:247], -v[4:5]
	buffer_store_dword v1, off, s[0:3], 0 offset:164
	buffer_store_dword v0, off, s[0:3], 0 offset:160
	;; [unrolled: 1-line block ×4, first 2 shown]
	s_and_saveexec_b64 s[4:5], vcc
	s_cbranch_execz .LBB115_309
; %bb.308:
	v_accvgpr_read_b32 v0, a147
	buffer_load_dword v2, v0, s[0:3], 0 offen
	buffer_load_dword v3, v0, s[0:3], 0 offen offset:4
	buffer_load_dword v4, v0, s[0:3], 0 offen offset:8
	;; [unrolled: 1-line block ×3, first 2 shown]
	v_mov_b32_e32 v0, 0
	v_accvgpr_read_b32 v1, a156
	buffer_store_dword v0, off, s[0:3], 0 offset:144
	buffer_store_dword v0, off, s[0:3], 0 offset:148
	buffer_store_dword v0, off, s[0:3], 0 offset:152
	buffer_store_dword v0, off, s[0:3], 0 offset:156
	s_waitcnt vmcnt(4)
	ds_write_b128 v1, v[2:5]
.LBB115_309:
	s_or_b64 exec, exec, s[4:5]
	s_waitcnt lgkmcnt(0)
	; wave barrier
	s_waitcnt lgkmcnt(0)
	buffer_load_dword v50, off, s[0:3], 0 offset:160
	buffer_load_dword v51, off, s[0:3], 0 offset:164
	;; [unrolled: 1-line block ×54, first 2 shown]
	v_mov_b32_e32 v254, 0
	ds_read_b128 v[102:105], v254 offset:976
	ds_read_b128 v[106:109], v254 offset:992
	;; [unrolled: 1-line block ×9, first 2 shown]
	v_cmp_lt_u32_e32 vcc, 7, v255
	s_waitcnt vmcnt(46) lgkmcnt(7)
	v_mul_f64 v[2:3], v[106:107], v[58:59]
	v_fmac_f64_e32 v[2:3], v[108:109], v[52:53]
	s_waitcnt vmcnt(44) lgkmcnt(6)
	v_mul_f64 v[4:5], v[110:111], v[202:203]
	s_waitcnt vmcnt(42) lgkmcnt(4)
	v_mul_f64 v[8:9], v[206:207], v[212:213]
	s_waitcnt vmcnt(40)
	v_fmac_f64_e32 v[8:9], v[208:209], v[60:61]
	s_waitcnt vmcnt(38)
	v_mul_f64 v[6:7], v[114:115], v[64:65]
	s_waitcnt vmcnt(36) lgkmcnt(2)
	v_mul_f64 v[12:13], v[218:219], v[66:67]
	v_mul_f64 v[66:67], v[220:221], v[66:67]
	s_waitcnt vmcnt(34)
	v_fmac_f64_e32 v[12:13], v[220:221], v[70:71]
	s_waitcnt vmcnt(32)
	v_mul_f64 v[10:11], v[214:215], v[76:77]
	s_waitcnt vmcnt(30) lgkmcnt(1)
	v_mul_f64 v[14:15], v[232:233], v[68:69]
	s_waitcnt vmcnt(28)
	v_fmac_f64_e32 v[4:5], v[112:113], v[82:83]
	s_waitcnt vmcnt(26)
	v_fmac_f64_e32 v[6:7], v[116:117], v[80:81]
	;; [unrolled: 2-line block ×4, first 2 shown]
	s_waitcnt vmcnt(0)
	v_pk_mov_b32 v[16:17], v[0:1], v[0:1] op_sel:[0,1]
	v_mul_f64 v[0:1], v[102:103], v[198:199]
	v_fmac_f64_e32 v[0:1], v[104:105], v[50:51]
	v_add_f64 v[0:1], v[0:1], 0
	v_add_f64 v[0:1], v[0:1], v[2:3]
	buffer_load_dword v3, off, s[0:3], 0 offset:388
	buffer_load_dword v2, off, s[0:3], 0 offset:384
	v_add_f64 v[0:1], v[0:1], v[4:5]
	v_add_f64 v[0:1], v[0:1], v[6:7]
	;; [unrolled: 1-line block ×6, first 2 shown]
	v_accvgpr_write_b32 a159, v17
	v_accvgpr_write_b32 a158, v16
	v_mul_f64 v[104:105], v[104:105], v[198:199]
	s_waitcnt vmcnt(0)
	v_pk_mov_b32 v[4:5], v[2:3], v[2:3] op_sel:[0,1]
	buffer_load_dword v179, off, s[0:3], 0 offset:380
	buffer_load_dword v178, off, s[0:3], 0 offset:376
	;; [unrolled: 1-line block ×6, first 2 shown]
	v_accvgpr_write_b32 a161, v5
	v_accvgpr_write_b32 a160, v4
	s_waitcnt vmcnt(0)
	v_pk_mov_b32 v[8:9], v[2:3], v[2:3] op_sel:[0,1]
	buffer_load_dword v3, off, s[0:3], 0 offset:420
	buffer_load_dword v2, off, s[0:3], 0 offset:416
	v_accvgpr_write_b32 a163, v9
	v_accvgpr_write_b32 a162, v8
	s_waitcnt vmcnt(0)
	v_pk_mov_b32 v[20:21], v[2:3], v[2:3] op_sel:[0,1]
	buffer_load_dword v139, off, s[0:3], 0 offset:412
	buffer_load_dword v138, off, s[0:3], 0 offset:408
	;; [unrolled: 1-line block ×52, first 2 shown]
	ds_read_b128 v[240:243], v254 offset:1120
	ds_read_b128 v[244:247], v254 offset:1136
	;; [unrolled: 1-line block ×7, first 2 shown]
	v_accvgpr_write_b32 a165, v21
	v_accvgpr_write_b32 a164, v20
	s_waitcnt lgkmcnt(2)
	v_mul_f64 v[6:7], v[54:55], v[178:179]
	v_fmac_f64_e32 v[6:7], v[56:57], v[62:63]
	s_waitcnt lgkmcnt(1)
	v_mul_f64 v[10:11], v[124:125], v[16:17]
	v_fmac_f64_e32 v[10:11], v[126:127], v[4:5]
	v_mul_f64 v[56:57], v[56:57], v[178:179]
	s_waitcnt vmcnt(46)
	v_pk_mov_b32 v[28:29], v[2:3], v[2:3] op_sel:[0,1]
	v_mul_f64 v[2:3], v[236:237], v[74:75]
	v_fmac_f64_e32 v[2:3], v[238:239], v[84:85]
	v_add_f64 v[0:1], v[0:1], v[2:3]
	v_mul_f64 v[2:3], v[240:241], v[90:91]
	v_fmac_f64_e32 v[2:3], v[242:243], v[92:93]
	v_add_f64 v[0:1], v[0:1], v[2:3]
	;; [unrolled: 3-line block ×5, first 2 shown]
	v_add_f64 v[0:1], v[0:1], v[6:7]
	v_add_f64 v[0:1], v[0:1], v[10:11]
	ds_read_b128 v[10:13], v254 offset:1232
	s_waitcnt lgkmcnt(1)
	v_mul_f64 v[14:15], v[128:129], v[138:139]
	v_fmac_f64_e32 v[14:15], v[130:131], v[142:143]
	v_add_f64 v[0:1], v[0:1], v[14:15]
	ds_read_b128 v[14:17], v254 offset:1248
	s_waitcnt lgkmcnt(1)
	v_mul_f64 v[18:19], v[10:11], v[8:9]
	v_fmac_f64_e32 v[18:19], v[12:13], v[20:21]
	v_add_f64 v[0:1], v[0:1], v[18:19]
	ds_read_b128 v[18:21], v254 offset:1264
	s_waitcnt vmcnt(42) lgkmcnt(1)
	v_mul_f64 v[22:23], v[14:15], v[146:147]
	s_waitcnt vmcnt(40)
	v_fmac_f64_e32 v[22:23], v[16:17], v[150:151]
	v_add_f64 v[0:1], v[0:1], v[22:23]
	ds_read_b128 v[22:25], v254 offset:1280
	s_waitcnt lgkmcnt(1)
	v_mul_f64 v[26:27], v[18:19], v[28:29]
	v_accvgpr_write_b32 a167, v29
	v_fmac_f64_e32 v[26:27], v[20:21], v[252:253]
	v_accvgpr_write_b32 a166, v28
	v_add_f64 v[0:1], v[0:1], v[26:27]
	ds_read_b128 v[26:29], v254 offset:1296
	s_waitcnt vmcnt(34) lgkmcnt(1)
	v_mul_f64 v[30:31], v[22:23], v[154:155]
	s_waitcnt vmcnt(32)
	v_fmac_f64_e32 v[30:31], v[24:25], v[158:159]
	v_add_f64 v[0:1], v[0:1], v[30:31]
	ds_read_b128 v[30:33], v254 offset:1312
	s_waitcnt lgkmcnt(1)
	v_mul_f64 v[34:35], v[26:27], v[210:211]
	v_fmac_f64_e32 v[34:35], v[28:29], v[132:133]
	v_add_f64 v[0:1], v[0:1], v[34:35]
	ds_read_b128 v[34:37], v254 offset:1328
	s_waitcnt vmcnt(26) lgkmcnt(1)
	v_mul_f64 v[38:39], v[30:31], v[162:163]
	s_waitcnt vmcnt(24)
	v_fmac_f64_e32 v[38:39], v[32:33], v[164:165]
	v_add_f64 v[0:1], v[0:1], v[38:39]
	ds_read_b128 v[38:41], v254 offset:1344
	s_waitcnt lgkmcnt(1)
	v_mul_f64 v[42:43], v[34:35], v[134:135]
	v_fmac_f64_e32 v[42:43], v[36:37], v[136:137]
	v_add_f64 v[46:47], v[0:1], v[42:43]
	ds_read_b128 v[42:45], v254 offset:1360
	buffer_load_dword v123, off, s[0:3], 0 offset:652
	buffer_load_dword v181, off, s[0:3], 0 offset:636
	;; [unrolled: 1-line block ×8, first 2 shown]
	s_waitcnt vmcnt(26) lgkmcnt(1)
	v_mul_f64 v[48:49], v[38:39], v[166:167]
	s_waitcnt vmcnt(24)
	v_fmac_f64_e32 v[48:49], v[40:41], v[168:169]
	v_add_f64 v[190:191], v[46:47], v[48:49]
	ds_read_b128 v[46:49], v254 offset:1376
	buffer_load_dword v187, off, s[0:3], 0 offset:668
	buffer_load_dword v186, off, s[0:3], 0 offset:664
	;; [unrolled: 1-line block ×4, first 2 shown]
	s_waitcnt lgkmcnt(1)
	v_mul_f64 v[192:193], v[42:43], v[140:141]
	v_fmac_f64_e32 v[192:193], v[44:45], v[144:145]
	v_add_f64 v[0:1], v[190:191], v[192:193]
	buffer_load_dword v191, off, s[0:3], 0 offset:684
	buffer_load_dword v190, off, s[0:3], 0 offset:680
	;; [unrolled: 1-line block ×12, first 2 shown]
	v_fma_f64 v[8:9], v[102:103], v[50:51], -v[104:105]
	v_mul_f64 v[50:51], v[108:109], v[58:59]
	v_fma_f64 v[222:223], v[106:107], v[52:53], -v[50:51]
	v_mul_f64 v[50:51], v[112:113], v[202:203]
	v_fma_f64 v[102:103], v[110:111], v[82:83], -v[50:51]
	buffer_load_dword v203, off, s[0:3], 0 offset:732
	buffer_load_dword v202, off, s[0:3], 0 offset:728
	;; [unrolled: 1-line block ×4, first 2 shown]
	v_mul_f64 v[50:51], v[116:117], v[64:65]
	v_fma_f64 v[104:105], v[114:115], v[80:81], -v[50:51]
	v_mul_f64 v[50:51], v[208:209], v[212:213]
	buffer_load_dword v209, off, s[0:3], 0 offset:748
	buffer_load_dword v208, off, s[0:3], 0 offset:744
	;; [unrolled: 1-line block ×4, first 2 shown]
	v_fma_f64 v[6:7], v[206:207], v[60:61], -v[50:51]
	buffer_load_dword v207, off, s[0:3], 0 offset:780
	buffer_load_dword v65, off, s[0:3], 0 offset:764
	;; [unrolled: 1-line block ×12, first 2 shown]
	ds_read_b128 v[50:53], v254 offset:1392
	v_mul_f64 v[60:61], v[216:217], v[76:77]
	v_fma_f64 v[4:5], v[214:215], v[78:79], -v[60:61]
	ds_read_b128 v[214:217], v254 offset:1408
	s_waitcnt vmcnt(54) lgkmcnt(2)
	v_mul_f64 v[58:59], v[46:47], v[170:171]
	s_waitcnt vmcnt(52)
	v_fmac_f64_e32 v[58:59], v[48:49], v[172:173]
	v_add_f64 v[0:1], v[0:1], v[58:59]
	s_waitcnt lgkmcnt(1)
	v_mul_f64 v[58:59], v[50:51], v[148:149]
	v_fmac_f64_e32 v[58:59], v[52:53], v[152:153]
	v_add_f64 v[0:1], v[0:1], v[58:59]
	s_waitcnt vmcnt(46) lgkmcnt(0)
	v_mul_f64 v[58:59], v[214:215], v[174:175]
	s_waitcnt vmcnt(44)
	v_fmac_f64_e32 v[58:59], v[216:217], v[176:177]
	v_add_f64 v[0:1], v[0:1], v[58:59]
	ds_read_b128 v[58:61], v254 offset:1424
	v_fma_f64 v[2:3], v[218:219], v[70:71], -v[66:67]
	ds_read_b128 v[218:221], v254 offset:1440
	v_mul_f64 v[66:67], v[234:235], v[68:69]
	v_fma_f64 v[232:233], v[232:233], v[72:73], -v[66:67]
	ds_read_b128 v[66:69], v254 offset:1456
	s_waitcnt lgkmcnt(2)
	v_mul_f64 v[70:71], v[58:59], v[156:157]
	v_fmac_f64_e32 v[70:71], v[60:61], v[160:161]
	v_add_f64 v[0:1], v[0:1], v[70:71]
	v_mul_f64 v[74:75], v[238:239], v[74:75]
	v_fma_f64 v[234:235], v[236:237], v[84:85], -v[74:75]
	ds_read_b128 v[74:77], v254 offset:1488
	v_mul_f64 v[78:79], v[242:243], v[90:91]
	v_fma_f64 v[240:241], v[240:241], v[92:93], -v[78:79]
	v_mul_f64 v[86:87], v[246:247], v[86:87]
	v_fma_f64 v[246:247], v[244:245], v[88:89], -v[86:87]
	;; [unrolled: 2-line block ×3, first 2 shown]
	v_add_f64 v[8:9], v[8:9], 0
	v_add_f64 v[8:9], v[8:9], v[222:223]
	;; [unrolled: 1-line block ×5, first 2 shown]
	ds_read_b128 v[78:81], v254 offset:1504
	v_add_f64 v[4:5], v[6:7], v[4:5]
	v_add_f64 v[2:3], v[4:5], v[2:3]
	;; [unrolled: 1-line block ×6, first 2 shown]
	v_accvgpr_read_b32 v4, a158
	v_accvgpr_read_b32 v5, a159
	v_accvgpr_read_b32 v6, a160
	v_mul_f64 v[4:5], v[126:127], v[4:5]
	ds_read_b128 v[86:89], v254 offset:1536
	v_accvgpr_read_b32 v7, a161
	v_fma_f64 v[4:5], v[124:125], v[6:7], -v[4:5]
	v_accvgpr_read_b32 v6, a164
	s_waitcnt vmcnt(41) lgkmcnt(4)
	v_mul_f64 v[70:71], v[218:219], v[180:181]
	v_accvgpr_read_b32 v7, a165
	s_waitcnt vmcnt(39)
	v_fmac_f64_e32 v[70:71], v[220:221], v[184:185]
	v_add_f64 v[0:1], v[0:1], v[70:71]
	s_waitcnt vmcnt(38) lgkmcnt(3)
	v_mul_f64 v[70:71], v[66:67], v[122:123]
	s_waitcnt vmcnt(36)
	v_fmac_f64_e32 v[70:71], v[68:69], v[182:183]
	v_add_f64 v[0:1], v[0:1], v[70:71]
	ds_read_b128 v[70:73], v254 offset:1472
	ds_read_b128 v[94:97], v254 offset:1568
	s_waitcnt vmcnt(34) lgkmcnt(1)
	v_mul_f64 v[82:83], v[70:71], v[186:187]
	s_waitcnt vmcnt(32)
	v_fmac_f64_e32 v[82:83], v[72:73], v[188:189]
	v_add_f64 v[0:1], v[0:1], v[82:83]
	s_waitcnt vmcnt(30)
	v_mul_f64 v[82:83], v[74:75], v[190:191]
	s_waitcnt vmcnt(28)
	v_fmac_f64_e32 v[82:83], v[76:77], v[194:195]
	v_add_f64 v[0:1], v[0:1], v[82:83]
	s_waitcnt vmcnt(26)
	v_mul_f64 v[82:83], v[78:79], v[192:193]
	s_waitcnt vmcnt(24)
	v_fmac_f64_e32 v[82:83], v[80:81], v[196:197]
	v_add_f64 v[0:1], v[0:1], v[82:83]
	ds_read_b128 v[82:85], v254 offset:1520
	s_waitcnt vmcnt(21) lgkmcnt(0)
	v_mul_f64 v[90:91], v[82:83], v[198:199]
	s_waitcnt vmcnt(20)
	v_fmac_f64_e32 v[90:91], v[84:85], v[200:201]
	v_add_f64 v[106:107], v[0:1], v[90:91]
	v_mul_f64 v[90:91], v[250:251], v[98:99]
	v_fma_f64 v[248:249], v[248:249], v[100:101], -v[90:91]
	ds_read_b128 v[90:93], v254 offset:1552
	s_waitcnt vmcnt(18)
	v_mul_f64 v[98:99], v[86:87], v[202:203]
	s_waitcnt vmcnt(16)
	v_fmac_f64_e32 v[98:99], v[88:89], v[204:205]
	v_add_f64 v[98:99], v[106:107], v[98:99]
	v_fma_f64 v[250:251], v[54:55], v[62:63], -v[56:57]
	s_waitcnt vmcnt(14) lgkmcnt(0)
	v_mul_f64 v[100:101], v[90:91], v[208:209]
	s_waitcnt vmcnt(12)
	v_fmac_f64_e32 v[100:101], v[92:93], v[212:213]
	v_add_f64 v[106:107], v[98:99], v[100:101]
	ds_read_b128 v[98:101], v254 offset:1584
	ds_read_b128 v[54:57], v254 offset:1600
	s_waitcnt vmcnt(9)
	v_mul_f64 v[62:63], v[94:95], v[64:65]
	s_waitcnt vmcnt(7)
	v_fmac_f64_e32 v[62:63], v[96:97], v[228:229]
	v_add_f64 v[62:63], v[106:107], v[62:63]
	s_waitcnt vmcnt(6) lgkmcnt(1)
	v_mul_f64 v[106:107], v[98:99], v[206:207]
	s_waitcnt vmcnt(4)
	v_fmac_f64_e32 v[106:107], v[100:101], v[226:227]
	v_add_f64 v[62:63], v[62:63], v[106:107]
	s_waitcnt vmcnt(2) lgkmcnt(0)
	v_mul_f64 v[106:107], v[54:55], v[224:225]
	buffer_load_dword v0, off, s[0:3], 0 offset:808
	s_waitcnt vmcnt(1)
	v_fmac_f64_e32 v[106:107], v[56:57], v[230:231]
	v_add_f64 v[110:111], v[62:63], v[106:107]
	buffer_load_dword v62, off, s[0:3], 0 offset:800
	buffer_load_dword v1, off, s[0:3], 0 offset:812
	;; [unrolled: 1-line block ×3, first 2 shown]
	ds_read_b128 v[106:109], v254 offset:1616
	buffer_load_dword v237, off, s[0:3], 0 offset:828
	buffer_load_dword v236, off, s[0:3], 0 offset:824
	;; [unrolled: 1-line block ×4, first 2 shown]
	v_add_f64 v[2:3], v[2:3], v[248:249]
	v_add_f64 v[118:119], v[2:3], v[118:119]
	;; [unrolled: 1-line block ×4, first 2 shown]
	v_mul_f64 v[4:5], v[130:131], v[138:139]
	v_fma_f64 v[4:5], v[128:129], v[142:143], -v[4:5]
	v_add_f64 v[2:3], v[2:3], v[4:5]
	v_accvgpr_read_b32 v4, a162
	v_accvgpr_read_b32 v5, a163
	v_mul_f64 v[4:5], v[12:13], v[4:5]
	v_fma_f64 v[4:5], v[10:11], v[6:7], -v[4:5]
	v_add_f64 v[2:3], v[2:3], v[4:5]
	v_mul_f64 v[4:5], v[16:17], v[146:147]
	v_fma_f64 v[4:5], v[14:15], v[150:151], -v[4:5]
	v_add_f64 v[2:3], v[2:3], v[4:5]
	v_accvgpr_read_b32 v4, a166
	v_accvgpr_read_b32 v5, a167
	v_mul_f64 v[4:5], v[20:21], v[4:5]
	v_fma_f64 v[4:5], v[18:19], v[252:253], -v[4:5]
	v_add_f64 v[2:3], v[2:3], v[4:5]
	v_mul_f64 v[4:5], v[24:25], v[154:155]
	v_fma_f64 v[4:5], v[22:23], v[158:159], -v[4:5]
	v_add_f64 v[2:3], v[2:3], v[4:5]
	;; [unrolled: 3-line block ×19, first 2 shown]
	v_mul_f64 v[4:5], v[96:97], v[64:65]
	v_fma_f64 v[4:5], v[94:95], v[228:229], -v[4:5]
	s_waitcnt vmcnt(5) lgkmcnt(0)
	v_mul_f64 v[112:113], v[106:107], v[0:1]
	s_waitcnt vmcnt(4)
	v_fmac_f64_e32 v[112:113], v[108:109], v[62:63]
	v_add_f64 v[114:115], v[110:111], v[112:113]
	ds_read_b128 v[110:113], v254 offset:1632
	buffer_load_dword v242, off, s[0:3], 0 offset:840
	buffer_load_dword v243, off, s[0:3], 0 offset:844
	;; [unrolled: 1-line block ×4, first 2 shown]
	v_add_f64 v[2:3], v[2:3], v[4:5]
	v_mul_f64 v[4:5], v[100:101], v[206:207]
	v_fma_f64 v[4:5], v[98:99], v[226:227], -v[4:5]
	s_waitcnt vmcnt(6) lgkmcnt(0)
	v_mul_f64 v[116:117], v[110:111], v[236:237]
	s_waitcnt vmcnt(4)
	v_fmac_f64_e32 v[116:117], v[112:113], v[238:239]
	v_add_f64 v[120:121], v[114:115], v[116:117]
	ds_read_b128 v[114:117], v254 offset:1648
	buffer_load_dword v248, off, s[0:3], 0 offset:144
	buffer_load_dword v249, off, s[0:3], 0 offset:148
	;; [unrolled: 1-line block ×4, first 2 shown]
	v_add_f64 v[2:3], v[2:3], v[4:5]
	v_mul_f64 v[4:5], v[56:57], v[224:225]
	v_fma_f64 v[4:5], v[54:55], v[230:231], -v[4:5]
	v_mul_f64 v[0:1], v[108:109], v[0:1]
	v_add_f64 v[2:3], v[2:3], v[4:5]
	v_fma_f64 v[0:1], v[106:107], v[62:63], -v[0:1]
	v_add_f64 v[0:1], v[2:3], v[0:1]
	v_mul_f64 v[2:3], v[112:113], v[236:237]
	v_fma_f64 v[2:3], v[110:111], v[238:239], -v[2:3]
	v_add_f64 v[0:1], v[0:1], v[2:3]
	s_waitcnt vmcnt(6) lgkmcnt(0)
	v_mul_f64 v[2:3], v[116:117], v[242:243]
	v_mul_f64 v[178:179], v[114:115], v[242:243]
	s_waitcnt vmcnt(4)
	v_fma_f64 v[2:3], v[114:115], v[244:245], -v[2:3]
	v_fmac_f64_e32 v[178:179], v[116:117], v[244:245]
	v_add_f64 v[0:1], v[0:1], v[2:3]
	v_add_f64 v[120:121], v[120:121], v[178:179]
	s_waitcnt vmcnt(2)
	v_add_f64 v[0:1], v[248:249], -v[0:1]
	s_waitcnt vmcnt(0)
	v_add_f64 v[2:3], v[246:247], -v[120:121]
	buffer_store_dword v1, off, s[0:3], 0 offset:148
	buffer_store_dword v0, off, s[0:3], 0 offset:144
	;; [unrolled: 1-line block ×4, first 2 shown]
	s_and_saveexec_b64 s[4:5], vcc
	s_cbranch_execz .LBB115_311
; %bb.310:
	v_accvgpr_read_b32 v0, a148
	buffer_load_dword v2, v0, s[0:3], 0 offen
	buffer_load_dword v3, v0, s[0:3], 0 offen offset:4
	buffer_load_dword v4, v0, s[0:3], 0 offen offset:8
	;; [unrolled: 1-line block ×3, first 2 shown]
	v_accvgpr_read_b32 v0, a156
	buffer_store_dword v254, off, s[0:3], 0 offset:128
	buffer_store_dword v254, off, s[0:3], 0 offset:132
	;; [unrolled: 1-line block ×4, first 2 shown]
	s_waitcnt vmcnt(4)
	ds_write_b128 v0, v[2:5]
.LBB115_311:
	s_or_b64 exec, exec, s[4:5]
	s_waitcnt lgkmcnt(0)
	; wave barrier
	s_waitcnt lgkmcnt(0)
	buffer_load_dword v90, off, s[0:3], 0 offset:144
	buffer_load_dword v91, off, s[0:3], 0 offset:148
	;; [unrolled: 1-line block ×36, first 2 shown]
	ds_read_b128 v[82:85], v254 offset:960
	ds_read_b128 v[78:81], v254 offset:976
	;; [unrolled: 1-line block ×9, first 2 shown]
	buffer_load_dword v235, off, s[0:3], 0 offset:316
	buffer_load_dword v234, off, s[0:3], 0 offset:312
	;; [unrolled: 1-line block ×19, first 2 shown]
	s_waitcnt vmcnt(51) lgkmcnt(8)
	v_mul_f64 v[0:1], v[82:83], v[92:93]
	v_fmac_f64_e32 v[0:1], v[84:85], v[90:91]
	v_add_f64 v[0:1], v[0:1], 0
	s_waitcnt vmcnt(47) lgkmcnt(7)
	v_mul_f64 v[2:3], v[78:79], v[94:95]
	v_fmac_f64_e32 v[2:3], v[80:81], v[194:195]
	s_waitcnt vmcnt(45) lgkmcnt(6)
	v_mul_f64 v[4:5], v[74:75], v[88:89]
	v_add_f64 v[0:1], v[0:1], v[2:3]
	s_waitcnt vmcnt(43) lgkmcnt(4)
	v_mul_f64 v[8:9], v[62:63], v[96:97]
	v_mul_f64 v[80:81], v[80:81], v[94:95]
	s_waitcnt vmcnt(41)
	v_fmac_f64_e32 v[8:9], v[64:65], v[98:99]
	v_fma_f64 v[200:201], v[78:79], v[194:195], -v[80:81]
	s_waitcnt vmcnt(39)
	v_mul_f64 v[6:7], v[70:71], v[100:101]
	v_mul_f64 v[64:65], v[64:65], v[96:97]
	s_waitcnt vmcnt(37) lgkmcnt(2)
	v_mul_f64 v[12:13], v[54:55], v[104:105]
	v_fma_f64 v[78:79], v[62:63], v[98:99], -v[64:65]
	s_waitcnt vmcnt(35)
	v_fmac_f64_e32 v[12:13], v[56:57], v[108:109]
	v_mul_f64 v[56:57], v[56:57], v[104:105]
	s_waitcnt vmcnt(33)
	v_mul_f64 v[10:11], v[50:51], v[112:113]
	s_waitcnt vmcnt(31) lgkmcnt(1)
	v_mul_f64 v[14:15], v[58:59], v[106:107]
	s_waitcnt vmcnt(29)
	v_fmac_f64_e32 v[4:5], v[76:77], v[198:199]
	v_add_f64 v[0:1], v[0:1], v[4:5]
	s_waitcnt vmcnt(27)
	v_fmac_f64_e32 v[6:7], v[72:73], v[116:117]
	v_add_f64 v[0:1], v[0:1], v[6:7]
	;; [unrolled: 3-line block ×3, first 2 shown]
	v_add_f64 v[0:1], v[0:1], v[10:11]
	v_add_f64 v[0:1], v[0:1], v[12:13]
	buffer_load_dword v244, off, s[0:3], 0 offset:368
	buffer_load_dword v13, off, s[0:3], 0 offset:364
	;; [unrolled: 1-line block ×7, first 2 shown]
	s_waitcnt vmcnt(30)
	v_fmac_f64_e32 v[14:15], v[60:61], v[110:111]
	v_add_f64 v[0:1], v[0:1], v[14:15]
	v_mul_f64 v[76:77], v[76:77], v[88:89]
	v_fma_f64 v[74:75], v[74:75], v[198:199], -v[76:77]
	v_mul_f64 v[52:53], v[52:53], v[112:113]
	v_fma_f64 v[80:81], v[50:51], v[114:115], -v[52:53]
	v_mul_f64 v[60:61], v[60:61], v[106:107]
	v_mul_f64 v[72:73], v[72:73], v[100:101]
	v_fma_f64 v[76:77], v[70:71], v[116:117], -v[72:73]
	s_waitcnt vmcnt(0)
	v_pk_mov_b32 v[18:19], v[2:3], v[2:3] op_sel:[0,1]
	buffer_load_dword v3, off, s[0:3], 0 offset:404
	buffer_load_dword v2, off, s[0:3], 0 offset:400
	v_accvgpr_write_b32 a159, v19
	v_accvgpr_write_b32 a158, v18
	s_waitcnt vmcnt(0)
	v_pk_mov_b32 v[20:21], v[2:3], v[2:3] op_sel:[0,1]
	buffer_load_dword v211, off, s[0:3], 0 offset:396
	buffer_load_dword v210, off, s[0:3], 0 offset:392
	buffer_load_dword v139, off, s[0:3], 0 offset:388
	buffer_load_dword v138, off, s[0:3], 0 offset:384
	buffer_load_dword v3, off, s[0:3], 0 offset:444
	buffer_load_dword v2, off, s[0:3], 0 offset:440
	v_accvgpr_write_b32 a161, v21
	v_accvgpr_write_b32 a160, v20
	s_waitcnt vmcnt(0)
	v_pk_mov_b32 v[26:27], v[2:3], v[2:3] op_sel:[0,1]
	buffer_load_dword v3, off, s[0:3], 0 offset:436
	buffer_load_dword v2, off, s[0:3], 0 offset:432
	v_accvgpr_write_b32 a163, v27
	v_accvgpr_write_b32 a162, v26
	s_waitcnt vmcnt(0)
	v_pk_mov_b32 v[28:29], v[2:3], v[2:3] op_sel:[0,1]
	buffer_load_dword v143, off, s[0:3], 0 offset:428
	buffer_load_dword v142, off, s[0:3], 0 offset:424
	buffer_load_dword v147, off, s[0:3], 0 offset:420
	buffer_load_dword v146, off, s[0:3], 0 offset:416
	buffer_load_dword v3, off, s[0:3], 0 offset:476
	buffer_load_dword v2, off, s[0:3], 0 offset:472
	v_accvgpr_write_b32 a165, v29
	v_accvgpr_write_b32 a164, v28
	;; [unrolled: 16-line block ×3, first 2 shown]
	s_waitcnt vmcnt(0)
	v_pk_mov_b32 v[42:43], v[2:3], v[2:3] op_sel:[0,1]
	buffer_load_dword v3, off, s[0:3], 0 offset:500
	buffer_load_dword v2, off, s[0:3], 0 offset:496
	v_accvgpr_write_b32 a171, v43
	v_accvgpr_write_b32 a170, v42
	s_waitcnt vmcnt(0)
	v_pk_mov_b32 v[44:45], v[2:3], v[2:3] op_sel:[0,1]
	buffer_load_dword v159, off, s[0:3], 0 offset:492
	buffer_load_dword v158, off, s[0:3], 0 offset:488
	;; [unrolled: 1-line block ×28, first 2 shown]
	ds_read_b128 v[214:217], v254 offset:1104
	ds_read_b128 v[218:221], v254 offset:1120
	ds_read_b128 v[118:121], v254 offset:1136
	ds_read_b128 v[134:137], v254 offset:1200
	ds_read_b128 v[126:129], v254 offset:1216
	ds_read_b128 v[130:133], v254 offset:1232
	ds_read_b128 v[122:125], v254 offset:1248
	v_accvgpr_write_b32 a173, v45
	v_accvgpr_write_b32 a172, v44
	s_waitcnt lgkmcnt(6)
	v_mul_f64 v[70:71], v[216:217], v[238:239]
	v_fma_f64 v[96:97], v[214:215], v[240:241], -v[70:71]
	s_waitcnt lgkmcnt(0)
	v_mul_f64 v[24:25], v[122:123], v[26:27]
	v_fmac_f64_e32 v[24:25], v[124:125], v[28:29]
	s_waitcnt vmcnt(22)
	v_pk_mov_b32 v[174:175], v[2:3], v[2:3] op_sel:[0,1]
	v_mul_f64 v[2:3], v[66:67], v[102:103]
	v_fmac_f64_e32 v[2:3], v[68:69], v[232:233]
	v_add_f64 v[0:1], v[0:1], v[2:3]
	v_mul_f64 v[2:3], v[214:215], v[238:239]
	v_fmac_f64_e32 v[2:3], v[216:217], v[240:241]
	v_add_f64 v[0:1], v[0:1], v[2:3]
	;; [unrolled: 3-line block ×3, first 2 shown]
	ds_read_b128 v[0:3], v254 offset:1152
	v_mul_f64 v[6:7], v[118:119], v[250:251]
	v_fmac_f64_e32 v[6:7], v[120:121], v[252:253]
	v_add_f64 v[8:9], v[4:5], v[6:7]
	ds_read_b128 v[4:7], v254 offset:1168
	s_waitcnt lgkmcnt(1)
	v_mul_f64 v[10:11], v[0:1], v[246:247]
	v_fmac_f64_e32 v[10:11], v[2:3], v[248:249]
	v_add_f64 v[14:15], v[8:9], v[10:11]
	ds_read_b128 v[8:11], v254 offset:1184
	s_waitcnt lgkmcnt(1)
	v_mul_f64 v[16:17], v[4:5], v[12:13]
	v_fmac_f64_e32 v[16:17], v[6:7], v[86:87]
	v_add_f64 v[14:15], v[14:15], v[16:17]
	v_accvgpr_write_b32 a174, v174
	s_waitcnt lgkmcnt(0)
	v_mul_f64 v[16:17], v[8:9], v[242:243]
	v_fmac_f64_e32 v[16:17], v[10:11], v[244:245]
	v_add_f64 v[14:15], v[14:15], v[16:17]
	v_mul_f64 v[16:17], v[134:135], v[210:211]
	v_fmac_f64_e32 v[16:17], v[136:137], v[138:139]
	v_add_f64 v[14:15], v[14:15], v[16:17]
	v_mul_f64 v[16:17], v[126:127], v[18:19]
	v_fmac_f64_e32 v[16:17], v[128:129], v[20:21]
	v_mul_f64 v[20:21], v[130:131], v[142:143]
	v_add_f64 v[18:19], v[14:15], v[16:17]
	v_fmac_f64_e32 v[20:21], v[132:133], v[146:147]
	v_add_f64 v[22:23], v[18:19], v[20:21]
	ds_read_b128 v[18:21], v254 offset:1264
	v_add_f64 v[26:27], v[22:23], v[24:25]
	ds_read_b128 v[22:25], v254 offset:1280
	v_accvgpr_write_b32 a175, v175
	v_mul_f64 v[16:17], v[84:85], v[92:93]
	s_waitcnt lgkmcnt(1)
	v_mul_f64 v[28:29], v[18:19], v[150:151]
	v_fmac_f64_e32 v[28:29], v[20:21], v[154:155]
	v_add_f64 v[30:31], v[26:27], v[28:29]
	ds_read_b128 v[26:29], v254 offset:1296
	s_waitcnt lgkmcnt(1)
	v_mul_f64 v[32:33], v[22:23], v[34:35]
	v_fmac_f64_e32 v[32:33], v[24:25], v[36:37]
	v_add_f64 v[34:35], v[30:31], v[32:33]
	ds_read_b128 v[30:33], v254 offset:1312
	;; [unrolled: 5-line block ×4, first 2 shown]
	s_waitcnt vmcnt(18) lgkmcnt(1)
	v_mul_f64 v[44:45], v[34:35], v[162:163]
	s_waitcnt vmcnt(16)
	v_fmac_f64_e32 v[44:45], v[36:37], v[164:165]
	v_add_f64 v[46:47], v[42:43], v[44:45]
	ds_read_b128 v[42:45], v254 offset:1360
	s_waitcnt lgkmcnt(1)
	v_mul_f64 v[48:49], v[38:39], v[174:175]
	buffer_load_dword v175, off, s[0:3], 0 offset:620
	buffer_load_dword v174, off, s[0:3], 0 offset:616
	;; [unrolled: 1-line block ×4, first 2 shown]
	v_fmac_f64_e32 v[48:49], v[40:41], v[140:141]
	v_add_f64 v[178:179], v[46:47], v[48:49]
	ds_read_b128 v[46:49], v254 offset:1376
	buffer_load_dword v181, off, s[0:3], 0 offset:636
	buffer_load_dword v180, off, s[0:3], 0 offset:632
	;; [unrolled: 1-line block ×4, first 2 shown]
	s_waitcnt vmcnt(18) lgkmcnt(1)
	v_mul_f64 v[184:185], v[42:43], v[166:167]
	s_waitcnt vmcnt(16)
	v_fmac_f64_e32 v[184:185], v[44:45], v[168:169]
	v_add_f64 v[14:15], v[178:179], v[184:185]
	buffer_load_dword v179, off, s[0:3], 0 offset:668
	buffer_load_dword v187, off, s[0:3], 0 offset:652
	;; [unrolled: 1-line block ×28, first 2 shown]
	s_waitcnt lgkmcnt(0)
	v_mul_f64 v[50:51], v[46:47], v[144:145]
	v_fmac_f64_e32 v[50:51], v[48:49], v[148:149]
	buffer_load_dword v223, off, s[0:3], 0 offset:764
	buffer_load_dword v222, off, s[0:3], 0 offset:760
	;; [unrolled: 1-line block ×12, first 2 shown]
	v_add_f64 v[14:15], v[14:15], v[50:51]
	ds_read_b128 v[50:53], v254 offset:1392
	v_fma_f64 v[16:17], v[82:83], v[90:91], -v[16:17]
	v_fma_f64 v[90:91], v[54:55], v[108:109], -v[56:57]
	ds_read_b128 v[54:57], v254 offset:1408
	v_fma_f64 v[92:93], v[58:59], v[110:111], -v[60:61]
	ds_read_b128 v[58:61], v254 offset:1424
	s_waitcnt vmcnt(50) lgkmcnt(2)
	v_mul_f64 v[62:63], v[50:51], v[170:171]
	s_waitcnt vmcnt(48)
	v_fmac_f64_e32 v[62:63], v[52:53], v[172:173]
	v_add_f64 v[14:15], v[14:15], v[62:63]
	s_waitcnt lgkmcnt(1)
	v_mul_f64 v[62:63], v[54:55], v[152:153]
	v_fmac_f64_e32 v[62:63], v[56:57], v[156:157]
	v_mul_f64 v[68:69], v[68:69], v[102:103]
	v_add_f64 v[14:15], v[14:15], v[62:63]
	v_fma_f64 v[94:95], v[66:67], v[232:233], -v[68:69]
	ds_read_b128 v[66:69], v254 offset:1456
	ds_read_b128 v[214:217], v254 offset:1488
	v_mul_f64 v[2:3], v[2:3], v[246:247]
	v_fma_f64 v[246:247], v[0:1], v[248:249], -v[2:3]
	ds_read_b128 v[0:3], v254 offset:1552
	v_mul_f64 v[6:7], v[6:7], v[12:13]
	v_fma_f64 v[12:13], v[4:5], v[86:87], -v[6:7]
	ds_read_b128 v[4:7], v254 offset:1584
	v_mul_f64 v[10:11], v[10:11], v[242:243]
	ds_read_b128 v[70:73], v254 offset:1472
	s_waitcnt vmcnt(46) lgkmcnt(5)
	v_mul_f64 v[62:63], v[58:59], v[174:175]
	s_waitcnt vmcnt(44)
	v_fmac_f64_e32 v[62:63], v[60:61], v[176:177]
	v_add_f64 v[14:15], v[14:15], v[62:63]
	ds_read_b128 v[62:65], v254 offset:1440
	s_waitcnt vmcnt(42) lgkmcnt(0)
	v_mul_f64 v[82:83], v[62:63], v[180:181]
	s_waitcnt vmcnt(40)
	v_fmac_f64_e32 v[82:83], v[64:65], v[182:183]
	v_add_f64 v[14:15], v[14:15], v[82:83]
	s_waitcnt vmcnt(37)
	v_mul_f64 v[82:83], v[66:67], v[186:187]
	s_waitcnt vmcnt(35)
	v_fmac_f64_e32 v[82:83], v[68:69], v[190:191]
	v_add_f64 v[14:15], v[14:15], v[82:83]
	s_waitcnt vmcnt(34)
	v_mul_f64 v[82:83], v[70:71], v[178:179]
	s_waitcnt vmcnt(32)
	v_fmac_f64_e32 v[82:83], v[72:73], v[188:189]
	v_add_f64 v[14:15], v[14:15], v[82:83]
	v_mul_f64 v[82:83], v[220:221], v[234:235]
	v_fma_f64 v[240:241], v[218:219], v[236:237], -v[82:83]
	ds_read_b128 v[218:221], v254 offset:1504
	s_waitcnt vmcnt(29)
	v_mul_f64 v[82:83], v[214:215], v[192:193]
	s_waitcnt vmcnt(27)
	v_fmac_f64_e32 v[82:83], v[216:217], v[196:197]
	v_add_f64 v[14:15], v[14:15], v[82:83]
	v_mul_f64 v[82:83], v[120:121], v[250:251]
	v_fma_f64 v[250:251], v[118:119], v[252:253], -v[82:83]
	ds_read_b128 v[82:85], v254 offset:1520
	ds_read_b128 v[118:121], v254 offset:1536
	s_waitcnt vmcnt(25) lgkmcnt(2)
	v_mul_f64 v[98:99], v[218:219], v[184:185]
	s_waitcnt vmcnt(24)
	v_fmac_f64_e32 v[98:99], v[220:221], v[194:195]
	v_add_f64 v[14:15], v[14:15], v[98:99]
	s_waitcnt vmcnt(21) lgkmcnt(1)
	v_mul_f64 v[98:99], v[82:83], v[88:89]
	s_waitcnt vmcnt(19)
	v_fmac_f64_e32 v[98:99], v[84:85], v[206:207]
	v_add_f64 v[14:15], v[14:15], v[98:99]
	;; [unrolled: 5-line block ×3, first 2 shown]
	ds_read_b128 v[98:101], v254 offset:1568
	s_waitcnt vmcnt(14)
	v_mul_f64 v[102:103], v[0:1], v[202:203]
	s_waitcnt vmcnt(12)
	v_fmac_f64_e32 v[102:103], v[2:3], v[208:209]
	v_add_f64 v[14:15], v[14:15], v[102:103]
	ds_read_b128 v[102:105], v254 offset:1600
	buffer_load_dword v233, off, s[0:3], 0 offset:812
	buffer_load_dword v232, off, s[0:3], 0 offset:808
	;; [unrolled: 1-line block ×4, first 2 shown]
	ds_read_b128 v[106:109], v254 offset:1616
	buffer_load_dword v236, off, s[0:3], 0 offset:824
	buffer_load_dword v237, off, s[0:3], 0 offset:828
	;; [unrolled: 1-line block ×4, first 2 shown]
	v_fma_f64 v[252:253], v[8:9], v[244:245], -v[10:11]
	ds_read_b128 v[110:113], v254 offset:1632
	buffer_load_dword v243, off, s[0:3], 0 offset:844
	buffer_load_dword v242, off, s[0:3], 0 offset:840
	;; [unrolled: 1-line block ×4, first 2 shown]
	s_waitcnt vmcnt(22) lgkmcnt(3)
	v_mul_f64 v[8:9], v[98:99], v[222:223]
	s_waitcnt vmcnt(20)
	v_fmac_f64_e32 v[8:9], v[100:101], v[224:225]
	s_waitcnt vmcnt(17)
	v_mul_f64 v[10:11], v[4:5], v[228:229]
	v_add_f64 v[8:9], v[14:15], v[8:9]
	s_waitcnt vmcnt(15)
	v_fmac_f64_e32 v[10:11], v[6:7], v[230:231]
	v_add_f64 v[8:9], v[8:9], v[10:11]
	s_waitcnt vmcnt(13) lgkmcnt(2)
	v_mul_f64 v[10:11], v[102:103], v[212:213]
	s_waitcnt vmcnt(12)
	v_fmac_f64_e32 v[10:11], v[104:105], v[226:227]
	ds_read_b128 v[114:117], v254 offset:1648
	v_add_f64 v[8:9], v[8:9], v[10:11]
	v_accvgpr_read_b32 v14, a160
	v_accvgpr_read_b32 v15, a161
	v_mul_f64 v[2:3], v[2:3], v[202:203]
	v_fma_f64 v[0:1], v[0:1], v[208:209], -v[2:3]
	v_mul_f64 v[2:3], v[100:101], v[222:223]
	v_fma_f64 v[2:3], v[98:99], v[224:225], -v[2:3]
	s_waitcnt vmcnt(10) lgkmcnt(2)
	v_mul_f64 v[10:11], v[106:107], v[232:233]
	s_waitcnt vmcnt(8)
	v_fmac_f64_e32 v[10:11], v[108:109], v[234:235]
	v_add_f64 v[8:9], v[8:9], v[10:11]
	s_waitcnt vmcnt(6) lgkmcnt(1)
	v_mul_f64 v[10:11], v[110:111], v[236:237]
	s_waitcnt vmcnt(4)
	v_fmac_f64_e32 v[10:11], v[112:113], v[238:239]
	v_add_f64 v[8:9], v[8:9], v[10:11]
	;; [unrolled: 5-line block ×3, first 2 shown]
	v_add_f64 v[10:11], v[16:17], 0
	v_add_f64 v[10:11], v[10:11], v[200:201]
	;; [unrolled: 1-line block ×13, first 2 shown]
	buffer_load_dword v248, off, s[0:3], 0 offset:128
	buffer_load_dword v249, off, s[0:3], 0 offset:132
	;; [unrolled: 1-line block ×4, first 2 shown]
	v_add_f64 v[10:11], v[254:255], v[12:13]
	v_mul_f64 v[12:13], v[136:137], v[210:211]
	v_add_f64 v[10:11], v[10:11], v[252:253]
	v_fma_f64 v[12:13], v[134:135], v[138:139], -v[12:13]
	v_add_f64 v[10:11], v[10:11], v[12:13]
	v_accvgpr_read_b32 v12, a158
	v_accvgpr_read_b32 v13, a159
	v_mul_f64 v[12:13], v[128:129], v[12:13]
	v_fma_f64 v[12:13], v[126:127], v[14:15], -v[12:13]
	v_add_f64 v[10:11], v[10:11], v[12:13]
	v_mul_f64 v[12:13], v[132:133], v[142:143]
	v_fma_f64 v[12:13], v[130:131], v[146:147], -v[12:13]
	v_add_f64 v[10:11], v[10:11], v[12:13]
	v_accvgpr_read_b32 v12, a162
	v_accvgpr_read_b32 v13, a163
	v_accvgpr_read_b32 v14, a164
	v_mul_f64 v[12:13], v[124:125], v[12:13]
	v_accvgpr_read_b32 v15, a165
	v_fma_f64 v[12:13], v[122:123], v[14:15], -v[12:13]
	v_add_f64 v[10:11], v[10:11], v[12:13]
	v_mul_f64 v[12:13], v[20:21], v[150:151]
	v_fma_f64 v[12:13], v[18:19], v[154:155], -v[12:13]
	v_add_f64 v[10:11], v[10:11], v[12:13]
	v_accvgpr_read_b32 v12, a166
	v_accvgpr_read_b32 v13, a167
	v_accvgpr_read_b32 v14, a168
	v_mul_f64 v[12:13], v[24:25], v[12:13]
	v_accvgpr_read_b32 v15, a169
	;; [unrolled: 10-line block ×3, first 2 shown]
	v_fma_f64 v[12:13], v[30:31], v[14:15], -v[12:13]
	v_add_f64 v[10:11], v[10:11], v[12:13]
	v_mul_f64 v[12:13], v[36:37], v[162:163]
	v_fma_f64 v[12:13], v[34:35], v[164:165], -v[12:13]
	v_add_f64 v[10:11], v[10:11], v[12:13]
	v_accvgpr_read_b32 v12, a174
	v_accvgpr_read_b32 v13, a175
	v_mul_f64 v[12:13], v[40:41], v[12:13]
	v_fma_f64 v[12:13], v[38:39], v[140:141], -v[12:13]
	v_add_f64 v[10:11], v[10:11], v[12:13]
	v_mul_f64 v[12:13], v[44:45], v[166:167]
	v_fma_f64 v[12:13], v[42:43], v[168:169], -v[12:13]
	v_add_f64 v[10:11], v[10:11], v[12:13]
	;; [unrolled: 3-line block ×13, first 2 shown]
	v_add_f64 v[0:1], v[10:11], v[0:1]
	v_add_f64 v[0:1], v[0:1], v[2:3]
	v_mul_f64 v[2:3], v[6:7], v[228:229]
	v_fma_f64 v[2:3], v[4:5], v[230:231], -v[2:3]
	v_add_f64 v[0:1], v[0:1], v[2:3]
	v_mul_f64 v[2:3], v[104:105], v[212:213]
	v_fma_f64 v[2:3], v[102:103], v[226:227], -v[2:3]
	;; [unrolled: 3-line block ×5, first 2 shown]
	v_add_f64 v[0:1], v[0:1], v[2:3]
	v_accvgpr_read_b32 v255, a155
	s_waitcnt vmcnt(2)
	v_add_f64 v[0:1], v[248:249], -v[0:1]
	v_cmp_lt_u32_e32 vcc, 6, v255
	s_waitcnt vmcnt(0)
	v_add_f64 v[2:3], v[246:247], -v[8:9]
	buffer_store_dword v1, off, s[0:3], 0 offset:132
	buffer_store_dword v0, off, s[0:3], 0 offset:128
	;; [unrolled: 1-line block ×4, first 2 shown]
	s_and_saveexec_b64 s[4:5], vcc
	s_cbranch_execz .LBB115_313
; %bb.312:
	v_accvgpr_read_b32 v3, a149
	buffer_load_dword v0, v3, s[0:3], 0 offen
	buffer_load_dword v1, v3, s[0:3], 0 offen offset:4
	buffer_load_dword v2, v3, s[0:3], 0 offen offset:8
	s_nop 0
	buffer_load_dword v3, v3, s[0:3], 0 offen offset:12
	v_mov_b32_e32 v4, 0
	v_accvgpr_read_b32 v5, a156
	buffer_store_dword v4, off, s[0:3], 0 offset:112
	buffer_store_dword v4, off, s[0:3], 0 offset:116
	;; [unrolled: 1-line block ×4, first 2 shown]
	s_waitcnt vmcnt(4)
	ds_write_b128 v5, v[0:3]
.LBB115_313:
	s_or_b64 exec, exec, s[4:5]
	s_waitcnt lgkmcnt(0)
	; wave barrier
	s_waitcnt lgkmcnt(0)
	buffer_load_dword v56, off, s[0:3], 0 offset:128
	buffer_load_dword v57, off, s[0:3], 0 offset:132
	;; [unrolled: 1-line block ×36, first 2 shown]
	v_mov_b32_e32 v254, 0
	buffer_load_dword v87, off, s[0:3], 0 offset:300
	buffer_load_dword v86, off, s[0:3], 0 offset:296
	;; [unrolled: 1-line block ×18, first 2 shown]
	ds_read_b128 v[110:113], v254 offset:944
	ds_read_b128 v[114:117], v254 offset:960
	;; [unrolled: 1-line block ×9, first 2 shown]
	v_cmp_lt_u32_e32 vcc, 5, v255
	s_waitcnt vmcnt(50) lgkmcnt(8)
	v_mul_f64 v[0:1], v[110:111], v[58:59]
	v_fmac_f64_e32 v[0:1], v[112:113], v[56:57]
	v_add_f64 v[0:1], v[0:1], 0
	s_waitcnt vmcnt(46) lgkmcnt(7)
	v_mul_f64 v[2:3], v[114:115], v[54:55]
	v_fmac_f64_e32 v[2:3], v[116:117], v[52:53]
	s_waitcnt vmcnt(44) lgkmcnt(6)
	v_mul_f64 v[4:5], v[194:195], v[50:51]
	v_add_f64 v[0:1], v[0:1], v[2:3]
	s_waitcnt vmcnt(42) lgkmcnt(4)
	v_mul_f64 v[8:9], v[202:203], v[60:61]
	v_mul_f64 v[50:51], v[196:197], v[50:51]
	s_waitcnt vmcnt(40)
	v_fmac_f64_e32 v[8:9], v[204:205], v[62:63]
	v_mul_f64 v[54:55], v[116:117], v[54:55]
	s_waitcnt vmcnt(38)
	v_mul_f64 v[6:7], v[198:199], v[64:65]
	v_fma_f64 v[228:229], v[114:115], v[52:53], -v[54:55]
	s_waitcnt vmcnt(36) lgkmcnt(2)
	v_mul_f64 v[12:13], v[210:211], v[74:75]
	s_waitcnt vmcnt(34)
	v_fmac_f64_e32 v[12:13], v[212:213], v[72:73]
	s_waitcnt vmcnt(32)
	v_mul_f64 v[10:11], v[206:207], v[76:77]
	v_mul_f64 v[54:55], v[208:209], v[76:77]
	s_waitcnt vmcnt(30) lgkmcnt(1)
	v_mul_f64 v[14:15], v[214:215], v[68:69]
	s_waitcnt vmcnt(28)
	v_fmac_f64_e32 v[4:5], v[196:197], v[82:83]
	v_add_f64 v[0:1], v[0:1], v[4:5]
	buffer_load_dword v105, off, s[0:3], 0 offset:356
	buffer_load_dword v104, off, s[0:3], 0 offset:352
	buffer_load_dword v5, off, s[0:3], 0 offset:348
	buffer_load_dword v4, off, s[0:3], 0 offset:344
	buffer_load_dword v223, off, s[0:3], 0 offset:340
	buffer_load_dword v222, off, s[0:3], 0 offset:336
	buffer_load_dword v3, off, s[0:3], 0 offset:396
	buffer_load_dword v2, off, s[0:3], 0 offset:392
	s_waitcnt vmcnt(34)
	v_fmac_f64_e32 v[6:7], v[200:201], v[80:81]
	v_add_f64 v[0:1], v[0:1], v[6:7]
	s_waitcnt vmcnt(32)
	v_fmac_f64_e32 v[10:11], v[208:209], v[78:79]
	v_add_f64 v[0:1], v[0:1], v[8:9]
	v_add_f64 v[0:1], v[0:1], v[10:11]
	s_waitcnt vmcnt(30)
	v_fmac_f64_e32 v[14:15], v[216:217], v[70:71]
	v_add_f64 v[0:1], v[0:1], v[12:13]
	v_add_f64 v[0:1], v[0:1], v[14:15]
	v_fma_f64 v[230:231], v[194:195], v[82:83], -v[50:51]
	v_mul_f64 v[50:51], v[200:201], v[64:65]
	s_waitcnt vmcnt(0)
	v_pk_mov_b32 v[16:17], v[2:3], v[2:3] op_sel:[0,1]
	buffer_load_dword v3, off, s[0:3], 0 offset:388
	buffer_load_dword v2, off, s[0:3], 0 offset:384
	v_accvgpr_write_b32 a159, v17
	v_accvgpr_write_b32 a158, v16
	s_waitcnt vmcnt(0)
	v_pk_mov_b32 v[18:19], v[2:3], v[2:3] op_sel:[0,1]
	buffer_load_dword v107, off, s[0:3], 0 offset:380
	buffer_load_dword v106, off, s[0:3], 0 offset:376
	;; [unrolled: 1-line block ×6, first 2 shown]
	v_accvgpr_write_b32 a161, v19
	v_accvgpr_write_b32 a160, v18
	s_waitcnt vmcnt(0)
	v_pk_mov_b32 v[22:23], v[2:3], v[2:3] op_sel:[0,1]
	buffer_load_dword v3, off, s[0:3], 0 offset:420
	buffer_load_dword v2, off, s[0:3], 0 offset:416
	v_accvgpr_write_b32 a163, v23
	v_accvgpr_write_b32 a162, v22
	s_waitcnt vmcnt(0)
	v_pk_mov_b32 v[24:25], v[2:3], v[2:3] op_sel:[0,1]
	buffer_load_dword v139, off, s[0:3], 0 offset:412
	buffer_load_dword v138, off, s[0:3], 0 offset:408
	;; [unrolled: 1-line block ×6, first 2 shown]
	v_accvgpr_write_b32 a165, v25
	v_accvgpr_write_b32 a164, v24
	s_waitcnt vmcnt(0)
	v_pk_mov_b32 v[30:31], v[2:3], v[2:3] op_sel:[0,1]
	buffer_load_dword v3, off, s[0:3], 0 offset:452
	buffer_load_dword v2, off, s[0:3], 0 offset:448
	v_accvgpr_write_b32 a167, v31
	v_accvgpr_write_b32 a166, v30
	s_waitcnt vmcnt(0)
	v_pk_mov_b32 v[32:33], v[2:3], v[2:3] op_sel:[0,1]
	buffer_load_dword v147, off, s[0:3], 0 offset:444
	buffer_load_dword v146, off, s[0:3], 0 offset:440
	;; [unrolled: 1-line block ×36, first 2 shown]
	ds_read_b128 v[232:235], v254 offset:1088
	ds_read_b128 v[236:239], v254 offset:1104
	;; [unrolled: 1-line block ×8, first 2 shown]
	v_accvgpr_write_b32 a169, v33
	v_accvgpr_write_b32 a168, v32
	s_waitcnt lgkmcnt(2)
	v_mul_f64 v[8:9], v[118:119], v[94:95]
	v_fmac_f64_e32 v[8:9], v[120:121], v[104:105]
	s_waitcnt lgkmcnt(0)
	v_mul_f64 v[20:21], v[122:123], v[22:23]
	v_fmac_f64_e32 v[20:21], v[124:125], v[24:25]
	ds_read_b128 v[130:133], v254 offset:1200
	s_waitcnt lgkmcnt(0)
	v_mul_f64 v[12:13], v[130:131], v[16:17]
	v_mul_f64 v[16:17], v[126:127], v[138:139]
	v_fmac_f64_e32 v[12:13], v[132:133], v[18:19]
	v_fmac_f64_e32 v[16:17], v[128:129], v[142:143]
	s_waitcnt vmcnt(28)
	v_pk_mov_b32 v[38:39], v[2:3], v[2:3] op_sel:[0,1]
	v_mul_f64 v[2:3], v[218:219], v[66:67]
	v_fmac_f64_e32 v[2:3], v[220:221], v[84:85]
	v_add_f64 v[0:1], v[0:1], v[2:3]
	v_mul_f64 v[2:3], v[232:233], v[90:91]
	v_fmac_f64_e32 v[2:3], v[234:235], v[92:93]
	v_add_f64 v[0:1], v[0:1], v[2:3]
	;; [unrolled: 3-line block ×6, first 2 shown]
	ds_read_b128 v[0:3], v254 offset:1184
	v_add_f64 v[6:7], v[6:7], v[8:9]
	v_accvgpr_write_b32 a171, v39
	v_accvgpr_write_b32 a170, v38
	v_mul_f64 v[4:5], v[250:251], v[4:5]
	s_waitcnt lgkmcnt(0)
	v_mul_f64 v[8:9], v[0:1], v[106:107]
	v_fmac_f64_e32 v[8:9], v[2:3], v[108:109]
	v_add_f64 v[10:11], v[6:7], v[8:9]
	v_add_f64 v[14:15], v[10:11], v[12:13]
	;; [unrolled: 1-line block ×3, first 2 shown]
	ds_read_b128 v[14:17], v254 offset:1248
	v_add_f64 v[22:23], v[18:19], v[20:21]
	ds_read_b128 v[18:21], v254 offset:1264
	v_mul_f64 v[8:9], v[112:113], v[58:59]
	v_fma_f64 v[58:59], v[198:199], v[80:81], -v[50:51]
	s_waitcnt lgkmcnt(1)
	v_mul_f64 v[24:25], v[14:15], v[146:147]
	v_fmac_f64_e32 v[24:25], v[16:17], v[150:151]
	v_add_f64 v[26:27], v[22:23], v[24:25]
	ds_read_b128 v[22:25], v254 offset:1280
	s_waitcnt lgkmcnt(1)
	v_mul_f64 v[28:29], v[18:19], v[30:31]
	v_fmac_f64_e32 v[28:29], v[20:21], v[32:33]
	v_add_f64 v[30:31], v[26:27], v[28:29]
	ds_read_b128 v[26:29], v254 offset:1296
	s_waitcnt vmcnt(26) lgkmcnt(1)
	v_mul_f64 v[32:33], v[22:23], v[154:155]
	s_waitcnt vmcnt(24)
	v_fmac_f64_e32 v[32:33], v[24:25], v[156:157]
	v_add_f64 v[34:35], v[30:31], v[32:33]
	ds_read_b128 v[30:33], v254 offset:1312
	s_waitcnt lgkmcnt(1)
	v_mul_f64 v[36:37], v[26:27], v[252:253]
	v_fmac_f64_e32 v[36:37], v[28:29], v[38:39]
	v_add_f64 v[38:39], v[34:35], v[36:37]
	ds_read_b128 v[34:37], v254 offset:1328
	s_waitcnt vmcnt(18) lgkmcnt(1)
	v_mul_f64 v[40:41], v[30:31], v[158:159]
	s_waitcnt vmcnt(16)
	;; [unrolled: 11-line block ×3, first 2 shown]
	v_fmac_f64_e32 v[48:49], v[40:41], v[164:165]
	v_add_f64 v[172:173], v[46:47], v[48:49]
	ds_read_b128 v[46:49], v254 offset:1376
	buffer_load_dword v171, off, s[0:3], 0 offset:604
	buffer_load_dword v170, off, s[0:3], 0 offset:600
	;; [unrolled: 1-line block ×4, first 2 shown]
	s_waitcnt lgkmcnt(1)
	v_mul_f64 v[176:177], v[42:43], v[140:141]
	v_fmac_f64_e32 v[176:177], v[44:45], v[144:145]
	v_add_f64 v[6:7], v[172:173], v[176:177]
	buffer_load_dword v177, off, s[0:3], 0 offset:620
	buffer_load_dword v176, off, s[0:3], 0 offset:616
	;; [unrolled: 1-line block ×24, first 2 shown]
	v_mul_f64 v[50:51], v[204:205], v[60:61]
	v_fma_f64 v[60:61], v[202:203], v[62:63], -v[50:51]
	buffer_load_dword v199, off, s[0:3], 0 offset:716
	buffer_load_dword v198, off, s[0:3], 0 offset:712
	;; [unrolled: 1-line block ×8, first 2 shown]
	ds_read_b128 v[50:53], v254 offset:1392
	v_fma_f64 v[10:11], v[110:111], v[56:57], -v[8:9]
	v_fma_f64 v[110:111], v[206:207], v[78:79], -v[54:55]
	v_mul_f64 v[54:55], v[212:213], v[74:75]
	v_fma_f64 v[112:113], v[210:211], v[72:73], -v[54:55]
	s_waitcnt vmcnt(38) lgkmcnt(1)
	v_mul_f64 v[54:55], v[46:47], v[166:167]
	s_waitcnt vmcnt(36)
	v_fmac_f64_e32 v[54:55], v[48:49], v[168:169]
	v_add_f64 v[6:7], v[6:7], v[54:55]
	s_waitcnt lgkmcnt(0)
	v_mul_f64 v[54:55], v[50:51], v[148:149]
	v_mul_f64 v[56:57], v[216:217], v[68:69]
	v_fmac_f64_e32 v[54:55], v[52:53], v[152:153]
	buffer_load_dword v209, off, s[0:3], 0 offset:748
	buffer_load_dword v208, off, s[0:3], 0 offset:744
	;; [unrolled: 1-line block ×12, first 2 shown]
	v_fma_f64 v[114:115], v[214:215], v[70:71], -v[56:57]
	buffer_load_dword v215, off, s[0:3], 0 offset:796
	buffer_load_dword v214, off, s[0:3], 0 offset:792
	;; [unrolled: 1-line block ×4, first 2 shown]
	v_add_f64 v[6:7], v[6:7], v[54:55]
	ds_read_b128 v[54:57], v254 offset:1408
	v_mul_f64 v[62:63], v[220:221], v[66:67]
	v_fma_f64 v[116:117], v[218:219], v[84:85], -v[62:63]
	ds_read_b128 v[218:221], v254 offset:1424
	v_mul_f64 v[70:71], v[238:239], v[86:87]
	v_mul_f64 v[2:3], v[2:3], v[106:107]
	v_fma_f64 v[250:251], v[0:1], v[108:109], -v[2:3]
	v_add_f64 v[10:11], v[10:11], 0
	v_add_f64 v[10:11], v[10:11], v[228:229]
	;; [unrolled: 1-line block ×9, first 2 shown]
	ds_read_b128 v[82:85], v254 offset:1520
	s_waitcnt vmcnt(50) lgkmcnt(2)
	v_mul_f64 v[62:63], v[54:55], v[170:171]
	s_waitcnt vmcnt(48)
	v_fmac_f64_e32 v[62:63], v[56:57], v[174:175]
	v_add_f64 v[6:7], v[6:7], v[62:63]
	v_mul_f64 v[62:63], v[234:235], v[90:91]
	v_fma_f64 v[232:233], v[232:233], v[92:93], -v[62:63]
	ds_read_b128 v[62:65], v254 offset:1440
	s_waitcnt vmcnt(46) lgkmcnt(2)
	v_mul_f64 v[66:67], v[218:219], v[176:177]
	s_waitcnt vmcnt(44)
	v_fmac_f64_e32 v[66:67], v[220:221], v[178:179]
	v_add_f64 v[6:7], v[6:7], v[66:67]
	ds_read_b128 v[66:69], v254 offset:1456
	s_waitcnt vmcnt(41) lgkmcnt(1)
	v_mul_f64 v[74:75], v[62:63], v[182:183]
	v_fma_f64 v[234:235], v[236:237], v[88:89], -v[70:71]
	s_waitcnt vmcnt(39)
	v_fmac_f64_e32 v[74:75], v[64:65], v[186:187]
	ds_read_b128 v[70:73], v254 offset:1472
	v_add_f64 v[6:7], v[6:7], v[74:75]
	s_waitcnt vmcnt(38) lgkmcnt(1)
	v_mul_f64 v[78:79], v[66:67], v[172:173]
	v_mul_f64 v[74:75], v[242:243], v[100:101]
	s_waitcnt vmcnt(36)
	v_fmac_f64_e32 v[78:79], v[68:69], v[184:185]
	v_fma_f64 v[8:9], v[240:241], v[102:103], -v[74:75]
	ds_read_b128 v[74:77], v254 offset:1488
	v_add_f64 v[6:7], v[6:7], v[78:79]
	ds_read_b128 v[78:81], v254 offset:1504
	s_waitcnt vmcnt(33) lgkmcnt(2)
	v_mul_f64 v[12:13], v[70:71], v[190:191]
	s_waitcnt vmcnt(31)
	v_fmac_f64_e32 v[12:13], v[72:73], v[192:193]
	v_add_f64 v[6:7], v[6:7], v[12:13]
	s_waitcnt vmcnt(29) lgkmcnt(1)
	v_mul_f64 v[12:13], v[74:75], v[180:181]
	ds_read_b128 v[86:89], v254 offset:1536
	s_waitcnt vmcnt(28)
	v_fmac_f64_e32 v[12:13], v[76:77], v[188:189]
	s_waitcnt vmcnt(26) lgkmcnt(1)
	v_mul_f64 v[90:91], v[78:79], v[194:195]
	v_add_f64 v[6:7], v[6:7], v[12:13]
	s_waitcnt vmcnt(24)
	v_fmac_f64_e32 v[90:91], v[80:81], v[196:197]
	v_mul_f64 v[12:13], v[246:247], v[96:97]
	v_fma_f64 v[246:247], v[248:249], v[222:223], -v[4:5]
	v_add_f64 v[4:5], v[6:7], v[90:91]
	ds_read_b128 v[90:93], v254 offset:1552
	s_waitcnt vmcnt(22)
	v_mul_f64 v[6:7], v[82:83], v[198:199]
	s_waitcnt vmcnt(20)
	v_fmac_f64_e32 v[6:7], v[84:85], v[202:203]
	v_add_f64 v[4:5], v[4:5], v[6:7]
	s_waitcnt vmcnt(18) lgkmcnt(1)
	v_mul_f64 v[6:7], v[86:87], v[200:201]
	s_waitcnt vmcnt(16)
	v_fmac_f64_e32 v[6:7], v[88:89], v[204:205]
	v_add_f64 v[4:5], v[4:5], v[6:7]
	v_mul_f64 v[6:7], v[120:121], v[94:95]
	v_fma_f64 v[12:13], v[244:245], v[98:99], -v[12:13]
	v_fma_f64 v[118:119], v[118:119], v[104:105], -v[6:7]
	ds_read_b128 v[94:97], v254 offset:1568
	ds_read_b128 v[98:101], v254 offset:1584
	;; [unrolled: 1-line block ×3, first 2 shown]
	buffer_load_dword v120, off, s[0:3], 0 offset:808
	buffer_load_dword v121, off, s[0:3], 0 offset:812
	;; [unrolled: 1-line block ×4, first 2 shown]
	s_waitcnt vmcnt(18) lgkmcnt(3)
	v_mul_f64 v[6:7], v[90:91], v[208:209]
	s_waitcnt vmcnt(16)
	v_fmac_f64_e32 v[6:7], v[92:93], v[212:213]
	s_waitcnt vmcnt(13) lgkmcnt(2)
	v_mul_f64 v[2:3], v[94:95], v[224:225]
	v_add_f64 v[0:1], v[4:5], v[6:7]
	s_waitcnt vmcnt(11)
	v_fmac_f64_e32 v[2:3], v[96:97], v[226:227]
	ds_read_b128 v[106:109], v254 offset:1616
	buffer_load_dword v237, off, s[0:3], 0 offset:828
	buffer_load_dword v236, off, s[0:3], 0 offset:824
	;; [unrolled: 1-line block ×4, first 2 shown]
	v_add_f64 v[0:1], v[0:1], v[2:3]
	s_waitcnt vmcnt(13) lgkmcnt(2)
	v_mul_f64 v[2:3], v[98:99], v[206:207]
	s_waitcnt vmcnt(12)
	v_fmac_f64_e32 v[2:3], v[100:101], v[210:211]
	v_add_f64 v[0:1], v[0:1], v[2:3]
	s_waitcnt vmcnt(10) lgkmcnt(1)
	v_mul_f64 v[2:3], v[102:103], v[214:215]
	s_waitcnt vmcnt(8)
	v_fmac_f64_e32 v[2:3], v[104:105], v[216:217]
	v_add_f64 v[0:1], v[0:1], v[2:3]
	v_add_f64 v[10:11], v[10:11], v[232:233]
	;; [unrolled: 1-line block ×6, first 2 shown]
	v_accvgpr_read_b32 v10, a158
	v_accvgpr_read_b32 v11, a159
	;; [unrolled: 1-line block ×3, first 2 shown]
	v_add_f64 v[118:119], v[8:9], v[118:119]
	v_mul_f64 v[10:11], v[132:133], v[10:11]
	v_accvgpr_read_b32 v13, a161
	v_add_f64 v[8:9], v[118:119], v[250:251]
	v_fma_f64 v[10:11], v[130:131], v[12:13], -v[10:11]
	v_add_f64 v[8:9], v[8:9], v[10:11]
	v_mul_f64 v[10:11], v[128:129], v[138:139]
	v_fma_f64 v[10:11], v[126:127], v[142:143], -v[10:11]
	v_add_f64 v[8:9], v[8:9], v[10:11]
	v_accvgpr_read_b32 v10, a162
	v_accvgpr_read_b32 v11, a163
	;; [unrolled: 1-line block ×3, first 2 shown]
	v_mul_f64 v[10:11], v[124:125], v[10:11]
	v_accvgpr_read_b32 v13, a165
	v_fma_f64 v[10:11], v[122:123], v[12:13], -v[10:11]
	v_add_f64 v[8:9], v[8:9], v[10:11]
	v_mul_f64 v[10:11], v[16:17], v[146:147]
	v_fma_f64 v[10:11], v[14:15], v[150:151], -v[10:11]
	v_add_f64 v[8:9], v[8:9], v[10:11]
	v_accvgpr_read_b32 v10, a166
	v_accvgpr_read_b32 v11, a167
	;; [unrolled: 1-line block ×3, first 2 shown]
	v_mul_f64 v[10:11], v[20:21], v[10:11]
	v_accvgpr_read_b32 v13, a169
	v_fma_f64 v[10:11], v[18:19], v[12:13], -v[10:11]
	v_add_f64 v[8:9], v[8:9], v[10:11]
	v_mul_f64 v[10:11], v[24:25], v[154:155]
	v_fma_f64 v[10:11], v[22:23], v[156:157], -v[10:11]
	v_accvgpr_read_b32 v12, a170
	v_add_f64 v[8:9], v[8:9], v[10:11]
	v_mul_f64 v[10:11], v[28:29], v[252:253]
	v_accvgpr_read_b32 v13, a171
	v_fma_f64 v[10:11], v[26:27], v[12:13], -v[10:11]
	v_add_f64 v[8:9], v[8:9], v[10:11]
	v_mul_f64 v[10:11], v[32:33], v[158:159]
	v_fma_f64 v[10:11], v[30:31], v[160:161], -v[10:11]
	v_add_f64 v[8:9], v[8:9], v[10:11]
	v_mul_f64 v[10:11], v[36:37], v[134:135]
	;; [unrolled: 3-line block ×7, first 2 shown]
	v_fma_f64 v[10:11], v[54:55], v[174:175], -v[10:11]
	v_add_f64 v[8:9], v[8:9], v[10:11]
	s_waitcnt vmcnt(6) lgkmcnt(0)
	v_mul_f64 v[2:3], v[106:107], v[120:121]
	v_mul_f64 v[10:11], v[220:221], v[176:177]
	s_waitcnt vmcnt(4)
	v_fmac_f64_e32 v[2:3], v[108:109], v[222:223]
	v_add_f64 v[4:5], v[0:1], v[2:3]
	ds_read_b128 v[0:3], v254 offset:1632
	buffer_load_dword v242, off, s[0:3], 0 offset:840
	buffer_load_dword v243, off, s[0:3], 0 offset:844
	;; [unrolled: 1-line block ×4, first 2 shown]
	v_fma_f64 v[10:11], v[218:219], v[178:179], -v[10:11]
	v_add_f64 v[8:9], v[8:9], v[10:11]
	v_mul_f64 v[10:11], v[64:65], v[182:183]
	s_waitcnt vmcnt(6) lgkmcnt(0)
	v_mul_f64 v[6:7], v[0:1], v[236:237]
	s_waitcnt vmcnt(4)
	v_fmac_f64_e32 v[6:7], v[2:3], v[238:239]
	v_add_f64 v[240:241], v[4:5], v[6:7]
	ds_read_b128 v[4:7], v254 offset:1648
	v_fma_f64 v[10:11], v[62:63], v[186:187], -v[10:11]
	v_add_f64 v[8:9], v[8:9], v[10:11]
	v_mul_f64 v[10:11], v[68:69], v[172:173]
	v_fma_f64 v[10:11], v[66:67], v[184:185], -v[10:11]
	v_add_f64 v[8:9], v[8:9], v[10:11]
	v_mul_f64 v[10:11], v[72:73], v[190:191]
	;; [unrolled: 3-line block ×11, first 2 shown]
	v_fma_f64 v[10:11], v[106:107], v[222:223], -v[10:11]
	v_mul_f64 v[2:3], v[2:3], v[236:237]
	v_add_f64 v[8:9], v[8:9], v[10:11]
	v_fma_f64 v[0:1], v[0:1], v[238:239], -v[2:3]
	v_add_f64 v[0:1], v[8:9], v[0:1]
	s_waitcnt vmcnt(2) lgkmcnt(0)
	v_mul_f64 v[248:249], v[4:5], v[242:243]
	v_mul_f64 v[2:3], v[6:7], v[242:243]
	s_waitcnt vmcnt(0)
	v_fmac_f64_e32 v[248:249], v[6:7], v[244:245]
	v_add_f64 v[240:241], v[240:241], v[248:249]
	buffer_load_dword v248, off, s[0:3], 0 offset:112
	buffer_load_dword v249, off, s[0:3], 0 offset:116
	;; [unrolled: 1-line block ×4, first 2 shown]
	v_fma_f64 v[2:3], v[4:5], v[244:245], -v[2:3]
	v_add_f64 v[0:1], v[0:1], v[2:3]
	s_waitcnt vmcnt(2)
	v_add_f64 v[0:1], v[248:249], -v[0:1]
	s_waitcnt vmcnt(0)
	v_add_f64 v[2:3], v[246:247], -v[240:241]
	buffer_store_dword v1, off, s[0:3], 0 offset:116
	buffer_store_dword v0, off, s[0:3], 0 offset:112
	;; [unrolled: 1-line block ×4, first 2 shown]
	s_and_saveexec_b64 s[4:5], vcc
	s_cbranch_execz .LBB115_315
; %bb.314:
	v_accvgpr_read_b32 v3, a150
	buffer_load_dword v0, v3, s[0:3], 0 offen
	buffer_load_dword v1, v3, s[0:3], 0 offen offset:4
	buffer_load_dword v2, v3, s[0:3], 0 offen offset:8
	s_nop 0
	buffer_load_dword v3, v3, s[0:3], 0 offen offset:12
	v_accvgpr_read_b32 v4, a156
	buffer_store_dword v254, off, s[0:3], 0 offset:96
	buffer_store_dword v254, off, s[0:3], 0 offset:100
	;; [unrolled: 1-line block ×4, first 2 shown]
	s_waitcnt vmcnt(4)
	ds_write_b128 v4, v[0:3]
.LBB115_315:
	s_or_b64 exec, exec, s[4:5]
	s_waitcnt lgkmcnt(0)
	; wave barrier
	s_waitcnt lgkmcnt(0)
	buffer_load_dword v60, off, s[0:3], 0 offset:112
	buffer_load_dword v61, off, s[0:3], 0 offset:116
	;; [unrolled: 1-line block ×42, first 2 shown]
	ds_read_b128 v[114:117], v254 offset:928
	ds_read_b128 v[180:183], v254 offset:944
	;; [unrolled: 1-line block ×10, first 2 shown]
	buffer_load_dword v1, off, s[0:3], 0 offset:260
	buffer_load_dword v0, off, s[0:3], 0 offset:256
	ds_read_b128 v[62:65], v254 offset:1088
	buffer_load_dword v101, off, s[0:3], 0 offset:316
	buffer_load_dword v100, off, s[0:3], 0 offset:312
	;; [unrolled: 1-line block ×6, first 2 shown]
	s_waitcnt vmcnt(46) lgkmcnt(10)
	v_mul_f64 v[2:3], v[114:115], v[174:175]
	v_fmac_f64_e32 v[2:3], v[116:117], v[60:61]
	v_add_f64 v[2:3], v[2:3], 0
	s_waitcnt vmcnt(42) lgkmcnt(9)
	v_mul_f64 v[4:5], v[180:181], v[58:59]
	v_fmac_f64_e32 v[4:5], v[182:183], v[50:51]
	v_add_f64 v[2:3], v[2:3], v[4:5]
	buffer_load_dword v253, off, s[0:3], 0 offset:292
	buffer_load_dword v252, off, s[0:3], 0 offset:288
	;; [unrolled: 1-line block ×20, first 2 shown]
	s_waitcnt vmcnt(60) lgkmcnt(8)
	v_mul_f64 v[6:7], v[184:185], v[52:53]
	s_waitcnt vmcnt(58) lgkmcnt(6)
	v_mul_f64 v[10:11], v[198:199], v[68:69]
	s_waitcnt vmcnt(56)
	v_fmac_f64_e32 v[10:11], v[200:201], v[70:71]
	v_mul_f64 v[58:59], v[182:183], v[58:59]
	s_waitcnt vmcnt(54)
	v_mul_f64 v[8:9], v[192:193], v[72:73]
	v_fma_f64 v[224:225], v[180:181], v[50:51], -v[58:59]
	s_waitcnt vmcnt(52) lgkmcnt(4)
	v_mul_f64 v[14:15], v[206:207], v[74:75]
	v_mul_f64 v[50:51], v[186:187], v[52:53]
	s_waitcnt vmcnt(50)
	v_fmac_f64_e32 v[14:15], v[208:209], v[76:77]
	s_waitcnt vmcnt(48)
	v_mul_f64 v[12:13], v[202:203], v[78:79]
	s_waitcnt vmcnt(46) lgkmcnt(2)
	v_mul_f64 v[18:19], v[214:215], v[82:83]
	s_waitcnt vmcnt(43)
	v_mul_f64 v[16:17], v[210:211], v[86:87]
	s_waitcnt vmcnt(41) lgkmcnt(1)
	v_mul_f64 v[20:21], v[54:55], v[80:81]
	s_waitcnt vmcnt(39)
	v_fmac_f64_e32 v[6:7], v[186:187], v[96:97]
	v_add_f64 v[2:3], v[2:3], v[6:7]
	s_waitcnt vmcnt(37)
	v_fmac_f64_e32 v[8:9], v[194:195], v[92:93]
	v_add_f64 v[2:3], v[2:3], v[8:9]
	;; [unrolled: 3-line block ×3, first 2 shown]
	v_add_f64 v[2:3], v[2:3], v[12:13]
	s_waitcnt vmcnt(33)
	v_fmac_f64_e32 v[16:17], v[212:213], v[88:89]
	v_add_f64 v[2:3], v[2:3], v[14:15]
	s_waitcnt vmcnt(32)
	v_fmac_f64_e32 v[18:19], v[216:217], v[84:85]
	v_add_f64 v[2:3], v[2:3], v[16:17]
	v_add_f64 v[2:3], v[2:3], v[18:19]
	v_fma_f64 v[96:97], v[184:185], v[96:97], -v[50:51]
	s_waitcnt vmcnt(26)
	v_fmac_f64_e32 v[20:21], v[56:57], v[0:1]
	v_add_f64 v[2:3], v[2:3], v[20:21]
	v_mul_f64 v[50:51], v[194:195], v[72:73]
	v_mul_f64 v[56:57], v[56:57], v[80:81]
	s_waitcnt vmcnt(0)
	v_pk_mov_b32 v[18:19], v[4:5], v[4:5] op_sel:[0,1]
	buffer_load_dword v5, off, s[0:3], 0 offset:404
	buffer_load_dword v4, off, s[0:3], 0 offset:400
	v_accvgpr_write_b32 a161, v19
	v_accvgpr_write_b32 a160, v18
	s_waitcnt vmcnt(0)
	v_pk_mov_b32 v[22:23], v[4:5], v[4:5] op_sel:[0,1]
	buffer_load_dword v5, off, s[0:3], 0 offset:396
	buffer_load_dword v4, off, s[0:3], 0 offset:392
	v_accvgpr_write_b32 a163, v23
	v_accvgpr_write_b32 a162, v22
	s_waitcnt vmcnt(0)
	v_pk_mov_b32 v[14:15], v[4:5], v[4:5] op_sel:[0,1]
	buffer_load_dword v139, off, s[0:3], 0 offset:388
	buffer_load_dword v138, off, s[0:3], 0 offset:384
	buffer_load_dword v5, off, s[0:3], 0 offset:444
	buffer_load_dword v4, off, s[0:3], 0 offset:440
	v_accvgpr_write_b32 a159, v15
	v_accvgpr_write_b32 a158, v14
	s_waitcnt vmcnt(0)
	v_pk_mov_b32 v[26:27], v[4:5], v[4:5] op_sel:[0,1]
	buffer_load_dword v5, off, s[0:3], 0 offset:436
	buffer_load_dword v4, off, s[0:3], 0 offset:432
	v_accvgpr_write_b32 a165, v27
	v_accvgpr_write_b32 a164, v26
	s_waitcnt vmcnt(0)
	v_pk_mov_b32 v[28:29], v[4:5], v[4:5] op_sel:[0,1]
	buffer_load_dword v143, off, s[0:3], 0 offset:428
	buffer_load_dword v142, off, s[0:3], 0 offset:424
	buffer_load_dword v147, off, s[0:3], 0 offset:420
	buffer_load_dword v146, off, s[0:3], 0 offset:416
	buffer_load_dword v5, off, s[0:3], 0 offset:476
	buffer_load_dword v4, off, s[0:3], 0 offset:472
	v_accvgpr_write_b32 a167, v29
	v_accvgpr_write_b32 a166, v28
	s_waitcnt vmcnt(0)
	v_pk_mov_b32 v[34:35], v[4:5], v[4:5] op_sel:[0,1]
	buffer_load_dword v5, off, s[0:3], 0 offset:468
	buffer_load_dword v4, off, s[0:3], 0 offset:464
	v_accvgpr_write_b32 a169, v35
	v_accvgpr_write_b32 a168, v34
	s_waitcnt vmcnt(0)
	v_pk_mov_b32 v[36:37], v[4:5], v[4:5] op_sel:[0,1]
	buffer_load_dword v151, off, s[0:3], 0 offset:460
	buffer_load_dword v150, off, s[0:3], 0 offset:456
	;; [unrolled: 16-line block ×3, first 2 shown]
	buffer_load_dword v161, off, s[0:3], 0 offset:484
	buffer_load_dword v160, off, s[0:3], 0 offset:480
	;; [unrolled: 1-line block ×26, first 2 shown]
	ds_read_b128 v[218:221], v254 offset:1104
	ds_read_b128 v[232:235], v254 offset:1120
	;; [unrolled: 1-line block ×10, first 2 shown]
	s_waitcnt lgkmcnt(4)
	v_mul_f64 v[8:9], v[248:249], v[106:107]
	v_fmac_f64_e32 v[8:9], v[250:251], v[108:109]
	s_waitcnt lgkmcnt(3)
	v_mul_f64 v[12:13], v[134:135], v[14:15]
	v_fmac_f64_e32 v[12:13], v[136:137], v[138:139]
	;; [unrolled: 3-line block ×4, first 2 shown]
	ds_read_b128 v[118:121], v254 offset:1264
	s_waitcnt lgkmcnt(1)
	v_mul_f64 v[24:25], v[122:123], v[26:27]
	v_fmac_f64_e32 v[24:25], v[124:125], v[28:29]
	v_accvgpr_write_b32 a175, v45
	v_accvgpr_write_b32 a174, v44
	s_waitcnt vmcnt(22)
	v_pk_mov_b32 v[176:177], v[4:5], v[4:5] op_sel:[0,1]
	v_mul_f64 v[4:5], v[62:63], v[94:95]
	v_fmac_f64_e32 v[4:5], v[64:65], v[98:99]
	v_add_f64 v[2:3], v[2:3], v[4:5]
	v_mul_f64 v[4:5], v[218:219], v[104:105]
	v_fmac_f64_e32 v[4:5], v[220:221], v[252:253]
	v_add_f64 v[2:3], v[2:3], v[4:5]
	;; [unrolled: 3-line block ×6, first 2 shown]
	v_add_f64 v[10:11], v[6:7], v[8:9]
	v_add_f64 v[14:15], v[10:11], v[12:13]
	;; [unrolled: 1-line block ×5, first 2 shown]
	ds_read_b128 v[22:25], v254 offset:1280
	s_waitcnt lgkmcnt(1)
	v_mul_f64 v[28:29], v[118:119], v[150:151]
	v_fmac_f64_e32 v[28:29], v[120:121], v[154:155]
	v_add_f64 v[30:31], v[26:27], v[28:29]
	ds_read_b128 v[26:29], v254 offset:1296
	s_waitcnt lgkmcnt(1)
	v_mul_f64 v[32:33], v[22:23], v[34:35]
	v_fmac_f64_e32 v[32:33], v[24:25], v[36:37]
	v_add_f64 v[34:35], v[30:31], v[32:33]
	;; [unrolled: 5-line block ×4, first 2 shown]
	ds_read_b128 v[38:41], v254 offset:1344
	ds_read_b128 v[42:45], v254 offset:1360
	s_waitcnt vmcnt(18) lgkmcnt(2)
	v_mul_f64 v[48:49], v[34:35], v[162:163]
	s_waitcnt vmcnt(16)
	v_fmac_f64_e32 v[48:49], v[36:37], v[164:165]
	v_add_f64 v[46:47], v[46:47], v[48:49]
	s_waitcnt lgkmcnt(1)
	v_mul_f64 v[48:49], v[38:39], v[176:177]
	v_fmac_f64_e32 v[48:49], v[40:41], v[140:141]
	v_add_f64 v[46:47], v[46:47], v[48:49]
	s_waitcnt vmcnt(10) lgkmcnt(0)
	v_mul_f64 v[48:49], v[42:43], v[166:167]
	v_accvgpr_write_b32 a176, v176
	s_waitcnt vmcnt(8)
	v_fmac_f64_e32 v[48:49], v[44:45], v[168:169]
	v_accvgpr_write_b32 a177, v177
	v_add_f64 v[2:3], v[46:47], v[48:49]
	ds_read_b128 v[46:49], v254 offset:1376
	v_mul_f64 v[4:5], v[116:117], v[174:175]
	buffer_load_dword v175, off, s[0:3], 0 offset:620
	buffer_load_dword v174, off, s[0:3], 0 offset:616
	;; [unrolled: 1-line block ×16, first 2 shown]
	v_fma_f64 v[14:15], v[192:193], v[92:93], -v[50:51]
	buffer_load_dword v182, off, s[0:3], 0 offset:696
	buffer_load_dword v195, off, s[0:3], 0 offset:684
	;; [unrolled: 1-line block ×8, first 2 shown]
	v_mul_f64 v[8:9], v[200:201], v[68:69]
	v_fma_f64 v[10:11], v[198:199], v[70:71], -v[8:9]
	buffer_load_dword v199, off, s[0:3], 0 offset:716
	buffer_load_dword v198, off, s[0:3], 0 offset:712
	;; [unrolled: 1-line block ×4, first 2 shown]
	v_mul_f64 v[12:13], v[208:209], v[74:75]
	v_mul_f64 v[50:51], v[204:205], v[78:79]
	v_fma_f64 v[12:13], v[206:207], v[76:77], -v[12:13]
	buffer_load_dword v204, off, s[0:3], 0 offset:728
	buffer_load_dword v206, off, s[0:3], 0 offset:720
	;; [unrolled: 1-line block ×4, first 2 shown]
	v_fma_f64 v[8:9], v[202:203], v[90:91], -v[50:51]
	v_mul_f64 v[50:51], v[212:213], v[86:87]
	v_fma_f64 v[6:7], v[210:211], v[88:89], -v[50:51]
	buffer_load_dword v203, off, s[0:3], 0 offset:764
	buffer_load_dword v209, off, s[0:3], 0 offset:748
	;; [unrolled: 1-line block ×12, first 2 shown]
	v_mul_f64 v[16:17], v[216:217], v[82:83]
	ds_read_b128 v[50:53], v254 offset:1392
	v_fma_f64 v[16:17], v[214:215], v[84:85], -v[16:17]
	buffer_load_dword v214, off, s[0:3], 0 offset:792
	buffer_load_dword v216, off, s[0:3], 0 offset:784
	;; [unrolled: 1-line block ×4, first 2 shown]
	v_fma_f64 v[18:19], v[114:115], v[60:61], -v[4:5]
	v_fma_f64 v[4:5], v[54:55], v[0:1], -v[56:57]
	ds_read_b128 v[54:57], v254 offset:1408
	s_waitcnt lgkmcnt(2)
	v_mul_f64 v[58:59], v[46:47], v[144:145]
	v_fmac_f64_e32 v[58:59], v[48:49], v[148:149]
	v_add_f64 v[2:3], v[2:3], v[58:59]
	s_waitcnt vmcnt(50) lgkmcnt(1)
	v_mul_f64 v[58:59], v[50:51], v[170:171]
	s_waitcnt vmcnt(48)
	v_fmac_f64_e32 v[58:59], v[52:53], v[172:173]
	v_mul_f64 v[64:65], v[64:65], v[94:95]
	v_add_f64 v[2:3], v[2:3], v[58:59]
	v_fma_f64 v[94:95], v[62:63], v[98:99], -v[64:65]
	ds_read_b128 v[62:65], v254 offset:1440
	s_waitcnt lgkmcnt(1)
	v_mul_f64 v[58:59], v[54:55], v[152:153]
	v_fmac_f64_e32 v[58:59], v[56:57], v[156:157]
	v_add_f64 v[2:3], v[2:3], v[58:59]
	ds_read_b128 v[58:61], v254 offset:1424
	v_mul_f64 v[74:75], v[234:235], v[100:101]
	v_fma_f64 v[232:233], v[232:233], v[102:103], -v[74:75]
	ds_read_b128 v[74:77], v254 offset:1488
	v_mul_f64 v[86:87], v[242:243], v[110:111]
	v_fma_f64 v[0:1], v[240:241], v[112:113], -v[86:87]
	v_add_f64 v[18:19], v[18:19], 0
	v_add_f64 v[18:19], v[18:19], v[224:225]
	;; [unrolled: 1-line block ×11, first 2 shown]
	ds_read_b128 v[86:89], v254 offset:1536
	ds_read_b128 v[90:93], v254 offset:1552
	;; [unrolled: 1-line block ×3, first 2 shown]
	s_waitcnt vmcnt(46) lgkmcnt(4)
	v_mul_f64 v[70:71], v[58:59], v[174:175]
	s_waitcnt vmcnt(44)
	v_fmac_f64_e32 v[70:71], v[60:61], v[178:179]
	v_add_f64 v[2:3], v[2:3], v[70:71]
	v_mul_f64 v[70:71], v[220:221], v[104:105]
	v_fma_f64 v[252:253], v[218:219], v[252:253], -v[70:71]
	ds_read_b128 v[218:221], v254 offset:1456
	s_waitcnt vmcnt(41)
	v_mul_f64 v[70:71], v[62:63], v[176:177]
	s_waitcnt vmcnt(40)
	v_fmac_f64_e32 v[70:71], v[64:65], v[180:181]
	v_add_f64 v[2:3], v[2:3], v[70:71]
	ds_read_b128 v[70:73], v254 offset:1472
	s_waitcnt vmcnt(38) lgkmcnt(1)
	v_mul_f64 v[78:79], v[218:219], v[184:185]
	s_waitcnt vmcnt(36)
	v_fmac_f64_e32 v[78:79], v[220:221], v[188:189]
	v_add_f64 v[2:3], v[2:3], v[78:79]
	v_mul_f64 v[78:79], v[238:239], v[222:223]
	v_fma_f64 v[222:223], v[236:237], v[228:229], -v[78:79]
	ds_read_b128 v[78:81], v254 offset:1504
	s_waitcnt vmcnt(34) lgkmcnt(1)
	v_mul_f64 v[82:83], v[70:71], v[186:187]
	s_waitcnt vmcnt(32)
	v_fmac_f64_e32 v[82:83], v[72:73], v[190:191]
	v_add_f64 v[2:3], v[2:3], v[82:83]
	s_waitcnt vmcnt(29)
	v_mul_f64 v[82:83], v[74:75], v[194:195]
	s_waitcnt vmcnt(27)
	v_fmac_f64_e32 v[82:83], v[76:77], v[196:197]
	v_add_f64 v[2:3], v[2:3], v[82:83]
	s_waitcnt vmcnt(25) lgkmcnt(0)
	v_mul_f64 v[82:83], v[78:79], v[182:183]
	s_waitcnt vmcnt(24)
	v_fmac_f64_e32 v[82:83], v[80:81], v[192:193]
	v_add_f64 v[2:3], v[2:3], v[82:83]
	ds_read_b128 v[82:85], v254 offset:1520
	s_waitcnt vmcnt(13)
	v_mul_f64 v[102:103], v[90:91], v[208:209]
	s_waitcnt vmcnt(11)
	v_fmac_f64_e32 v[102:103], v[92:93], v[68:69]
	v_add_f64 v[4:5], v[4:5], v[252:253]
	v_add_f64 v[4:5], v[4:5], v[232:233]
	s_waitcnt lgkmcnt(0)
	v_mul_f64 v[20:21], v[82:83], v[198:199]
	v_fmac_f64_e32 v[20:21], v[84:85], v[200:201]
	v_add_f64 v[20:21], v[2:3], v[20:21]
	v_mul_f64 v[2:3], v[246:247], v[230:231]
	ds_read_b128 v[228:231], v254 offset:1568
	v_fma_f64 v[2:3], v[244:245], v[66:67], -v[2:3]
	v_mul_f64 v[66:67], v[86:87], v[204:205]
	v_fmac_f64_e32 v[66:67], v[88:89], v[206:207]
	v_add_f64 v[20:21], v[20:21], v[66:67]
	v_add_f64 v[20:21], v[20:21], v[102:103]
	s_waitcnt vmcnt(10) lgkmcnt(0)
	v_mul_f64 v[102:103], v[228:229], v[202:203]
	s_waitcnt vmcnt(8)
	v_fmac_f64_e32 v[102:103], v[230:231], v[210:211]
	v_add_f64 v[20:21], v[20:21], v[102:103]
	s_waitcnt vmcnt(6)
	v_mul_f64 v[102:103], v[98:99], v[212:213]
	s_waitcnt vmcnt(4)
	v_fmac_f64_e32 v[102:103], v[100:101], v[226:227]
	v_mul_f64 v[66:67], v[250:251], v[106:107]
	v_add_f64 v[20:21], v[20:21], v[102:103]
	ds_read_b128 v[102:105], v254 offset:1600
	buffer_load_dword v251, off, s[0:3], 0 offset:812
	buffer_load_dword v250, off, s[0:3], 0 offset:808
	;; [unrolled: 1-line block ×4, first 2 shown]
	v_fma_f64 v[66:67], v[248:249], v[108:109], -v[66:67]
	v_add_f64 v[4:5], v[4:5], v[222:223]
	s_waitcnt vmcnt(5) lgkmcnt(0)
	v_mul_f64 v[106:107], v[102:103], v[214:215]
	s_waitcnt vmcnt(4)
	v_fmac_f64_e32 v[106:107], v[104:105], v[216:217]
	v_add_f64 v[20:21], v[20:21], v[106:107]
	ds_read_b128 v[106:109], v254 offset:1616
	buffer_load_dword v236, off, s[0:3], 0 offset:824
	buffer_load_dword v237, off, s[0:3], 0 offset:828
	buffer_load_dword v238, off, s[0:3], 0 offset:816
	buffer_load_dword v239, off, s[0:3], 0 offset:820
	s_waitcnt vmcnt(6) lgkmcnt(0)
	v_mul_f64 v[110:111], v[106:107], v[250:251]
	s_waitcnt vmcnt(4)
	v_fmac_f64_e32 v[110:111], v[108:109], v[234:235]
	v_add_f64 v[20:21], v[20:21], v[110:111]
	ds_read_b128 v[110:113], v254 offset:1632
	buffer_load_dword v243, off, s[0:3], 0 offset:844
	buffer_load_dword v242, off, s[0:3], 0 offset:840
	buffer_load_dword v245, off, s[0:3], 0 offset:836
	buffer_load_dword v244, off, s[0:3], 0 offset:832
	;; [unrolled: 10-line block ×3, first 2 shown]
	v_add_f64 v[254:255], v[4:5], v[0:1]
	v_add_f64 v[0:1], v[254:255], v[2:3]
	v_accvgpr_read_b32 v2, a158
	v_accvgpr_read_b32 v3, a159
	v_mul_f64 v[2:3], v[136:137], v[2:3]
	v_add_f64 v[0:1], v[0:1], v[66:67]
	v_fma_f64 v[2:3], v[134:135], v[138:139], -v[2:3]
	v_add_f64 v[0:1], v[0:1], v[2:3]
	v_accvgpr_read_b32 v2, a160
	v_accvgpr_read_b32 v3, a161
	v_accvgpr_read_b32 v4, a162
	v_mul_f64 v[2:3], v[132:133], v[2:3]
	v_accvgpr_read_b32 v5, a163
	v_fma_f64 v[2:3], v[130:131], v[4:5], -v[2:3]
	v_add_f64 v[0:1], v[0:1], v[2:3]
	v_mul_f64 v[2:3], v[128:129], v[142:143]
	v_fma_f64 v[2:3], v[126:127], v[146:147], -v[2:3]
	v_add_f64 v[0:1], v[0:1], v[2:3]
	v_accvgpr_read_b32 v2, a164
	v_accvgpr_read_b32 v3, a165
	v_accvgpr_read_b32 v4, a166
	v_mul_f64 v[2:3], v[124:125], v[2:3]
	v_accvgpr_read_b32 v5, a167
	v_fma_f64 v[2:3], v[122:123], v[4:5], -v[2:3]
	v_add_f64 v[0:1], v[0:1], v[2:3]
	v_mul_f64 v[2:3], v[120:121], v[150:151]
	;; [unrolled: 10-line block ×4, first 2 shown]
	v_fma_f64 v[2:3], v[34:35], v[164:165], -v[2:3]
	v_add_f64 v[0:1], v[0:1], v[2:3]
	v_accvgpr_read_b32 v2, a176
	v_accvgpr_read_b32 v3, a177
	v_mul_f64 v[2:3], v[40:41], v[2:3]
	v_fma_f64 v[2:3], v[38:39], v[140:141], -v[2:3]
	v_add_f64 v[0:1], v[0:1], v[2:3]
	v_mul_f64 v[2:3], v[44:45], v[166:167]
	v_fma_f64 v[2:3], v[42:43], v[168:169], -v[2:3]
	v_add_f64 v[0:1], v[0:1], v[2:3]
	v_mul_f64 v[2:3], v[48:49], v[144:145]
	v_fma_f64 v[2:3], v[46:47], v[148:149], -v[2:3]
	v_add_f64 v[0:1], v[0:1], v[2:3]
	v_mul_f64 v[2:3], v[52:53], v[170:171]
	v_fma_f64 v[2:3], v[50:51], v[172:173], -v[2:3]
	v_add_f64 v[0:1], v[0:1], v[2:3]
	v_mul_f64 v[2:3], v[56:57], v[152:153]
	v_fma_f64 v[2:3], v[54:55], v[156:157], -v[2:3]
	v_add_f64 v[0:1], v[0:1], v[2:3]
	v_mul_f64 v[2:3], v[60:61], v[174:175]
	v_fma_f64 v[2:3], v[58:59], v[178:179], -v[2:3]
	v_add_f64 v[0:1], v[0:1], v[2:3]
	v_mul_f64 v[2:3], v[64:65], v[176:177]
	v_fma_f64 v[2:3], v[62:63], v[180:181], -v[2:3]
	v_add_f64 v[0:1], v[0:1], v[2:3]
	v_mul_f64 v[2:3], v[220:221], v[184:185]
	v_fma_f64 v[2:3], v[218:219], v[188:189], -v[2:3]
	v_add_f64 v[0:1], v[0:1], v[2:3]
	v_mul_f64 v[2:3], v[72:73], v[186:187]
	v_fma_f64 v[2:3], v[70:71], v[190:191], -v[2:3]
	v_add_f64 v[0:1], v[0:1], v[2:3]
	v_mul_f64 v[2:3], v[76:77], v[194:195]
	v_fma_f64 v[2:3], v[74:75], v[196:197], -v[2:3]
	v_add_f64 v[0:1], v[0:1], v[2:3]
	v_mul_f64 v[2:3], v[80:81], v[182:183]
	v_fma_f64 v[2:3], v[78:79], v[192:193], -v[2:3]
	v_add_f64 v[0:1], v[0:1], v[2:3]
	v_mul_f64 v[2:3], v[84:85], v[198:199]
	v_fma_f64 v[2:3], v[82:83], v[200:201], -v[2:3]
	v_add_f64 v[0:1], v[0:1], v[2:3]
	v_mul_f64 v[2:3], v[88:89], v[204:205]
	v_fma_f64 v[2:3], v[86:87], v[206:207], -v[2:3]
	v_add_f64 v[0:1], v[0:1], v[2:3]
	v_mul_f64 v[2:3], v[92:93], v[208:209]
	v_fma_f64 v[2:3], v[90:91], v[68:69], -v[2:3]
	v_add_f64 v[0:1], v[0:1], v[2:3]
	v_mul_f64 v[2:3], v[230:231], v[202:203]
	v_fma_f64 v[2:3], v[228:229], v[210:211], -v[2:3]
	v_add_f64 v[0:1], v[0:1], v[2:3]
	v_mul_f64 v[2:3], v[100:101], v[212:213]
	v_fma_f64 v[2:3], v[98:99], v[226:227], -v[2:3]
	v_add_f64 v[0:1], v[0:1], v[2:3]
	v_mul_f64 v[2:3], v[104:105], v[214:215]
	v_fma_f64 v[2:3], v[102:103], v[216:217], -v[2:3]
	v_add_f64 v[0:1], v[0:1], v[2:3]
	v_mul_f64 v[2:3], v[108:109], v[250:251]
	v_fma_f64 v[2:3], v[106:107], v[234:235], -v[2:3]
	v_add_f64 v[0:1], v[0:1], v[2:3]
	v_mul_f64 v[2:3], v[112:113], v[236:237]
	v_fma_f64 v[2:3], v[110:111], v[238:239], -v[2:3]
	v_add_f64 v[0:1], v[0:1], v[2:3]
	s_waitcnt vmcnt(6) lgkmcnt(0)
	v_mul_f64 v[2:3], v[116:117], v[242:243]
	v_mul_f64 v[240:241], v[114:115], v[242:243]
	s_waitcnt vmcnt(4)
	v_fma_f64 v[2:3], v[114:115], v[244:245], -v[2:3]
	v_fmac_f64_e32 v[240:241], v[116:117], v[244:245]
	v_add_f64 v[0:1], v[0:1], v[2:3]
	v_accvgpr_read_b32 v255, a155
	v_add_f64 v[240:241], v[20:21], v[240:241]
	s_waitcnt vmcnt(2)
	v_add_f64 v[0:1], v[248:249], -v[0:1]
	v_cmp_lt_u32_e32 vcc, 4, v255
	s_waitcnt vmcnt(0)
	v_add_f64 v[2:3], v[246:247], -v[240:241]
	buffer_store_dword v1, off, s[0:3], 0 offset:100
	buffer_store_dword v0, off, s[0:3], 0 offset:96
	;; [unrolled: 1-line block ×4, first 2 shown]
	s_and_saveexec_b64 s[4:5], vcc
	s_cbranch_execz .LBB115_317
; %bb.316:
	v_accvgpr_read_b32 v3, a151
	buffer_load_dword v0, v3, s[0:3], 0 offen
	buffer_load_dword v1, v3, s[0:3], 0 offen offset:4
	buffer_load_dword v2, v3, s[0:3], 0 offen offset:8
	s_nop 0
	buffer_load_dword v3, v3, s[0:3], 0 offen offset:12
	v_mov_b32_e32 v4, 0
	v_accvgpr_read_b32 v5, a156
	buffer_store_dword v4, off, s[0:3], 0 offset:80
	buffer_store_dword v4, off, s[0:3], 0 offset:84
	;; [unrolled: 1-line block ×4, first 2 shown]
	s_waitcnt vmcnt(4)
	ds_write_b128 v5, v[0:3]
.LBB115_317:
	s_or_b64 exec, exec, s[4:5]
	s_waitcnt lgkmcnt(0)
	; wave barrier
	s_waitcnt lgkmcnt(0)
	buffer_load_dword v48, off, s[0:3], 0 offset:96
	buffer_load_dword v49, off, s[0:3], 0 offset:100
	;; [unrolled: 1-line block ×42, first 2 shown]
	v_mov_b32_e32 v254, 0
	buffer_load_dword v99, off, s[0:3], 0 offset:244
	buffer_load_dword v98, off, s[0:3], 0 offset:240
	;; [unrolled: 1-line block ×7, first 2 shown]
	ds_read_b128 v[112:115], v254 offset:912
	ds_read_b128 v[170:173], v254 offset:928
	;; [unrolled: 1-line block ×11, first 2 shown]
	v_cmp_lt_u32_e32 vcc, 3, v255
	s_waitcnt vmcnt(45) lgkmcnt(10)
	v_mul_f64 v[0:1], v[112:113], v[52:53]
	v_fmac_f64_e32 v[0:1], v[114:115], v[48:49]
	v_add_f64 v[0:1], v[0:1], 0
	v_mul_f64 v[52:53], v[114:115], v[52:53]
	s_waitcnt vmcnt(41) lgkmcnt(9)
	v_mul_f64 v[2:3], v[170:171], v[54:55]
	v_fmac_f64_e32 v[2:3], v[172:173], v[50:51]
	s_waitcnt vmcnt(39) lgkmcnt(8)
	v_mul_f64 v[4:5], v[178:179], v[46:47]
	v_add_f64 v[0:1], v[0:1], v[2:3]
	s_waitcnt vmcnt(37) lgkmcnt(6)
	v_mul_f64 v[8:9], v[188:189], v[62:63]
	v_mul_f64 v[46:47], v[180:181], v[46:47]
	s_waitcnt vmcnt(35)
	v_fmac_f64_e32 v[8:9], v[190:191], v[56:57]
	s_waitcnt vmcnt(33)
	v_mul_f64 v[6:7], v[182:183], v[64:65]
	s_waitcnt vmcnt(31) lgkmcnt(4)
	v_mul_f64 v[12:13], v[198:199], v[66:67]
	s_waitcnt vmcnt(29)
	v_fmac_f64_e32 v[12:13], v[200:201], v[68:69]
	s_waitcnt vmcnt(27)
	v_mul_f64 v[10:11], v[194:195], v[70:71]
	s_waitcnt vmcnt(25) lgkmcnt(2)
	v_mul_f64 v[16:17], v[208:209], v[76:77]
	s_waitcnt vmcnt(22)
	v_mul_f64 v[14:15], v[202:203], v[78:79]
	s_waitcnt vmcnt(20) lgkmcnt(1)
	v_mul_f64 v[18:19], v[212:213], v[72:73]
	s_waitcnt vmcnt(18)
	v_fmac_f64_e32 v[4:5], v[180:181], v[90:91]
	v_add_f64 v[0:1], v[0:1], v[4:5]
	s_waitcnt vmcnt(16)
	v_fmac_f64_e32 v[6:7], v[184:185], v[88:89]
	v_add_f64 v[0:1], v[0:1], v[6:7]
	;; [unrolled: 3-line block ×3, first 2 shown]
	v_add_f64 v[0:1], v[0:1], v[10:11]
	s_waitcnt vmcnt(12)
	v_fmac_f64_e32 v[14:15], v[204:205], v[80:81]
	v_add_f64 v[0:1], v[0:1], v[12:13]
	s_waitcnt vmcnt(11)
	v_fmac_f64_e32 v[16:17], v[210:211], v[74:75]
	v_add_f64 v[0:1], v[0:1], v[14:15]
	v_add_f64 v[6:7], v[0:1], v[16:17]
	buffer_load_dword v96, off, s[0:3], 0 offset:280
	buffer_load_dword v221, off, s[0:3], 0 offset:276
	;; [unrolled: 1-line block ×21, first 2 shown]
	s_waitcnt vmcnt(26)
	v_fmac_f64_e32 v[18:19], v[214:215], v[98:99]
	s_waitcnt lgkmcnt(0)
	v_mul_f64 v[8:9], v[58:59], v[84:85]
	v_add_f64 v[6:7], v[6:7], v[18:19]
	v_fmac_f64_e32 v[8:9], v[60:61], v[86:87]
	v_add_f64 v[6:7], v[6:7], v[8:9]
	v_fma_f64 v[90:91], v[178:179], v[90:91], -v[46:47]
	v_mul_f64 v[46:47], v[184:185], v[64:65]
	v_fma_f64 v[64:65], v[182:183], v[88:89], -v[46:47]
	v_mul_f64 v[46:47], v[190:191], v[62:63]
	v_fma_f64 v[62:63], v[188:189], v[56:57], -v[46:47]
	s_waitcnt vmcnt(0)
	v_pk_mov_b32 v[14:15], v[4:5], v[4:5] op_sel:[0,1]
	buffer_load_dword v5, off, s[0:3], 0 offset:388
	buffer_load_dword v4, off, s[0:3], 0 offset:384
	v_accvgpr_write_b32 a159, v15
	v_accvgpr_write_b32 a158, v14
	s_waitcnt vmcnt(0)
	v_pk_mov_b32 v[16:17], v[4:5], v[4:5] op_sel:[0,1]
	buffer_load_dword v105, off, s[0:3], 0 offset:380
	buffer_load_dword v104, off, s[0:3], 0 offset:376
	buffer_load_dword v107, off, s[0:3], 0 offset:372
	buffer_load_dword v106, off, s[0:3], 0 offset:368
	buffer_load_dword v5, off, s[0:3], 0 offset:428
	buffer_load_dword v4, off, s[0:3], 0 offset:424
	v_accvgpr_write_b32 a161, v17
	v_accvgpr_write_b32 a160, v16
	s_waitcnt vmcnt(0)
	v_pk_mov_b32 v[22:23], v[4:5], v[4:5] op_sel:[0,1]
	buffer_load_dword v5, off, s[0:3], 0 offset:420
	buffer_load_dword v4, off, s[0:3], 0 offset:416
	v_accvgpr_write_b32 a163, v23
	v_accvgpr_write_b32 a162, v22
	s_waitcnt vmcnt(0)
	v_pk_mov_b32 v[24:25], v[4:5], v[4:5] op_sel:[0,1]
	buffer_load_dword v139, off, s[0:3], 0 offset:412
	buffer_load_dword v138, off, s[0:3], 0 offset:408
	buffer_load_dword v143, off, s[0:3], 0 offset:404
	buffer_load_dword v142, off, s[0:3], 0 offset:400
	buffer_load_dword v5, off, s[0:3], 0 offset:460
	buffer_load_dword v4, off, s[0:3], 0 offset:456
	v_accvgpr_write_b32 a165, v25
	v_accvgpr_write_b32 a164, v24
	;; [unrolled: 16-line block ×3, first 2 shown]
	s_waitcnt vmcnt(0)
	v_pk_mov_b32 v[38:39], v[4:5], v[4:5] op_sel:[0,1]
	buffer_load_dword v5, off, s[0:3], 0 offset:484
	buffer_load_dword v4, off, s[0:3], 0 offset:480
	v_accvgpr_write_b32 a171, v39
	v_accvgpr_write_b32 a170, v38
	s_waitcnt vmcnt(0)
	v_pk_mov_b32 v[40:41], v[4:5], v[4:5] op_sel:[0,1]
	buffer_load_dword v155, off, s[0:3], 0 offset:476
	buffer_load_dword v154, off, s[0:3], 0 offset:472
	;; [unrolled: 1-line block ×28, first 2 shown]
	ds_read_b128 v[216:219], v254 offset:1088
	ds_read_b128 v[232:235], v254 offset:1104
	;; [unrolled: 1-line block ×6, first 2 shown]
	s_waitcnt lgkmcnt(5)
	v_mul_f64 v[8:9], v[216:217], v[96:97]
	v_fmac_f64_e32 v[8:9], v[218:219], v[220:221]
	v_add_f64 v[6:7], v[6:7], v[8:9]
	s_waitcnt lgkmcnt(4)
	v_mul_f64 v[8:9], v[232:233], v[92:93]
	v_fmac_f64_e32 v[8:9], v[234:235], v[94:95]
	v_add_f64 v[6:7], v[6:7], v[8:9]
	;; [unrolled: 4-line block ×3, first 2 shown]
	s_waitcnt lgkmcnt(2)
	v_mul_f64 v[8:9], v[240:241], v[108:109]
	v_fmac_f64_e32 v[8:9], v[242:243], v[110:111]
	ds_read_b128 v[116:119], v254 offset:1184
	ds_read_b128 v[132:135], v254 offset:1200
	v_add_f64 v[6:7], v[6:7], v[8:9]
	s_waitcnt lgkmcnt(3)
	v_mul_f64 v[8:9], v[244:245], v[206:207]
	v_fmac_f64_e32 v[8:9], v[246:247], v[2:3]
	ds_read_b128 v[128:131], v254 offset:1216
	ds_read_b128 v[124:127], v254 offset:1232
	v_add_f64 v[6:7], v[6:7], v[8:9]
	s_waitcnt lgkmcnt(4)
	v_mul_f64 v[8:9], v[248:249], v[100:101]
	v_fmac_f64_e32 v[8:9], v[250:251], v[102:103]
	v_add_f64 v[6:7], v[6:7], v[8:9]
	s_waitcnt lgkmcnt(3)
	v_mul_f64 v[8:9], v[116:117], v[104:105]
	v_fmac_f64_e32 v[8:9], v[118:119], v[106:107]
	s_waitcnt lgkmcnt(2)
	v_mul_f64 v[12:13], v[132:133], v[14:15]
	v_add_f64 v[10:11], v[6:7], v[8:9]
	v_fmac_f64_e32 v[12:13], v[134:135], v[16:17]
	s_waitcnt lgkmcnt(1)
	v_mul_f64 v[16:17], v[128:129], v[138:139]
	v_add_f64 v[14:15], v[10:11], v[12:13]
	;; [unrolled: 4-line block ×3, first 2 shown]
	ds_read_b128 v[120:123], v254 offset:1248
	v_fmac_f64_e32 v[20:21], v[126:127], v[24:25]
	v_add_f64 v[22:23], v[18:19], v[20:21]
	ds_read_b128 v[18:21], v254 offset:1264
	v_accvgpr_write_b32 a173, v41
	s_waitcnt lgkmcnt(1)
	v_mul_f64 v[24:25], v[120:121], v[146:147]
	v_fmac_f64_e32 v[24:25], v[122:123], v[150:151]
	v_add_f64 v[26:27], v[22:23], v[24:25]
	s_waitcnt lgkmcnt(0)
	v_mul_f64 v[28:29], v[18:19], v[30:31]
	ds_read_b128 v[22:25], v254 offset:1280
	v_fmac_f64_e32 v[28:29], v[20:21], v[32:33]
	v_add_f64 v[30:31], v[26:27], v[28:29]
	ds_read_b128 v[26:29], v254 offset:1296
	v_accvgpr_write_b32 a172, v40
	v_fma_f64 v[14:15], v[112:113], v[48:49], -v[52:53]
	s_waitcnt vmcnt(26) lgkmcnt(1)
	v_mul_f64 v[32:33], v[22:23], v[154:155]
	v_mul_f64 v[48:49], v[172:173], v[54:55]
	s_waitcnt vmcnt(24)
	v_fmac_f64_e32 v[32:33], v[24:25], v[156:157]
	s_waitcnt lgkmcnt(0)
	v_mul_f64 v[36:37], v[26:27], v[38:39]
	v_add_f64 v[34:35], v[30:31], v[32:33]
	ds_read_b128 v[30:33], v254 offset:1312
	v_fmac_f64_e32 v[36:37], v[28:29], v[40:41]
	v_add_f64 v[38:39], v[34:35], v[36:37]
	ds_read_b128 v[34:37], v254 offset:1328
	s_waitcnt vmcnt(22)
	v_accvgpr_write_b32 a175, v5
	s_waitcnt vmcnt(18) lgkmcnt(1)
	v_mul_f64 v[40:41], v[30:31], v[158:159]
	s_waitcnt vmcnt(16)
	v_fmac_f64_e32 v[40:41], v[32:33], v[160:161]
	v_add_f64 v[42:43], v[38:39], v[40:41]
	s_waitcnt lgkmcnt(0)
	v_mul_f64 v[44:45], v[34:35], v[4:5]
	v_fmac_f64_e32 v[44:45], v[36:37], v[136:137]
	ds_read_b128 v[38:41], v254 offset:1344
	v_accvgpr_write_b32 a174, v4
	v_add_f64 v[4:5], v[42:43], v[44:45]
	ds_read_b128 v[42:45], v254 offset:1360
	v_fma_f64 v[112:113], v[170:171], v[50:51], -v[48:49]
	buffer_load_dword v171, off, s[0:3], 0 offset:604
	buffer_load_dword v170, off, s[0:3], 0 offset:600
	buffer_load_dword v177, off, s[0:3], 0 offset:596
	buffer_load_dword v176, off, s[0:3], 0 offset:592
	buffer_load_dword v172, off, s[0:3], 0 offset:616
	buffer_load_dword v174, off, s[0:3], 0 offset:608
	buffer_load_dword v173, off, s[0:3], 0 offset:620
	buffer_load_dword v175, off, s[0:3], 0 offset:612
	buffer_load_dword v179, off, s[0:3], 0 offset:652
	buffer_load_dword v183, off, s[0:3], 0 offset:636
	buffer_load_dword v182, off, s[0:3], 0 offset:632
	buffer_load_dword v185, off, s[0:3], 0 offset:628
	buffer_load_dword v184, off, s[0:3], 0 offset:624
	buffer_load_dword v178, off, s[0:3], 0 offset:648
	buffer_load_dword v187, off, s[0:3], 0 offset:644
	buffer_load_dword v186, off, s[0:3], 0 offset:640
	buffer_load_dword v180, off, s[0:3], 0 offset:680
	buffer_load_dword v191, off, s[0:3], 0 offset:668
	buffer_load_dword v190, off, s[0:3], 0 offset:664
	buffer_load_dword v193, off, s[0:3], 0 offset:660
	buffer_load_dword v192, off, s[0:3], 0 offset:656
	buffer_load_dword v188, off, s[0:3], 0 offset:672
	buffer_load_dword v181, off, s[0:3], 0 offset:684
	buffer_load_dword v189, off, s[0:3], 0 offset:676
	v_mul_f64 v[50:51], v[196:197], v[70:71]
	ds_read_b128 v[46:49], v254 offset:1376
	v_fma_f64 v[10:11], v[194:195], v[82:83], -v[50:51]
	buffer_load_dword v195, off, s[0:3], 0 offset:700
	buffer_load_dword v194, off, s[0:3], 0 offset:696
	;; [unrolled: 1-line block ×4, first 2 shown]
	v_mul_f64 v[12:13], v[200:201], v[66:67]
	v_fma_f64 v[12:13], v[198:199], v[68:69], -v[12:13]
	buffer_load_dword v198, off, s[0:3], 0 offset:712
	buffer_load_dword v200, off, s[0:3], 0 offset:704
	;; [unrolled: 1-line block ×4, first 2 shown]
	v_mul_f64 v[50:51], v[204:205], v[78:79]
	s_waitcnt vmcnt(42) lgkmcnt(2)
	v_mul_f64 v[8:9], v[38:39], v[162:163]
	v_fma_f64 v[6:7], v[202:203], v[80:81], -v[50:51]
	v_mul_f64 v[50:51], v[214:215], v[72:73]
	s_waitcnt vmcnt(40)
	v_fmac_f64_e32 v[8:9], v[40:41], v[164:165]
	v_mul_f64 v[16:17], v[210:211], v[76:77]
	buffer_load_dword v205, off, s[0:3], 0 offset:732
	buffer_load_dword v204, off, s[0:3], 0 offset:728
	;; [unrolled: 1-line block ×16, first 2 shown]
	v_fma_f64 v[212:213], v[212:213], v[98:99], -v[50:51]
	ds_read_b128 v[50:53], v254 offset:1392
	ds_read_b128 v[54:57], v254 offset:1408
	v_add_f64 v[4:5], v[4:5], v[8:9]
	s_waitcnt lgkmcnt(3)
	v_mul_f64 v[8:9], v[42:43], v[140:141]
	v_fmac_f64_e32 v[8:9], v[44:45], v[144:145]
	v_add_f64 v[4:5], v[4:5], v[8:9]
	s_waitcnt vmcnt(50) lgkmcnt(2)
	v_mul_f64 v[8:9], v[46:47], v[166:167]
	s_waitcnt vmcnt(48)
	v_fmac_f64_e32 v[8:9], v[48:49], v[168:169]
	v_add_f64 v[4:5], v[4:5], v[8:9]
	s_waitcnt lgkmcnt(1)
	v_mul_f64 v[8:9], v[50:51], v[148:149]
	v_fmac_f64_e32 v[8:9], v[52:53], v[152:153]
	v_add_f64 v[4:5], v[4:5], v[8:9]
	v_mul_f64 v[8:9], v[60:61], v[84:85]
	v_fma_f64 v[8:9], v[58:59], v[86:87], -v[8:9]
	ds_read_b128 v[58:61], v254 offset:1424
	v_fma_f64 v[16:17], v[208:209], v[74:75], -v[16:17]
	v_mul_f64 v[70:71], v[234:235], v[92:93]
	v_fma_f64 v[92:93], v[232:233], v[94:95], -v[70:71]
	ds_read_b128 v[82:85], v254 offset:1520
	ds_read_b128 v[86:89], v254 offset:1536
	v_add_f64 v[14:15], v[14:15], 0
	v_add_f64 v[14:15], v[14:15], v[112:113]
	;; [unrolled: 1-line block ×11, first 2 shown]
	v_accvgpr_read_b32 v8, a158
	v_accvgpr_read_b32 v9, a159
	v_accvgpr_read_b32 v10, a160
	v_mul_f64 v[8:9], v[134:135], v[8:9]
	v_accvgpr_read_b32 v11, a161
	v_fma_f64 v[8:9], v[132:133], v[10:11], -v[8:9]
	v_accvgpr_read_b32 v10, a164
	v_accvgpr_read_b32 v11, a165
	ds_read_b128 v[70:73], v254 offset:1472
	s_waitcnt vmcnt(46) lgkmcnt(4)
	v_mul_f64 v[66:67], v[54:55], v[170:171]
	s_waitcnt vmcnt(44)
	v_fmac_f64_e32 v[66:67], v[56:57], v[176:177]
	v_add_f64 v[4:5], v[4:5], v[66:67]
	v_mul_f64 v[66:67], v[218:219], v[96:97]
	v_fma_f64 v[208:209], v[216:217], v[220:221], -v[66:67]
	ds_read_b128 v[218:221], v254 offset:1440
	s_waitcnt vmcnt(41) lgkmcnt(4)
	v_mul_f64 v[66:67], v[58:59], v[172:173]
	s_waitcnt vmcnt(40)
	v_fmac_f64_e32 v[66:67], v[60:61], v[174:175]
	v_add_f64 v[4:5], v[4:5], v[66:67]
	ds_read_b128 v[66:69], v254 offset:1456
	s_waitcnt vmcnt(37) lgkmcnt(1)
	v_mul_f64 v[74:75], v[218:219], v[182:183]
	s_waitcnt vmcnt(35)
	v_fmac_f64_e32 v[74:75], v[220:221], v[184:185]
	v_add_f64 v[4:5], v[4:5], v[74:75]
	v_mul_f64 v[74:75], v[238:239], v[252:253]
	v_fma_f64 v[252:253], v[236:237], v[0:1], -v[74:75]
	ds_read_b128 v[74:77], v254 offset:1488
	s_waitcnt vmcnt(34) lgkmcnt(1)
	v_mul_f64 v[78:79], v[66:67], v[178:179]
	s_waitcnt vmcnt(32)
	v_fmac_f64_e32 v[78:79], v[68:69], v[186:187]
	v_add_f64 v[0:1], v[4:5], v[78:79]
	ds_read_b128 v[78:81], v254 offset:1504
	s_waitcnt vmcnt(29)
	v_mul_f64 v[4:5], v[70:71], v[190:191]
	s_waitcnt vmcnt(27)
	v_fmac_f64_e32 v[4:5], v[72:73], v[192:193]
	v_add_f64 v[0:1], v[0:1], v[4:5]
	s_waitcnt vmcnt(25) lgkmcnt(1)
	v_mul_f64 v[4:5], v[74:75], v[180:181]
	s_waitcnt vmcnt(24)
	v_fmac_f64_e32 v[4:5], v[76:77], v[188:189]
	v_add_f64 v[0:1], v[0:1], v[4:5]
	v_mul_f64 v[4:5], v[242:243], v[108:109]
	v_fma_f64 v[110:111], v[240:241], v[110:111], -v[4:5]
	s_waitcnt vmcnt(22) lgkmcnt(0)
	v_mul_f64 v[4:5], v[78:79], v[194:195]
	s_waitcnt vmcnt(20)
	v_fmac_f64_e32 v[4:5], v[80:81], v[196:197]
	v_add_f64 v[0:1], v[0:1], v[4:5]
	v_mul_f64 v[4:5], v[246:247], v[206:207]
	v_fma_f64 v[206:207], v[244:245], v[2:3], -v[4:5]
	s_waitcnt vmcnt(17)
	v_mul_f64 v[2:3], v[82:83], v[198:199]
	s_waitcnt vmcnt(16)
	v_fmac_f64_e32 v[2:3], v[84:85], v[200:201]
	v_mul_f64 v[4:5], v[118:119], v[104:105]
	v_add_f64 v[0:1], v[0:1], v[2:3]
	ds_read_b128 v[214:217], v254 offset:1552
	ds_read_b128 v[94:97], v254 offset:1568
	v_mul_f64 v[2:3], v[250:251], v[100:101]
	v_fma_f64 v[250:251], v[116:117], v[106:107], -v[4:5]
	ds_read_b128 v[98:101], v254 offset:1584
	buffer_load_dword v5, off, s[0:3], 0 offset:796
	buffer_load_dword v4, off, s[0:3], 0 offset:792
	;; [unrolled: 1-line block ×4, first 2 shown]
	v_fma_f64 v[242:243], v[248:249], v[102:103], -v[2:3]
	ds_read_b128 v[102:105], v254 offset:1600
	buffer_load_dword v234, off, s[0:3], 0 offset:808
	buffer_load_dword v235, off, s[0:3], 0 offset:812
	;; [unrolled: 1-line block ×4, first 2 shown]
	s_waitcnt vmcnt(22)
	v_mul_f64 v[2:3], v[86:87], v[204:205]
	s_waitcnt vmcnt(20)
	v_fmac_f64_e32 v[2:3], v[88:89], v[222:223]
	v_add_f64 v[0:1], v[0:1], v[2:3]
	s_waitcnt vmcnt(18) lgkmcnt(3)
	v_mul_f64 v[2:3], v[214:215], v[210:211]
	s_waitcnt vmcnt(16)
	v_fmac_f64_e32 v[2:3], v[216:217], v[224:225]
	v_add_f64 v[0:1], v[0:1], v[2:3]
	s_waitcnt vmcnt(13) lgkmcnt(2)
	v_mul_f64 v[2:3], v[94:95], v[228:229]
	s_waitcnt vmcnt(11)
	v_fmac_f64_e32 v[2:3], v[96:97], v[230:231]
	ds_read_b128 v[106:109], v254 offset:1616
	buffer_load_dword v239, off, s[0:3], 0 offset:828
	buffer_load_dword v238, off, s[0:3], 0 offset:824
	;; [unrolled: 1-line block ×4, first 2 shown]
	v_add_f64 v[0:1], v[0:1], v[2:3]
	s_waitcnt vmcnt(13) lgkmcnt(2)
	v_mul_f64 v[2:3], v[98:99], v[202:203]
	s_waitcnt vmcnt(12)
	v_fmac_f64_e32 v[2:3], v[100:101], v[226:227]
	v_add_f64 v[0:1], v[0:1], v[2:3]
	v_add_f64 v[6:7], v[6:7], v[208:209]
	;; [unrolled: 1-line block ×9, first 2 shown]
	v_mul_f64 v[8:9], v[130:131], v[138:139]
	v_fma_f64 v[8:9], v[128:129], v[142:143], -v[8:9]
	v_add_f64 v[6:7], v[6:7], v[8:9]
	v_accvgpr_read_b32 v8, a162
	v_accvgpr_read_b32 v9, a163
	v_mul_f64 v[8:9], v[126:127], v[8:9]
	v_fma_f64 v[8:9], v[124:125], v[10:11], -v[8:9]
	v_add_f64 v[6:7], v[6:7], v[8:9]
	v_mul_f64 v[8:9], v[122:123], v[146:147]
	v_fma_f64 v[8:9], v[120:121], v[150:151], -v[8:9]
	v_add_f64 v[6:7], v[6:7], v[8:9]
	v_accvgpr_read_b32 v8, a166
	v_accvgpr_read_b32 v9, a167
	;; [unrolled: 1-line block ×3, first 2 shown]
	v_mul_f64 v[8:9], v[20:21], v[8:9]
	v_accvgpr_read_b32 v11, a169
	v_fma_f64 v[8:9], v[18:19], v[10:11], -v[8:9]
	v_add_f64 v[6:7], v[6:7], v[8:9]
	v_mul_f64 v[8:9], v[24:25], v[154:155]
	v_fma_f64 v[8:9], v[22:23], v[156:157], -v[8:9]
	v_add_f64 v[6:7], v[6:7], v[8:9]
	v_accvgpr_read_b32 v8, a170
	v_accvgpr_read_b32 v9, a171
	;; [unrolled: 1-line block ×3, first 2 shown]
	v_mul_f64 v[8:9], v[28:29], v[8:9]
	v_accvgpr_read_b32 v11, a173
	v_fma_f64 v[8:9], v[26:27], v[10:11], -v[8:9]
	v_add_f64 v[6:7], v[6:7], v[8:9]
	v_mul_f64 v[8:9], v[32:33], v[158:159]
	v_fma_f64 v[8:9], v[30:31], v[160:161], -v[8:9]
	v_add_f64 v[6:7], v[6:7], v[8:9]
	v_accvgpr_read_b32 v8, a174
	v_accvgpr_read_b32 v9, a175
	v_mul_f64 v[8:9], v[36:37], v[8:9]
	v_fma_f64 v[8:9], v[34:35], v[136:137], -v[8:9]
	v_add_f64 v[6:7], v[6:7], v[8:9]
	v_mul_f64 v[8:9], v[40:41], v[162:163]
	v_fma_f64 v[8:9], v[38:39], v[164:165], -v[8:9]
	v_add_f64 v[6:7], v[6:7], v[8:9]
	;; [unrolled: 3-line block ×6, first 2 shown]
	v_mul_f64 v[8:9], v[60:61], v[172:173]
	s_waitcnt vmcnt(10) lgkmcnt(1)
	v_mul_f64 v[2:3], v[102:103], v[4:5]
	v_fma_f64 v[8:9], v[58:59], v[174:175], -v[8:9]
	s_waitcnt vmcnt(8)
	v_fmac_f64_e32 v[2:3], v[104:105], v[232:233]
	v_add_f64 v[0:1], v[0:1], v[2:3]
	s_waitcnt vmcnt(6) lgkmcnt(0)
	v_mul_f64 v[2:3], v[106:107], v[234:235]
	s_waitcnt vmcnt(4)
	v_fmac_f64_e32 v[2:3], v[108:109], v[236:237]
	v_add_f64 v[114:115], v[0:1], v[2:3]
	ds_read_b128 v[0:3], v254 offset:1632
	buffer_load_dword v244, off, s[0:3], 0 offset:840
	buffer_load_dword v245, off, s[0:3], 0 offset:844
	;; [unrolled: 1-line block ×4, first 2 shown]
	v_add_f64 v[6:7], v[6:7], v[8:9]
	v_mul_f64 v[8:9], v[220:221], v[182:183]
	v_fma_f64 v[8:9], v[218:219], v[184:185], -v[8:9]
	v_add_f64 v[6:7], v[6:7], v[8:9]
	s_waitcnt vmcnt(6) lgkmcnt(0)
	v_mul_f64 v[116:117], v[0:1], v[238:239]
	v_mul_f64 v[8:9], v[68:69], v[178:179]
	s_waitcnt vmcnt(4)
	v_fmac_f64_e32 v[116:117], v[2:3], v[240:241]
	v_add_f64 v[118:119], v[114:115], v[116:117]
	ds_read_b128 v[114:117], v254 offset:1648
	v_fma_f64 v[8:9], v[66:67], v[186:187], -v[8:9]
	v_add_f64 v[6:7], v[6:7], v[8:9]
	v_mul_f64 v[8:9], v[72:73], v[190:191]
	v_fma_f64 v[8:9], v[70:71], v[192:193], -v[8:9]
	v_add_f64 v[6:7], v[6:7], v[8:9]
	v_mul_f64 v[8:9], v[76:77], v[180:181]
	;; [unrolled: 3-line block ×8, first 2 shown]
	v_fma_f64 v[8:9], v[98:99], v[226:227], -v[8:9]
	v_mul_f64 v[4:5], v[104:105], v[4:5]
	v_add_f64 v[6:7], v[6:7], v[8:9]
	v_fma_f64 v[4:5], v[102:103], v[232:233], -v[4:5]
	v_add_f64 v[4:5], v[6:7], v[4:5]
	v_mul_f64 v[6:7], v[108:109], v[234:235]
	v_fma_f64 v[6:7], v[106:107], v[236:237], -v[6:7]
	v_mul_f64 v[2:3], v[2:3], v[238:239]
	v_add_f64 v[4:5], v[4:5], v[6:7]
	v_fma_f64 v[0:1], v[0:1], v[240:241], -v[2:3]
	v_add_f64 v[0:1], v[4:5], v[0:1]
	s_waitcnt vmcnt(2) lgkmcnt(0)
	v_mul_f64 v[248:249], v[114:115], v[244:245]
	v_mul_f64 v[2:3], v[116:117], v[244:245]
	s_waitcnt vmcnt(0)
	v_fmac_f64_e32 v[248:249], v[116:117], v[246:247]
	v_add_f64 v[118:119], v[118:119], v[248:249]
	buffer_load_dword v248, off, s[0:3], 0 offset:80
	buffer_load_dword v249, off, s[0:3], 0 offset:84
	;; [unrolled: 1-line block ×4, first 2 shown]
	v_fma_f64 v[2:3], v[114:115], v[246:247], -v[2:3]
	v_add_f64 v[0:1], v[0:1], v[2:3]
	s_waitcnt vmcnt(2)
	v_add_f64 v[0:1], v[248:249], -v[0:1]
	s_waitcnt vmcnt(0)
	v_add_f64 v[2:3], v[212:213], -v[118:119]
	buffer_store_dword v1, off, s[0:3], 0 offset:84
	buffer_store_dword v0, off, s[0:3], 0 offset:80
	;; [unrolled: 1-line block ×4, first 2 shown]
	s_and_saveexec_b64 s[4:5], vcc
	s_cbranch_execz .LBB115_319
; %bb.318:
	v_accvgpr_read_b32 v3, a152
	buffer_load_dword v0, v3, s[0:3], 0 offen
	buffer_load_dword v1, v3, s[0:3], 0 offen offset:4
	buffer_load_dword v2, v3, s[0:3], 0 offen offset:8
	s_nop 0
	buffer_load_dword v3, v3, s[0:3], 0 offen offset:12
	v_accvgpr_read_b32 v4, a156
	buffer_store_dword v254, off, s[0:3], 0 offset:64
	buffer_store_dword v254, off, s[0:3], 0 offset:68
	;; [unrolled: 1-line block ×4, first 2 shown]
	s_waitcnt vmcnt(4)
	ds_write_b128 v4, v[0:3]
.LBB115_319:
	s_or_b64 exec, exec, s[4:5]
	s_waitcnt lgkmcnt(0)
	; wave barrier
	s_waitcnt lgkmcnt(0)
	buffer_load_dword v42, off, s[0:3], 0 offset:80
	buffer_load_dword v43, off, s[0:3], 0 offset:84
	;; [unrolled: 1-line block ×42, first 2 shown]
	ds_read_b128 v[110:113], v254 offset:896
	ds_read_b128 v[114:117], v254 offset:912
	;; [unrolled: 1-line block ×10, first 2 shown]
	buffer_load_dword v223, off, s[0:3], 0 offset:228
	buffer_load_dword v222, off, s[0:3], 0 offset:224
	ds_read_b128 v[50:53], v254 offset:1056
	buffer_load_dword v89, off, s[0:3], 0 offset:284
	buffer_load_dword v88, off, s[0:3], 0 offset:280
	;; [unrolled: 1-line block ×8, first 2 shown]
	s_waitcnt vmcnt(48) lgkmcnt(10)
	v_mul_f64 v[0:1], v[110:111], v[48:49]
	v_fmac_f64_e32 v[0:1], v[112:113], v[42:43]
	v_add_f64 v[0:1], v[0:1], 0
	v_mul_f64 v[48:49], v[112:113], v[48:49]
	s_waitcnt vmcnt(44) lgkmcnt(9)
	v_mul_f64 v[2:3], v[114:115], v[54:55]
	v_fmac_f64_e32 v[2:3], v[116:117], v[44:45]
	s_waitcnt vmcnt(42) lgkmcnt(8)
	v_mul_f64 v[4:5], v[174:175], v[46:47]
	v_add_f64 v[0:1], v[0:1], v[2:3]
	s_waitcnt vmcnt(40) lgkmcnt(6)
	v_mul_f64 v[8:9], v[186:187], v[58:59]
	v_mul_f64 v[46:47], v[176:177], v[46:47]
	s_waitcnt vmcnt(38)
	v_fmac_f64_e32 v[8:9], v[188:189], v[56:57]
	s_waitcnt vmcnt(36)
	v_mul_f64 v[6:7], v[178:179], v[60:61]
	s_waitcnt vmcnt(34) lgkmcnt(4)
	v_mul_f64 v[12:13], v[194:195], v[224:225]
	s_waitcnt vmcnt(32)
	v_fmac_f64_e32 v[12:13], v[196:197], v[64:65]
	s_waitcnt vmcnt(30)
	v_mul_f64 v[10:11], v[190:191], v[66:67]
	s_waitcnt vmcnt(28) lgkmcnt(2)
	v_mul_f64 v[16:17], v[202:203], v[68:69]
	s_waitcnt vmcnt(25)
	v_mul_f64 v[14:15], v[198:199], v[74:75]
	s_waitcnt vmcnt(23) lgkmcnt(1)
	v_mul_f64 v[18:19], v[208:209], v[72:73]
	s_waitcnt vmcnt(21)
	v_fmac_f64_e32 v[4:5], v[176:177], v[82:83]
	v_add_f64 v[0:1], v[0:1], v[4:5]
	s_waitcnt vmcnt(19)
	v_fmac_f64_e32 v[6:7], v[180:181], v[80:81]
	v_add_f64 v[0:1], v[0:1], v[6:7]
	;; [unrolled: 3-line block ×3, first 2 shown]
	v_add_f64 v[0:1], v[0:1], v[10:11]
	s_waitcnt vmcnt(15)
	v_fmac_f64_e32 v[14:15], v[200:201], v[76:77]
	v_add_f64 v[0:1], v[0:1], v[12:13]
	s_waitcnt vmcnt(14)
	v_fmac_f64_e32 v[16:17], v[204:205], v[70:71]
	v_add_f64 v[0:1], v[0:1], v[14:15]
	v_add_f64 v[6:7], v[0:1], v[16:17]
	buffer_load_dword v107, off, s[0:3], 0 offset:316
	buffer_load_dword v106, off, s[0:3], 0 offset:312
	;; [unrolled: 1-line block ×26, first 2 shown]
	s_waitcnt vmcnt(34)
	v_fmac_f64_e32 v[18:19], v[210:211], v[222:223]
	v_add_f64 v[6:7], v[6:7], v[18:19]
	v_fma_f64 v[226:227], v[174:175], v[82:83], -v[46:47]
	v_mul_f64 v[46:47], v[180:181], v[60:61]
	v_fma_f64 v[80:81], v[178:179], v[80:81], -v[46:47]
	v_mul_f64 v[46:47], v[188:189], v[58:59]
	;; [unrolled: 2-line block ×3, first 2 shown]
	s_waitcnt vmcnt(0)
	v_pk_mov_b32 v[20:21], v[4:5], v[4:5] op_sel:[0,1]
	buffer_load_dword v5, off, s[0:3], 0 offset:404
	buffer_load_dword v9, off, s[0:3], 0 offset:396
	;; [unrolled: 1-line block ×3, first 2 shown]
	v_accvgpr_write_b32 a163, v21
	v_accvgpr_write_b32 a162, v20
	s_waitcnt vmcnt(0)
	v_pk_mov_b32 v[14:15], v[8:9], v[8:9] op_sel:[0,1]
	buffer_load_dword v9, off, s[0:3], 0 offset:388
	buffer_load_dword v8, off, s[0:3], 0 offset:384
	;; [unrolled: 1-line block ×3, first 2 shown]
	v_accvgpr_write_b32 a159, v15
	v_accvgpr_write_b32 a158, v14
	s_waitcnt vmcnt(1)
	v_pk_mov_b32 v[16:17], v[8:9], v[8:9] op_sel:[0,1]
	s_waitcnt vmcnt(0)
	v_pk_mov_b32 v[22:23], v[4:5], v[4:5] op_sel:[0,1]
	buffer_load_dword v5, off, s[0:3], 0 offset:444
	buffer_load_dword v4, off, s[0:3], 0 offset:440
	v_accvgpr_write_b32 a161, v17
	v_accvgpr_write_b32 a160, v16
	;; [unrolled: 1-line block ×4, first 2 shown]
	s_waitcnt vmcnt(0)
	v_pk_mov_b32 v[26:27], v[4:5], v[4:5] op_sel:[0,1]
	buffer_load_dword v5, off, s[0:3], 0 offset:436
	buffer_load_dword v9, off, s[0:3], 0 offset:428
	;; [unrolled: 1-line block ×6, first 2 shown]
	v_accvgpr_write_b32 a169, v27
	v_accvgpr_write_b32 a168, v26
	s_waitcnt vmcnt(3)
	v_pk_mov_b32 v[24:25], v[8:9], v[8:9] op_sel:[0,1]
	s_waitcnt vmcnt(0)
	v_pk_mov_b32 v[28:29], v[4:5], v[4:5] op_sel:[0,1]
	buffer_load_dword v5, off, s[0:3], 0 offset:476
	buffer_load_dword v4, off, s[0:3], 0 offset:472
	s_waitcnt lgkmcnt(0)
	v_mul_f64 v[8:9], v[50:51], v[84:85]
	v_fmac_f64_e32 v[8:9], v[52:53], v[86:87]
	v_add_f64 v[6:7], v[6:7], v[8:9]
	v_accvgpr_write_b32 a167, v25
	v_accvgpr_write_b32 a166, v24
	;; [unrolled: 1-line block ×4, first 2 shown]
	v_mul_f64 v[52:53], v[52:53], v[84:85]
	s_waitcnt vmcnt(0)
	v_pk_mov_b32 v[34:35], v[4:5], v[4:5] op_sel:[0,1]
	buffer_load_dword v5, off, s[0:3], 0 offset:468
	buffer_load_dword v149, off, s[0:3], 0 offset:460
	;; [unrolled: 1-line block ×6, first 2 shown]
	v_accvgpr_write_b32 a173, v35
	v_accvgpr_write_b32 a172, v34
	s_waitcnt vmcnt(0)
	v_pk_mov_b32 v[36:37], v[4:5], v[4:5] op_sel:[0,1]
	buffer_load_dword v5, off, s[0:3], 0 offset:508
	buffer_load_dword v4, off, s[0:3], 0 offset:504
	v_accvgpr_write_b32 a175, v37
	v_accvgpr_write_b32 a174, v36
	s_waitcnt vmcnt(0)
	v_pk_mov_b32 v[38:39], v[4:5], v[4:5] op_sel:[0,1]
	buffer_load_dword v5, off, s[0:3], 0 offset:500
	buffer_load_dword v153, off, s[0:3], 0 offset:492
	;; [unrolled: 1-line block ×20, first 2 shown]
	ds_read_b128 v[212:215], v254 offset:1072
	ds_read_b128 v[216:219], v254 offset:1088
	;; [unrolled: 1-line block ×6, first 2 shown]
	s_waitcnt lgkmcnt(5)
	v_mul_f64 v[8:9], v[212:213], v[96:97]
	v_fmac_f64_e32 v[8:9], v[214:215], v[252:253]
	v_add_f64 v[6:7], v[6:7], v[8:9]
	s_waitcnt lgkmcnt(4)
	v_mul_f64 v[8:9], v[216:217], v[88:89]
	v_fmac_f64_e32 v[8:9], v[218:219], v[90:91]
	v_add_f64 v[6:7], v[6:7], v[8:9]
	;; [unrolled: 4-line block ×3, first 2 shown]
	s_waitcnt lgkmcnt(2)
	v_mul_f64 v[8:9], v[236:237], v[106:107]
	v_fmac_f64_e32 v[8:9], v[238:239], v[108:109]
	ds_read_b128 v[248:251], v254 offset:1168
	ds_read_b128 v[118:121], v254 offset:1184
	v_add_f64 v[6:7], v[6:7], v[8:9]
	s_waitcnt lgkmcnt(3)
	v_mul_f64 v[8:9], v[240:241], v[2:3]
	v_fmac_f64_e32 v[8:9], v[242:243], v[62:63]
	v_add_f64 v[6:7], v[6:7], v[8:9]
	s_waitcnt lgkmcnt(2)
	v_mul_f64 v[8:9], v[244:245], v[92:93]
	ds_read_b128 v[138:141], v254 offset:1200
	ds_read_b128 v[134:137], v254 offset:1216
	v_fmac_f64_e32 v[8:9], v[246:247], v[94:95]
	v_add_f64 v[6:7], v[6:7], v[8:9]
	s_waitcnt lgkmcnt(3)
	v_mul_f64 v[8:9], v[248:249], v[102:103]
	ds_read_b128 v[130:133], v254 offset:1232
	ds_read_b128 v[126:129], v254 offset:1248
	v_fmac_f64_e32 v[8:9], v[250:251], v[104:105]
	v_add_f64 v[6:7], v[6:7], v[8:9]
	s_waitcnt lgkmcnt(4)
	v_mul_f64 v[8:9], v[118:119], v[98:99]
	v_fmac_f64_e32 v[8:9], v[120:121], v[100:101]
	s_waitcnt lgkmcnt(3)
	v_mul_f64 v[12:13], v[138:139], v[14:15]
	v_add_f64 v[10:11], v[6:7], v[8:9]
	v_fmac_f64_e32 v[12:13], v[140:141], v[16:17]
	s_waitcnt lgkmcnt(2)
	v_mul_f64 v[16:17], v[134:135], v[20:21]
	ds_read_b128 v[122:125], v254 offset:1264
	v_add_f64 v[14:15], v[10:11], v[12:13]
	v_fmac_f64_e32 v[16:17], v[136:137], v[22:23]
	s_waitcnt lgkmcnt(2)
	v_mul_f64 v[20:21], v[130:131], v[24:25]
	v_add_f64 v[18:19], v[14:15], v[16:17]
	v_fmac_f64_e32 v[20:21], v[132:133], v[144:145]
	s_waitcnt lgkmcnt(1)
	v_mul_f64 v[24:25], v[126:127], v[26:27]
	v_add_f64 v[22:23], v[18:19], v[20:21]
	v_fmac_f64_e32 v[24:25], v[128:129], v[28:29]
	v_add_f64 v[26:27], v[22:23], v[24:25]
	ds_read_b128 v[22:25], v254 offset:1280
	s_waitcnt lgkmcnt(1)
	v_mul_f64 v[28:29], v[122:123], v[148:149]
	v_fmac_f64_e32 v[28:29], v[124:125], v[150:151]
	v_add_f64 v[30:31], v[26:27], v[28:29]
	ds_read_b128 v[26:29], v254 offset:1296
	s_waitcnt lgkmcnt(1)
	v_mul_f64 v[32:33], v[22:23], v[34:35]
	v_fmac_f64_e32 v[32:33], v[24:25], v[36:37]
	v_add_f64 v[34:35], v[30:31], v[32:33]
	ds_read_b128 v[30:33], v254 offset:1312
	v_accvgpr_write_b32 a177, v39
	v_accvgpr_write_b32 a176, v38
	v_mul_f64 v[8:9], v[116:117], v[54:55]
	v_fma_f64 v[14:15], v[110:111], v[42:43], -v[48:49]
	s_waitcnt vmcnt(17) lgkmcnt(1)
	v_mul_f64 v[36:37], v[26:27], v[152:153]
	s_waitcnt lgkmcnt(0)
	v_mul_f64 v[166:167], v[30:31], v[38:39]
	s_waitcnt vmcnt(15)
	v_fmac_f64_e32 v[36:37], v[28:29], v[154:155]
	v_add_f64 v[164:165], v[34:35], v[36:37]
	ds_read_b128 v[34:37], v254 offset:1328
	ds_read_b128 v[38:41], v254 offset:1344
	s_waitcnt vmcnt(14)
	v_fmac_f64_e32 v[166:167], v[32:33], v[4:5]
	v_add_f64 v[164:165], v[164:165], v[166:167]
	v_accvgpr_write_b32 a179, v5
	s_waitcnt vmcnt(9) lgkmcnt(1)
	v_mul_f64 v[166:167], v[34:35], v[156:157]
	s_waitcnt vmcnt(7)
	v_fmac_f64_e32 v[166:167], v[36:37], v[160:161]
	v_add_f64 v[164:165], v[164:165], v[166:167]
	s_waitcnt lgkmcnt(0)
	v_mul_f64 v[166:167], v[38:39], v[220:221]
	s_waitcnt vmcnt(6)
	v_fmac_f64_e32 v[166:167], v[40:41], v[142:143]
	v_accvgpr_write_b32 a178, v4
	v_add_f64 v[4:5], v[164:165], v[166:167]
	buffer_load_dword v167, off, s[0:3], 0 offset:564
	buffer_load_dword v166, off, s[0:3], 0 offset:560
	;; [unrolled: 1-line block ×10, first 2 shown]
	v_fma_f64 v[10:11], v[114:115], v[44:45], -v[8:9]
	ds_read_b128 v[42:45], v254 offset:1360
	buffer_load_dword v175, off, s[0:3], 0 offset:620
	buffer_load_dword v174, off, s[0:3], 0 offset:616
	;; [unrolled: 1-line block ×13, first 2 shown]
	v_fma_f64 v[110:111], v[190:191], v[78:79], -v[46:47]
	buffer_load_dword v190, off, s[0:3], 0 offset:656
	buffer_load_dword v187, off, s[0:3], 0 offset:668
	;; [unrolled: 1-line block ×3, first 2 shown]
	v_mul_f64 v[46:47], v[196:197], v[224:225]
	v_fma_f64 v[112:113], v[194:195], v[64:65], -v[46:47]
	buffer_load_dword v78, off, s[0:3], 0 offset:696
	buffer_load_dword v195, off, s[0:3], 0 offset:684
	;; [unrolled: 1-line block ×8, first 2 shown]
	v_mul_f64 v[48:49], v[200:201], v[74:75]
	v_fma_f64 v[8:9], v[198:199], v[76:77], -v[48:49]
	buffer_load_dword v199, off, s[0:3], 0 offset:716
	buffer_load_dword v198, off, s[0:3], 0 offset:712
	;; [unrolled: 1-line block ×4, first 2 shown]
	v_mul_f64 v[12:13], v[204:205], v[68:69]
	v_mul_f64 v[48:49], v[210:211], v[72:73]
	buffer_load_dword v205, off, s[0:3], 0 offset:732
	buffer_load_dword v204, off, s[0:3], 0 offset:728
	;; [unrolled: 1-line block ×4, first 2 shown]
	v_fma_f64 v[12:13], v[202:203], v[70:71], -v[12:13]
	v_fma_f64 v[208:209], v[208:209], v[222:223], -v[48:49]
	buffer_load_dword v202, off, s[0:3], 0 offset:760
	buffer_load_dword v225, off, s[0:3], 0 offset:748
	;; [unrolled: 1-line block ×12, first 2 shown]
	s_waitcnt vmcnt(56) lgkmcnt(0)
	v_mul_f64 v[46:47], v[42:43], v[158:159]
	s_waitcnt vmcnt(54)
	v_fmac_f64_e32 v[46:47], v[44:45], v[162:163]
	v_add_f64 v[4:5], v[4:5], v[46:47]
	ds_read_b128 v[46:49], v254 offset:1376
	v_fma_f64 v[6:7], v[50:51], v[86:87], -v[52:53]
	ds_read_b128 v[50:53], v254 offset:1392
	v_mul_f64 v[54:55], v[214:215], v[96:97]
	v_fma_f64 v[212:213], v[212:213], v[252:253], -v[54:55]
	ds_read_b128 v[54:57], v254 offset:1408
	ds_read_b128 v[58:61], v254 offset:1424
	s_waitcnt lgkmcnt(3)
	v_mul_f64 v[16:17], v[46:47], v[146:147]
	v_mul_f64 v[0:1], v[234:235], v[0:1]
	v_fma_f64 v[206:207], v[232:233], v[206:207], -v[0:1]
	ds_read_b128 v[18:21], v254 offset:1504
	v_mul_f64 v[86:87], v[246:247], v[92:93]
	ds_read_b128 v[66:69], v254 offset:1456
	ds_read_b128 v[74:77], v254 offset:1488
	s_waitcnt vmcnt(52)
	v_fmac_f64_e32 v[16:17], v[48:49], v[166:167]
	v_add_f64 v[4:5], v[4:5], v[16:17]
	s_waitcnt vmcnt(49) lgkmcnt(5)
	v_mul_f64 v[16:17], v[50:51], v[170:171]
	s_waitcnt vmcnt(47)
	v_fmac_f64_e32 v[16:17], v[52:53], v[172:173]
	v_add_f64 v[4:5], v[4:5], v[16:17]
	s_waitcnt vmcnt(45) lgkmcnt(4)
	v_mul_f64 v[16:17], v[54:55], v[164:165]
	s_waitcnt vmcnt(44)
	v_fmac_f64_e32 v[16:17], v[56:57], v[168:169]
	v_add_f64 v[4:5], v[4:5], v[16:17]
	v_mul_f64 v[16:17], v[218:219], v[88:89]
	v_fma_f64 v[16:17], v[216:217], v[90:91], -v[16:17]
	ds_read_b128 v[214:217], v254 offset:1440
	s_waitcnt vmcnt(42) lgkmcnt(4)
	v_mul_f64 v[70:71], v[58:59], v[174:175]
	s_waitcnt vmcnt(40)
	v_fmac_f64_e32 v[70:71], v[60:61], v[176:177]
	v_add_f64 v[0:1], v[4:5], v[70:71]
	ds_read_b128 v[70:73], v254 offset:1472
	s_waitcnt vmcnt(38) lgkmcnt(1)
	v_mul_f64 v[4:5], v[214:215], v[178:179]
	s_waitcnt vmcnt(36)
	v_fmac_f64_e32 v[4:5], v[216:217], v[182:183]
	v_add_f64 v[0:1], v[0:1], v[4:5]
	s_waitcnt vmcnt(34)
	v_mul_f64 v[4:5], v[66:67], v[180:181]
	s_waitcnt vmcnt(32)
	v_fmac_f64_e32 v[4:5], v[68:69], v[184:185]
	s_waitcnt vmcnt(29) lgkmcnt(0)
	v_mul_f64 v[82:83], v[70:71], v[186:187]
	v_add_f64 v[4:5], v[0:1], v[4:5]
	s_waitcnt vmcnt(28)
	v_fmac_f64_e32 v[82:83], v[72:73], v[190:191]
	v_mul_f64 v[0:1], v[238:239], v[106:107]
	v_add_f64 v[4:5], v[4:5], v[82:83]
	s_waitcnt vmcnt(25)
	v_mul_f64 v[82:83], v[74:75], v[194:195]
	v_fma_f64 v[218:219], v[236:237], v[108:109], -v[0:1]
	v_mul_f64 v[0:1], v[242:243], v[2:3]
	s_waitcnt vmcnt(23)
	v_fmac_f64_e32 v[82:83], v[76:77], v[196:197]
	v_fma_f64 v[62:63], v[240:241], v[62:63], -v[0:1]
	v_add_f64 v[4:5], v[4:5], v[82:83]
	v_fma_f64 v[0:1], v[244:245], v[94:95], -v[86:87]
	ds_read_b128 v[86:89], v254 offset:1536
	s_waitcnt vmcnt(21)
	v_mul_f64 v[82:83], v[18:19], v[78:79]
	s_waitcnt vmcnt(20)
	v_fmac_f64_e32 v[82:83], v[20:21], v[192:193]
	v_add_f64 v[4:5], v[4:5], v[82:83]
	ds_read_b128 v[82:85], v254 offset:1520
	v_mul_f64 v[90:91], v[250:251], v[102:103]
	v_fma_f64 v[250:251], v[248:249], v[104:105], -v[90:91]
	ds_read_b128 v[90:93], v254 offset:1552
	ds_read_b128 v[94:97], v254 offset:1568
	s_waitcnt vmcnt(18) lgkmcnt(2)
	v_mul_f64 v[2:3], v[82:83], v[198:199]
	s_waitcnt vmcnt(16)
	v_fmac_f64_e32 v[2:3], v[84:85], v[200:201]
	v_add_f64 v[2:3], v[4:5], v[2:3]
	s_waitcnt vmcnt(14)
	v_mul_f64 v[4:5], v[86:87], v[204:205]
	s_waitcnt vmcnt(12)
	v_fmac_f64_e32 v[4:5], v[88:89], v[210:211]
	v_add_f64 v[2:3], v[2:3], v[4:5]
	v_mul_f64 v[4:5], v[120:121], v[98:99]
	v_fma_f64 v[252:253], v[118:119], v[100:101], -v[4:5]
	ds_read_b128 v[98:101], v254 offset:1584
	s_waitcnt vmcnt(9) lgkmcnt(2)
	v_mul_f64 v[4:5], v[90:91], v[224:225]
	s_waitcnt vmcnt(7)
	v_fmac_f64_e32 v[4:5], v[92:93], v[228:229]
	v_add_f64 v[2:3], v[2:3], v[4:5]
	s_waitcnt vmcnt(5) lgkmcnt(1)
	v_mul_f64 v[4:5], v[94:95], v[202:203]
	s_waitcnt vmcnt(4)
	v_fmac_f64_e32 v[4:5], v[96:97], v[222:223]
	v_add_f64 v[2:3], v[2:3], v[4:5]
	;; [unrolled: 5-line block ×3, first 2 shown]
	buffer_load_dword v4, off, s[0:3], 0 offset:792
	buffer_load_dword v5, off, s[0:3], 0 offset:796
	;; [unrolled: 1-line block ×4, first 2 shown]
	ds_read_b128 v[102:105], v254 offset:1600
	buffer_load_dword v235, off, s[0:3], 0 offset:812
	buffer_load_dword v234, off, s[0:3], 0 offset:808
	;; [unrolled: 1-line block ×4, first 2 shown]
	s_waitcnt vmcnt(6) lgkmcnt(0)
	v_mul_f64 v[106:107], v[102:103], v[4:5]
	s_waitcnt vmcnt(4)
	v_fmac_f64_e32 v[106:107], v[104:105], v[232:233]
	v_add_f64 v[2:3], v[2:3], v[106:107]
	ds_read_b128 v[106:109], v254 offset:1616
	buffer_load_dword v238, off, s[0:3], 0 offset:824
	buffer_load_dword v239, off, s[0:3], 0 offset:828
	;; [unrolled: 1-line block ×4, first 2 shown]
	ds_read_b128 v[118:121], v254 offset:1632
	buffer_load_dword v245, off, s[0:3], 0 offset:844
	buffer_load_dword v244, off, s[0:3], 0 offset:840
	;; [unrolled: 1-line block ×4, first 2 shown]
	s_waitcnt vmcnt(10) lgkmcnt(1)
	v_mul_f64 v[114:115], v[106:107], v[234:235]
	s_waitcnt vmcnt(8)
	v_fmac_f64_e32 v[114:115], v[108:109], v[236:237]
	v_add_f64 v[2:3], v[2:3], v[114:115]
	s_waitcnt vmcnt(6) lgkmcnt(0)
	v_mul_f64 v[114:115], v[118:119], v[238:239]
	s_waitcnt vmcnt(4)
	v_fmac_f64_e32 v[114:115], v[120:121], v[240:241]
	v_add_f64 v[2:3], v[2:3], v[114:115]
	ds_read_b128 v[114:117], v254 offset:1648
	s_waitcnt vmcnt(2) lgkmcnt(0)
	v_mul_f64 v[242:243], v[114:115], v[244:245]
	s_waitcnt vmcnt(0)
	v_fmac_f64_e32 v[242:243], v[116:117], v[246:247]
	v_add_f64 v[242:243], v[2:3], v[242:243]
	v_add_f64 v[2:3], v[14:15], 0
	;; [unrolled: 1-line block ×13, first 2 shown]
	buffer_load_dword v248, off, s[0:3], 0 offset:64
	buffer_load_dword v249, off, s[0:3], 0 offset:68
	;; [unrolled: 1-line block ×4, first 2 shown]
	v_add_f64 v[2:3], v[2:3], v[16:17]
	v_add_f64 v[2:3], v[2:3], v[206:207]
	;; [unrolled: 1-line block ×5, first 2 shown]
	v_accvgpr_read_b32 v2, a158
	v_accvgpr_read_b32 v3, a159
	;; [unrolled: 1-line block ×3, first 2 shown]
	v_add_f64 v[0:1], v[254:255], v[250:251]
	v_mul_f64 v[2:3], v[140:141], v[2:3]
	v_accvgpr_read_b32 v7, a161
	v_add_f64 v[0:1], v[0:1], v[252:253]
	v_fma_f64 v[2:3], v[138:139], v[6:7], -v[2:3]
	v_add_f64 v[0:1], v[0:1], v[2:3]
	v_accvgpr_read_b32 v2, a162
	v_accvgpr_read_b32 v3, a163
	;; [unrolled: 1-line block ×3, first 2 shown]
	v_mul_f64 v[2:3], v[136:137], v[2:3]
	v_accvgpr_read_b32 v7, a165
	v_fma_f64 v[2:3], v[134:135], v[6:7], -v[2:3]
	v_add_f64 v[0:1], v[0:1], v[2:3]
	v_accvgpr_read_b32 v2, a166
	v_accvgpr_read_b32 v3, a167
	v_mul_f64 v[2:3], v[132:133], v[2:3]
	v_fma_f64 v[2:3], v[130:131], v[144:145], -v[2:3]
	v_add_f64 v[0:1], v[0:1], v[2:3]
	v_accvgpr_read_b32 v2, a168
	v_accvgpr_read_b32 v3, a169
	v_accvgpr_read_b32 v6, a170
	v_mul_f64 v[2:3], v[128:129], v[2:3]
	v_accvgpr_read_b32 v7, a171
	v_fma_f64 v[2:3], v[126:127], v[6:7], -v[2:3]
	v_add_f64 v[0:1], v[0:1], v[2:3]
	v_mul_f64 v[2:3], v[124:125], v[148:149]
	v_fma_f64 v[2:3], v[122:123], v[150:151], -v[2:3]
	v_add_f64 v[0:1], v[0:1], v[2:3]
	v_accvgpr_read_b32 v2, a172
	v_accvgpr_read_b32 v3, a173
	v_accvgpr_read_b32 v6, a174
	v_mul_f64 v[2:3], v[24:25], v[2:3]
	v_accvgpr_read_b32 v7, a175
	v_fma_f64 v[2:3], v[22:23], v[6:7], -v[2:3]
	v_add_f64 v[0:1], v[0:1], v[2:3]
	;; [unrolled: 10-line block ×3, first 2 shown]
	v_mul_f64 v[2:3], v[36:37], v[156:157]
	v_fma_f64 v[2:3], v[34:35], v[160:161], -v[2:3]
	v_add_f64 v[0:1], v[0:1], v[2:3]
	v_mul_f64 v[2:3], v[40:41], v[220:221]
	v_fma_f64 v[2:3], v[38:39], v[142:143], -v[2:3]
	v_add_f64 v[0:1], v[0:1], v[2:3]
	;; [unrolled: 3-line block ×21, first 2 shown]
	s_waitcnt vmcnt(2)
	v_add_f64 v[0:1], v[248:249], -v[0:1]
	s_waitcnt vmcnt(0)
	v_add_f64 v[2:3], v[212:213], -v[242:243]
	buffer_store_dword v1, off, s[0:3], 0 offset:68
	buffer_store_dword v0, off, s[0:3], 0 offset:64
	;; [unrolled: 1-line block ×4, first 2 shown]
	v_accvgpr_read_b32 v0, a155
	v_cmp_lt_u32_e32 vcc, 2, v0
	s_and_saveexec_b64 s[4:5], vcc
	s_cbranch_execz .LBB115_321
; %bb.320:
	v_accvgpr_read_b32 v3, a153
	buffer_load_dword v0, v3, s[0:3], 0 offen
	buffer_load_dword v1, v3, s[0:3], 0 offen offset:4
	buffer_load_dword v2, v3, s[0:3], 0 offen offset:8
	s_nop 0
	buffer_load_dword v3, v3, s[0:3], 0 offen offset:12
	v_mov_b32_e32 v4, 0
	v_accvgpr_read_b32 v5, a156
	buffer_store_dword v4, off, s[0:3], 0 offset:48
	buffer_store_dword v4, off, s[0:3], 0 offset:52
	;; [unrolled: 1-line block ×4, first 2 shown]
	s_waitcnt vmcnt(4)
	ds_write_b128 v5, v[0:3]
.LBB115_321:
	s_or_b64 exec, exec, s[4:5]
	s_waitcnt lgkmcnt(0)
	; wave barrier
	s_waitcnt lgkmcnt(0)
	buffer_load_dword v38, off, s[0:3], 0 offset:64
	buffer_load_dword v39, off, s[0:3], 0 offset:68
	;; [unrolled: 1-line block ×42, first 2 shown]
	v_mov_b32_e32 v212, 0
	buffer_load_dword v99, off, s[0:3], 0 offset:212
	buffer_load_dword v98, off, s[0:3], 0 offset:208
	;; [unrolled: 1-line block ×7, first 2 shown]
	ds_read_b128 v[108:111], v212 offset:880
	ds_read_b128 v[112:115], v212 offset:896
	ds_read_b128 v[136:139], v212 offset:912
	ds_read_b128 v[140:143], v212 offset:928
	ds_read_b128 v[146:149], v212 offset:944
	ds_read_b128 v[150:153], v212 offset:960
	ds_read_b128 v[156:159], v212 offset:976
	ds_read_b128 v[160:163], v212 offset:992
	ds_read_b128 v[164:167], v212 offset:1008
	ds_read_b128 v[168:171], v212 offset:1024
	ds_read_b128 v[172:175], v212 offset:1040
	s_waitcnt vmcnt(45) lgkmcnt(10)
	v_mul_f64 v[0:1], v[108:109], v[40:41]
	v_fmac_f64_e32 v[0:1], v[110:111], v[38:39]
	v_add_f64 v[0:1], v[0:1], 0
	v_mul_f64 v[40:41], v[110:111], v[40:41]
	s_waitcnt vmcnt(41) lgkmcnt(9)
	v_mul_f64 v[2:3], v[112:113], v[46:47]
	v_fmac_f64_e32 v[2:3], v[114:115], v[44:45]
	s_waitcnt vmcnt(39) lgkmcnt(8)
	v_mul_f64 v[4:5], v[136:137], v[42:43]
	v_add_f64 v[0:1], v[0:1], v[2:3]
	s_waitcnt vmcnt(37) lgkmcnt(6)
	v_mul_f64 v[8:9], v[146:147], v[48:49]
	v_mul_f64 v[42:43], v[138:139], v[42:43]
	s_waitcnt vmcnt(35)
	v_fmac_f64_e32 v[8:9], v[148:149], v[50:51]
	s_waitcnt vmcnt(33)
	v_mul_f64 v[6:7], v[140:141], v[52:53]
	s_waitcnt vmcnt(31) lgkmcnt(4)
	v_mul_f64 v[12:13], v[156:157], v[56:57]
	s_waitcnt vmcnt(29)
	v_fmac_f64_e32 v[12:13], v[158:159], v[54:55]
	s_waitcnt vmcnt(27)
	v_mul_f64 v[10:11], v[150:151], v[58:59]
	s_waitcnt vmcnt(25) lgkmcnt(2)
	v_mul_f64 v[16:17], v[164:165], v[64:65]
	s_waitcnt vmcnt(22)
	v_mul_f64 v[14:15], v[160:161], v[66:67]
	s_waitcnt vmcnt(20) lgkmcnt(1)
	v_mul_f64 v[18:19], v[168:169], v[60:61]
	s_waitcnt vmcnt(18)
	v_fmac_f64_e32 v[4:5], v[138:139], v[74:75]
	v_add_f64 v[0:1], v[0:1], v[4:5]
	s_waitcnt vmcnt(16)
	v_fmac_f64_e32 v[6:7], v[142:143], v[72:73]
	v_add_f64 v[0:1], v[0:1], v[6:7]
	;; [unrolled: 3-line block ×3, first 2 shown]
	v_add_f64 v[0:1], v[0:1], v[10:11]
	s_waitcnt vmcnt(12)
	v_fmac_f64_e32 v[14:15], v[162:163], v[68:69]
	v_add_f64 v[0:1], v[0:1], v[12:13]
	s_waitcnt vmcnt(11)
	v_fmac_f64_e32 v[16:17], v[166:167], v[62:63]
	v_add_f64 v[0:1], v[0:1], v[14:15]
	v_add_f64 v[2:3], v[0:1], v[16:17]
	buffer_load_dword v84, off, s[0:3], 0 offset:248
	buffer_load_dword v117, off, s[0:3], 0 offset:244
	;; [unrolled: 1-line block ×29, first 2 shown]
	s_waitcnt vmcnt(34)
	v_fmac_f64_e32 v[18:19], v[170:171], v[98:99]
	s_waitcnt lgkmcnt(0)
	v_mul_f64 v[6:7], v[172:173], v[76:77]
	v_add_f64 v[2:3], v[2:3], v[18:19]
	v_fmac_f64_e32 v[6:7], v[174:175], v[82:83]
	v_add_f64 v[2:3], v[2:3], v[6:7]
	v_fma_f64 v[74:75], v[136:137], v[74:75], -v[42:43]
	v_mul_f64 v[42:43], v[142:143], v[52:53]
	v_fma_f64 v[176:177], v[140:141], v[72:73], -v[42:43]
	v_mul_f64 v[52:53], v[170:171], v[60:61]
	s_waitcnt vmcnt(0)
	v_pk_mov_b32 v[8:9], v[4:5], v[4:5] op_sel:[0,1]
	buffer_load_dword v5, off, s[0:3], 0 offset:388
	buffer_load_dword v4, off, s[0:3], 0 offset:384
	v_accvgpr_write_b32 a159, v9
	v_accvgpr_write_b32 a158, v8
	s_waitcnt vmcnt(0)
	v_pk_mov_b32 v[12:13], v[4:5], v[4:5] op_sel:[0,1]
	buffer_load_dword v95, off, s[0:3], 0 offset:380
	buffer_load_dword v94, off, s[0:3], 0 offset:376
	buffer_load_dword v97, off, s[0:3], 0 offset:372
	buffer_load_dword v96, off, s[0:3], 0 offset:368
	buffer_load_dword v5, off, s[0:3], 0 offset:428
	buffer_load_dword v4, off, s[0:3], 0 offset:424
	v_accvgpr_write_b32 a161, v13
	v_accvgpr_write_b32 a160, v12
	s_waitcnt vmcnt(0)
	v_pk_mov_b32 v[16:17], v[4:5], v[4:5] op_sel:[0,1]
	buffer_load_dword v5, off, s[0:3], 0 offset:420
	buffer_load_dword v4, off, s[0:3], 0 offset:416
	v_accvgpr_write_b32 a163, v17
	v_accvgpr_write_b32 a162, v16
	s_waitcnt vmcnt(0)
	v_pk_mov_b32 v[20:21], v[4:5], v[4:5] op_sel:[0,1]
	buffer_load_dword v239, off, s[0:3], 0 offset:412
	buffer_load_dword v238, off, s[0:3], 0 offset:408
	buffer_load_dword v243, off, s[0:3], 0 offset:404
	buffer_load_dword v242, off, s[0:3], 0 offset:400
	buffer_load_dword v5, off, s[0:3], 0 offset:460
	buffer_load_dword v4, off, s[0:3], 0 offset:456
	v_accvgpr_write_b32 a165, v21
	v_accvgpr_write_b32 a164, v20
	;; [unrolled: 16-line block ×4, first 2 shown]
	s_waitcnt vmcnt(0)
	v_pk_mov_b32 v[132:133], v[4:5], v[4:5] op_sel:[0,1]
	buffer_load_dword v5, off, s[0:3], 0 offset:516
	buffer_load_dword v4, off, s[0:3], 0 offset:512
	buffer_load_dword v255, off, s[0:3], 0 offset:508
	buffer_load_dword v254, off, s[0:3], 0 offset:504
	buffer_load_dword v123, off, s[0:3], 0 offset:500
	buffer_load_dword v122, off, s[0:3], 0 offset:496
	buffer_load_dword v241, off, s[0:3], 0 offset:556
	buffer_load_dword v240, off, s[0:3], 0 offset:552
	buffer_load_dword v245, off, s[0:3], 0 offset:548
	buffer_load_dword v244, off, s[0:3], 0 offset:544
	buffer_load_dword v125, off, s[0:3], 0 offset:540
	buffer_load_dword v124, off, s[0:3], 0 offset:536
	buffer_load_dword v127, off, s[0:3], 0 offset:532
	buffer_load_dword v126, off, s[0:3], 0 offset:528
	ds_read_b128 v[180:183], v212 offset:1056
	ds_read_b128 v[184:187], v212 offset:1072
	ds_read_b128 v[188:191], v212 offset:1088
	ds_read_b128 v[192:195], v212 offset:1104
	ds_read_b128 v[196:199], v212 offset:1120
	ds_read_b128 v[200:203], v212 offset:1136
	s_waitcnt lgkmcnt(5)
	v_mul_f64 v[6:7], v[180:181], v[84:85]
	v_fmac_f64_e32 v[6:7], v[182:183], v[116:117]
	v_add_f64 v[2:3], v[2:3], v[6:7]
	s_waitcnt lgkmcnt(4)
	v_mul_f64 v[6:7], v[184:185], v[78:79]
	v_fmac_f64_e32 v[6:7], v[186:187], v[80:81]
	v_add_f64 v[2:3], v[2:3], v[6:7]
	;; [unrolled: 4-line block ×3, first 2 shown]
	s_waitcnt lgkmcnt(2)
	v_mul_f64 v[6:7], v[192:193], v[104:105]
	v_fmac_f64_e32 v[6:7], v[194:195], v[106:107]
	ds_read_b128 v[204:207], v212 offset:1152
	ds_read_b128 v[208:211], v212 offset:1168
	v_add_f64 v[2:3], v[2:3], v[6:7]
	s_waitcnt lgkmcnt(3)
	v_mul_f64 v[6:7], v[196:197], v[128:129]
	v_fmac_f64_e32 v[6:7], v[198:199], v[0:1]
	v_add_f64 v[2:3], v[2:3], v[6:7]
	s_waitcnt lgkmcnt(2)
	v_mul_f64 v[6:7], v[200:201], v[86:87]
	v_fmac_f64_e32 v[6:7], v[202:203], v[88:89]
	ds_read_b128 v[214:217], v212 offset:1184
	ds_read_b128 v[118:121], v212 offset:1200
	v_add_f64 v[2:3], v[2:3], v[6:7]
	s_waitcnt lgkmcnt(3)
	v_mul_f64 v[6:7], v[204:205], v[100:101]
	v_fmac_f64_e32 v[6:7], v[206:207], v[102:103]
	ds_read_b128 v[222:225], v212 offset:1216
	ds_read_b128 v[226:229], v212 offset:1232
	;; [unrolled: 6-line block ×3, first 2 shown]
	v_add_f64 v[2:3], v[2:3], v[6:7]
	s_waitcnt lgkmcnt(5)
	v_mul_f64 v[6:7], v[214:215], v[94:95]
	v_fmac_f64_e32 v[6:7], v[216:217], v[96:97]
	s_waitcnt lgkmcnt(4)
	v_mul_f64 v[10:11], v[118:119], v[8:9]
	v_add_f64 v[2:3], v[2:3], v[6:7]
	v_fmac_f64_e32 v[10:11], v[120:121], v[12:13]
	s_waitcnt lgkmcnt(3)
	v_mul_f64 v[14:15], v[222:223], v[238:239]
	v_add_f64 v[2:3], v[2:3], v[10:11]
	;; [unrolled: 4-line block ×5, first 2 shown]
	ds_read_b128 v[22:25], v212 offset:1280
	v_fmac_f64_e32 v[26:27], v[236:237], v[30:31]
	v_add_f64 v[2:3], v[2:3], v[26:27]
	ds_read_b128 v[26:29], v212 offset:1296
	v_fma_f64 v[18:19], v[108:109], v[38:39], -v[40:41]
	s_waitcnt lgkmcnt(1)
	v_mul_f64 v[30:31], v[22:23], v[250:251]
	v_fmac_f64_e32 v[30:31], v[24:25], v[252:253]
	v_add_f64 v[2:3], v[2:3], v[30:31]
	s_waitcnt lgkmcnt(0)
	v_mul_f64 v[34:35], v[26:27], v[36:37]
	v_fmac_f64_e32 v[34:35], v[28:29], v[130:131]
	ds_read_b128 v[30:33], v212 offset:1312
	v_add_f64 v[2:3], v[2:3], v[34:35]
	ds_read_b128 v[34:37], v212 offset:1328
	ds_read_b128 v[38:41], v212 offset:1344
	buffer_load_dword v21, off, s[0:3], 0 offset:572
	buffer_load_dword v20, off, s[0:3], 0 offset:568
	;; [unrolled: 1-line block ×4, first 2 shown]
	s_waitcnt vmcnt(14) lgkmcnt(2)
	v_mul_f64 v[108:109], v[30:31], v[254:255]
	v_accvgpr_write_b32 a175, v133
	s_waitcnt vmcnt(12)
	v_fmac_f64_e32 v[108:109], v[32:33], v[122:123]
	v_add_f64 v[2:3], v[2:3], v[108:109]
	s_waitcnt lgkmcnt(1)
	v_mul_f64 v[108:109], v[34:35], v[132:133]
	v_accvgpr_write_b32 a174, v132
	buffer_load_dword v132, off, s[0:3], 0 offset:584
	buffer_load_dword v134, off, s[0:3], 0 offset:576
	;; [unrolled: 1-line block ×12, first 2 shown]
	v_fmac_f64_e32 v[108:109], v[36:37], v[4:5]
	s_waitcnt vmcnt(18) lgkmcnt(0)
	v_mul_f64 v[110:111], v[38:39], v[124:125]
	v_add_f64 v[108:109], v[2:3], v[108:109]
	s_waitcnt vmcnt(16)
	v_fmac_f64_e32 v[110:111], v[40:41], v[126:127]
	v_mul_f64 v[2:3], v[114:115], v[46:47]
	v_mul_f64 v[46:47], v[148:149], v[48:49]
	v_fma_f64 v[16:17], v[112:113], v[44:45], -v[2:3]
	v_add_f64 v[108:109], v[108:109], v[110:111]
	ds_read_b128 v[42:45], v212 offset:1360
	v_fma_f64 v[110:111], v[146:147], v[50:51], -v[46:47]
	buffer_load_dword v140, off, s[0:3], 0 offset:648
	buffer_load_dword v147, off, s[0:3], 0 offset:636
	;; [unrolled: 1-line block ×5, first 2 shown]
	v_mul_f64 v[46:47], v[152:153], v[58:59]
	v_fma_f64 v[112:113], v[150:151], v[70:71], -v[46:47]
	buffer_load_dword v150, off, s[0:3], 0 offset:640
	buffer_load_dword v141, off, s[0:3], 0 offset:652
	buffer_load_dword v151, off, s[0:3], 0 offset:644
	buffer_load_dword v153, off, s[0:3], 0 offset:668
	buffer_load_dword v152, off, s[0:3], 0 offset:664
	buffer_load_dword v155, off, s[0:3], 0 offset:660
	buffer_load_dword v154, off, s[0:3], 0 offset:656
	v_mul_f64 v[46:47], v[158:159], v[56:57]
	v_fma_f64 v[14:15], v[156:157], v[54:55], -v[46:47]
	v_mul_f64 v[46:47], v[162:163], v[66:67]
	v_fma_f64 v[12:13], v[160:161], v[68:69], -v[46:47]
	buffer_load_dword v158, off, s[0:3], 0 offset:680
	buffer_load_dword v160, off, s[0:3], 0 offset:672
	;; [unrolled: 1-line block ×4, first 2 shown]
	v_mul_f64 v[46:47], v[166:167], v[64:65]
	v_fma_f64 v[10:11], v[164:165], v[62:63], -v[46:47]
	buffer_load_dword v157, off, s[0:3], 0 offset:716
	buffer_load_dword v163, off, s[0:3], 0 offset:700
	buffer_load_dword v162, off, s[0:3], 0 offset:696
	buffer_load_dword v167, off, s[0:3], 0 offset:692
	buffer_load_dword v166, off, s[0:3], 0 offset:688
	buffer_load_dword v156, off, s[0:3], 0 offset:712
	buffer_load_dword v165, off, s[0:3], 0 offset:708
	buffer_load_dword v164, off, s[0:3], 0 offset:704
	ds_read_b128 v[46:49], v212 offset:1376
	v_fma_f64 v[8:9], v[168:169], v[98:99], -v[52:53]
	buffer_load_dword v169, off, s[0:3], 0 offset:732
	buffer_load_dword v168, off, s[0:3], 0 offset:728
	;; [unrolled: 1-line block ×4, first 2 shown]
	v_mul_f64 v[52:53], v[174:175], v[76:77]
	v_fma_f64 v[6:7], v[172:173], v[82:83], -v[52:53]
	buffer_load_dword v172, off, s[0:3], 0 offset:744
	buffer_load_dword v174, off, s[0:3], 0 offset:736
	;; [unrolled: 1-line block ×8, first 2 shown]
	v_accvgpr_write_b32 a177, v5
	s_waitcnt lgkmcnt(1)
	v_mul_f64 v[50:51], v[42:43], v[240:241]
	v_mul_f64 v[52:53], v[182:183], v[84:85]
	v_accvgpr_write_b32 a176, v4
	v_fmac_f64_e32 v[50:51], v[44:45], v[244:245]
	v_fma_f64 v[4:5], v[180:181], v[116:117], -v[52:53]
	v_add_f64 v[50:51], v[108:109], v[50:51]
	buffer_load_dword v180, off, s[0:3], 0 offset:776
	buffer_load_dword v182, off, s[0:3], 0 offset:768
	;; [unrolled: 1-line block ×4, first 2 shown]
	v_mul_f64 v[54:55], v[186:187], v[78:79]
	v_fma_f64 v[184:185], v[184:185], v[80:81], -v[54:55]
	ds_read_b128 v[54:57], v212 offset:1408
	v_mul_f64 v[58:59], v[190:191], v[218:219]
	v_fma_f64 v[186:187], v[188:189], v[220:221], -v[58:59]
	ds_read_b128 v[58:61], v212 offset:1424
	v_mul_f64 v[66:67], v[194:195], v[104:105]
	v_fma_f64 v[188:189], v[192:193], v[106:107], -v[66:67]
	ds_read_b128 v[66:69], v212 offset:1456
	v_mul_f64 v[70:71], v[198:199], v[128:129]
	v_fma_f64 v[2:3], v[196:197], v[0:1], -v[70:71]
	ds_read_b128 v[218:221], v212 offset:1488
	v_mul_f64 v[82:83], v[206:207], v[100:101]
	v_fma_f64 v[204:205], v[204:205], v[102:103], -v[82:83]
	ds_read_b128 v[82:85], v212 offset:1520
	v_mul_f64 v[90:91], v[210:211], v[90:91]
	v_fma_f64 v[0:1], v[208:209], v[92:93], -v[90:91]
	ds_read_b128 v[90:93], v212 offset:1552
	v_mul_f64 v[94:95], v[216:217], v[94:95]
	v_fma_f64 v[94:95], v[214:215], v[96:97], -v[94:95]
	v_accvgpr_write_b32 a179, v95
	v_accvgpr_write_b32 a178, v94
	v_add_f64 v[18:19], v[18:19], 0
	v_add_f64 v[16:17], v[18:19], v[16:17]
	;; [unrolled: 1-line block ×6, first 2 shown]
	ds_read_b128 v[70:73], v212 offset:1472
	v_add_f64 v[14:15], v[16:17], v[14:15]
	v_add_f64 v[12:13], v[14:15], v[12:13]
	;; [unrolled: 1-line block ×3, first 2 shown]
	s_waitcnt vmcnt(54) lgkmcnt(7)
	v_mul_f64 v[52:53], v[46:47], v[20:21]
	v_add_f64 v[8:9], v[10:11], v[8:9]
	s_waitcnt vmcnt(52)
	v_fmac_f64_e32 v[52:53], v[48:49], v[130:131]
	v_add_f64 v[62:63], v[50:51], v[52:53]
	ds_read_b128 v[50:53], v212 offset:1392
	v_add_f64 v[6:7], v[8:9], v[6:7]
	v_add_f64 v[4:5], v[6:7], v[4:5]
	;; [unrolled: 1-line block ×4, first 2 shown]
	s_waitcnt vmcnt(49) lgkmcnt(0)
	v_mul_f64 v[64:65], v[50:51], v[132:133]
	s_waitcnt vmcnt(48)
	v_fmac_f64_e32 v[64:65], v[52:53], v[134:135]
	v_add_f64 v[62:63], v[62:63], v[64:65]
	s_waitcnt vmcnt(45)
	v_mul_f64 v[64:65], v[54:55], v[138:139]
	s_waitcnt vmcnt(43)
	v_fmac_f64_e32 v[64:65], v[56:57], v[144:145]
	v_add_f64 v[62:63], v[62:63], v[64:65]
	s_waitcnt vmcnt(42)
	v_mul_f64 v[64:65], v[58:59], v[136:137]
	s_waitcnt vmcnt(40)
	v_fmac_f64_e32 v[64:65], v[60:61], v[142:143]
	v_add_f64 v[78:79], v[62:63], v[64:65]
	ds_read_b128 v[62:65], v212 offset:1440
	ds_read_b128 v[94:97], v212 offset:1568
	v_add_f64 v[4:5], v[4:5], v[188:189]
	v_add_f64 v[2:3], v[4:5], v[2:3]
	v_accvgpr_read_b32 v4, a160
	s_waitcnt vmcnt(37) lgkmcnt(1)
	v_mul_f64 v[80:81], v[62:63], v[146:147]
	s_waitcnt vmcnt(35)
	v_fmac_f64_e32 v[80:81], v[64:65], v[148:149]
	v_add_f64 v[78:79], v[78:79], v[80:81]
	s_waitcnt vmcnt(33)
	v_mul_f64 v[80:81], v[66:67], v[140:141]
	s_waitcnt vmcnt(32)
	v_fmac_f64_e32 v[80:81], v[68:69], v[150:151]
	v_add_f64 v[78:79], v[78:79], v[80:81]
	s_waitcnt vmcnt(30)
	v_mul_f64 v[80:81], v[70:71], v[152:153]
	s_waitcnt vmcnt(28)
	v_fmac_f64_e32 v[80:81], v[72:73], v[154:155]
	v_add_f64 v[98:99], v[78:79], v[80:81]
	v_mul_f64 v[78:79], v[202:203], v[86:87]
	v_fma_f64 v[202:203], v[200:201], v[88:89], -v[78:79]
	ds_read_b128 v[78:81], v212 offset:1504
	s_waitcnt vmcnt(25)
	v_mul_f64 v[86:87], v[218:219], v[158:159]
	s_waitcnt vmcnt(24)
	v_fmac_f64_e32 v[86:87], v[220:221], v[160:161]
	v_add_f64 v[86:87], v[98:99], v[86:87]
	v_add_f64 v[2:3], v[2:3], v[202:203]
	s_waitcnt vmcnt(21) lgkmcnt(0)
	v_mul_f64 v[88:89], v[78:79], v[162:163]
	s_waitcnt vmcnt(19)
	v_fmac_f64_e32 v[88:89], v[80:81], v[166:167]
	v_add_f64 v[86:87], v[86:87], v[88:89]
	s_waitcnt vmcnt(18)
	v_mul_f64 v[88:89], v[82:83], v[156:157]
	s_waitcnt vmcnt(16)
	v_fmac_f64_e32 v[88:89], v[84:85], v[164:165]
	v_add_f64 v[98:99], v[86:87], v[88:89]
	ds_read_b128 v[86:89], v212 offset:1536
	v_add_f64 v[2:3], v[2:3], v[204:205]
	v_add_f64 v[0:1], v[2:3], v[0:1]
	v_accvgpr_read_b32 v2, a178
	v_accvgpr_read_b32 v3, a179
	s_waitcnt vmcnt(14) lgkmcnt(0)
	v_mul_f64 v[100:101], v[86:87], v[168:169]
	s_waitcnt vmcnt(12)
	v_fmac_f64_e32 v[100:101], v[88:89], v[170:171]
	v_add_f64 v[98:99], v[98:99], v[100:101]
	s_waitcnt vmcnt(9)
	v_mul_f64 v[100:101], v[90:91], v[172:173]
	s_waitcnt vmcnt(8)
	v_fmac_f64_e32 v[100:101], v[92:93], v[174:175]
	v_add_f64 v[98:99], v[98:99], v[100:101]
	s_waitcnt vmcnt(6)
	v_mul_f64 v[100:101], v[94:95], v[76:77]
	s_waitcnt vmcnt(4)
	v_fmac_f64_e32 v[100:101], v[96:97], v[178:179]
	v_add_f64 v[102:103], v[98:99], v[100:101]
	ds_read_b128 v[98:101], v212 offset:1584
	buffer_load_dword v209, off, s[0:3], 0 offset:796
	buffer_load_dword v208, off, s[0:3], 0 offset:792
	buffer_load_dword v129, off, s[0:3], 0 offset:788
	buffer_load_dword v128, off, s[0:3], 0 offset:784
	v_add_f64 v[0:1], v[0:1], v[2:3]
	v_accvgpr_read_b32 v2, a158
	v_accvgpr_read_b32 v3, a159
	s_waitcnt vmcnt(5) lgkmcnt(0)
	v_mul_f64 v[104:105], v[98:99], v[180:181]
	s_waitcnt vmcnt(4)
	v_fmac_f64_e32 v[104:105], v[100:101], v[182:183]
	v_add_f64 v[106:107], v[102:103], v[104:105]
	ds_read_b128 v[102:105], v212 offset:1600
	buffer_load_dword v210, off, s[0:3], 0 offset:808
	buffer_load_dword v211, off, s[0:3], 0 offset:812
	;; [unrolled: 1-line block ×4, first 2 shown]
	v_mul_f64 v[2:3], v[120:121], v[2:3]
	v_accvgpr_read_b32 v5, a161
	v_fma_f64 v[2:3], v[118:119], v[4:5], -v[2:3]
	v_add_f64 v[0:1], v[0:1], v[2:3]
	v_mul_f64 v[2:3], v[224:225], v[238:239]
	v_fma_f64 v[2:3], v[222:223], v[242:243], -v[2:3]
	v_add_f64 v[0:1], v[0:1], v[2:3]
	v_accvgpr_read_b32 v2, a162
	v_accvgpr_read_b32 v3, a163
	v_accvgpr_read_b32 v4, a164
	v_mul_f64 v[2:3], v[228:229], v[2:3]
	v_accvgpr_read_b32 v5, a165
	v_fma_f64 v[2:3], v[226:227], v[4:5], -v[2:3]
	v_add_f64 v[0:1], v[0:1], v[2:3]
	v_mul_f64 v[2:3], v[232:233], v[246:247]
	v_fma_f64 v[2:3], v[230:231], v[248:249], -v[2:3]
	v_add_f64 v[0:1], v[0:1], v[2:3]
	v_accvgpr_read_b32 v2, a166
	v_accvgpr_read_b32 v3, a167
	v_accvgpr_read_b32 v4, a168
	;; [unrolled: 10-line block ×4, first 2 shown]
	v_mul_f64 v[2:3], v[36:37], v[2:3]
	v_accvgpr_read_b32 v5, a177
	v_fma_f64 v[2:3], v[34:35], v[4:5], -v[2:3]
	v_add_f64 v[0:1], v[0:1], v[2:3]
	v_mul_f64 v[2:3], v[40:41], v[124:125]
	v_fma_f64 v[2:3], v[38:39], v[126:127], -v[2:3]
	v_add_f64 v[0:1], v[0:1], v[2:3]
	v_mul_f64 v[2:3], v[44:45], v[240:241]
	v_fma_f64 v[2:3], v[42:43], v[244:245], -v[2:3]
	v_add_f64 v[0:1], v[0:1], v[2:3]
	v_mul_f64 v[2:3], v[48:49], v[20:21]
	v_fma_f64 v[2:3], v[46:47], v[130:131], -v[2:3]
	v_add_f64 v[0:1], v[0:1], v[2:3]
	v_mul_f64 v[2:3], v[52:53], v[132:133]
	v_fma_f64 v[2:3], v[50:51], v[134:135], -v[2:3]
	v_add_f64 v[0:1], v[0:1], v[2:3]
	v_mul_f64 v[2:3], v[56:57], v[138:139]
	v_fma_f64 v[2:3], v[54:55], v[144:145], -v[2:3]
	v_add_f64 v[0:1], v[0:1], v[2:3]
	v_mul_f64 v[2:3], v[60:61], v[136:137]
	v_fma_f64 v[2:3], v[58:59], v[142:143], -v[2:3]
	v_add_f64 v[0:1], v[0:1], v[2:3]
	v_mul_f64 v[2:3], v[64:65], v[146:147]
	v_fma_f64 v[2:3], v[62:63], v[148:149], -v[2:3]
	v_add_f64 v[0:1], v[0:1], v[2:3]
	v_mul_f64 v[2:3], v[68:69], v[140:141]
	v_fma_f64 v[2:3], v[66:67], v[150:151], -v[2:3]
	v_add_f64 v[0:1], v[0:1], v[2:3]
	v_mul_f64 v[2:3], v[72:73], v[152:153]
	s_waitcnt vmcnt(6) lgkmcnt(0)
	v_mul_f64 v[108:109], v[102:103], v[208:209]
	v_fma_f64 v[2:3], v[70:71], v[154:155], -v[2:3]
	s_waitcnt vmcnt(4)
	v_fmac_f64_e32 v[108:109], v[104:105], v[128:129]
	v_add_f64 v[114:115], v[106:107], v[108:109]
	ds_read_b128 v[106:109], v212 offset:1616
	buffer_load_dword v193, off, s[0:3], 0 offset:828
	buffer_load_dword v192, off, s[0:3], 0 offset:824
	;; [unrolled: 1-line block ×4, first 2 shown]
	ds_read_b128 v[214:217], v212 offset:1632
	buffer_load_dword v198, off, s[0:3], 0 offset:840
	buffer_load_dword v199, off, s[0:3], 0 offset:844
	;; [unrolled: 1-line block ×4, first 2 shown]
	v_add_f64 v[0:1], v[0:1], v[2:3]
	s_waitcnt vmcnt(10) lgkmcnt(1)
	v_mul_f64 v[116:117], v[106:107], v[210:211]
	s_waitcnt vmcnt(8)
	v_fmac_f64_e32 v[116:117], v[108:109], v[190:191]
	v_add_f64 v[114:115], v[114:115], v[116:117]
	v_mul_f64 v[2:3], v[220:221], v[158:159]
	v_fma_f64 v[2:3], v[218:219], v[160:161], -v[2:3]
	v_add_f64 v[0:1], v[0:1], v[2:3]
	v_mul_f64 v[2:3], v[80:81], v[162:163]
	v_fma_f64 v[2:3], v[78:79], v[166:167], -v[2:3]
	;; [unrolled: 3-line block ×9, first 2 shown]
	v_add_f64 v[0:1], v[0:1], v[2:3]
	s_waitcnt vmcnt(6) lgkmcnt(0)
	v_mul_f64 v[116:117], v[214:215], v[192:193]
	v_mul_f64 v[2:3], v[216:217], v[192:193]
	s_waitcnt vmcnt(4)
	v_fmac_f64_e32 v[116:117], v[216:217], v[194:195]
	v_add_f64 v[196:197], v[114:115], v[116:117]
	ds_read_b128 v[114:117], v212 offset:1648
	buffer_load_dword v204, off, s[0:3], 0 offset:48
	buffer_load_dword v205, off, s[0:3], 0 offset:52
	;; [unrolled: 1-line block ×4, first 2 shown]
	v_fma_f64 v[2:3], v[214:215], v[194:195], -v[2:3]
	v_add_f64 v[0:1], v[0:1], v[2:3]
	s_waitcnt vmcnt(6) lgkmcnt(0)
	v_mul_f64 v[2:3], v[116:117], v[198:199]
	v_mul_f64 v[206:207], v[114:115], v[198:199]
	s_waitcnt vmcnt(4)
	v_fma_f64 v[2:3], v[114:115], v[200:201], -v[2:3]
	v_fmac_f64_e32 v[206:207], v[116:117], v[200:201]
	v_add_f64 v[0:1], v[0:1], v[2:3]
	v_add_f64 v[196:197], v[196:197], v[206:207]
	s_waitcnt vmcnt(2)
	v_add_f64 v[0:1], v[204:205], -v[0:1]
	s_waitcnt vmcnt(0)
	v_add_f64 v[2:3], v[202:203], -v[196:197]
	buffer_store_dword v1, off, s[0:3], 0 offset:52
	buffer_store_dword v0, off, s[0:3], 0 offset:48
	;; [unrolled: 1-line block ×4, first 2 shown]
	v_accvgpr_read_b32 v0, a155
	v_cmp_lt_u32_e32 vcc, 1, v0
	s_and_saveexec_b64 s[4:5], vcc
	s_cbranch_execz .LBB115_323
; %bb.322:
	v_accvgpr_read_b32 v3, a154
	buffer_load_dword v0, v3, s[0:3], 0 offen
	buffer_load_dword v1, v3, s[0:3], 0 offen offset:4
	buffer_load_dword v2, v3, s[0:3], 0 offen offset:8
	s_nop 0
	buffer_load_dword v3, v3, s[0:3], 0 offen offset:12
	v_accvgpr_read_b32 v4, a156
	buffer_store_dword v212, off, s[0:3], 0 offset:32
	buffer_store_dword v212, off, s[0:3], 0 offset:36
	;; [unrolled: 1-line block ×4, first 2 shown]
	s_waitcnt vmcnt(4)
	ds_write_b128 v4, v[0:3]
.LBB115_323:
	s_or_b64 exec, exec, s[4:5]
	s_waitcnt lgkmcnt(0)
	; wave barrier
	s_waitcnt lgkmcnt(0)
	buffer_load_dword v34, off, s[0:3], 0 offset:48
	buffer_load_dword v35, off, s[0:3], 0 offset:52
	;; [unrolled: 1-line block ×42, first 2 shown]
	ds_read_b128 v[42:45], v212 offset:864
	ds_read_b128 v[108:111], v212 offset:880
	ds_read_b128 v[112:115], v212 offset:896
	ds_read_b128 v[136:139], v212 offset:912
	ds_read_b128 v[140:143], v212 offset:928
	ds_read_b128 v[148:151], v212 offset:944
	ds_read_b128 v[152:155], v212 offset:960
	ds_read_b128 v[156:159], v212 offset:976
	ds_read_b128 v[160:163], v212 offset:992
	ds_read_b128 v[164:167], v212 offset:1008
	buffer_load_dword v1, off, s[0:3], 0 offset:196
	buffer_load_dword v0, off, s[0:3], 0 offset:192
	ds_read_b128 v[46:49], v212 offset:1024
	buffer_load_dword v85, off, s[0:3], 0 offset:252
	buffer_load_dword v84, off, s[0:3], 0 offset:248
	;; [unrolled: 1-line block ×6, first 2 shown]
	s_waitcnt vmcnt(46) lgkmcnt(10)
	v_mul_f64 v[2:3], v[42:43], v[36:37]
	v_fmac_f64_e32 v[2:3], v[44:45], v[34:35]
	v_add_f64 v[2:3], v[2:3], 0
	v_mul_f64 v[36:37], v[44:45], v[36:37]
	s_waitcnt vmcnt(42) lgkmcnt(9)
	v_mul_f64 v[4:5], v[108:109], v[40:41]
	v_fmac_f64_e32 v[4:5], v[110:111], v[38:39]
	s_waitcnt vmcnt(40) lgkmcnt(8)
	v_mul_f64 v[6:7], v[112:113], v[128:129]
	v_add_f64 v[2:3], v[2:3], v[4:5]
	s_waitcnt vmcnt(38) lgkmcnt(6)
	v_mul_f64 v[10:11], v[140:141], v[144:145]
	v_mul_f64 v[40:41], v[110:111], v[40:41]
	s_waitcnt vmcnt(36)
	v_fmac_f64_e32 v[10:11], v[142:143], v[54:55]
	v_fma_f64 v[108:109], v[108:109], v[38:39], -v[40:41]
	s_waitcnt vmcnt(34)
	v_mul_f64 v[8:9], v[136:137], v[56:57]
	v_mul_f64 v[110:111], v[114:115], v[128:129]
	s_waitcnt vmcnt(32) lgkmcnt(4)
	v_mul_f64 v[14:15], v[152:153], v[58:59]
	v_mul_f64 v[56:57], v[138:139], v[56:57]
	s_waitcnt vmcnt(30)
	v_fmac_f64_e32 v[14:15], v[154:155], v[60:61]
	s_waitcnt vmcnt(28)
	v_mul_f64 v[12:13], v[148:149], v[170:171]
	s_waitcnt vmcnt(26) lgkmcnt(2)
	v_mul_f64 v[18:19], v[160:161], v[178:179]
	s_waitcnt vmcnt(23)
	v_mul_f64 v[16:17], v[156:157], v[70:71]
	s_waitcnt vmcnt(21) lgkmcnt(1)
	v_mul_f64 v[20:21], v[164:165], v[68:69]
	s_waitcnt vmcnt(19)
	v_fmac_f64_e32 v[6:7], v[114:115], v[78:79]
	v_add_f64 v[2:3], v[2:3], v[6:7]
	s_waitcnt vmcnt(17)
	v_fmac_f64_e32 v[8:9], v[138:139], v[76:77]
	v_add_f64 v[2:3], v[2:3], v[8:9]
	;; [unrolled: 3-line block ×3, first 2 shown]
	v_add_f64 v[2:3], v[2:3], v[12:13]
	s_waitcnt vmcnt(13)
	v_fmac_f64_e32 v[16:17], v[158:159], v[72:73]
	v_add_f64 v[2:3], v[2:3], v[14:15]
	s_waitcnt vmcnt(12)
	v_fmac_f64_e32 v[18:19], v[162:163], v[66:67]
	v_add_f64 v[2:3], v[2:3], v[16:17]
	v_add_f64 v[6:7], v[2:3], v[18:19]
	buffer_load_dword v177, off, s[0:3], 0 offset:228
	buffer_load_dword v176, off, s[0:3], 0 offset:224
	;; [unrolled: 1-line block ×36, first 2 shown]
	s_waitcnt vmcnt(42)
	v_fmac_f64_e32 v[20:21], v[166:167], v[0:1]
	s_waitcnt lgkmcnt(0)
	v_mul_f64 v[8:9], v[46:47], v[80:81]
	v_add_f64 v[6:7], v[6:7], v[20:21]
	v_fmac_f64_e32 v[8:9], v[48:49], v[82:83]
	v_add_f64 v[6:7], v[6:7], v[8:9]
	v_fma_f64 v[110:111], v[112:113], v[78:79], -v[110:111]
	v_fma_f64 v[112:113], v[136:137], v[76:77], -v[56:57]
	v_mul_f64 v[56:57], v[142:143], v[144:145]
	v_mul_f64 v[48:49], v[48:49], v[80:81]
	s_waitcnt vmcnt(0)
	v_pk_mov_b32 v[18:19], v[4:5], v[4:5] op_sel:[0,1]
	buffer_load_dword v5, off, s[0:3], 0 offset:404
	buffer_load_dword v4, off, s[0:3], 0 offset:400
	v_accvgpr_write_b32 a163, v19
	v_accvgpr_write_b32 a162, v18
	s_waitcnt vmcnt(0)
	v_pk_mov_b32 v[22:23], v[4:5], v[4:5] op_sel:[0,1]
	buffer_load_dword v5, off, s[0:3], 0 offset:396
	buffer_load_dword v4, off, s[0:3], 0 offset:392
	v_accvgpr_write_b32 a165, v23
	v_accvgpr_write_b32 a164, v22
	;; [unrolled: 6-line block ×6, first 2 shown]
	s_waitcnt vmcnt(0)
	v_pk_mov_b32 v[24:25], v[4:5], v[4:5] op_sel:[0,1]
	buffer_load_dword v241, off, s[0:3], 0 offset:420
	buffer_load_dword v240, off, s[0:3], 0 offset:416
	;; [unrolled: 1-line block ×4, first 2 shown]
	v_accvgpr_write_b32 a167, v25
	v_accvgpr_write_b32 a166, v24
	s_waitcnt vmcnt(0)
	v_pk_mov_b32 v[130:131], v[4:5], v[4:5] op_sel:[0,1]
	buffer_load_dword v5, off, s[0:3], 0 offset:468
	buffer_load_dword v4, off, s[0:3], 0 offset:464
	v_accvgpr_write_b32 a173, v131
	v_accvgpr_write_b32 a172, v130
	s_waitcnt vmcnt(0)
	v_pk_mov_b32 v[132:133], v[4:5], v[4:5] op_sel:[0,1]
	buffer_load_dword v127, off, s[0:3], 0 offset:460
	buffer_load_dword v126, off, s[0:3], 0 offset:456
	;; [unrolled: 1-line block ×6, first 2 shown]
	v_accvgpr_write_b32 a175, v133
	v_accvgpr_write_b32 a174, v132
	s_waitcnt vmcnt(0)
	v_pk_mov_b32 v[134:135], v[4:5], v[4:5] op_sel:[0,1]
	buffer_load_dword v5, off, s[0:3], 0 offset:500
	buffer_load_dword v4, off, s[0:3], 0 offset:496
	v_accvgpr_write_b32 a177, v135
	v_accvgpr_write_b32 a176, v134
	s_waitcnt vmcnt(0)
	v_pk_mov_b32 v[146:147], v[4:5], v[4:5] op_sel:[0,1]
	buffer_load_dword v245, off, s[0:3], 0 offset:492
	buffer_load_dword v244, off, s[0:3], 0 offset:488
	;; [unrolled: 1-line block ×12, first 2 shown]
	ds_read_b128 v[172:175], v212 offset:1040
	ds_read_b128 v[184:187], v212 offset:1056
	;; [unrolled: 1-line block ×6, first 2 shown]
	s_waitcnt lgkmcnt(5)
	v_mul_f64 v[8:9], v[172:173], v[116:117]
	v_fmac_f64_e32 v[8:9], v[174:175], v[176:177]
	v_add_f64 v[6:7], v[6:7], v[8:9]
	s_waitcnt lgkmcnt(4)
	v_mul_f64 v[8:9], v[184:185], v[84:85]
	v_fmac_f64_e32 v[8:9], v[186:187], v[86:87]
	v_add_f64 v[6:7], v[6:7], v[8:9]
	;; [unrolled: 4-line block ×3, first 2 shown]
	s_waitcnt lgkmcnt(2)
	v_mul_f64 v[8:9], v[192:193], v[168:169]
	v_fmac_f64_e32 v[8:9], v[194:195], v[2:3]
	ds_read_b128 v[204:207], v212 offset:1136
	ds_read_b128 v[208:211], v212 offset:1152
	v_add_f64 v[6:7], v[6:7], v[8:9]
	s_waitcnt lgkmcnt(3)
	v_mul_f64 v[8:9], v[196:197], v[62:63]
	v_fmac_f64_e32 v[8:9], v[198:199], v[64:65]
	v_add_f64 v[6:7], v[6:7], v[8:9]
	s_waitcnt lgkmcnt(2)
	v_mul_f64 v[8:9], v[200:201], v[100:101]
	v_fmac_f64_e32 v[8:9], v[202:203], v[102:103]
	ds_read_b128 v[214:217], v212 offset:1168
	ds_read_b128 v[218:221], v212 offset:1184
	v_add_f64 v[6:7], v[6:7], v[8:9]
	s_waitcnt lgkmcnt(3)
	v_mul_f64 v[8:9], v[204:205], v[104:105]
	v_fmac_f64_e32 v[8:9], v[206:207], v[106:107]
	v_add_f64 v[6:7], v[6:7], v[8:9]
	s_waitcnt lgkmcnt(2)
	v_mul_f64 v[8:9], v[208:209], v[88:89]
	ds_read_b128 v[234:237], v212 offset:1200
	ds_read_b128 v[230:233], v212 offset:1216
	v_fmac_f64_e32 v[8:9], v[210:211], v[92:93]
	v_add_f64 v[6:7], v[6:7], v[8:9]
	s_waitcnt lgkmcnt(3)
	v_mul_f64 v[8:9], v[214:215], v[90:91]
	ds_read_b128 v[226:229], v212 offset:1232
	ds_read_b128 v[222:225], v212 offset:1248
	;; [unrolled: 6-line block ×3, first 2 shown]
	v_fmac_f64_e32 v[8:9], v[220:221], v[96:97]
	s_waitcnt lgkmcnt(5)
	v_mul_f64 v[12:13], v[234:235], v[14:15]
	v_add_f64 v[10:11], v[6:7], v[8:9]
	v_fmac_f64_e32 v[12:13], v[236:237], v[16:17]
	s_waitcnt lgkmcnt(4)
	v_mul_f64 v[16:17], v[230:231], v[18:19]
	v_add_f64 v[14:15], v[10:11], v[12:13]
	;; [unrolled: 4-line block ×6, first 2 shown]
	ds_read_b128 v[26:29], v212 offset:1296
	v_fmac_f64_e32 v[32:33], v[120:121], v[132:133]
	v_add_f64 v[130:131], v[30:31], v[32:33]
	ds_read_b128 v[30:33], v212 offset:1312
	v_fma_f64 v[18:19], v[42:43], v[34:35], -v[36:37]
	ds_read_b128 v[34:37], v212 offset:1328
	v_accvgpr_write_b32 a179, v147
	s_waitcnt vmcnt(10) lgkmcnt(2)
	v_mul_f64 v[42:43], v[26:27], v[244:245]
	s_waitcnt lgkmcnt(1)
	v_mul_f64 v[44:45], v[30:31], v[134:135]
	s_waitcnt vmcnt(8)
	v_fmac_f64_e32 v[42:43], v[28:29], v[246:247]
	v_add_f64 v[42:43], v[130:131], v[42:43]
	v_fmac_f64_e32 v[44:45], v[32:33], v[146:147]
	v_add_f64 v[42:43], v[42:43], v[44:45]
	v_accvgpr_write_b32 a178, v146
	v_mul_f64 v[8:9], v[150:151], v[170:171]
	s_waitcnt vmcnt(2) lgkmcnt(0)
	v_mul_f64 v[44:45], v[34:35], v[248:249]
	v_fma_f64 v[14:15], v[140:141], v[54:55], -v[56:57]
	s_waitcnt vmcnt(0)
	v_fmac_f64_e32 v[44:45], v[36:37], v[250:251]
	v_add_f64 v[252:253], v[42:43], v[44:45]
	ds_read_b128 v[42:45], v212 offset:1344
	ds_read_b128 v[38:41], v212 offset:1360
	buffer_load_dword v128, off, s[0:3], 0 offset:568
	buffer_load_dword v133, off, s[0:3], 0 offset:556
	;; [unrolled: 1-line block ×17, first 2 shown]
	v_fma_f64 v[10:11], v[148:149], v[74:75], -v[8:9]
	buffer_load_dword v140, off, s[0:3], 0 offset:624
	buffer_load_dword v149, off, s[0:3], 0 offset:620
	;; [unrolled: 1-line block ×7, first 2 shown]
	v_mul_f64 v[54:55], v[154:155], v[58:59]
	v_fma_f64 v[8:9], v[152:153], v[60:61], -v[54:55]
	buffer_load_dword v153, off, s[0:3], 0 offset:652
	buffer_load_dword v152, off, s[0:3], 0 offset:648
	;; [unrolled: 1-line block ×4, first 2 shown]
	v_mul_f64 v[54:55], v[158:159], v[70:71]
	v_fma_f64 v[254:255], v[156:157], v[72:73], -v[54:55]
	v_mul_f64 v[54:55], v[162:163], v[178:179]
	buffer_load_dword v158, off, s[0:3], 0 offset:664
	v_fma_f64 v[6:7], v[160:161], v[66:67], -v[54:55]
	buffer_load_dword v160, off, s[0:3], 0 offset:656
	buffer_load_dword v159, off, s[0:3], 0 offset:668
	;; [unrolled: 1-line block ×3, first 2 shown]
	v_mul_f64 v[16:17], v[166:167], v[68:69]
	v_fma_f64 v[16:17], v[164:165], v[0:1], -v[16:17]
	buffer_load_dword v157, off, s[0:3], 0 offset:700
	buffer_load_dword v163, off, s[0:3], 0 offset:684
	;; [unrolled: 1-line block ×12, first 2 shown]
	s_waitcnt lgkmcnt(1)
	v_mul_f64 v[12:13], v[42:43], v[4:5]
	v_mul_f64 v[20:21], v[174:175], v[116:117]
	v_fma_f64 v[20:21], v[172:173], v[176:177], -v[20:21]
	buffer_load_dword v174, off, s[0:3], 0 offset:728
	buffer_load_dword v176, off, s[0:3], 0 offset:720
	;; [unrolled: 1-line block ×12, first 2 shown]
	v_fmac_f64_e32 v[12:13], v[44:45], v[238:239]
	v_add_f64 v[54:55], v[252:253], v[12:13]
	v_mul_f64 v[12:13], v[186:187], v[84:85]
	v_fma_f64 v[184:185], v[184:185], v[86:87], -v[12:13]
	buffer_load_dword v253, off, s[0:3], 0 offset:780
	buffer_load_dword v252, off, s[0:3], 0 offset:776
	;; [unrolled: 1-line block ×4, first 2 shown]
	v_accvgpr_write_b32 a181, v5
	v_accvgpr_write_b32 a180, v4
	v_fma_f64 v[4:5], v[46:47], v[82:83], -v[48:49]
	ds_read_b128 v[46:49], v212 offset:1376
	v_mul_f64 v[50:51], v[190:191], v[50:51]
	v_fma_f64 v[186:187], v[188:189], v[52:53], -v[50:51]
	ds_read_b128 v[50:53], v212 offset:1392
	v_mul_f64 v[58:59], v[194:195], v[168:169]
	v_fma_f64 v[168:169], v[192:193], v[2:3], -v[58:59]
	v_mul_f64 v[62:63], v[198:199], v[62:63]
	v_fma_f64 v[196:197], v[196:197], v[64:65], -v[62:63]
	ds_read_b128 v[62:65], v212 offset:1440
	v_mul_f64 v[70:71], v[202:203], v[100:101]
	v_fma_f64 v[202:203], v[200:201], v[102:103], -v[70:71]
	ds_read_b128 v[70:73], v212 offset:1472
	v_mul_f64 v[82:83], v[210:211], v[88:89]
	v_fma_f64 v[0:1], v[208:209], v[92:93], -v[82:83]
	v_mul_f64 v[86:87], v[216:217], v[90:91]
	ds_read_b128 v[90:93], v212 offset:1536
	v_add_f64 v[18:19], v[18:19], 0
	v_add_f64 v[18:19], v[18:19], v[108:109]
	;; [unrolled: 1-line block ×17, first 2 shown]
	v_accvgpr_read_b32 v6, a160
	v_accvgpr_read_b32 v7, a161
	ds_read_b128 v[58:61], v212 offset:1424
	ds_read_b128 v[82:85], v212 offset:1520
	s_waitcnt vmcnt(48) lgkmcnt(5)
	v_mul_f64 v[2:3], v[50:51], v[144:145]
	v_mul_f64 v[56:57], v[38:39], v[132:133]
	s_waitcnt vmcnt(46)
	v_fmac_f64_e32 v[2:3], v[52:53], v[146:147]
	v_fmac_f64_e32 v[56:57], v[40:41], v[134:135]
	v_add_f64 v[54:55], v[54:55], v[56:57]
	v_mul_f64 v[56:57], v[46:47], v[128:129]
	v_fmac_f64_e32 v[56:57], v[48:49], v[136:137]
	v_add_f64 v[66:67], v[54:55], v[56:57]
	ds_read_b128 v[54:57], v212 offset:1408
	v_add_f64 v[2:3], v[66:67], v[2:3]
	s_waitcnt lgkmcnt(0)
	v_mul_f64 v[66:67], v[54:55], v[130:131]
	s_waitcnt vmcnt(44)
	v_fmac_f64_e32 v[66:67], v[56:57], v[142:143]
	v_add_f64 v[2:3], v[2:3], v[66:67]
	s_waitcnt vmcnt(40)
	v_mul_f64 v[66:67], v[58:59], v[148:149]
	s_waitcnt vmcnt(38)
	v_fmac_f64_e32 v[66:67], v[60:61], v[150:151]
	v_add_f64 v[2:3], v[2:3], v[66:67]
	s_waitcnt vmcnt(37)
	v_mul_f64 v[66:67], v[62:63], v[138:139]
	s_waitcnt vmcnt(36)
	v_fmac_f64_e32 v[66:67], v[64:65], v[140:141]
	v_add_f64 v[2:3], v[2:3], v[66:67]
	ds_read_b128 v[66:69], v212 offset:1456
	s_waitcnt vmcnt(29)
	v_mul_f64 v[78:79], v[70:71], v[158:159]
	s_waitcnt vmcnt(28)
	v_fmac_f64_e32 v[78:79], v[72:73], v[160:161]
	s_waitcnt lgkmcnt(0)
	v_mul_f64 v[74:75], v[66:67], v[152:153]
	v_fmac_f64_e32 v[74:75], v[68:69], v[154:155]
	v_add_f64 v[2:3], v[2:3], v[74:75]
	v_mul_f64 v[74:75], v[206:207], v[104:105]
	v_fma_f64 v[204:205], v[204:205], v[106:107], -v[74:75]
	ds_read_b128 v[74:77], v212 offset:1488
	v_add_f64 v[2:3], v[2:3], v[78:79]
	ds_read_b128 v[78:81], v212 offset:1504
	v_fma_f64 v[206:207], v[214:215], v[98:99], -v[86:87]
	ds_read_b128 v[86:89], v212 offset:1552
	s_waitcnt vmcnt(25) lgkmcnt(2)
	v_mul_f64 v[24:25], v[74:75], v[162:163]
	s_waitcnt vmcnt(23)
	v_fmac_f64_e32 v[24:25], v[76:77], v[22:23]
	v_add_f64 v[2:3], v[2:3], v[24:25]
	s_waitcnt vmcnt(22) lgkmcnt(1)
	v_mul_f64 v[24:25], v[78:79], v[156:157]
	s_waitcnt vmcnt(20)
	v_fmac_f64_e32 v[24:25], v[80:81], v[166:167]
	v_add_f64 v[2:3], v[2:3], v[24:25]
	s_waitcnt vmcnt(18)
	v_mul_f64 v[24:25], v[82:83], v[164:165]
	s_waitcnt vmcnt(16)
	v_fmac_f64_e32 v[24:25], v[84:85], v[170:171]
	v_add_f64 v[2:3], v[2:3], v[24:25]
	v_mul_f64 v[24:25], v[220:221], v[94:95]
	v_fma_f64 v[208:209], v[218:219], v[96:97], -v[24:25]
	ds_read_b128 v[94:97], v212 offset:1568
	ds_read_b128 v[98:101], v212 offset:1584
	s_waitcnt vmcnt(13)
	v_mul_f64 v[24:25], v[90:91], v[174:175]
	s_waitcnt vmcnt(12)
	v_fmac_f64_e32 v[24:25], v[92:93], v[176:177]
	v_add_f64 v[2:3], v[2:3], v[24:25]
	s_waitcnt vmcnt(9) lgkmcnt(2)
	v_mul_f64 v[24:25], v[86:87], v[180:181]
	s_waitcnt vmcnt(7)
	v_fmac_f64_e32 v[24:25], v[88:89], v[182:183]
	v_add_f64 v[2:3], v[2:3], v[24:25]
	s_waitcnt vmcnt(5) lgkmcnt(1)
	;; [unrolled: 5-line block ×3, first 2 shown]
	v_mul_f64 v[24:25], v[98:99], v[252:253]
	s_waitcnt vmcnt(0)
	v_fmac_f64_e32 v[24:25], v[100:101], v[12:13]
	v_add_f64 v[24:25], v[2:3], v[24:25]
	buffer_load_dword v2, off, s[0:3], 0 offset:792
	buffer_load_dword v3, off, s[0:3], 0 offset:796
	buffer_load_dword v106, off, s[0:3], 0 offset:784
	buffer_load_dword v107, off, s[0:3], 0 offset:788
	ds_read_b128 v[102:105], v212 offset:1600
	buffer_load_dword v189, off, s[0:3], 0 offset:812
	buffer_load_dword v188, off, s[0:3], 0 offset:808
	buffer_load_dword v191, off, s[0:3], 0 offset:804
	buffer_load_dword v190, off, s[0:3], 0 offset:800
	ds_read_b128 v[214:217], v212 offset:1616
	;; [unrolled: 5-line block ×3, first 2 shown]
	buffer_load_dword v199, off, s[0:3], 0 offset:844
	buffer_load_dword v198, off, s[0:3], 0 offset:840
	;; [unrolled: 1-line block ×4, first 2 shown]
	v_add_f64 v[4:5], v[4:5], v[204:205]
	s_waitcnt vmcnt(14) lgkmcnt(2)
	v_mul_f64 v[114:115], v[102:103], v[2:3]
	v_mul_f64 v[2:3], v[104:105], v[2:3]
	s_waitcnt vmcnt(12)
	v_fmac_f64_e32 v[114:115], v[104:105], v[106:107]
	v_add_f64 v[24:25], v[24:25], v[114:115]
	s_waitcnt vmcnt(10) lgkmcnt(1)
	v_mul_f64 v[114:115], v[214:215], v[188:189]
	s_waitcnt vmcnt(8)
	v_fmac_f64_e32 v[114:115], v[216:217], v[190:191]
	v_add_f64 v[24:25], v[24:25], v[114:115]
	s_waitcnt vmcnt(6) lgkmcnt(0)
	v_mul_f64 v[114:115], v[218:219], v[192:193]
	s_waitcnt vmcnt(4)
	v_fmac_f64_e32 v[114:115], v[220:221], v[194:195]
	v_add_f64 v[24:25], v[24:25], v[114:115]
	ds_read_b128 v[114:117], v212 offset:1648
	buffer_load_dword v204, off, s[0:3], 0 offset:32
	buffer_load_dword v205, off, s[0:3], 0 offset:36
	;; [unrolled: 1-line block ×4, first 2 shown]
	v_add_f64 v[212:213], v[4:5], v[0:1]
	v_accvgpr_read_b32 v4, a158
	v_accvgpr_read_b32 v5, a159
	v_add_f64 v[0:1], v[212:213], v[206:207]
	v_mul_f64 v[4:5], v[236:237], v[4:5]
	v_add_f64 v[0:1], v[0:1], v[208:209]
	v_fma_f64 v[4:5], v[234:235], v[6:7], -v[4:5]
	v_add_f64 v[0:1], v[0:1], v[4:5]
	v_accvgpr_read_b32 v4, a162
	v_accvgpr_read_b32 v5, a163
	;; [unrolled: 1-line block ×3, first 2 shown]
	v_mul_f64 v[4:5], v[232:233], v[4:5]
	v_accvgpr_read_b32 v7, a165
	v_fma_f64 v[4:5], v[230:231], v[6:7], -v[4:5]
	v_add_f64 v[0:1], v[0:1], v[4:5]
	v_accvgpr_read_b32 v4, a166
	v_accvgpr_read_b32 v5, a167
	v_mul_f64 v[4:5], v[228:229], v[4:5]
	v_fma_f64 v[4:5], v[226:227], v[240:241], -v[4:5]
	v_add_f64 v[0:1], v[0:1], v[4:5]
	v_accvgpr_read_b32 v4, a168
	v_accvgpr_read_b32 v5, a169
	v_accvgpr_read_b32 v6, a170
	v_mul_f64 v[4:5], v[224:225], v[4:5]
	v_accvgpr_read_b32 v7, a171
	v_fma_f64 v[4:5], v[222:223], v[6:7], -v[4:5]
	v_add_f64 v[0:1], v[0:1], v[4:5]
	v_mul_f64 v[4:5], v[124:125], v[126:127]
	v_fma_f64 v[4:5], v[122:123], v[242:243], -v[4:5]
	v_add_f64 v[0:1], v[0:1], v[4:5]
	v_accvgpr_read_b32 v4, a172
	v_accvgpr_read_b32 v5, a173
	v_accvgpr_read_b32 v6, a174
	v_mul_f64 v[4:5], v[120:121], v[4:5]
	v_accvgpr_read_b32 v7, a175
	v_fma_f64 v[4:5], v[118:119], v[6:7], -v[4:5]
	v_add_f64 v[0:1], v[0:1], v[4:5]
	v_mul_f64 v[4:5], v[28:29], v[244:245]
	v_fma_f64 v[4:5], v[26:27], v[246:247], -v[4:5]
	v_add_f64 v[0:1], v[0:1], v[4:5]
	v_accvgpr_read_b32 v4, a176
	v_accvgpr_read_b32 v5, a177
	v_accvgpr_read_b32 v6, a178
	v_mul_f64 v[4:5], v[32:33], v[4:5]
	v_accvgpr_read_b32 v7, a179
	v_fma_f64 v[4:5], v[30:31], v[6:7], -v[4:5]
	v_add_f64 v[0:1], v[0:1], v[4:5]
	v_mul_f64 v[4:5], v[36:37], v[248:249]
	v_fma_f64 v[4:5], v[34:35], v[250:251], -v[4:5]
	v_add_f64 v[0:1], v[0:1], v[4:5]
	v_accvgpr_read_b32 v4, a180
	v_accvgpr_read_b32 v5, a181
	v_mul_f64 v[4:5], v[44:45], v[4:5]
	v_fma_f64 v[4:5], v[42:43], v[238:239], -v[4:5]
	v_add_f64 v[0:1], v[0:1], v[4:5]
	v_mul_f64 v[4:5], v[40:41], v[132:133]
	v_fma_f64 v[4:5], v[38:39], v[134:135], -v[4:5]
	v_add_f64 v[0:1], v[0:1], v[4:5]
	;; [unrolled: 3-line block ×16, first 2 shown]
	v_fma_f64 v[2:3], v[102:103], v[106:107], -v[2:3]
	v_add_f64 v[0:1], v[0:1], v[2:3]
	v_mul_f64 v[2:3], v[216:217], v[188:189]
	v_fma_f64 v[2:3], v[214:215], v[190:191], -v[2:3]
	v_add_f64 v[0:1], v[0:1], v[2:3]
	v_mul_f64 v[2:3], v[220:221], v[192:193]
	v_fma_f64 v[2:3], v[218:219], v[194:195], -v[2:3]
	v_add_f64 v[0:1], v[0:1], v[2:3]
	s_waitcnt vmcnt(6) lgkmcnt(0)
	v_mul_f64 v[2:3], v[116:117], v[198:199]
	v_mul_f64 v[210:211], v[114:115], v[198:199]
	s_waitcnt vmcnt(4)
	v_fma_f64 v[2:3], v[114:115], v[200:201], -v[2:3]
	v_fmac_f64_e32 v[210:211], v[116:117], v[200:201]
	v_add_f64 v[0:1], v[0:1], v[2:3]
	v_add_f64 v[210:211], v[24:25], v[210:211]
	s_waitcnt vmcnt(2)
	v_add_f64 v[0:1], v[204:205], -v[0:1]
	s_waitcnt vmcnt(0)
	v_add_f64 v[2:3], v[202:203], -v[210:211]
	buffer_store_dword v1, off, s[0:3], 0 offset:36
	buffer_store_dword v0, off, s[0:3], 0 offset:32
	;; [unrolled: 1-line block ×4, first 2 shown]
	v_accvgpr_read_b32 v0, a155
	v_cmp_ne_u32_e32 vcc, 0, v0
	s_and_saveexec_b64 s[4:5], vcc
	s_cbranch_execz .LBB115_325
; %bb.324:
	buffer_load_dword v0, off, s[0:3], 0 offset:16
	buffer_load_dword v1, off, s[0:3], 0 offset:20
	;; [unrolled: 1-line block ×4, first 2 shown]
	v_mov_b32_e32 v4, 0
	v_accvgpr_read_b32 v5, a156
	buffer_store_dword v4, off, s[0:3], 0 offset:16
	buffer_store_dword v4, off, s[0:3], 0 offset:20
	;; [unrolled: 1-line block ×4, first 2 shown]
	s_waitcnt vmcnt(4)
	ds_write_b128 v5, v[0:3]
.LBB115_325:
	s_or_b64 exec, exec, s[4:5]
	s_waitcnt lgkmcnt(0)
	; wave barrier
	s_waitcnt lgkmcnt(0)
	buffer_load_dword v218, off, s[0:3], 0 offset:32
	buffer_load_dword v219, off, s[0:3], 0 offset:36
	;; [unrolled: 1-line block ×36, first 2 shown]
	v_mov_b32_e32 v16, 0
	buffer_load_dword v65, off, s[0:3], 0 offset:204
	buffer_load_dword v64, off, s[0:3], 0 offset:200
	;; [unrolled: 1-line block ×18, first 2 shown]
	ds_read_b128 v[28:31], v16 offset:848
	ds_read_b128 v[112:115], v16 offset:864
	;; [unrolled: 1-line block ×9, first 2 shown]
	s_and_b64 vcc, exec, s[16:17]
	s_waitcnt vmcnt(50) lgkmcnt(8)
	v_mul_f64 v[0:1], v[28:29], v[26:27]
	v_fmac_f64_e32 v[0:1], v[30:31], v[218:219]
	v_add_f64 v[0:1], v[0:1], 0
	v_mul_f64 v[26:27], v[30:31], v[26:27]
	s_waitcnt vmcnt(46) lgkmcnt(7)
	v_mul_f64 v[2:3], v[112:113], v[36:37]
	v_fmac_f64_e32 v[2:3], v[114:115], v[34:35]
	v_add_f64 v[0:1], v[0:1], v[2:3]
	buffer_load_dword v109, off, s[0:3], 0 offset:260
	buffer_load_dword v108, off, s[0:3], 0 offset:256
	;; [unrolled: 1-line block ×32, first 2 shown]
	s_waitcnt vmcnt(62) lgkmcnt(6)
	v_mul_f64 v[4:5], v[130:131], v[32:33]
	s_waitcnt lgkmcnt(4)
	v_mul_f64 v[8:9], v[138:139], v[38:39]
	v_fmac_f64_e32 v[8:9], v[140:141], v[40:41]
	v_fma_f64 v[218:219], v[28:29], v[218:219], -v[26:27]
	v_mul_f64 v[6:7], v[134:135], v[42:43]
	v_mul_f64 v[36:37], v[114:115], v[36:37]
	s_waitcnt lgkmcnt(2)
	v_mul_f64 v[12:13], v[146:147], v[48:49]
	v_mul_f64 v[32:33], v[132:133], v[32:33]
	v_fmac_f64_e32 v[12:13], v[148:149], v[50:51]
	v_mul_f64 v[48:49], v[148:149], v[48:49]
	v_mul_f64 v[10:11], v[142:143], v[54:55]
	;; [unrolled: 1-line block ×3, first 2 shown]
	s_waitcnt lgkmcnt(1)
	v_mul_f64 v[14:15], v[150:151], v[46:47]
	v_mul_f64 v[46:47], v[152:153], v[46:47]
	s_waitcnt vmcnt(60)
	v_fmac_f64_e32 v[4:5], v[132:133], v[60:61]
	v_add_f64 v[0:1], v[0:1], v[4:5]
	s_waitcnt vmcnt(58)
	v_fmac_f64_e32 v[6:7], v[136:137], v[58:59]
	v_add_f64 v[0:1], v[0:1], v[6:7]
	;; [unrolled: 3-line block ×3, first 2 shown]
	v_add_f64 v[0:1], v[0:1], v[10:11]
	v_add_f64 v[0:1], v[0:1], v[12:13]
	s_waitcnt vmcnt(54)
	v_fmac_f64_e32 v[14:15], v[152:153], v[52:53]
	v_add_f64 v[0:1], v[0:1], v[14:15]
	v_fma_f64 v[56:57], v[142:143], v[56:57], -v[54:55]
	v_fma_f64 v[114:115], v[150:151], v[52:53], -v[46:47]
	s_waitcnt vmcnt(0)
	v_pk_mov_b32 v[12:13], v[2:3], v[2:3] op_sel:[0,1]
	buffer_load_dword v3, off, s[0:3], 0 offset:388
	buffer_load_dword v2, off, s[0:3], 0 offset:384
	v_accvgpr_write_b32 a157, v13
	v_accvgpr_write_b32 a156, v12
	s_waitcnt vmcnt(0)
	v_pk_mov_b32 v[18:19], v[2:3], v[2:3] op_sel:[0,1]
	buffer_load_dword v93, off, s[0:3], 0 offset:380
	buffer_load_dword v92, off, s[0:3], 0 offset:376
	;; [unrolled: 1-line block ×6, first 2 shown]
	v_accvgpr_write_b32 a159, v19
	v_accvgpr_write_b32 a158, v18
	s_waitcnt vmcnt(0)
	v_pk_mov_b32 v[20:21], v[2:3], v[2:3] op_sel:[0,1]
	buffer_load_dword v3, off, s[0:3], 0 offset:420
	buffer_load_dword v2, off, s[0:3], 0 offset:416
	v_accvgpr_write_b32 a165, v21
	v_accvgpr_write_b32 a164, v20
	s_waitcnt vmcnt(0)
	v_pk_mov_b32 v[22:23], v[2:3], v[2:3] op_sel:[0,1]
	buffer_load_dword v3, off, s[0:3], 0 offset:412
	buffer_load_dword v2, off, s[0:3], 0 offset:408
	;; [unrolled: 6-line block ×9, first 2 shown]
	v_pk_mov_b32 v[26:27], v[126:127], v[126:127] op_sel:[0,1]
	s_waitcnt vmcnt(0)
	v_pk_mov_b32 v[128:129], v[2:3], v[2:3] op_sel:[0,1]
	buffer_load_dword v3, off, s[0:3], 0 offset:476
	buffer_load_dword v2, off, s[0:3], 0 offset:472
	;; [unrolled: 1-line block ×4, first 2 shown]
	ds_read_b128 v[158:161], v16 offset:992
	ds_read_b128 v[162:165], v16 offset:1008
	;; [unrolled: 1-line block ×9, first 2 shown]
	buffer_load_dword v249, off, s[0:3], 0 offset:508
	buffer_load_dword v248, off, s[0:3], 0 offset:504
	;; [unrolled: 1-line block ×12, first 2 shown]
	ds_read_b128 v[198:201], v16 offset:1136
	ds_read_b128 v[202:205], v16 offset:1152
	ds_read_b128 v[206:209], v16 offset:1168
	ds_read_b128 v[210:213], v16 offset:1184
	ds_read_b128 v[242:245], v16 offset:1200
	ds_read_b128 v[238:241], v16 offset:1216
	ds_read_b128 v[226:229], v16 offset:1264
	ds_read_b128 v[222:225], v16 offset:1280
	ds_read_b128 v[234:237], v16 offset:1232
	ds_read_b128 v[230:233], v16 offset:1248
	s_waitcnt lgkmcnt(6)
	v_mul_f64 v[6:7], v[210:211], v[92:93]
	v_fmac_f64_e32 v[6:7], v[212:213], v[94:95]
	s_waitcnt lgkmcnt(5)
	v_mul_f64 v[10:11], v[242:243], v[12:13]
	s_waitcnt lgkmcnt(4)
	v_mul_f64 v[14:15], v[238:239], v[122:123]
	v_fmac_f64_e32 v[10:11], v[244:245], v[18:19]
	v_fmac_f64_e32 v[14:15], v[240:241], v[124:125]
	s_waitcnt lgkmcnt(3)
	v_mul_f64 v[124:125], v[226:227], v[116:117]
	s_waitcnt lgkmcnt(1)
	v_mul_f64 v[18:19], v[234:235], v[20:21]
	v_fmac_f64_e32 v[124:125], v[228:229], v[118:119]
	ds_read_b128 v[116:119], v16 offset:1296
	v_fmac_f64_e32 v[18:19], v[236:237], v[22:23]
	s_waitcnt lgkmcnt(1)
	v_mul_f64 v[22:23], v[230:231], v[174:175]
	v_fmac_f64_e32 v[22:23], v[232:233], v[176:177]
	v_accvgpr_write_b32 a177, v129
	v_accvgpr_write_b32 a176, v128
	v_mul_f64 v[92:93], v[212:213], v[92:93]
	s_waitcnt vmcnt(14)
	v_pk_mov_b32 v[220:221], v[2:3], v[2:3] op_sel:[0,1]
	v_mul_f64 v[2:3], v[154:155], v[44:45]
	v_fmac_f64_e32 v[2:3], v[156:157], v[62:63]
	v_add_f64 v[0:1], v[0:1], v[2:3]
	v_mul_f64 v[2:3], v[158:159], v[68:69]
	v_fmac_f64_e32 v[2:3], v[160:161], v[70:71]
	v_add_f64 v[0:1], v[0:1], v[2:3]
	;; [unrolled: 3-line block ×13, first 2 shown]
	v_add_f64 v[8:9], v[4:5], v[6:7]
	v_add_f64 v[12:13], v[8:9], v[10:11]
	;; [unrolled: 1-line block ×5, first 2 shown]
	v_mul_f64 v[30:31], v[222:223], v[220:221]
	v_add_f64 v[28:29], v[122:123], v[124:125]
	s_waitcnt vmcnt(12)
	v_fmac_f64_e32 v[30:31], v[224:225], v[24:25]
	v_add_f64 v[28:29], v[28:29], v[30:31]
	s_waitcnt lgkmcnt(0)
	v_mul_f64 v[30:31], v[116:117], v[126:127]
	v_fmac_f64_e32 v[30:31], v[118:119], v[128:129]
	v_add_f64 v[174:175], v[28:29], v[30:31]
	ds_read_b128 v[28:31], v16 offset:1312
	v_accvgpr_write_b32 a178, v220
	buffer_load_dword v127, off, s[0:3], 0 offset:556
	buffer_load_dword v126, off, s[0:3], 0 offset:552
	;; [unrolled: 1-line block ×5, first 2 shown]
	v_accvgpr_write_b32 a179, v221
	v_fma_f64 v[220:221], v[112:113], v[34:35], -v[36:37]
	v_fma_f64 v[20:21], v[130:131], v[60:61], -v[32:33]
	buffer_load_dword v124, off, s[0:3], 0 offset:576
	buffer_load_dword v131, off, s[0:3], 0 offset:572
	;; [unrolled: 1-line block ×7, first 2 shown]
	ds_read_b128 v[32:35], v16 offset:1328
	v_accvgpr_write_b32 a181, v25
	v_mul_f64 v[2:3], v[136:137], v[42:43]
	v_mul_f64 v[36:37], v[140:141], v[38:39]
	v_accvgpr_write_b32 a180, v24
	v_fma_f64 v[24:25], v[134:135], v[58:59], -v[2:3]
	v_fma_f64 v[58:59], v[138:139], v[40:41], -v[36:37]
	ds_read_b128 v[36:39], v16 offset:1344
	s_waitcnt vmcnt(22) lgkmcnt(2)
	v_mul_f64 v[42:43], v[28:29], v[248:249]
	s_waitcnt vmcnt(20)
	v_fmac_f64_e32 v[42:43], v[30:31], v[250:251]
	v_add_f64 v[40:41], v[174:175], v[42:43]
	s_waitcnt vmcnt(18) lgkmcnt(1)
	v_mul_f64 v[42:43], v[32:33], v[252:253]
	s_waitcnt vmcnt(16)
	v_fmac_f64_e32 v[42:43], v[34:35], v[246:247]
	v_add_f64 v[40:41], v[40:41], v[42:43]
	;; [unrolled: 5-line block ×3, first 2 shown]
	ds_read_b128 v[40:43], v16 offset:1360
	buffer_load_dword v135, off, s[0:3], 0 offset:604
	buffer_load_dword v134, off, s[0:3], 0 offset:600
	;; [unrolled: 1-line block ×8, first 2 shown]
	v_fma_f64 v[112:113], v[146:147], v[50:51], -v[48:49]
	buffer_load_dword v139, off, s[0:3], 0 offset:652
	buffer_load_dword v147, off, s[0:3], 0 offset:636
	;; [unrolled: 1-line block ×8, first 2 shown]
	v_mul_f64 v[44:45], v[156:157], v[44:45]
	v_fma_f64 v[12:13], v[154:155], v[62:63], -v[44:45]
	buffer_load_dword v144, off, s[0:3], 0 offset:680
	buffer_load_dword v155, off, s[0:3], 0 offset:668
	;; [unrolled: 1-line block ×8, first 2 shown]
	v_mul_f64 v[6:7], v[160:161], v[68:69]
	v_fma_f64 v[8:9], v[158:159], v[70:71], -v[6:7]
	buffer_load_dword v159, off, s[0:3], 0 offset:700
	buffer_load_dword v158, off, s[0:3], 0 offset:696
	;; [unrolled: 1-line block ×4, first 2 shown]
	v_mul_f64 v[10:11], v[168:169], v[98:99]
	v_mul_f64 v[44:45], v[164:165], v[64:65]
	v_fma_f64 v[10:11], v[166:167], v[100:101], -v[10:11]
	buffer_load_dword v165, off, s[0:3], 0 offset:716
	buffer_load_dword v164, off, s[0:3], 0 offset:712
	;; [unrolled: 1-line block ×4, first 2 shown]
	v_fma_f64 v[6:7], v[162:163], v[66:67], -v[44:45]
	v_mul_f64 v[44:45], v[172:173], v[88:89]
	v_fma_f64 v[4:5], v[170:171], v[76:77], -v[44:45]
	buffer_load_dword v163, off, s[0:3], 0 offset:748
	buffer_load_dword v169, off, s[0:3], 0 offset:732
	;; [unrolled: 1-line block ×12, first 2 shown]
	v_mul_f64 v[14:15], v[180:181], v[214:215]
	ds_read_b128 v[44:47], v16 offset:1376
	v_fma_f64 v[14:15], v[178:179], v[216:217], -v[14:15]
	buffer_load_dword v178, off, s[0:3], 0 offset:776
	buffer_load_dword v180, off, s[0:3], 0 offset:768
	;; [unrolled: 1-line block ×4, first 2 shown]
	v_mul_f64 v[48:49], v[184:185], v[72:73]
	v_fma_f64 v[2:3], v[182:183], v[108:109], -v[48:49]
	ds_read_b128 v[48:51], v16 offset:1392
	ds_read_b128 v[214:217], v16 offset:1424
	v_mul_f64 v[80:81], v[204:205], v[80:81]
	ds_read_b128 v[64:67], v16 offset:1456
	v_fma_f64 v[202:203], v[202:203], v[82:83], -v[80:81]
	v_mul_f64 v[84:85], v[208:209], v[84:85]
	v_fma_f64 v[204:205], v[206:207], v[86:87], -v[84:85]
	v_fma_f64 v[206:207], v[210:211], v[94:95], -v[92:93]
	ds_read_b128 v[68:71], v16 offset:1472
	ds_read_b128 v[80:83], v16 offset:1520
	;; [unrolled: 1-line block ×4, first 2 shown]
	s_waitcnt vmcnt(58) lgkmcnt(8)
	v_mul_f64 v[52:53], v[40:41], v[126:127]
	s_waitcnt vmcnt(56)
	v_fmac_f64_e32 v[52:53], v[42:43], v[128:129]
	v_add_f64 v[18:19], v[60:61], v[52:53]
	s_waitcnt vmcnt(52) lgkmcnt(7)
	v_mul_f64 v[52:53], v[44:45], v[130:131]
	s_waitcnt vmcnt(50)
	v_fmac_f64_e32 v[52:53], v[46:47], v[132:133]
	v_add_f64 v[18:19], v[18:19], v[52:53]
	;; [unrolled: 5-line block ×3, first 2 shown]
	ds_read_b128 v[52:55], v16 offset:1408
	v_mul_f64 v[60:61], v[188:189], v[106:107]
	v_fma_f64 v[182:183], v[186:187], v[110:111], -v[60:61]
	s_waitcnt vmcnt(46) lgkmcnt(0)
	v_mul_f64 v[60:61], v[52:53], v[134:135]
	s_waitcnt vmcnt(42)
	v_mul_f64 v[22:23], v[214:215], v[140:141]
	v_fmac_f64_e32 v[60:61], v[54:55], v[136:137]
	v_add_f64 v[18:19], v[18:19], v[60:61]
	v_mul_f64 v[60:61], v[192:193], v[90:91]
	v_fma_f64 v[0:1], v[190:191], v[96:97], -v[60:61]
	ds_read_b128 v[60:63], v16 offset:1440
	s_waitcnt vmcnt(40)
	v_fmac_f64_e32 v[22:23], v[216:217], v[142:143]
	v_add_f64 v[18:19], v[18:19], v[22:23]
	s_waitcnt vmcnt(34)
	v_mul_f64 v[76:77], v[64:65], v[138:139]
	s_waitcnt vmcnt(32)
	v_fmac_f64_e32 v[76:77], v[66:67], v[148:149]
	s_waitcnt lgkmcnt(0)
	v_mul_f64 v[72:73], v[60:61], v[146:147]
	v_fmac_f64_e32 v[72:73], v[62:63], v[150:151]
	v_add_f64 v[18:19], v[18:19], v[72:73]
	v_mul_f64 v[72:73], v[200:201], v[74:75]
	v_fma_f64 v[200:201], v[198:199], v[78:79], -v[72:73]
	ds_read_b128 v[72:75], v16 offset:1488
	v_add_f64 v[18:19], v[18:19], v[76:77]
	s_waitcnt vmcnt(29)
	v_mul_f64 v[76:77], v[68:69], v[154:155]
	s_waitcnt vmcnt(27)
	v_fmac_f64_e32 v[76:77], v[70:71], v[156:157]
	v_add_f64 v[18:19], v[18:19], v[76:77]
	s_waitcnt vmcnt(25) lgkmcnt(0)
	v_mul_f64 v[76:77], v[72:73], v[144:145]
	s_waitcnt vmcnt(24)
	v_fmac_f64_e32 v[76:77], v[74:75], v[152:153]
	v_add_f64 v[18:19], v[18:19], v[76:77]
	ds_read_b128 v[76:79], v16 offset:1504
	s_waitcnt vmcnt(13)
	v_mul_f64 v[96:97], v[84:85], v[168:169]
	s_waitcnt vmcnt(11)
	v_fmac_f64_e32 v[96:97], v[86:87], v[174:175]
	v_mul_f64 v[22:23], v[196:197], v[102:103]
	v_fma_f64 v[22:23], v[194:195], v[104:105], -v[22:23]
	s_waitcnt lgkmcnt(0)
	v_mul_f64 v[88:89], v[76:77], v[158:159]
	v_fmac_f64_e32 v[88:89], v[78:79], v[160:161]
	v_add_f64 v[18:19], v[18:19], v[88:89]
	v_mul_f64 v[88:89], v[80:81], v[164:165]
	v_fmac_f64_e32 v[88:89], v[82:83], v[166:167]
	v_add_f64 v[18:19], v[18:19], v[88:89]
	ds_read_b128 v[88:91], v16 offset:1552
	v_add_f64 v[18:19], v[18:19], v[96:97]
	s_waitcnt vmcnt(10) lgkmcnt(0)
	v_mul_f64 v[96:97], v[88:89], v[162:163]
	s_waitcnt vmcnt(8)
	v_fmac_f64_e32 v[96:97], v[90:91], v[172:173]
	v_add_f64 v[18:19], v[18:19], v[96:97]
	s_waitcnt vmcnt(6)
	v_mul_f64 v[96:97], v[92:93], v[170:171]
	s_waitcnt vmcnt(4)
	v_fmac_f64_e32 v[96:97], v[94:95], v[176:177]
	v_add_f64 v[18:19], v[18:19], v[96:97]
	ds_read_b128 v[96:99], v16 offset:1584
	s_waitcnt vmcnt(1) lgkmcnt(0)
	v_mul_f64 v[100:101], v[96:97], v[178:179]
	s_waitcnt vmcnt(0)
	v_fmac_f64_e32 v[100:101], v[98:99], v[180:181]
	v_add_f64 v[104:105], v[18:19], v[100:101]
	buffer_load_dword v19, off, s[0:3], 0 offset:796
	buffer_load_dword v18, off, s[0:3], 0 offset:792
	;; [unrolled: 1-line block ×4, first 2 shown]
	ds_read_b128 v[100:103], v16 offset:1600
	buffer_load_dword v186, off, s[0:3], 0 offset:808
	buffer_load_dword v187, off, s[0:3], 0 offset:812
	;; [unrolled: 1-line block ×4, first 2 shown]
	s_waitcnt vmcnt(6) lgkmcnt(0)
	v_mul_f64 v[106:107], v[100:101], v[18:19]
	s_waitcnt vmcnt(4)
	v_fmac_f64_e32 v[106:107], v[102:103], v[184:185]
	v_add_f64 v[108:109], v[104:105], v[106:107]
	ds_read_b128 v[104:107], v16 offset:1616
	buffer_load_dword v191, off, s[0:3], 0 offset:828
	buffer_load_dword v190, off, s[0:3], 0 offset:824
	;; [unrolled: 1-line block ×4, first 2 shown]
	s_waitcnt vmcnt(6) lgkmcnt(0)
	v_mul_f64 v[110:111], v[104:105], v[186:187]
	s_waitcnt vmcnt(4)
	v_fmac_f64_e32 v[110:111], v[106:107], v[188:189]
	v_add_f64 v[194:195], v[108:109], v[110:111]
	ds_read_b128 v[108:111], v16 offset:1632
	s_waitcnt vmcnt(2) lgkmcnt(0)
	v_mul_f64 v[196:197], v[108:109], v[190:191]
	s_waitcnt vmcnt(0)
	v_fmac_f64_e32 v[196:197], v[110:111], v[192:193]
	v_add_f64 v[194:195], v[194:195], v[196:197]
	buffer_load_dword v196, off, s[0:3], 0 offset:840
	buffer_load_dword v197, off, s[0:3], 0 offset:844
	;; [unrolled: 1-line block ×4, first 2 shown]
	ds_read_b128 v[210:213], v16 offset:1648
	s_waitcnt vmcnt(2) lgkmcnt(0)
	v_mul_f64 v[208:209], v[210:211], v[196:197]
	s_waitcnt vmcnt(0)
	v_fmac_f64_e32 v[208:209], v[212:213], v[198:199]
	v_add_f64 v[194:195], v[194:195], v[208:209]
	v_add_f64 v[208:209], v[218:219], 0
	v_add_f64 v[208:209], v[208:209], v[220:221]
	v_add_f64 v[20:21], v[208:209], v[20:21]
	v_add_f64 v[16:17], v[20:21], v[24:25]
	v_add_f64 v[16:17], v[16:17], v[58:59]
	v_add_f64 v[16:17], v[16:17], v[56:57]
	v_add_f64 v[16:17], v[16:17], v[112:113]
	v_add_f64 v[16:17], v[16:17], v[114:115]
	v_add_f64 v[12:13], v[16:17], v[12:13]
	v_add_f64 v[8:9], v[12:13], v[8:9]
	v_add_f64 v[6:7], v[8:9], v[6:7]
	v_add_f64 v[6:7], v[6:7], v[10:11]
	v_add_f64 v[4:5], v[6:7], v[4:5]
	v_add_f64 v[4:5], v[4:5], v[14:15]
	v_add_f64 v[2:3], v[4:5], v[2:3]
	v_add_f64 v[2:3], v[2:3], v[182:183]
	v_add_f64 v[0:1], v[2:3], v[0:1]
	v_add_f64 v[0:1], v[0:1], v[22:23]
	v_add_f64 v[2:3], v[0:1], v[200:201]
	buffer_load_dword v0, off, s[0:3], 0 offset:16
	buffer_load_dword v1, off, s[0:3], 0 offset:20
	buffer_load_dword v200, off, s[0:3], 0 offset:24
	buffer_load_dword v201, off, s[0:3], 0 offset:28
	v_accvgpr_read_b32 v4, a156
	v_add_f64 v[208:209], v[2:3], v[202:203]
	v_accvgpr_read_b32 v5, a157
	v_accvgpr_read_b32 v6, a158
	v_add_f64 v[2:3], v[208:209], v[204:205]
	v_mul_f64 v[4:5], v[244:245], v[4:5]
	v_accvgpr_read_b32 v7, a159
	v_add_f64 v[2:3], v[2:3], v[206:207]
	v_fma_f64 v[4:5], v[242:243], v[6:7], -v[4:5]
	v_add_f64 v[2:3], v[2:3], v[4:5]
	v_accvgpr_read_b32 v4, a160
	v_accvgpr_read_b32 v5, a161
	v_accvgpr_read_b32 v6, a162
	v_mul_f64 v[4:5], v[240:241], v[4:5]
	v_accvgpr_read_b32 v7, a163
	v_fma_f64 v[4:5], v[238:239], v[6:7], -v[4:5]
	v_add_f64 v[2:3], v[2:3], v[4:5]
	v_accvgpr_read_b32 v4, a164
	v_accvgpr_read_b32 v5, a165
	v_accvgpr_read_b32 v6, a166
	v_mul_f64 v[4:5], v[236:237], v[4:5]
	v_accvgpr_read_b32 v7, a167
	;; [unrolled: 7-line block ×5, first 2 shown]
	v_fma_f64 v[4:5], v[222:223], v[6:7], -v[4:5]
	v_accvgpr_read_b32 v6, a176
	v_add_f64 v[2:3], v[2:3], v[4:5]
	v_mul_f64 v[4:5], v[118:119], v[26:27]
	v_accvgpr_read_b32 v7, a177
	v_fma_f64 v[4:5], v[116:117], v[6:7], -v[4:5]
	v_add_f64 v[2:3], v[2:3], v[4:5]
	v_mul_f64 v[4:5], v[30:31], v[248:249]
	v_fma_f64 v[4:5], v[28:29], v[250:251], -v[4:5]
	v_add_f64 v[2:3], v[2:3], v[4:5]
	v_mul_f64 v[4:5], v[34:35], v[252:253]
	;; [unrolled: 3-line block ×22, first 2 shown]
	v_fma_f64 v[4:5], v[210:211], v[198:199], -v[4:5]
	v_add_f64 v[2:3], v[2:3], v[4:5]
	s_waitcnt vmcnt(2)
	v_add_f64 v[0:1], v[0:1], -v[2:3]
	s_waitcnt vmcnt(0)
	v_add_f64 v[2:3], v[200:201], -v[194:195]
	buffer_store_dword v1, off, s[0:3], 0 offset:20
	buffer_store_dword v0, off, s[0:3], 0 offset:16
	buffer_store_dword v3, off, s[0:3], 0 offset:28
	buffer_store_dword v2, off, s[0:3], 0 offset:24
	s_cbranch_vccz .LBB115_429
; %bb.326:
	v_pk_mov_b32 v[0:1], s[10:11], s[10:11] op_sel:[0,1]
	flat_load_dword v0, v[0:1] offset:200
	s_waitcnt vmcnt(0) lgkmcnt(0)
	v_add_u32_e32 v0, -1, v0
	v_cmp_ne_u32_e32 vcc, 50, v0
	s_and_saveexec_b64 s[4:5], vcc
	s_cbranch_execz .LBB115_328
; %bb.327:
	v_mov_b32_e32 v1, 16
	v_accvgpr_read_b32 v9, a105
	v_lshl_add_u32 v0, v0, 4, v1
	buffer_load_dword v1, v9, s[0:3], 0 offen offset:4
	buffer_load_dword v2, v9, s[0:3], 0 offen offset:8
	buffer_load_dword v3, v9, s[0:3], 0 offen offset:12
	buffer_load_dword v4, v0, s[0:3], 0 offen
	buffer_load_dword v5, v0, s[0:3], 0 offen offset:4
	buffer_load_dword v6, v0, s[0:3], 0 offen offset:8
	buffer_load_dword v7, v0, s[0:3], 0 offen offset:12
	buffer_load_dword v8, v9, s[0:3], 0 offen
	s_waitcnt vmcnt(4)
	buffer_store_dword v4, v9, s[0:3], 0 offen
	s_waitcnt vmcnt(4)
	buffer_store_dword v5, v9, s[0:3], 0 offen offset:4
	s_waitcnt vmcnt(4)
	buffer_store_dword v6, v9, s[0:3], 0 offen offset:8
	s_waitcnt vmcnt(4)
	buffer_store_dword v7, v9, s[0:3], 0 offen offset:12
	buffer_store_dword v3, v0, s[0:3], 0 offen offset:12
	buffer_store_dword v2, v0, s[0:3], 0 offen offset:8
	buffer_store_dword v1, v0, s[0:3], 0 offen offset:4
	s_waitcnt vmcnt(7)
	buffer_store_dword v8, v0, s[0:3], 0 offen
.LBB115_328:
	s_or_b64 exec, exec, s[4:5]
	v_pk_mov_b32 v[0:1], s[10:11], s[10:11] op_sel:[0,1]
	flat_load_dword v0, v[0:1] offset:196
	s_waitcnt vmcnt(0) lgkmcnt(0)
	v_add_u32_e32 v0, -1, v0
	v_cmp_ne_u32_e32 vcc, 49, v0
	s_and_saveexec_b64 s[4:5], vcc
	s_cbranch_execz .LBB115_330
; %bb.329:
	v_mov_b32_e32 v1, 16
	v_accvgpr_read_b32 v9, a106
	v_lshl_add_u32 v0, v0, 4, v1
	buffer_load_dword v1, v9, s[0:3], 0 offen offset:4
	buffer_load_dword v2, v9, s[0:3], 0 offen offset:8
	buffer_load_dword v3, v9, s[0:3], 0 offen offset:12
	buffer_load_dword v4, v0, s[0:3], 0 offen
	buffer_load_dword v5, v0, s[0:3], 0 offen offset:4
	buffer_load_dword v6, v0, s[0:3], 0 offen offset:8
	buffer_load_dword v7, v0, s[0:3], 0 offen offset:12
	buffer_load_dword v8, v9, s[0:3], 0 offen
	s_waitcnt vmcnt(4)
	buffer_store_dword v4, v9, s[0:3], 0 offen
	s_waitcnt vmcnt(4)
	buffer_store_dword v5, v9, s[0:3], 0 offen offset:4
	s_waitcnt vmcnt(4)
	buffer_store_dword v6, v9, s[0:3], 0 offen offset:8
	s_waitcnt vmcnt(4)
	buffer_store_dword v7, v9, s[0:3], 0 offen offset:12
	buffer_store_dword v3, v0, s[0:3], 0 offen offset:12
	buffer_store_dword v2, v0, s[0:3], 0 offen offset:8
	buffer_store_dword v1, v0, s[0:3], 0 offen offset:4
	s_waitcnt vmcnt(7)
	buffer_store_dword v8, v0, s[0:3], 0 offen
.LBB115_330:
	s_or_b64 exec, exec, s[4:5]
	;; [unrolled: 34-line block ×50, first 2 shown]
	v_pk_mov_b32 v[0:1], s[10:11], s[10:11] op_sel:[0,1]
	flat_load_dword v0, v[0:1]
	s_waitcnt vmcnt(0) lgkmcnt(0)
	v_add_u32_e32 v0, -1, v0
	v_cmp_ne_u32_e32 vcc, 0, v0
	s_and_saveexec_b64 s[4:5], vcc
	s_cbranch_execz .LBB115_428
; %bb.427:
	v_mov_b32_e32 v1, 16
	v_lshl_add_u32 v0, v0, 4, v1
	buffer_load_dword v1, v0, s[0:3], 0 offen
	buffer_load_dword v2, v0, s[0:3], 0 offen offset:4
	buffer_load_dword v3, v0, s[0:3], 0 offen offset:8
	;; [unrolled: 1-line block ×3, first 2 shown]
	buffer_load_dword v5, off, s[0:3], 0 offset:28
	buffer_load_dword v6, off, s[0:3], 0 offset:24
	;; [unrolled: 1-line block ×4, first 2 shown]
	s_waitcnt vmcnt(7)
	buffer_store_dword v1, off, s[0:3], 0 offset:16
	s_waitcnt vmcnt(7)
	buffer_store_dword v2, off, s[0:3], 0 offset:20
	;; [unrolled: 2-line block ×4, first 2 shown]
	s_waitcnt vmcnt(7)
	buffer_store_dword v5, v0, s[0:3], 0 offen offset:12
	s_waitcnt vmcnt(7)
	buffer_store_dword v6, v0, s[0:3], 0 offen offset:8
	;; [unrolled: 2-line block ×3, first 2 shown]
	s_waitcnt vmcnt(7)
	buffer_store_dword v8, v0, s[0:3], 0 offen
.LBB115_428:
	s_or_b64 exec, exec, s[4:5]
.LBB115_429:
	buffer_load_dword v0, off, s[0:3], 0 offset:16
	buffer_load_dword v1, off, s[0:3], 0 offset:20
	;; [unrolled: 1-line block ×4, first 2 shown]
	v_accvgpr_read_b32 v4, a92
	v_accvgpr_read_b32 v5, a93
	s_waitcnt vmcnt(0)
	global_store_dwordx4 v[4:5], v[0:3], off
	s_nop 0
	v_accvgpr_read_b32 v3, a154
	buffer_load_dword v0, v3, s[0:3], 0 offen
	buffer_load_dword v1, v3, s[0:3], 0 offen offset:4
	buffer_load_dword v2, v3, s[0:3], 0 offen offset:8
	s_nop 0
	buffer_load_dword v3, v3, s[0:3], 0 offen offset:12
	v_accvgpr_read_b32 v4, a88
	v_accvgpr_read_b32 v5, a89
	s_waitcnt vmcnt(0)
	global_store_dwordx4 v[4:5], v[0:3], off
	s_nop 0
	v_accvgpr_read_b32 v3, a153
	buffer_load_dword v0, v3, s[0:3], 0 offen
	buffer_load_dword v1, v3, s[0:3], 0 offen offset:4
	buffer_load_dword v2, v3, s[0:3], 0 offen offset:8
	s_nop 0
	buffer_load_dword v3, v3, s[0:3], 0 offen offset:12
	;; [unrolled: 11-line block ×10, first 2 shown]
	v_accvgpr_read_b32 v4, a34
	v_accvgpr_read_b32 v5, a35
	s_waitcnt vmcnt(0)
	global_store_dwordx4 v[4:5], v[0:3], off
	v_accvgpr_read_b32 v4, a144
	buffer_load_dword v0, v4, s[0:3], 0 offen
	buffer_load_dword v1, v4, s[0:3], 0 offen offset:4
	buffer_load_dword v2, v4, s[0:3], 0 offen offset:8
	buffer_load_dword v3, v4, s[0:3], 0 offen offset:12
	v_accvgpr_read_b32 v4, a102
	v_accvgpr_read_b32 v5, a103
	s_waitcnt vmcnt(0)
	global_store_dwordx4 v[4:5], v[0:3], off
	v_accvgpr_read_b32 v4, a143
	buffer_load_dword v0, v4, s[0:3], 0 offen
	buffer_load_dword v1, v4, s[0:3], 0 offen offset:4
	buffer_load_dword v2, v4, s[0:3], 0 offen offset:8
	buffer_load_dword v3, v4, s[0:3], 0 offen offset:12
	;; [unrolled: 9-line block ×41, first 2 shown]
	v_accvgpr_read_b32 v5, a1
	v_accvgpr_read_b32 v4, a0
	s_waitcnt vmcnt(0)
	global_store_dwordx4 v[4:5], v[0:3], off
	s_endpgm
	.section	.rodata,"a",@progbits
	.p2align	6, 0x0
	.amdhsa_kernel _ZN9rocsolver6v33100L18getri_kernel_smallILi52E19rocblas_complex_numIdEPKPS3_EEvT1_iilPiilS8_bb
		.amdhsa_group_segment_fixed_size 1672
		.amdhsa_private_segment_fixed_size 864
		.amdhsa_kernarg_size 60
		.amdhsa_user_sgpr_count 8
		.amdhsa_user_sgpr_private_segment_buffer 1
		.amdhsa_user_sgpr_dispatch_ptr 0
		.amdhsa_user_sgpr_queue_ptr 0
		.amdhsa_user_sgpr_kernarg_segment_ptr 1
		.amdhsa_user_sgpr_dispatch_id 0
		.amdhsa_user_sgpr_flat_scratch_init 1
		.amdhsa_user_sgpr_kernarg_preload_length 0
		.amdhsa_user_sgpr_kernarg_preload_offset 0
		.amdhsa_user_sgpr_private_segment_size 0
		.amdhsa_uses_dynamic_stack 0
		.amdhsa_system_sgpr_private_segment_wavefront_offset 1
		.amdhsa_system_sgpr_workgroup_id_x 1
		.amdhsa_system_sgpr_workgroup_id_y 0
		.amdhsa_system_sgpr_workgroup_id_z 0
		.amdhsa_system_sgpr_workgroup_info 0
		.amdhsa_system_vgpr_workitem_id 0
		.amdhsa_next_free_vgpr 438
		.amdhsa_next_free_sgpr 22
		.amdhsa_accum_offset 256
		.amdhsa_reserve_vcc 1
		.amdhsa_reserve_flat_scratch 1
		.amdhsa_float_round_mode_32 0
		.amdhsa_float_round_mode_16_64 0
		.amdhsa_float_denorm_mode_32 3
		.amdhsa_float_denorm_mode_16_64 3
		.amdhsa_dx10_clamp 1
		.amdhsa_ieee_mode 1
		.amdhsa_fp16_overflow 0
		.amdhsa_tg_split 0
		.amdhsa_exception_fp_ieee_invalid_op 0
		.amdhsa_exception_fp_denorm_src 0
		.amdhsa_exception_fp_ieee_div_zero 0
		.amdhsa_exception_fp_ieee_overflow 0
		.amdhsa_exception_fp_ieee_underflow 0
		.amdhsa_exception_fp_ieee_inexact 0
		.amdhsa_exception_int_div_zero 0
	.end_amdhsa_kernel
	.section	.text._ZN9rocsolver6v33100L18getri_kernel_smallILi52E19rocblas_complex_numIdEPKPS3_EEvT1_iilPiilS8_bb,"axG",@progbits,_ZN9rocsolver6v33100L18getri_kernel_smallILi52E19rocblas_complex_numIdEPKPS3_EEvT1_iilPiilS8_bb,comdat
.Lfunc_end115:
	.size	_ZN9rocsolver6v33100L18getri_kernel_smallILi52E19rocblas_complex_numIdEPKPS3_EEvT1_iilPiilS8_bb, .Lfunc_end115-_ZN9rocsolver6v33100L18getri_kernel_smallILi52E19rocblas_complex_numIdEPKPS3_EEvT1_iilPiilS8_bb
                                        ; -- End function
	.section	.AMDGPU.csdata,"",@progbits
; Kernel info:
; codeLenInByte = 170456
; NumSgprs: 28
; NumVgprs: 256
; NumAgprs: 182
; TotalNumVgprs: 438
; ScratchSize: 864
; MemoryBound: 0
; FloatMode: 240
; IeeeMode: 1
; LDSByteSize: 1672 bytes/workgroup (compile time only)
; SGPRBlocks: 3
; VGPRBlocks: 54
; NumSGPRsForWavesPerEU: 28
; NumVGPRsForWavesPerEU: 438
; AccumOffset: 256
; Occupancy: 1
; WaveLimiterHint : 1
; COMPUTE_PGM_RSRC2:SCRATCH_EN: 1
; COMPUTE_PGM_RSRC2:USER_SGPR: 8
; COMPUTE_PGM_RSRC2:TRAP_HANDLER: 0
; COMPUTE_PGM_RSRC2:TGID_X_EN: 1
; COMPUTE_PGM_RSRC2:TGID_Y_EN: 0
; COMPUTE_PGM_RSRC2:TGID_Z_EN: 0
; COMPUTE_PGM_RSRC2:TIDIG_COMP_CNT: 0
; COMPUTE_PGM_RSRC3_GFX90A:ACCUM_OFFSET: 63
; COMPUTE_PGM_RSRC3_GFX90A:TG_SPLIT: 0
	.section	.text._ZN9rocsolver6v33100L18getri_kernel_smallILi53E19rocblas_complex_numIdEPKPS3_EEvT1_iilPiilS8_bb,"axG",@progbits,_ZN9rocsolver6v33100L18getri_kernel_smallILi53E19rocblas_complex_numIdEPKPS3_EEvT1_iilPiilS8_bb,comdat
	.globl	_ZN9rocsolver6v33100L18getri_kernel_smallILi53E19rocblas_complex_numIdEPKPS3_EEvT1_iilPiilS8_bb ; -- Begin function _ZN9rocsolver6v33100L18getri_kernel_smallILi53E19rocblas_complex_numIdEPKPS3_EEvT1_iilPiilS8_bb
	.p2align	8
	.type	_ZN9rocsolver6v33100L18getri_kernel_smallILi53E19rocblas_complex_numIdEPKPS3_EEvT1_iilPiilS8_bb,@function
_ZN9rocsolver6v33100L18getri_kernel_smallILi53E19rocblas_complex_numIdEPKPS3_EEvT1_iilPiilS8_bb: ; @_ZN9rocsolver6v33100L18getri_kernel_smallILi53E19rocblas_complex_numIdEPKPS3_EEvT1_iilPiilS8_bb
; %bb.0:
	s_add_u32 flat_scratch_lo, s6, s9
	s_addc_u32 flat_scratch_hi, s7, 0
	s_add_u32 s0, s0, s9
	v_mov_b32_e32 v255, v0
	s_addc_u32 s1, s1, 0
	v_cmp_gt_u32_e32 vcc, 53, v255
	s_and_saveexec_b64 s[6:7], vcc
	s_cbranch_execz .LBB116_226
; %bb.1:
	s_load_dword s18, s[4:5], 0x38
	s_load_dwordx2 s[6:7], s[4:5], 0x0
	s_load_dwordx4 s[12:15], s[4:5], 0x28
	s_waitcnt lgkmcnt(0)
	s_bitcmp1_b32 s18, 8
	s_cselect_b64 s[16:17], -1, 0
	s_ashr_i32 s9, s8, 31
	s_lshl_b64 s[10:11], s[8:9], 3
	s_add_u32 s6, s6, s10
	s_addc_u32 s7, s7, s11
	s_load_dwordx2 s[6:7], s[6:7], 0x0
	s_bfe_u32 s10, s18, 0x10008
	s_cmp_eq_u32 s10, 0
                                        ; implicit-def: $sgpr10_sgpr11
	s_cbranch_scc1 .LBB116_3
; %bb.2:
	s_load_dword s10, s[4:5], 0x20
	s_load_dwordx2 s[20:21], s[4:5], 0x18
	s_mul_i32 s11, s8, s13
	s_mul_hi_u32 s13, s8, s12
	s_add_i32 s13, s13, s11
	s_mul_i32 s19, s9, s12
	s_add_i32 s13, s13, s19
	s_mul_i32 s12, s8, s12
	s_waitcnt lgkmcnt(0)
	s_ashr_i32 s11, s10, 31
	s_lshl_b64 s[12:13], s[12:13], 2
	s_add_u32 s12, s20, s12
	s_addc_u32 s13, s21, s13
	s_lshl_b64 s[10:11], s[10:11], 2
	s_add_u32 s10, s12, s10
	s_addc_u32 s11, s13, s11
.LBB116_3:
	s_load_dwordx2 s[4:5], s[4:5], 0x8
	v_lshlrev_b32_e32 v1, 4, v255
	s_waitcnt lgkmcnt(0)
	s_ashr_i32 s13, s4, 31
	s_mov_b32 s12, s4
	s_lshl_b64 s[12:13], s[12:13], 4
	s_add_u32 s6, s6, s12
	s_addc_u32 s7, s7, s13
	v_mov_b32_e32 v0, s7
	v_add_co_u32_e32 v6, vcc, s6, v1
	s_ashr_i32 s13, s5, 31
	s_mov_b32 s12, s5
	v_addc_co_u32_e32 v7, vcc, 0, v0, vcc
	s_lshl_b64 s[12:13], s[12:13], 4
	v_accvgpr_write_b32 a0, v6
	s_add_i32 s4, s5, s5
	v_mov_b32_e32 v0, s13
	v_add_co_u32_e32 v10, vcc, s12, v6
	v_accvgpr_write_b32 a1, v7
	v_add_u32_e32 v6, s4, v255
	v_addc_co_u32_e32 v11, vcc, v7, v0, vcc
	v_ashrrev_i32_e32 v7, 31, v6
	v_lshlrev_b64 v[8:9], 4, v[6:7]
	v_mov_b32_e32 v0, s7
	v_add_co_u32_e32 v8, vcc, s6, v8
	v_add_u32_e32 v6, s5, v6
	global_load_dwordx4 v[2:5], v1, s[6:7]
	v_addc_co_u32_e32 v9, vcc, v0, v9, vcc
	v_accvgpr_write_b32 a2, v10
	v_accvgpr_write_b32 a4, v8
	v_ashrrev_i32_e32 v7, 31, v6
	v_accvgpr_write_b32 a3, v11
	global_load_dwordx4 v[10:13], v[10:11], off
	v_accvgpr_write_b32 a5, v9
	global_load_dwordx4 v[14:17], v[8:9], off
	v_lshlrev_b64 v[8:9], 4, v[6:7]
	v_add_u32_e32 v6, s5, v6
	v_add_co_u32_e32 v18, vcc, s6, v8
	v_ashrrev_i32_e32 v7, 31, v6
	v_addc_co_u32_e32 v19, vcc, v0, v9, vcc
	v_add_u32_e32 v8, s5, v6
	v_lshlrev_b64 v[6:7], 4, v[6:7]
	v_ashrrev_i32_e32 v9, 31, v8
	v_add_co_u32_e32 v22, vcc, s6, v6
	v_add_u32_e32 v26, s5, v8
	v_addc_co_u32_e32 v23, vcc, v0, v7, vcc
	v_lshlrev_b64 v[6:7], 4, v[8:9]
	v_mov_b32_e32 v28, s7
	v_ashrrev_i32_e32 v27, 31, v26
	v_add_co_u32_e32 v30, vcc, s6, v6
	v_add_u32_e32 v8, s5, v26
	v_addc_co_u32_e32 v31, vcc, v28, v7, vcc
	v_lshlrev_b64 v[6:7], 4, v[26:27]
	v_mov_b32_e32 v29, s7
	;; [unrolled: 6-line block ×3, first 2 shown]
	v_ashrrev_i32_e32 v43, 31, v42
	v_add_co_u32_e32 v8, vcc, s6, v6
	v_addc_co_u32_e32 v9, vcc, v34, v7, vcc
	v_lshlrev_b64 v[6:7], 4, v[42:43]
	v_add_co_u32_e32 v6, vcc, s6, v6
	v_accvgpr_write_b32 a6, v18
	v_addc_co_u32_e32 v7, vcc, v0, v7, vcc
	v_accvgpr_write_b32 a7, v19
	global_load_dwordx4 v[18:21], v[18:19], off
	v_accvgpr_write_b32 a15, v7
	global_load_dwordx4 v[34:37], v[8:9], off
	;; [unrolled: 2-line block ×3, first 2 shown]
	v_add_u32_e32 v6, s5, v42
	v_accvgpr_write_b32 a8, v8
	v_ashrrev_i32_e32 v7, 31, v6
	v_accvgpr_write_b32 a18, v22
	v_accvgpr_write_b32 a9, v9
	v_lshlrev_b64 v[8:9], 4, v[6:7]
	v_add_u32_e32 v6, s5, v6
	v_accvgpr_write_b32 a19, v23
	global_load_dwordx4 v[22:25], v[22:23], off
	v_add_co_u32_e32 v42, vcc, s6, v8
	v_ashrrev_i32_e32 v7, 31, v6
	v_addc_co_u32_e32 v43, vcc, v0, v9, vcc
	v_lshlrev_b64 v[8:9], 4, v[6:7]
	v_add_co_u32_e32 v8, vcc, s6, v8
	v_addc_co_u32_e32 v9, vcc, v0, v9, vcc
	global_load_dwordx4 v[46:49], v[8:9], off
	v_add_u32_e32 v6, s5, v6
	global_load_dwordx4 v[26:29], v[30:31], off
	v_accvgpr_write_b32 a21, v9
	v_ashrrev_i32_e32 v7, 31, v6
	v_accvgpr_write_b32 a20, v8
	v_lshlrev_b64 v[8:9], 4, v[6:7]
	v_add_co_u32_e32 v8, vcc, s6, v8
	v_accvgpr_write_b32 a10, v30
	v_accvgpr_write_b32 a12, v32
	v_addc_co_u32_e32 v9, vcc, v0, v9, vcc
	global_load_dwordx4 v[50:53], v[8:9], off
	v_accvgpr_write_b32 a11, v31
	v_accvgpr_write_b32 a13, v33
	global_load_dwordx4 v[30:33], v[32:33], off
	v_accvgpr_write_b32 a16, v42
	v_accvgpr_write_b32 a17, v43
	global_load_dwordx4 v[42:45], v[42:43], off
	s_waitcnt vmcnt(11)
	buffer_store_dword v5, off, s[0:3], 0 offset:28
	buffer_store_dword v4, off, s[0:3], 0 offset:24
	buffer_store_dword v3, off, s[0:3], 0 offset:20
	buffer_store_dword v2, off, s[0:3], 0 offset:16
	s_waitcnt vmcnt(14)
	buffer_store_dword v13, off, s[0:3], 0 offset:44
	v_add_u32_e32 v2, s5, v6
	v_ashrrev_i32_e32 v3, 31, v2
	v_lshlrev_b64 v[4:5], 4, v[2:3]
	v_add_co_u32_e32 v4, vcc, s6, v4
	v_addc_co_u32_e32 v5, vcc, v0, v5, vcc
	v_add_u32_e32 v2, s5, v2
	v_accvgpr_write_b32 a23, v9
	v_accvgpr_write_b32 a25, v5
	v_ashrrev_i32_e32 v3, 31, v2
	v_accvgpr_write_b32 a22, v8
	v_accvgpr_write_b32 a24, v4
	global_load_dwordx4 v[6:9], v[4:5], off
	v_lshlrev_b64 v[4:5], 4, v[2:3]
	buffer_store_dword v12, off, s[0:3], 0 offset:40
	buffer_store_dword v11, off, s[0:3], 0 offset:36
	buffer_store_dword v10, off, s[0:3], 0 offset:32
	s_waitcnt vmcnt(18)
	buffer_store_dword v17, off, s[0:3], 0 offset:60
	buffer_store_dword v16, off, s[0:3], 0 offset:56
	buffer_store_dword v15, off, s[0:3], 0 offset:52
	buffer_store_dword v14, off, s[0:3], 0 offset:48
	s_waitcnt vmcnt(21)
	buffer_store_dword v21, off, s[0:3], 0 offset:76
	;; [unrolled: 5-line block ×5, first 2 shown]
	buffer_store_dword v32, off, s[0:3], 0 offset:120
	buffer_store_dword v31, off, s[0:3], 0 offset:116
	;; [unrolled: 1-line block ×11, first 2 shown]
	s_waitcnt vmcnt(37)
	buffer_store_dword v42, off, s[0:3], 0 offset:160
	buffer_store_dword v43, off, s[0:3], 0 offset:164
	;; [unrolled: 1-line block ×12, first 2 shown]
	v_add_co_u32_e32 v10, vcc, s6, v4
	v_addc_co_u32_e32 v11, vcc, v0, v5, vcc
	v_add_u32_e32 v2, s5, v2
	v_ashrrev_i32_e32 v3, 31, v2
	v_accvgpr_write_b32 a27, v11
	v_lshlrev_b64 v[4:5], 4, v[2:3]
	v_accvgpr_write_b32 a26, v10
	global_load_dwordx4 v[10:13], v[10:11], off
	v_add_co_u32_e32 v4, vcc, s6, v4
	v_addc_co_u32_e32 v5, vcc, v0, v5, vcc
	v_add_u32_e32 v2, s5, v2
	v_accvgpr_write_b32 a29, v5
	v_ashrrev_i32_e32 v3, 31, v2
	v_accvgpr_write_b32 a28, v4
	global_load_dwordx4 v[14:17], v[4:5], off
	v_lshlrev_b64 v[4:5], 4, v[2:3]
	v_add_co_u32_e32 v18, vcc, s6, v4
	v_addc_co_u32_e32 v19, vcc, v0, v5, vcc
	v_add_u32_e32 v2, s5, v2
	v_ashrrev_i32_e32 v3, 31, v2
	v_accvgpr_write_b32 a31, v19
	v_lshlrev_b64 v[4:5], 4, v[2:3]
	v_accvgpr_write_b32 a30, v18
	global_load_dwordx4 v[18:21], v[18:19], off
	v_add_co_u32_e32 v4, vcc, s6, v4
	v_addc_co_u32_e32 v5, vcc, v0, v5, vcc
	global_load_dwordx4 v[22:25], v[4:5], off
	v_add_u32_e32 v2, s5, v2
	v_accvgpr_write_b32 a33, v5
	v_ashrrev_i32_e32 v3, 31, v2
	v_accvgpr_write_b32 a32, v4
	v_lshlrev_b64 v[4:5], 4, v[2:3]
	v_add_co_u32_e32 v26, vcc, s6, v4
	v_addc_co_u32_e32 v27, vcc, v0, v5, vcc
	v_add_u32_e32 v2, s5, v2
	v_ashrrev_i32_e32 v3, 31, v2
	v_accvgpr_write_b32 a35, v27
	v_lshlrev_b64 v[4:5], 4, v[2:3]
	v_accvgpr_write_b32 a34, v26
	global_load_dwordx4 v[26:29], v[26:27], off
	v_add_co_u32_e32 v4, vcc, s6, v4
	v_addc_co_u32_e32 v5, vcc, v0, v5, vcc
	global_load_dwordx4 v[30:33], v[4:5], off
	v_add_u32_e32 v2, s5, v2
	v_accvgpr_write_b32 a37, v5
	v_ashrrev_i32_e32 v3, 31, v2
	v_accvgpr_write_b32 a36, v4
	v_lshlrev_b64 v[4:5], 4, v[2:3]
	v_add_co_u32_e32 v34, vcc, s6, v4
	v_addc_co_u32_e32 v35, vcc, v0, v5, vcc
	v_add_u32_e32 v2, s5, v2
	v_accvgpr_write_b32 a39, v35
	v_ashrrev_i32_e32 v3, 31, v2
	v_accvgpr_write_b32 a38, v34
	global_load_dwordx4 v[34:37], v[34:35], off
	v_lshlrev_b64 v[4:5], 4, v[2:3]
	v_add_co_u32_e32 v4, vcc, s6, v4
	v_addc_co_u32_e32 v5, vcc, v0, v5, vcc
	global_load_dwordx4 v[38:41], v[4:5], off
	v_add_u32_e32 v2, s5, v2
	v_accvgpr_write_b32 a41, v5
	v_ashrrev_i32_e32 v3, 31, v2
	v_accvgpr_write_b32 a40, v4
	v_lshlrev_b64 v[4:5], 4, v[2:3]
	v_add_co_u32_e32 v42, vcc, s6, v4
	v_addc_co_u32_e32 v43, vcc, v0, v5, vcc
	v_add_u32_e32 v2, s5, v2
	v_accvgpr_write_b32 a42, v42
	v_ashrrev_i32_e32 v3, 31, v2
	v_accvgpr_write_b32 a43, v43
	global_load_dwordx4 v[42:45], v[42:43], off
	v_lshlrev_b64 v[4:5], 4, v[2:3]
	;; [unrolled: 16-line block ×6, first 2 shown]
	v_add_co_u32_e32 v4, vcc, s6, v4
	v_addc_co_u32_e32 v5, vcc, v0, v5, vcc
	global_load_dwordx4 v[78:81], v[4:5], off
	v_add_u32_e32 v2, s5, v2
	v_accvgpr_write_b32 a61, v5
	v_ashrrev_i32_e32 v3, 31, v2
	v_accvgpr_write_b32 a60, v4
	v_lshlrev_b64 v[4:5], 4, v[2:3]
	v_add_co_u32_e32 v4, vcc, s6, v4
	v_add_u32_e32 v86, s5, v2
	v_addc_co_u32_e32 v5, vcc, v0, v5, vcc
	v_ashrrev_i32_e32 v87, 31, v86
	v_lshlrev_b64 v[2:3], 4, v[86:87]
	global_load_dwordx4 v[82:85], v[4:5], off
	v_add_co_u32_e32 v2, vcc, s6, v2
	v_addc_co_u32_e32 v3, vcc, v0, v3, vcc
	v_accvgpr_write_b32 a63, v5
	v_accvgpr_write_b32 a65, v3
	;; [unrolled: 1-line block ×4, first 2 shown]
	global_load_dwordx4 v[2:5], v[2:3], off
	s_bitcmp0_b32 s18, 0
	s_waitcnt vmcnt(62)
	buffer_store_dword v9, off, s[0:3], 0 offset:220
	buffer_store_dword v8, off, s[0:3], 0 offset:216
	buffer_store_dword v7, off, s[0:3], 0 offset:212
	buffer_store_dword v6, off, s[0:3], 0 offset:208
	s_waitcnt vmcnt(23)
	buffer_store_dword v13, off, s[0:3], 0 offset:236
	buffer_store_dword v12, off, s[0:3], 0 offset:232
	buffer_store_dword v11, off, s[0:3], 0 offset:228
	buffer_store_dword v10, off, s[0:3], 0 offset:224
	;; [unrolled: 5-line block ×16, first 2 shown]
	buffer_store_dword v73, off, s[0:3], 0 offset:476
	buffer_store_dword v72, off, s[0:3], 0 offset:472
	;; [unrolled: 1-line block ×12, first 2 shown]
	s_waitcnt vmcnt(62)
	buffer_store_dword v85, off, s[0:3], 0 offset:524
	buffer_store_dword v84, off, s[0:3], 0 offset:520
	;; [unrolled: 1-line block ×5, first 2 shown]
	v_add_u32_e32 v6, s5, v86
	v_ashrrev_i32_e32 v7, 31, v6
	v_lshlrev_b64 v[8:9], 4, v[6:7]
	v_add_u32_e32 v14, s5, v6
	v_add_co_u32_e32 v8, vcc, s6, v8
	v_ashrrev_i32_e32 v15, 31, v14
	v_addc_co_u32_e32 v9, vcc, v0, v9, vcc
	v_lshlrev_b64 v[6:7], 4, v[14:15]
	v_add_co_u32_e32 v10, vcc, s6, v6
	v_accvgpr_write_b32 a69, v9
	v_addc_co_u32_e32 v11, vcc, v0, v7, vcc
	v_accvgpr_write_b32 a68, v8
	global_load_dwordx4 v[6:9], v[8:9], off
	v_add_u32_e32 v14, s5, v14
	v_accvgpr_write_b32 a71, v11
	v_ashrrev_i32_e32 v15, 31, v14
	v_accvgpr_write_b32 a70, v10
	global_load_dwordx4 v[10:13], v[10:11], off
	v_lshlrev_b64 v[16:17], 4, v[14:15]
	v_add_u32_e32 v22, s5, v14
	v_add_co_u32_e32 v16, vcc, s6, v16
	v_ashrrev_i32_e32 v23, 31, v22
	v_addc_co_u32_e32 v17, vcc, v0, v17, vcc
	v_lshlrev_b64 v[14:15], 4, v[22:23]
	v_add_co_u32_e32 v18, vcc, s6, v14
	v_accvgpr_write_b32 a73, v17
	v_addc_co_u32_e32 v19, vcc, v0, v15, vcc
	v_accvgpr_write_b32 a72, v16
	global_load_dwordx4 v[14:17], v[16:17], off
	v_add_u32_e32 v22, s5, v22
	v_accvgpr_write_b32 a75, v19
	v_ashrrev_i32_e32 v23, 31, v22
	v_accvgpr_write_b32 a74, v18
	global_load_dwordx4 v[18:21], v[18:19], off
	;; [unrolled: 16-line block ×9, first 2 shown]
	v_lshlrev_b64 v[80:81], 4, v[78:79]
	v_add_co_u32_e32 v80, vcc, s6, v80
	v_addc_co_u32_e32 v81, vcc, v0, v81, vcc
	v_add_u32_e32 v78, s5, v78
	v_ashrrev_i32_e32 v79, 31, v78
	v_accvgpr_write_b32 a105, v81
	v_lshlrev_b64 v[82:83], 4, v[78:79]
	v_accvgpr_write_b32 a104, v80
	global_load_dwordx4 v[78:81], v[80:81], off
	v_add_co_u32_e32 v82, vcc, s6, v82
	v_addc_co_u32_e32 v83, vcc, v0, v83, vcc
	v_accvgpr_write_b32 a66, v82
	v_accvgpr_write_b32 a67, v83
	global_load_dwordx4 v[82:85], v[82:83], off
	v_mov_b32_e32 v0, 16
	buffer_store_dword v4, off, s[0:3], 0 offset:536
	buffer_store_dword v3, off, s[0:3], 0 offset:532
	buffer_store_dword v2, off, s[0:3], 0 offset:528
	s_waitcnt vmcnt(22)
	buffer_store_dword v9, off, s[0:3], 0 offset:556
	buffer_store_dword v8, off, s[0:3], 0 offset:552
	buffer_store_dword v7, off, s[0:3], 0 offset:548
	buffer_store_dword v6, off, s[0:3], 0 offset:544
	s_waitcnt vmcnt(25)
	buffer_store_dword v13, off, s[0:3], 0 offset:572
	;; [unrolled: 5-line block ×15, first 2 shown]
	buffer_store_dword v64, off, s[0:3], 0 offset:776
	buffer_store_dword v63, off, s[0:3], 0 offset:772
	;; [unrolled: 1-line block ×11, first 2 shown]
	s_waitcnt vmcnt(62)
	buffer_store_dword v77, off, s[0:3], 0 offset:828
	buffer_store_dword v76, off, s[0:3], 0 offset:824
	buffer_store_dword v75, off, s[0:3], 0 offset:820
	buffer_store_dword v74, off, s[0:3], 0 offset:816
	buffer_store_dword v81, off, s[0:3], 0 offset:844
	buffer_store_dword v80, off, s[0:3], 0 offset:840
	buffer_store_dword v79, off, s[0:3], 0 offset:836
	buffer_store_dword v78, off, s[0:3], 0 offset:832
	buffer_store_dword v85, off, s[0:3], 0 offset:860
	buffer_store_dword v84, off, s[0:3], 0 offset:856
	buffer_store_dword v83, off, s[0:3], 0 offset:852
	buffer_store_dword v82, off, s[0:3], 0 offset:848
	v_add_u32_e32 v2, 16, v0
	v_accvgpr_write_b32 a157, v2
	v_add_u32_e32 v2, 32, v0
	v_accvgpr_write_b32 a156, v2
	;; [unrolled: 2-line block ×50, first 2 shown]
	v_add_u32_e32 v2, 0x330, v0
	v_add_u32_e32 v0, 0x340, v0
	v_accvgpr_write_b32 a107, v2
	v_accvgpr_write_b32 a106, v0
	s_mov_b64 s[6:7], -1
	s_cbranch_scc1 .LBB116_224
; %bb.4:
	v_cmp_eq_u32_e64 s[4:5], 0, v255
	s_and_saveexec_b64 s[6:7], s[4:5]
	s_cbranch_execz .LBB116_6
; %bb.5:
	v_mov_b32_e32 v0, 0
	ds_write_b32 v0, v0 offset:1696
.LBB116_6:
	s_or_b64 exec, exec, s[6:7]
	v_mov_b32_e32 v0, 16
	v_lshl_add_u32 v12, v255, 4, v0
	s_waitcnt lgkmcnt(0)
	; wave barrier
	s_waitcnt lgkmcnt(0)
	buffer_load_dword v2, v12, s[0:3], 0 offen
	buffer_load_dword v3, v12, s[0:3], 0 offen offset:4
	buffer_load_dword v4, v12, s[0:3], 0 offen offset:8
	;; [unrolled: 1-line block ×3, first 2 shown]
	s_waitcnt vmcnt(2)
	v_cmp_eq_f64_e32 vcc, 0, v[2:3]
	s_waitcnt vmcnt(0)
	v_cmp_eq_f64_e64 s[6:7], 0, v[4:5]
	s_and_b64 s[6:7], vcc, s[6:7]
	s_and_saveexec_b64 s[12:13], s[6:7]
	s_cbranch_execz .LBB116_10
; %bb.7:
	v_mov_b32_e32 v2, 0
	ds_read_b32 v0, v2 offset:1696
	v_add_u32_e32 v3, 1, v255
	s_waitcnt lgkmcnt(0)
	v_readfirstlane_b32 s6, v0
	s_cmp_eq_u32 s6, 0
	s_cselect_b64 s[18:19], -1, 0
	v_cmp_gt_i32_e32 vcc, s6, v3
	s_or_b64 s[18:19], s[18:19], vcc
	s_and_b64 exec, exec, s[18:19]
	s_cbranch_execz .LBB116_10
; %bb.8:
	s_mov_b64 s[18:19], 0
	v_mov_b32_e32 v4, s6
.LBB116_9:                              ; =>This Inner Loop Header: Depth=1
	ds_cmpst_rtn_b32 v4, v2, v4, v3 offset:1696
	s_waitcnt lgkmcnt(0)
	v_cmp_ne_u32_e32 vcc, 0, v4
	v_cmp_le_i32_e64 s[6:7], v4, v3
	s_and_b64 s[6:7], vcc, s[6:7]
	s_and_b64 s[6:7], exec, s[6:7]
	s_or_b64 s[18:19], s[6:7], s[18:19]
	s_andn2_b64 exec, exec, s[18:19]
	s_cbranch_execnz .LBB116_9
.LBB116_10:
	s_or_b64 exec, exec, s[12:13]
	v_mov_b32_e32 v3, 0
	s_waitcnt lgkmcnt(0)
	; wave barrier
	ds_read_b32 v2, v3 offset:1696
	s_and_saveexec_b64 s[6:7], s[4:5]
	s_cbranch_execz .LBB116_12
; %bb.11:
	s_lshl_b64 s[12:13], s[8:9], 2
	s_add_u32 s12, s14, s12
	s_addc_u32 s13, s15, s13
	s_waitcnt lgkmcnt(0)
	global_store_dword v3, v2, s[12:13]
.LBB116_12:
	s_or_b64 exec, exec, s[6:7]
	s_waitcnt lgkmcnt(0)
	v_cmp_ne_u32_e32 vcc, 0, v2
	s_mov_b64 s[6:7], 0
	s_cbranch_vccnz .LBB116_224
; %bb.13:
	buffer_load_dword v7, v12, s[0:3], 0 offen offset:4
	buffer_load_dword v6, v12, s[0:3], 0 offen
	buffer_load_dword v9, v12, s[0:3], 0 offen offset:12
	buffer_load_dword v8, v12, s[0:3], 0 offen offset:8
                                        ; implicit-def: $vgpr10_vgpr11
	s_waitcnt vmcnt(3)
	v_xor_b32_e32 v0, 0x80000000, v7
	s_waitcnt vmcnt(2)
	v_cmp_gt_f64_e32 vcc, 0, v[6:7]
	s_waitcnt vmcnt(1)
	v_xor_b32_e32 v4, 0x80000000, v9
	v_cndmask_b32_e32 v3, v7, v0, vcc
	s_waitcnt vmcnt(0)
	v_cmp_gt_f64_e32 vcc, 0, v[8:9]
	v_mov_b32_e32 v2, v6
	v_cndmask_b32_e32 v5, v9, v4, vcc
	v_mov_b32_e32 v4, v8
	v_cmp_ngt_f64_e32 vcc, v[2:3], v[4:5]
                                        ; implicit-def: $vgpr4_vgpr5
	s_and_saveexec_b64 s[6:7], vcc
	s_xor_b64 s[6:7], exec, s[6:7]
	s_cbranch_execz .LBB116_15
; %bb.14:
	v_div_scale_f64 v[2:3], s[12:13], v[8:9], v[8:9], v[6:7]
	v_rcp_f64_e32 v[4:5], v[2:3]
	v_div_scale_f64 v[10:11], vcc, v[6:7], v[8:9], v[6:7]
	v_fma_f64 v[14:15], -v[2:3], v[4:5], 1.0
	v_fmac_f64_e32 v[4:5], v[4:5], v[14:15]
	v_fma_f64 v[14:15], -v[2:3], v[4:5], 1.0
	v_fmac_f64_e32 v[4:5], v[4:5], v[14:15]
	v_mul_f64 v[14:15], v[10:11], v[4:5]
	v_fma_f64 v[2:3], -v[2:3], v[14:15], v[10:11]
	v_div_fmas_f64 v[2:3], v[2:3], v[4:5], v[14:15]
	v_div_fixup_f64 v[2:3], v[2:3], v[8:9], v[6:7]
	v_fmac_f64_e32 v[8:9], v[6:7], v[2:3]
	v_div_scale_f64 v[4:5], s[12:13], v[8:9], v[8:9], 1.0
	v_rcp_f64_e32 v[6:7], v[4:5]
	v_fma_f64 v[10:11], -v[4:5], v[6:7], 1.0
	v_fmac_f64_e32 v[6:7], v[6:7], v[10:11]
	v_fma_f64 v[10:11], -v[4:5], v[6:7], 1.0
	v_fmac_f64_e32 v[6:7], v[6:7], v[10:11]
	v_div_scale_f64 v[10:11], vcc, 1.0, v[8:9], 1.0
	v_mul_f64 v[14:15], v[10:11], v[6:7]
	v_fma_f64 v[4:5], -v[4:5], v[14:15], v[10:11]
	s_nop 1
	v_div_fmas_f64 v[4:5], v[4:5], v[6:7], v[14:15]
	v_div_fixup_f64 v[4:5], v[4:5], v[8:9], 1.0
	v_mul_f64 v[10:11], v[2:3], v[4:5]
	v_xor_b32_e32 v5, 0x80000000, v5
	v_xor_b32_e32 v3, 0x80000000, v11
	v_mov_b32_e32 v2, v10
                                        ; implicit-def: $vgpr6_vgpr7
                                        ; implicit-def: $vgpr8_vgpr9
.LBB116_15:
	s_andn2_saveexec_b64 s[6:7], s[6:7]
	s_cbranch_execz .LBB116_17
; %bb.16:
	v_div_scale_f64 v[2:3], s[12:13], v[6:7], v[6:7], v[8:9]
	v_rcp_f64_e32 v[4:5], v[2:3]
	v_div_scale_f64 v[10:11], vcc, v[8:9], v[6:7], v[8:9]
	v_fma_f64 v[14:15], -v[2:3], v[4:5], 1.0
	v_fmac_f64_e32 v[4:5], v[4:5], v[14:15]
	v_fma_f64 v[14:15], -v[2:3], v[4:5], 1.0
	v_fmac_f64_e32 v[4:5], v[4:5], v[14:15]
	v_mul_f64 v[14:15], v[10:11], v[4:5]
	v_fma_f64 v[2:3], -v[2:3], v[14:15], v[10:11]
	v_div_fmas_f64 v[2:3], v[2:3], v[4:5], v[14:15]
	v_div_fixup_f64 v[4:5], v[2:3], v[6:7], v[8:9]
	v_fmac_f64_e32 v[6:7], v[8:9], v[4:5]
	v_div_scale_f64 v[2:3], s[12:13], v[6:7], v[6:7], 1.0
	v_rcp_f64_e32 v[8:9], v[2:3]
	v_fma_f64 v[10:11], -v[2:3], v[8:9], 1.0
	v_fmac_f64_e32 v[8:9], v[8:9], v[10:11]
	v_fma_f64 v[10:11], -v[2:3], v[8:9], 1.0
	v_fmac_f64_e32 v[8:9], v[8:9], v[10:11]
	v_div_scale_f64 v[10:11], vcc, 1.0, v[6:7], 1.0
	v_mul_f64 v[14:15], v[10:11], v[8:9]
	v_fma_f64 v[2:3], -v[2:3], v[14:15], v[10:11]
	s_nop 1
	v_div_fmas_f64 v[2:3], v[2:3], v[8:9], v[14:15]
	v_div_fixup_f64 v[10:11], v[2:3], v[6:7], 1.0
	v_xor_b32_e32 v3, 0x80000000, v11
	v_mov_b32_e32 v2, v10
	v_mul_f64 v[4:5], v[4:5], -v[10:11]
.LBB116_17:
	s_or_b64 exec, exec, s[6:7]
	buffer_store_dword v11, v12, s[0:3], 0 offen offset:4
	buffer_store_dword v10, v12, s[0:3], 0 offen
	buffer_store_dword v5, v12, s[0:3], 0 offen offset:12
	buffer_store_dword v4, v12, s[0:3], 0 offen offset:8
	v_accvgpr_read_b32 v0, a157
	buffer_load_dword v11, v0, s[0:3], 0 offen offset:12
	buffer_load_dword v10, v0, s[0:3], 0 offen offset:8
	;; [unrolled: 1-line block ×3, first 2 shown]
	buffer_load_dword v8, v0, s[0:3], 0 offen
	v_xor_b32_e32 v5, 0x80000000, v5
	v_add_u32_e32 v6, 0x350, v1
	ds_write_b128 v1, v[2:5]
	s_waitcnt vmcnt(0)
	ds_write_b128 v1, v[8:11] offset:848
	s_waitcnt lgkmcnt(0)
	; wave barrier
	s_waitcnt lgkmcnt(0)
	s_and_saveexec_b64 s[6:7], s[4:5]
	s_cbranch_execz .LBB116_19
; %bb.18:
	buffer_load_dword v14, v12, s[0:3], 0 offen offset:8
	buffer_load_dword v15, v12, s[0:3], 0 offen offset:12
	buffer_load_dword v16, v12, s[0:3], 0 offen
	buffer_load_dword v17, v12, s[0:3], 0 offen offset:4
	ds_read_b128 v[2:5], v6
	v_mov_b32_e32 v0, 0
	ds_read_b128 v[8:11], v0 offset:16
	s_waitcnt vmcnt(2) lgkmcnt(1)
	v_mul_f64 v[18:19], v[4:5], v[14:15]
	v_mul_f64 v[14:15], v[2:3], v[14:15]
	s_waitcnt vmcnt(0)
	v_fmac_f64_e32 v[14:15], v[4:5], v[16:17]
	v_fma_f64 v[2:3], v[2:3], v[16:17], -v[18:19]
	v_add_f64 v[4:5], v[14:15], 0
	v_add_f64 v[2:3], v[2:3], 0
	s_waitcnt lgkmcnt(0)
	v_mul_f64 v[14:15], v[4:5], v[10:11]
	v_mul_f64 v[10:11], v[2:3], v[10:11]
	v_fma_f64 v[2:3], v[2:3], v[8:9], -v[14:15]
	v_fmac_f64_e32 v[10:11], v[4:5], v[8:9]
	buffer_store_dword v2, off, s[0:3], 0 offset:32
	buffer_store_dword v3, off, s[0:3], 0 offset:36
	buffer_store_dword v10, off, s[0:3], 0 offset:40
	buffer_store_dword v11, off, s[0:3], 0 offset:44
.LBB116_19:
	s_or_b64 exec, exec, s[6:7]
	v_accvgpr_read_b32 v0, a156
	s_waitcnt lgkmcnt(0)
	; wave barrier
	buffer_load_dword v2, v0, s[0:3], 0 offen
	buffer_load_dword v3, v0, s[0:3], 0 offen offset:4
	buffer_load_dword v4, v0, s[0:3], 0 offen offset:8
	;; [unrolled: 1-line block ×3, first 2 shown]
	v_cmp_gt_u32_e32 vcc, 2, v255
	s_waitcnt vmcnt(0)
	ds_write_b128 v6, v[2:5]
	s_waitcnt lgkmcnt(0)
	; wave barrier
	s_waitcnt lgkmcnt(0)
	s_and_saveexec_b64 s[6:7], vcc
	s_cbranch_execz .LBB116_23
; %bb.20:
	buffer_load_dword v8, v12, s[0:3], 0 offen offset:8
	buffer_load_dword v9, v12, s[0:3], 0 offen offset:12
	buffer_load_dword v10, v12, s[0:3], 0 offen
	buffer_load_dword v11, v12, s[0:3], 0 offen offset:4
	ds_read_b128 v[2:5], v6
	s_waitcnt vmcnt(2) lgkmcnt(0)
	v_mul_f64 v[12:13], v[4:5], v[8:9]
	v_mul_f64 v[8:9], v[2:3], v[8:9]
	s_waitcnt vmcnt(0)
	v_fma_f64 v[2:3], v[2:3], v[10:11], -v[12:13]
	v_fmac_f64_e32 v[8:9], v[4:5], v[10:11]
	v_add_f64 v[4:5], v[2:3], 0
	v_add_f64 v[2:3], v[8:9], 0
	s_and_saveexec_b64 s[12:13], s[4:5]
	s_cbranch_execz .LBB116_22
; %bb.21:
	buffer_load_dword v12, off, s[0:3], 0 offset:40
	buffer_load_dword v13, off, s[0:3], 0 offset:44
	;; [unrolled: 1-line block ×4, first 2 shown]
	v_mov_b32_e32 v0, 0
	ds_read_b128 v[8:11], v0 offset:864
	s_waitcnt vmcnt(2) lgkmcnt(0)
	v_mul_f64 v[16:17], v[8:9], v[12:13]
	v_mul_f64 v[12:13], v[10:11], v[12:13]
	s_waitcnt vmcnt(0)
	v_fmac_f64_e32 v[16:17], v[10:11], v[14:15]
	v_fma_f64 v[8:9], v[8:9], v[14:15], -v[12:13]
	v_add_f64 v[2:3], v[2:3], v[16:17]
	v_add_f64 v[4:5], v[4:5], v[8:9]
.LBB116_22:
	s_or_b64 exec, exec, s[12:13]
	v_mov_b32_e32 v0, 0
	ds_read_b128 v[8:11], v0 offset:32
	s_waitcnt lgkmcnt(0)
	v_mul_f64 v[12:13], v[2:3], v[10:11]
	v_mul_f64 v[10:11], v[4:5], v[10:11]
	v_fma_f64 v[4:5], v[4:5], v[8:9], -v[12:13]
	v_fmac_f64_e32 v[10:11], v[2:3], v[8:9]
	buffer_store_dword v5, off, s[0:3], 0 offset:52
	buffer_store_dword v4, off, s[0:3], 0 offset:48
	;; [unrolled: 1-line block ×4, first 2 shown]
.LBB116_23:
	s_or_b64 exec, exec, s[6:7]
	v_accvgpr_read_b32 v0, a155
	s_waitcnt lgkmcnt(0)
	; wave barrier
	buffer_load_dword v2, v0, s[0:3], 0 offen
	buffer_load_dword v3, v0, s[0:3], 0 offen offset:4
	buffer_load_dword v4, v0, s[0:3], 0 offen offset:8
	;; [unrolled: 1-line block ×3, first 2 shown]
	v_cmp_gt_u32_e32 vcc, 3, v255
	v_add_u32_e32 v7, -1, v255
	s_waitcnt vmcnt(0)
	ds_write_b128 v6, v[2:5]
	s_waitcnt lgkmcnt(0)
	; wave barrier
	s_waitcnt lgkmcnt(0)
	s_and_saveexec_b64 s[4:5], vcc
	s_cbranch_execz .LBB116_27
; %bb.24:
	v_pk_mov_b32 v[2:3], 0, 0
	v_add_u32_e32 v8, -1, v255
	v_add_u32_e32 v9, 0x350, v1
	v_add_u32_e32 v10, 16, v1
	s_mov_b64 s[6:7], 0
	v_pk_mov_b32 v[4:5], v[2:3], v[2:3] op_sel:[0,1]
.LBB116_25:                             ; =>This Inner Loop Header: Depth=1
	buffer_load_dword v16, v10, s[0:3], 0 offen offset:8
	buffer_load_dword v17, v10, s[0:3], 0 offen offset:12
	buffer_load_dword v18, v10, s[0:3], 0 offen
	buffer_load_dword v19, v10, s[0:3], 0 offen offset:4
	ds_read_b128 v[12:15], v9
	v_add_u32_e32 v8, 1, v8
	v_cmp_lt_u32_e32 vcc, 1, v8
	v_add_u32_e32 v9, 16, v9
	v_add_u32_e32 v10, 16, v10
	s_or_b64 s[6:7], vcc, s[6:7]
	s_waitcnt vmcnt(2) lgkmcnt(0)
	v_mul_f64 v[20:21], v[14:15], v[16:17]
	v_mul_f64 v[16:17], v[12:13], v[16:17]
	s_waitcnt vmcnt(0)
	v_fma_f64 v[12:13], v[12:13], v[18:19], -v[20:21]
	v_fmac_f64_e32 v[16:17], v[14:15], v[18:19]
	v_add_f64 v[4:5], v[4:5], v[12:13]
	v_add_f64 v[2:3], v[2:3], v[16:17]
	s_andn2_b64 exec, exec, s[6:7]
	s_cbranch_execnz .LBB116_25
; %bb.26:
	s_or_b64 exec, exec, s[6:7]
	v_mov_b32_e32 v0, 0
	ds_read_b128 v[8:11], v0 offset:48
	s_waitcnt lgkmcnt(0)
	v_mul_f64 v[12:13], v[2:3], v[10:11]
	v_mul_f64 v[10:11], v[4:5], v[10:11]
	v_fma_f64 v[4:5], v[4:5], v[8:9], -v[12:13]
	v_fmac_f64_e32 v[10:11], v[2:3], v[8:9]
	buffer_store_dword v5, off, s[0:3], 0 offset:68
	buffer_store_dword v4, off, s[0:3], 0 offset:64
	buffer_store_dword v11, off, s[0:3], 0 offset:76
	buffer_store_dword v10, off, s[0:3], 0 offset:72
.LBB116_27:
	s_or_b64 exec, exec, s[4:5]
	v_accvgpr_read_b32 v0, a154
	s_waitcnt lgkmcnt(0)
	; wave barrier
	buffer_load_dword v2, v0, s[0:3], 0 offen
	buffer_load_dword v3, v0, s[0:3], 0 offen offset:4
	buffer_load_dword v4, v0, s[0:3], 0 offen offset:8
	buffer_load_dword v5, v0, s[0:3], 0 offen offset:12
	v_cmp_gt_u32_e32 vcc, 4, v255
	s_waitcnt vmcnt(0)
	ds_write_b128 v6, v[2:5]
	s_waitcnt lgkmcnt(0)
	; wave barrier
	s_waitcnt lgkmcnt(0)
	s_and_saveexec_b64 s[4:5], vcc
	s_cbranch_execz .LBB116_31
; %bb.28:
	v_pk_mov_b32 v[2:3], 0, 0
	v_add_u32_e32 v8, -1, v255
	v_add_u32_e32 v9, 0x350, v1
	v_add_u32_e32 v10, 16, v1
	s_mov_b64 s[6:7], 0
	v_pk_mov_b32 v[4:5], v[2:3], v[2:3] op_sel:[0,1]
.LBB116_29:                             ; =>This Inner Loop Header: Depth=1
	buffer_load_dword v16, v10, s[0:3], 0 offen offset:8
	buffer_load_dword v17, v10, s[0:3], 0 offen offset:12
	buffer_load_dword v18, v10, s[0:3], 0 offen
	buffer_load_dword v19, v10, s[0:3], 0 offen offset:4
	ds_read_b128 v[12:15], v9
	v_add_u32_e32 v8, 1, v8
	v_cmp_lt_u32_e32 vcc, 2, v8
	v_add_u32_e32 v9, 16, v9
	v_add_u32_e32 v10, 16, v10
	s_or_b64 s[6:7], vcc, s[6:7]
	s_waitcnt vmcnt(2) lgkmcnt(0)
	v_mul_f64 v[20:21], v[14:15], v[16:17]
	v_mul_f64 v[16:17], v[12:13], v[16:17]
	s_waitcnt vmcnt(0)
	v_fma_f64 v[12:13], v[12:13], v[18:19], -v[20:21]
	v_fmac_f64_e32 v[16:17], v[14:15], v[18:19]
	v_add_f64 v[4:5], v[4:5], v[12:13]
	v_add_f64 v[2:3], v[2:3], v[16:17]
	s_andn2_b64 exec, exec, s[6:7]
	s_cbranch_execnz .LBB116_29
; %bb.30:
	s_or_b64 exec, exec, s[6:7]
	v_mov_b32_e32 v0, 0
	ds_read_b128 v[8:11], v0 offset:64
	s_waitcnt lgkmcnt(0)
	v_mul_f64 v[12:13], v[2:3], v[10:11]
	v_mul_f64 v[10:11], v[4:5], v[10:11]
	v_fma_f64 v[4:5], v[4:5], v[8:9], -v[12:13]
	v_fmac_f64_e32 v[10:11], v[2:3], v[8:9]
	buffer_store_dword v5, off, s[0:3], 0 offset:84
	buffer_store_dword v4, off, s[0:3], 0 offset:80
	buffer_store_dword v11, off, s[0:3], 0 offset:92
	buffer_store_dword v10, off, s[0:3], 0 offset:88
.LBB116_31:
	s_or_b64 exec, exec, s[4:5]
	v_accvgpr_read_b32 v0, a153
	s_waitcnt lgkmcnt(0)
	; wave barrier
	buffer_load_dword v2, v0, s[0:3], 0 offen
	buffer_load_dword v3, v0, s[0:3], 0 offen offset:4
	buffer_load_dword v4, v0, s[0:3], 0 offen offset:8
	buffer_load_dword v5, v0, s[0:3], 0 offen offset:12
	v_cmp_gt_u32_e32 vcc, 5, v255
	;; [unrolled: 58-line block ×19, first 2 shown]
	s_waitcnt vmcnt(0)
	ds_write_b128 v6, v[2:5]
	s_waitcnt lgkmcnt(0)
	; wave barrier
	s_waitcnt lgkmcnt(0)
	s_and_saveexec_b64 s[4:5], vcc
	s_cbranch_execz .LBB116_103
; %bb.100:
	v_pk_mov_b32 v[2:3], 0, 0
	v_add_u32_e32 v8, -1, v255
	v_add_u32_e32 v9, 0x350, v1
	v_add_u32_e32 v10, 16, v1
	s_mov_b64 s[6:7], 0
	v_pk_mov_b32 v[4:5], v[2:3], v[2:3] op_sel:[0,1]
.LBB116_101:                            ; =>This Inner Loop Header: Depth=1
	buffer_load_dword v16, v10, s[0:3], 0 offen offset:8
	buffer_load_dword v17, v10, s[0:3], 0 offen offset:12
	buffer_load_dword v18, v10, s[0:3], 0 offen
	buffer_load_dword v19, v10, s[0:3], 0 offen offset:4
	ds_read_b128 v[12:15], v9
	v_add_u32_e32 v8, 1, v8
	v_cmp_lt_u32_e32 vcc, 20, v8
	v_add_u32_e32 v9, 16, v9
	v_add_u32_e32 v10, 16, v10
	s_or_b64 s[6:7], vcc, s[6:7]
	s_waitcnt vmcnt(2) lgkmcnt(0)
	v_mul_f64 v[20:21], v[14:15], v[16:17]
	v_mul_f64 v[16:17], v[12:13], v[16:17]
	s_waitcnt vmcnt(0)
	v_fma_f64 v[12:13], v[12:13], v[18:19], -v[20:21]
	v_fmac_f64_e32 v[16:17], v[14:15], v[18:19]
	v_add_f64 v[4:5], v[4:5], v[12:13]
	v_add_f64 v[2:3], v[2:3], v[16:17]
	s_andn2_b64 exec, exec, s[6:7]
	s_cbranch_execnz .LBB116_101
; %bb.102:
	s_or_b64 exec, exec, s[6:7]
	v_mov_b32_e32 v0, 0
	ds_read_b128 v[8:11], v0 offset:352
	s_waitcnt lgkmcnt(0)
	v_mul_f64 v[12:13], v[2:3], v[10:11]
	v_mul_f64 v[10:11], v[4:5], v[10:11]
	v_fma_f64 v[4:5], v[4:5], v[8:9], -v[12:13]
	v_fmac_f64_e32 v[10:11], v[2:3], v[8:9]
	buffer_store_dword v5, off, s[0:3], 0 offset:372
	buffer_store_dword v4, off, s[0:3], 0 offset:368
	buffer_store_dword v11, off, s[0:3], 0 offset:380
	buffer_store_dword v10, off, s[0:3], 0 offset:376
.LBB116_103:
	s_or_b64 exec, exec, s[4:5]
	v_accvgpr_read_b32 v0, a135
	s_waitcnt lgkmcnt(0)
	; wave barrier
	buffer_load_dword v2, v0, s[0:3], 0 offen
	buffer_load_dword v3, v0, s[0:3], 0 offen offset:4
	buffer_load_dword v4, v0, s[0:3], 0 offen offset:8
	buffer_load_dword v5, v0, s[0:3], 0 offen offset:12
	v_cmp_gt_u32_e32 vcc, 23, v255
	s_waitcnt vmcnt(0)
	ds_write_b128 v6, v[2:5]
	s_waitcnt lgkmcnt(0)
	; wave barrier
	s_waitcnt lgkmcnt(0)
	s_and_saveexec_b64 s[4:5], vcc
	s_cbranch_execz .LBB116_107
; %bb.104:
	v_pk_mov_b32 v[2:3], 0, 0
	v_add_u32_e32 v8, -1, v255
	v_add_u32_e32 v9, 0x350, v1
	v_add_u32_e32 v10, 16, v1
	s_mov_b64 s[6:7], 0
	v_pk_mov_b32 v[4:5], v[2:3], v[2:3] op_sel:[0,1]
.LBB116_105:                            ; =>This Inner Loop Header: Depth=1
	buffer_load_dword v16, v10, s[0:3], 0 offen offset:8
	buffer_load_dword v17, v10, s[0:3], 0 offen offset:12
	buffer_load_dword v18, v10, s[0:3], 0 offen
	buffer_load_dword v19, v10, s[0:3], 0 offen offset:4
	ds_read_b128 v[12:15], v9
	v_add_u32_e32 v8, 1, v8
	v_cmp_lt_u32_e32 vcc, 21, v8
	v_add_u32_e32 v9, 16, v9
	v_add_u32_e32 v10, 16, v10
	s_or_b64 s[6:7], vcc, s[6:7]
	s_waitcnt vmcnt(2) lgkmcnt(0)
	v_mul_f64 v[20:21], v[14:15], v[16:17]
	v_mul_f64 v[16:17], v[12:13], v[16:17]
	s_waitcnt vmcnt(0)
	v_fma_f64 v[12:13], v[12:13], v[18:19], -v[20:21]
	v_fmac_f64_e32 v[16:17], v[14:15], v[18:19]
	v_add_f64 v[4:5], v[4:5], v[12:13]
	v_add_f64 v[2:3], v[2:3], v[16:17]
	s_andn2_b64 exec, exec, s[6:7]
	s_cbranch_execnz .LBB116_105
; %bb.106:
	s_or_b64 exec, exec, s[6:7]
	v_mov_b32_e32 v0, 0
	ds_read_b128 v[8:11], v0 offset:368
	s_waitcnt lgkmcnt(0)
	v_mul_f64 v[12:13], v[2:3], v[10:11]
	v_mul_f64 v[10:11], v[4:5], v[10:11]
	v_fma_f64 v[4:5], v[4:5], v[8:9], -v[12:13]
	v_fmac_f64_e32 v[10:11], v[2:3], v[8:9]
	buffer_store_dword v5, off, s[0:3], 0 offset:388
	buffer_store_dword v4, off, s[0:3], 0 offset:384
	buffer_store_dword v11, off, s[0:3], 0 offset:396
	buffer_store_dword v10, off, s[0:3], 0 offset:392
.LBB116_107:
	s_or_b64 exec, exec, s[4:5]
	v_accvgpr_read_b32 v0, a134
	s_waitcnt lgkmcnt(0)
	; wave barrier
	buffer_load_dword v2, v0, s[0:3], 0 offen
	buffer_load_dword v3, v0, s[0:3], 0 offen offset:4
	buffer_load_dword v4, v0, s[0:3], 0 offen offset:8
	buffer_load_dword v5, v0, s[0:3], 0 offen offset:12
	v_cmp_gt_u32_e32 vcc, 24, v255
	;; [unrolled: 58-line block ×29, first 2 shown]
	s_waitcnt vmcnt(0)
	ds_write_b128 v6, v[2:5]
	s_waitcnt lgkmcnt(0)
	; wave barrier
	s_waitcnt lgkmcnt(0)
	s_and_saveexec_b64 s[4:5], vcc
	s_cbranch_execz .LBB116_219
; %bb.216:
	v_pk_mov_b32 v[2:3], 0, 0
	v_add_u32_e32 v8, -1, v255
	v_add_u32_e32 v9, 0x350, v1
	v_add_u32_e32 v10, 16, v1
	s_mov_b64 s[6:7], 0
	v_pk_mov_b32 v[4:5], v[2:3], v[2:3] op_sel:[0,1]
.LBB116_217:                            ; =>This Inner Loop Header: Depth=1
	buffer_load_dword v16, v10, s[0:3], 0 offen offset:8
	buffer_load_dword v17, v10, s[0:3], 0 offen offset:12
	buffer_load_dword v18, v10, s[0:3], 0 offen
	buffer_load_dword v19, v10, s[0:3], 0 offen offset:4
	ds_read_b128 v[12:15], v9
	v_add_u32_e32 v8, 1, v8
	v_cmp_lt_u32_e32 vcc, 49, v8
	v_add_u32_e32 v9, 16, v9
	v_add_u32_e32 v10, 16, v10
	s_or_b64 s[6:7], vcc, s[6:7]
	s_waitcnt vmcnt(2) lgkmcnt(0)
	v_mul_f64 v[20:21], v[14:15], v[16:17]
	v_mul_f64 v[16:17], v[12:13], v[16:17]
	s_waitcnt vmcnt(0)
	v_fma_f64 v[12:13], v[12:13], v[18:19], -v[20:21]
	v_fmac_f64_e32 v[16:17], v[14:15], v[18:19]
	v_add_f64 v[4:5], v[4:5], v[12:13]
	v_add_f64 v[2:3], v[2:3], v[16:17]
	s_andn2_b64 exec, exec, s[6:7]
	s_cbranch_execnz .LBB116_217
; %bb.218:
	s_or_b64 exec, exec, s[6:7]
	v_mov_b32_e32 v0, 0
	ds_read_b128 v[8:11], v0 offset:816
	s_waitcnt lgkmcnt(0)
	v_mul_f64 v[12:13], v[2:3], v[10:11]
	v_mul_f64 v[10:11], v[4:5], v[10:11]
	v_fma_f64 v[4:5], v[4:5], v[8:9], -v[12:13]
	v_fmac_f64_e32 v[10:11], v[2:3], v[8:9]
	buffer_store_dword v5, off, s[0:3], 0 offset:836
	buffer_store_dword v4, off, s[0:3], 0 offset:832
	;; [unrolled: 1-line block ×4, first 2 shown]
.LBB116_219:
	s_or_b64 exec, exec, s[4:5]
	v_accvgpr_read_b32 v0, a106
	s_waitcnt lgkmcnt(0)
	; wave barrier
	buffer_load_dword v2, v0, s[0:3], 0 offen
	buffer_load_dword v3, v0, s[0:3], 0 offen offset:4
	buffer_load_dword v4, v0, s[0:3], 0 offen offset:8
	;; [unrolled: 1-line block ×3, first 2 shown]
	v_cmp_ne_u32_e32 vcc, 52, v255
	s_waitcnt vmcnt(0)
	ds_write_b128 v6, v[2:5]
	s_waitcnt lgkmcnt(0)
	; wave barrier
	s_waitcnt lgkmcnt(0)
	s_and_saveexec_b64 s[4:5], vcc
	s_cbranch_execz .LBB116_223
; %bb.220:
	v_pk_mov_b32 v[2:3], 0, 0
	v_add_u32_e32 v6, 0x350, v1
	v_add_u32_e32 v1, 16, v1
	s_mov_b64 s[6:7], 0
	v_pk_mov_b32 v[4:5], v[2:3], v[2:3] op_sel:[0,1]
.LBB116_221:                            ; =>This Inner Loop Header: Depth=1
	buffer_load_dword v12, v1, s[0:3], 0 offen offset:8
	buffer_load_dword v13, v1, s[0:3], 0 offen offset:12
	buffer_load_dword v14, v1, s[0:3], 0 offen
	buffer_load_dword v15, v1, s[0:3], 0 offen offset:4
	ds_read_b128 v[8:11], v6
	v_add_u32_e32 v7, 1, v7
	v_cmp_lt_u32_e32 vcc, 50, v7
	v_add_u32_e32 v6, 16, v6
	v_add_u32_e32 v1, 16, v1
	s_or_b64 s[6:7], vcc, s[6:7]
	s_waitcnt vmcnt(2) lgkmcnt(0)
	v_mul_f64 v[16:17], v[10:11], v[12:13]
	v_mul_f64 v[12:13], v[8:9], v[12:13]
	s_waitcnt vmcnt(0)
	v_fma_f64 v[8:9], v[8:9], v[14:15], -v[16:17]
	v_fmac_f64_e32 v[12:13], v[10:11], v[14:15]
	v_add_f64 v[4:5], v[4:5], v[8:9]
	v_add_f64 v[2:3], v[2:3], v[12:13]
	s_andn2_b64 exec, exec, s[6:7]
	s_cbranch_execnz .LBB116_221
; %bb.222:
	s_or_b64 exec, exec, s[6:7]
	v_mov_b32_e32 v0, 0
	ds_read_b128 v[6:9], v0 offset:832
	s_waitcnt lgkmcnt(0)
	v_mul_f64 v[0:1], v[2:3], v[8:9]
	v_mul_f64 v[8:9], v[4:5], v[8:9]
	v_fma_f64 v[0:1], v[4:5], v[6:7], -v[0:1]
	v_fmac_f64_e32 v[8:9], v[2:3], v[6:7]
	buffer_store_dword v1, off, s[0:3], 0 offset:852
	buffer_store_dword v0, off, s[0:3], 0 offset:848
	;; [unrolled: 1-line block ×4, first 2 shown]
.LBB116_223:
	s_or_b64 exec, exec, s[4:5]
	s_mov_b64 s[6:7], -1
	s_waitcnt lgkmcnt(0)
	; wave barrier
.LBB116_224:
	s_and_b64 vcc, exec, s[6:7]
	s_cbranch_vccz .LBB116_226
; %bb.225:
	s_lshl_b64 s[4:5], s[8:9], 2
	s_add_u32 s4, s14, s4
	s_addc_u32 s5, s15, s5
	v_mov_b32_e32 v0, 0
	global_load_dword v0, v0, s[4:5]
	s_waitcnt vmcnt(0)
	v_cmp_ne_u32_e32 vcc, 0, v0
	s_cbranch_vccz .LBB116_227
.LBB116_226:
	s_endpgm
.LBB116_227:
	v_mov_b32_e32 v0, 0x350
	v_lshl_add_u32 v0, v255, 4, v0
	v_accvgpr_write_b32 a159, v0
	v_cmp_eq_u32_e32 vcc, 52, v255
	s_and_saveexec_b64 s[4:5], vcc
	s_cbranch_execz .LBB116_229
; %bb.228:
	v_accvgpr_read_b32 v0, a107
	buffer_load_dword v2, v0, s[0:3], 0 offen
	buffer_load_dword v3, v0, s[0:3], 0 offen offset:4
	buffer_load_dword v4, v0, s[0:3], 0 offen offset:8
	;; [unrolled: 1-line block ×3, first 2 shown]
	v_mov_b32_e32 v0, 0
	v_accvgpr_read_b32 v1, a159
	buffer_store_dword v0, off, s[0:3], 0 offset:832
	buffer_store_dword v0, off, s[0:3], 0 offset:836
	;; [unrolled: 1-line block ×4, first 2 shown]
	s_waitcnt vmcnt(4)
	ds_write_b128 v1, v[2:5]
.LBB116_229:
	s_or_b64 exec, exec, s[4:5]
	s_waitcnt lgkmcnt(0)
	; wave barrier
	s_waitcnt lgkmcnt(0)
	buffer_load_dword v0, off, s[0:3], 0 offset:856
	buffer_load_dword v1, off, s[0:3], 0 offset:860
	;; [unrolled: 1-line block ×8, first 2 shown]
	v_mov_b32_e32 v2, 0
	ds_read_b128 v[4:7], v2 offset:1680
	v_cmp_lt_u32_e32 vcc, 50, v255
	s_waitcnt vmcnt(6) lgkmcnt(0)
	v_mul_f64 v[14:15], v[4:5], v[0:1]
	v_mul_f64 v[0:1], v[6:7], v[0:1]
	s_waitcnt vmcnt(4)
	v_fma_f64 v[0:1], v[4:5], v[8:9], -v[0:1]
	v_fmac_f64_e32 v[14:15], v[6:7], v[8:9]
	v_add_f64 v[0:1], v[0:1], 0
	v_add_f64 v[4:5], v[14:15], 0
	s_waitcnt vmcnt(2)
	v_add_f64 v[0:1], v[10:11], -v[0:1]
	s_waitcnt vmcnt(0)
	v_add_f64 v[4:5], v[12:13], -v[4:5]
	buffer_store_dword v0, off, s[0:3], 0 offset:832
	buffer_store_dword v1, off, s[0:3], 0 offset:836
	;; [unrolled: 1-line block ×4, first 2 shown]
	s_and_saveexec_b64 s[4:5], vcc
	s_cbranch_execz .LBB116_231
; %bb.230:
	v_accvgpr_read_b32 v0, a108
	buffer_load_dword v4, v0, s[0:3], 0 offen
	buffer_load_dword v5, v0, s[0:3], 0 offen offset:4
	buffer_load_dword v6, v0, s[0:3], 0 offen offset:8
	;; [unrolled: 1-line block ×3, first 2 shown]
	v_accvgpr_read_b32 v0, a159
	buffer_store_dword v2, off, s[0:3], 0 offset:816
	buffer_store_dword v2, off, s[0:3], 0 offset:820
	;; [unrolled: 1-line block ×4, first 2 shown]
	s_waitcnt vmcnt(4)
	ds_write_b128 v0, v[4:7]
.LBB116_231:
	s_or_b64 exec, exec, s[4:5]
	s_waitcnt lgkmcnt(0)
	; wave barrier
	s_waitcnt lgkmcnt(0)
	buffer_load_dword v0, off, s[0:3], 0 offset:840
	buffer_load_dword v1, off, s[0:3], 0 offset:844
	buffer_load_dword v12, off, s[0:3], 0 offset:856
	buffer_load_dword v13, off, s[0:3], 0 offset:860
	buffer_load_dword v14, off, s[0:3], 0 offset:832
	buffer_load_dword v15, off, s[0:3], 0 offset:836
	buffer_load_dword v16, off, s[0:3], 0 offset:848
	buffer_load_dword v17, off, s[0:3], 0 offset:852
	buffer_load_dword v18, off, s[0:3], 0 offset:816
	buffer_load_dword v19, off, s[0:3], 0 offset:820
	buffer_load_dword v20, off, s[0:3], 0 offset:824
	buffer_load_dword v21, off, s[0:3], 0 offset:828
	ds_read_b128 v[4:7], v2 offset:1664
	ds_read_b128 v[8:11], v2 offset:1680
	v_cmp_lt_u32_e32 vcc, 49, v255
	s_waitcnt vmcnt(10) lgkmcnt(1)
	v_mul_f64 v[2:3], v[4:5], v[0:1]
	v_mul_f64 v[0:1], v[6:7], v[0:1]
	s_waitcnt vmcnt(8) lgkmcnt(0)
	v_mul_f64 v[22:23], v[8:9], v[12:13]
	v_mul_f64 v[12:13], v[10:11], v[12:13]
	s_waitcnt vmcnt(6)
	v_fma_f64 v[0:1], v[4:5], v[14:15], -v[0:1]
	v_fmac_f64_e32 v[2:3], v[6:7], v[14:15]
	s_waitcnt vmcnt(4)
	v_fma_f64 v[4:5], v[8:9], v[16:17], -v[12:13]
	v_add_f64 v[0:1], v[0:1], 0
	v_fmac_f64_e32 v[22:23], v[10:11], v[16:17]
	v_add_f64 v[2:3], v[2:3], 0
	v_add_f64 v[0:1], v[0:1], v[4:5]
	;; [unrolled: 1-line block ×3, first 2 shown]
	s_waitcnt vmcnt(2)
	v_add_f64 v[0:1], v[18:19], -v[0:1]
	s_waitcnt vmcnt(0)
	v_add_f64 v[2:3], v[20:21], -v[2:3]
	buffer_store_dword v0, off, s[0:3], 0 offset:816
	buffer_store_dword v1, off, s[0:3], 0 offset:820
	;; [unrolled: 1-line block ×4, first 2 shown]
	s_and_saveexec_b64 s[4:5], vcc
	s_cbranch_execz .LBB116_233
; %bb.232:
	v_accvgpr_read_b32 v0, a109
	buffer_load_dword v2, v0, s[0:3], 0 offen
	buffer_load_dword v3, v0, s[0:3], 0 offen offset:4
	buffer_load_dword v4, v0, s[0:3], 0 offen offset:8
	;; [unrolled: 1-line block ×3, first 2 shown]
	v_mov_b32_e32 v0, 0
	v_accvgpr_read_b32 v1, a159
	buffer_store_dword v0, off, s[0:3], 0 offset:800
	buffer_store_dword v0, off, s[0:3], 0 offset:804
	;; [unrolled: 1-line block ×4, first 2 shown]
	s_waitcnt vmcnt(4)
	ds_write_b128 v1, v[2:5]
.LBB116_233:
	s_or_b64 exec, exec, s[4:5]
	s_waitcnt lgkmcnt(0)
	; wave barrier
	s_waitcnt lgkmcnt(0)
	buffer_load_dword v0, off, s[0:3], 0 offset:824
	buffer_load_dword v1, off, s[0:3], 0 offset:828
	buffer_load_dword v16, off, s[0:3], 0 offset:840
	buffer_load_dword v17, off, s[0:3], 0 offset:844
	buffer_load_dword v18, off, s[0:3], 0 offset:856
	buffer_load_dword v19, off, s[0:3], 0 offset:860
	buffer_load_dword v20, off, s[0:3], 0 offset:816
	buffer_load_dword v21, off, s[0:3], 0 offset:820
	buffer_load_dword v22, off, s[0:3], 0 offset:832
	buffer_load_dword v23, off, s[0:3], 0 offset:836
	buffer_load_dword v24, off, s[0:3], 0 offset:848
	buffer_load_dword v25, off, s[0:3], 0 offset:852
	buffer_load_dword v26, off, s[0:3], 0 offset:800
	buffer_load_dword v27, off, s[0:3], 0 offset:804
	buffer_load_dword v28, off, s[0:3], 0 offset:808
	buffer_load_dword v29, off, s[0:3], 0 offset:812
	v_mov_b32_e32 v2, 0
	ds_read_b128 v[4:7], v2 offset:1648
	ds_read_b128 v[8:11], v2 offset:1664
	;; [unrolled: 1-line block ×3, first 2 shown]
	v_cmp_lt_u32_e32 vcc, 48, v255
	s_waitcnt vmcnt(14) lgkmcnt(2)
	v_mul_f64 v[30:31], v[4:5], v[0:1]
	v_mul_f64 v[0:1], v[6:7], v[0:1]
	s_waitcnt vmcnt(12) lgkmcnt(1)
	v_mul_f64 v[32:33], v[8:9], v[16:17]
	v_mul_f64 v[16:17], v[10:11], v[16:17]
	;; [unrolled: 3-line block ×3, first 2 shown]
	s_waitcnt vmcnt(8)
	v_fma_f64 v[0:1], v[4:5], v[20:21], -v[0:1]
	v_fmac_f64_e32 v[30:31], v[6:7], v[20:21]
	s_waitcnt vmcnt(6)
	v_fma_f64 v[4:5], v[8:9], v[22:23], -v[16:17]
	v_add_f64 v[0:1], v[0:1], 0
	v_fmac_f64_e32 v[32:33], v[10:11], v[22:23]
	s_waitcnt vmcnt(4)
	v_fma_f64 v[6:7], v[12:13], v[24:25], -v[18:19]
	v_add_f64 v[8:9], v[30:31], 0
	v_add_f64 v[0:1], v[0:1], v[4:5]
	v_fmac_f64_e32 v[34:35], v[14:15], v[24:25]
	v_add_f64 v[8:9], v[8:9], v[32:33]
	v_add_f64 v[0:1], v[0:1], v[6:7]
	;; [unrolled: 1-line block ×3, first 2 shown]
	s_waitcnt vmcnt(2)
	v_add_f64 v[0:1], v[26:27], -v[0:1]
	s_waitcnt vmcnt(0)
	v_add_f64 v[4:5], v[28:29], -v[4:5]
	buffer_store_dword v0, off, s[0:3], 0 offset:800
	buffer_store_dword v1, off, s[0:3], 0 offset:804
	;; [unrolled: 1-line block ×4, first 2 shown]
	s_and_saveexec_b64 s[4:5], vcc
	s_cbranch_execz .LBB116_235
; %bb.234:
	v_accvgpr_read_b32 v0, a110
	buffer_load_dword v4, v0, s[0:3], 0 offen
	buffer_load_dword v5, v0, s[0:3], 0 offen offset:4
	buffer_load_dword v6, v0, s[0:3], 0 offen offset:8
	;; [unrolled: 1-line block ×3, first 2 shown]
	v_accvgpr_read_b32 v0, a159
	buffer_store_dword v2, off, s[0:3], 0 offset:784
	buffer_store_dword v2, off, s[0:3], 0 offset:788
	;; [unrolled: 1-line block ×4, first 2 shown]
	s_waitcnt vmcnt(4)
	ds_write_b128 v0, v[4:7]
.LBB116_235:
	s_or_b64 exec, exec, s[4:5]
	s_waitcnt lgkmcnt(0)
	; wave barrier
	s_waitcnt lgkmcnt(0)
	buffer_load_dword v0, off, s[0:3], 0 offset:808
	buffer_load_dword v1, off, s[0:3], 0 offset:812
	buffer_load_dword v20, off, s[0:3], 0 offset:824
	buffer_load_dword v21, off, s[0:3], 0 offset:828
	buffer_load_dword v22, off, s[0:3], 0 offset:840
	buffer_load_dword v23, off, s[0:3], 0 offset:844
	buffer_load_dword v25, off, s[0:3], 0 offset:860
	buffer_load_dword v24, off, s[0:3], 0 offset:856
	buffer_load_dword v26, off, s[0:3], 0 offset:800
	buffer_load_dword v27, off, s[0:3], 0 offset:804
	buffer_load_dword v28, off, s[0:3], 0 offset:816
	buffer_load_dword v29, off, s[0:3], 0 offset:820
	buffer_load_dword v30, off, s[0:3], 0 offset:832
	buffer_load_dword v31, off, s[0:3], 0 offset:836
	buffer_load_dword v33, off, s[0:3], 0 offset:852
	buffer_load_dword v32, off, s[0:3], 0 offset:848
	buffer_load_dword v34, off, s[0:3], 0 offset:784
	buffer_load_dword v35, off, s[0:3], 0 offset:788
	buffer_load_dword v36, off, s[0:3], 0 offset:792
	buffer_load_dword v37, off, s[0:3], 0 offset:796
	ds_read_b128 v[4:7], v2 offset:1632
	ds_read_b128 v[8:11], v2 offset:1648
	;; [unrolled: 1-line block ×4, first 2 shown]
	v_cmp_lt_u32_e32 vcc, 47, v255
	s_waitcnt vmcnt(18) lgkmcnt(3)
	v_mul_f64 v[2:3], v[4:5], v[0:1]
	v_mul_f64 v[0:1], v[6:7], v[0:1]
	s_waitcnt vmcnt(16) lgkmcnt(2)
	v_mul_f64 v[38:39], v[8:9], v[20:21]
	v_mul_f64 v[20:21], v[10:11], v[20:21]
	;; [unrolled: 3-line block ×4, first 2 shown]
	s_waitcnt vmcnt(10)
	v_fma_f64 v[0:1], v[4:5], v[26:27], -v[0:1]
	v_fmac_f64_e32 v[2:3], v[6:7], v[26:27]
	s_waitcnt vmcnt(8)
	v_fma_f64 v[4:5], v[8:9], v[28:29], -v[20:21]
	v_add_f64 v[0:1], v[0:1], 0
	v_fmac_f64_e32 v[38:39], v[10:11], v[28:29]
	s_waitcnt vmcnt(6)
	v_fma_f64 v[6:7], v[12:13], v[30:31], -v[22:23]
	v_add_f64 v[2:3], v[2:3], 0
	v_add_f64 v[0:1], v[0:1], v[4:5]
	v_fmac_f64_e32 v[40:41], v[14:15], v[30:31]
	s_waitcnt vmcnt(4)
	v_fma_f64 v[8:9], v[16:17], v[32:33], -v[24:25]
	v_add_f64 v[2:3], v[2:3], v[38:39]
	v_add_f64 v[0:1], v[0:1], v[6:7]
	v_fmac_f64_e32 v[42:43], v[18:19], v[32:33]
	v_add_f64 v[2:3], v[2:3], v[40:41]
	v_add_f64 v[0:1], v[0:1], v[8:9]
	;; [unrolled: 1-line block ×3, first 2 shown]
	s_waitcnt vmcnt(2)
	v_add_f64 v[0:1], v[34:35], -v[0:1]
	s_waitcnt vmcnt(0)
	v_add_f64 v[2:3], v[36:37], -v[2:3]
	buffer_store_dword v0, off, s[0:3], 0 offset:784
	buffer_store_dword v1, off, s[0:3], 0 offset:788
	;; [unrolled: 1-line block ×4, first 2 shown]
	s_and_saveexec_b64 s[4:5], vcc
	s_cbranch_execz .LBB116_237
; %bb.236:
	v_accvgpr_read_b32 v0, a111
	buffer_load_dword v2, v0, s[0:3], 0 offen
	buffer_load_dword v3, v0, s[0:3], 0 offen offset:4
	buffer_load_dword v4, v0, s[0:3], 0 offen offset:8
	;; [unrolled: 1-line block ×3, first 2 shown]
	v_mov_b32_e32 v0, 0
	v_accvgpr_read_b32 v1, a159
	buffer_store_dword v0, off, s[0:3], 0 offset:768
	buffer_store_dword v0, off, s[0:3], 0 offset:772
	buffer_store_dword v0, off, s[0:3], 0 offset:776
	buffer_store_dword v0, off, s[0:3], 0 offset:780
	s_waitcnt vmcnt(4)
	ds_write_b128 v1, v[2:5]
.LBB116_237:
	s_or_b64 exec, exec, s[4:5]
	s_waitcnt lgkmcnt(0)
	; wave barrier
	s_waitcnt lgkmcnt(0)
	buffer_load_dword v0, off, s[0:3], 0 offset:792
	buffer_load_dword v1, off, s[0:3], 0 offset:796
	;; [unrolled: 1-line block ×24, first 2 shown]
	v_mov_b32_e32 v2, 0
	ds_read_b128 v[4:7], v2 offset:1616
	ds_read_b128 v[8:11], v2 offset:1632
	;; [unrolled: 1-line block ×5, first 2 shown]
	v_cmp_lt_u32_e32 vcc, 46, v255
	s_waitcnt vmcnt(22) lgkmcnt(4)
	v_mul_f64 v[46:47], v[4:5], v[0:1]
	v_mul_f64 v[0:1], v[6:7], v[0:1]
	s_waitcnt vmcnt(20) lgkmcnt(3)
	v_mul_f64 v[48:49], v[8:9], v[24:25]
	v_mul_f64 v[24:25], v[10:11], v[24:25]
	;; [unrolled: 3-line block ×4, first 2 shown]
	s_waitcnt vmcnt(13) lgkmcnt(0)
	v_mul_f64 v[54:55], v[20:21], v[28:29]
	s_waitcnt vmcnt(11)
	v_fma_f64 v[0:1], v[4:5], v[34:35], -v[0:1]
	v_fmac_f64_e32 v[46:47], v[6:7], v[34:35]
	s_waitcnt vmcnt(9)
	v_fma_f64 v[4:5], v[8:9], v[36:37], -v[24:25]
	v_add_f64 v[0:1], v[0:1], 0
	v_fmac_f64_e32 v[48:49], v[10:11], v[36:37]
	s_waitcnt vmcnt(7)
	v_fma_f64 v[6:7], v[12:13], v[38:39], -v[26:27]
	v_add_f64 v[12:13], v[46:47], 0
	v_add_f64 v[0:1], v[0:1], v[4:5]
	v_mul_f64 v[28:29], v[22:23], v[28:29]
	v_fmac_f64_e32 v[50:51], v[14:15], v[38:39]
	s_waitcnt vmcnt(5)
	v_fma_f64 v[8:9], v[16:17], v[40:41], -v[32:33]
	v_add_f64 v[12:13], v[12:13], v[48:49]
	v_add_f64 v[0:1], v[0:1], v[6:7]
	v_fmac_f64_e32 v[52:53], v[18:19], v[40:41]
	s_waitcnt vmcnt(4)
	v_fma_f64 v[10:11], v[20:21], v[30:31], -v[28:29]
	v_add_f64 v[4:5], v[12:13], v[50:51]
	v_add_f64 v[0:1], v[0:1], v[8:9]
	v_fmac_f64_e32 v[54:55], v[22:23], v[30:31]
	v_add_f64 v[4:5], v[4:5], v[52:53]
	v_add_f64 v[0:1], v[0:1], v[10:11]
	;; [unrolled: 1-line block ×3, first 2 shown]
	s_waitcnt vmcnt(2)
	v_add_f64 v[0:1], v[42:43], -v[0:1]
	s_waitcnt vmcnt(0)
	v_add_f64 v[4:5], v[44:45], -v[4:5]
	buffer_store_dword v1, off, s[0:3], 0 offset:772
	buffer_store_dword v0, off, s[0:3], 0 offset:768
	;; [unrolled: 1-line block ×4, first 2 shown]
	s_and_saveexec_b64 s[4:5], vcc
	s_cbranch_execz .LBB116_239
; %bb.238:
	v_accvgpr_read_b32 v0, a112
	buffer_load_dword v4, v0, s[0:3], 0 offen
	buffer_load_dword v5, v0, s[0:3], 0 offen offset:4
	buffer_load_dword v6, v0, s[0:3], 0 offen offset:8
	;; [unrolled: 1-line block ×3, first 2 shown]
	v_accvgpr_read_b32 v0, a159
	buffer_store_dword v2, off, s[0:3], 0 offset:752
	buffer_store_dword v2, off, s[0:3], 0 offset:756
	;; [unrolled: 1-line block ×4, first 2 shown]
	s_waitcnt vmcnt(4)
	ds_write_b128 v0, v[4:7]
.LBB116_239:
	s_or_b64 exec, exec, s[4:5]
	s_waitcnt lgkmcnt(0)
	; wave barrier
	s_waitcnt lgkmcnt(0)
	buffer_load_dword v0, off, s[0:3], 0 offset:776
	buffer_load_dword v1, off, s[0:3], 0 offset:780
	;; [unrolled: 1-line block ×28, first 2 shown]
	ds_read_b128 v[4:7], v2 offset:1600
	ds_read_b128 v[8:11], v2 offset:1616
	;; [unrolled: 1-line block ×6, first 2 shown]
	v_cmp_lt_u32_e32 vcc, 45, v255
	s_waitcnt vmcnt(26) lgkmcnt(5)
	v_mul_f64 v[2:3], v[4:5], v[0:1]
	v_mul_f64 v[0:1], v[6:7], v[0:1]
	s_waitcnt vmcnt(24) lgkmcnt(4)
	v_mul_f64 v[54:55], v[8:9], v[28:29]
	v_mul_f64 v[28:29], v[10:11], v[28:29]
	;; [unrolled: 3-line block ×4, first 2 shown]
	s_waitcnt vmcnt(17)
	v_mul_f64 v[58:59], v[16:17], v[36:37]
	v_mul_f64 v[36:37], v[18:19], v[36:37]
	s_waitcnt vmcnt(15) lgkmcnt(0)
	v_mul_f64 v[62:63], v[24:25], v[38:39]
	v_mul_f64 v[38:39], v[26:27], v[38:39]
	s_waitcnt vmcnt(14)
	v_fmac_f64_e32 v[60:61], v[22:23], v[34:35]
	s_waitcnt vmcnt(12)
	v_fma_f64 v[0:1], v[4:5], v[40:41], -v[0:1]
	v_fmac_f64_e32 v[2:3], v[6:7], v[40:41]
	s_waitcnt vmcnt(10)
	v_fma_f64 v[4:5], v[8:9], v[42:43], -v[28:29]
	v_add_f64 v[0:1], v[0:1], 0
	v_fmac_f64_e32 v[54:55], v[10:11], v[42:43]
	s_waitcnt vmcnt(8)
	v_fma_f64 v[6:7], v[12:13], v[44:45], -v[30:31]
	v_add_f64 v[2:3], v[2:3], 0
	v_add_f64 v[0:1], v[0:1], v[4:5]
	v_fmac_f64_e32 v[56:57], v[14:15], v[44:45]
	s_waitcnt vmcnt(6)
	v_fma_f64 v[8:9], v[16:17], v[46:47], -v[36:37]
	v_add_f64 v[2:3], v[2:3], v[54:55]
	v_add_f64 v[0:1], v[0:1], v[6:7]
	v_fmac_f64_e32 v[58:59], v[18:19], v[46:47]
	v_fma_f64 v[10:11], v[20:21], v[34:35], -v[32:33]
	v_add_f64 v[2:3], v[2:3], v[56:57]
	v_add_f64 v[0:1], v[0:1], v[8:9]
	s_waitcnt vmcnt(4)
	v_fma_f64 v[12:13], v[24:25], v[48:49], -v[38:39]
	v_add_f64 v[2:3], v[2:3], v[58:59]
	v_add_f64 v[0:1], v[0:1], v[10:11]
	v_fmac_f64_e32 v[62:63], v[26:27], v[48:49]
	v_add_f64 v[2:3], v[2:3], v[60:61]
	v_add_f64 v[0:1], v[0:1], v[12:13]
	;; [unrolled: 1-line block ×3, first 2 shown]
	s_waitcnt vmcnt(2)
	v_add_f64 v[0:1], v[50:51], -v[0:1]
	s_waitcnt vmcnt(0)
	v_add_f64 v[2:3], v[52:53], -v[2:3]
	buffer_store_dword v1, off, s[0:3], 0 offset:756
	buffer_store_dword v0, off, s[0:3], 0 offset:752
	;; [unrolled: 1-line block ×4, first 2 shown]
	s_and_saveexec_b64 s[4:5], vcc
	s_cbranch_execz .LBB116_241
; %bb.240:
	v_accvgpr_read_b32 v0, a113
	buffer_load_dword v2, v0, s[0:3], 0 offen
	buffer_load_dword v3, v0, s[0:3], 0 offen offset:4
	buffer_load_dword v4, v0, s[0:3], 0 offen offset:8
	;; [unrolled: 1-line block ×3, first 2 shown]
	v_mov_b32_e32 v0, 0
	v_accvgpr_read_b32 v1, a159
	buffer_store_dword v0, off, s[0:3], 0 offset:736
	buffer_store_dword v0, off, s[0:3], 0 offset:740
	;; [unrolled: 1-line block ×4, first 2 shown]
	s_waitcnt vmcnt(4)
	ds_write_b128 v1, v[2:5]
.LBB116_241:
	s_or_b64 exec, exec, s[4:5]
	s_waitcnt lgkmcnt(0)
	; wave barrier
	s_waitcnt lgkmcnt(0)
	buffer_load_dword v0, off, s[0:3], 0 offset:760
	buffer_load_dword v1, off, s[0:3], 0 offset:764
	;; [unrolled: 1-line block ×32, first 2 shown]
	v_mov_b32_e32 v2, 0
	ds_read_b128 v[4:7], v2 offset:1584
	ds_read_b128 v[8:11], v2 offset:1600
	;; [unrolled: 1-line block ×7, first 2 shown]
	v_cmp_lt_u32_e32 vcc, 44, v255
	s_waitcnt vmcnt(30) lgkmcnt(6)
	v_mul_f64 v[62:63], v[4:5], v[0:1]
	v_mul_f64 v[0:1], v[6:7], v[0:1]
	s_waitcnt vmcnt(28) lgkmcnt(5)
	v_mul_f64 v[64:65], v[8:9], v[32:33]
	v_mul_f64 v[32:33], v[10:11], v[32:33]
	;; [unrolled: 3-line block ×4, first 2 shown]
	s_waitcnt vmcnt(21)
	v_mul_f64 v[68:69], v[16:17], v[40:41]
	v_mul_f64 v[40:41], v[18:19], v[40:41]
	s_waitcnt vmcnt(17) lgkmcnt(1)
	v_mul_f64 v[72:73], v[24:25], v[46:47]
	v_mul_f64 v[46:47], v[26:27], v[46:47]
	s_waitcnt vmcnt(16) lgkmcnt(0)
	v_mul_f64 v[74:75], v[28:29], v[42:43]
	v_mul_f64 v[42:43], v[30:31], v[42:43]
	s_waitcnt vmcnt(13)
	v_fma_f64 v[0:1], v[4:5], v[48:49], -v[0:1]
	v_fmac_f64_e32 v[62:63], v[6:7], v[48:49]
	s_waitcnt vmcnt(11)
	v_fma_f64 v[4:5], v[8:9], v[50:51], -v[32:33]
	v_add_f64 v[0:1], v[0:1], 0
	v_fmac_f64_e32 v[64:65], v[10:11], v[50:51]
	s_waitcnt vmcnt(9)
	v_fma_f64 v[6:7], v[12:13], v[52:53], -v[34:35]
	s_waitcnt vmcnt(7)
	v_fma_f64 v[8:9], v[16:17], v[54:55], -v[40:41]
	v_add_f64 v[16:17], v[62:63], 0
	v_add_f64 v[0:1], v[0:1], v[4:5]
	v_fmac_f64_e32 v[66:67], v[14:15], v[52:53]
	v_add_f64 v[16:17], v[16:17], v[64:65]
	v_add_f64 v[0:1], v[0:1], v[6:7]
	v_fmac_f64_e32 v[68:69], v[18:19], v[54:55]
	v_fma_f64 v[10:11], v[20:21], v[38:39], -v[36:37]
	v_add_f64 v[4:5], v[16:17], v[66:67]
	v_add_f64 v[0:1], v[0:1], v[8:9]
	v_fmac_f64_e32 v[70:71], v[22:23], v[38:39]
	s_waitcnt vmcnt(5)
	v_fma_f64 v[12:13], v[24:25], v[56:57], -v[46:47]
	v_add_f64 v[4:5], v[4:5], v[68:69]
	v_add_f64 v[0:1], v[0:1], v[10:11]
	v_fmac_f64_e32 v[72:73], v[26:27], v[56:57]
	s_waitcnt vmcnt(4)
	v_fma_f64 v[14:15], v[28:29], v[44:45], -v[42:43]
	v_add_f64 v[4:5], v[4:5], v[70:71]
	v_add_f64 v[0:1], v[0:1], v[12:13]
	v_fmac_f64_e32 v[74:75], v[30:31], v[44:45]
	v_add_f64 v[4:5], v[4:5], v[72:73]
	v_add_f64 v[0:1], v[0:1], v[14:15]
	;; [unrolled: 1-line block ×3, first 2 shown]
	s_waitcnt vmcnt(2)
	v_add_f64 v[0:1], v[58:59], -v[0:1]
	s_waitcnt vmcnt(0)
	v_add_f64 v[4:5], v[60:61], -v[4:5]
	buffer_store_dword v1, off, s[0:3], 0 offset:740
	buffer_store_dword v0, off, s[0:3], 0 offset:736
	;; [unrolled: 1-line block ×4, first 2 shown]
	s_and_saveexec_b64 s[4:5], vcc
	s_cbranch_execz .LBB116_243
; %bb.242:
	v_accvgpr_read_b32 v0, a114
	buffer_load_dword v4, v0, s[0:3], 0 offen
	buffer_load_dword v5, v0, s[0:3], 0 offen offset:4
	buffer_load_dword v6, v0, s[0:3], 0 offen offset:8
	buffer_load_dword v7, v0, s[0:3], 0 offen offset:12
	v_accvgpr_read_b32 v0, a159
	buffer_store_dword v2, off, s[0:3], 0 offset:720
	buffer_store_dword v2, off, s[0:3], 0 offset:724
	;; [unrolled: 1-line block ×4, first 2 shown]
	s_waitcnt vmcnt(4)
	ds_write_b128 v0, v[4:7]
.LBB116_243:
	s_or_b64 exec, exec, s[4:5]
	s_waitcnt lgkmcnt(0)
	; wave barrier
	s_waitcnt lgkmcnt(0)
	buffer_load_dword v0, off, s[0:3], 0 offset:744
	buffer_load_dword v1, off, s[0:3], 0 offset:748
	;; [unrolled: 1-line block ×36, first 2 shown]
	ds_read_b128 v[4:7], v2 offset:1568
	ds_read_b128 v[8:11], v2 offset:1584
	;; [unrolled: 1-line block ×8, first 2 shown]
	v_cmp_lt_u32_e32 vcc, 43, v255
	s_waitcnt vmcnt(34) lgkmcnt(7)
	v_mul_f64 v[2:3], v[4:5], v[0:1]
	v_mul_f64 v[0:1], v[6:7], v[0:1]
	s_waitcnt vmcnt(32) lgkmcnt(6)
	v_mul_f64 v[70:71], v[8:9], v[36:37]
	v_mul_f64 v[36:37], v[10:11], v[36:37]
	;; [unrolled: 3-line block ×4, first 2 shown]
	s_waitcnt vmcnt(25)
	v_mul_f64 v[74:75], v[16:17], v[44:45]
	v_mul_f64 v[44:45], v[18:19], v[44:45]
	s_waitcnt vmcnt(23) lgkmcnt(1)
	v_mul_f64 v[80:81], v[28:29], v[46:47]
	v_mul_f64 v[46:47], v[30:31], v[46:47]
	s_waitcnt vmcnt(20)
	v_mul_f64 v[78:79], v[24:25], v[50:51]
	v_mul_f64 v[50:51], v[26:27], v[50:51]
	s_waitcnt vmcnt(18) lgkmcnt(0)
	v_mul_f64 v[82:83], v[32:33], v[52:53]
	s_waitcnt vmcnt(17)
	v_fmac_f64_e32 v[76:77], v[22:23], v[42:43]
	s_waitcnt vmcnt(16)
	v_fmac_f64_e32 v[80:81], v[30:31], v[48:49]
	s_waitcnt vmcnt(14)
	v_fma_f64 v[0:1], v[4:5], v[54:55], -v[0:1]
	v_fmac_f64_e32 v[2:3], v[6:7], v[54:55]
	s_waitcnt vmcnt(12)
	v_fma_f64 v[4:5], v[8:9], v[56:57], -v[36:37]
	v_add_f64 v[0:1], v[0:1], 0
	v_fmac_f64_e32 v[70:71], v[10:11], v[56:57]
	s_waitcnt vmcnt(10)
	v_fma_f64 v[6:7], v[12:13], v[58:59], -v[38:39]
	v_add_f64 v[2:3], v[2:3], 0
	v_add_f64 v[0:1], v[0:1], v[4:5]
	v_fmac_f64_e32 v[72:73], v[14:15], v[58:59]
	s_waitcnt vmcnt(8)
	v_fma_f64 v[8:9], v[16:17], v[60:61], -v[44:45]
	v_add_f64 v[2:3], v[2:3], v[70:71]
	v_add_f64 v[0:1], v[0:1], v[6:7]
	v_fmac_f64_e32 v[74:75], v[18:19], v[60:61]
	v_fma_f64 v[10:11], v[20:21], v[42:43], -v[40:41]
	v_add_f64 v[2:3], v[2:3], v[72:73]
	v_add_f64 v[0:1], v[0:1], v[8:9]
	s_waitcnt vmcnt(6)
	v_fma_f64 v[12:13], v[24:25], v[62:63], -v[50:51]
	v_add_f64 v[2:3], v[2:3], v[74:75]
	v_add_f64 v[0:1], v[0:1], v[10:11]
	v_fmac_f64_e32 v[78:79], v[26:27], v[62:63]
	v_fma_f64 v[14:15], v[28:29], v[48:49], -v[46:47]
	v_add_f64 v[2:3], v[2:3], v[76:77]
	v_add_f64 v[0:1], v[0:1], v[12:13]
	v_mul_f64 v[4:5], v[34:35], v[52:53]
	v_add_f64 v[2:3], v[2:3], v[78:79]
	v_add_f64 v[0:1], v[0:1], v[14:15]
	s_waitcnt vmcnt(4)
	v_fma_f64 v[4:5], v[32:33], v[64:65], -v[4:5]
	v_fmac_f64_e32 v[82:83], v[34:35], v[64:65]
	v_add_f64 v[2:3], v[2:3], v[80:81]
	v_add_f64 v[0:1], v[0:1], v[4:5]
	;; [unrolled: 1-line block ×3, first 2 shown]
	s_waitcnt vmcnt(2)
	v_add_f64 v[0:1], v[66:67], -v[0:1]
	s_waitcnt vmcnt(0)
	v_add_f64 v[2:3], v[68:69], -v[2:3]
	buffer_store_dword v1, off, s[0:3], 0 offset:724
	buffer_store_dword v0, off, s[0:3], 0 offset:720
	;; [unrolled: 1-line block ×4, first 2 shown]
	s_and_saveexec_b64 s[4:5], vcc
	s_cbranch_execz .LBB116_245
; %bb.244:
	v_accvgpr_read_b32 v0, a115
	buffer_load_dword v2, v0, s[0:3], 0 offen
	buffer_load_dword v3, v0, s[0:3], 0 offen offset:4
	buffer_load_dword v4, v0, s[0:3], 0 offen offset:8
	;; [unrolled: 1-line block ×3, first 2 shown]
	v_mov_b32_e32 v0, 0
	v_accvgpr_read_b32 v1, a159
	buffer_store_dword v0, off, s[0:3], 0 offset:704
	buffer_store_dword v0, off, s[0:3], 0 offset:708
	;; [unrolled: 1-line block ×4, first 2 shown]
	s_waitcnt vmcnt(4)
	ds_write_b128 v1, v[2:5]
.LBB116_245:
	s_or_b64 exec, exec, s[4:5]
	v_mov_b32_e32 v82, 0
	s_waitcnt lgkmcnt(0)
	; wave barrier
	s_waitcnt lgkmcnt(0)
	ds_read_b128 v[18:21], v82 offset:1552
	ds_read_b128 v[14:17], v82 offset:1568
	;; [unrolled: 1-line block ×4, first 2 shown]
	buffer_load_dword v40, off, s[0:3], 0 offset:704
	buffer_load_dword v41, off, s[0:3], 0 offset:708
	buffer_load_dword v38, off, s[0:3], 0 offset:712
	buffer_load_dword v39, off, s[0:3], 0 offset:716
	buffer_load_dword v44, off, s[0:3], 0 offset:720
	buffer_load_dword v45, off, s[0:3], 0 offset:724
	buffer_load_dword v56, off, s[0:3], 0 offset:728
	buffer_load_dword v57, off, s[0:3], 0 offset:732
	buffer_load_dword v50, off, s[0:3], 0 offset:736
	buffer_load_dword v51, off, s[0:3], 0 offset:740
	buffer_load_dword v54, off, s[0:3], 0 offset:744
	buffer_load_dword v55, off, s[0:3], 0 offset:748
	buffer_load_dword v48, off, s[0:3], 0 offset:752
	buffer_load_dword v49, off, s[0:3], 0 offset:756
	buffer_load_dword v52, off, s[0:3], 0 offset:760
	buffer_load_dword v53, off, s[0:3], 0 offset:764
	buffer_load_dword v47, off, s[0:3], 0 offset:772
	buffer_load_dword v46, off, s[0:3], 0 offset:768
	buffer_load_dword v59, off, s[0:3], 0 offset:780
	buffer_load_dword v58, off, s[0:3], 0 offset:776
	v_cmp_lt_u32_e32 vcc, 42, v255
	s_waitcnt vmcnt(12) lgkmcnt(3)
	v_mul_f64 v[0:1], v[18:19], v[56:57]
	v_fmac_f64_e32 v[0:1], v[20:21], v[44:45]
	v_add_f64 v[0:1], v[0:1], 0
	v_mul_f64 v[20:21], v[20:21], v[56:57]
	s_waitcnt vmcnt(8) lgkmcnt(2)
	v_mul_f64 v[6:7], v[14:15], v[54:55]
	v_fmac_f64_e32 v[6:7], v[16:17], v[50:51]
	v_add_f64 v[0:1], v[0:1], v[6:7]
	v_fma_f64 v[18:19], v[18:19], v[44:45], -v[20:21]
	s_waitcnt vmcnt(4) lgkmcnt(1)
	v_mul_f64 v[6:7], v[10:11], v[52:53]
	v_fmac_f64_e32 v[6:7], v[12:13], v[48:49]
	v_add_f64 v[0:1], v[0:1], v[6:7]
	s_waitcnt vmcnt(0) lgkmcnt(0)
	v_mul_f64 v[6:7], v[2:3], v[58:59]
	v_fmac_f64_e32 v[6:7], v[4:5], v[46:47]
	v_add_f64 v[0:1], v[0:1], v[6:7]
	ds_read_b128 v[6:9], v82 offset:1616
	buffer_load_dword v43, off, s[0:3], 0 offset:788
	buffer_load_dword v42, off, s[0:3], 0 offset:784
	;; [unrolled: 1-line block ×4, first 2 shown]
	v_mul_f64 v[16:17], v[16:17], v[54:55]
	v_add_f64 v[18:19], v[18:19], 0
	v_fma_f64 v[14:15], v[14:15], v[50:51], -v[16:17]
	v_mul_f64 v[12:13], v[12:13], v[52:53]
	v_add_f64 v[14:15], v[18:19], v[14:15]
	v_fma_f64 v[10:11], v[10:11], v[48:49], -v[12:13]
	;; [unrolled: 3-line block ×3, first 2 shown]
	v_add_f64 v[2:3], v[10:11], v[2:3]
	s_waitcnt vmcnt(0) lgkmcnt(0)
	v_mul_f64 v[22:23], v[6:7], v[60:61]
	v_fmac_f64_e32 v[22:23], v[8:9], v[42:43]
	v_add_f64 v[0:1], v[0:1], v[22:23]
	ds_read_b128 v[22:25], v82 offset:1632
	buffer_load_dword v63, off, s[0:3], 0 offset:804
	buffer_load_dword v62, off, s[0:3], 0 offset:800
	buffer_load_dword v65, off, s[0:3], 0 offset:812
	buffer_load_dword v64, off, s[0:3], 0 offset:808
	v_mul_f64 v[4:5], v[8:9], v[60:61]
	v_fma_f64 v[4:5], v[6:7], v[42:43], -v[4:5]
	v_add_f64 v[2:3], v[2:3], v[4:5]
	s_waitcnt vmcnt(0) lgkmcnt(0)
	v_mul_f64 v[26:27], v[22:23], v[64:65]
	v_fmac_f64_e32 v[26:27], v[24:25], v[62:63]
	v_add_f64 v[0:1], v[0:1], v[26:27]
	ds_read_b128 v[26:29], v82 offset:1648
	buffer_load_dword v67, off, s[0:3], 0 offset:820
	buffer_load_dword v66, off, s[0:3], 0 offset:816
	buffer_load_dword v69, off, s[0:3], 0 offset:828
	buffer_load_dword v68, off, s[0:3], 0 offset:824
	v_mul_f64 v[4:5], v[24:25], v[64:65]
	v_fma_f64 v[4:5], v[22:23], v[62:63], -v[4:5]
	;; [unrolled: 12-line block ×4, first 2 shown]
	v_add_f64 v[2:3], v[2:3], v[4:5]
	s_waitcnt vmcnt(0) lgkmcnt(0)
	v_mul_f64 v[4:5], v[36:37], v[76:77]
	v_mul_f64 v[78:79], v[34:35], v[76:77]
	v_fma_f64 v[4:5], v[34:35], v[74:75], -v[4:5]
	v_fmac_f64_e32 v[78:79], v[36:37], v[74:75]
	v_add_f64 v[2:3], v[2:3], v[4:5]
	v_add_f64 v[0:1], v[0:1], v[78:79]
	v_add_f64 v[2:3], v[40:41], -v[2:3]
	v_add_f64 v[0:1], v[38:39], -v[0:1]
	buffer_store_dword v3, off, s[0:3], 0 offset:708
	buffer_store_dword v2, off, s[0:3], 0 offset:704
	;; [unrolled: 1-line block ×4, first 2 shown]
	s_and_saveexec_b64 s[4:5], vcc
	s_cbranch_execz .LBB116_247
; %bb.246:
	v_accvgpr_read_b32 v0, a116
	buffer_load_dword v2, v0, s[0:3], 0 offen
	buffer_load_dword v3, v0, s[0:3], 0 offen offset:4
	buffer_load_dword v4, v0, s[0:3], 0 offen offset:8
	;; [unrolled: 1-line block ×3, first 2 shown]
	v_accvgpr_read_b32 v0, a159
	buffer_store_dword v82, off, s[0:3], 0 offset:688
	buffer_store_dword v82, off, s[0:3], 0 offset:692
	;; [unrolled: 1-line block ×4, first 2 shown]
	s_waitcnt vmcnt(4)
	ds_write_b128 v0, v[2:5]
.LBB116_247:
	s_or_b64 exec, exec, s[4:5]
	s_waitcnt lgkmcnt(0)
	; wave barrier
	s_waitcnt lgkmcnt(0)
	ds_read_b128 v[18:21], v82 offset:1536
	ds_read_b128 v[10:13], v82 offset:1552
	;; [unrolled: 1-line block ×4, first 2 shown]
	buffer_load_dword v44, off, s[0:3], 0 offset:688
	buffer_load_dword v45, off, s[0:3], 0 offset:692
	;; [unrolled: 1-line block ×20, first 2 shown]
	v_cmp_lt_u32_e32 vcc, 41, v255
	s_waitcnt vmcnt(12) lgkmcnt(3)
	v_mul_f64 v[0:1], v[18:19], v[62:63]
	v_fmac_f64_e32 v[0:1], v[20:21], v[58:59]
	v_add_f64 v[0:1], v[0:1], 0
	v_mul_f64 v[20:21], v[20:21], v[62:63]
	s_waitcnt vmcnt(8) lgkmcnt(2)
	v_mul_f64 v[14:15], v[10:11], v[60:61]
	v_fmac_f64_e32 v[14:15], v[12:13], v[56:57]
	v_add_f64 v[0:1], v[0:1], v[14:15]
	v_fma_f64 v[18:19], v[18:19], v[58:59], -v[20:21]
	s_waitcnt vmcnt(4) lgkmcnt(1)
	v_mul_f64 v[14:15], v[6:7], v[48:49]
	v_fmac_f64_e32 v[14:15], v[8:9], v[46:47]
	v_add_f64 v[0:1], v[0:1], v[14:15]
	s_waitcnt vmcnt(0) lgkmcnt(0)
	v_mul_f64 v[14:15], v[2:3], v[52:53]
	v_fmac_f64_e32 v[14:15], v[4:5], v[50:51]
	v_add_f64 v[0:1], v[0:1], v[14:15]
	ds_read_b128 v[14:17], v82 offset:1600
	buffer_load_dword v55, off, s[0:3], 0 offset:772
	buffer_load_dword v54, off, s[0:3], 0 offset:768
	;; [unrolled: 1-line block ×4, first 2 shown]
	v_mul_f64 v[12:13], v[12:13], v[60:61]
	v_add_f64 v[18:19], v[18:19], 0
	v_fma_f64 v[10:11], v[10:11], v[56:57], -v[12:13]
	v_mul_f64 v[8:9], v[8:9], v[48:49]
	v_add_f64 v[10:11], v[18:19], v[10:11]
	v_fma_f64 v[6:7], v[6:7], v[46:47], -v[8:9]
	;; [unrolled: 3-line block ×3, first 2 shown]
	v_add_f64 v[2:3], v[6:7], v[2:3]
	s_waitcnt vmcnt(0) lgkmcnt(0)
	v_mul_f64 v[22:23], v[14:15], v[64:65]
	v_fmac_f64_e32 v[22:23], v[16:17], v[54:55]
	v_add_f64 v[0:1], v[0:1], v[22:23]
	ds_read_b128 v[22:25], v82 offset:1616
	buffer_load_dword v67, off, s[0:3], 0 offset:788
	buffer_load_dword v66, off, s[0:3], 0 offset:784
	buffer_load_dword v69, off, s[0:3], 0 offset:796
	buffer_load_dword v68, off, s[0:3], 0 offset:792
	v_mul_f64 v[4:5], v[16:17], v[64:65]
	v_fma_f64 v[4:5], v[14:15], v[54:55], -v[4:5]
	v_add_f64 v[2:3], v[2:3], v[4:5]
	s_waitcnt vmcnt(0) lgkmcnt(0)
	v_mul_f64 v[26:27], v[22:23], v[68:69]
	v_fmac_f64_e32 v[26:27], v[24:25], v[66:67]
	v_add_f64 v[0:1], v[0:1], v[26:27]
	ds_read_b128 v[26:29], v82 offset:1632
	buffer_load_dword v71, off, s[0:3], 0 offset:804
	buffer_load_dword v70, off, s[0:3], 0 offset:800
	buffer_load_dword v73, off, s[0:3], 0 offset:812
	buffer_load_dword v72, off, s[0:3], 0 offset:808
	v_mul_f64 v[4:5], v[24:25], v[68:69]
	v_fma_f64 v[4:5], v[22:23], v[66:67], -v[4:5]
	;; [unrolled: 12-line block ×5, first 2 shown]
	v_add_f64 v[2:3], v[2:3], v[4:5]
	s_waitcnt vmcnt(0) lgkmcnt(0)
	v_mul_f64 v[4:5], v[40:41], v[84:85]
	v_mul_f64 v[86:87], v[38:39], v[84:85]
	v_fma_f64 v[4:5], v[38:39], v[82:83], -v[4:5]
	v_fmac_f64_e32 v[86:87], v[40:41], v[82:83]
	v_add_f64 v[2:3], v[2:3], v[4:5]
	v_add_f64 v[0:1], v[0:1], v[86:87]
	v_add_f64 v[2:3], v[44:45], -v[2:3]
	v_add_f64 v[0:1], v[42:43], -v[0:1]
	buffer_store_dword v3, off, s[0:3], 0 offset:692
	buffer_store_dword v2, off, s[0:3], 0 offset:688
	;; [unrolled: 1-line block ×4, first 2 shown]
	s_and_saveexec_b64 s[4:5], vcc
	s_cbranch_execz .LBB116_249
; %bb.248:
	v_accvgpr_read_b32 v0, a117
	buffer_load_dword v2, v0, s[0:3], 0 offen
	buffer_load_dword v3, v0, s[0:3], 0 offen offset:4
	buffer_load_dword v4, v0, s[0:3], 0 offen offset:8
	;; [unrolled: 1-line block ×3, first 2 shown]
	v_mov_b32_e32 v0, 0
	v_accvgpr_read_b32 v1, a159
	buffer_store_dword v0, off, s[0:3], 0 offset:672
	buffer_store_dword v0, off, s[0:3], 0 offset:676
	;; [unrolled: 1-line block ×4, first 2 shown]
	s_waitcnt vmcnt(4)
	ds_write_b128 v1, v[2:5]
.LBB116_249:
	s_or_b64 exec, exec, s[4:5]
	v_mov_b32_e32 v96, 0
	s_waitcnt lgkmcnt(0)
	; wave barrier
	s_waitcnt lgkmcnt(0)
	ds_read_b128 v[14:17], v96 offset:1520
	ds_read_b128 v[10:13], v96 offset:1536
	;; [unrolled: 1-line block ×4, first 2 shown]
	buffer_load_dword v48, off, s[0:3], 0 offset:672
	buffer_load_dword v49, off, s[0:3], 0 offset:676
	buffer_load_dword v46, off, s[0:3], 0 offset:680
	buffer_load_dword v47, off, s[0:3], 0 offset:684
	buffer_load_dword v50, off, s[0:3], 0 offset:688
	buffer_load_dword v51, off, s[0:3], 0 offset:692
	buffer_load_dword v56, off, s[0:3], 0 offset:696
	buffer_load_dword v57, off, s[0:3], 0 offset:700
	buffer_load_dword v52, off, s[0:3], 0 offset:704
	buffer_load_dword v53, off, s[0:3], 0 offset:708
	buffer_load_dword v58, off, s[0:3], 0 offset:712
	buffer_load_dword v59, off, s[0:3], 0 offset:716
	buffer_load_dword v54, off, s[0:3], 0 offset:720
	buffer_load_dword v55, off, s[0:3], 0 offset:724
	buffer_load_dword v60, off, s[0:3], 0 offset:728
	buffer_load_dword v61, off, s[0:3], 0 offset:732
	buffer_load_dword v63, off, s[0:3], 0 offset:740
	buffer_load_dword v62, off, s[0:3], 0 offset:736
	buffer_load_dword v65, off, s[0:3], 0 offset:748
	buffer_load_dword v64, off, s[0:3], 0 offset:744
	v_cmp_lt_u32_e32 vcc, 40, v255
	s_waitcnt vmcnt(12) lgkmcnt(3)
	v_mul_f64 v[0:1], v[14:15], v[56:57]
	v_fmac_f64_e32 v[0:1], v[16:17], v[50:51]
	v_add_f64 v[0:1], v[0:1], 0
	v_mul_f64 v[16:17], v[16:17], v[56:57]
	s_waitcnt vmcnt(8) lgkmcnt(2)
	v_mul_f64 v[18:19], v[10:11], v[58:59]
	v_fmac_f64_e32 v[18:19], v[12:13], v[52:53]
	v_add_f64 v[0:1], v[0:1], v[18:19]
	v_fma_f64 v[14:15], v[14:15], v[50:51], -v[16:17]
	s_waitcnt vmcnt(4) lgkmcnt(1)
	v_mul_f64 v[18:19], v[6:7], v[60:61]
	v_fmac_f64_e32 v[18:19], v[8:9], v[54:55]
	v_add_f64 v[0:1], v[0:1], v[18:19]
	s_waitcnt vmcnt(0) lgkmcnt(0)
	v_mul_f64 v[18:19], v[2:3], v[64:65]
	v_fmac_f64_e32 v[18:19], v[4:5], v[62:63]
	v_add_f64 v[0:1], v[0:1], v[18:19]
	ds_read_b128 v[18:21], v96 offset:1584
	buffer_load_dword v67, off, s[0:3], 0 offset:756
	buffer_load_dword v66, off, s[0:3], 0 offset:752
	;; [unrolled: 1-line block ×4, first 2 shown]
	v_mul_f64 v[12:13], v[12:13], v[58:59]
	v_add_f64 v[14:15], v[14:15], 0
	v_fma_f64 v[10:11], v[10:11], v[52:53], -v[12:13]
	v_mul_f64 v[8:9], v[8:9], v[60:61]
	v_add_f64 v[10:11], v[14:15], v[10:11]
	v_fma_f64 v[6:7], v[6:7], v[54:55], -v[8:9]
	;; [unrolled: 3-line block ×3, first 2 shown]
	v_add_f64 v[2:3], v[6:7], v[2:3]
	s_waitcnt vmcnt(0) lgkmcnt(0)
	v_mul_f64 v[22:23], v[18:19], v[68:69]
	v_fmac_f64_e32 v[22:23], v[20:21], v[66:67]
	v_add_f64 v[0:1], v[0:1], v[22:23]
	ds_read_b128 v[22:25], v96 offset:1600
	buffer_load_dword v71, off, s[0:3], 0 offset:772
	buffer_load_dword v70, off, s[0:3], 0 offset:768
	buffer_load_dword v73, off, s[0:3], 0 offset:780
	buffer_load_dword v72, off, s[0:3], 0 offset:776
	v_mul_f64 v[4:5], v[20:21], v[68:69]
	v_fma_f64 v[4:5], v[18:19], v[66:67], -v[4:5]
	v_add_f64 v[2:3], v[2:3], v[4:5]
	s_waitcnt vmcnt(0) lgkmcnt(0)
	v_mul_f64 v[26:27], v[22:23], v[72:73]
	v_fmac_f64_e32 v[26:27], v[24:25], v[70:71]
	v_add_f64 v[0:1], v[0:1], v[26:27]
	ds_read_b128 v[26:29], v96 offset:1616
	buffer_load_dword v75, off, s[0:3], 0 offset:788
	buffer_load_dword v74, off, s[0:3], 0 offset:784
	buffer_load_dword v77, off, s[0:3], 0 offset:796
	buffer_load_dword v76, off, s[0:3], 0 offset:792
	v_mul_f64 v[4:5], v[24:25], v[72:73]
	v_fma_f64 v[4:5], v[22:23], v[70:71], -v[4:5]
	;; [unrolled: 12-line block ×6, first 2 shown]
	v_add_f64 v[2:3], v[2:3], v[4:5]
	s_waitcnt vmcnt(0) lgkmcnt(0)
	v_mul_f64 v[4:5], v[44:45], v[92:93]
	v_mul_f64 v[0:1], v[42:43], v[92:93]
	v_fma_f64 v[4:5], v[42:43], v[90:91], -v[4:5]
	v_fmac_f64_e32 v[0:1], v[44:45], v[90:91]
	v_add_f64 v[2:3], v[2:3], v[4:5]
	v_add_f64 v[0:1], v[94:95], v[0:1]
	v_add_f64 v[2:3], v[48:49], -v[2:3]
	v_add_f64 v[0:1], v[46:47], -v[0:1]
	buffer_store_dword v3, off, s[0:3], 0 offset:676
	buffer_store_dword v2, off, s[0:3], 0 offset:672
	;; [unrolled: 1-line block ×4, first 2 shown]
	s_and_saveexec_b64 s[4:5], vcc
	s_cbranch_execz .LBB116_251
; %bb.250:
	v_accvgpr_read_b32 v0, a118
	buffer_load_dword v2, v0, s[0:3], 0 offen
	buffer_load_dword v3, v0, s[0:3], 0 offen offset:4
	buffer_load_dword v4, v0, s[0:3], 0 offen offset:8
	;; [unrolled: 1-line block ×3, first 2 shown]
	v_accvgpr_read_b32 v0, a159
	buffer_store_dword v96, off, s[0:3], 0 offset:656
	buffer_store_dword v96, off, s[0:3], 0 offset:660
	;; [unrolled: 1-line block ×4, first 2 shown]
	s_waitcnt vmcnt(4)
	ds_write_b128 v0, v[2:5]
.LBB116_251:
	s_or_b64 exec, exec, s[4:5]
	s_waitcnt lgkmcnt(0)
	; wave barrier
	s_waitcnt lgkmcnt(0)
	ds_read_b128 v[14:17], v96 offset:1504
	ds_read_b128 v[10:13], v96 offset:1520
	;; [unrolled: 1-line block ×4, first 2 shown]
	buffer_load_dword v48, off, s[0:3], 0 offset:656
	buffer_load_dword v49, off, s[0:3], 0 offset:660
	;; [unrolled: 1-line block ×20, first 2 shown]
	v_cmp_lt_u32_e32 vcc, 39, v255
	s_waitcnt vmcnt(12) lgkmcnt(3)
	v_mul_f64 v[0:1], v[14:15], v[56:57]
	v_fmac_f64_e32 v[0:1], v[16:17], v[50:51]
	v_add_f64 v[0:1], v[0:1], 0
	v_mul_f64 v[16:17], v[16:17], v[56:57]
	s_waitcnt vmcnt(8) lgkmcnt(2)
	v_mul_f64 v[18:19], v[10:11], v[58:59]
	v_fmac_f64_e32 v[18:19], v[12:13], v[52:53]
	v_add_f64 v[0:1], v[0:1], v[18:19]
	v_fma_f64 v[14:15], v[14:15], v[50:51], -v[16:17]
	s_waitcnt vmcnt(4) lgkmcnt(1)
	v_mul_f64 v[18:19], v[6:7], v[60:61]
	v_fmac_f64_e32 v[18:19], v[8:9], v[54:55]
	v_add_f64 v[0:1], v[0:1], v[18:19]
	s_waitcnt vmcnt(0) lgkmcnt(0)
	v_mul_f64 v[18:19], v[2:3], v[64:65]
	v_fmac_f64_e32 v[18:19], v[4:5], v[62:63]
	v_add_f64 v[0:1], v[0:1], v[18:19]
	ds_read_b128 v[18:21], v96 offset:1568
	buffer_load_dword v67, off, s[0:3], 0 offset:740
	buffer_load_dword v66, off, s[0:3], 0 offset:736
	buffer_load_dword v69, off, s[0:3], 0 offset:748
	buffer_load_dword v68, off, s[0:3], 0 offset:744
	v_mul_f64 v[12:13], v[12:13], v[58:59]
	v_add_f64 v[14:15], v[14:15], 0
	v_fma_f64 v[10:11], v[10:11], v[52:53], -v[12:13]
	v_mul_f64 v[8:9], v[8:9], v[60:61]
	v_add_f64 v[10:11], v[14:15], v[10:11]
	v_fma_f64 v[6:7], v[6:7], v[54:55], -v[8:9]
	;; [unrolled: 3-line block ×3, first 2 shown]
	v_add_f64 v[2:3], v[6:7], v[2:3]
	s_waitcnt vmcnt(0) lgkmcnt(0)
	v_mul_f64 v[22:23], v[18:19], v[68:69]
	v_fmac_f64_e32 v[22:23], v[20:21], v[66:67]
	v_add_f64 v[0:1], v[0:1], v[22:23]
	ds_read_b128 v[22:25], v96 offset:1584
	buffer_load_dword v71, off, s[0:3], 0 offset:756
	buffer_load_dword v70, off, s[0:3], 0 offset:752
	buffer_load_dword v73, off, s[0:3], 0 offset:764
	buffer_load_dword v72, off, s[0:3], 0 offset:760
	v_mul_f64 v[4:5], v[20:21], v[68:69]
	v_fma_f64 v[4:5], v[18:19], v[66:67], -v[4:5]
	v_add_f64 v[2:3], v[2:3], v[4:5]
	s_waitcnt vmcnt(0) lgkmcnt(0)
	v_mul_f64 v[26:27], v[22:23], v[72:73]
	v_fmac_f64_e32 v[26:27], v[24:25], v[70:71]
	v_add_f64 v[0:1], v[0:1], v[26:27]
	ds_read_b128 v[26:29], v96 offset:1600
	buffer_load_dword v75, off, s[0:3], 0 offset:772
	buffer_load_dword v74, off, s[0:3], 0 offset:768
	buffer_load_dword v77, off, s[0:3], 0 offset:780
	buffer_load_dword v76, off, s[0:3], 0 offset:776
	v_mul_f64 v[4:5], v[24:25], v[72:73]
	v_fma_f64 v[4:5], v[22:23], v[70:71], -v[4:5]
	v_add_f64 v[2:3], v[2:3], v[4:5]
	s_waitcnt vmcnt(0) lgkmcnt(0)
	v_mul_f64 v[30:31], v[26:27], v[76:77]
	v_fmac_f64_e32 v[30:31], v[28:29], v[74:75]
	v_add_f64 v[0:1], v[0:1], v[30:31]
	ds_read_b128 v[30:33], v96 offset:1616
	buffer_load_dword v79, off, s[0:3], 0 offset:788
	buffer_load_dword v78, off, s[0:3], 0 offset:784
	buffer_load_dword v81, off, s[0:3], 0 offset:796
	buffer_load_dword v80, off, s[0:3], 0 offset:792
	v_mul_f64 v[4:5], v[28:29], v[76:77]
	v_fma_f64 v[4:5], v[26:27], v[74:75], -v[4:5]
	v_add_f64 v[2:3], v[2:3], v[4:5]
	s_waitcnt vmcnt(0) lgkmcnt(0)
	v_mul_f64 v[34:35], v[30:31], v[80:81]
	v_fmac_f64_e32 v[34:35], v[32:33], v[78:79]
	v_add_f64 v[0:1], v[0:1], v[34:35]
	ds_read_b128 v[34:37], v96 offset:1632
	buffer_load_dword v83, off, s[0:3], 0 offset:804
	buffer_load_dword v82, off, s[0:3], 0 offset:800
	buffer_load_dword v85, off, s[0:3], 0 offset:812
	buffer_load_dword v84, off, s[0:3], 0 offset:808
	v_mul_f64 v[4:5], v[32:33], v[80:81]
	v_fma_f64 v[4:5], v[30:31], v[78:79], -v[4:5]
	v_add_f64 v[2:3], v[2:3], v[4:5]
	s_waitcnt vmcnt(0) lgkmcnt(0)
	v_mul_f64 v[38:39], v[34:35], v[84:85]
	v_fmac_f64_e32 v[38:39], v[36:37], v[82:83]
	v_add_f64 v[0:1], v[0:1], v[38:39]
	ds_read_b128 v[38:41], v96 offset:1648
	buffer_load_dword v87, off, s[0:3], 0 offset:820
	buffer_load_dword v86, off, s[0:3], 0 offset:816
	buffer_load_dword v89, off, s[0:3], 0 offset:828
	buffer_load_dword v88, off, s[0:3], 0 offset:824
	v_mul_f64 v[4:5], v[36:37], v[84:85]
	v_fma_f64 v[4:5], v[34:35], v[82:83], -v[4:5]
	v_add_f64 v[2:3], v[2:3], v[4:5]
	s_waitcnt vmcnt(0) lgkmcnt(0)
	v_mul_f64 v[42:43], v[38:39], v[88:89]
	v_fmac_f64_e32 v[42:43], v[40:41], v[86:87]
	v_add_f64 v[0:1], v[0:1], v[42:43]
	ds_read_b128 v[42:45], v96 offset:1664
	buffer_load_dword v91, off, s[0:3], 0 offset:836
	buffer_load_dword v90, off, s[0:3], 0 offset:832
	buffer_load_dword v93, off, s[0:3], 0 offset:844
	buffer_load_dword v92, off, s[0:3], 0 offset:840
	v_mul_f64 v[4:5], v[40:41], v[88:89]
	v_fma_f64 v[4:5], v[38:39], v[86:87], -v[4:5]
	v_add_f64 v[2:3], v[2:3], v[4:5]
	s_waitcnt vmcnt(0) lgkmcnt(0)
	v_mul_f64 v[94:95], v[42:43], v[92:93]
	v_fmac_f64_e32 v[94:95], v[44:45], v[90:91]
	v_add_f64 v[0:1], v[0:1], v[94:95]
	ds_read_b128 v[94:97], v96 offset:1680
	buffer_load_dword v99, off, s[0:3], 0 offset:852
	buffer_load_dword v98, off, s[0:3], 0 offset:848
	buffer_load_dword v101, off, s[0:3], 0 offset:860
	buffer_load_dword v100, off, s[0:3], 0 offset:856
	v_mul_f64 v[4:5], v[44:45], v[92:93]
	v_fma_f64 v[4:5], v[42:43], v[90:91], -v[4:5]
	v_add_f64 v[2:3], v[2:3], v[4:5]
	s_waitcnt vmcnt(0) lgkmcnt(0)
	v_mul_f64 v[4:5], v[96:97], v[100:101]
	v_mul_f64 v[102:103], v[94:95], v[100:101]
	v_fma_f64 v[4:5], v[94:95], v[98:99], -v[4:5]
	v_fmac_f64_e32 v[102:103], v[96:97], v[98:99]
	v_add_f64 v[2:3], v[2:3], v[4:5]
	v_add_f64 v[0:1], v[0:1], v[102:103]
	v_add_f64 v[2:3], v[48:49], -v[2:3]
	v_add_f64 v[0:1], v[46:47], -v[0:1]
	buffer_store_dword v3, off, s[0:3], 0 offset:660
	buffer_store_dword v2, off, s[0:3], 0 offset:656
	;; [unrolled: 1-line block ×4, first 2 shown]
	s_and_saveexec_b64 s[4:5], vcc
	s_cbranch_execz .LBB116_253
; %bb.252:
	v_accvgpr_read_b32 v0, a119
	buffer_load_dword v2, v0, s[0:3], 0 offen
	buffer_load_dword v3, v0, s[0:3], 0 offen offset:4
	buffer_load_dword v4, v0, s[0:3], 0 offen offset:8
	;; [unrolled: 1-line block ×3, first 2 shown]
	v_mov_b32_e32 v0, 0
	v_accvgpr_read_b32 v1, a159
	buffer_store_dword v0, off, s[0:3], 0 offset:640
	buffer_store_dword v0, off, s[0:3], 0 offset:644
	;; [unrolled: 1-line block ×4, first 2 shown]
	s_waitcnt vmcnt(4)
	ds_write_b128 v1, v[2:5]
.LBB116_253:
	s_or_b64 exec, exec, s[4:5]
	s_waitcnt lgkmcnt(0)
	; wave barrier
	s_waitcnt lgkmcnt(0)
	buffer_load_dword v2, off, s[0:3], 0 offset:656
	buffer_load_dword v3, off, s[0:3], 0 offset:660
	;; [unrolled: 1-line block ×56, first 2 shown]
	v_mov_b32_e32 v30, 0
	ds_read_b128 v[32:35], v30 offset:1488
	ds_read_b128 v[36:39], v30 offset:1504
	;; [unrolled: 1-line block ×9, first 2 shown]
	v_cmp_lt_u32_e32 vcc, 38, v255
	s_waitcnt vmcnt(52) lgkmcnt(8)
	v_mul_f64 v[64:65], v[32:33], v[6:7]
	v_fmac_f64_e32 v[64:65], v[34:35], v[2:3]
	v_add_f64 v[64:65], v[64:65], 0
	v_mul_f64 v[6:7], v[34:35], v[6:7]
	s_waitcnt vmcnt(48) lgkmcnt(7)
	v_mul_f64 v[66:67], v[36:37], v[8:9]
	v_fmac_f64_e32 v[66:67], v[38:39], v[4:5]
	s_waitcnt vmcnt(46) lgkmcnt(6)
	v_mul_f64 v[68:69], v[40:41], v[10:11]
	v_add_f64 v[64:65], v[64:65], v[66:67]
	s_waitcnt vmcnt(44) lgkmcnt(5)
	v_mul_f64 v[70:71], v[44:45], v[12:13]
	v_fma_f64 v[2:3], v[32:33], v[2:3], -v[6:7]
	v_mul_f64 v[6:7], v[38:39], v[8:9]
	v_add_f64 v[2:3], v[2:3], 0
	v_fma_f64 v[4:5], v[36:37], v[4:5], -v[6:7]
	s_waitcnt vmcnt(39) lgkmcnt(3)
	v_mul_f64 v[74:75], v[52:53], v[18:19]
	v_add_f64 v[2:3], v[2:3], v[4:5]
	s_waitcnt vmcnt(37)
	v_mul_f64 v[72:73], v[48:49], v[20:21]
	v_mul_f64 v[4:5], v[42:43], v[10:11]
	s_waitcnt vmcnt(35)
	v_fmac_f64_e32 v[72:73], v[50:51], v[22:23]
	s_waitcnt lgkmcnt(2)
	v_mul_f64 v[76:77], v[56:57], v[14:15]
	s_waitcnt vmcnt(33)
	v_fmac_f64_e32 v[68:69], v[42:43], v[28:29]
	v_add_f64 v[64:65], v[64:65], v[68:69]
	s_waitcnt vmcnt(31)
	v_fmac_f64_e32 v[70:71], v[46:47], v[26:27]
	v_add_f64 v[64:65], v[64:65], v[70:71]
	;; [unrolled: 3-line block ×3, first 2 shown]
	v_fma_f64 v[4:5], v[40:41], v[28:29], -v[4:5]
	s_waitcnt vmcnt(28)
	v_fmac_f64_e32 v[76:77], v[58:59], v[16:17]
	v_add_f64 v[64:65], v[64:65], v[74:75]
	v_add_f64 v[2:3], v[2:3], v[4:5]
	v_mul_f64 v[4:5], v[46:47], v[12:13]
	v_add_f64 v[68:69], v[64:65], v[76:77]
	ds_read_b128 v[64:67], v30 offset:1616
	s_waitcnt vmcnt(24) lgkmcnt(2)
	v_mul_f64 v[70:71], v[60:61], v[86:87]
	v_fma_f64 v[4:5], v[44:45], v[26:27], -v[4:5]
	s_waitcnt vmcnt(22)
	v_fmac_f64_e32 v[70:71], v[62:63], v[88:89]
	v_add_f64 v[2:3], v[2:3], v[4:5]
	v_mul_f64 v[4:5], v[50:51], v[20:21]
	v_add_f64 v[72:73], v[68:69], v[70:71]
	ds_read_b128 v[68:71], v30 offset:1632
	v_fma_f64 v[4:5], v[48:49], v[22:23], -v[4:5]
	v_add_f64 v[2:3], v[2:3], v[4:5]
	v_mul_f64 v[4:5], v[54:55], v[18:19]
	v_fma_f64 v[4:5], v[52:53], v[24:25], -v[4:5]
	s_waitcnt vmcnt(21) lgkmcnt(1)
	v_mul_f64 v[74:75], v[64:65], v[0:1]
	v_add_f64 v[2:3], v[2:3], v[4:5]
	v_mul_f64 v[4:5], v[58:59], v[14:15]
	s_waitcnt vmcnt(20)
	v_fmac_f64_e32 v[74:75], v[66:67], v[84:85]
	v_fma_f64 v[4:5], v[56:57], v[16:17], -v[4:5]
	v_add_f64 v[76:77], v[72:73], v[74:75]
	ds_read_b128 v[72:75], v30 offset:1648
	s_waitcnt vmcnt(16) lgkmcnt(1)
	v_mul_f64 v[78:79], v[68:69], v[94:95]
	v_add_f64 v[2:3], v[2:3], v[4:5]
	v_mul_f64 v[4:5], v[62:63], v[86:87]
	s_waitcnt vmcnt(14)
	v_fmac_f64_e32 v[78:79], v[70:71], v[96:97]
	v_fma_f64 v[4:5], v[60:61], v[88:89], -v[4:5]
	v_mul_f64 v[0:1], v[66:67], v[0:1]
	v_add_f64 v[110:111], v[76:77], v[78:79]
	ds_read_b128 v[76:79], v30 offset:1664
	v_add_f64 v[2:3], v[2:3], v[4:5]
	v_fma_f64 v[0:1], v[64:65], v[84:85], -v[0:1]
	v_add_f64 v[0:1], v[2:3], v[0:1]
	v_mul_f64 v[2:3], v[70:71], v[94:95]
	v_fma_f64 v[2:3], v[68:69], v[96:97], -v[2:3]
	v_add_f64 v[0:1], v[0:1], v[2:3]
	s_waitcnt vmcnt(13) lgkmcnt(1)
	v_mul_f64 v[2:3], v[74:75], v[90:91]
	v_mul_f64 v[112:113], v[72:73], v[90:91]
	s_waitcnt vmcnt(12)
	v_fma_f64 v[2:3], v[72:73], v[92:93], -v[2:3]
	v_fmac_f64_e32 v[112:113], v[74:75], v[92:93]
	v_add_f64 v[0:1], v[0:1], v[2:3]
	s_waitcnt vmcnt(8) lgkmcnt(0)
	v_mul_f64 v[2:3], v[78:79], v[102:103]
	v_add_f64 v[110:111], v[110:111], v[112:113]
	v_mul_f64 v[112:113], v[76:77], v[102:103]
	s_waitcnt vmcnt(6)
	v_fma_f64 v[2:3], v[76:77], v[104:105], -v[2:3]
	v_fmac_f64_e32 v[112:113], v[78:79], v[104:105]
	v_add_f64 v[0:1], v[0:1], v[2:3]
	s_waitcnt vmcnt(5)
	v_mul_f64 v[2:3], v[82:83], v[98:99]
	v_add_f64 v[110:111], v[110:111], v[112:113]
	v_mul_f64 v[112:113], v[80:81], v[98:99]
	s_waitcnt vmcnt(4)
	v_fma_f64 v[2:3], v[80:81], v[100:101], -v[2:3]
	v_fmac_f64_e32 v[112:113], v[82:83], v[100:101]
	v_add_f64 v[0:1], v[0:1], v[2:3]
	v_add_f64 v[110:111], v[110:111], v[112:113]
	s_waitcnt vmcnt(2)
	v_add_f64 v[0:1], v[106:107], -v[0:1]
	s_waitcnt vmcnt(0)
	v_add_f64 v[2:3], v[108:109], -v[110:111]
	buffer_store_dword v1, off, s[0:3], 0 offset:644
	buffer_store_dword v0, off, s[0:3], 0 offset:640
	;; [unrolled: 1-line block ×4, first 2 shown]
	s_and_saveexec_b64 s[4:5], vcc
	s_cbranch_execz .LBB116_255
; %bb.254:
	v_accvgpr_read_b32 v0, a120
	buffer_load_dword v2, v0, s[0:3], 0 offen
	buffer_load_dword v3, v0, s[0:3], 0 offen offset:4
	buffer_load_dword v4, v0, s[0:3], 0 offen offset:8
	;; [unrolled: 1-line block ×3, first 2 shown]
	v_accvgpr_read_b32 v0, a159
	buffer_store_dword v30, off, s[0:3], 0 offset:624
	buffer_store_dword v30, off, s[0:3], 0 offset:628
	;; [unrolled: 1-line block ×4, first 2 shown]
	s_waitcnt vmcnt(4)
	ds_write_b128 v0, v[2:5]
.LBB116_255:
	s_or_b64 exec, exec, s[4:5]
	s_waitcnt lgkmcnt(0)
	; wave barrier
	s_waitcnt lgkmcnt(0)
	buffer_load_dword v2, off, s[0:3], 0 offset:640
	buffer_load_dword v3, off, s[0:3], 0 offset:644
	;; [unrolled: 1-line block ×60, first 2 shown]
	ds_read_b128 v[32:35], v30 offset:1472
	ds_read_b128 v[36:39], v30 offset:1488
	;; [unrolled: 1-line block ×8, first 2 shown]
	v_cmp_lt_u32_e32 vcc, 37, v255
	ds_read_b128 v[84:87], v30 offset:1680
	s_waitcnt vmcnt(56) lgkmcnt(8)
	v_mul_f64 v[64:65], v[32:33], v[6:7]
	v_fmac_f64_e32 v[64:65], v[34:35], v[2:3]
	v_add_f64 v[64:65], v[64:65], 0
	v_mul_f64 v[6:7], v[34:35], v[6:7]
	s_waitcnt vmcnt(52) lgkmcnt(7)
	v_mul_f64 v[66:67], v[36:37], v[8:9]
	v_fmac_f64_e32 v[66:67], v[38:39], v[4:5]
	s_waitcnt vmcnt(50) lgkmcnt(6)
	v_mul_f64 v[68:69], v[40:41], v[10:11]
	v_add_f64 v[64:65], v[64:65], v[66:67]
	s_waitcnt vmcnt(48) lgkmcnt(4)
	v_mul_f64 v[72:73], v[48:49], v[12:13]
	v_fma_f64 v[2:3], v[32:33], v[2:3], -v[6:7]
	s_waitcnt vmcnt(46)
	v_fmac_f64_e32 v[72:73], v[50:51], v[14:15]
	v_mul_f64 v[6:7], v[38:39], v[8:9]
	s_waitcnt vmcnt(44)
	v_mul_f64 v[70:71], v[44:45], v[16:17]
	v_add_f64 v[2:3], v[2:3], 0
	v_fma_f64 v[4:5], v[36:37], v[4:5], -v[6:7]
	v_add_f64 v[2:3], v[2:3], v[4:5]
	s_waitcnt vmcnt(40) lgkmcnt(3)
	v_mul_f64 v[74:75], v[52:53], v[22:23]
	v_mul_f64 v[4:5], v[42:43], v[10:11]
	s_waitcnt vmcnt(38)
	v_fmac_f64_e32 v[68:69], v[42:43], v[28:29]
	v_add_f64 v[64:65], v[64:65], v[68:69]
	s_waitcnt vmcnt(36)
	v_fmac_f64_e32 v[70:71], v[46:47], v[26:27]
	v_add_f64 v[64:65], v[64:65], v[70:71]
	;; [unrolled: 3-line block ×3, first 2 shown]
	s_waitcnt vmcnt(33) lgkmcnt(2)
	v_mul_f64 v[66:67], v[56:57], v[18:19]
	v_add_f64 v[64:65], v[64:65], v[74:75]
	s_waitcnt vmcnt(32)
	v_fmac_f64_e32 v[66:67], v[58:59], v[20:21]
	v_add_f64 v[68:69], v[64:65], v[66:67]
	ds_read_b128 v[64:67], v30 offset:1600
	v_fma_f64 v[4:5], v[40:41], v[28:29], -v[4:5]
	v_add_f64 v[2:3], v[2:3], v[4:5]
	v_mul_f64 v[4:5], v[46:47], v[16:17]
	s_waitcnt vmcnt(28) lgkmcnt(2)
	v_mul_f64 v[70:71], v[60:61], v[90:91]
	v_fma_f64 v[4:5], v[44:45], v[26:27], -v[4:5]
	s_waitcnt vmcnt(26)
	v_fmac_f64_e32 v[70:71], v[62:63], v[92:93]
	v_add_f64 v[2:3], v[2:3], v[4:5]
	v_mul_f64 v[4:5], v[50:51], v[12:13]
	v_add_f64 v[72:73], v[68:69], v[70:71]
	ds_read_b128 v[68:71], v30 offset:1616
	s_waitcnt vmcnt(25) lgkmcnt(1)
	v_mul_f64 v[74:75], v[64:65], v[0:1]
	v_fma_f64 v[4:5], v[48:49], v[14:15], -v[4:5]
	s_waitcnt vmcnt(24)
	v_fmac_f64_e32 v[74:75], v[66:67], v[88:89]
	v_add_f64 v[2:3], v[2:3], v[4:5]
	v_mul_f64 v[4:5], v[54:55], v[22:23]
	v_add_f64 v[76:77], v[72:73], v[74:75]
	ds_read_b128 v[72:75], v30 offset:1632
	v_fma_f64 v[4:5], v[52:53], v[24:25], -v[4:5]
	v_add_f64 v[2:3], v[2:3], v[4:5]
	v_mul_f64 v[4:5], v[58:59], v[18:19]
	v_fma_f64 v[4:5], v[56:57], v[20:21], -v[4:5]
	s_waitcnt vmcnt(20) lgkmcnt(1)
	v_mul_f64 v[78:79], v[68:69], v[98:99]
	v_add_f64 v[2:3], v[2:3], v[4:5]
	v_mul_f64 v[4:5], v[62:63], v[90:91]
	s_waitcnt vmcnt(18)
	v_fmac_f64_e32 v[78:79], v[70:71], v[100:101]
	v_fma_f64 v[4:5], v[60:61], v[92:93], -v[4:5]
	v_mul_f64 v[0:1], v[66:67], v[0:1]
	v_add_f64 v[80:81], v[76:77], v[78:79]
	ds_read_b128 v[76:79], v30 offset:1648
	s_waitcnt vmcnt(17) lgkmcnt(1)
	v_mul_f64 v[82:83], v[72:73], v[94:95]
	v_add_f64 v[2:3], v[2:3], v[4:5]
	v_fma_f64 v[0:1], v[64:65], v[88:89], -v[0:1]
	s_waitcnt vmcnt(16)
	v_fmac_f64_e32 v[82:83], v[74:75], v[96:97]
	v_add_f64 v[0:1], v[2:3], v[0:1]
	v_mul_f64 v[2:3], v[70:71], v[98:99]
	v_add_f64 v[118:119], v[80:81], v[82:83]
	ds_read_b128 v[80:83], v30 offset:1664
	v_fma_f64 v[2:3], v[68:69], v[100:101], -v[2:3]
	v_add_f64 v[0:1], v[0:1], v[2:3]
	v_mul_f64 v[2:3], v[74:75], v[94:95]
	v_fma_f64 v[2:3], v[72:73], v[96:97], -v[2:3]
	v_add_f64 v[0:1], v[0:1], v[2:3]
	s_waitcnt vmcnt(12) lgkmcnt(1)
	v_mul_f64 v[2:3], v[78:79], v[106:107]
	v_mul_f64 v[120:121], v[76:77], v[106:107]
	s_waitcnt vmcnt(10)
	v_fma_f64 v[2:3], v[76:77], v[108:109], -v[2:3]
	v_fmac_f64_e32 v[120:121], v[78:79], v[108:109]
	v_add_f64 v[0:1], v[0:1], v[2:3]
	s_waitcnt vmcnt(9) lgkmcnt(0)
	v_mul_f64 v[2:3], v[82:83], v[102:103]
	v_add_f64 v[30:31], v[118:119], v[120:121]
	v_mul_f64 v[118:119], v[80:81], v[102:103]
	s_waitcnt vmcnt(8)
	v_fma_f64 v[2:3], v[80:81], v[104:105], -v[2:3]
	v_fmac_f64_e32 v[118:119], v[82:83], v[104:105]
	v_add_f64 v[0:1], v[0:1], v[2:3]
	s_waitcnt vmcnt(6)
	v_mul_f64 v[2:3], v[86:87], v[110:111]
	v_add_f64 v[30:31], v[30:31], v[118:119]
	v_mul_f64 v[118:119], v[84:85], v[110:111]
	s_waitcnt vmcnt(4)
	v_fma_f64 v[2:3], v[84:85], v[112:113], -v[2:3]
	v_fmac_f64_e32 v[118:119], v[86:87], v[112:113]
	v_add_f64 v[0:1], v[0:1], v[2:3]
	v_add_f64 v[30:31], v[30:31], v[118:119]
	s_waitcnt vmcnt(2)
	v_add_f64 v[0:1], v[114:115], -v[0:1]
	s_waitcnt vmcnt(0)
	v_add_f64 v[2:3], v[116:117], -v[30:31]
	buffer_store_dword v1, off, s[0:3], 0 offset:628
	buffer_store_dword v0, off, s[0:3], 0 offset:624
	;; [unrolled: 1-line block ×4, first 2 shown]
	s_and_saveexec_b64 s[4:5], vcc
	s_cbranch_execz .LBB116_257
; %bb.256:
	v_accvgpr_read_b32 v0, a121
	buffer_load_dword v2, v0, s[0:3], 0 offen
	buffer_load_dword v3, v0, s[0:3], 0 offen offset:4
	buffer_load_dword v4, v0, s[0:3], 0 offen offset:8
	;; [unrolled: 1-line block ×3, first 2 shown]
	v_mov_b32_e32 v0, 0
	v_accvgpr_read_b32 v1, a159
	buffer_store_dword v0, off, s[0:3], 0 offset:608
	buffer_store_dword v0, off, s[0:3], 0 offset:612
	;; [unrolled: 1-line block ×4, first 2 shown]
	s_waitcnt vmcnt(4)
	ds_write_b128 v1, v[2:5]
.LBB116_257:
	s_or_b64 exec, exec, s[4:5]
	s_waitcnt lgkmcnt(0)
	; wave barrier
	s_waitcnt lgkmcnt(0)
	buffer_load_dword v2, off, s[0:3], 0 offset:624
	buffer_load_dword v3, off, s[0:3], 0 offset:628
	;; [unrolled: 1-line block ×64, first 2 shown]
	v_mov_b32_e32 v46, 0
	ds_read_b128 v[38:41], v46 offset:1456
	ds_read_b128 v[42:45], v46 offset:1472
	;; [unrolled: 1-line block ×7, first 2 shown]
	v_cmp_lt_u32_e32 vcc, 36, v255
	s_waitcnt vmcnt(60) lgkmcnt(6)
	v_mul_f64 v[64:65], v[38:39], v[4:5]
	v_fmac_f64_e32 v[64:65], v[40:41], v[2:3]
	s_waitcnt vmcnt(58) lgkmcnt(5)
	v_mul_f64 v[66:67], v[42:43], v[6:7]
	v_add_f64 v[64:65], v[64:65], 0
	s_waitcnt vmcnt(56) lgkmcnt(4)
	v_mul_f64 v[68:69], v[48:49], v[8:9]
	v_mul_f64 v[4:5], v[40:41], v[4:5]
	s_waitcnt vmcnt(54) lgkmcnt(2)
	v_mul_f64 v[72:73], v[56:57], v[10:11]
	v_fma_f64 v[2:3], v[38:39], v[2:3], -v[4:5]
	v_mul_f64 v[4:5], v[44:45], v[6:7]
	s_waitcnt vmcnt(51)
	v_mul_f64 v[70:71], v[52:53], v[14:15]
	v_add_f64 v[2:3], v[2:3], 0
	s_waitcnt vmcnt(49)
	v_fmac_f64_e32 v[66:67], v[44:45], v[20:21]
	v_add_f64 v[64:65], v[64:65], v[66:67]
	s_waitcnt vmcnt(47)
	v_fmac_f64_e32 v[68:69], v[50:51], v[18:19]
	;; [unrolled: 3-line block ×4, first 2 shown]
	v_add_f64 v[68:69], v[64:65], v[72:73]
	ds_read_b128 v[64:67], v46 offset:1552
	s_waitcnt vmcnt(40) lgkmcnt(2)
	v_mul_f64 v[70:71], v[60:61], v[26:27]
	v_fma_f64 v[4:5], v[42:43], v[20:21], -v[4:5]
	s_waitcnt vmcnt(38)
	v_fmac_f64_e32 v[70:71], v[62:63], v[28:29]
	v_add_f64 v[72:73], v[68:69], v[70:71]
	ds_read_b128 v[68:71], v46 offset:1568
	s_waitcnt vmcnt(37) lgkmcnt(1)
	v_mul_f64 v[74:75], v[64:65], v[22:23]
	s_waitcnt vmcnt(36)
	v_fmac_f64_e32 v[74:75], v[66:67], v[24:25]
	v_add_f64 v[76:77], v[72:73], v[74:75]
	ds_read_b128 v[72:75], v46 offset:1584
	s_waitcnt vmcnt(32) lgkmcnt(1)
	v_mul_f64 v[78:79], v[68:69], v[34:35]
	v_add_f64 v[2:3], v[2:3], v[4:5]
	v_mul_f64 v[4:5], v[50:51], v[8:9]
	s_waitcnt vmcnt(30)
	v_fmac_f64_e32 v[78:79], v[70:71], v[36:37]
	v_fma_f64 v[4:5], v[48:49], v[18:19], -v[4:5]
	v_add_f64 v[80:81], v[76:77], v[78:79]
	ds_read_b128 v[76:79], v46 offset:1600
	v_add_f64 v[2:3], v[2:3], v[4:5]
	v_mul_f64 v[4:5], v[54:55], v[14:15]
	v_fma_f64 v[4:5], v[52:53], v[16:17], -v[4:5]
	v_add_f64 v[2:3], v[2:3], v[4:5]
	v_mul_f64 v[4:5], v[58:59], v[10:11]
	s_waitcnt vmcnt(29) lgkmcnt(1)
	v_mul_f64 v[82:83], v[72:73], v[30:31]
	v_fma_f64 v[4:5], v[56:57], v[12:13], -v[4:5]
	s_waitcnt vmcnt(28)
	v_fmac_f64_e32 v[82:83], v[74:75], v[32:33]
	v_add_f64 v[2:3], v[2:3], v[4:5]
	v_mul_f64 v[4:5], v[62:63], v[26:27]
	v_add_f64 v[84:85], v[80:81], v[82:83]
	ds_read_b128 v[80:83], v46 offset:1616
	s_waitcnt vmcnt(24) lgkmcnt(1)
	v_mul_f64 v[86:87], v[76:77], v[102:103]
	v_fma_f64 v[4:5], v[60:61], v[28:29], -v[4:5]
	s_waitcnt vmcnt(22)
	v_fmac_f64_e32 v[86:87], v[78:79], v[104:105]
	v_add_f64 v[2:3], v[2:3], v[4:5]
	v_mul_f64 v[4:5], v[66:67], v[22:23]
	v_add_f64 v[88:89], v[84:85], v[86:87]
	ds_read_b128 v[84:87], v46 offset:1632
	v_fma_f64 v[4:5], v[64:65], v[24:25], -v[4:5]
	v_add_f64 v[2:3], v[2:3], v[4:5]
	v_mul_f64 v[4:5], v[70:71], v[34:35]
	v_fma_f64 v[4:5], v[68:69], v[36:37], -v[4:5]
	s_waitcnt vmcnt(21) lgkmcnt(1)
	v_mul_f64 v[90:91], v[80:81], v[0:1]
	v_add_f64 v[2:3], v[2:3], v[4:5]
	v_mul_f64 v[4:5], v[74:75], v[30:31]
	s_waitcnt vmcnt(20)
	v_fmac_f64_e32 v[90:91], v[82:83], v[100:101]
	v_fma_f64 v[4:5], v[72:73], v[32:33], -v[4:5]
	v_add_f64 v[92:93], v[88:89], v[90:91]
	ds_read_b128 v[88:91], v46 offset:1648
	s_waitcnt vmcnt(16) lgkmcnt(1)
	v_mul_f64 v[94:95], v[84:85], v[110:111]
	v_add_f64 v[2:3], v[2:3], v[4:5]
	v_mul_f64 v[4:5], v[78:79], v[102:103]
	s_waitcnt vmcnt(14)
	v_fmac_f64_e32 v[94:95], v[86:87], v[112:113]
	v_fma_f64 v[4:5], v[76:77], v[104:105], -v[4:5]
	v_mul_f64 v[0:1], v[82:83], v[0:1]
	v_add_f64 v[126:127], v[92:93], v[94:95]
	ds_read_b128 v[92:95], v46 offset:1664
	v_add_f64 v[2:3], v[2:3], v[4:5]
	v_fma_f64 v[0:1], v[80:81], v[100:101], -v[0:1]
	v_add_f64 v[0:1], v[2:3], v[0:1]
	v_mul_f64 v[2:3], v[86:87], v[110:111]
	v_fma_f64 v[2:3], v[84:85], v[112:113], -v[2:3]
	v_add_f64 v[0:1], v[0:1], v[2:3]
	s_waitcnt vmcnt(13) lgkmcnt(1)
	v_mul_f64 v[2:3], v[90:91], v[106:107]
	v_mul_f64 v[128:129], v[88:89], v[106:107]
	s_waitcnt vmcnt(12)
	v_fma_f64 v[2:3], v[88:89], v[108:109], -v[2:3]
	v_fmac_f64_e32 v[128:129], v[90:91], v[108:109]
	v_add_f64 v[0:1], v[0:1], v[2:3]
	s_waitcnt vmcnt(8) lgkmcnt(0)
	v_mul_f64 v[2:3], v[94:95], v[118:119]
	v_add_f64 v[126:127], v[126:127], v[128:129]
	v_mul_f64 v[128:129], v[92:93], v[118:119]
	s_waitcnt vmcnt(6)
	v_fma_f64 v[2:3], v[92:93], v[120:121], -v[2:3]
	v_fmac_f64_e32 v[128:129], v[94:95], v[120:121]
	v_add_f64 v[0:1], v[0:1], v[2:3]
	s_waitcnt vmcnt(5)
	v_mul_f64 v[2:3], v[98:99], v[114:115]
	v_add_f64 v[126:127], v[126:127], v[128:129]
	v_mul_f64 v[128:129], v[96:97], v[114:115]
	s_waitcnt vmcnt(4)
	v_fma_f64 v[2:3], v[96:97], v[116:117], -v[2:3]
	v_fmac_f64_e32 v[128:129], v[98:99], v[116:117]
	v_add_f64 v[0:1], v[0:1], v[2:3]
	v_add_f64 v[126:127], v[126:127], v[128:129]
	s_waitcnt vmcnt(2)
	v_add_f64 v[0:1], v[122:123], -v[0:1]
	s_waitcnt vmcnt(0)
	v_add_f64 v[2:3], v[124:125], -v[126:127]
	buffer_store_dword v1, off, s[0:3], 0 offset:612
	buffer_store_dword v0, off, s[0:3], 0 offset:608
	;; [unrolled: 1-line block ×4, first 2 shown]
	s_and_saveexec_b64 s[4:5], vcc
	s_cbranch_execz .LBB116_259
; %bb.258:
	v_accvgpr_read_b32 v0, a122
	buffer_load_dword v2, v0, s[0:3], 0 offen
	buffer_load_dword v3, v0, s[0:3], 0 offen offset:4
	buffer_load_dword v4, v0, s[0:3], 0 offen offset:8
	;; [unrolled: 1-line block ×3, first 2 shown]
	v_accvgpr_read_b32 v0, a159
	buffer_store_dword v46, off, s[0:3], 0 offset:592
	buffer_store_dword v46, off, s[0:3], 0 offset:596
	buffer_store_dword v46, off, s[0:3], 0 offset:600
	buffer_store_dword v46, off, s[0:3], 0 offset:604
	s_waitcnt vmcnt(4)
	ds_write_b128 v0, v[2:5]
.LBB116_259:
	s_or_b64 exec, exec, s[4:5]
	s_waitcnt lgkmcnt(0)
	; wave barrier
	s_waitcnt lgkmcnt(0)
	buffer_load_dword v2, off, s[0:3], 0 offset:608
	buffer_load_dword v3, off, s[0:3], 0 offset:612
	buffer_load_dword v4, off, s[0:3], 0 offset:616
	buffer_load_dword v5, off, s[0:3], 0 offset:620
	buffer_load_dword v6, off, s[0:3], 0 offset:648
	buffer_load_dword v7, off, s[0:3], 0 offset:652
	buffer_load_dword v9, off, s[0:3], 0 offset:684
	buffer_load_dword v11, off, s[0:3], 0 offset:676
	buffer_load_dword v13, off, s[0:3], 0 offset:668
	buffer_load_dword v12, off, s[0:3], 0 offset:664
	buffer_load_dword v18, off, s[0:3], 0 offset:632
	buffer_load_dword v19, off, s[0:3], 0 offset:636
	buffer_load_dword v20, off, s[0:3], 0 offset:624
	buffer_load_dword v16, off, s[0:3], 0 offset:640
	buffer_load_dword v17, off, s[0:3], 0 offset:644
	buffer_load_dword v21, off, s[0:3], 0 offset:628
	buffer_load_dword v15, off, s[0:3], 0 offset:660
	buffer_load_dword v14, off, s[0:3], 0 offset:656
	buffer_load_dword v8, off, s[0:3], 0 offset:680
	buffer_load_dword v10, off, s[0:3], 0 offset:672
	buffer_load_dword v23, off, s[0:3], 0 offset:716
	buffer_load_dword v25, off, s[0:3], 0 offset:708
	buffer_load_dword v27, off, s[0:3], 0 offset:700
	buffer_load_dword v26, off, s[0:3], 0 offset:696
	buffer_load_dword v29, off, s[0:3], 0 offset:692
	buffer_load_dword v28, off, s[0:3], 0 offset:688
	buffer_load_dword v22, off, s[0:3], 0 offset:712
	buffer_load_dword v24, off, s[0:3], 0 offset:704
	buffer_load_dword v31, off, s[0:3], 0 offset:748
	buffer_load_dword v33, off, s[0:3], 0 offset:740
	buffer_load_dword v35, off, s[0:3], 0 offset:732
	buffer_load_dword v34, off, s[0:3], 0 offset:728
	buffer_load_dword v37, off, s[0:3], 0 offset:724
	buffer_load_dword v36, off, s[0:3], 0 offset:720
	buffer_load_dword v30, off, s[0:3], 0 offset:744
	buffer_load_dword v32, off, s[0:3], 0 offset:736
	buffer_load_dword v39, off, s[0:3], 0 offset:780
	buffer_load_dword v41, off, s[0:3], 0 offset:772
	buffer_load_dword v43, off, s[0:3], 0 offset:764
	buffer_load_dword v42, off, s[0:3], 0 offset:760
	buffer_load_dword v45, off, s[0:3], 0 offset:756
	buffer_load_dword v44, off, s[0:3], 0 offset:752
	buffer_load_dword v38, off, s[0:3], 0 offset:776
	buffer_load_dword v40, off, s[0:3], 0 offset:768
	buffer_load_dword v1, off, s[0:3], 0 offset:812
	buffer_load_dword v113, off, s[0:3], 0 offset:804
	buffer_load_dword v115, off, s[0:3], 0 offset:796
	buffer_load_dword v114, off, s[0:3], 0 offset:792
	buffer_load_dword v117, off, s[0:3], 0 offset:788
	buffer_load_dword v116, off, s[0:3], 0 offset:784
	buffer_load_dword v0, off, s[0:3], 0 offset:808
	buffer_load_dword v112, off, s[0:3], 0 offset:800
	buffer_load_dword v119, off, s[0:3], 0 offset:844
	buffer_load_dword v121, off, s[0:3], 0 offset:836
	buffer_load_dword v123, off, s[0:3], 0 offset:828
	buffer_load_dword v122, off, s[0:3], 0 offset:824
	buffer_load_dword v125, off, s[0:3], 0 offset:820
	buffer_load_dword v124, off, s[0:3], 0 offset:816
	buffer_load_dword v118, off, s[0:3], 0 offset:840
	buffer_load_dword v120, off, s[0:3], 0 offset:832
	buffer_load_dword v127, off, s[0:3], 0 offset:860
	buffer_load_dword v126, off, s[0:3], 0 offset:856
	buffer_load_dword v129, off, s[0:3], 0 offset:852
	buffer_load_dword v128, off, s[0:3], 0 offset:848
	ds_read_b128 v[48:51], v46 offset:1440
	ds_read_b128 v[52:55], v46 offset:1456
	;; [unrolled: 1-line block ×4, first 2 shown]
	buffer_load_dword v130, off, s[0:3], 0 offset:592
	buffer_load_dword v131, off, s[0:3], 0 offset:596
	;; [unrolled: 1-line block ×4, first 2 shown]
	v_cmp_lt_u32_e32 vcc, 35, v255
	ds_read_b128 v[108:111], v46 offset:1680
	s_waitcnt vmcnt(62) lgkmcnt(4)
	v_mul_f64 v[64:65], v[48:49], v[4:5]
	v_fmac_f64_e32 v[64:65], v[50:51], v[2:3]
	v_add_f64 v[64:65], v[64:65], 0
	s_waitcnt lgkmcnt(2)
	v_mul_f64 v[68:69], v[56:57], v[6:7]
	v_mul_f64 v[4:5], v[50:51], v[4:5]
	v_fma_f64 v[2:3], v[48:49], v[2:3], -v[4:5]
	s_waitcnt vmcnt(58) lgkmcnt(1)
	v_mul_f64 v[70:71], v[60:61], v[12:13]
	v_add_f64 v[2:3], v[2:3], 0
	s_waitcnt vmcnt(56)
	v_mul_f64 v[66:67], v[52:53], v[18:19]
	v_mul_f64 v[4:5], v[54:55], v[18:19]
	s_waitcnt vmcnt(53)
	v_fmac_f64_e32 v[68:69], v[58:59], v[16:17]
	s_waitcnt vmcnt(52)
	v_fmac_f64_e32 v[66:67], v[54:55], v[20:21]
	v_add_f64 v[72:73], v[64:65], v[66:67]
	ds_read_b128 v[64:67], v46 offset:1504
	v_add_f64 v[68:69], v[72:73], v[68:69]
	s_waitcnt vmcnt(50)
	v_fmac_f64_e32 v[70:71], v[62:63], v[14:15]
	v_add_f64 v[72:73], v[68:69], v[70:71]
	ds_read_b128 v[68:71], v46 offset:1520
	s_waitcnt vmcnt(49) lgkmcnt(1)
	v_mul_f64 v[74:75], v[64:65], v[8:9]
	s_waitcnt vmcnt(48)
	v_fmac_f64_e32 v[74:75], v[66:67], v[10:11]
	v_add_f64 v[76:77], v[72:73], v[74:75]
	ds_read_b128 v[72:75], v46 offset:1536
	s_waitcnt vmcnt(44) lgkmcnt(1)
	v_mul_f64 v[78:79], v[68:69], v[26:27]
	s_waitcnt vmcnt(42)
	v_fmac_f64_e32 v[78:79], v[70:71], v[28:29]
	v_add_f64 v[80:81], v[76:77], v[78:79]
	ds_read_b128 v[76:79], v46 offset:1552
	s_waitcnt vmcnt(41) lgkmcnt(1)
	v_mul_f64 v[82:83], v[72:73], v[22:23]
	s_waitcnt vmcnt(40)
	v_fmac_f64_e32 v[82:83], v[74:75], v[24:25]
	v_add_f64 v[84:85], v[80:81], v[82:83]
	ds_read_b128 v[80:83], v46 offset:1568
	v_fma_f64 v[4:5], v[52:53], v[20:21], -v[4:5]
	s_waitcnt vmcnt(36) lgkmcnt(1)
	v_mul_f64 v[86:87], v[76:77], v[34:35]
	v_add_f64 v[2:3], v[2:3], v[4:5]
	v_mul_f64 v[4:5], v[58:59], v[6:7]
	s_waitcnt vmcnt(34)
	v_fmac_f64_e32 v[86:87], v[78:79], v[36:37]
	v_fma_f64 v[4:5], v[56:57], v[16:17], -v[4:5]
	v_add_f64 v[88:89], v[84:85], v[86:87]
	ds_read_b128 v[84:87], v46 offset:1584
	s_waitcnt vmcnt(33) lgkmcnt(1)
	v_mul_f64 v[90:91], v[80:81], v[30:31]
	v_add_f64 v[2:3], v[2:3], v[4:5]
	v_mul_f64 v[4:5], v[62:63], v[12:13]
	s_waitcnt vmcnt(32)
	v_fmac_f64_e32 v[90:91], v[82:83], v[32:33]
	v_fma_f64 v[4:5], v[60:61], v[14:15], -v[4:5]
	v_add_f64 v[92:93], v[88:89], v[90:91]
	ds_read_b128 v[88:91], v46 offset:1600
	v_add_f64 v[2:3], v[2:3], v[4:5]
	v_mul_f64 v[4:5], v[66:67], v[8:9]
	v_fma_f64 v[4:5], v[64:65], v[10:11], -v[4:5]
	v_add_f64 v[2:3], v[2:3], v[4:5]
	v_mul_f64 v[4:5], v[70:71], v[26:27]
	s_waitcnt vmcnt(28) lgkmcnt(1)
	v_mul_f64 v[94:95], v[84:85], v[42:43]
	v_fma_f64 v[4:5], v[68:69], v[28:29], -v[4:5]
	s_waitcnt vmcnt(26)
	v_fmac_f64_e32 v[94:95], v[86:87], v[44:45]
	v_add_f64 v[2:3], v[2:3], v[4:5]
	v_mul_f64 v[4:5], v[74:75], v[22:23]
	v_add_f64 v[96:97], v[92:93], v[94:95]
	ds_read_b128 v[92:95], v46 offset:1616
	s_waitcnt vmcnt(25) lgkmcnt(1)
	v_mul_f64 v[98:99], v[88:89], v[38:39]
	v_fma_f64 v[4:5], v[72:73], v[24:25], -v[4:5]
	s_waitcnt vmcnt(24)
	v_fmac_f64_e32 v[98:99], v[90:91], v[40:41]
	v_add_f64 v[2:3], v[2:3], v[4:5]
	v_mul_f64 v[4:5], v[78:79], v[34:35]
	v_add_f64 v[100:101], v[96:97], v[98:99]
	ds_read_b128 v[96:99], v46 offset:1632
	v_fma_f64 v[4:5], v[76:77], v[36:37], -v[4:5]
	v_add_f64 v[2:3], v[2:3], v[4:5]
	v_mul_f64 v[4:5], v[82:83], v[30:31]
	v_fma_f64 v[4:5], v[80:81], v[32:33], -v[4:5]
	s_waitcnt vmcnt(20) lgkmcnt(1)
	v_mul_f64 v[102:103], v[92:93], v[114:115]
	v_add_f64 v[2:3], v[2:3], v[4:5]
	v_mul_f64 v[4:5], v[86:87], v[42:43]
	s_waitcnt vmcnt(18)
	v_fmac_f64_e32 v[102:103], v[94:95], v[116:117]
	v_fma_f64 v[4:5], v[84:85], v[44:45], -v[4:5]
	v_add_f64 v[104:105], v[100:101], v[102:103]
	ds_read_b128 v[100:103], v46 offset:1648
	s_waitcnt vmcnt(17) lgkmcnt(1)
	v_mul_f64 v[106:107], v[96:97], v[0:1]
	v_add_f64 v[2:3], v[2:3], v[4:5]
	v_mul_f64 v[4:5], v[90:91], v[38:39]
	s_waitcnt vmcnt(16)
	v_fmac_f64_e32 v[106:107], v[98:99], v[112:113]
	v_fma_f64 v[4:5], v[88:89], v[40:41], -v[4:5]
	v_add_f64 v[134:135], v[104:105], v[106:107]
	ds_read_b128 v[104:107], v46 offset:1664
	v_add_f64 v[2:3], v[2:3], v[4:5]
	v_mul_f64 v[4:5], v[94:95], v[114:115]
	v_fma_f64 v[4:5], v[92:93], v[116:117], -v[4:5]
	v_mul_f64 v[0:1], v[98:99], v[0:1]
	v_add_f64 v[2:3], v[2:3], v[4:5]
	v_fma_f64 v[0:1], v[96:97], v[112:113], -v[0:1]
	v_add_f64 v[0:1], v[2:3], v[0:1]
	s_waitcnt vmcnt(12) lgkmcnt(1)
	v_mul_f64 v[2:3], v[102:103], v[122:123]
	v_mul_f64 v[136:137], v[100:101], v[122:123]
	s_waitcnt vmcnt(10)
	v_fma_f64 v[2:3], v[100:101], v[124:125], -v[2:3]
	v_fmac_f64_e32 v[136:137], v[102:103], v[124:125]
	v_add_f64 v[0:1], v[0:1], v[2:3]
	s_waitcnt vmcnt(9) lgkmcnt(0)
	v_mul_f64 v[2:3], v[106:107], v[118:119]
	v_add_f64 v[46:47], v[134:135], v[136:137]
	v_mul_f64 v[134:135], v[104:105], v[118:119]
	s_waitcnt vmcnt(8)
	v_fma_f64 v[2:3], v[104:105], v[120:121], -v[2:3]
	v_fmac_f64_e32 v[134:135], v[106:107], v[120:121]
	v_add_f64 v[0:1], v[0:1], v[2:3]
	s_waitcnt vmcnt(6)
	v_mul_f64 v[2:3], v[110:111], v[126:127]
	v_add_f64 v[46:47], v[46:47], v[134:135]
	v_mul_f64 v[134:135], v[108:109], v[126:127]
	s_waitcnt vmcnt(4)
	v_fma_f64 v[2:3], v[108:109], v[128:129], -v[2:3]
	v_fmac_f64_e32 v[134:135], v[110:111], v[128:129]
	v_add_f64 v[0:1], v[0:1], v[2:3]
	v_add_f64 v[46:47], v[46:47], v[134:135]
	s_waitcnt vmcnt(2)
	v_add_f64 v[0:1], v[130:131], -v[0:1]
	s_waitcnt vmcnt(0)
	v_add_f64 v[2:3], v[132:133], -v[46:47]
	buffer_store_dword v1, off, s[0:3], 0 offset:596
	buffer_store_dword v0, off, s[0:3], 0 offset:592
	;; [unrolled: 1-line block ×4, first 2 shown]
	s_and_saveexec_b64 s[4:5], vcc
	s_cbranch_execz .LBB116_261
; %bb.260:
	v_accvgpr_read_b32 v0, a123
	buffer_load_dword v2, v0, s[0:3], 0 offen
	buffer_load_dword v3, v0, s[0:3], 0 offen offset:4
	buffer_load_dword v4, v0, s[0:3], 0 offen offset:8
	;; [unrolled: 1-line block ×3, first 2 shown]
	v_mov_b32_e32 v0, 0
	v_accvgpr_read_b32 v1, a159
	buffer_store_dword v0, off, s[0:3], 0 offset:576
	buffer_store_dword v0, off, s[0:3], 0 offset:580
	;; [unrolled: 1-line block ×4, first 2 shown]
	s_waitcnt vmcnt(4)
	ds_write_b128 v1, v[2:5]
.LBB116_261:
	s_or_b64 exec, exec, s[4:5]
	s_waitcnt lgkmcnt(0)
	; wave barrier
	s_waitcnt lgkmcnt(0)
	buffer_load_dword v2, off, s[0:3], 0 offset:592
	buffer_load_dword v3, off, s[0:3], 0 offset:596
	;; [unrolled: 1-line block ×68, first 2 shown]
	v_mov_b32_e32 v52, 0
	buffer_load_dword v138, off, s[0:3], 0 offset:576
	buffer_load_dword v139, off, s[0:3], 0 offset:580
	;; [unrolled: 1-line block ×3, first 2 shown]
	ds_read_b128 v[46:49], v52 offset:1424
	ds_read_b128 v[54:57], v52 offset:1440
	buffer_load_dword v141, off, s[0:3], 0 offset:588
	ds_read_b128 v[58:61], v52 offset:1456
	ds_read_b128 v[62:65], v52 offset:1472
	;; [unrolled: 1-line block ×3, first 2 shown]
	v_cmp_lt_u32_e32 vcc, 34, v255
	s_waitcnt vmcnt(62) lgkmcnt(4)
	v_mul_f64 v[66:67], v[46:47], v[6:7]
	v_fmac_f64_e32 v[66:67], v[48:49], v[2:3]
	v_add_f64 v[66:67], v[66:67], 0
	v_mul_f64 v[6:7], v[48:49], v[6:7]
	s_waitcnt lgkmcnt(3)
	v_mul_f64 v[68:69], v[54:55], v[10:11]
	v_fmac_f64_e32 v[68:69], v[56:57], v[4:5]
	v_add_f64 v[66:67], v[66:67], v[68:69]
	v_fma_f64 v[2:3], v[46:47], v[2:3], -v[6:7]
	s_waitcnt vmcnt(60) lgkmcnt(2)
	v_mul_f64 v[68:69], v[58:59], v[12:13]
	v_fmac_f64_e32 v[68:69], v[60:61], v[8:9]
	v_add_f64 v[70:71], v[66:67], v[68:69]
	ds_read_b128 v[66:69], v52 offset:1488
	s_waitcnt vmcnt(56) lgkmcnt(2)
	v_mul_f64 v[72:73], v[62:63], v[18:19]
	v_mul_f64 v[6:7], v[56:57], v[10:11]
	s_waitcnt vmcnt(54)
	v_fmac_f64_e32 v[72:73], v[64:65], v[20:21]
	v_add_f64 v[74:75], v[70:71], v[72:73]
	ds_read_b128 v[70:73], v52 offset:1504
	s_waitcnt vmcnt(53) lgkmcnt(1)
	v_mul_f64 v[76:77], v[66:67], v[14:15]
	s_waitcnt vmcnt(52)
	v_fmac_f64_e32 v[76:77], v[68:69], v[16:17]
	v_add_f64 v[78:79], v[74:75], v[76:77]
	ds_read_b128 v[74:77], v52 offset:1520
	s_waitcnt vmcnt(48) lgkmcnt(1)
	;; [unrolled: 6-line block ×4, first 2 shown]
	v_mul_f64 v[88:89], v[78:79], v[34:35]
	s_waitcnt vmcnt(38)
	v_fmac_f64_e32 v[88:89], v[80:81], v[36:37]
	v_add_f64 v[90:91], v[86:87], v[88:89]
	ds_read_b128 v[86:89], v52 offset:1568
	v_add_f64 v[2:3], v[2:3], 0
	v_fma_f64 v[4:5], v[54:55], v[4:5], -v[6:7]
	v_add_f64 v[2:3], v[2:3], v[4:5]
	v_mul_f64 v[4:5], v[60:61], v[12:13]
	v_fma_f64 v[4:5], v[58:59], v[8:9], -v[4:5]
	s_waitcnt vmcnt(37) lgkmcnt(1)
	v_mul_f64 v[92:93], v[82:83], v[30:31]
	v_add_f64 v[2:3], v[2:3], v[4:5]
	v_mul_f64 v[4:5], v[64:65], v[18:19]
	s_waitcnt vmcnt(36)
	v_fmac_f64_e32 v[92:93], v[84:85], v[32:33]
	v_fma_f64 v[4:5], v[62:63], v[20:21], -v[4:5]
	v_add_f64 v[94:95], v[90:91], v[92:93]
	ds_read_b128 v[90:93], v52 offset:1584
	s_waitcnt vmcnt(32) lgkmcnt(1)
	v_mul_f64 v[96:97], v[86:87], v[42:43]
	v_add_f64 v[2:3], v[2:3], v[4:5]
	v_mul_f64 v[4:5], v[68:69], v[14:15]
	s_waitcnt vmcnt(30)
	v_fmac_f64_e32 v[96:97], v[88:89], v[44:45]
	v_fma_f64 v[4:5], v[66:67], v[16:17], -v[4:5]
	v_add_f64 v[98:99], v[94:95], v[96:97]
	ds_read_b128 v[94:97], v52 offset:1600
	v_add_f64 v[2:3], v[2:3], v[4:5]
	v_mul_f64 v[4:5], v[72:73], v[26:27]
	v_fma_f64 v[4:5], v[70:71], v[28:29], -v[4:5]
	v_add_f64 v[2:3], v[2:3], v[4:5]
	v_mul_f64 v[4:5], v[76:77], v[22:23]
	s_waitcnt vmcnt(29) lgkmcnt(1)
	v_mul_f64 v[100:101], v[90:91], v[38:39]
	v_fma_f64 v[4:5], v[74:75], v[24:25], -v[4:5]
	s_waitcnt vmcnt(28)
	v_fmac_f64_e32 v[100:101], v[92:93], v[40:41]
	v_add_f64 v[2:3], v[2:3], v[4:5]
	v_mul_f64 v[4:5], v[80:81], v[34:35]
	v_add_f64 v[102:103], v[98:99], v[100:101]
	ds_read_b128 v[98:101], v52 offset:1616
	s_waitcnt vmcnt(24) lgkmcnt(1)
	v_mul_f64 v[104:105], v[94:95], v[118:119]
	v_fma_f64 v[4:5], v[78:79], v[36:37], -v[4:5]
	s_waitcnt vmcnt(22)
	v_fmac_f64_e32 v[104:105], v[96:97], v[120:121]
	v_add_f64 v[2:3], v[2:3], v[4:5]
	v_mul_f64 v[4:5], v[84:85], v[30:31]
	v_add_f64 v[106:107], v[102:103], v[104:105]
	ds_read_b128 v[102:105], v52 offset:1632
	v_fma_f64 v[4:5], v[82:83], v[32:33], -v[4:5]
	v_add_f64 v[2:3], v[2:3], v[4:5]
	v_mul_f64 v[4:5], v[88:89], v[42:43]
	v_fma_f64 v[4:5], v[86:87], v[44:45], -v[4:5]
	s_waitcnt vmcnt(21) lgkmcnt(1)
	v_mul_f64 v[108:109], v[98:99], v[0:1]
	v_add_f64 v[2:3], v[2:3], v[4:5]
	v_mul_f64 v[4:5], v[92:93], v[38:39]
	s_waitcnt vmcnt(20)
	v_fmac_f64_e32 v[108:109], v[100:101], v[50:51]
	v_fma_f64 v[4:5], v[90:91], v[40:41], -v[4:5]
	v_add_f64 v[110:111], v[106:107], v[108:109]
	ds_read_b128 v[106:109], v52 offset:1648
	s_waitcnt vmcnt(16) lgkmcnt(1)
	v_mul_f64 v[112:113], v[102:103], v[126:127]
	v_add_f64 v[2:3], v[2:3], v[4:5]
	v_mul_f64 v[4:5], v[96:97], v[118:119]
	s_waitcnt vmcnt(14)
	v_fmac_f64_e32 v[112:113], v[104:105], v[128:129]
	v_fma_f64 v[4:5], v[94:95], v[120:121], -v[4:5]
	v_mul_f64 v[0:1], v[100:101], v[0:1]
	v_add_f64 v[142:143], v[110:111], v[112:113]
	ds_read_b128 v[110:113], v52 offset:1664
	v_add_f64 v[2:3], v[2:3], v[4:5]
	v_fma_f64 v[0:1], v[98:99], v[50:51], -v[0:1]
	v_add_f64 v[0:1], v[2:3], v[0:1]
	v_mul_f64 v[2:3], v[104:105], v[126:127]
	v_fma_f64 v[2:3], v[102:103], v[128:129], -v[2:3]
	v_add_f64 v[0:1], v[0:1], v[2:3]
	s_waitcnt vmcnt(13) lgkmcnt(1)
	v_mul_f64 v[2:3], v[108:109], v[122:123]
	v_mul_f64 v[144:145], v[106:107], v[122:123]
	s_waitcnt vmcnt(12)
	v_fma_f64 v[2:3], v[106:107], v[124:125], -v[2:3]
	v_fmac_f64_e32 v[144:145], v[108:109], v[124:125]
	v_add_f64 v[0:1], v[0:1], v[2:3]
	s_waitcnt vmcnt(8) lgkmcnt(0)
	v_mul_f64 v[2:3], v[112:113], v[134:135]
	v_add_f64 v[142:143], v[142:143], v[144:145]
	v_mul_f64 v[144:145], v[110:111], v[134:135]
	s_waitcnt vmcnt(6)
	v_fma_f64 v[2:3], v[110:111], v[136:137], -v[2:3]
	v_fmac_f64_e32 v[144:145], v[112:113], v[136:137]
	v_add_f64 v[0:1], v[0:1], v[2:3]
	s_waitcnt vmcnt(5)
	v_mul_f64 v[2:3], v[116:117], v[130:131]
	v_add_f64 v[142:143], v[142:143], v[144:145]
	v_mul_f64 v[144:145], v[114:115], v[130:131]
	s_waitcnt vmcnt(4)
	v_fma_f64 v[2:3], v[114:115], v[132:133], -v[2:3]
	v_fmac_f64_e32 v[144:145], v[116:117], v[132:133]
	v_add_f64 v[0:1], v[0:1], v[2:3]
	v_add_f64 v[142:143], v[142:143], v[144:145]
	s_waitcnt vmcnt(2)
	v_add_f64 v[0:1], v[138:139], -v[0:1]
	s_waitcnt vmcnt(0)
	v_add_f64 v[2:3], v[140:141], -v[142:143]
	buffer_store_dword v1, off, s[0:3], 0 offset:580
	buffer_store_dword v0, off, s[0:3], 0 offset:576
	;; [unrolled: 1-line block ×4, first 2 shown]
	s_and_saveexec_b64 s[4:5], vcc
	s_cbranch_execz .LBB116_263
; %bb.262:
	v_accvgpr_read_b32 v0, a124
	buffer_load_dword v2, v0, s[0:3], 0 offen
	buffer_load_dword v3, v0, s[0:3], 0 offen offset:4
	buffer_load_dword v4, v0, s[0:3], 0 offen offset:8
	buffer_load_dword v5, v0, s[0:3], 0 offen offset:12
	v_accvgpr_read_b32 v0, a159
	buffer_store_dword v52, off, s[0:3], 0 offset:560
	buffer_store_dword v52, off, s[0:3], 0 offset:564
	;; [unrolled: 1-line block ×4, first 2 shown]
	s_waitcnt vmcnt(4)
	ds_write_b128 v0, v[2:5]
.LBB116_263:
	s_or_b64 exec, exec, s[4:5]
	s_waitcnt lgkmcnt(0)
	; wave barrier
	s_waitcnt lgkmcnt(0)
	buffer_load_dword v2, off, s[0:3], 0 offset:576
	buffer_load_dword v3, off, s[0:3], 0 offset:580
	;; [unrolled: 1-line block ×72, first 2 shown]
	ds_read_b128 v[54:57], v52 offset:1408
	buffer_load_dword v146, off, s[0:3], 0 offset:560
	buffer_load_dword v147, off, s[0:3], 0 offset:564
	;; [unrolled: 1-line block ×4, first 2 shown]
	ds_read_b128 v[58:61], v52 offset:1424
	ds_read_b128 v[62:65], v52 offset:1440
	;; [unrolled: 1-line block ×3, first 2 shown]
	v_cmp_lt_u32_e32 vcc, 33, v255
	ds_read_b128 v[124:127], v52 offset:1680
	s_waitcnt vmcnt(62) lgkmcnt(4)
	v_mul_f64 v[70:71], v[54:55], v[8:9]
	v_fmac_f64_e32 v[70:71], v[56:57], v[2:3]
	v_add_f64 v[70:71], v[70:71], 0
	v_mul_f64 v[8:9], v[56:57], v[8:9]
	s_waitcnt lgkmcnt(3)
	v_mul_f64 v[72:73], v[58:59], v[10:11]
	v_fmac_f64_e32 v[72:73], v[60:61], v[4:5]
	v_add_f64 v[70:71], v[70:71], v[72:73]
	v_fma_f64 v[2:3], v[54:55], v[2:3], -v[8:9]
	s_waitcnt lgkmcnt(2)
	v_mul_f64 v[72:73], v[62:63], v[12:13]
	v_fmac_f64_e32 v[72:73], v[64:65], v[6:7]
	v_add_f64 v[74:75], v[70:71], v[72:73]
	ds_read_b128 v[70:73], v52 offset:1472
	s_waitcnt vmcnt(60) lgkmcnt(2)
	v_mul_f64 v[76:77], v[66:67], v[18:19]
	v_mul_f64 v[8:9], v[60:61], v[10:11]
	s_waitcnt vmcnt(58)
	v_fmac_f64_e32 v[76:77], v[68:69], v[20:21]
	v_add_f64 v[78:79], v[74:75], v[76:77]
	ds_read_b128 v[74:77], v52 offset:1488
	s_waitcnt vmcnt(57) lgkmcnt(1)
	v_mul_f64 v[80:81], v[70:71], v[14:15]
	s_waitcnt vmcnt(56)
	v_fmac_f64_e32 v[80:81], v[72:73], v[16:17]
	v_add_f64 v[82:83], v[78:79], v[80:81]
	ds_read_b128 v[78:81], v52 offset:1504
	s_waitcnt vmcnt(52) lgkmcnt(1)
	v_mul_f64 v[84:85], v[74:75], v[26:27]
	s_waitcnt vmcnt(50)
	v_fmac_f64_e32 v[84:85], v[76:77], v[28:29]
	v_add_f64 v[86:87], v[82:83], v[84:85]
	ds_read_b128 v[82:85], v52 offset:1520
	s_waitcnt vmcnt(49) lgkmcnt(1)
	v_mul_f64 v[88:89], v[78:79], v[22:23]
	s_waitcnt vmcnt(48)
	v_fmac_f64_e32 v[88:89], v[80:81], v[24:25]
	v_add_f64 v[90:91], v[86:87], v[88:89]
	ds_read_b128 v[86:89], v52 offset:1536
	s_waitcnt vmcnt(44) lgkmcnt(1)
	v_mul_f64 v[92:93], v[82:83], v[34:35]
	s_waitcnt vmcnt(42)
	v_fmac_f64_e32 v[92:93], v[84:85], v[36:37]
	v_add_f64 v[2:3], v[2:3], 0
	v_fma_f64 v[4:5], v[58:59], v[4:5], -v[8:9]
	v_add_f64 v[94:95], v[90:91], v[92:93]
	ds_read_b128 v[90:93], v52 offset:1552
	s_waitcnt vmcnt(41) lgkmcnt(1)
	v_mul_f64 v[96:97], v[86:87], v[30:31]
	v_add_f64 v[2:3], v[2:3], v[4:5]
	v_mul_f64 v[4:5], v[64:65], v[12:13]
	s_waitcnt vmcnt(40)
	v_fmac_f64_e32 v[96:97], v[88:89], v[32:33]
	v_fma_f64 v[4:5], v[62:63], v[6:7], -v[4:5]
	v_add_f64 v[98:99], v[94:95], v[96:97]
	ds_read_b128 v[94:97], v52 offset:1568
	v_add_f64 v[2:3], v[2:3], v[4:5]
	v_mul_f64 v[4:5], v[68:69], v[18:19]
	v_fma_f64 v[4:5], v[66:67], v[20:21], -v[4:5]
	v_add_f64 v[2:3], v[2:3], v[4:5]
	v_mul_f64 v[4:5], v[72:73], v[14:15]
	s_waitcnt vmcnt(36) lgkmcnt(1)
	v_mul_f64 v[100:101], v[90:91], v[42:43]
	v_fma_f64 v[4:5], v[70:71], v[16:17], -v[4:5]
	s_waitcnt vmcnt(34)
	v_fmac_f64_e32 v[100:101], v[92:93], v[44:45]
	v_add_f64 v[2:3], v[2:3], v[4:5]
	v_mul_f64 v[4:5], v[76:77], v[26:27]
	v_add_f64 v[102:103], v[98:99], v[100:101]
	ds_read_b128 v[98:101], v52 offset:1584
	s_waitcnt vmcnt(33) lgkmcnt(1)
	v_mul_f64 v[104:105], v[94:95], v[38:39]
	v_fma_f64 v[4:5], v[74:75], v[28:29], -v[4:5]
	s_waitcnt vmcnt(32)
	v_fmac_f64_e32 v[104:105], v[96:97], v[40:41]
	v_add_f64 v[2:3], v[2:3], v[4:5]
	v_mul_f64 v[4:5], v[80:81], v[22:23]
	v_add_f64 v[106:107], v[102:103], v[104:105]
	ds_read_b128 v[102:105], v52 offset:1600
	v_fma_f64 v[4:5], v[78:79], v[24:25], -v[4:5]
	v_add_f64 v[2:3], v[2:3], v[4:5]
	v_mul_f64 v[4:5], v[84:85], v[34:35]
	v_fma_f64 v[4:5], v[82:83], v[36:37], -v[4:5]
	s_waitcnt vmcnt(28) lgkmcnt(1)
	v_mul_f64 v[108:109], v[98:99], v[50:51]
	v_add_f64 v[2:3], v[2:3], v[4:5]
	v_mul_f64 v[4:5], v[88:89], v[30:31]
	s_waitcnt vmcnt(26)
	v_fmac_f64_e32 v[108:109], v[100:101], v[0:1]
	v_fma_f64 v[4:5], v[86:87], v[32:33], -v[4:5]
	v_add_f64 v[110:111], v[106:107], v[108:109]
	ds_read_b128 v[106:109], v52 offset:1616
	s_waitcnt vmcnt(25) lgkmcnt(1)
	v_mul_f64 v[112:113], v[102:103], v[46:47]
	v_add_f64 v[2:3], v[2:3], v[4:5]
	v_mul_f64 v[4:5], v[92:93], v[42:43]
	s_waitcnt vmcnt(24)
	v_fmac_f64_e32 v[112:113], v[104:105], v[48:49]
	v_fma_f64 v[4:5], v[90:91], v[44:45], -v[4:5]
	v_add_f64 v[114:115], v[110:111], v[112:113]
	ds_read_b128 v[110:113], v52 offset:1632
	v_add_f64 v[2:3], v[2:3], v[4:5]
	v_mul_f64 v[4:5], v[96:97], v[38:39]
	v_fma_f64 v[4:5], v[94:95], v[40:41], -v[4:5]
	v_add_f64 v[2:3], v[2:3], v[4:5]
	v_mul_f64 v[4:5], v[100:101], v[50:51]
	s_waitcnt vmcnt(20) lgkmcnt(1)
	v_mul_f64 v[116:117], v[106:107], v[130:131]
	v_fma_f64 v[0:1], v[98:99], v[0:1], -v[4:5]
	s_waitcnt vmcnt(18)
	v_fmac_f64_e32 v[116:117], v[108:109], v[132:133]
	v_add_f64 v[0:1], v[2:3], v[0:1]
	v_mul_f64 v[2:3], v[104:105], v[46:47]
	v_add_f64 v[120:121], v[114:115], v[116:117]
	ds_read_b128 v[114:117], v52 offset:1648
	s_waitcnt vmcnt(17) lgkmcnt(1)
	v_mul_f64 v[122:123], v[110:111], v[118:119]
	v_fma_f64 v[2:3], v[102:103], v[48:49], -v[2:3]
	s_waitcnt vmcnt(16)
	v_fmac_f64_e32 v[122:123], v[112:113], v[128:129]
	v_add_f64 v[0:1], v[0:1], v[2:3]
	v_mul_f64 v[2:3], v[108:109], v[130:131]
	v_add_f64 v[150:151], v[120:121], v[122:123]
	ds_read_b128 v[120:123], v52 offset:1664
	v_fma_f64 v[2:3], v[106:107], v[132:133], -v[2:3]
	v_add_f64 v[0:1], v[0:1], v[2:3]
	v_mul_f64 v[2:3], v[112:113], v[118:119]
	v_fma_f64 v[2:3], v[110:111], v[128:129], -v[2:3]
	v_add_f64 v[0:1], v[0:1], v[2:3]
	s_waitcnt vmcnt(12) lgkmcnt(1)
	v_mul_f64 v[2:3], v[116:117], v[138:139]
	v_mul_f64 v[152:153], v[114:115], v[138:139]
	s_waitcnt vmcnt(10)
	v_fma_f64 v[2:3], v[114:115], v[140:141], -v[2:3]
	v_fmac_f64_e32 v[152:153], v[116:117], v[140:141]
	v_add_f64 v[0:1], v[0:1], v[2:3]
	s_waitcnt vmcnt(9) lgkmcnt(0)
	v_mul_f64 v[2:3], v[122:123], v[134:135]
	v_add_f64 v[52:53], v[150:151], v[152:153]
	v_mul_f64 v[150:151], v[120:121], v[134:135]
	s_waitcnt vmcnt(8)
	v_fma_f64 v[2:3], v[120:121], v[136:137], -v[2:3]
	v_fmac_f64_e32 v[150:151], v[122:123], v[136:137]
	v_add_f64 v[0:1], v[0:1], v[2:3]
	s_waitcnt vmcnt(6)
	v_mul_f64 v[2:3], v[126:127], v[142:143]
	v_add_f64 v[52:53], v[52:53], v[150:151]
	v_mul_f64 v[150:151], v[124:125], v[142:143]
	s_waitcnt vmcnt(4)
	v_fma_f64 v[2:3], v[124:125], v[144:145], -v[2:3]
	v_fmac_f64_e32 v[150:151], v[126:127], v[144:145]
	v_add_f64 v[0:1], v[0:1], v[2:3]
	v_add_f64 v[52:53], v[52:53], v[150:151]
	s_waitcnt vmcnt(2)
	v_add_f64 v[0:1], v[146:147], -v[0:1]
	s_waitcnt vmcnt(0)
	v_add_f64 v[2:3], v[148:149], -v[52:53]
	buffer_store_dword v1, off, s[0:3], 0 offset:564
	buffer_store_dword v0, off, s[0:3], 0 offset:560
	;; [unrolled: 1-line block ×4, first 2 shown]
	s_and_saveexec_b64 s[4:5], vcc
	s_cbranch_execz .LBB116_265
; %bb.264:
	v_accvgpr_read_b32 v0, a125
	buffer_load_dword v2, v0, s[0:3], 0 offen
	buffer_load_dword v3, v0, s[0:3], 0 offen offset:4
	buffer_load_dword v4, v0, s[0:3], 0 offen offset:8
	;; [unrolled: 1-line block ×3, first 2 shown]
	v_mov_b32_e32 v0, 0
	v_accvgpr_read_b32 v1, a159
	buffer_store_dword v0, off, s[0:3], 0 offset:544
	buffer_store_dword v0, off, s[0:3], 0 offset:548
	;; [unrolled: 1-line block ×4, first 2 shown]
	s_waitcnt vmcnt(4)
	ds_write_b128 v1, v[2:5]
.LBB116_265:
	s_or_b64 exec, exec, s[4:5]
	s_waitcnt lgkmcnt(0)
	; wave barrier
	s_waitcnt lgkmcnt(0)
	buffer_load_dword v2, off, s[0:3], 0 offset:560
	buffer_load_dword v3, off, s[0:3], 0 offset:564
	;; [unrolled: 1-line block ×76, first 2 shown]
	v_mov_b32_e32 v54, 0
	ds_read_b128 v[56:59], v54 offset:1392
	buffer_load_dword v154, off, s[0:3], 0 offset:544
	buffer_load_dword v155, off, s[0:3], 0 offset:548
	;; [unrolled: 1-line block ×4, first 2 shown]
	ds_read_b128 v[60:63], v54 offset:1408
	ds_read_b128 v[64:67], v54 offset:1424
	;; [unrolled: 1-line block ×4, first 2 shown]
	v_cmp_lt_u32_e32 vcc, 32, v255
	s_waitcnt vmcnt(62) lgkmcnt(4)
	v_mul_f64 v[72:73], v[56:57], v[8:9]
	v_fmac_f64_e32 v[72:73], v[58:59], v[2:3]
	v_add_f64 v[72:73], v[72:73], 0
	v_mul_f64 v[8:9], v[58:59], v[8:9]
	s_waitcnt lgkmcnt(3)
	v_mul_f64 v[74:75], v[60:61], v[10:11]
	v_fmac_f64_e32 v[74:75], v[62:63], v[4:5]
	v_add_f64 v[72:73], v[72:73], v[74:75]
	v_fma_f64 v[2:3], v[56:57], v[2:3], -v[8:9]
	s_waitcnt lgkmcnt(2)
	v_mul_f64 v[74:75], v[64:65], v[12:13]
	v_fmac_f64_e32 v[74:75], v[66:67], v[6:7]
	v_add_f64 v[76:77], v[72:73], v[74:75]
	ds_read_b128 v[72:75], v54 offset:1456
	s_waitcnt lgkmcnt(2)
	v_mul_f64 v[78:79], v[68:69], v[18:19]
	v_mul_f64 v[8:9], v[62:63], v[10:11]
	v_fmac_f64_e32 v[78:79], v[70:71], v[20:21]
	v_add_f64 v[80:81], v[76:77], v[78:79]
	ds_read_b128 v[76:79], v54 offset:1472
	s_waitcnt vmcnt(61) lgkmcnt(1)
	v_mul_f64 v[82:83], v[72:73], v[14:15]
	s_waitcnt vmcnt(60)
	v_fmac_f64_e32 v[82:83], v[74:75], v[16:17]
	v_add_f64 v[84:85], v[80:81], v[82:83]
	ds_read_b128 v[80:83], v54 offset:1488
	s_waitcnt vmcnt(56) lgkmcnt(1)
	v_mul_f64 v[86:87], v[76:77], v[26:27]
	s_waitcnt vmcnt(54)
	;; [unrolled: 6-line block ×4, first 2 shown]
	v_fmac_f64_e32 v[94:95], v[86:87], v[36:37]
	v_add_f64 v[96:97], v[92:93], v[94:95]
	ds_read_b128 v[92:95], v54 offset:1536
	s_waitcnt vmcnt(45) lgkmcnt(1)
	v_mul_f64 v[98:99], v[88:89], v[30:31]
	v_add_f64 v[2:3], v[2:3], 0
	v_fma_f64 v[4:5], v[60:61], v[4:5], -v[8:9]
	s_waitcnt vmcnt(44)
	v_fmac_f64_e32 v[98:99], v[90:91], v[32:33]
	v_add_f64 v[2:3], v[2:3], v[4:5]
	v_mul_f64 v[4:5], v[66:67], v[12:13]
	v_add_f64 v[100:101], v[96:97], v[98:99]
	ds_read_b128 v[96:99], v54 offset:1552
	s_waitcnt vmcnt(40) lgkmcnt(1)
	v_mul_f64 v[102:103], v[92:93], v[42:43]
	v_fma_f64 v[4:5], v[64:65], v[6:7], -v[4:5]
	s_waitcnt vmcnt(38)
	v_fmac_f64_e32 v[102:103], v[94:95], v[44:45]
	v_add_f64 v[2:3], v[2:3], v[4:5]
	v_mul_f64 v[4:5], v[70:71], v[18:19]
	v_add_f64 v[104:105], v[100:101], v[102:103]
	ds_read_b128 v[100:103], v54 offset:1568
	v_fma_f64 v[4:5], v[68:69], v[20:21], -v[4:5]
	v_add_f64 v[2:3], v[2:3], v[4:5]
	v_mul_f64 v[4:5], v[74:75], v[14:15]
	v_fma_f64 v[4:5], v[72:73], v[16:17], -v[4:5]
	s_waitcnt vmcnt(37) lgkmcnt(1)
	v_mul_f64 v[106:107], v[96:97], v[38:39]
	v_add_f64 v[2:3], v[2:3], v[4:5]
	v_mul_f64 v[4:5], v[78:79], v[26:27]
	s_waitcnt vmcnt(36)
	v_fmac_f64_e32 v[106:107], v[98:99], v[40:41]
	v_fma_f64 v[4:5], v[76:77], v[28:29], -v[4:5]
	v_add_f64 v[108:109], v[104:105], v[106:107]
	ds_read_b128 v[104:107], v54 offset:1584
	s_waitcnt vmcnt(32) lgkmcnt(1)
	v_mul_f64 v[110:111], v[100:101], v[50:51]
	v_add_f64 v[2:3], v[2:3], v[4:5]
	v_mul_f64 v[4:5], v[82:83], v[22:23]
	s_waitcnt vmcnt(30)
	v_fmac_f64_e32 v[110:111], v[102:103], v[52:53]
	v_fma_f64 v[4:5], v[80:81], v[24:25], -v[4:5]
	v_add_f64 v[112:113], v[108:109], v[110:111]
	ds_read_b128 v[108:111], v54 offset:1600
	v_add_f64 v[2:3], v[2:3], v[4:5]
	v_mul_f64 v[4:5], v[86:87], v[34:35]
	v_fma_f64 v[4:5], v[84:85], v[36:37], -v[4:5]
	v_add_f64 v[2:3], v[2:3], v[4:5]
	v_mul_f64 v[4:5], v[90:91], v[30:31]
	s_waitcnt vmcnt(29) lgkmcnt(1)
	v_mul_f64 v[114:115], v[104:105], v[46:47]
	v_fma_f64 v[4:5], v[88:89], v[32:33], -v[4:5]
	s_waitcnt vmcnt(28)
	v_fmac_f64_e32 v[114:115], v[106:107], v[48:49]
	v_add_f64 v[2:3], v[2:3], v[4:5]
	v_mul_f64 v[4:5], v[94:95], v[42:43]
	v_add_f64 v[120:121], v[112:113], v[114:115]
	ds_read_b128 v[112:115], v54 offset:1616
	s_waitcnt vmcnt(24) lgkmcnt(1)
	v_mul_f64 v[122:123], v[108:109], v[118:119]
	v_fma_f64 v[4:5], v[92:93], v[44:45], -v[4:5]
	s_waitcnt vmcnt(22)
	v_fmac_f64_e32 v[122:123], v[110:111], v[136:137]
	v_add_f64 v[2:3], v[2:3], v[4:5]
	v_mul_f64 v[4:5], v[98:99], v[38:39]
	v_add_f64 v[124:125], v[120:121], v[122:123]
	ds_read_b128 v[120:123], v54 offset:1632
	v_fma_f64 v[4:5], v[96:97], v[40:41], -v[4:5]
	v_add_f64 v[2:3], v[2:3], v[4:5]
	v_mul_f64 v[4:5], v[102:103], v[50:51]
	v_fma_f64 v[4:5], v[100:101], v[52:53], -v[4:5]
	s_waitcnt vmcnt(21) lgkmcnt(1)
	v_mul_f64 v[126:127], v[112:113], v[0:1]
	v_add_f64 v[2:3], v[2:3], v[4:5]
	v_mul_f64 v[4:5], v[106:107], v[46:47]
	s_waitcnt vmcnt(20)
	v_fmac_f64_e32 v[126:127], v[114:115], v[116:117]
	v_fma_f64 v[4:5], v[104:105], v[48:49], -v[4:5]
	v_add_f64 v[128:129], v[124:125], v[126:127]
	ds_read_b128 v[124:127], v54 offset:1648
	s_waitcnt vmcnt(16) lgkmcnt(1)
	v_mul_f64 v[130:131], v[120:121], v[142:143]
	v_add_f64 v[2:3], v[2:3], v[4:5]
	v_mul_f64 v[4:5], v[110:111], v[118:119]
	s_waitcnt vmcnt(14)
	v_fmac_f64_e32 v[130:131], v[122:123], v[144:145]
	v_fma_f64 v[4:5], v[108:109], v[136:137], -v[4:5]
	v_mul_f64 v[0:1], v[114:115], v[0:1]
	v_add_f64 v[158:159], v[128:129], v[130:131]
	ds_read_b128 v[128:131], v54 offset:1664
	v_add_f64 v[2:3], v[2:3], v[4:5]
	v_fma_f64 v[0:1], v[112:113], v[116:117], -v[0:1]
	v_add_f64 v[0:1], v[2:3], v[0:1]
	v_mul_f64 v[2:3], v[122:123], v[142:143]
	v_fma_f64 v[2:3], v[120:121], v[144:145], -v[2:3]
	v_add_f64 v[0:1], v[0:1], v[2:3]
	s_waitcnt vmcnt(13) lgkmcnt(1)
	v_mul_f64 v[2:3], v[126:127], v[138:139]
	v_mul_f64 v[160:161], v[124:125], v[138:139]
	s_waitcnt vmcnt(12)
	v_fma_f64 v[2:3], v[124:125], v[140:141], -v[2:3]
	v_fmac_f64_e32 v[160:161], v[126:127], v[140:141]
	v_add_f64 v[0:1], v[0:1], v[2:3]
	s_waitcnt vmcnt(8) lgkmcnt(0)
	v_mul_f64 v[2:3], v[130:131], v[150:151]
	v_add_f64 v[158:159], v[158:159], v[160:161]
	v_mul_f64 v[160:161], v[128:129], v[150:151]
	s_waitcnt vmcnt(6)
	v_fma_f64 v[2:3], v[128:129], v[152:153], -v[2:3]
	v_fmac_f64_e32 v[160:161], v[130:131], v[152:153]
	v_add_f64 v[0:1], v[0:1], v[2:3]
	s_waitcnt vmcnt(5)
	v_mul_f64 v[2:3], v[134:135], v[146:147]
	v_add_f64 v[158:159], v[158:159], v[160:161]
	v_mul_f64 v[160:161], v[132:133], v[146:147]
	s_waitcnt vmcnt(4)
	v_fma_f64 v[2:3], v[132:133], v[148:149], -v[2:3]
	v_fmac_f64_e32 v[160:161], v[134:135], v[148:149]
	v_add_f64 v[0:1], v[0:1], v[2:3]
	v_add_f64 v[158:159], v[158:159], v[160:161]
	s_waitcnt vmcnt(2)
	v_add_f64 v[0:1], v[154:155], -v[0:1]
	s_waitcnt vmcnt(0)
	v_add_f64 v[2:3], v[156:157], -v[158:159]
	buffer_store_dword v1, off, s[0:3], 0 offset:548
	buffer_store_dword v0, off, s[0:3], 0 offset:544
	;; [unrolled: 1-line block ×4, first 2 shown]
	s_and_saveexec_b64 s[4:5], vcc
	s_cbranch_execz .LBB116_267
; %bb.266:
	v_accvgpr_read_b32 v0, a126
	buffer_load_dword v2, v0, s[0:3], 0 offen
	buffer_load_dword v3, v0, s[0:3], 0 offen offset:4
	buffer_load_dword v4, v0, s[0:3], 0 offen offset:8
	;; [unrolled: 1-line block ×3, first 2 shown]
	v_accvgpr_read_b32 v0, a159
	buffer_store_dword v54, off, s[0:3], 0 offset:528
	buffer_store_dword v54, off, s[0:3], 0 offset:532
	;; [unrolled: 1-line block ×4, first 2 shown]
	s_waitcnt vmcnt(4)
	ds_write_b128 v0, v[2:5]
.LBB116_267:
	s_or_b64 exec, exec, s[4:5]
	s_waitcnt lgkmcnt(0)
	; wave barrier
	s_waitcnt lgkmcnt(0)
	buffer_load_dword v2, off, s[0:3], 0 offset:544
	buffer_load_dword v3, off, s[0:3], 0 offset:548
	;; [unrolled: 1-line block ×76, first 2 shown]
	ds_read_b128 v[56:59], v54 offset:1376
	buffer_load_dword v159, off, s[0:3], 0 offset:860
	buffer_load_dword v158, off, s[0:3], 0 offset:856
	buffer_load_dword v161, off, s[0:3], 0 offset:852
	buffer_load_dword v160, off, s[0:3], 0 offset:848
	buffer_load_dword v162, off, s[0:3], 0 offset:528
	buffer_load_dword v163, off, s[0:3], 0 offset:532
	buffer_load_dword v164, off, s[0:3], 0 offset:536
	buffer_load_dword v165, off, s[0:3], 0 offset:540
	ds_read_b128 v[60:63], v54 offset:1392
	ds_read_b128 v[64:67], v54 offset:1408
	;; [unrolled: 1-line block ×3, first 2 shown]
	v_cmp_lt_u32_e32 vcc, 31, v255
	ds_read_b128 v[136:139], v54 offset:1680
	s_waitcnt vmcnt(62) lgkmcnt(4)
	v_mul_f64 v[72:73], v[56:57], v[8:9]
	v_fmac_f64_e32 v[72:73], v[58:59], v[2:3]
	v_add_f64 v[72:73], v[72:73], 0
	v_mul_f64 v[8:9], v[58:59], v[8:9]
	s_waitcnt lgkmcnt(3)
	v_mul_f64 v[74:75], v[60:61], v[10:11]
	v_fmac_f64_e32 v[74:75], v[62:63], v[4:5]
	v_add_f64 v[72:73], v[72:73], v[74:75]
	v_fma_f64 v[2:3], v[56:57], v[2:3], -v[8:9]
	s_waitcnt lgkmcnt(2)
	v_mul_f64 v[74:75], v[64:65], v[12:13]
	v_fmac_f64_e32 v[74:75], v[66:67], v[6:7]
	v_add_f64 v[76:77], v[72:73], v[74:75]
	ds_read_b128 v[72:75], v54 offset:1440
	v_mul_f64 v[8:9], v[62:63], v[10:11]
	v_add_f64 v[2:3], v[2:3], 0
	s_waitcnt lgkmcnt(2)
	v_mul_f64 v[78:79], v[68:69], v[18:19]
	v_fma_f64 v[4:5], v[60:61], v[4:5], -v[8:9]
	v_fmac_f64_e32 v[78:79], v[70:71], v[20:21]
	v_add_f64 v[80:81], v[76:77], v[78:79]
	ds_read_b128 v[76:79], v54 offset:1456
	s_waitcnt lgkmcnt(1)
	v_mul_f64 v[82:83], v[72:73], v[14:15]
	v_fmac_f64_e32 v[82:83], v[74:75], v[16:17]
	v_add_f64 v[84:85], v[80:81], v[82:83]
	ds_read_b128 v[80:83], v54 offset:1472
	s_waitcnt vmcnt(58) lgkmcnt(1)
	v_mul_f64 v[86:87], v[76:77], v[26:27]
	s_waitcnt vmcnt(56)
	v_fmac_f64_e32 v[86:87], v[78:79], v[28:29]
	v_add_f64 v[88:89], v[84:85], v[86:87]
	ds_read_b128 v[84:87], v54 offset:1488
	s_waitcnt lgkmcnt(1)
	v_mul_f64 v[90:91], v[80:81], v[22:23]
	v_fmac_f64_e32 v[90:91], v[82:83], v[24:25]
	v_add_f64 v[92:93], v[88:89], v[90:91]
	ds_read_b128 v[88:91], v54 offset:1504
	s_waitcnt vmcnt(50) lgkmcnt(1)
	v_mul_f64 v[94:95], v[84:85], v[34:35]
	s_waitcnt vmcnt(48)
	v_fmac_f64_e32 v[94:95], v[86:87], v[36:37]
	v_add_f64 v[96:97], v[92:93], v[94:95]
	ds_read_b128 v[92:95], v54 offset:1520
	s_waitcnt lgkmcnt(1)
	v_mul_f64 v[98:99], v[88:89], v[30:31]
	v_fmac_f64_e32 v[98:99], v[90:91], v[32:33]
	v_add_f64 v[100:101], v[96:97], v[98:99]
	ds_read_b128 v[96:99], v54 offset:1536
	v_add_f64 v[2:3], v[2:3], v[4:5]
	v_mul_f64 v[4:5], v[66:67], v[12:13]
	s_waitcnt vmcnt(42) lgkmcnt(1)
	v_mul_f64 v[102:103], v[92:93], v[42:43]
	v_fma_f64 v[4:5], v[64:65], v[6:7], -v[4:5]
	s_waitcnt vmcnt(40)
	v_fmac_f64_e32 v[102:103], v[94:95], v[44:45]
	v_add_f64 v[2:3], v[2:3], v[4:5]
	v_mul_f64 v[4:5], v[70:71], v[18:19]
	v_add_f64 v[104:105], v[100:101], v[102:103]
	ds_read_b128 v[100:103], v54 offset:1552
	s_waitcnt lgkmcnt(1)
	v_mul_f64 v[106:107], v[96:97], v[38:39]
	v_fma_f64 v[4:5], v[68:69], v[20:21], -v[4:5]
	v_fmac_f64_e32 v[106:107], v[98:99], v[40:41]
	v_add_f64 v[2:3], v[2:3], v[4:5]
	v_mul_f64 v[4:5], v[74:75], v[14:15]
	v_add_f64 v[108:109], v[104:105], v[106:107]
	ds_read_b128 v[104:107], v54 offset:1568
	v_fma_f64 v[4:5], v[72:73], v[16:17], -v[4:5]
	v_add_f64 v[2:3], v[2:3], v[4:5]
	v_mul_f64 v[4:5], v[78:79], v[26:27]
	v_fma_f64 v[4:5], v[76:77], v[28:29], -v[4:5]
	s_waitcnt vmcnt(34) lgkmcnt(1)
	v_mul_f64 v[110:111], v[100:101], v[50:51]
	v_add_f64 v[2:3], v[2:3], v[4:5]
	v_mul_f64 v[4:5], v[82:83], v[22:23]
	s_waitcnt vmcnt(32)
	v_fmac_f64_e32 v[110:111], v[102:103], v[52:53]
	v_fma_f64 v[4:5], v[80:81], v[24:25], -v[4:5]
	v_add_f64 v[112:113], v[108:109], v[110:111]
	ds_read_b128 v[108:111], v54 offset:1584
	s_waitcnt lgkmcnt(1)
	v_mul_f64 v[114:115], v[104:105], v[46:47]
	v_add_f64 v[2:3], v[2:3], v[4:5]
	v_mul_f64 v[4:5], v[86:87], v[34:35]
	v_fmac_f64_e32 v[114:115], v[106:107], v[48:49]
	v_fma_f64 v[4:5], v[84:85], v[36:37], -v[4:5]
	v_add_f64 v[120:121], v[112:113], v[114:115]
	ds_read_b128 v[112:115], v54 offset:1600
	v_add_f64 v[2:3], v[2:3], v[4:5]
	v_mul_f64 v[4:5], v[90:91], v[30:31]
	v_fma_f64 v[4:5], v[88:89], v[32:33], -v[4:5]
	v_add_f64 v[2:3], v[2:3], v[4:5]
	v_mul_f64 v[4:5], v[94:95], v[42:43]
	s_waitcnt vmcnt(26) lgkmcnt(1)
	v_mul_f64 v[122:123], v[108:109], v[118:119]
	v_fma_f64 v[4:5], v[92:93], v[44:45], -v[4:5]
	s_waitcnt vmcnt(24)
	v_fmac_f64_e32 v[122:123], v[110:111], v[140:141]
	v_add_f64 v[2:3], v[2:3], v[4:5]
	v_mul_f64 v[4:5], v[98:99], v[38:39]
	v_add_f64 v[124:125], v[120:121], v[122:123]
	ds_read_b128 v[120:123], v54 offset:1616
	s_waitcnt lgkmcnt(1)
	v_mul_f64 v[126:127], v[112:113], v[0:1]
	v_fma_f64 v[4:5], v[96:97], v[40:41], -v[4:5]
	v_fmac_f64_e32 v[126:127], v[114:115], v[116:117]
	v_add_f64 v[2:3], v[2:3], v[4:5]
	v_mul_f64 v[4:5], v[102:103], v[50:51]
	v_add_f64 v[128:129], v[124:125], v[126:127]
	ds_read_b128 v[124:127], v54 offset:1632
	v_fma_f64 v[4:5], v[100:101], v[52:53], -v[4:5]
	v_add_f64 v[2:3], v[2:3], v[4:5]
	v_mul_f64 v[4:5], v[106:107], v[46:47]
	v_fma_f64 v[4:5], v[104:105], v[48:49], -v[4:5]
	s_waitcnt vmcnt(18) lgkmcnt(1)
	v_mul_f64 v[130:131], v[120:121], v[146:147]
	v_add_f64 v[2:3], v[2:3], v[4:5]
	v_mul_f64 v[4:5], v[110:111], v[118:119]
	s_waitcnt vmcnt(16)
	v_fmac_f64_e32 v[130:131], v[122:123], v[148:149]
	v_fma_f64 v[4:5], v[108:109], v[140:141], -v[4:5]
	v_mul_f64 v[0:1], v[114:115], v[0:1]
	v_add_f64 v[132:133], v[128:129], v[130:131]
	ds_read_b128 v[128:131], v54 offset:1648
	s_waitcnt lgkmcnt(1)
	v_mul_f64 v[134:135], v[124:125], v[142:143]
	v_add_f64 v[2:3], v[2:3], v[4:5]
	v_fma_f64 v[0:1], v[112:113], v[116:117], -v[0:1]
	v_fmac_f64_e32 v[134:135], v[126:127], v[144:145]
	v_add_f64 v[0:1], v[2:3], v[0:1]
	v_mul_f64 v[2:3], v[122:123], v[146:147]
	v_add_f64 v[166:167], v[132:133], v[134:135]
	ds_read_b128 v[132:135], v54 offset:1664
	v_fma_f64 v[2:3], v[120:121], v[148:149], -v[2:3]
	v_add_f64 v[0:1], v[0:1], v[2:3]
	v_mul_f64 v[2:3], v[126:127], v[142:143]
	v_fma_f64 v[2:3], v[124:125], v[144:145], -v[2:3]
	v_add_f64 v[0:1], v[0:1], v[2:3]
	s_waitcnt vmcnt(10) lgkmcnt(1)
	v_mul_f64 v[2:3], v[130:131], v[154:155]
	v_mul_f64 v[168:169], v[128:129], v[154:155]
	s_waitcnt vmcnt(8)
	v_fma_f64 v[2:3], v[128:129], v[156:157], -v[2:3]
	v_fmac_f64_e32 v[168:169], v[130:131], v[156:157]
	v_add_f64 v[0:1], v[0:1], v[2:3]
	s_waitcnt lgkmcnt(0)
	v_mul_f64 v[2:3], v[134:135], v[150:151]
	v_add_f64 v[54:55], v[166:167], v[168:169]
	v_mul_f64 v[166:167], v[132:133], v[150:151]
	v_fma_f64 v[2:3], v[132:133], v[152:153], -v[2:3]
	v_fmac_f64_e32 v[166:167], v[134:135], v[152:153]
	v_add_f64 v[0:1], v[0:1], v[2:3]
	s_waitcnt vmcnt(6)
	v_mul_f64 v[2:3], v[138:139], v[158:159]
	v_add_f64 v[54:55], v[54:55], v[166:167]
	v_mul_f64 v[166:167], v[136:137], v[158:159]
	s_waitcnt vmcnt(4)
	v_fma_f64 v[2:3], v[136:137], v[160:161], -v[2:3]
	v_fmac_f64_e32 v[166:167], v[138:139], v[160:161]
	v_add_f64 v[0:1], v[0:1], v[2:3]
	v_add_f64 v[54:55], v[54:55], v[166:167]
	s_waitcnt vmcnt(2)
	v_add_f64 v[0:1], v[162:163], -v[0:1]
	s_waitcnt vmcnt(0)
	v_add_f64 v[2:3], v[164:165], -v[54:55]
	buffer_store_dword v1, off, s[0:3], 0 offset:532
	buffer_store_dword v0, off, s[0:3], 0 offset:528
	;; [unrolled: 1-line block ×4, first 2 shown]
	s_and_saveexec_b64 s[4:5], vcc
	s_cbranch_execz .LBB116_269
; %bb.268:
	v_accvgpr_read_b32 v0, a127
	buffer_load_dword v2, v0, s[0:3], 0 offen
	buffer_load_dword v3, v0, s[0:3], 0 offen offset:4
	buffer_load_dword v4, v0, s[0:3], 0 offen offset:8
	;; [unrolled: 1-line block ×3, first 2 shown]
	v_mov_b32_e32 v0, 0
	v_accvgpr_read_b32 v1, a159
	buffer_store_dword v0, off, s[0:3], 0 offset:512
	buffer_store_dword v0, off, s[0:3], 0 offset:516
	;; [unrolled: 1-line block ×4, first 2 shown]
	s_waitcnt vmcnt(4)
	ds_write_b128 v1, v[2:5]
.LBB116_269:
	s_or_b64 exec, exec, s[4:5]
	s_waitcnt lgkmcnt(0)
	; wave barrier
	s_waitcnt lgkmcnt(0)
	buffer_load_dword v4, off, s[0:3], 0 offset:512
	buffer_load_dword v5, off, s[0:3], 0 offset:516
	;; [unrolled: 1-line block ×84, first 2 shown]
	v_mov_b32_e32 v86, 0
	ds_read_b128 v[66:69], v86 offset:1360
	buffer_load_dword v171, off, s[0:3], 0 offset:860
	buffer_load_dword v170, off, s[0:3], 0 offset:856
	buffer_load_dword v173, off, s[0:3], 0 offset:852
	buffer_load_dword v172, off, s[0:3], 0 offset:848
	ds_read_b128 v[70:73], v86 offset:1376
	ds_read_b128 v[74:77], v86 offset:1392
	;; [unrolled: 1-line block ×4, first 2 shown]
	v_cmp_lt_u32_e32 vcc, 30, v255
	s_waitcnt vmcnt(62) lgkmcnt(4)
	v_mul_f64 v[82:83], v[66:67], v[12:13]
	v_fmac_f64_e32 v[82:83], v[68:69], v[6:7]
	s_waitcnt lgkmcnt(3)
	v_mul_f64 v[84:85], v[70:71], v[14:15]
	v_add_f64 v[82:83], v[82:83], 0
	v_fmac_f64_e32 v[84:85], v[72:73], v[8:9]
	v_add_f64 v[82:83], v[82:83], v[84:85]
	s_waitcnt lgkmcnt(2)
	v_mul_f64 v[84:85], v[74:75], v[16:17]
	v_fmac_f64_e32 v[84:85], v[76:77], v[10:11]
	v_add_f64 v[88:89], v[82:83], v[84:85]
	ds_read_b128 v[82:85], v86 offset:1424
	v_mul_f64 v[12:13], v[68:69], v[12:13]
	s_waitcnt lgkmcnt(2)
	v_mul_f64 v[90:91], v[78:79], v[22:23]
	v_fma_f64 v[6:7], v[66:67], v[6:7], -v[12:13]
	v_fmac_f64_e32 v[90:91], v[80:81], v[24:25]
	v_add_f64 v[92:93], v[88:89], v[90:91]
	ds_read_b128 v[88:91], v86 offset:1440
	s_waitcnt lgkmcnt(1)
	v_mul_f64 v[94:95], v[82:83], v[18:19]
	v_fmac_f64_e32 v[94:95], v[84:85], v[20:21]
	v_add_f64 v[96:97], v[92:93], v[94:95]
	ds_read_b128 v[92:95], v86 offset:1456
	s_waitcnt vmcnt(58) lgkmcnt(1)
	v_mul_f64 v[98:99], v[88:89], v[30:31]
	s_waitcnt vmcnt(56)
	v_fmac_f64_e32 v[98:99], v[90:91], v[32:33]
	v_add_f64 v[100:101], v[96:97], v[98:99]
	ds_read_b128 v[96:99], v86 offset:1472
	s_waitcnt lgkmcnt(1)
	v_mul_f64 v[102:103], v[92:93], v[26:27]
	v_fmac_f64_e32 v[102:103], v[94:95], v[28:29]
	v_add_f64 v[104:105], v[100:101], v[102:103]
	ds_read_b128 v[100:103], v86 offset:1488
	s_waitcnt vmcnt(50) lgkmcnt(1)
	v_mul_f64 v[106:107], v[96:97], v[38:39]
	s_waitcnt vmcnt(48)
	v_fmac_f64_e32 v[106:107], v[98:99], v[40:41]
	v_add_f64 v[108:109], v[104:105], v[106:107]
	ds_read_b128 v[104:107], v86 offset:1504
	s_waitcnt lgkmcnt(1)
	v_mul_f64 v[110:111], v[100:101], v[34:35]
	v_fmac_f64_e32 v[110:111], v[102:103], v[36:37]
	v_add_f64 v[112:113], v[108:109], v[110:111]
	ds_read_b128 v[108:111], v86 offset:1520
	s_waitcnt vmcnt(42) lgkmcnt(1)
	v_mul_f64 v[114:115], v[104:105], v[46:47]
	v_mul_f64 v[12:13], v[72:73], v[14:15]
	s_waitcnt vmcnt(40)
	v_fmac_f64_e32 v[114:115], v[106:107], v[48:49]
	v_add_f64 v[6:7], v[6:7], 0
	v_fma_f64 v[8:9], v[70:71], v[8:9], -v[12:13]
	v_add_f64 v[120:121], v[112:113], v[114:115]
	ds_read_b128 v[112:115], v86 offset:1536
	v_add_f64 v[6:7], v[6:7], v[8:9]
	v_mul_f64 v[8:9], v[76:77], v[16:17]
	v_fma_f64 v[8:9], v[74:75], v[10:11], -v[8:9]
	v_add_f64 v[6:7], v[6:7], v[8:9]
	v_mul_f64 v[8:9], v[80:81], v[22:23]
	s_waitcnt lgkmcnt(1)
	v_mul_f64 v[122:123], v[108:109], v[42:43]
	v_fma_f64 v[8:9], v[78:79], v[24:25], -v[8:9]
	v_fmac_f64_e32 v[122:123], v[110:111], v[44:45]
	v_add_f64 v[6:7], v[6:7], v[8:9]
	v_mul_f64 v[8:9], v[84:85], v[18:19]
	v_add_f64 v[124:125], v[120:121], v[122:123]
	ds_read_b128 v[120:123], v86 offset:1552
	s_waitcnt vmcnt(34) lgkmcnt(1)
	v_mul_f64 v[126:127], v[112:113], v[54:55]
	v_fma_f64 v[8:9], v[82:83], v[20:21], -v[8:9]
	s_waitcnt vmcnt(32)
	v_fmac_f64_e32 v[126:127], v[114:115], v[56:57]
	v_add_f64 v[6:7], v[6:7], v[8:9]
	v_mul_f64 v[8:9], v[90:91], v[30:31]
	v_add_f64 v[128:129], v[124:125], v[126:127]
	ds_read_b128 v[124:127], v86 offset:1568
	v_fma_f64 v[8:9], v[88:89], v[32:33], -v[8:9]
	v_add_f64 v[6:7], v[6:7], v[8:9]
	v_mul_f64 v[8:9], v[94:95], v[26:27]
	v_fma_f64 v[8:9], v[92:93], v[28:29], -v[8:9]
	s_waitcnt lgkmcnt(1)
	v_mul_f64 v[130:131], v[120:121], v[50:51]
	v_add_f64 v[6:7], v[6:7], v[8:9]
	v_mul_f64 v[8:9], v[98:99], v[38:39]
	v_fmac_f64_e32 v[130:131], v[122:123], v[52:53]
	v_fma_f64 v[8:9], v[96:97], v[40:41], -v[8:9]
	v_add_f64 v[132:133], v[128:129], v[130:131]
	ds_read_b128 v[128:131], v86 offset:1584
	s_waitcnt vmcnt(26) lgkmcnt(1)
	v_mul_f64 v[134:135], v[124:125], v[62:63]
	v_add_f64 v[6:7], v[6:7], v[8:9]
	v_mul_f64 v[8:9], v[102:103], v[34:35]
	s_waitcnt vmcnt(24)
	v_fmac_f64_e32 v[134:135], v[126:127], v[64:65]
	v_fma_f64 v[8:9], v[100:101], v[36:37], -v[8:9]
	v_add_f64 v[136:137], v[132:133], v[134:135]
	ds_read_b128 v[132:135], v86 offset:1600
	v_add_f64 v[6:7], v[6:7], v[8:9]
	v_mul_f64 v[8:9], v[106:107], v[46:47]
	v_fma_f64 v[8:9], v[104:105], v[48:49], -v[8:9]
	v_add_f64 v[6:7], v[6:7], v[8:9]
	v_mul_f64 v[8:9], v[110:111], v[42:43]
	s_waitcnt lgkmcnt(1)
	v_mul_f64 v[138:139], v[128:129], v[58:59]
	v_fma_f64 v[8:9], v[108:109], v[44:45], -v[8:9]
	v_fmac_f64_e32 v[138:139], v[130:131], v[60:61]
	v_add_f64 v[6:7], v[6:7], v[8:9]
	v_mul_f64 v[8:9], v[114:115], v[54:55]
	v_add_f64 v[140:141], v[136:137], v[138:139]
	ds_read_b128 v[136:139], v86 offset:1616
	s_waitcnt vmcnt(18) lgkmcnt(1)
	v_mul_f64 v[142:143], v[132:133], v[118:119]
	v_fma_f64 v[8:9], v[112:113], v[56:57], -v[8:9]
	s_waitcnt vmcnt(16)
	v_fmac_f64_e32 v[142:143], v[134:135], v[156:157]
	v_add_f64 v[6:7], v[6:7], v[8:9]
	v_mul_f64 v[8:9], v[122:123], v[50:51]
	v_add_f64 v[144:145], v[140:141], v[142:143]
	ds_read_b128 v[140:143], v86 offset:1632
	v_fma_f64 v[8:9], v[120:121], v[52:53], -v[8:9]
	v_add_f64 v[6:7], v[6:7], v[8:9]
	v_mul_f64 v[8:9], v[126:127], v[62:63]
	v_fma_f64 v[8:9], v[124:125], v[64:65], -v[8:9]
	s_waitcnt lgkmcnt(1)
	v_mul_f64 v[146:147], v[136:137], v[0:1]
	v_add_f64 v[6:7], v[6:7], v[8:9]
	v_mul_f64 v[8:9], v[130:131], v[58:59]
	v_fmac_f64_e32 v[146:147], v[138:139], v[116:117]
	v_fma_f64 v[8:9], v[128:129], v[60:61], -v[8:9]
	v_add_f64 v[148:149], v[144:145], v[146:147]
	ds_read_b128 v[144:147], v86 offset:1648
	s_waitcnt vmcnt(10) lgkmcnt(1)
	v_mul_f64 v[150:151], v[140:141], v[162:163]
	v_add_f64 v[6:7], v[6:7], v[8:9]
	v_mul_f64 v[8:9], v[134:135], v[118:119]
	s_waitcnt vmcnt(8)
	v_fmac_f64_e32 v[150:151], v[142:143], v[164:165]
	v_fma_f64 v[8:9], v[132:133], v[156:157], -v[8:9]
	v_mul_f64 v[0:1], v[138:139], v[0:1]
	v_add_f64 v[174:175], v[148:149], v[150:151]
	ds_read_b128 v[148:151], v86 offset:1664
	v_add_f64 v[6:7], v[6:7], v[8:9]
	v_fma_f64 v[0:1], v[136:137], v[116:117], -v[0:1]
	v_add_f64 v[0:1], v[6:7], v[0:1]
	v_mul_f64 v[6:7], v[142:143], v[162:163]
	v_fma_f64 v[6:7], v[140:141], v[164:165], -v[6:7]
	v_add_f64 v[0:1], v[0:1], v[6:7]
	s_waitcnt lgkmcnt(1)
	v_mul_f64 v[6:7], v[146:147], v[158:159]
	v_mul_f64 v[176:177], v[144:145], v[158:159]
	v_fma_f64 v[6:7], v[144:145], v[160:161], -v[6:7]
	v_fmac_f64_e32 v[176:177], v[146:147], v[160:161]
	v_add_f64 v[0:1], v[0:1], v[6:7]
	s_waitcnt vmcnt(6) lgkmcnt(0)
	v_mul_f64 v[6:7], v[150:151], v[166:167]
	v_add_f64 v[174:175], v[174:175], v[176:177]
	v_mul_f64 v[176:177], v[148:149], v[166:167]
	s_waitcnt vmcnt(4)
	v_fma_f64 v[6:7], v[148:149], v[168:169], -v[6:7]
	v_fmac_f64_e32 v[176:177], v[150:151], v[168:169]
	v_add_f64 v[0:1], v[0:1], v[6:7]
	s_waitcnt vmcnt(2)
	v_mul_f64 v[6:7], v[154:155], v[170:171]
	v_add_f64 v[174:175], v[174:175], v[176:177]
	v_mul_f64 v[176:177], v[152:153], v[170:171]
	s_waitcnt vmcnt(0)
	v_fma_f64 v[6:7], v[152:153], v[172:173], -v[6:7]
	v_fmac_f64_e32 v[176:177], v[154:155], v[172:173]
	v_add_f64 v[0:1], v[0:1], v[6:7]
	v_add_f64 v[174:175], v[174:175], v[176:177]
	v_add_f64 v[0:1], v[4:5], -v[0:1]
	v_add_f64 v[2:3], v[2:3], -v[174:175]
	buffer_store_dword v1, off, s[0:3], 0 offset:516
	buffer_store_dword v0, off, s[0:3], 0 offset:512
	buffer_store_dword v3, off, s[0:3], 0 offset:524
	buffer_store_dword v2, off, s[0:3], 0 offset:520
	s_and_saveexec_b64 s[4:5], vcc
	s_cbranch_execz .LBB116_271
; %bb.270:
	v_accvgpr_read_b32 v0, a128
	buffer_load_dword v2, v0, s[0:3], 0 offen
	buffer_load_dword v3, v0, s[0:3], 0 offen offset:4
	buffer_load_dword v4, v0, s[0:3], 0 offen offset:8
	;; [unrolled: 1-line block ×3, first 2 shown]
	v_accvgpr_read_b32 v0, a159
	buffer_store_dword v86, off, s[0:3], 0 offset:496
	buffer_store_dword v86, off, s[0:3], 0 offset:500
	;; [unrolled: 1-line block ×4, first 2 shown]
	s_waitcnt vmcnt(4)
	ds_write_b128 v0, v[2:5]
.LBB116_271:
	s_or_b64 exec, exec, s[4:5]
	s_waitcnt lgkmcnt(0)
	; wave barrier
	s_waitcnt lgkmcnt(0)
	ds_read_b128 v[14:17], v86 offset:1344
	ds_read_b128 v[10:13], v86 offset:1360
	;; [unrolled: 1-line block ×4, first 2 shown]
	buffer_load_dword v20, off, s[0:3], 0 offset:496
	buffer_load_dword v21, off, s[0:3], 0 offset:500
	;; [unrolled: 1-line block ×92, first 2 shown]
	s_waitcnt vmcnt(62) lgkmcnt(3)
	v_mul_f64 v[88:89], v[14:15], v[28:29]
	v_fmac_f64_e32 v[88:89], v[16:17], v[22:23]
	s_waitcnt lgkmcnt(2)
	v_mul_f64 v[90:91], v[10:11], v[30:31]
	v_add_f64 v[88:89], v[88:89], 0
	v_fmac_f64_e32 v[90:91], v[12:13], v[24:25]
	v_add_f64 v[88:89], v[88:89], v[90:91]
	s_waitcnt lgkmcnt(1)
	v_mul_f64 v[90:91], v[6:7], v[32:33]
	v_fmac_f64_e32 v[90:91], v[8:9], v[26:27]
	v_add_f64 v[92:93], v[88:89], v[90:91]
	ds_read_b128 v[88:91], v86 offset:1408
	v_mul_f64 v[16:17], v[16:17], v[28:29]
	v_fma_f64 v[14:15], v[14:15], v[22:23], -v[16:17]
	s_waitcnt lgkmcnt(1)
	v_mul_f64 v[94:95], v[2:3], v[38:39]
	v_mul_f64 v[12:13], v[12:13], v[30:31]
	v_fmac_f64_e32 v[94:95], v[4:5], v[40:41]
	v_add_f64 v[96:97], v[92:93], v[94:95]
	ds_read_b128 v[92:95], v86 offset:1424
	s_waitcnt lgkmcnt(1)
	v_mul_f64 v[98:99], v[88:89], v[34:35]
	v_fmac_f64_e32 v[98:99], v[90:91], v[36:37]
	v_add_f64 v[100:101], v[96:97], v[98:99]
	ds_read_b128 v[96:99], v86 offset:1440
	s_waitcnt lgkmcnt(1)
	v_mul_f64 v[102:103], v[92:93], v[46:47]
	s_waitcnt vmcnt(60)
	v_fmac_f64_e32 v[102:103], v[94:95], v[48:49]
	v_add_f64 v[104:105], v[100:101], v[102:103]
	ds_read_b128 v[100:103], v86 offset:1456
	s_waitcnt lgkmcnt(1)
	v_mul_f64 v[106:107], v[96:97], v[42:43]
	v_fmac_f64_e32 v[106:107], v[98:99], v[44:45]
	v_add_f64 v[108:109], v[104:105], v[106:107]
	ds_read_b128 v[104:107], v86 offset:1472
	s_waitcnt vmcnt(54) lgkmcnt(1)
	v_mul_f64 v[110:111], v[100:101], v[54:55]
	s_waitcnt vmcnt(52)
	v_fmac_f64_e32 v[110:111], v[102:103], v[56:57]
	v_add_f64 v[112:113], v[108:109], v[110:111]
	ds_read_b128 v[108:111], v86 offset:1488
	s_waitcnt lgkmcnt(1)
	v_mul_f64 v[114:115], v[104:105], v[50:51]
	v_fmac_f64_e32 v[114:115], v[106:107], v[52:53]
	v_add_f64 v[120:121], v[112:113], v[114:115]
	ds_read_b128 v[112:115], v86 offset:1504
	s_waitcnt vmcnt(46) lgkmcnt(1)
	v_mul_f64 v[122:123], v[108:109], v[62:63]
	s_waitcnt vmcnt(44)
	v_fmac_f64_e32 v[122:123], v[110:111], v[64:65]
	v_add_f64 v[124:125], v[120:121], v[122:123]
	ds_read_b128 v[120:123], v86 offset:1520
	s_waitcnt lgkmcnt(1)
	v_mul_f64 v[126:127], v[112:113], v[58:59]
	v_fmac_f64_e32 v[126:127], v[114:115], v[60:61]
	v_add_f64 v[128:129], v[124:125], v[126:127]
	ds_read_b128 v[124:127], v86 offset:1536
	v_add_f64 v[14:15], v[14:15], 0
	v_fma_f64 v[10:11], v[10:11], v[24:25], -v[12:13]
	v_mul_f64 v[8:9], v[8:9], v[32:33]
	v_add_f64 v[10:11], v[14:15], v[10:11]
	v_fma_f64 v[6:7], v[6:7], v[26:27], -v[8:9]
	v_mul_f64 v[4:5], v[4:5], v[38:39]
	;; [unrolled: 3-line block ×3, first 2 shown]
	s_waitcnt vmcnt(38) lgkmcnt(1)
	v_mul_f64 v[130:131], v[120:121], v[70:71]
	v_add_f64 v[2:3], v[6:7], v[2:3]
	v_fma_f64 v[4:5], v[88:89], v[36:37], -v[4:5]
	s_waitcnt vmcnt(36)
	v_fmac_f64_e32 v[130:131], v[122:123], v[72:73]
	v_add_f64 v[2:3], v[2:3], v[4:5]
	v_mul_f64 v[4:5], v[94:95], v[46:47]
	v_add_f64 v[132:133], v[128:129], v[130:131]
	ds_read_b128 v[128:131], v86 offset:1552
	s_waitcnt lgkmcnt(1)
	v_mul_f64 v[134:135], v[124:125], v[66:67]
	v_fma_f64 v[4:5], v[92:93], v[48:49], -v[4:5]
	v_fmac_f64_e32 v[134:135], v[126:127], v[68:69]
	v_add_f64 v[2:3], v[2:3], v[4:5]
	v_mul_f64 v[4:5], v[98:99], v[42:43]
	v_add_f64 v[136:137], v[132:133], v[134:135]
	ds_read_b128 v[132:135], v86 offset:1568
	v_fma_f64 v[4:5], v[96:97], v[44:45], -v[4:5]
	v_add_f64 v[2:3], v[2:3], v[4:5]
	v_mul_f64 v[4:5], v[102:103], v[54:55]
	v_fma_f64 v[4:5], v[100:101], v[56:57], -v[4:5]
	s_waitcnt vmcnt(30) lgkmcnt(1)
	v_mul_f64 v[138:139], v[128:129], v[78:79]
	v_add_f64 v[2:3], v[2:3], v[4:5]
	v_mul_f64 v[4:5], v[106:107], v[50:51]
	s_waitcnt vmcnt(28)
	v_fmac_f64_e32 v[138:139], v[130:131], v[80:81]
	v_fma_f64 v[4:5], v[104:105], v[52:53], -v[4:5]
	v_add_f64 v[140:141], v[136:137], v[138:139]
	ds_read_b128 v[136:139], v86 offset:1584
	s_waitcnt lgkmcnt(1)
	v_mul_f64 v[142:143], v[132:133], v[74:75]
	v_add_f64 v[2:3], v[2:3], v[4:5]
	v_mul_f64 v[4:5], v[110:111], v[62:63]
	v_fmac_f64_e32 v[142:143], v[134:135], v[76:77]
	v_fma_f64 v[4:5], v[108:109], v[64:65], -v[4:5]
	v_add_f64 v[144:145], v[140:141], v[142:143]
	ds_read_b128 v[140:143], v86 offset:1600
	v_add_f64 v[2:3], v[2:3], v[4:5]
	v_mul_f64 v[4:5], v[114:115], v[58:59]
	v_fma_f64 v[4:5], v[112:113], v[60:61], -v[4:5]
	v_add_f64 v[2:3], v[2:3], v[4:5]
	v_mul_f64 v[4:5], v[122:123], v[70:71]
	s_waitcnt vmcnt(22) lgkmcnt(1)
	v_mul_f64 v[146:147], v[136:137], v[0:1]
	v_fma_f64 v[4:5], v[120:121], v[72:73], -v[4:5]
	s_waitcnt vmcnt(20)
	v_fmac_f64_e32 v[146:147], v[138:139], v[116:117]
	v_add_f64 v[2:3], v[2:3], v[4:5]
	v_mul_f64 v[4:5], v[126:127], v[66:67]
	v_add_f64 v[148:149], v[144:145], v[146:147]
	ds_read_b128 v[144:147], v86 offset:1616
	s_waitcnt lgkmcnt(1)
	v_mul_f64 v[150:151], v[140:141], v[82:83]
	v_fma_f64 v[4:5], v[124:125], v[68:69], -v[4:5]
	v_fmac_f64_e32 v[150:151], v[142:143], v[84:85]
	v_add_f64 v[2:3], v[2:3], v[4:5]
	v_mul_f64 v[4:5], v[130:131], v[78:79]
	v_add_f64 v[152:153], v[148:149], v[150:151]
	ds_read_b128 v[148:151], v86 offset:1632
	v_fma_f64 v[4:5], v[128:129], v[80:81], -v[4:5]
	v_add_f64 v[2:3], v[2:3], v[4:5]
	v_mul_f64 v[4:5], v[134:135], v[74:75]
	v_fma_f64 v[4:5], v[132:133], v[76:77], -v[4:5]
	v_mul_f64 v[0:1], v[138:139], v[0:1]
	s_waitcnt vmcnt(14) lgkmcnt(1)
	v_mul_f64 v[154:155], v[144:145], v[166:167]
	v_add_f64 v[2:3], v[2:3], v[4:5]
	v_fma_f64 v[0:1], v[136:137], v[116:117], -v[0:1]
	s_waitcnt vmcnt(12)
	v_fmac_f64_e32 v[154:155], v[146:147], v[168:169]
	v_add_f64 v[0:1], v[2:3], v[0:1]
	v_mul_f64 v[2:3], v[142:143], v[82:83]
	v_add_f64 v[156:157], v[152:153], v[154:155]
	ds_read_b128 v[152:155], v86 offset:1648
	s_waitcnt lgkmcnt(1)
	v_mul_f64 v[158:159], v[148:149], v[118:119]
	v_fma_f64 v[2:3], v[140:141], v[84:85], -v[2:3]
	v_fmac_f64_e32 v[158:159], v[150:151], v[164:165]
	v_add_f64 v[0:1], v[0:1], v[2:3]
	v_mul_f64 v[2:3], v[146:147], v[166:167]
	v_add_f64 v[182:183], v[156:157], v[158:159]
	ds_read_b128 v[156:159], v86 offset:1664
	ds_read_b128 v[160:163], v86 offset:1680
	v_fma_f64 v[2:3], v[144:145], v[168:169], -v[2:3]
	v_add_f64 v[0:1], v[0:1], v[2:3]
	v_mul_f64 v[2:3], v[150:151], v[118:119]
	v_fma_f64 v[2:3], v[148:149], v[164:165], -v[2:3]
	v_add_f64 v[0:1], v[0:1], v[2:3]
	s_waitcnt vmcnt(6) lgkmcnt(2)
	v_mul_f64 v[2:3], v[154:155], v[174:175]
	v_mul_f64 v[184:185], v[152:153], v[174:175]
	s_waitcnt vmcnt(4)
	v_fma_f64 v[2:3], v[152:153], v[176:177], -v[2:3]
	v_fmac_f64_e32 v[184:185], v[154:155], v[176:177]
	v_add_f64 v[0:1], v[0:1], v[2:3]
	s_waitcnt lgkmcnt(1)
	v_mul_f64 v[2:3], v[158:159], v[170:171]
	v_add_f64 v[86:87], v[182:183], v[184:185]
	v_mul_f64 v[182:183], v[156:157], v[170:171]
	v_fma_f64 v[2:3], v[156:157], v[172:173], -v[2:3]
	v_fmac_f64_e32 v[182:183], v[158:159], v[172:173]
	v_add_f64 v[0:1], v[0:1], v[2:3]
	s_waitcnt vmcnt(2) lgkmcnt(0)
	v_mul_f64 v[2:3], v[162:163], v[178:179]
	v_add_f64 v[86:87], v[86:87], v[182:183]
	v_mul_f64 v[182:183], v[160:161], v[178:179]
	s_waitcnt vmcnt(0)
	v_fma_f64 v[2:3], v[160:161], v[180:181], -v[2:3]
	v_fmac_f64_e32 v[182:183], v[162:163], v[180:181]
	v_add_f64 v[0:1], v[0:1], v[2:3]
	v_add_f64 v[86:87], v[86:87], v[182:183]
	v_add_f64 v[0:1], v[20:21], -v[0:1]
	v_cmp_lt_u32_e32 vcc, 29, v255
	v_add_f64 v[2:3], v[18:19], -v[86:87]
	buffer_store_dword v1, off, s[0:3], 0 offset:500
	buffer_store_dword v0, off, s[0:3], 0 offset:496
	;; [unrolled: 1-line block ×4, first 2 shown]
	s_and_saveexec_b64 s[4:5], vcc
	s_cbranch_execz .LBB116_273
; %bb.272:
	v_accvgpr_read_b32 v0, a129
	buffer_load_dword v2, v0, s[0:3], 0 offen
	buffer_load_dword v3, v0, s[0:3], 0 offen offset:4
	buffer_load_dword v4, v0, s[0:3], 0 offen offset:8
	;; [unrolled: 1-line block ×3, first 2 shown]
	v_mov_b32_e32 v0, 0
	v_accvgpr_read_b32 v1, a159
	buffer_store_dword v0, off, s[0:3], 0 offset:480
	buffer_store_dword v0, off, s[0:3], 0 offset:484
	;; [unrolled: 1-line block ×4, first 2 shown]
	s_waitcnt vmcnt(4)
	ds_write_b128 v1, v[2:5]
.LBB116_273:
	s_or_b64 exec, exec, s[4:5]
	s_waitcnt lgkmcnt(0)
	; wave barrier
	s_waitcnt lgkmcnt(0)
	buffer_load_dword v9, off, s[0:3], 0 offset:508
	buffer_load_dword v6, off, s[0:3], 0 offset:520
	;; [unrolled: 1-line block ×64, first 2 shown]
	v_mov_b32_e32 v98, 0
	ds_read_b128 v[74:77], v98 offset:1328
	ds_read_b128 v[78:81], v98 offset:1344
	buffer_load_dword v67, off, s[0:3], 0 offset:764
	buffer_load_dword v66, off, s[0:3], 0 offset:760
	;; [unrolled: 1-line block ×8, first 2 shown]
	ds_read_b128 v[82:85], v98 offset:1360
	ds_read_b128 v[86:89], v98 offset:1376
	buffer_load_dword v117, off, s[0:3], 0 offset:796
	buffer_load_dword v116, off, s[0:3], 0 offset:792
	;; [unrolled: 1-line block ×24, first 2 shown]
	ds_read_b128 v[168:171], v98 offset:1680
	v_cmp_lt_u32_e32 vcc, 28, v255
	s_waitcnt vmcnt(62) lgkmcnt(1)
	v_mul_f64 v[94:95], v[86:87], v[22:23]
	v_fmac_f64_e32 v[94:95], v[88:89], v[24:25]
	v_mul_f64 v[90:91], v[78:79], v[6:7]
	v_mul_f64 v[0:1], v[74:75], v[8:9]
	;; [unrolled: 1-line block ×3, first 2 shown]
	v_fmac_f64_e32 v[0:1], v[76:77], v[10:11]
	v_add_f64 v[0:1], v[0:1], 0
	v_fma_f64 v[8:9], v[74:75], v[10:11], -v[8:9]
	v_mul_f64 v[6:7], v[80:81], v[6:7]
	v_add_f64 v[8:9], v[8:9], 0
	v_fmac_f64_e32 v[90:91], v[80:81], v[14:15]
	v_add_f64 v[0:1], v[0:1], v[90:91]
	v_mul_f64 v[90:91], v[82:83], v[16:17]
	v_fmac_f64_e32 v[90:91], v[84:85], v[12:13]
	v_add_f64 v[0:1], v[0:1], v[90:91]
	ds_read_b128 v[90:93], v98 offset:1392
	v_add_f64 v[0:1], v[0:1], v[94:95]
	ds_read_b128 v[94:97], v98 offset:1408
	v_fma_f64 v[6:7], v[78:79], v[14:15], -v[6:7]
	v_add_f64 v[6:7], v[8:9], v[6:7]
	s_waitcnt lgkmcnt(1)
	v_mul_f64 v[100:101], v[90:91], v[18:19]
	v_fmac_f64_e32 v[100:101], v[92:93], v[20:21]
	v_add_f64 v[0:1], v[0:1], v[100:101]
	ds_read_b128 v[100:103], v98 offset:1424
	s_waitcnt lgkmcnt(1)
	v_mul_f64 v[104:105], v[94:95], v[30:31]
	v_fmac_f64_e32 v[104:105], v[96:97], v[32:33]
	v_add_f64 v[0:1], v[0:1], v[104:105]
	ds_read_b128 v[104:107], v98 offset:1440
	;; [unrolled: 5-line block ×3, first 2 shown]
	s_waitcnt vmcnt(58) lgkmcnt(1)
	v_mul_f64 v[112:113], v[104:105], v[38:39]
	s_waitcnt vmcnt(56)
	v_fmac_f64_e32 v[112:113], v[106:107], v[40:41]
	v_add_f64 v[0:1], v[0:1], v[112:113]
	ds_read_b128 v[112:115], v98 offset:1472
	s_waitcnt lgkmcnt(1)
	v_mul_f64 v[120:121], v[108:109], v[34:35]
	v_fmac_f64_e32 v[120:121], v[110:111], v[36:37]
	v_add_f64 v[0:1], v[0:1], v[120:121]
	ds_read_b128 v[120:123], v98 offset:1488
	s_waitcnt vmcnt(50) lgkmcnt(1)
	v_mul_f64 v[124:125], v[112:113], v[46:47]
	s_waitcnt vmcnt(48)
	v_fmac_f64_e32 v[124:125], v[114:115], v[48:49]
	v_add_f64 v[0:1], v[0:1], v[124:125]
	ds_read_b128 v[124:127], v98 offset:1504
	v_mul_f64 v[8:9], v[84:85], v[16:17]
	s_waitcnt lgkmcnt(1)
	v_mul_f64 v[128:129], v[120:121], v[42:43]
	v_fma_f64 v[8:9], v[82:83], v[12:13], -v[8:9]
	v_fmac_f64_e32 v[128:129], v[122:123], v[44:45]
	v_add_f64 v[6:7], v[6:7], v[8:9]
	v_mul_f64 v[8:9], v[88:89], v[22:23]
	v_add_f64 v[0:1], v[0:1], v[128:129]
	ds_read_b128 v[128:131], v98 offset:1520
	s_waitcnt vmcnt(42) lgkmcnt(1)
	v_mul_f64 v[132:133], v[124:125], v[54:55]
	v_fma_f64 v[8:9], v[86:87], v[24:25], -v[8:9]
	s_waitcnt vmcnt(40)
	v_fmac_f64_e32 v[132:133], v[126:127], v[56:57]
	v_add_f64 v[6:7], v[6:7], v[8:9]
	v_mul_f64 v[8:9], v[92:93], v[18:19]
	v_add_f64 v[0:1], v[0:1], v[132:133]
	ds_read_b128 v[132:135], v98 offset:1536
	v_fma_f64 v[8:9], v[90:91], v[20:21], -v[8:9]
	v_add_f64 v[6:7], v[6:7], v[8:9]
	v_mul_f64 v[8:9], v[96:97], v[30:31]
	v_fma_f64 v[8:9], v[94:95], v[32:33], -v[8:9]
	s_waitcnt lgkmcnt(1)
	v_mul_f64 v[136:137], v[128:129], v[50:51]
	v_add_f64 v[6:7], v[6:7], v[8:9]
	v_mul_f64 v[8:9], v[102:103], v[26:27]
	v_fmac_f64_e32 v[136:137], v[130:131], v[52:53]
	v_fma_f64 v[8:9], v[100:101], v[28:29], -v[8:9]
	v_add_f64 v[0:1], v[0:1], v[136:137]
	ds_read_b128 v[136:139], v98 offset:1552
	s_waitcnt vmcnt(34) lgkmcnt(1)
	v_mul_f64 v[140:141], v[132:133], v[62:63]
	v_add_f64 v[6:7], v[6:7], v[8:9]
	v_mul_f64 v[8:9], v[106:107], v[38:39]
	s_waitcnt vmcnt(32)
	v_fmac_f64_e32 v[140:141], v[134:135], v[64:65]
	v_fma_f64 v[8:9], v[104:105], v[40:41], -v[8:9]
	v_add_f64 v[0:1], v[0:1], v[140:141]
	ds_read_b128 v[140:143], v98 offset:1568
	v_add_f64 v[6:7], v[6:7], v[8:9]
	v_mul_f64 v[8:9], v[110:111], v[34:35]
	v_fma_f64 v[8:9], v[108:109], v[36:37], -v[8:9]
	v_add_f64 v[6:7], v[6:7], v[8:9]
	v_mul_f64 v[8:9], v[114:115], v[46:47]
	s_waitcnt lgkmcnt(1)
	v_mul_f64 v[144:145], v[136:137], v[58:59]
	v_fma_f64 v[8:9], v[112:113], v[48:49], -v[8:9]
	v_fmac_f64_e32 v[144:145], v[138:139], v[60:61]
	v_add_f64 v[6:7], v[6:7], v[8:9]
	v_mul_f64 v[8:9], v[122:123], v[42:43]
	v_add_f64 v[0:1], v[0:1], v[144:145]
	ds_read_b128 v[144:147], v98 offset:1584
	s_waitcnt vmcnt(26) lgkmcnt(1)
	v_mul_f64 v[148:149], v[140:141], v[70:71]
	v_fma_f64 v[8:9], v[120:121], v[44:45], -v[8:9]
	s_waitcnt vmcnt(24)
	v_fmac_f64_e32 v[148:149], v[142:143], v[72:73]
	v_add_f64 v[6:7], v[6:7], v[8:9]
	v_mul_f64 v[8:9], v[126:127], v[54:55]
	v_add_f64 v[0:1], v[0:1], v[148:149]
	ds_read_b128 v[148:151], v98 offset:1600
	v_fma_f64 v[8:9], v[124:125], v[56:57], -v[8:9]
	v_add_f64 v[6:7], v[6:7], v[8:9]
	v_mul_f64 v[8:9], v[130:131], v[50:51]
	v_fma_f64 v[8:9], v[128:129], v[52:53], -v[8:9]
	s_waitcnt lgkmcnt(1)
	v_mul_f64 v[152:153], v[144:145], v[66:67]
	v_add_f64 v[6:7], v[6:7], v[8:9]
	v_mul_f64 v[8:9], v[134:135], v[62:63]
	v_fmac_f64_e32 v[152:153], v[146:147], v[68:69]
	v_fma_f64 v[8:9], v[132:133], v[64:65], -v[8:9]
	v_add_f64 v[0:1], v[0:1], v[152:153]
	ds_read_b128 v[152:155], v98 offset:1616
	s_waitcnt vmcnt(18) lgkmcnt(1)
	v_mul_f64 v[156:157], v[148:149], v[172:173]
	v_add_f64 v[6:7], v[6:7], v[8:9]
	v_mul_f64 v[8:9], v[138:139], v[58:59]
	s_waitcnt vmcnt(16)
	v_fmac_f64_e32 v[156:157], v[150:151], v[174:175]
	v_fma_f64 v[8:9], v[136:137], v[60:61], -v[8:9]
	v_add_f64 v[0:1], v[0:1], v[156:157]
	ds_read_b128 v[156:159], v98 offset:1632
	v_add_f64 v[6:7], v[6:7], v[8:9]
	v_mul_f64 v[8:9], v[142:143], v[70:71]
	v_fma_f64 v[8:9], v[140:141], v[72:73], -v[8:9]
	v_add_f64 v[6:7], v[6:7], v[8:9]
	v_mul_f64 v[8:9], v[146:147], v[66:67]
	s_waitcnt lgkmcnt(1)
	v_mul_f64 v[160:161], v[152:153], v[116:117]
	v_fma_f64 v[8:9], v[144:145], v[68:69], -v[8:9]
	v_fmac_f64_e32 v[160:161], v[154:155], v[118:119]
	v_add_f64 v[6:7], v[6:7], v[8:9]
	v_mul_f64 v[8:9], v[150:151], v[172:173]
	v_add_f64 v[0:1], v[0:1], v[160:161]
	ds_read_b128 v[160:163], v98 offset:1648
	s_waitcnt vmcnt(10) lgkmcnt(1)
	v_mul_f64 v[164:165], v[156:157], v[180:181]
	v_fma_f64 v[8:9], v[148:149], v[174:175], -v[8:9]
	s_waitcnt vmcnt(8)
	v_fmac_f64_e32 v[164:165], v[158:159], v[182:183]
	v_add_f64 v[6:7], v[6:7], v[8:9]
	v_mul_f64 v[8:9], v[154:155], v[116:117]
	v_add_f64 v[0:1], v[0:1], v[164:165]
	ds_read_b128 v[164:167], v98 offset:1664
	v_fma_f64 v[8:9], v[152:153], v[118:119], -v[8:9]
	v_add_f64 v[6:7], v[6:7], v[8:9]
	v_mul_f64 v[8:9], v[158:159], v[180:181]
	v_fma_f64 v[8:9], v[156:157], v[182:183], -v[8:9]
	v_add_f64 v[6:7], v[6:7], v[8:9]
	s_waitcnt lgkmcnt(1)
	v_mul_f64 v[8:9], v[162:163], v[176:177]
	v_mul_f64 v[192:193], v[160:161], v[176:177]
	v_fma_f64 v[8:9], v[160:161], v[178:179], -v[8:9]
	v_fmac_f64_e32 v[192:193], v[162:163], v[178:179]
	v_add_f64 v[6:7], v[6:7], v[8:9]
	s_waitcnt vmcnt(2) lgkmcnt(0)
	v_mul_f64 v[8:9], v[166:167], v[188:189]
	v_add_f64 v[0:1], v[0:1], v[192:193]
	v_mul_f64 v[192:193], v[164:165], v[188:189]
	s_waitcnt vmcnt(0)
	v_fma_f64 v[8:9], v[164:165], v[190:191], -v[8:9]
	v_fmac_f64_e32 v[192:193], v[166:167], v[190:191]
	v_add_f64 v[6:7], v[6:7], v[8:9]
	v_mul_f64 v[8:9], v[170:171], v[184:185]
	v_add_f64 v[0:1], v[0:1], v[192:193]
	v_mul_f64 v[192:193], v[168:169], v[184:185]
	v_fma_f64 v[8:9], v[168:169], v[186:187], -v[8:9]
	v_fmac_f64_e32 v[192:193], v[170:171], v[186:187]
	v_add_f64 v[6:7], v[6:7], v[8:9]
	v_add_f64 v[0:1], v[0:1], v[192:193]
	v_add_f64 v[4:5], v[4:5], -v[6:7]
	v_add_f64 v[0:1], v[2:3], -v[0:1]
	buffer_store_dword v5, off, s[0:3], 0 offset:484
	buffer_store_dword v4, off, s[0:3], 0 offset:480
	;; [unrolled: 1-line block ×4, first 2 shown]
	s_and_saveexec_b64 s[4:5], vcc
	s_cbranch_execz .LBB116_275
; %bb.274:
	v_accvgpr_read_b32 v0, a130
	buffer_load_dword v2, v0, s[0:3], 0 offen
	buffer_load_dword v3, v0, s[0:3], 0 offen offset:4
	buffer_load_dword v4, v0, s[0:3], 0 offen offset:8
	;; [unrolled: 1-line block ×3, first 2 shown]
	v_accvgpr_read_b32 v0, a159
	buffer_store_dword v98, off, s[0:3], 0 offset:464
	buffer_store_dword v98, off, s[0:3], 0 offset:468
	;; [unrolled: 1-line block ×4, first 2 shown]
	s_waitcnt vmcnt(4)
	ds_write_b128 v0, v[2:5]
.LBB116_275:
	s_or_b64 exec, exec, s[4:5]
	s_waitcnt lgkmcnt(0)
	; wave barrier
	s_waitcnt lgkmcnt(0)
	buffer_load_dword v22, off, s[0:3], 0 offset:480
	buffer_load_dword v23, off, s[0:3], 0 offset:484
	buffer_load_dword v24, off, s[0:3], 0 offset:488
	buffer_load_dword v25, off, s[0:3], 0 offset:492
	buffer_load_dword v27, off, s[0:3], 0 offset:524
	buffer_load_dword v28, off, s[0:3], 0 offset:496
	buffer_load_dword v32, off, s[0:3], 0 offset:504
	buffer_load_dword v33, off, s[0:3], 0 offset:508
	buffer_load_dword v30, off, s[0:3], 0 offset:512
	buffer_load_dword v26, off, s[0:3], 0 offset:520
	buffer_load_dword v31, off, s[0:3], 0 offset:516
	buffer_load_dword v29, off, s[0:3], 0 offset:500
	buffer_load_dword v20, off, s[0:3], 0 offset:464
	buffer_load_dword v21, off, s[0:3], 0 offset:468
	buffer_load_dword v18, off, s[0:3], 0 offset:472
	buffer_load_dword v19, off, s[0:3], 0 offset:476
	ds_read_b128 v[2:5], v98 offset:1312
	ds_read_b128 v[6:9], v98 offset:1328
	;; [unrolled: 1-line block ×4, first 2 shown]
	buffer_load_dword v35, off, s[0:3], 0 offset:556
	buffer_load_dword v34, off, s[0:3], 0 offset:552
	;; [unrolled: 1-line block ×48, first 2 shown]
	v_cmp_lt_u32_e32 vcc, 27, v255
	s_waitcnt vmcnt(42) lgkmcnt(0)
	v_mul_f64 v[104:105], v[14:15], v[38:39]
	s_waitcnt vmcnt(40)
	v_fmac_f64_e32 v[104:105], v[16:17], v[40:41]
	v_mul_f64 v[0:1], v[2:3], v[24:25]
	v_fmac_f64_e32 v[0:1], v[4:5], v[22:23]
	v_add_f64 v[0:1], v[0:1], 0
	v_mul_f64 v[4:5], v[4:5], v[24:25]
	v_mul_f64 v[82:83], v[6:7], v[32:33]
	v_fma_f64 v[2:3], v[2:3], v[22:23], -v[4:5]
	v_mul_f64 v[100:101], v[10:11], v[26:27]
	v_fmac_f64_e32 v[100:101], v[12:13], v[30:31]
	v_fmac_f64_e32 v[82:83], v[8:9], v[28:29]
	v_add_f64 v[0:1], v[0:1], v[82:83]
	buffer_load_dword v83, off, s[0:3], 0 offset:748
	buffer_load_dword v82, off, s[0:3], 0 offset:744
	;; [unrolled: 1-line block ×32, first 2 shown]
	v_add_f64 v[0:1], v[0:1], v[100:101]
	ds_read_b128 v[100:103], v98 offset:1376
	buffer_load_dword v197, off, s[0:3], 0 offset:860
	buffer_load_dword v196, off, s[0:3], 0 offset:856
	;; [unrolled: 1-line block ×4, first 2 shown]
	v_add_f64 v[0:1], v[0:1], v[104:105]
	ds_read_b128 v[104:107], v98 offset:1392
	v_mul_f64 v[4:5], v[8:9], v[32:33]
	s_waitcnt lgkmcnt(1)
	v_mul_f64 v[108:109], v[100:101], v[34:35]
	v_fmac_f64_e32 v[108:109], v[102:103], v[36:37]
	v_add_f64 v[0:1], v[0:1], v[108:109]
	ds_read_b128 v[108:111], v98 offset:1408
	s_waitcnt vmcnt(62) lgkmcnt(1)
	v_mul_f64 v[112:113], v[104:105], v[46:47]
	v_fmac_f64_e32 v[112:113], v[106:107], v[48:49]
	v_add_f64 v[0:1], v[0:1], v[112:113]
	ds_read_b128 v[112:115], v98 offset:1424
	s_waitcnt lgkmcnt(1)
	v_mul_f64 v[120:121], v[108:109], v[42:43]
	v_fmac_f64_e32 v[120:121], v[110:111], v[44:45]
	v_add_f64 v[0:1], v[0:1], v[120:121]
	ds_read_b128 v[120:123], v98 offset:1440
	s_waitcnt lgkmcnt(1)
	v_mul_f64 v[124:125], v[112:113], v[54:55]
	s_waitcnt vmcnt(60)
	v_fmac_f64_e32 v[124:125], v[114:115], v[56:57]
	v_add_f64 v[0:1], v[0:1], v[124:125]
	ds_read_b128 v[124:127], v98 offset:1456
	s_waitcnt lgkmcnt(1)
	v_mul_f64 v[128:129], v[120:121], v[50:51]
	v_fmac_f64_e32 v[128:129], v[122:123], v[52:53]
	v_add_f64 v[0:1], v[0:1], v[128:129]
	ds_read_b128 v[128:131], v98 offset:1472
	s_waitcnt vmcnt(54) lgkmcnt(1)
	v_mul_f64 v[132:133], v[124:125], v[62:63]
	s_waitcnt vmcnt(52)
	v_fmac_f64_e32 v[132:133], v[126:127], v[64:65]
	v_add_f64 v[0:1], v[0:1], v[132:133]
	ds_read_b128 v[132:135], v98 offset:1488
	s_waitcnt lgkmcnt(1)
	v_mul_f64 v[136:137], v[128:129], v[58:59]
	v_fmac_f64_e32 v[136:137], v[130:131], v[60:61]
	v_add_f64 v[2:3], v[2:3], 0
	v_fma_f64 v[4:5], v[6:7], v[28:29], -v[4:5]
	v_add_f64 v[0:1], v[0:1], v[136:137]
	ds_read_b128 v[136:139], v98 offset:1504
	v_add_f64 v[2:3], v[2:3], v[4:5]
	v_mul_f64 v[4:5], v[12:13], v[26:27]
	v_fma_f64 v[4:5], v[10:11], v[30:31], -v[4:5]
	v_add_f64 v[2:3], v[2:3], v[4:5]
	v_mul_f64 v[4:5], v[16:17], v[38:39]
	s_waitcnt vmcnt(46) lgkmcnt(1)
	v_mul_f64 v[140:141], v[132:133], v[70:71]
	v_fma_f64 v[4:5], v[14:15], v[40:41], -v[4:5]
	s_waitcnt vmcnt(44)
	v_fmac_f64_e32 v[140:141], v[134:135], v[72:73]
	v_add_f64 v[2:3], v[2:3], v[4:5]
	v_mul_f64 v[4:5], v[102:103], v[34:35]
	v_add_f64 v[0:1], v[0:1], v[140:141]
	ds_read_b128 v[140:143], v98 offset:1520
	s_waitcnt lgkmcnt(1)
	v_mul_f64 v[144:145], v[136:137], v[66:67]
	v_fma_f64 v[4:5], v[100:101], v[36:37], -v[4:5]
	v_fmac_f64_e32 v[144:145], v[138:139], v[68:69]
	v_add_f64 v[2:3], v[2:3], v[4:5]
	v_mul_f64 v[4:5], v[106:107], v[46:47]
	v_add_f64 v[0:1], v[0:1], v[144:145]
	ds_read_b128 v[144:147], v98 offset:1536
	v_fma_f64 v[4:5], v[104:105], v[48:49], -v[4:5]
	v_add_f64 v[2:3], v[2:3], v[4:5]
	v_mul_f64 v[4:5], v[110:111], v[42:43]
	v_fma_f64 v[4:5], v[108:109], v[44:45], -v[4:5]
	s_waitcnt vmcnt(38) lgkmcnt(1)
	v_mul_f64 v[148:149], v[140:141], v[78:79]
	v_add_f64 v[2:3], v[2:3], v[4:5]
	v_mul_f64 v[4:5], v[114:115], v[54:55]
	s_waitcnt vmcnt(36)
	v_fmac_f64_e32 v[148:149], v[142:143], v[80:81]
	v_fma_f64 v[4:5], v[112:113], v[56:57], -v[4:5]
	v_add_f64 v[0:1], v[0:1], v[148:149]
	ds_read_b128 v[148:151], v98 offset:1552
	s_waitcnt lgkmcnt(1)
	v_mul_f64 v[152:153], v[144:145], v[74:75]
	v_add_f64 v[2:3], v[2:3], v[4:5]
	v_mul_f64 v[4:5], v[122:123], v[50:51]
	v_fmac_f64_e32 v[152:153], v[146:147], v[76:77]
	v_fma_f64 v[4:5], v[120:121], v[52:53], -v[4:5]
	v_add_f64 v[0:1], v[0:1], v[152:153]
	ds_read_b128 v[152:155], v98 offset:1568
	v_add_f64 v[2:3], v[2:3], v[4:5]
	v_mul_f64 v[4:5], v[126:127], v[62:63]
	v_fma_f64 v[4:5], v[124:125], v[64:65], -v[4:5]
	v_add_f64 v[2:3], v[2:3], v[4:5]
	v_mul_f64 v[4:5], v[130:131], v[58:59]
	s_waitcnt vmcnt(30) lgkmcnt(1)
	v_mul_f64 v[156:157], v[148:149], v[86:87]
	v_fma_f64 v[4:5], v[128:129], v[60:61], -v[4:5]
	s_waitcnt vmcnt(28)
	v_fmac_f64_e32 v[156:157], v[150:151], v[88:89]
	v_add_f64 v[2:3], v[2:3], v[4:5]
	v_mul_f64 v[4:5], v[134:135], v[70:71]
	v_add_f64 v[0:1], v[0:1], v[156:157]
	ds_read_b128 v[156:159], v98 offset:1584
	s_waitcnt lgkmcnt(1)
	v_mul_f64 v[160:161], v[152:153], v[82:83]
	v_fma_f64 v[4:5], v[132:133], v[72:73], -v[4:5]
	v_fmac_f64_e32 v[160:161], v[154:155], v[84:85]
	v_add_f64 v[2:3], v[2:3], v[4:5]
	v_mul_f64 v[4:5], v[138:139], v[66:67]
	v_add_f64 v[0:1], v[0:1], v[160:161]
	ds_read_b128 v[160:163], v98 offset:1600
	v_fma_f64 v[4:5], v[136:137], v[68:69], -v[4:5]
	v_add_f64 v[2:3], v[2:3], v[4:5]
	v_mul_f64 v[4:5], v[142:143], v[78:79]
	v_fma_f64 v[4:5], v[140:141], v[80:81], -v[4:5]
	s_waitcnt vmcnt(22) lgkmcnt(1)
	v_mul_f64 v[164:165], v[156:157], v[94:95]
	v_add_f64 v[2:3], v[2:3], v[4:5]
	v_mul_f64 v[4:5], v[146:147], v[74:75]
	s_waitcnt vmcnt(20)
	v_fmac_f64_e32 v[164:165], v[158:159], v[96:97]
	v_fma_f64 v[4:5], v[144:145], v[76:77], -v[4:5]
	v_add_f64 v[0:1], v[0:1], v[164:165]
	ds_read_b128 v[164:167], v98 offset:1616
	s_waitcnt lgkmcnt(1)
	v_mul_f64 v[168:169], v[160:161], v[90:91]
	v_add_f64 v[2:3], v[2:3], v[4:5]
	v_mul_f64 v[4:5], v[150:151], v[86:87]
	v_fmac_f64_e32 v[168:169], v[162:163], v[92:93]
	v_fma_f64 v[4:5], v[148:149], v[88:89], -v[4:5]
	v_add_f64 v[0:1], v[0:1], v[168:169]
	ds_read_b128 v[168:171], v98 offset:1632
	v_add_f64 v[2:3], v[2:3], v[4:5]
	v_mul_f64 v[4:5], v[154:155], v[82:83]
	v_fma_f64 v[4:5], v[152:153], v[84:85], -v[4:5]
	v_add_f64 v[2:3], v[2:3], v[4:5]
	v_mul_f64 v[4:5], v[158:159], v[94:95]
	s_waitcnt vmcnt(14) lgkmcnt(1)
	v_mul_f64 v[172:173], v[164:165], v[184:185]
	v_fma_f64 v[4:5], v[156:157], v[96:97], -v[4:5]
	s_waitcnt vmcnt(12)
	v_fmac_f64_e32 v[172:173], v[166:167], v[186:187]
	v_add_f64 v[2:3], v[2:3], v[4:5]
	v_mul_f64 v[4:5], v[162:163], v[90:91]
	v_add_f64 v[0:1], v[0:1], v[172:173]
	ds_read_b128 v[172:175], v98 offset:1648
	s_waitcnt lgkmcnt(1)
	v_mul_f64 v[176:177], v[168:169], v[116:117]
	v_fma_f64 v[4:5], v[160:161], v[92:93], -v[4:5]
	v_fmac_f64_e32 v[176:177], v[170:171], v[118:119]
	v_add_f64 v[2:3], v[2:3], v[4:5]
	v_mul_f64 v[4:5], v[166:167], v[184:185]
	v_add_f64 v[0:1], v[0:1], v[176:177]
	ds_read_b128 v[176:179], v98 offset:1664
	v_fma_f64 v[4:5], v[164:165], v[186:187], -v[4:5]
	v_add_f64 v[2:3], v[2:3], v[4:5]
	v_mul_f64 v[4:5], v[170:171], v[116:117]
	ds_read_b128 v[180:183], v98 offset:1680
	v_fma_f64 v[4:5], v[168:169], v[118:119], -v[4:5]
	v_add_f64 v[2:3], v[2:3], v[4:5]
	s_waitcnt vmcnt(6) lgkmcnt(2)
	v_mul_f64 v[4:5], v[174:175], v[192:193]
	s_waitcnt vmcnt(4)
	v_fma_f64 v[4:5], v[172:173], v[194:195], -v[4:5]
	v_mul_f64 v[200:201], v[172:173], v[192:193]
	v_add_f64 v[2:3], v[2:3], v[4:5]
	s_waitcnt lgkmcnt(1)
	v_mul_f64 v[4:5], v[178:179], v[188:189]
	v_fmac_f64_e32 v[200:201], v[174:175], v[194:195]
	v_mul_f64 v[98:99], v[176:177], v[188:189]
	v_fma_f64 v[4:5], v[176:177], v[190:191], -v[4:5]
	v_add_f64 v[0:1], v[0:1], v[200:201]
	v_fmac_f64_e32 v[98:99], v[178:179], v[190:191]
	v_add_f64 v[2:3], v[2:3], v[4:5]
	s_waitcnt vmcnt(2) lgkmcnt(0)
	v_mul_f64 v[4:5], v[182:183], v[196:197]
	v_add_f64 v[0:1], v[0:1], v[98:99]
	v_mul_f64 v[98:99], v[180:181], v[196:197]
	s_waitcnt vmcnt(0)
	v_fma_f64 v[4:5], v[180:181], v[198:199], -v[4:5]
	v_fmac_f64_e32 v[98:99], v[182:183], v[198:199]
	v_add_f64 v[2:3], v[2:3], v[4:5]
	v_add_f64 v[0:1], v[0:1], v[98:99]
	v_add_f64 v[2:3], v[20:21], -v[2:3]
	v_add_f64 v[0:1], v[18:19], -v[0:1]
	buffer_store_dword v3, off, s[0:3], 0 offset:468
	buffer_store_dword v2, off, s[0:3], 0 offset:464
	;; [unrolled: 1-line block ×4, first 2 shown]
	s_and_saveexec_b64 s[4:5], vcc
	s_cbranch_execz .LBB116_277
; %bb.276:
	v_accvgpr_read_b32 v0, a131
	buffer_load_dword v2, v0, s[0:3], 0 offen
	buffer_load_dword v3, v0, s[0:3], 0 offen offset:4
	buffer_load_dword v4, v0, s[0:3], 0 offen offset:8
	;; [unrolled: 1-line block ×3, first 2 shown]
	v_mov_b32_e32 v0, 0
	v_accvgpr_read_b32 v1, a159
	buffer_store_dword v0, off, s[0:3], 0 offset:448
	buffer_store_dword v0, off, s[0:3], 0 offset:452
	;; [unrolled: 1-line block ×4, first 2 shown]
	s_waitcnt vmcnt(4)
	ds_write_b128 v1, v[2:5]
.LBB116_277:
	s_or_b64 exec, exec, s[4:5]
	s_waitcnt lgkmcnt(0)
	; wave barrier
	s_waitcnt lgkmcnt(0)
	buffer_load_dword v22, off, s[0:3], 0 offset:464
	buffer_load_dword v23, off, s[0:3], 0 offset:468
	;; [unrolled: 1-line block ×64, first 2 shown]
	v_mov_b32_e32 v114, 0
	ds_read_b128 v[18:21], v114 offset:1296
	ds_read_b128 v[14:17], v114 offset:1312
	;; [unrolled: 1-line block ×5, first 2 shown]
	v_cmp_lt_u32_e32 vcc, 26, v255
	s_waitcnt vmcnt(60) lgkmcnt(4)
	v_mul_f64 v[0:1], v[18:19], v[26:27]
	v_fmac_f64_e32 v[0:1], v[20:21], v[22:23]
	v_add_f64 v[0:1], v[0:1], 0
	v_mul_f64 v[20:21], v[20:21], v[26:27]
	s_waitcnt vmcnt(56) lgkmcnt(3)
	v_mul_f64 v[86:87], v[14:15], v[28:29]
	v_fmac_f64_e32 v[86:87], v[16:17], v[24:25]
	s_waitcnt vmcnt(54) lgkmcnt(2)
	v_mul_f64 v[88:89], v[10:11], v[30:31]
	v_add_f64 v[0:1], v[0:1], v[86:87]
	v_fma_f64 v[18:19], v[18:19], v[22:23], -v[20:21]
	v_mul_f64 v[16:17], v[16:17], v[28:29]
	s_waitcnt vmcnt(50) lgkmcnt(1)
	v_mul_f64 v[102:103], v[6:7], v[40:41]
	v_add_f64 v[18:19], v[18:19], 0
	s_waitcnt vmcnt(48)
	v_fmac_f64_e32 v[88:89], v[12:13], v[44:45]
	v_add_f64 v[0:1], v[0:1], v[88:89]
	buffer_load_dword v87, off, s[0:3], 0 offset:732
	buffer_load_dword v86, off, s[0:3], 0 offset:728
	;; [unrolled: 1-line block ×40, first 2 shown]
	s_waitcnt vmcnt(62)
	v_fmac_f64_e32 v[102:103], v[8:9], v[42:43]
	v_add_f64 v[0:1], v[0:1], v[102:103]
	ds_read_b128 v[102:105], v114 offset:1376
	s_waitcnt lgkmcnt(1)
	v_mul_f64 v[106:107], v[2:3], v[36:37]
	v_fmac_f64_e32 v[106:107], v[4:5], v[38:39]
	v_add_f64 v[0:1], v[0:1], v[106:107]
	ds_read_b128 v[106:109], v114 offset:1392
	s_waitcnt lgkmcnt(1)
	v_mul_f64 v[110:111], v[102:103], v[50:51]
	;; [unrolled: 5-line block ×5, first 2 shown]
	v_fmac_f64_e32 v[128:129], v[122:123], v[56:57]
	v_add_f64 v[0:1], v[0:1], v[128:129]
	ds_read_b128 v[128:131], v114 offset:1456
	s_waitcnt vmcnt(58) lgkmcnt(1)
	v_mul_f64 v[132:133], v[124:125], v[66:67]
	s_waitcnt vmcnt(56)
	v_fmac_f64_e32 v[132:133], v[126:127], v[68:69]
	v_add_f64 v[0:1], v[0:1], v[132:133]
	ds_read_b128 v[132:135], v114 offset:1472
	s_waitcnt lgkmcnt(1)
	v_mul_f64 v[136:137], v[128:129], v[62:63]
	v_fmac_f64_e32 v[136:137], v[130:131], v[64:65]
	v_add_f64 v[0:1], v[0:1], v[136:137]
	ds_read_b128 v[136:139], v114 offset:1488
	s_waitcnt vmcnt(50) lgkmcnt(1)
	v_mul_f64 v[140:141], v[132:133], v[74:75]
	s_waitcnt vmcnt(48)
	v_fmac_f64_e32 v[140:141], v[134:135], v[76:77]
	v_add_f64 v[0:1], v[0:1], v[140:141]
	ds_read_b128 v[140:143], v114 offset:1504
	v_fma_f64 v[14:15], v[14:15], v[24:25], -v[16:17]
	v_mul_f64 v[12:13], v[12:13], v[30:31]
	v_add_f64 v[14:15], v[18:19], v[14:15]
	v_fma_f64 v[10:11], v[10:11], v[44:45], -v[12:13]
	v_mul_f64 v[8:9], v[8:9], v[40:41]
	s_waitcnt lgkmcnt(1)
	v_mul_f64 v[144:145], v[136:137], v[70:71]
	v_add_f64 v[10:11], v[14:15], v[10:11]
	v_fma_f64 v[6:7], v[6:7], v[42:43], -v[8:9]
	v_mul_f64 v[4:5], v[4:5], v[36:37]
	v_fmac_f64_e32 v[144:145], v[138:139], v[72:73]
	v_add_f64 v[6:7], v[10:11], v[6:7]
	v_fma_f64 v[2:3], v[2:3], v[38:39], -v[4:5]
	v_mul_f64 v[4:5], v[104:105], v[50:51]
	v_add_f64 v[0:1], v[0:1], v[144:145]
	ds_read_b128 v[144:147], v114 offset:1520
	s_waitcnt vmcnt(42) lgkmcnt(1)
	v_mul_f64 v[148:149], v[140:141], v[82:83]
	v_add_f64 v[2:3], v[6:7], v[2:3]
	v_fma_f64 v[4:5], v[102:103], v[52:53], -v[4:5]
	s_waitcnt vmcnt(40)
	v_fmac_f64_e32 v[148:149], v[142:143], v[84:85]
	v_add_f64 v[2:3], v[2:3], v[4:5]
	v_mul_f64 v[4:5], v[108:109], v[46:47]
	v_add_f64 v[0:1], v[0:1], v[148:149]
	ds_read_b128 v[148:151], v114 offset:1536
	v_fma_f64 v[4:5], v[106:107], v[48:49], -v[4:5]
	v_add_f64 v[2:3], v[2:3], v[4:5]
	v_mul_f64 v[4:5], v[112:113], v[58:59]
	v_fma_f64 v[4:5], v[110:111], v[60:61], -v[4:5]
	s_waitcnt lgkmcnt(1)
	v_mul_f64 v[152:153], v[144:145], v[78:79]
	v_add_f64 v[2:3], v[2:3], v[4:5]
	v_mul_f64 v[4:5], v[122:123], v[54:55]
	v_fmac_f64_e32 v[152:153], v[146:147], v[80:81]
	v_fma_f64 v[4:5], v[120:121], v[56:57], -v[4:5]
	v_add_f64 v[0:1], v[0:1], v[152:153]
	ds_read_b128 v[152:155], v114 offset:1552
	s_waitcnt vmcnt(34) lgkmcnt(1)
	v_mul_f64 v[156:157], v[148:149], v[90:91]
	v_add_f64 v[2:3], v[2:3], v[4:5]
	v_mul_f64 v[4:5], v[126:127], v[66:67]
	s_waitcnt vmcnt(32)
	v_fmac_f64_e32 v[156:157], v[150:151], v[92:93]
	v_fma_f64 v[4:5], v[124:125], v[68:69], -v[4:5]
	v_add_f64 v[0:1], v[0:1], v[156:157]
	ds_read_b128 v[156:159], v114 offset:1568
	v_add_f64 v[2:3], v[2:3], v[4:5]
	v_mul_f64 v[4:5], v[130:131], v[62:63]
	v_fma_f64 v[4:5], v[128:129], v[64:65], -v[4:5]
	v_add_f64 v[2:3], v[2:3], v[4:5]
	v_mul_f64 v[4:5], v[134:135], v[74:75]
	s_waitcnt lgkmcnt(1)
	v_mul_f64 v[160:161], v[152:153], v[86:87]
	v_fma_f64 v[4:5], v[132:133], v[76:77], -v[4:5]
	v_fmac_f64_e32 v[160:161], v[154:155], v[88:89]
	v_add_f64 v[2:3], v[2:3], v[4:5]
	v_mul_f64 v[4:5], v[138:139], v[70:71]
	v_add_f64 v[0:1], v[0:1], v[160:161]
	ds_read_b128 v[160:163], v114 offset:1584
	s_waitcnt vmcnt(26) lgkmcnt(1)
	v_mul_f64 v[164:165], v[156:157], v[98:99]
	v_fma_f64 v[4:5], v[136:137], v[72:73], -v[4:5]
	s_waitcnt vmcnt(24)
	v_fmac_f64_e32 v[164:165], v[158:159], v[100:101]
	v_add_f64 v[2:3], v[2:3], v[4:5]
	v_mul_f64 v[4:5], v[142:143], v[82:83]
	v_add_f64 v[0:1], v[0:1], v[164:165]
	ds_read_b128 v[164:167], v114 offset:1600
	v_fma_f64 v[4:5], v[140:141], v[84:85], -v[4:5]
	v_add_f64 v[2:3], v[2:3], v[4:5]
	v_mul_f64 v[4:5], v[146:147], v[78:79]
	v_fma_f64 v[4:5], v[144:145], v[80:81], -v[4:5]
	s_waitcnt lgkmcnt(1)
	v_mul_f64 v[168:169], v[160:161], v[94:95]
	v_add_f64 v[2:3], v[2:3], v[4:5]
	v_mul_f64 v[4:5], v[150:151], v[90:91]
	v_fmac_f64_e32 v[168:169], v[162:163], v[96:97]
	v_fma_f64 v[4:5], v[148:149], v[92:93], -v[4:5]
	v_add_f64 v[0:1], v[0:1], v[168:169]
	ds_read_b128 v[168:171], v114 offset:1616
	s_waitcnt vmcnt(18) lgkmcnt(1)
	v_mul_f64 v[172:173], v[164:165], v[188:189]
	v_add_f64 v[2:3], v[2:3], v[4:5]
	v_mul_f64 v[4:5], v[154:155], v[86:87]
	s_waitcnt vmcnt(16)
	v_fmac_f64_e32 v[172:173], v[166:167], v[190:191]
	v_fma_f64 v[4:5], v[152:153], v[88:89], -v[4:5]
	v_add_f64 v[0:1], v[0:1], v[172:173]
	ds_read_b128 v[172:175], v114 offset:1632
	v_add_f64 v[2:3], v[2:3], v[4:5]
	v_mul_f64 v[4:5], v[158:159], v[98:99]
	v_fma_f64 v[4:5], v[156:157], v[100:101], -v[4:5]
	v_add_f64 v[2:3], v[2:3], v[4:5]
	v_mul_f64 v[4:5], v[162:163], v[94:95]
	s_waitcnt lgkmcnt(1)
	v_mul_f64 v[176:177], v[168:169], v[116:117]
	v_fma_f64 v[4:5], v[160:161], v[96:97], -v[4:5]
	v_fmac_f64_e32 v[176:177], v[170:171], v[118:119]
	v_add_f64 v[2:3], v[2:3], v[4:5]
	v_mul_f64 v[4:5], v[166:167], v[188:189]
	v_add_f64 v[0:1], v[0:1], v[176:177]
	ds_read_b128 v[176:179], v114 offset:1648
	s_waitcnt vmcnt(10) lgkmcnt(1)
	v_mul_f64 v[180:181], v[172:173], v[196:197]
	v_fma_f64 v[4:5], v[164:165], v[190:191], -v[4:5]
	s_waitcnt vmcnt(8)
	v_fmac_f64_e32 v[180:181], v[174:175], v[198:199]
	v_add_f64 v[2:3], v[2:3], v[4:5]
	v_mul_f64 v[4:5], v[170:171], v[116:117]
	v_add_f64 v[0:1], v[0:1], v[180:181]
	ds_read_b128 v[180:183], v114 offset:1664
	ds_read_b128 v[184:187], v114 offset:1680
	v_fma_f64 v[4:5], v[168:169], v[118:119], -v[4:5]
	v_add_f64 v[2:3], v[2:3], v[4:5]
	v_mul_f64 v[4:5], v[174:175], v[196:197]
	v_fma_f64 v[4:5], v[172:173], v[198:199], -v[4:5]
	v_add_f64 v[2:3], v[2:3], v[4:5]
	s_waitcnt lgkmcnt(2)
	v_mul_f64 v[4:5], v[178:179], v[192:193]
	v_mul_f64 v[208:209], v[176:177], v[192:193]
	v_fma_f64 v[4:5], v[176:177], v[194:195], -v[4:5]
	v_fmac_f64_e32 v[208:209], v[178:179], v[194:195]
	v_add_f64 v[2:3], v[2:3], v[4:5]
	s_waitcnt vmcnt(2) lgkmcnt(1)
	v_mul_f64 v[4:5], v[182:183], v[204:205]
	v_add_f64 v[0:1], v[0:1], v[208:209]
	v_mul_f64 v[208:209], v[180:181], v[204:205]
	s_waitcnt vmcnt(0)
	v_fma_f64 v[4:5], v[180:181], v[206:207], -v[4:5]
	v_fmac_f64_e32 v[208:209], v[182:183], v[206:207]
	v_add_f64 v[2:3], v[2:3], v[4:5]
	s_waitcnt lgkmcnt(0)
	v_mul_f64 v[4:5], v[186:187], v[200:201]
	v_add_f64 v[0:1], v[0:1], v[208:209]
	v_mul_f64 v[208:209], v[184:185], v[200:201]
	v_fma_f64 v[4:5], v[184:185], v[202:203], -v[4:5]
	v_fmac_f64_e32 v[208:209], v[186:187], v[202:203]
	v_add_f64 v[2:3], v[2:3], v[4:5]
	v_add_f64 v[0:1], v[0:1], v[208:209]
	v_add_f64 v[2:3], v[34:35], -v[2:3]
	v_add_f64 v[0:1], v[32:33], -v[0:1]
	buffer_store_dword v3, off, s[0:3], 0 offset:452
	buffer_store_dword v2, off, s[0:3], 0 offset:448
	;; [unrolled: 1-line block ×4, first 2 shown]
	s_and_saveexec_b64 s[4:5], vcc
	s_cbranch_execz .LBB116_279
; %bb.278:
	v_accvgpr_read_b32 v0, a132
	buffer_load_dword v2, v0, s[0:3], 0 offen
	buffer_load_dword v3, v0, s[0:3], 0 offen offset:4
	buffer_load_dword v4, v0, s[0:3], 0 offen offset:8
	;; [unrolled: 1-line block ×3, first 2 shown]
	v_accvgpr_read_b32 v0, a159
	buffer_store_dword v114, off, s[0:3], 0 offset:432
	buffer_store_dword v114, off, s[0:3], 0 offset:436
	;; [unrolled: 1-line block ×4, first 2 shown]
	s_waitcnt vmcnt(4)
	ds_write_b128 v0, v[2:5]
.LBB116_279:
	s_or_b64 exec, exec, s[4:5]
	s_waitcnt lgkmcnt(0)
	; wave barrier
	s_waitcnt lgkmcnt(0)
	buffer_load_dword v26, off, s[0:3], 0 offset:448
	buffer_load_dword v27, off, s[0:3], 0 offset:452
	;; [unrolled: 1-line block ×24, first 2 shown]
	ds_read_b128 v[22:25], v114 offset:1280
	ds_read_b128 v[18:21], v114 offset:1296
	;; [unrolled: 1-line block ×6, first 2 shown]
	buffer_load_dword v51, off, s[0:3], 0 offset:556
	buffer_load_dword v50, off, s[0:3], 0 offset:552
	;; [unrolled: 1-line block ×40, first 2 shown]
	v_cmp_lt_u32_e32 vcc, 25, v255
	s_waitcnt vmcnt(60) lgkmcnt(5)
	v_mul_f64 v[0:1], v[22:23], v[28:29]
	v_fmac_f64_e32 v[0:1], v[24:25], v[26:27]
	s_waitcnt vmcnt(58) lgkmcnt(4)
	v_mul_f64 v[90:91], v[18:19], v[30:31]
	v_add_f64 v[0:1], v[0:1], 0
	s_waitcnt vmcnt(56) lgkmcnt(3)
	v_mul_f64 v[92:93], v[10:11], v[32:33]
	v_mul_f64 v[24:25], v[24:25], v[28:29]
	v_fma_f64 v[22:23], v[22:23], v[26:27], -v[24:25]
	s_waitcnt vmcnt(54) lgkmcnt(1)
	v_mul_f64 v[116:117], v[2:3], v[38:39]
	v_add_f64 v[22:23], v[22:23], 0
	s_waitcnt vmcnt(51)
	v_mul_f64 v[94:95], v[6:7], v[42:43]
	s_waitcnt vmcnt(49)
	v_fmac_f64_e32 v[90:91], v[20:21], v[48:49]
	v_add_f64 v[0:1], v[0:1], v[90:91]
	s_waitcnt vmcnt(47)
	v_fmac_f64_e32 v[92:93], v[12:13], v[46:47]
	v_add_f64 v[0:1], v[0:1], v[92:93]
	;; [unrolled: 3-line block ×3, first 2 shown]
	buffer_load_dword v91, off, s[0:3], 0 offset:716
	buffer_load_dword v90, off, s[0:3], 0 offset:712
	;; [unrolled: 1-line block ×40, first 2 shown]
	ds_read_b128 v[120:123], v114 offset:1376
	buffer_load_dword v211, off, s[0:3], 0 offset:860
	buffer_load_dword v210, off, s[0:3], 0 offset:856
	;; [unrolled: 1-line block ×4, first 2 shown]
	v_mul_f64 v[20:21], v[20:21], v[30:31]
	v_fma_f64 v[18:19], v[18:19], v[48:49], -v[20:21]
	v_mul_f64 v[12:13], v[12:13], v[32:33]
	s_waitcnt vmcnt(62)
	v_fmac_f64_e32 v[116:117], v[4:5], v[40:41]
	ds_read_b128 v[124:127], v114 offset:1392
	ds_read_b128 v[128:131], v114 offset:1408
	v_add_f64 v[18:19], v[22:23], v[18:19]
	v_fma_f64 v[10:11], v[10:11], v[46:47], -v[12:13]
	v_mul_f64 v[8:9], v[8:9], v[42:43]
	v_add_f64 v[0:1], v[0:1], v[116:117]
	s_waitcnt lgkmcnt(3)
	v_mul_f64 v[116:117], v[14:15], v[54:55]
	v_add_f64 v[10:11], v[18:19], v[10:11]
	v_fma_f64 v[6:7], v[6:7], v[44:45], -v[8:9]
	v_mul_f64 v[4:5], v[4:5], v[38:39]
	v_fmac_f64_e32 v[116:117], v[16:17], v[56:57]
	v_add_f64 v[6:7], v[10:11], v[6:7]
	v_fma_f64 v[2:3], v[2:3], v[40:41], -v[4:5]
	v_mul_f64 v[4:5], v[16:17], v[54:55]
	v_add_f64 v[0:1], v[0:1], v[116:117]
	s_waitcnt lgkmcnt(2)
	v_mul_f64 v[116:117], v[120:121], v[50:51]
	v_add_f64 v[2:3], v[6:7], v[2:3]
	v_fma_f64 v[4:5], v[14:15], v[56:57], -v[4:5]
	v_fmac_f64_e32 v[116:117], v[122:123], v[52:53]
	ds_read_b128 v[132:135], v114 offset:1424
	ds_read_b128 v[136:139], v114 offset:1440
	v_add_f64 v[2:3], v[2:3], v[4:5]
	v_mul_f64 v[4:5], v[122:123], v[50:51]
	v_add_f64 v[0:1], v[0:1], v[116:117]
	s_waitcnt lgkmcnt(3)
	v_mul_f64 v[116:117], v[124:125], v[62:63]
	v_fma_f64 v[4:5], v[120:121], v[52:53], -v[4:5]
	v_fmac_f64_e32 v[116:117], v[126:127], v[64:65]
	v_add_f64 v[2:3], v[2:3], v[4:5]
	v_mul_f64 v[4:5], v[126:127], v[62:63]
	v_add_f64 v[0:1], v[0:1], v[116:117]
	s_waitcnt lgkmcnt(2)
	v_mul_f64 v[116:117], v[128:129], v[58:59]
	v_fma_f64 v[4:5], v[124:125], v[64:65], -v[4:5]
	v_fmac_f64_e32 v[116:117], v[130:131], v[60:61]
	ds_read_b128 v[140:143], v114 offset:1456
	ds_read_b128 v[144:147], v114 offset:1472
	v_add_f64 v[2:3], v[2:3], v[4:5]
	v_mul_f64 v[4:5], v[130:131], v[58:59]
	v_add_f64 v[0:1], v[0:1], v[116:117]
	s_waitcnt lgkmcnt(3)
	v_mul_f64 v[116:117], v[132:133], v[70:71]
	v_fma_f64 v[4:5], v[128:129], v[60:61], -v[4:5]
	s_waitcnt vmcnt(60)
	v_fmac_f64_e32 v[116:117], v[134:135], v[72:73]
	v_add_f64 v[2:3], v[2:3], v[4:5]
	v_mul_f64 v[4:5], v[134:135], v[70:71]
	v_add_f64 v[0:1], v[0:1], v[116:117]
	s_waitcnt lgkmcnt(2)
	v_mul_f64 v[116:117], v[136:137], v[66:67]
	v_fma_f64 v[4:5], v[132:133], v[72:73], -v[4:5]
	v_fmac_f64_e32 v[116:117], v[138:139], v[68:69]
	ds_read_b128 v[148:151], v114 offset:1488
	ds_read_b128 v[152:155], v114 offset:1504
	v_add_f64 v[2:3], v[2:3], v[4:5]
	v_mul_f64 v[4:5], v[138:139], v[66:67]
	v_add_f64 v[0:1], v[0:1], v[116:117]
	s_waitcnt vmcnt(54) lgkmcnt(3)
	v_mul_f64 v[116:117], v[140:141], v[78:79]
	v_fma_f64 v[4:5], v[136:137], v[68:69], -v[4:5]
	s_waitcnt vmcnt(52)
	v_fmac_f64_e32 v[116:117], v[142:143], v[80:81]
	v_add_f64 v[2:3], v[2:3], v[4:5]
	v_mul_f64 v[4:5], v[142:143], v[78:79]
	v_add_f64 v[0:1], v[0:1], v[116:117]
	s_waitcnt lgkmcnt(2)
	v_mul_f64 v[116:117], v[144:145], v[74:75]
	v_fma_f64 v[4:5], v[140:141], v[80:81], -v[4:5]
	v_fmac_f64_e32 v[116:117], v[146:147], v[76:77]
	ds_read_b128 v[156:159], v114 offset:1520
	ds_read_b128 v[160:163], v114 offset:1536
	v_add_f64 v[2:3], v[2:3], v[4:5]
	v_mul_f64 v[4:5], v[146:147], v[74:75]
	v_add_f64 v[0:1], v[0:1], v[116:117]
	s_waitcnt vmcnt(46) lgkmcnt(3)
	;; [unrolled: 17-line block ×5, first 2 shown]
	v_mul_f64 v[116:117], v[172:173], v[110:111]
	v_fma_f64 v[4:5], v[168:169], v[100:101], -v[4:5]
	s_waitcnt vmcnt(20)
	v_fmac_f64_e32 v[116:117], v[174:175], v[112:113]
	v_add_f64 v[2:3], v[2:3], v[4:5]
	v_mul_f64 v[4:5], v[174:175], v[110:111]
	v_add_f64 v[0:1], v[0:1], v[116:117]
	s_waitcnt lgkmcnt(2)
	v_mul_f64 v[116:117], v[176:177], v[106:107]
	v_fma_f64 v[4:5], v[172:173], v[112:113], -v[4:5]
	v_fmac_f64_e32 v[116:117], v[178:179], v[108:109]
	v_add_f64 v[2:3], v[2:3], v[4:5]
	v_mul_f64 v[4:5], v[178:179], v[106:107]
	v_add_f64 v[0:1], v[0:1], v[116:117]
	s_waitcnt vmcnt(14) lgkmcnt(1)
	v_mul_f64 v[116:117], v[180:181], v[198:199]
	ds_read_b128 v[188:191], v114 offset:1648
	ds_read_b128 v[192:195], v114 offset:1664
	v_fma_f64 v[4:5], v[176:177], v[108:109], -v[4:5]
	s_waitcnt vmcnt(12)
	v_fmac_f64_e32 v[116:117], v[182:183], v[200:201]
	v_add_f64 v[2:3], v[2:3], v[4:5]
	v_mul_f64 v[4:5], v[182:183], v[198:199]
	v_add_f64 v[0:1], v[0:1], v[116:117]
	s_waitcnt lgkmcnt(2)
	v_mul_f64 v[116:117], v[184:185], v[118:119]
	v_fma_f64 v[4:5], v[180:181], v[200:201], -v[4:5]
	v_fmac_f64_e32 v[116:117], v[186:187], v[196:197]
	v_add_f64 v[2:3], v[2:3], v[4:5]
	v_mul_f64 v[4:5], v[186:187], v[118:119]
	v_add_f64 v[0:1], v[0:1], v[116:117]
	ds_read_b128 v[114:117], v114 offset:1680
	v_fma_f64 v[4:5], v[184:185], v[196:197], -v[4:5]
	v_add_f64 v[2:3], v[2:3], v[4:5]
	s_waitcnt vmcnt(6) lgkmcnt(2)
	v_mul_f64 v[4:5], v[190:191], v[206:207]
	v_mul_f64 v[214:215], v[188:189], v[206:207]
	s_waitcnt vmcnt(4)
	v_fma_f64 v[4:5], v[188:189], v[208:209], -v[4:5]
	v_fmac_f64_e32 v[214:215], v[190:191], v[208:209]
	v_add_f64 v[2:3], v[2:3], v[4:5]
	s_waitcnt lgkmcnt(1)
	v_mul_f64 v[4:5], v[194:195], v[202:203]
	v_add_f64 v[0:1], v[0:1], v[214:215]
	v_mul_f64 v[214:215], v[192:193], v[202:203]
	v_fma_f64 v[4:5], v[192:193], v[204:205], -v[4:5]
	v_fmac_f64_e32 v[214:215], v[194:195], v[204:205]
	v_add_f64 v[2:3], v[2:3], v[4:5]
	s_waitcnt vmcnt(2) lgkmcnt(0)
	v_mul_f64 v[4:5], v[116:117], v[210:211]
	v_add_f64 v[0:1], v[0:1], v[214:215]
	v_mul_f64 v[214:215], v[114:115], v[210:211]
	s_waitcnt vmcnt(0)
	v_fma_f64 v[4:5], v[114:115], v[212:213], -v[4:5]
	v_fmac_f64_e32 v[214:215], v[116:117], v[212:213]
	v_add_f64 v[2:3], v[2:3], v[4:5]
	v_add_f64 v[0:1], v[0:1], v[214:215]
	v_add_f64 v[2:3], v[36:37], -v[2:3]
	v_add_f64 v[0:1], v[34:35], -v[0:1]
	buffer_store_dword v3, off, s[0:3], 0 offset:436
	buffer_store_dword v2, off, s[0:3], 0 offset:432
	;; [unrolled: 1-line block ×4, first 2 shown]
	s_and_saveexec_b64 s[4:5], vcc
	s_cbranch_execz .LBB116_281
; %bb.280:
	v_accvgpr_read_b32 v0, a133
	buffer_load_dword v2, v0, s[0:3], 0 offen
	buffer_load_dword v3, v0, s[0:3], 0 offen offset:4
	buffer_load_dword v4, v0, s[0:3], 0 offen offset:8
	;; [unrolled: 1-line block ×3, first 2 shown]
	v_mov_b32_e32 v0, 0
	v_accvgpr_read_b32 v1, a159
	buffer_store_dword v0, off, s[0:3], 0 offset:416
	buffer_store_dword v0, off, s[0:3], 0 offset:420
	;; [unrolled: 1-line block ×4, first 2 shown]
	s_waitcnt vmcnt(4)
	ds_write_b128 v1, v[2:5]
.LBB116_281:
	s_or_b64 exec, exec, s[4:5]
	s_waitcnt lgkmcnt(0)
	; wave barrier
	s_waitcnt lgkmcnt(0)
	buffer_load_dword v30, off, s[0:3], 0 offset:432
	buffer_load_dword v31, off, s[0:3], 0 offset:436
	;; [unrolled: 1-line block ×56, first 2 shown]
	v_mov_b32_e32 v136, 0
	ds_read_b128 v[26:29], v136 offset:1264
	ds_read_b128 v[22:25], v136 offset:1280
	;; [unrolled: 1-line block ×7, first 2 shown]
	v_cmp_lt_u32_e32 vcc, 24, v255
	s_waitcnt vmcnt(52) lgkmcnt(6)
	v_mul_f64 v[0:1], v[26:27], v[34:35]
	v_fmac_f64_e32 v[0:1], v[28:29], v[30:31]
	v_add_f64 v[0:1], v[0:1], 0
	v_mul_f64 v[28:29], v[28:29], v[34:35]
	s_waitcnt vmcnt(48) lgkmcnt(5)
	v_mul_f64 v[86:87], v[22:23], v[36:37]
	v_fmac_f64_e32 v[86:87], v[24:25], v[32:33]
	s_waitcnt vmcnt(46) lgkmcnt(4)
	v_mul_f64 v[88:89], v[18:19], v[38:39]
	v_add_f64 v[0:1], v[0:1], v[86:87]
	s_waitcnt vmcnt(44) lgkmcnt(2)
	v_mul_f64 v[92:93], v[10:11], v[40:41]
	v_fma_f64 v[26:27], v[26:27], v[30:31], -v[28:29]
	s_waitcnt vmcnt(42)
	v_fmac_f64_e32 v[92:93], v[12:13], v[42:43]
	v_mul_f64 v[24:25], v[24:25], v[36:37]
	s_waitcnt vmcnt(40)
	v_mul_f64 v[90:91], v[14:15], v[48:49]
	v_add_f64 v[26:27], v[26:27], 0
	v_fma_f64 v[22:23], v[22:23], v[32:33], -v[24:25]
	v_add_f64 v[22:23], v[26:27], v[22:23]
	s_waitcnt vmcnt(36) lgkmcnt(1)
	v_mul_f64 v[110:111], v[6:7], v[54:55]
	v_mul_f64 v[12:13], v[12:13], v[40:41]
	s_waitcnt vmcnt(34)
	v_fmac_f64_e32 v[88:89], v[20:21], v[60:61]
	v_add_f64 v[0:1], v[0:1], v[88:89]
	s_waitcnt vmcnt(32)
	v_fmac_f64_e32 v[90:91], v[16:17], v[58:59]
	v_add_f64 v[0:1], v[0:1], v[90:91]
	v_add_f64 v[116:117], v[0:1], v[92:93]
	buffer_load_dword v87, off, s[0:3], 0 offset:668
	buffer_load_dword v86, off, s[0:3], 0 offset:664
	;; [unrolled: 1-line block ×56, first 2 shown]
	ds_read_b128 v[126:129], v136 offset:1376
	ds_read_b128 v[130:133], v136 offset:1392
	v_mul_f64 v[20:21], v[20:21], v[38:39]
	v_fma_f64 v[18:19], v[18:19], v[60:61], -v[20:21]
	v_mul_f64 v[16:17], v[16:17], v[48:49]
	s_waitcnt vmcnt(62)
	v_fmac_f64_e32 v[110:111], v[8:9], v[56:57]
	v_add_f64 v[18:19], v[22:23], v[18:19]
	v_fma_f64 v[14:15], v[14:15], v[58:59], -v[16:17]
	v_add_f64 v[110:111], v[116:117], v[110:111]
	s_waitcnt lgkmcnt(2)
	v_mul_f64 v[116:117], v[2:3], v[50:51]
	v_add_f64 v[14:15], v[18:19], v[14:15]
	v_fma_f64 v[10:11], v[10:11], v[42:43], -v[12:13]
	v_mul_f64 v[8:9], v[8:9], v[54:55]
	v_fmac_f64_e32 v[116:117], v[4:5], v[52:53]
	ds_read_b128 v[138:141], v136 offset:1408
	ds_read_b128 v[142:145], v136 offset:1424
	v_add_f64 v[10:11], v[14:15], v[10:11]
	v_fma_f64 v[6:7], v[6:7], v[56:57], -v[8:9]
	v_mul_f64 v[4:5], v[4:5], v[50:51]
	v_add_f64 v[110:111], v[110:111], v[116:117]
	s_waitcnt lgkmcnt(3)
	v_mul_f64 v[116:117], v[126:127], v[66:67]
	v_add_f64 v[6:7], v[10:11], v[6:7]
	v_fma_f64 v[2:3], v[2:3], v[52:53], -v[4:5]
	v_mul_f64 v[4:5], v[128:129], v[66:67]
	v_fmac_f64_e32 v[116:117], v[128:129], v[68:69]
	v_add_f64 v[2:3], v[6:7], v[2:3]
	v_fma_f64 v[4:5], v[126:127], v[68:69], -v[4:5]
	v_add_f64 v[110:111], v[110:111], v[116:117]
	s_waitcnt lgkmcnt(2)
	v_mul_f64 v[116:117], v[130:131], v[62:63]
	v_add_f64 v[2:3], v[2:3], v[4:5]
	v_mul_f64 v[4:5], v[132:133], v[62:63]
	v_fmac_f64_e32 v[116:117], v[132:133], v[64:65]
	ds_read_b128 v[146:149], v136 offset:1440
	ds_read_b128 v[150:153], v136 offset:1456
	v_fma_f64 v[4:5], v[130:131], v[64:65], -v[4:5]
	v_add_f64 v[110:111], v[110:111], v[116:117]
	s_waitcnt lgkmcnt(3)
	v_mul_f64 v[116:117], v[138:139], v[74:75]
	v_add_f64 v[2:3], v[2:3], v[4:5]
	v_mul_f64 v[4:5], v[140:141], v[74:75]
	v_fmac_f64_e32 v[116:117], v[140:141], v[76:77]
	v_fma_f64 v[4:5], v[138:139], v[76:77], -v[4:5]
	v_add_f64 v[110:111], v[110:111], v[116:117]
	s_waitcnt lgkmcnt(2)
	v_mul_f64 v[116:117], v[142:143], v[70:71]
	v_add_f64 v[2:3], v[2:3], v[4:5]
	v_mul_f64 v[4:5], v[144:145], v[70:71]
	v_fmac_f64_e32 v[116:117], v[144:145], v[72:73]
	ds_read_b128 v[154:157], v136 offset:1472
	ds_read_b128 v[158:161], v136 offset:1488
	v_fma_f64 v[4:5], v[142:143], v[72:73], -v[4:5]
	v_add_f64 v[110:111], v[110:111], v[116:117]
	s_waitcnt vmcnt(58) lgkmcnt(3)
	v_mul_f64 v[116:117], v[146:147], v[82:83]
	v_add_f64 v[2:3], v[2:3], v[4:5]
	v_mul_f64 v[4:5], v[148:149], v[82:83]
	s_waitcnt vmcnt(56)
	v_fmac_f64_e32 v[116:117], v[148:149], v[84:85]
	v_fma_f64 v[4:5], v[146:147], v[84:85], -v[4:5]
	v_add_f64 v[110:111], v[110:111], v[116:117]
	s_waitcnt lgkmcnt(2)
	v_mul_f64 v[116:117], v[150:151], v[78:79]
	v_add_f64 v[2:3], v[2:3], v[4:5]
	v_mul_f64 v[4:5], v[152:153], v[78:79]
	v_fmac_f64_e32 v[116:117], v[152:153], v[80:81]
	ds_read_b128 v[162:165], v136 offset:1504
	ds_read_b128 v[166:169], v136 offset:1520
	v_fma_f64 v[4:5], v[150:151], v[80:81], -v[4:5]
	v_add_f64 v[110:111], v[110:111], v[116:117]
	s_waitcnt vmcnt(50) lgkmcnt(3)
	v_mul_f64 v[116:117], v[154:155], v[90:91]
	v_add_f64 v[2:3], v[2:3], v[4:5]
	v_mul_f64 v[4:5], v[156:157], v[90:91]
	s_waitcnt vmcnt(48)
	;; [unrolled: 17-line block ×7, first 2 shown]
	v_fma_f64 v[2:3], v[194:195], v[216:217], -v[2:3]
	v_fmac_f64_e32 v[116:117], v[196:197], v[216:217]
	v_add_f64 v[0:1], v[0:1], v[2:3]
	s_waitcnt lgkmcnt(2)
	v_mul_f64 v[2:3], v[200:201], v[210:211]
	v_add_f64 v[110:111], v[110:111], v[116:117]
	v_mul_f64 v[116:117], v[198:199], v[210:211]
	v_fma_f64 v[2:3], v[198:199], v[212:213], -v[2:3]
	v_fmac_f64_e32 v[116:117], v[200:201], v[212:213]
	v_add_f64 v[0:1], v[0:1], v[2:3]
	s_waitcnt vmcnt(2) lgkmcnt(1)
	v_mul_f64 v[2:3], v[204:205], v[222:223]
	v_add_f64 v[110:111], v[110:111], v[116:117]
	v_mul_f64 v[116:117], v[202:203], v[222:223]
	s_waitcnt vmcnt(0)
	v_fma_f64 v[2:3], v[202:203], v[224:225], -v[2:3]
	v_fmac_f64_e32 v[116:117], v[204:205], v[224:225]
	v_add_f64 v[0:1], v[0:1], v[2:3]
	s_waitcnt lgkmcnt(0)
	v_mul_f64 v[2:3], v[208:209], v[218:219]
	v_add_f64 v[110:111], v[110:111], v[116:117]
	v_mul_f64 v[116:117], v[206:207], v[218:219]
	v_fma_f64 v[2:3], v[206:207], v[220:221], -v[2:3]
	v_fmac_f64_e32 v[116:117], v[208:209], v[220:221]
	v_add_f64 v[0:1], v[0:1], v[2:3]
	v_add_f64 v[110:111], v[110:111], v[116:117]
	v_add_f64 v[0:1], v[46:47], -v[0:1]
	v_add_f64 v[2:3], v[44:45], -v[110:111]
	buffer_store_dword v1, off, s[0:3], 0 offset:420
	buffer_store_dword v0, off, s[0:3], 0 offset:416
	buffer_store_dword v3, off, s[0:3], 0 offset:428
	buffer_store_dword v2, off, s[0:3], 0 offset:424
	s_and_saveexec_b64 s[4:5], vcc
	s_cbranch_execz .LBB116_283
; %bb.282:
	v_accvgpr_read_b32 v0, a134
	buffer_load_dword v2, v0, s[0:3], 0 offen
	buffer_load_dword v3, v0, s[0:3], 0 offen offset:4
	buffer_load_dword v4, v0, s[0:3], 0 offen offset:8
	;; [unrolled: 1-line block ×3, first 2 shown]
	v_accvgpr_read_b32 v0, a159
	buffer_store_dword v136, off, s[0:3], 0 offset:400
	buffer_store_dword v136, off, s[0:3], 0 offset:404
	;; [unrolled: 1-line block ×4, first 2 shown]
	s_waitcnt vmcnt(4)
	ds_write_b128 v0, v[2:5]
.LBB116_283:
	s_or_b64 exec, exec, s[4:5]
	s_waitcnt lgkmcnt(0)
	; wave barrier
	s_waitcnt lgkmcnt(0)
	buffer_load_dword v34, off, s[0:3], 0 offset:416
	buffer_load_dword v35, off, s[0:3], 0 offset:420
	;; [unrolled: 1-line block ×32, first 2 shown]
	ds_read_b128 v[30:33], v136 offset:1248
	ds_read_b128 v[26:29], v136 offset:1264
	ds_read_b128 v[22:25], v136 offset:1280
	ds_read_b128 v[18:21], v136 offset:1296
	ds_read_b128 v[10:13], v136 offset:1312
	ds_read_b128 v[6:9], v136 offset:1328
	ds_read_b128 v[2:5], v136 offset:1344
	ds_read_b128 v[14:17], v136 offset:1360
	buffer_load_dword v67, off, s[0:3], 0 offset:556
	buffer_load_dword v66, off, s[0:3], 0 offset:552
	;; [unrolled: 1-line block ×24, first 2 shown]
	v_cmp_lt_u32_e32 vcc, 23, v255
	s_waitcnt vmcnt(52) lgkmcnt(7)
	v_mul_f64 v[0:1], v[30:31], v[38:39]
	v_fmac_f64_e32 v[0:1], v[32:33], v[34:35]
	v_add_f64 v[0:1], v[0:1], 0
	v_mul_f64 v[32:33], v[32:33], v[38:39]
	s_waitcnt vmcnt(48) lgkmcnt(6)
	v_mul_f64 v[90:91], v[26:27], v[40:41]
	v_fmac_f64_e32 v[90:91], v[28:29], v[36:37]
	s_waitcnt vmcnt(46) lgkmcnt(5)
	v_mul_f64 v[92:93], v[22:23], v[42:43]
	v_add_f64 v[0:1], v[0:1], v[90:91]
	s_waitcnt vmcnt(44) lgkmcnt(4)
	v_mul_f64 v[94:95], v[18:19], v[48:49]
	v_fma_f64 v[30:31], v[30:31], v[34:35], -v[32:33]
	s_waitcnt vmcnt(42) lgkmcnt(1)
	v_mul_f64 v[124:125], v[2:3], v[50:51]
	v_mul_f64 v[28:29], v[28:29], v[40:41]
	s_waitcnt vmcnt(18) lgkmcnt(0)
	v_mul_f64 v[140:141], v[14:15], v[70:71]
	v_mul_f64 v[98:99], v[6:7], v[54:55]
	s_waitcnt vmcnt(16)
	v_fmac_f64_e32 v[140:141], v[16:17], v[72:73]
	v_mul_f64 v[96:97], v[10:11], v[56:57]
	v_add_f64 v[30:31], v[30:31], 0
	v_fmac_f64_e32 v[96:97], v[12:13], v[58:59]
	v_fma_f64 v[26:27], v[26:27], v[36:37], -v[28:29]
	v_fmac_f64_e32 v[92:93], v[24:25], v[64:65]
	v_add_f64 v[0:1], v[0:1], v[92:93]
	v_fmac_f64_e32 v[94:95], v[20:21], v[62:63]
	v_add_f64 v[0:1], v[0:1], v[94:95]
	;; [unrolled: 2-line block ×3, first 2 shown]
	v_add_f64 v[126:127], v[0:1], v[98:99]
	buffer_load_dword v91, off, s[0:3], 0 offset:652
	buffer_load_dword v90, off, s[0:3], 0 offset:648
	;; [unrolled: 1-line block ×56, first 2 shown]
	v_fmac_f64_e32 v[124:125], v[4:5], v[52:53]
	v_add_f64 v[138:139], v[126:127], v[124:125]
	ds_read_b128 v[124:127], v136 offset:1376
	buffer_load_dword v227, off, s[0:3], 0 offset:860
	buffer_load_dword v226, off, s[0:3], 0 offset:856
	;; [unrolled: 1-line block ×4, first 2 shown]
	v_add_f64 v[142:143], v[138:139], v[140:141]
	ds_read_b128 v[138:141], v136 offset:1392
	v_mul_f64 v[24:25], v[24:25], v[42:43]
	s_waitcnt lgkmcnt(1)
	v_mul_f64 v[144:145], v[124:125], v[66:67]
	v_fmac_f64_e32 v[144:145], v[126:127], v[68:69]
	v_add_f64 v[146:147], v[142:143], v[144:145]
	ds_read_b128 v[142:145], v136 offset:1408
	s_waitcnt vmcnt(62) lgkmcnt(1)
	v_mul_f64 v[148:149], v[138:139], v[78:79]
	v_fmac_f64_e32 v[148:149], v[140:141], v[80:81]
	v_add_f64 v[150:151], v[146:147], v[148:149]
	ds_read_b128 v[146:149], v136 offset:1424
	s_waitcnt lgkmcnt(1)
	v_mul_f64 v[152:153], v[142:143], v[74:75]
	v_fmac_f64_e32 v[152:153], v[144:145], v[76:77]
	v_add_f64 v[154:155], v[150:151], v[152:153]
	ds_read_b128 v[150:153], v136 offset:1440
	s_waitcnt lgkmcnt(1)
	v_mul_f64 v[156:157], v[146:147], v[86:87]
	s_waitcnt vmcnt(60)
	v_fmac_f64_e32 v[156:157], v[148:149], v[88:89]
	v_add_f64 v[158:159], v[154:155], v[156:157]
	ds_read_b128 v[154:157], v136 offset:1456
	s_waitcnt lgkmcnt(1)
	v_mul_f64 v[160:161], v[150:151], v[82:83]
	v_fmac_f64_e32 v[160:161], v[152:153], v[84:85]
	v_add_f64 v[162:163], v[158:159], v[160:161]
	ds_read_b128 v[158:161], v136 offset:1472
	v_add_f64 v[26:27], v[30:31], v[26:27]
	v_fma_f64 v[22:23], v[22:23], v[64:65], -v[24:25]
	s_waitcnt vmcnt(54) lgkmcnt(1)
	v_mul_f64 v[164:165], v[154:155], v[94:95]
	v_mul_f64 v[20:21], v[20:21], v[48:49]
	s_waitcnt vmcnt(52)
	v_fmac_f64_e32 v[164:165], v[156:157], v[96:97]
	v_add_f64 v[166:167], v[162:163], v[164:165]
	ds_read_b128 v[162:165], v136 offset:1488
	s_waitcnt lgkmcnt(1)
	v_mul_f64 v[168:169], v[158:159], v[90:91]
	v_fmac_f64_e32 v[168:169], v[160:161], v[92:93]
	v_add_f64 v[170:171], v[166:167], v[168:169]
	ds_read_b128 v[166:169], v136 offset:1504
	v_add_f64 v[22:23], v[26:27], v[22:23]
	v_fma_f64 v[18:19], v[18:19], v[62:63], -v[20:21]
	v_mul_f64 v[12:13], v[12:13], v[56:57]
	v_add_f64 v[18:19], v[22:23], v[18:19]
	v_fma_f64 v[10:11], v[10:11], v[58:59], -v[12:13]
	v_mul_f64 v[8:9], v[8:9], v[54:55]
	;; [unrolled: 3-line block ×3, first 2 shown]
	s_waitcnt vmcnt(46) lgkmcnt(1)
	v_mul_f64 v[172:173], v[162:163], v[102:103]
	v_add_f64 v[6:7], v[10:11], v[6:7]
	v_fma_f64 v[2:3], v[2:3], v[52:53], -v[4:5]
	v_mul_f64 v[4:5], v[16:17], v[70:71]
	s_waitcnt vmcnt(44)
	v_fmac_f64_e32 v[172:173], v[164:165], v[104:105]
	v_add_f64 v[2:3], v[6:7], v[2:3]
	v_fma_f64 v[4:5], v[14:15], v[72:73], -v[4:5]
	v_add_f64 v[174:175], v[170:171], v[172:173]
	ds_read_b128 v[170:173], v136 offset:1520
	s_waitcnt lgkmcnt(1)
	v_mul_f64 v[176:177], v[166:167], v[98:99]
	v_add_f64 v[2:3], v[2:3], v[4:5]
	v_mul_f64 v[4:5], v[126:127], v[66:67]
	v_fmac_f64_e32 v[176:177], v[168:169], v[100:101]
	v_fma_f64 v[4:5], v[124:125], v[68:69], -v[4:5]
	v_add_f64 v[178:179], v[174:175], v[176:177]
	ds_read_b128 v[174:177], v136 offset:1536
	v_add_f64 v[2:3], v[2:3], v[4:5]
	v_mul_f64 v[4:5], v[140:141], v[78:79]
	v_fma_f64 v[4:5], v[138:139], v[80:81], -v[4:5]
	v_add_f64 v[2:3], v[2:3], v[4:5]
	v_mul_f64 v[4:5], v[144:145], v[74:75]
	s_waitcnt vmcnt(38) lgkmcnt(1)
	v_mul_f64 v[180:181], v[170:171], v[110:111]
	v_fma_f64 v[4:5], v[142:143], v[76:77], -v[4:5]
	s_waitcnt vmcnt(36)
	v_fmac_f64_e32 v[180:181], v[172:173], v[112:113]
	v_add_f64 v[2:3], v[2:3], v[4:5]
	v_mul_f64 v[4:5], v[148:149], v[86:87]
	v_add_f64 v[182:183], v[178:179], v[180:181]
	ds_read_b128 v[178:181], v136 offset:1552
	s_waitcnt lgkmcnt(1)
	v_mul_f64 v[184:185], v[174:175], v[106:107]
	v_fma_f64 v[4:5], v[146:147], v[88:89], -v[4:5]
	v_fmac_f64_e32 v[184:185], v[176:177], v[108:109]
	v_add_f64 v[2:3], v[2:3], v[4:5]
	v_mul_f64 v[4:5], v[152:153], v[82:83]
	v_add_f64 v[186:187], v[182:183], v[184:185]
	ds_read_b128 v[182:185], v136 offset:1568
	v_fma_f64 v[4:5], v[150:151], v[84:85], -v[4:5]
	v_add_f64 v[2:3], v[2:3], v[4:5]
	v_mul_f64 v[4:5], v[156:157], v[94:95]
	v_fma_f64 v[4:5], v[154:155], v[96:97], -v[4:5]
	s_waitcnt vmcnt(30) lgkmcnt(1)
	v_mul_f64 v[188:189], v[178:179], v[120:121]
	v_add_f64 v[2:3], v[2:3], v[4:5]
	v_mul_f64 v[4:5], v[160:161], v[90:91]
	s_waitcnt vmcnt(28)
	v_fmac_f64_e32 v[188:189], v[180:181], v[122:123]
	v_fma_f64 v[4:5], v[158:159], v[92:93], -v[4:5]
	v_add_f64 v[190:191], v[186:187], v[188:189]
	ds_read_b128 v[186:189], v136 offset:1584
	s_waitcnt lgkmcnt(1)
	v_mul_f64 v[192:193], v[182:183], v[114:115]
	v_add_f64 v[2:3], v[2:3], v[4:5]
	v_mul_f64 v[4:5], v[164:165], v[102:103]
	v_fmac_f64_e32 v[192:193], v[184:185], v[116:117]
	v_fma_f64 v[4:5], v[162:163], v[104:105], -v[4:5]
	v_add_f64 v[194:195], v[190:191], v[192:193]
	ds_read_b128 v[190:193], v136 offset:1600
	v_add_f64 v[2:3], v[2:3], v[4:5]
	v_mul_f64 v[4:5], v[168:169], v[98:99]
	v_fma_f64 v[4:5], v[166:167], v[100:101], -v[4:5]
	v_add_f64 v[2:3], v[2:3], v[4:5]
	v_mul_f64 v[4:5], v[172:173], v[110:111]
	s_waitcnt vmcnt(22) lgkmcnt(1)
	v_mul_f64 v[196:197], v[186:187], v[132:133]
	v_fma_f64 v[4:5], v[170:171], v[112:113], -v[4:5]
	s_waitcnt vmcnt(20)
	v_fmac_f64_e32 v[196:197], v[188:189], v[134:135]
	v_add_f64 v[2:3], v[2:3], v[4:5]
	v_mul_f64 v[4:5], v[176:177], v[106:107]
	v_add_f64 v[198:199], v[194:195], v[196:197]
	ds_read_b128 v[194:197], v136 offset:1616
	s_waitcnt lgkmcnt(1)
	v_mul_f64 v[200:201], v[190:191], v[128:129]
	v_fma_f64 v[4:5], v[174:175], v[108:109], -v[4:5]
	v_fmac_f64_e32 v[200:201], v[192:193], v[130:131]
	v_add_f64 v[2:3], v[2:3], v[4:5]
	v_mul_f64 v[4:5], v[180:181], v[120:121]
	v_add_f64 v[202:203], v[198:199], v[200:201]
	ds_read_b128 v[198:201], v136 offset:1632
	v_fma_f64 v[4:5], v[178:179], v[122:123], -v[4:5]
	v_add_f64 v[2:3], v[2:3], v[4:5]
	v_mul_f64 v[4:5], v[184:185], v[114:115]
	v_fma_f64 v[4:5], v[182:183], v[116:117], -v[4:5]
	s_waitcnt vmcnt(14) lgkmcnt(1)
	v_mul_f64 v[204:205], v[194:195], v[214:215]
	v_add_f64 v[2:3], v[2:3], v[4:5]
	v_mul_f64 v[4:5], v[188:189], v[132:133]
	s_waitcnt vmcnt(12)
	v_fmac_f64_e32 v[204:205], v[196:197], v[216:217]
	v_fma_f64 v[4:5], v[186:187], v[134:135], -v[4:5]
	v_add_f64 v[206:207], v[202:203], v[204:205]
	ds_read_b128 v[202:205], v136 offset:1648
	s_waitcnt lgkmcnt(1)
	v_mul_f64 v[208:209], v[198:199], v[0:1]
	v_add_f64 v[2:3], v[2:3], v[4:5]
	v_mul_f64 v[4:5], v[192:193], v[128:129]
	v_fmac_f64_e32 v[208:209], v[200:201], v[118:119]
	v_fma_f64 v[4:5], v[190:191], v[130:131], -v[4:5]
	v_add_f64 v[230:231], v[206:207], v[208:209]
	ds_read_b128 v[206:209], v136 offset:1664
	v_add_f64 v[2:3], v[2:3], v[4:5]
	v_mul_f64 v[4:5], v[196:197], v[214:215]
	v_fma_f64 v[4:5], v[194:195], v[216:217], -v[4:5]
	v_mul_f64 v[0:1], v[200:201], v[0:1]
	ds_read_b128 v[210:213], v136 offset:1680
	v_add_f64 v[2:3], v[2:3], v[4:5]
	v_fma_f64 v[0:1], v[198:199], v[118:119], -v[0:1]
	v_add_f64 v[0:1], v[2:3], v[0:1]
	s_waitcnt vmcnt(6) lgkmcnt(2)
	v_mul_f64 v[2:3], v[204:205], v[222:223]
	v_mul_f64 v[232:233], v[202:203], v[222:223]
	s_waitcnt vmcnt(4)
	v_fma_f64 v[2:3], v[202:203], v[224:225], -v[2:3]
	v_fmac_f64_e32 v[232:233], v[204:205], v[224:225]
	v_add_f64 v[0:1], v[0:1], v[2:3]
	s_waitcnt lgkmcnt(1)
	v_mul_f64 v[2:3], v[208:209], v[218:219]
	v_add_f64 v[136:137], v[230:231], v[232:233]
	v_mul_f64 v[230:231], v[206:207], v[218:219]
	v_fma_f64 v[2:3], v[206:207], v[220:221], -v[2:3]
	v_fmac_f64_e32 v[230:231], v[208:209], v[220:221]
	v_add_f64 v[0:1], v[0:1], v[2:3]
	s_waitcnt vmcnt(2) lgkmcnt(0)
	v_mul_f64 v[2:3], v[212:213], v[226:227]
	v_add_f64 v[136:137], v[136:137], v[230:231]
	v_mul_f64 v[230:231], v[210:211], v[226:227]
	s_waitcnt vmcnt(0)
	v_fma_f64 v[2:3], v[210:211], v[228:229], -v[2:3]
	v_fmac_f64_e32 v[230:231], v[212:213], v[228:229]
	v_add_f64 v[0:1], v[0:1], v[2:3]
	v_add_f64 v[136:137], v[136:137], v[230:231]
	v_add_f64 v[0:1], v[46:47], -v[0:1]
	v_add_f64 v[2:3], v[44:45], -v[136:137]
	buffer_store_dword v1, off, s[0:3], 0 offset:404
	buffer_store_dword v0, off, s[0:3], 0 offset:400
	;; [unrolled: 1-line block ×4, first 2 shown]
	s_and_saveexec_b64 s[4:5], vcc
	s_cbranch_execz .LBB116_285
; %bb.284:
	v_accvgpr_read_b32 v0, a135
	buffer_load_dword v2, v0, s[0:3], 0 offen
	buffer_load_dword v3, v0, s[0:3], 0 offen offset:4
	buffer_load_dword v4, v0, s[0:3], 0 offen offset:8
	;; [unrolled: 1-line block ×3, first 2 shown]
	v_mov_b32_e32 v0, 0
	v_accvgpr_read_b32 v1, a159
	buffer_store_dword v0, off, s[0:3], 0 offset:384
	buffer_store_dword v0, off, s[0:3], 0 offset:388
	;; [unrolled: 1-line block ×4, first 2 shown]
	s_waitcnt vmcnt(4)
	ds_write_b128 v1, v[2:5]
.LBB116_285:
	s_or_b64 exec, exec, s[4:5]
	s_waitcnt lgkmcnt(0)
	; wave barrier
	s_waitcnt lgkmcnt(0)
	buffer_load_dword v38, off, s[0:3], 0 offset:400
	buffer_load_dword v39, off, s[0:3], 0 offset:404
	;; [unrolled: 1-line block ×48, first 2 shown]
	v_mov_b32_e32 v152, 0
	ds_read_b128 v[34:37], v152 offset:1232
	ds_read_b128 v[30:33], v152 offset:1248
	ds_read_b128 v[26:29], v152 offset:1264
	ds_read_b128 v[22:25], v152 offset:1280
	ds_read_b128 v[18:21], v152 offset:1296
	ds_read_b128 v[14:17], v152 offset:1312
	ds_read_b128 v[10:13], v152 offset:1328
	ds_read_b128 v[6:9], v152 offset:1344
	ds_read_b128 v[2:5], v152 offset:1360
	v_cmp_lt_u32_e32 vcc, 22, v255
	s_waitcnt vmcnt(44) lgkmcnt(8)
	v_mul_f64 v[0:1], v[34:35], v[42:43]
	v_fmac_f64_e32 v[0:1], v[36:37], v[38:39]
	v_add_f64 v[0:1], v[0:1], 0
	v_mul_f64 v[36:37], v[36:37], v[42:43]
	s_waitcnt vmcnt(40) lgkmcnt(7)
	v_mul_f64 v[86:87], v[30:31], v[44:45]
	v_fmac_f64_e32 v[86:87], v[32:33], v[40:41]
	s_waitcnt vmcnt(38) lgkmcnt(6)
	v_mul_f64 v[88:89], v[26:27], v[46:47]
	v_add_f64 v[0:1], v[0:1], v[86:87]
	s_waitcnt vmcnt(36) lgkmcnt(4)
	v_mul_f64 v[92:93], v[18:19], v[48:49]
	v_fma_f64 v[34:35], v[34:35], v[38:39], -v[36:37]
	s_waitcnt vmcnt(34)
	v_fmac_f64_e32 v[92:93], v[20:21], v[50:51]
	v_mul_f64 v[32:33], v[32:33], v[44:45]
	s_waitcnt vmcnt(32)
	v_mul_f64 v[90:91], v[22:23], v[52:53]
	v_add_f64 v[34:35], v[34:35], 0
	s_waitcnt vmcnt(30) lgkmcnt(2)
	v_mul_f64 v[96:97], v[10:11], v[54:55]
	v_fma_f64 v[30:31], v[30:31], v[40:41], -v[32:33]
	s_waitcnt vmcnt(28)
	v_fmac_f64_e32 v[96:97], v[12:13], v[56:57]
	v_add_f64 v[30:31], v[34:35], v[30:31]
	s_waitcnt vmcnt(26)
	v_mul_f64 v[94:95], v[14:15], v[58:59]
	v_mul_f64 v[20:21], v[20:21], v[48:49]
	v_fma_f64 v[18:19], v[18:19], v[50:51], -v[20:21]
	v_mul_f64 v[12:13], v[12:13], v[54:55]
	s_waitcnt vmcnt(22) lgkmcnt(1)
	v_mul_f64 v[110:111], v[6:7], v[68:69]
	v_fma_f64 v[10:11], v[10:11], v[56:57], -v[12:13]
	s_waitcnt vmcnt(20)
	v_fmac_f64_e32 v[88:89], v[28:29], v[76:77]
	v_add_f64 v[0:1], v[0:1], v[88:89]
	s_waitcnt vmcnt(18)
	v_fmac_f64_e32 v[90:91], v[24:25], v[74:75]
	v_add_f64 v[0:1], v[0:1], v[90:91]
	;; [unrolled: 3-line block ×3, first 2 shown]
	v_add_f64 v[0:1], v[0:1], v[94:95]
	v_add_f64 v[112:113], v[0:1], v[96:97]
	buffer_load_dword v87, off, s[0:3], 0 offset:604
	buffer_load_dword v86, off, s[0:3], 0 offset:600
	;; [unrolled: 1-line block ×72, first 2 shown]
	s_waitcnt vmcnt(62)
	v_fmac_f64_e32 v[110:111], v[8:9], v[70:71]
	v_add_f64 v[144:145], v[112:113], v[110:111]
	ds_read_b128 v[110:113], v152 offset:1376
	s_waitcnt lgkmcnt(1)
	v_mul_f64 v[146:147], v[2:3], v[64:65]
	v_fmac_f64_e32 v[146:147], v[4:5], v[66:67]
	v_add_f64 v[148:149], v[144:145], v[146:147]
	ds_read_b128 v[144:147], v152 offset:1392
	s_waitcnt lgkmcnt(1)
	v_mul_f64 v[150:151], v[110:111], v[82:83]
	;; [unrolled: 5-line block ×5, first 2 shown]
	v_fmac_f64_e32 v[164:165], v[156:157], v[88:89]
	v_add_f64 v[166:167], v[162:163], v[164:165]
	ds_read_b128 v[162:165], v152 offset:1456
	s_waitcnt vmcnt(58) lgkmcnt(1)
	v_mul_f64 v[168:169], v[158:159], v[98:99]
	s_waitcnt vmcnt(56)
	v_fmac_f64_e32 v[168:169], v[160:161], v[100:101]
	v_add_f64 v[170:171], v[166:167], v[168:169]
	ds_read_b128 v[166:169], v152 offset:1472
	s_waitcnt lgkmcnt(1)
	v_mul_f64 v[172:173], v[162:163], v[94:95]
	v_fmac_f64_e32 v[172:173], v[164:165], v[96:97]
	v_add_f64 v[174:175], v[170:171], v[172:173]
	ds_read_b128 v[170:173], v152 offset:1488
	s_waitcnt vmcnt(50) lgkmcnt(1)
	v_mul_f64 v[176:177], v[166:167], v[106:107]
	v_mul_f64 v[28:29], v[28:29], v[46:47]
	s_waitcnt vmcnt(48)
	v_fmac_f64_e32 v[176:177], v[168:169], v[108:109]
	v_fma_f64 v[26:27], v[26:27], v[76:77], -v[28:29]
	v_mul_f64 v[24:25], v[24:25], v[52:53]
	v_add_f64 v[178:179], v[174:175], v[176:177]
	ds_read_b128 v[174:177], v152 offset:1504
	v_add_f64 v[26:27], v[30:31], v[26:27]
	v_fma_f64 v[22:23], v[22:23], v[74:75], -v[24:25]
	v_add_f64 v[22:23], v[26:27], v[22:23]
	v_mul_f64 v[16:17], v[16:17], v[58:59]
	v_add_f64 v[18:19], v[22:23], v[18:19]
	v_fma_f64 v[14:15], v[14:15], v[72:73], -v[16:17]
	s_waitcnt lgkmcnt(1)
	v_mul_f64 v[180:181], v[170:171], v[102:103]
	v_add_f64 v[14:15], v[18:19], v[14:15]
	v_mul_f64 v[8:9], v[8:9], v[68:69]
	v_fmac_f64_e32 v[180:181], v[172:173], v[104:105]
	v_add_f64 v[10:11], v[14:15], v[10:11]
	v_fma_f64 v[6:7], v[6:7], v[70:71], -v[8:9]
	v_mul_f64 v[4:5], v[4:5], v[64:65]
	v_add_f64 v[182:183], v[178:179], v[180:181]
	ds_read_b128 v[178:181], v152 offset:1520
	s_waitcnt vmcnt(42) lgkmcnt(1)
	v_mul_f64 v[184:185], v[174:175], v[120:121]
	v_add_f64 v[6:7], v[10:11], v[6:7]
	v_fma_f64 v[2:3], v[2:3], v[66:67], -v[4:5]
	v_mul_f64 v[4:5], v[112:113], v[82:83]
	s_waitcnt vmcnt(40)
	v_fmac_f64_e32 v[184:185], v[176:177], v[122:123]
	v_add_f64 v[2:3], v[6:7], v[2:3]
	v_fma_f64 v[4:5], v[110:111], v[84:85], -v[4:5]
	v_add_f64 v[186:187], v[182:183], v[184:185]
	ds_read_b128 v[182:185], v152 offset:1536
	v_add_f64 v[2:3], v[2:3], v[4:5]
	v_mul_f64 v[4:5], v[146:147], v[78:79]
	v_fma_f64 v[4:5], v[144:145], v[80:81], -v[4:5]
	v_add_f64 v[2:3], v[2:3], v[4:5]
	v_mul_f64 v[4:5], v[150:151], v[90:91]
	s_waitcnt lgkmcnt(1)
	v_mul_f64 v[188:189], v[178:179], v[114:115]
	v_fma_f64 v[4:5], v[148:149], v[92:93], -v[4:5]
	v_fmac_f64_e32 v[188:189], v[180:181], v[116:117]
	v_add_f64 v[2:3], v[2:3], v[4:5]
	v_mul_f64 v[4:5], v[156:157], v[86:87]
	v_add_f64 v[190:191], v[186:187], v[188:189]
	ds_read_b128 v[186:189], v152 offset:1552
	s_waitcnt vmcnt(34) lgkmcnt(1)
	v_mul_f64 v[192:193], v[182:183], v[128:129]
	v_fma_f64 v[4:5], v[154:155], v[88:89], -v[4:5]
	s_waitcnt vmcnt(32)
	v_fmac_f64_e32 v[192:193], v[184:185], v[130:131]
	v_add_f64 v[2:3], v[2:3], v[4:5]
	v_mul_f64 v[4:5], v[160:161], v[98:99]
	v_add_f64 v[194:195], v[190:191], v[192:193]
	ds_read_b128 v[190:193], v152 offset:1568
	v_fma_f64 v[4:5], v[158:159], v[100:101], -v[4:5]
	v_add_f64 v[2:3], v[2:3], v[4:5]
	v_mul_f64 v[4:5], v[164:165], v[94:95]
	v_fma_f64 v[4:5], v[162:163], v[96:97], -v[4:5]
	s_waitcnt lgkmcnt(1)
	v_mul_f64 v[196:197], v[186:187], v[124:125]
	v_add_f64 v[2:3], v[2:3], v[4:5]
	v_mul_f64 v[4:5], v[168:169], v[106:107]
	v_fmac_f64_e32 v[196:197], v[188:189], v[126:127]
	v_fma_f64 v[4:5], v[166:167], v[108:109], -v[4:5]
	v_add_f64 v[198:199], v[194:195], v[196:197]
	ds_read_b128 v[194:197], v152 offset:1584
	s_waitcnt vmcnt(26) lgkmcnt(1)
	v_mul_f64 v[200:201], v[190:191], v[136:137]
	v_add_f64 v[2:3], v[2:3], v[4:5]
	v_mul_f64 v[4:5], v[172:173], v[102:103]
	s_waitcnt vmcnt(24)
	v_fmac_f64_e32 v[200:201], v[192:193], v[138:139]
	v_fma_f64 v[4:5], v[170:171], v[104:105], -v[4:5]
	v_add_f64 v[202:203], v[198:199], v[200:201]
	ds_read_b128 v[198:201], v152 offset:1600
	v_add_f64 v[2:3], v[2:3], v[4:5]
	v_mul_f64 v[4:5], v[176:177], v[120:121]
	v_fma_f64 v[4:5], v[174:175], v[122:123], -v[4:5]
	v_add_f64 v[2:3], v[2:3], v[4:5]
	v_mul_f64 v[4:5], v[180:181], v[114:115]
	s_waitcnt lgkmcnt(1)
	v_mul_f64 v[204:205], v[194:195], v[132:133]
	v_fma_f64 v[4:5], v[178:179], v[116:117], -v[4:5]
	v_fmac_f64_e32 v[204:205], v[196:197], v[134:135]
	v_add_f64 v[2:3], v[2:3], v[4:5]
	v_mul_f64 v[4:5], v[184:185], v[128:129]
	v_add_f64 v[206:207], v[202:203], v[204:205]
	ds_read_b128 v[202:205], v152 offset:1616
	s_waitcnt vmcnt(18) lgkmcnt(1)
	v_mul_f64 v[208:209], v[198:199], v[0:1]
	v_fma_f64 v[4:5], v[182:183], v[130:131], -v[4:5]
	s_waitcnt vmcnt(16)
	v_fmac_f64_e32 v[208:209], v[200:201], v[118:119]
	v_add_f64 v[2:3], v[2:3], v[4:5]
	v_mul_f64 v[4:5], v[188:189], v[124:125]
	v_add_f64 v[210:211], v[206:207], v[208:209]
	ds_read_b128 v[206:209], v152 offset:1632
	v_fma_f64 v[4:5], v[186:187], v[126:127], -v[4:5]
	v_add_f64 v[2:3], v[2:3], v[4:5]
	v_mul_f64 v[4:5], v[192:193], v[136:137]
	v_fma_f64 v[4:5], v[190:191], v[138:139], -v[4:5]
	s_waitcnt lgkmcnt(1)
	v_mul_f64 v[212:213], v[202:203], v[140:141]
	v_add_f64 v[2:3], v[2:3], v[4:5]
	v_mul_f64 v[4:5], v[196:197], v[132:133]
	v_fmac_f64_e32 v[212:213], v[204:205], v[142:143]
	v_fma_f64 v[4:5], v[194:195], v[134:135], -v[4:5]
	v_mul_f64 v[0:1], v[200:201], v[0:1]
	v_add_f64 v[224:225], v[210:211], v[212:213]
	ds_read_b128 v[210:213], v152 offset:1648
	s_waitcnt vmcnt(10) lgkmcnt(1)
	v_mul_f64 v[226:227], v[206:207], v[218:219]
	v_add_f64 v[2:3], v[2:3], v[4:5]
	v_fma_f64 v[0:1], v[198:199], v[118:119], -v[0:1]
	s_waitcnt vmcnt(8)
	v_fmac_f64_e32 v[226:227], v[208:209], v[220:221]
	v_add_f64 v[0:1], v[2:3], v[0:1]
	v_mul_f64 v[2:3], v[204:205], v[140:141]
	v_add_f64 v[238:239], v[224:225], v[226:227]
	ds_read_b128 v[224:227], v152 offset:1664
	ds_read_b128 v[228:231], v152 offset:1680
	v_fma_f64 v[2:3], v[202:203], v[142:143], -v[2:3]
	v_add_f64 v[0:1], v[0:1], v[2:3]
	v_mul_f64 v[2:3], v[208:209], v[218:219]
	v_fma_f64 v[2:3], v[206:207], v[220:221], -v[2:3]
	v_add_f64 v[0:1], v[0:1], v[2:3]
	s_waitcnt lgkmcnt(2)
	v_mul_f64 v[2:3], v[212:213], v[214:215]
	v_mul_f64 v[240:241], v[210:211], v[214:215]
	v_fma_f64 v[2:3], v[210:211], v[216:217], -v[2:3]
	v_fmac_f64_e32 v[240:241], v[212:213], v[216:217]
	v_add_f64 v[0:1], v[0:1], v[2:3]
	s_waitcnt vmcnt(2) lgkmcnt(1)
	v_mul_f64 v[2:3], v[226:227], v[234:235]
	v_add_f64 v[238:239], v[238:239], v[240:241]
	v_mul_f64 v[240:241], v[224:225], v[234:235]
	s_waitcnt vmcnt(0)
	v_fma_f64 v[2:3], v[224:225], v[236:237], -v[2:3]
	v_fmac_f64_e32 v[240:241], v[226:227], v[236:237]
	v_add_f64 v[0:1], v[0:1], v[2:3]
	s_waitcnt lgkmcnt(0)
	v_mul_f64 v[2:3], v[230:231], v[222:223]
	v_add_f64 v[238:239], v[238:239], v[240:241]
	v_mul_f64 v[240:241], v[228:229], v[222:223]
	v_fma_f64 v[2:3], v[228:229], v[232:233], -v[2:3]
	v_fmac_f64_e32 v[240:241], v[230:231], v[232:233]
	v_add_f64 v[0:1], v[0:1], v[2:3]
	v_add_f64 v[238:239], v[238:239], v[240:241]
	v_add_f64 v[0:1], v[62:63], -v[0:1]
	v_add_f64 v[2:3], v[60:61], -v[238:239]
	buffer_store_dword v1, off, s[0:3], 0 offset:388
	buffer_store_dword v0, off, s[0:3], 0 offset:384
	;; [unrolled: 1-line block ×4, first 2 shown]
	s_and_saveexec_b64 s[4:5], vcc
	s_cbranch_execz .LBB116_287
; %bb.286:
	v_accvgpr_read_b32 v0, a136
	buffer_load_dword v2, v0, s[0:3], 0 offen
	buffer_load_dword v3, v0, s[0:3], 0 offen offset:4
	buffer_load_dword v4, v0, s[0:3], 0 offen offset:8
	;; [unrolled: 1-line block ×3, first 2 shown]
	v_accvgpr_read_b32 v0, a159
	buffer_store_dword v152, off, s[0:3], 0 offset:368
	buffer_store_dword v152, off, s[0:3], 0 offset:372
	;; [unrolled: 1-line block ×4, first 2 shown]
	s_waitcnt vmcnt(4)
	ds_write_b128 v0, v[2:5]
.LBB116_287:
	s_or_b64 exec, exec, s[4:5]
	s_waitcnt lgkmcnt(0)
	; wave barrier
	s_waitcnt lgkmcnt(0)
	buffer_load_dword v48, off, s[0:3], 0 offset:384
	buffer_load_dword v49, off, s[0:3], 0 offset:388
	buffer_load_dword v50, off, s[0:3], 0 offset:392
	buffer_load_dword v51, off, s[0:3], 0 offset:396
	buffer_load_dword v42, off, s[0:3], 0 offset:400
	buffer_load_dword v43, off, s[0:3], 0 offset:404
	buffer_load_dword v44, off, s[0:3], 0 offset:408
	buffer_load_dword v45, off, s[0:3], 0 offset:412
	buffer_load_dword v46, off, s[0:3], 0 offset:424
	buffer_load_dword v47, off, s[0:3], 0 offset:428
	buffer_load_dword v53, off, s[0:3], 0 offset:460
	buffer_load_dword v52, off, s[0:3], 0 offset:456
	buffer_load_dword v55, off, s[0:3], 0 offset:452
	buffer_load_dword v54, off, s[0:3], 0 offset:448
	buffer_load_dword v57, off, s[0:3], 0 offset:444
	buffer_load_dword v56, off, s[0:3], 0 offset:440
	buffer_load_dword v63, off, s[0:3], 0 offset:476
	buffer_load_dword v62, off, s[0:3], 0 offset:472
	buffer_load_dword v65, off, s[0:3], 0 offset:524
	buffer_load_dword v64, off, s[0:3], 0 offset:520
	buffer_load_dword v67, off, s[0:3], 0 offset:516
	buffer_load_dword v69, off, s[0:3], 0 offset:508
	buffer_load_dword v68, off, s[0:3], 0 offset:504
	buffer_load_dword v71, off, s[0:3], 0 offset:492
	buffer_load_dword v70, off, s[0:3], 0 offset:488
	buffer_load_dword v73, off, s[0:3], 0 offset:484
	buffer_load_dword v72, off, s[0:3], 0 offset:480
	buffer_load_dword v80, off, s[0:3], 0 offset:416
	buffer_load_dword v81, off, s[0:3], 0 offset:420
	buffer_load_dword v79, off, s[0:3], 0 offset:436
	buffer_load_dword v78, off, s[0:3], 0 offset:432
	buffer_load_dword v77, off, s[0:3], 0 offset:468
	buffer_load_dword v76, off, s[0:3], 0 offset:464
	buffer_load_dword v75, off, s[0:3], 0 offset:500
	buffer_load_dword v74, off, s[0:3], 0 offset:496
	buffer_load_dword v66, off, s[0:3], 0 offset:512
	buffer_load_dword v60, off, s[0:3], 0 offset:368
	buffer_load_dword v61, off, s[0:3], 0 offset:372
	buffer_load_dword v58, off, s[0:3], 0 offset:376
	buffer_load_dword v59, off, s[0:3], 0 offset:380
	ds_read_b128 v[38:41], v152 offset:1216
	ds_read_b128 v[34:37], v152 offset:1232
	;; [unrolled: 1-line block ×10, first 2 shown]
	buffer_load_dword v83, off, s[0:3], 0 offset:556
	buffer_load_dword v82, off, s[0:3], 0 offset:552
	;; [unrolled: 1-line block ×8, first 2 shown]
	v_cmp_lt_u32_e32 vcc, 21, v255
	s_waitcnt vmcnt(44) lgkmcnt(9)
	v_mul_f64 v[0:1], v[38:39], v[50:51]
	v_fmac_f64_e32 v[0:1], v[40:41], v[48:49]
	v_add_f64 v[0:1], v[0:1], 0
	v_mul_f64 v[40:41], v[40:41], v[50:51]
	s_waitcnt vmcnt(40) lgkmcnt(8)
	v_mul_f64 v[90:91], v[34:35], v[44:45]
	v_fmac_f64_e32 v[90:91], v[36:37], v[42:43]
	s_waitcnt vmcnt(38) lgkmcnt(7)
	v_mul_f64 v[92:93], v[30:31], v[46:47]
	v_add_f64 v[0:1], v[0:1], v[90:91]
	s_waitcnt vmcnt(36) lgkmcnt(5)
	v_mul_f64 v[96:97], v[22:23], v[52:53]
	v_mul_f64 v[36:37], v[36:37], v[44:45]
	s_waitcnt vmcnt(34)
	v_fmac_f64_e32 v[96:97], v[24:25], v[54:55]
	v_fma_f64 v[34:35], v[34:35], v[42:43], -v[36:37]
	s_waitcnt vmcnt(32)
	v_mul_f64 v[94:95], v[26:27], v[56:57]
	v_mul_f64 v[24:25], v[24:25], v[52:53]
	s_waitcnt vmcnt(30) lgkmcnt(4)
	v_mul_f64 v[98:99], v[18:19], v[62:63]
	v_fma_f64 v[22:23], v[22:23], v[54:55], -v[24:25]
	s_waitcnt vmcnt(28) lgkmcnt(1)
	v_mul_f64 v[124:125], v[2:3], v[64:65]
	s_waitcnt vmcnt(25)
	v_mul_f64 v[102:103], v[6:7], v[68:69]
	s_waitcnt vmcnt(23)
	;; [unrolled: 2-line block ×3, first 2 shown]
	v_fmac_f64_e32 v[100:101], v[12:13], v[72:73]
	v_mul_f64 v[12:13], v[12:13], v[70:71]
	s_waitcnt vmcnt(19)
	v_fmac_f64_e32 v[92:93], v[32:33], v[80:81]
	v_add_f64 v[0:1], v[0:1], v[92:93]
	s_waitcnt vmcnt(17)
	v_fmac_f64_e32 v[94:95], v[28:29], v[78:79]
	v_add_f64 v[0:1], v[0:1], v[94:95]
	;; [unrolled: 3-line block ×3, first 2 shown]
	v_add_f64 v[0:1], v[0:1], v[98:99]
	s_waitcnt vmcnt(13)
	v_fmac_f64_e32 v[102:103], v[8:9], v[74:75]
	v_add_f64 v[0:1], v[0:1], v[100:101]
	v_add_f64 v[126:127], v[0:1], v[102:103]
	buffer_load_dword v91, off, s[0:3], 0 offset:588
	buffer_load_dword v90, off, s[0:3], 0 offset:584
	;; [unrolled: 1-line block ×72, first 2 shown]
	s_waitcnt vmcnt(62)
	v_fmac_f64_e32 v[124:125], v[4:5], v[66:67]
	v_add_f64 v[154:155], v[126:127], v[124:125]
	ds_read_b128 v[124:127], v152 offset:1376
	buffer_load_dword v235, off, s[0:3], 0 offset:860
	buffer_load_dword v234, off, s[0:3], 0 offset:856
	;; [unrolled: 1-line block ×4, first 2 shown]
	s_waitcnt lgkmcnt(1)
	v_mul_f64 v[156:157], v[14:15], v[86:87]
	v_fmac_f64_e32 v[156:157], v[16:17], v[88:89]
	v_add_f64 v[158:159], v[154:155], v[156:157]
	ds_read_b128 v[154:157], v152 offset:1392
	s_waitcnt lgkmcnt(1)
	v_mul_f64 v[160:161], v[124:125], v[82:83]
	v_fmac_f64_e32 v[160:161], v[126:127], v[84:85]
	v_add_f64 v[162:163], v[158:159], v[160:161]
	ds_read_b128 v[158:161], v152 offset:1408
	v_mul_f64 v[32:33], v[32:33], v[46:47]
	s_waitcnt lgkmcnt(1)
	v_mul_f64 v[164:165], v[154:155], v[94:95]
	v_fma_f64 v[30:31], v[30:31], v[80:81], -v[32:33]
	v_fmac_f64_e32 v[164:165], v[156:157], v[96:97]
	v_add_f64 v[166:167], v[162:163], v[164:165]
	ds_read_b128 v[162:165], v152 offset:1424
	s_waitcnt lgkmcnt(1)
	v_mul_f64 v[168:169], v[158:159], v[90:91]
	v_fmac_f64_e32 v[168:169], v[160:161], v[92:93]
	v_add_f64 v[170:171], v[166:167], v[168:169]
	ds_read_b128 v[166:169], v152 offset:1440
	s_waitcnt vmcnt(62) lgkmcnt(1)
	v_mul_f64 v[172:173], v[162:163], v[102:103]
	s_waitcnt vmcnt(60)
	v_fmac_f64_e32 v[172:173], v[164:165], v[104:105]
	v_add_f64 v[174:175], v[170:171], v[172:173]
	ds_read_b128 v[170:173], v152 offset:1456
	s_waitcnt lgkmcnt(1)
	v_mul_f64 v[176:177], v[166:167], v[98:99]
	v_fmac_f64_e32 v[176:177], v[168:169], v[100:101]
	v_add_f64 v[178:179], v[174:175], v[176:177]
	ds_read_b128 v[174:177], v152 offset:1472
	s_waitcnt vmcnt(54) lgkmcnt(1)
	v_mul_f64 v[180:181], v[170:171], v[110:111]
	s_waitcnt vmcnt(52)
	v_fmac_f64_e32 v[180:181], v[172:173], v[112:113]
	v_add_f64 v[182:183], v[178:179], v[180:181]
	ds_read_b128 v[178:181], v152 offset:1488
	s_waitcnt lgkmcnt(1)
	v_mul_f64 v[184:185], v[174:175], v[106:107]
	v_fmac_f64_e32 v[184:185], v[176:177], v[108:109]
	v_add_f64 v[186:187], v[182:183], v[184:185]
	ds_read_b128 v[182:185], v152 offset:1504
	s_waitcnt vmcnt(46) lgkmcnt(1)
	v_mul_f64 v[188:189], v[178:179], v[120:121]
	s_waitcnt vmcnt(44)
	v_fmac_f64_e32 v[188:189], v[180:181], v[122:123]
	v_add_f64 v[190:191], v[186:187], v[188:189]
	ds_read_b128 v[186:189], v152 offset:1520
	s_waitcnt lgkmcnt(1)
	v_mul_f64 v[192:193], v[182:183], v[114:115]
	v_fmac_f64_e32 v[192:193], v[184:185], v[116:117]
	v_add_f64 v[194:195], v[190:191], v[192:193]
	ds_read_b128 v[190:193], v152 offset:1536
	s_waitcnt vmcnt(38) lgkmcnt(1)
	v_mul_f64 v[196:197], v[186:187], v[132:133]
	s_waitcnt vmcnt(36)
	v_fmac_f64_e32 v[196:197], v[188:189], v[134:135]
	v_add_f64 v[198:199], v[194:195], v[196:197]
	ds_read_b128 v[194:197], v152 offset:1552
	s_waitcnt lgkmcnt(1)
	v_mul_f64 v[200:201], v[190:191], v[128:129]
	v_fmac_f64_e32 v[200:201], v[192:193], v[130:131]
	v_add_f64 v[202:203], v[198:199], v[200:201]
	ds_read_b128 v[198:201], v152 offset:1568
	s_waitcnt vmcnt(30) lgkmcnt(1)
	v_mul_f64 v[204:205], v[194:195], v[140:141]
	s_waitcnt vmcnt(28)
	v_fmac_f64_e32 v[204:205], v[196:197], v[142:143]
	v_add_f64 v[206:207], v[202:203], v[204:205]
	ds_read_b128 v[202:205], v152 offset:1584
	s_waitcnt lgkmcnt(1)
	v_mul_f64 v[208:209], v[198:199], v[136:137]
	v_fmac_f64_e32 v[208:209], v[200:201], v[138:139]
	v_add_f64 v[210:211], v[206:207], v[208:209]
	ds_read_b128 v[206:209], v152 offset:1600
	s_waitcnt vmcnt(22) lgkmcnt(1)
	v_mul_f64 v[212:213], v[202:203], v[148:149]
	s_waitcnt vmcnt(20)
	v_fmac_f64_e32 v[212:213], v[204:205], v[150:151]
	v_add_f64 v[224:225], v[210:211], v[212:213]
	ds_read_b128 v[210:213], v152 offset:1616
	s_waitcnt lgkmcnt(1)
	v_mul_f64 v[226:227], v[206:207], v[144:145]
	v_fmac_f64_e32 v[226:227], v[208:209], v[146:147]
	v_add_f64 v[228:229], v[224:225], v[226:227]
	ds_read_b128 v[224:227], v152 offset:1632
	s_waitcnt vmcnt(14) lgkmcnt(1)
	v_mul_f64 v[230:231], v[210:211], v[214:215]
	s_waitcnt vmcnt(12)
	v_fmac_f64_e32 v[230:231], v[212:213], v[216:217]
	v_add_f64 v[238:239], v[228:229], v[230:231]
	ds_read_b128 v[228:231], v152 offset:1648
	s_waitcnt lgkmcnt(1)
	v_mul_f64 v[240:241], v[224:225], v[0:1]
	v_fmac_f64_e32 v[240:241], v[226:227], v[118:119]
	v_add_f64 v[238:239], v[238:239], v[240:241]
	v_fma_f64 v[240:241], v[38:39], v[48:49], -v[40:41]
	ds_read_b128 v[38:41], v152 offset:1664
	ds_read_b128 v[48:51], v152 offset:1680
	s_waitcnt vmcnt(6) lgkmcnt(2)
	v_mul_f64 v[242:243], v[228:229], v[222:223]
	s_waitcnt vmcnt(4)
	v_fmac_f64_e32 v[242:243], v[230:231], v[232:233]
	v_add_f64 v[152:153], v[238:239], v[242:243]
	s_waitcnt lgkmcnt(1)
	v_mul_f64 v[238:239], v[38:39], v[218:219]
	v_fmac_f64_e32 v[238:239], v[40:41], v[220:221]
	v_add_f64 v[152:153], v[152:153], v[238:239]
	s_waitcnt vmcnt(2) lgkmcnt(0)
	v_mul_f64 v[238:239], v[48:49], v[234:235]
	s_waitcnt vmcnt(0)
	v_fmac_f64_e32 v[238:239], v[50:51], v[236:237]
	v_add_f64 v[152:153], v[152:153], v[238:239]
	v_add_f64 v[238:239], v[240:241], 0
	;; [unrolled: 1-line block ×3, first 2 shown]
	v_mul_f64 v[28:29], v[28:29], v[56:57]
	v_add_f64 v[30:31], v[34:35], v[30:31]
	v_fma_f64 v[26:27], v[26:27], v[78:79], -v[28:29]
	v_add_f64 v[26:27], v[30:31], v[26:27]
	v_mul_f64 v[20:21], v[20:21], v[62:63]
	v_add_f64 v[22:23], v[26:27], v[22:23]
	v_fma_f64 v[18:19], v[18:19], v[76:77], -v[20:21]
	v_add_f64 v[18:19], v[22:23], v[18:19]
	v_fma_f64 v[10:11], v[10:11], v[72:73], -v[12:13]
	v_mul_f64 v[8:9], v[8:9], v[68:69]
	v_add_f64 v[10:11], v[18:19], v[10:11]
	v_fma_f64 v[6:7], v[6:7], v[74:75], -v[8:9]
	v_mul_f64 v[4:5], v[4:5], v[64:65]
	;; [unrolled: 3-line block ×3, first 2 shown]
	v_add_f64 v[2:3], v[6:7], v[2:3]
	v_fma_f64 v[4:5], v[14:15], v[88:89], -v[4:5]
	v_add_f64 v[2:3], v[2:3], v[4:5]
	v_mul_f64 v[4:5], v[126:127], v[82:83]
	v_fma_f64 v[4:5], v[124:125], v[84:85], -v[4:5]
	v_add_f64 v[2:3], v[2:3], v[4:5]
	v_mul_f64 v[4:5], v[156:157], v[94:95]
	;; [unrolled: 3-line block ×16, first 2 shown]
	v_fma_f64 v[4:5], v[210:211], v[216:217], -v[4:5]
	v_mul_f64 v[0:1], v[226:227], v[0:1]
	v_add_f64 v[2:3], v[2:3], v[4:5]
	v_fma_f64 v[0:1], v[224:225], v[118:119], -v[0:1]
	v_add_f64 v[0:1], v[2:3], v[0:1]
	v_mul_f64 v[2:3], v[230:231], v[222:223]
	v_fma_f64 v[2:3], v[228:229], v[232:233], -v[2:3]
	v_add_f64 v[0:1], v[0:1], v[2:3]
	v_mul_f64 v[2:3], v[40:41], v[218:219]
	;; [unrolled: 3-line block ×3, first 2 shown]
	v_fma_f64 v[2:3], v[48:49], v[236:237], -v[2:3]
	v_add_f64 v[0:1], v[0:1], v[2:3]
	v_add_f64 v[0:1], v[60:61], -v[0:1]
	v_add_f64 v[2:3], v[58:59], -v[152:153]
	buffer_store_dword v1, off, s[0:3], 0 offset:372
	buffer_store_dword v0, off, s[0:3], 0 offset:368
	;; [unrolled: 1-line block ×4, first 2 shown]
	s_and_saveexec_b64 s[4:5], vcc
	s_cbranch_execz .LBB116_289
; %bb.288:
	v_accvgpr_read_b32 v0, a137
	buffer_load_dword v2, v0, s[0:3], 0 offen
	buffer_load_dword v3, v0, s[0:3], 0 offen offset:4
	buffer_load_dword v4, v0, s[0:3], 0 offen offset:8
	;; [unrolled: 1-line block ×3, first 2 shown]
	v_mov_b32_e32 v0, 0
	v_accvgpr_read_b32 v1, a159
	buffer_store_dword v0, off, s[0:3], 0 offset:352
	buffer_store_dword v0, off, s[0:3], 0 offset:356
	;; [unrolled: 1-line block ×4, first 2 shown]
	s_waitcnt vmcnt(4)
	ds_write_b128 v1, v[2:5]
.LBB116_289:
	s_or_b64 exec, exec, s[4:5]
	s_waitcnt lgkmcnt(0)
	; wave barrier
	s_waitcnt lgkmcnt(0)
	buffer_load_dword v106, off, s[0:3], 0 offset:368
	buffer_load_dword v107, off, s[0:3], 0 offset:372
	;; [unrolled: 1-line block ×49, first 2 shown]
	v_mov_b32_e32 v254, 0
	ds_read_b128 v[110:113], v254 offset:1200
	ds_read_b128 v[250:253], v254 offset:1216
	;; [unrolled: 1-line block ×10, first 2 shown]
	buffer_load_dword v160, off, s[0:3], 0 offset:560
	buffer_load_dword v175, off, s[0:3], 0 offset:556
	;; [unrolled: 1-line block ×69, first 2 shown]
	v_accvgpr_write_b32 a158, v255
	v_cmp_lt_u32_e32 vcc, 20, v255
	s_waitcnt vmcnt(62) lgkmcnt(9)
	v_mul_f64 v[0:1], v[110:111], v[108:109]
	v_fmac_f64_e32 v[0:1], v[112:113], v[106:107]
	v_add_f64 v[0:1], v[0:1], 0
	v_mul_f64 v[108:109], v[112:113], v[108:109]
	s_waitcnt lgkmcnt(8)
	v_mul_f64 v[34:35], v[250:251], v[116:117]
	v_fmac_f64_e32 v[34:35], v[252:253], v[114:115]
	s_waitcnt lgkmcnt(7)
	v_mul_f64 v[36:37], v[30:31], v[120:121]
	v_add_f64 v[0:1], v[0:1], v[34:35]
	s_waitcnt lgkmcnt(5)
	v_mul_f64 v[40:41], v[22:23], v[122:123]
	v_mul_f64 v[116:117], v[252:253], v[116:117]
	v_fmac_f64_e32 v[40:41], v[24:25], v[124:125]
	v_fma_f64 v[248:249], v[110:111], v[106:107], -v[108:109]
	v_mul_f64 v[38:39], v[26:27], v[126:127]
	v_fma_f64 v[250:251], v[250:251], v[114:115], -v[116:117]
	s_waitcnt lgkmcnt(3)
	v_mul_f64 v[44:45], v[14:15], v[128:129]
	v_mul_f64 v[24:25], v[24:25], v[122:123]
	v_fmac_f64_e32 v[44:45], v[16:17], v[130:131]
	v_fma_f64 v[22:23], v[22:23], v[124:125], -v[24:25]
	v_mul_f64 v[42:43], v[18:19], v[132:133]
	v_mul_f64 v[16:17], v[16:17], v[128:129]
	s_waitcnt lgkmcnt(1)
	v_mul_f64 v[48:49], v[6:7], v[134:135]
	v_fma_f64 v[14:15], v[14:15], v[130:131], -v[16:17]
	v_fmac_f64_e32 v[48:49], v[8:9], v[136:137]
	v_mul_f64 v[8:9], v[8:9], v[134:135]
	v_mul_f64 v[46:47], v[10:11], v[142:143]
	v_fma_f64 v[6:7], v[6:7], v[136:137], -v[8:9]
	s_waitcnt lgkmcnt(0)
	v_mul_f64 v[50:51], v[2:3], v[138:139]
	v_fmac_f64_e32 v[36:37], v[32:33], v[154:155]
	v_add_f64 v[0:1], v[0:1], v[36:37]
	v_fmac_f64_e32 v[38:39], v[28:29], v[152:153]
	v_add_f64 v[0:1], v[0:1], v[38:39]
	v_add_f64 v[0:1], v[0:1], v[40:41]
	ds_read_b128 v[38:41], v254 offset:1360
	ds_read_b128 v[34:37], v254 offset:1376
	buffer_load_dword v231, off, s[0:3], 0 offset:860
	buffer_load_dword v230, off, s[0:3], 0 offset:856
	buffer_load_dword v235, off, s[0:3], 0 offset:852
	buffer_load_dword v234, off, s[0:3], 0 offset:848
	buffer_load_dword v243, off, s[0:3], 0 offset:844
	buffer_load_dword v242, off, s[0:3], 0 offset:840
	buffer_load_dword v245, off, s[0:3], 0 offset:836
	buffer_load_dword v244, off, s[0:3], 0 offset:832
	v_fmac_f64_e32 v[42:43], v[20:21], v[150:151]
	v_add_f64 v[0:1], v[0:1], v[42:43]
	v_fmac_f64_e32 v[46:47], v[12:13], v[148:149]
	v_add_f64 v[0:1], v[0:1], v[44:45]
	v_add_f64 v[0:1], v[0:1], v[46:47]
	v_fmac_f64_e32 v[50:51], v[4:5], v[146:147]
	v_add_f64 v[0:1], v[0:1], v[48:49]
	s_waitcnt lgkmcnt(1)
	v_mul_f64 v[42:43], v[38:39], v[144:145]
	v_add_f64 v[0:1], v[0:1], v[50:51]
	v_fmac_f64_e32 v[42:43], v[40:41], v[156:157]
	v_add_f64 v[0:1], v[0:1], v[42:43]
	ds_read_b128 v[42:45], v254 offset:1392
	s_waitcnt lgkmcnt(1)
	v_mul_f64 v[46:47], v[34:35], v[174:175]
	v_fmac_f64_e32 v[46:47], v[36:37], v[178:179]
	v_add_f64 v[0:1], v[0:1], v[46:47]
	ds_read_b128 v[46:49], v254 offset:1408
	s_waitcnt lgkmcnt(1)
	v_mul_f64 v[50:51], v[42:43], v[158:159]
	v_fmac_f64_e32 v[50:51], v[44:45], v[160:161]
	v_add_f64 v[0:1], v[0:1], v[50:51]
	ds_read_b128 v[50:53], v254 offset:1424
	s_waitcnt vmcnt(62) lgkmcnt(1)
	v_mul_f64 v[54:55], v[46:47], v[182:183]
	v_fmac_f64_e32 v[54:55], v[48:49], v[186:187]
	v_add_f64 v[0:1], v[0:1], v[54:55]
	ds_read_b128 v[54:57], v254 offset:1440
	s_waitcnt lgkmcnt(1)
	v_mul_f64 v[58:59], v[50:51], v[162:163]
	v_fmac_f64_e32 v[58:59], v[52:53], v[164:165]
	v_add_f64 v[0:1], v[0:1], v[58:59]
	ds_read_b128 v[58:61], v254 offset:1456
	s_waitcnt vmcnt(58) lgkmcnt(1)
	v_mul_f64 v[62:63], v[54:55], v[190:191]
	s_waitcnt vmcnt(56)
	v_fmac_f64_e32 v[62:63], v[56:57], v[194:195]
	v_add_f64 v[0:1], v[0:1], v[62:63]
	ds_read_b128 v[62:65], v254 offset:1472
	s_waitcnt lgkmcnt(1)
	v_mul_f64 v[66:67], v[58:59], v[166:167]
	v_fmac_f64_e32 v[66:67], v[60:61], v[168:169]
	v_add_f64 v[0:1], v[0:1], v[66:67]
	ds_read_b128 v[66:69], v254 offset:1488
	s_waitcnt vmcnt(50) lgkmcnt(1)
	v_mul_f64 v[70:71], v[62:63], v[198:199]
	s_waitcnt vmcnt(48)
	;; [unrolled: 11-line block ×5, first 2 shown]
	v_fmac_f64_e32 v[94:95], v[88:89], v[228:229]
	v_add_f64 v[0:1], v[0:1], v[94:95]
	ds_read_b128 v[94:97], v254 offset:1600
	s_waitcnt lgkmcnt(1)
	v_mul_f64 v[98:99], v[90:91], v[192:193]
	v_fmac_f64_e32 v[98:99], v[92:93], v[196:197]
	v_add_f64 v[0:1], v[0:1], v[98:99]
	ds_read_b128 v[98:101], v254 offset:1616
	ds_read_b128 v[102:105], v254 offset:1632
	;; [unrolled: 1-line block ×5, first 2 shown]
	buffer_load_dword v252, off, s[0:3], 0 offset:360
	buffer_load_dword v253, off, s[0:3], 0 offset:364
	s_waitcnt vmcnt(20) lgkmcnt(5)
	v_mul_f64 v[118:119], v[94:95], v[232:233]
	s_waitcnt vmcnt(18)
	v_fmac_f64_e32 v[118:119], v[96:97], v[236:237]
	v_add_f64 v[0:1], v[0:1], v[118:119]
	s_waitcnt lgkmcnt(4)
	v_mul_f64 v[118:119], v[98:99], v[200:201]
	v_fmac_f64_e32 v[118:119], v[100:101], v[204:205]
	v_add_f64 v[0:1], v[0:1], v[118:119]
	s_waitcnt vmcnt(12) lgkmcnt(3)
	v_mul_f64 v[118:119], v[102:103], v[238:239]
	s_waitcnt vmcnt(10)
	v_fmac_f64_e32 v[118:119], v[104:105], v[240:241]
	v_add_f64 v[0:1], v[0:1], v[118:119]
	s_waitcnt lgkmcnt(2)
	v_mul_f64 v[118:119], v[110:111], v[208:209]
	v_fmac_f64_e32 v[118:119], v[112:113], v[212:213]
	v_add_f64 v[0:1], v[0:1], v[118:119]
	s_waitcnt vmcnt(4) lgkmcnt(1)
	v_mul_f64 v[118:119], v[106:107], v[242:243]
	s_waitcnt vmcnt(2)
	v_fmac_f64_e32 v[118:119], v[108:109], v[244:245]
	v_add_f64 v[0:1], v[0:1], v[118:119]
	s_waitcnt lgkmcnt(0)
	v_mul_f64 v[118:119], v[114:115], v[230:231]
	v_fmac_f64_e32 v[118:119], v[116:117], v[234:235]
	v_add_f64 v[246:247], v[0:1], v[118:119]
	v_add_f64 v[0:1], v[248:249], 0
	v_mul_f64 v[32:33], v[32:33], v[120:121]
	v_add_f64 v[0:1], v[0:1], v[250:251]
	v_fma_f64 v[30:31], v[30:31], v[154:155], -v[32:33]
	v_mul_f64 v[28:29], v[28:29], v[126:127]
	v_add_f64 v[0:1], v[0:1], v[30:31]
	v_fma_f64 v[26:27], v[26:27], v[152:153], -v[28:29]
	v_add_f64 v[0:1], v[0:1], v[26:27]
	v_mul_f64 v[20:21], v[20:21], v[132:133]
	v_add_f64 v[0:1], v[0:1], v[22:23]
	v_fma_f64 v[18:19], v[18:19], v[150:151], -v[20:21]
	v_add_f64 v[0:1], v[0:1], v[18:19]
	;; [unrolled: 4-line block ×4, first 2 shown]
	v_mul_f64 v[2:3], v[40:41], v[144:145]
	v_fma_f64 v[2:3], v[38:39], v[156:157], -v[2:3]
	v_add_f64 v[0:1], v[0:1], v[2:3]
	v_mul_f64 v[2:3], v[36:37], v[174:175]
	v_fma_f64 v[2:3], v[34:35], v[178:179], -v[2:3]
	v_add_f64 v[0:1], v[0:1], v[2:3]
	;; [unrolled: 3-line block ×21, first 2 shown]
	v_add_f64 v[0:1], v[140:141], -v[0:1]
	s_waitcnt vmcnt(0)
	v_add_f64 v[2:3], v[252:253], -v[246:247]
	buffer_store_dword v1, off, s[0:3], 0 offset:356
	buffer_store_dword v0, off, s[0:3], 0 offset:352
	;; [unrolled: 1-line block ×4, first 2 shown]
	s_and_saveexec_b64 s[4:5], vcc
	s_cbranch_execz .LBB116_291
; %bb.290:
	v_accvgpr_read_b32 v0, a138
	buffer_load_dword v2, v0, s[0:3], 0 offen
	buffer_load_dword v3, v0, s[0:3], 0 offen offset:4
	buffer_load_dword v4, v0, s[0:3], 0 offen offset:8
	;; [unrolled: 1-line block ×3, first 2 shown]
	v_accvgpr_read_b32 v0, a159
	buffer_store_dword v254, off, s[0:3], 0 offset:336
	buffer_store_dword v254, off, s[0:3], 0 offset:340
	;; [unrolled: 1-line block ×4, first 2 shown]
	s_waitcnt vmcnt(4)
	ds_write_b128 v0, v[2:5]
.LBB116_291:
	s_or_b64 exec, exec, s[4:5]
	s_waitcnt lgkmcnt(0)
	; wave barrier
	s_waitcnt lgkmcnt(0)
	buffer_load_dword v112, off, s[0:3], 0 offset:352
	buffer_load_dword v113, off, s[0:3], 0 offset:356
	buffer_load_dword v246, off, s[0:3], 0 offset:360
	buffer_load_dword v247, off, s[0:3], 0 offset:364
	buffer_load_dword v110, off, s[0:3], 0 offset:368
	buffer_load_dword v111, off, s[0:3], 0 offset:372
	buffer_load_dword v248, off, s[0:3], 0 offset:376
	buffer_load_dword v249, off, s[0:3], 0 offset:380
	buffer_load_dword v244, off, s[0:3], 0 offset:392
	buffer_load_dword v245, off, s[0:3], 0 offset:396
	buffer_load_dword v121, off, s[0:3], 0 offset:428
	buffer_load_dword v120, off, s[0:3], 0 offset:424
	buffer_load_dword v123, off, s[0:3], 0 offset:420
	buffer_load_dword v122, off, s[0:3], 0 offset:416
	buffer_load_dword v125, off, s[0:3], 0 offset:412
	buffer_load_dword v124, off, s[0:3], 0 offset:408
	buffer_load_dword v127, off, s[0:3], 0 offset:460
	buffer_load_dword v126, off, s[0:3], 0 offset:456
	buffer_load_dword v129, off, s[0:3], 0 offset:452
	buffer_load_dword v128, off, s[0:3], 0 offset:448
	buffer_load_dword v133, off, s[0:3], 0 offset:444
	buffer_load_dword v132, off, s[0:3], 0 offset:440
	buffer_load_dword v131, off, s[0:3], 0 offset:476
	buffer_load_dword v130, off, s[0:3], 0 offset:472
	buffer_load_dword v250, off, s[0:3], 0 offset:384
	buffer_load_dword v251, off, s[0:3], 0 offset:388
	buffer_load_dword v141, off, s[0:3], 0 offset:404
	buffer_load_dword v140, off, s[0:3], 0 offset:400
	buffer_load_dword v139, off, s[0:3], 0 offset:436
	buffer_load_dword v138, off, s[0:3], 0 offset:432
	buffer_load_dword v137, off, s[0:3], 0 offset:468
	buffer_load_dword v136, off, s[0:3], 0 offset:464
	buffer_load_dword v134, off, s[0:3], 0 offset:488
	buffer_load_dword v142, off, s[0:3], 0 offset:480
	buffer_load_dword v143, off, s[0:3], 0 offset:484
	buffer_load_dword v135, off, s[0:3], 0 offset:492
	ds_read_b128 v[102:105], v254 offset:1184
	ds_read_b128 v[106:109], v254 offset:1200
	;; [unrolled: 1-line block ×9, first 2 shown]
	buffer_load_dword v145, off, s[0:3], 0 offset:524
	buffer_load_dword v144, off, s[0:3], 0 offset:520
	;; [unrolled: 1-line block ×78, first 2 shown]
	v_accvgpr_read_b32 v220, a158
	v_cmp_lt_u32_e32 vcc, 19, v220
	s_waitcnt vmcnt(62) lgkmcnt(8)
	v_mul_f64 v[0:1], v[102:103], v[246:247]
	v_fmac_f64_e32 v[0:1], v[104:105], v[112:113]
	v_add_f64 v[0:1], v[0:1], 0
	v_mul_f64 v[104:105], v[104:105], v[246:247]
	s_waitcnt lgkmcnt(7)
	v_mul_f64 v[26:27], v[106:107], v[248:249]
	v_fmac_f64_e32 v[26:27], v[108:109], v[110:111]
	s_waitcnt lgkmcnt(6)
	v_mul_f64 v[28:29], v[114:115], v[244:245]
	v_add_f64 v[0:1], v[0:1], v[26:27]
	s_waitcnt lgkmcnt(4)
	v_mul_f64 v[32:33], v[18:19], v[120:121]
	v_fma_f64 v[246:247], v[102:103], v[112:113], -v[104:105]
	v_fmac_f64_e32 v[32:33], v[20:21], v[122:123]
	v_mul_f64 v[108:109], v[108:109], v[248:249]
	v_mul_f64 v[30:31], v[22:23], v[124:125]
	v_fma_f64 v[248:249], v[106:107], v[110:111], -v[108:109]
	s_waitcnt lgkmcnt(2)
	v_mul_f64 v[36:37], v[10:11], v[126:127]
	v_mul_f64 v[20:21], v[20:21], v[120:121]
	v_fmac_f64_e32 v[36:37], v[12:13], v[128:129]
	v_fma_f64 v[18:19], v[18:19], v[122:123], -v[20:21]
	v_mul_f64 v[34:35], v[14:15], v[132:133]
	v_mul_f64 v[12:13], v[12:13], v[126:127]
	s_waitcnt lgkmcnt(1)
	v_mul_f64 v[38:39], v[6:7], v[130:131]
	v_fma_f64 v[10:11], v[10:11], v[128:129], -v[12:13]
	v_fmac_f64_e32 v[28:29], v[116:117], v[250:251]
	v_add_f64 v[0:1], v[0:1], v[28:29]
	v_fmac_f64_e32 v[30:31], v[24:25], v[140:141]
	v_add_f64 v[0:1], v[0:1], v[30:31]
	v_fmac_f64_e32 v[34:35], v[16:17], v[138:139]
	v_add_f64 v[0:1], v[0:1], v[32:33]
	v_add_f64 v[0:1], v[0:1], v[34:35]
	v_fmac_f64_e32 v[38:39], v[8:9], v[136:137]
	v_add_f64 v[0:1], v[0:1], v[36:37]
	v_add_f64 v[0:1], v[0:1], v[38:39]
	s_waitcnt lgkmcnt(0)
	v_mul_f64 v[30:31], v[2:3], v[134:135]
	v_fmac_f64_e32 v[30:31], v[4:5], v[142:143]
	ds_read_b128 v[26:29], v254 offset:1328
	v_add_f64 v[0:1], v[0:1], v[30:31]
	ds_read_b128 v[30:33], v254 offset:1344
	buffer_load_dword v231, off, s[0:3], 0 offset:788
	buffer_load_dword v230, off, s[0:3], 0 offset:784
	v_mul_f64 v[116:117], v[116:117], v[244:245]
	s_waitcnt lgkmcnt(1)
	v_mul_f64 v[34:35], v[26:27], v[148:149]
	v_fmac_f64_e32 v[34:35], v[28:29], v[150:151]
	v_add_f64 v[0:1], v[0:1], v[34:35]
	ds_read_b128 v[34:37], v254 offset:1360
	s_waitcnt lgkmcnt(1)
	v_mul_f64 v[38:39], v[30:31], v[144:145]
	v_fmac_f64_e32 v[38:39], v[32:33], v[146:147]
	v_add_f64 v[0:1], v[0:1], v[38:39]
	ds_read_b128 v[38:41], v254 offset:1376
	;; [unrolled: 5-line block ×4, first 2 shown]
	buffer_load_dword v233, off, s[0:3], 0 offset:844
	buffer_load_dword v235, off, s[0:3], 0 offset:828
	buffer_load_dword v234, off, s[0:3], 0 offset:824
	buffer_load_dword v241, off, s[0:3], 0 offset:820
	buffer_load_dword v240, off, s[0:3], 0 offset:816
	buffer_load_dword v232, off, s[0:3], 0 offset:840
	buffer_load_dword v239, off, s[0:3], 0 offset:836
	buffer_load_dword v238, off, s[0:3], 0 offset:832
	buffer_load_dword v237, off, s[0:3], 0 offset:860
	buffer_load_dword v236, off, s[0:3], 0 offset:856
	buffer_load_dword v243, off, s[0:3], 0 offset:852
	buffer_load_dword v242, off, s[0:3], 0 offset:848
	s_waitcnt vmcnt(62) lgkmcnt(1)
	v_mul_f64 v[50:51], v[42:43], v[176:177]
	v_fmac_f64_e32 v[50:51], v[44:45], v[180:181]
	v_add_f64 v[0:1], v[0:1], v[50:51]
	ds_read_b128 v[50:53], v254 offset:1424
	s_waitcnt lgkmcnt(1)
	v_mul_f64 v[54:55], v[46:47], v[156:157]
	v_fmac_f64_e32 v[54:55], v[48:49], v[158:159]
	v_add_f64 v[0:1], v[0:1], v[54:55]
	ds_read_b128 v[54:57], v254 offset:1440
	s_waitcnt lgkmcnt(1)
	v_mul_f64 v[58:59], v[50:51], v[184:185]
	s_waitcnt vmcnt(60)
	v_fmac_f64_e32 v[58:59], v[52:53], v[188:189]
	v_add_f64 v[0:1], v[0:1], v[58:59]
	ds_read_b128 v[58:61], v254 offset:1456
	s_waitcnt lgkmcnt(1)
	v_mul_f64 v[62:63], v[54:55], v[164:165]
	v_fmac_f64_e32 v[62:63], v[56:57], v[166:167]
	v_add_f64 v[0:1], v[0:1], v[62:63]
	ds_read_b128 v[62:65], v254 offset:1472
	s_waitcnt vmcnt(54) lgkmcnt(1)
	v_mul_f64 v[66:67], v[58:59], v[192:193]
	s_waitcnt vmcnt(52)
	v_fmac_f64_e32 v[66:67], v[60:61], v[196:197]
	v_add_f64 v[0:1], v[0:1], v[66:67]
	ds_read_b128 v[66:69], v254 offset:1488
	s_waitcnt lgkmcnt(1)
	v_mul_f64 v[70:71], v[62:63], v[168:169]
	v_fmac_f64_e32 v[70:71], v[64:65], v[170:171]
	v_add_f64 v[0:1], v[0:1], v[70:71]
	ds_read_b128 v[70:73], v254 offset:1504
	s_waitcnt vmcnt(46) lgkmcnt(1)
	v_mul_f64 v[74:75], v[66:67], v[200:201]
	s_waitcnt vmcnt(44)
	v_fmac_f64_e32 v[74:75], v[68:69], v[204:205]
	v_add_f64 v[0:1], v[0:1], v[74:75]
	ds_read_b128 v[74:77], v254 offset:1520
	s_waitcnt lgkmcnt(1)
	v_mul_f64 v[78:79], v[70:71], v[172:173]
	v_fmac_f64_e32 v[78:79], v[72:73], v[174:175]
	v_add_f64 v[0:1], v[0:1], v[78:79]
	ds_read_b128 v[78:81], v254 offset:1536
	s_waitcnt vmcnt(38) lgkmcnt(1)
	v_mul_f64 v[82:83], v[74:75], v[208:209]
	s_waitcnt vmcnt(36)
	v_fmac_f64_e32 v[82:83], v[76:77], v[210:211]
	v_add_f64 v[0:1], v[0:1], v[82:83]
	ds_read_b128 v[82:85], v254 offset:1552
	s_waitcnt lgkmcnt(1)
	v_mul_f64 v[86:87], v[78:79], v[178:179]
	v_fmac_f64_e32 v[86:87], v[80:81], v[182:183]
	v_add_f64 v[0:1], v[0:1], v[86:87]
	ds_read_b128 v[86:89], v254 offset:1568
	s_waitcnt vmcnt(30) lgkmcnt(1)
	v_mul_f64 v[90:91], v[82:83], v[212:213]
	s_waitcnt vmcnt(28)
	v_fmac_f64_e32 v[90:91], v[84:85], v[214:215]
	v_add_f64 v[0:1], v[0:1], v[90:91]
	ds_read_b128 v[90:93], v254 offset:1584
	ds_read_b128 v[94:97], v254 offset:1600
	s_waitcnt lgkmcnt(2)
	v_mul_f64 v[98:99], v[86:87], v[186:187]
	v_fmac_f64_e32 v[98:99], v[88:89], v[190:191]
	v_add_f64 v[0:1], v[0:1], v[98:99]
	s_waitcnt vmcnt(22) lgkmcnt(1)
	v_mul_f64 v[98:99], v[90:91], v[224:225]
	s_waitcnt vmcnt(20)
	v_fmac_f64_e32 v[98:99], v[92:93], v[226:227]
	v_add_f64 v[0:1], v[0:1], v[98:99]
	s_waitcnt lgkmcnt(0)
	v_mul_f64 v[98:99], v[94:95], v[194:195]
	v_fmac_f64_e32 v[98:99], v[96:97], v[198:199]
	v_add_f64 v[0:1], v[0:1], v[98:99]
	ds_read_b128 v[98:101], v254 offset:1616
	ds_read_b128 v[102:105], v254 offset:1632
	;; [unrolled: 1-line block ×3, first 2 shown]
	v_fma_f64 v[250:251], v[114:115], v[250:251], -v[116:117]
	ds_read_b128 v[114:117], v254 offset:1680
	s_waitcnt vmcnt(14) lgkmcnt(3)
	v_mul_f64 v[112:113], v[98:99], v[228:229]
	s_waitcnt lgkmcnt(2)
	v_mul_f64 v[110:111], v[102:103], v[202:203]
	s_waitcnt vmcnt(12)
	v_fmac_f64_e32 v[112:113], v[100:101], v[230:231]
	v_add_f64 v[0:1], v[0:1], v[112:113]
	v_fmac_f64_e32 v[110:111], v[104:105], v[206:207]
	v_add_f64 v[0:1], v[0:1], v[110:111]
	ds_read_b128 v[110:113], v254 offset:1664
	buffer_load_dword v254, off, s[0:3], 0 offset:336
	buffer_load_dword v255, off, s[0:3], 0 offset:340
	;; [unrolled: 1-line block ×4, first 2 shown]
	v_mul_f64 v[24:25], v[24:25], v[124:125]
	v_fma_f64 v[22:23], v[22:23], v[140:141], -v[24:25]
	v_mul_f64 v[16:17], v[16:17], v[132:133]
	s_waitcnt vmcnt(13) lgkmcnt(2)
	v_mul_f64 v[118:119], v[106:107], v[234:235]
	v_fma_f64 v[14:15], v[14:15], v[138:139], -v[16:17]
	s_waitcnt vmcnt(11)
	v_fmac_f64_e32 v[118:119], v[108:109], v[240:241]
	v_add_f64 v[0:1], v[0:1], v[118:119]
	s_waitcnt vmcnt(10) lgkmcnt(0)
	v_mul_f64 v[118:119], v[110:111], v[232:233]
	s_waitcnt vmcnt(8)
	v_fmac_f64_e32 v[118:119], v[112:113], v[238:239]
	v_add_f64 v[0:1], v[0:1], v[118:119]
	s_waitcnt vmcnt(6)
	v_mul_f64 v[118:119], v[114:115], v[236:237]
	v_mul_f64 v[8:9], v[8:9], v[130:131]
	s_waitcnt vmcnt(4)
	v_fmac_f64_e32 v[118:119], v[116:117], v[242:243]
	v_add_f64 v[244:245], v[0:1], v[118:119]
	v_add_f64 v[0:1], v[246:247], 0
	;; [unrolled: 1-line block ×8, first 2 shown]
	v_fma_f64 v[6:7], v[6:7], v[136:137], -v[8:9]
	v_mul_f64 v[4:5], v[4:5], v[134:135]
	v_add_f64 v[0:1], v[0:1], v[6:7]
	v_fma_f64 v[2:3], v[2:3], v[142:143], -v[4:5]
	v_add_f64 v[0:1], v[0:1], v[2:3]
	v_mul_f64 v[2:3], v[28:29], v[148:149]
	v_fma_f64 v[2:3], v[26:27], v[150:151], -v[2:3]
	v_add_f64 v[0:1], v[0:1], v[2:3]
	v_mul_f64 v[2:3], v[32:33], v[144:145]
	;; [unrolled: 3-line block ×23, first 2 shown]
	v_fma_f64 v[2:3], v[114:115], v[242:243], -v[2:3]
	v_add_f64 v[0:1], v[0:1], v[2:3]
	s_waitcnt vmcnt(2)
	v_add_f64 v[0:1], v[254:255], -v[0:1]
	s_waitcnt vmcnt(0)
	v_add_f64 v[2:3], v[252:253], -v[244:245]
	buffer_store_dword v1, off, s[0:3], 0 offset:340
	buffer_store_dword v0, off, s[0:3], 0 offset:336
	;; [unrolled: 1-line block ×4, first 2 shown]
	s_and_saveexec_b64 s[4:5], vcc
	s_cbranch_execz .LBB116_293
; %bb.292:
	v_accvgpr_read_b32 v0, a139
	buffer_load_dword v2, v0, s[0:3], 0 offen
	buffer_load_dword v3, v0, s[0:3], 0 offen offset:4
	buffer_load_dword v4, v0, s[0:3], 0 offen offset:8
	;; [unrolled: 1-line block ×3, first 2 shown]
	v_mov_b32_e32 v0, 0
	v_accvgpr_read_b32 v1, a159
	buffer_store_dword v0, off, s[0:3], 0 offset:320
	buffer_store_dword v0, off, s[0:3], 0 offset:324
	;; [unrolled: 1-line block ×4, first 2 shown]
	s_waitcnt vmcnt(4)
	ds_write_b128 v1, v[2:5]
.LBB116_293:
	s_or_b64 exec, exec, s[4:5]
	s_waitcnt lgkmcnt(0)
	; wave barrier
	s_waitcnt lgkmcnt(0)
	buffer_load_dword v94, off, s[0:3], 0 offset:336
	buffer_load_dword v95, off, s[0:3], 0 offset:340
	;; [unrolled: 1-line block ×52, first 2 shown]
	v_mov_b32_e32 v254, 0
	ds_read_b128 v[102:105], v254 offset:1168
	ds_read_b128 v[114:117], v254 offset:1184
	;; [unrolled: 1-line block ×10, first 2 shown]
	v_cmp_lt_u32_e32 vcc, 18, v220
	s_waitcnt vmcnt(48) lgkmcnt(9)
	v_mul_f64 v[0:1], v[102:103], v[96:97]
	v_fmac_f64_e32 v[0:1], v[104:105], v[94:95]
	v_add_f64 v[0:1], v[0:1], 0
	v_mul_f64 v[96:97], v[104:105], v[96:97]
	s_waitcnt vmcnt(44) lgkmcnt(8)
	v_mul_f64 v[26:27], v[114:115], v[100:101]
	v_fmac_f64_e32 v[26:27], v[116:117], v[98:99]
	s_waitcnt vmcnt(42) lgkmcnt(7)
	v_mul_f64 v[28:29], v[244:245], v[106:107]
	v_add_f64 v[0:1], v[0:1], v[26:27]
	s_waitcnt vmcnt(40) lgkmcnt(5)
	v_mul_f64 v[32:33], v[22:23], v[122:123]
	v_fma_f64 v[118:119], v[102:103], v[94:95], -v[96:97]
	s_waitcnt vmcnt(38)
	v_fmac_f64_e32 v[32:33], v[24:25], v[126:127]
	v_mul_f64 v[100:101], v[116:117], v[100:101]
	s_waitcnt vmcnt(36)
	v_mul_f64 v[30:31], v[250:251], v[110:111]
	v_fma_f64 v[216:217], v[114:115], v[98:99], -v[100:101]
	s_waitcnt vmcnt(34) lgkmcnt(3)
	v_mul_f64 v[36:37], v[14:15], v[120:121]
	v_mul_f64 v[106:107], v[246:247], v[106:107]
	s_waitcnt vmcnt(32)
	v_fmac_f64_e32 v[36:37], v[16:17], v[124:125]
	v_mul_f64 v[110:111], v[252:253], v[110:111]
	s_waitcnt vmcnt(30)
	v_mul_f64 v[34:35], v[18:19], v[132:133]
	v_mul_f64 v[24:25], v[24:25], v[122:123]
	v_fma_f64 v[22:23], v[22:23], v[126:127], -v[24:25]
	s_waitcnt vmcnt(27) lgkmcnt(2)
	v_mul_f64 v[38:39], v[10:11], v[130:131]
	s_waitcnt vmcnt(26) lgkmcnt(1)
	v_mul_f64 v[40:41], v[6:7], v[128:129]
	v_mul_f64 v[16:17], v[16:17], v[120:121]
	s_waitcnt vmcnt(24)
	v_fmac_f64_e32 v[28:29], v[246:247], v[108:109]
	v_add_f64 v[0:1], v[0:1], v[28:29]
	s_waitcnt vmcnt(22)
	v_fmac_f64_e32 v[30:31], v[252:253], v[112:113]
	v_add_f64 v[0:1], v[0:1], v[30:31]
	v_add_f64 v[0:1], v[0:1], v[32:33]
	ds_read_b128 v[26:29], v254 offset:1328
	ds_read_b128 v[30:33], v254 offset:1344
	buffer_load_dword v157, off, s[0:3], 0 offset:572
	buffer_load_dword v156, off, s[0:3], 0 offset:568
	;; [unrolled: 1-line block ×56, first 2 shown]
	s_waitcnt vmcnt(62)
	v_fmac_f64_e32 v[34:35], v[20:21], v[136:137]
	v_add_f64 v[0:1], v[0:1], v[34:35]
	v_fmac_f64_e32 v[38:39], v[12:13], v[134:135]
	v_add_f64 v[0:1], v[0:1], v[36:37]
	v_add_f64 v[0:1], v[0:1], v[38:39]
	v_fmac_f64_e32 v[40:41], v[8:9], v[140:141]
	s_waitcnt lgkmcnt(2)
	v_mul_f64 v[34:35], v[2:3], v[144:145]
	v_add_f64 v[0:1], v[0:1], v[40:41]
	v_fmac_f64_e32 v[34:35], v[4:5], v[146:147]
	v_add_f64 v[0:1], v[0:1], v[34:35]
	s_waitcnt lgkmcnt(1)
	v_mul_f64 v[34:35], v[26:27], v[138:139]
	v_fmac_f64_e32 v[34:35], v[28:29], v[142:143]
	v_add_f64 v[0:1], v[0:1], v[34:35]
	s_waitcnt lgkmcnt(0)
	v_mul_f64 v[34:35], v[30:31], v[148:149]
	s_waitcnt vmcnt(60)
	v_fmac_f64_e32 v[34:35], v[32:33], v[152:153]
	v_add_f64 v[0:1], v[0:1], v[34:35]
	ds_read_b128 v[34:37], v254 offset:1360
	buffer_load_dword v201, off, s[0:3], 0 offset:796
	buffer_load_dword v200, off, s[0:3], 0 offset:792
	;; [unrolled: 1-line block ×16, first 2 shown]
	ds_read_b128 v[38:41], v254 offset:1376
	buffer_load_dword v231, off, s[0:3], 0 offset:860
	buffer_load_dword v230, off, s[0:3], 0 offset:856
	;; [unrolled: 1-line block ×8, first 2 shown]
	ds_read_b128 v[98:101], v254 offset:1616
	s_waitcnt vmcnt(62) lgkmcnt(2)
	v_mul_f64 v[42:43], v[34:35], v[150:151]
	v_fmac_f64_e32 v[42:43], v[36:37], v[154:155]
	v_add_f64 v[0:1], v[0:1], v[42:43]
	ds_read_b128 v[42:45], v254 offset:1392
	v_fma_f64 v[248:249], v[244:245], v[108:109], -v[106:107]
	ds_read_b128 v[106:109], v254 offset:1648
	v_fma_f64 v[246:247], v[250:251], v[112:113], -v[110:111]
	v_mul_f64 v[20:21], v[20:21], v[132:133]
	s_waitcnt lgkmcnt(3)
	v_mul_f64 v[46:47], v[38:39], v[172:173]
	v_fma_f64 v[18:19], v[18:19], v[136:137], -v[20:21]
	v_fmac_f64_e32 v[46:47], v[40:41], v[176:177]
	v_add_f64 v[0:1], v[0:1], v[46:47]
	ds_read_b128 v[46:49], v254 offset:1408
	s_waitcnt lgkmcnt(2)
	v_mul_f64 v[50:51], v[42:43], v[156:157]
	v_fmac_f64_e32 v[50:51], v[44:45], v[158:159]
	v_add_f64 v[0:1], v[0:1], v[50:51]
	ds_read_b128 v[50:53], v254 offset:1424
	s_waitcnt lgkmcnt(1)
	v_mul_f64 v[54:55], v[46:47], v[180:181]
	;; [unrolled: 5-line block ×3, first 2 shown]
	v_fmac_f64_e32 v[58:59], v[52:53], v[162:163]
	v_add_f64 v[0:1], v[0:1], v[58:59]
	ds_read_b128 v[58:61], v254 offset:1456
	s_waitcnt vmcnt(58) lgkmcnt(1)
	v_mul_f64 v[62:63], v[54:55], v[188:189]
	s_waitcnt vmcnt(56)
	v_fmac_f64_e32 v[62:63], v[56:57], v[192:193]
	v_add_f64 v[0:1], v[0:1], v[62:63]
	ds_read_b128 v[62:65], v254 offset:1472
	s_waitcnt lgkmcnt(1)
	v_mul_f64 v[66:67], v[58:59], v[164:165]
	v_fmac_f64_e32 v[66:67], v[60:61], v[166:167]
	v_add_f64 v[0:1], v[0:1], v[66:67]
	ds_read_b128 v[66:69], v254 offset:1488
	s_waitcnt vmcnt(50) lgkmcnt(1)
	v_mul_f64 v[70:71], v[62:63], v[196:197]
	s_waitcnt vmcnt(48)
	v_fmac_f64_e32 v[70:71], v[64:65], v[198:199]
	v_add_f64 v[0:1], v[0:1], v[70:71]
	ds_read_b128 v[70:73], v254 offset:1504
	s_waitcnt lgkmcnt(1)
	v_mul_f64 v[74:75], v[66:67], v[168:169]
	v_fmac_f64_e32 v[74:75], v[68:69], v[170:171]
	v_add_f64 v[0:1], v[0:1], v[74:75]
	ds_read_b128 v[74:77], v254 offset:1520
	s_waitcnt vmcnt(42) lgkmcnt(1)
	v_mul_f64 v[78:79], v[70:71], v[202:203]
	s_waitcnt vmcnt(40)
	v_fmac_f64_e32 v[78:79], v[72:73], v[206:207]
	v_add_f64 v[0:1], v[0:1], v[78:79]
	ds_read_b128 v[78:81], v254 offset:1536
	s_waitcnt lgkmcnt(1)
	v_mul_f64 v[82:83], v[74:75], v[174:175]
	v_fmac_f64_e32 v[82:83], v[76:77], v[178:179]
	v_add_f64 v[0:1], v[0:1], v[82:83]
	ds_read_b128 v[82:85], v254 offset:1552
	ds_read_b128 v[86:89], v254 offset:1568
	s_waitcnt vmcnt(34) lgkmcnt(2)
	v_mul_f64 v[90:91], v[78:79], v[210:211]
	s_waitcnt vmcnt(32)
	v_fmac_f64_e32 v[90:91], v[80:81], v[224:225]
	v_add_f64 v[0:1], v[0:1], v[90:91]
	s_waitcnt lgkmcnt(1)
	v_mul_f64 v[90:91], v[82:83], v[182:183]
	v_fmac_f64_e32 v[90:91], v[84:85], v[186:187]
	v_add_f64 v[0:1], v[0:1], v[90:91]
	s_waitcnt vmcnt(27) lgkmcnt(0)
	v_mul_f64 v[90:91], v[86:87], v[214:215]
	s_waitcnt vmcnt(25)
	v_fmac_f64_e32 v[90:91], v[88:89], v[226:227]
	v_add_f64 v[0:1], v[0:1], v[90:91]
	ds_read_b128 v[90:93], v254 offset:1584
	ds_read_b128 v[94:97], v254 offset:1600
	v_fma_f64 v[14:15], v[14:15], v[124:125], -v[16:17]
	v_mul_f64 v[12:13], v[12:13], v[130:131]
	v_fma_f64 v[10:11], v[10:11], v[134:135], -v[12:13]
	s_waitcnt lgkmcnt(1)
	v_mul_f64 v[102:103], v[90:91], v[190:191]
	s_waitcnt vmcnt(24)
	v_fmac_f64_e32 v[102:103], v[92:93], v[194:195]
	v_add_f64 v[0:1], v[0:1], v[102:103]
	s_waitcnt vmcnt(18) lgkmcnt(0)
	v_mul_f64 v[102:103], v[94:95], v[228:229]
	s_waitcnt vmcnt(16)
	v_fmac_f64_e32 v[102:103], v[96:97], v[232:233]
	v_add_f64 v[0:1], v[0:1], v[102:103]
	v_mul_f64 v[102:103], v[98:99], v[200:201]
	v_fmac_f64_e32 v[102:103], v[100:101], v[204:205]
	v_add_f64 v[0:1], v[0:1], v[102:103]
	ds_read_b128 v[102:105], v254 offset:1632
	ds_read_b128 v[110:113], v254 offset:1664
	v_mul_f64 v[8:9], v[8:9], v[128:129]
	v_fma_f64 v[6:7], v[6:7], v[140:141], -v[8:9]
	v_mul_f64 v[4:5], v[4:5], v[144:145]
	s_waitcnt vmcnt(10) lgkmcnt(1)
	v_mul_f64 v[114:115], v[102:103], v[236:237]
	s_waitcnt vmcnt(8)
	v_fmac_f64_e32 v[114:115], v[104:105], v[238:239]
	v_add_f64 v[0:1], v[0:1], v[114:115]
	v_mul_f64 v[114:115], v[106:107], v[208:209]
	v_fmac_f64_e32 v[114:115], v[108:109], v[212:213]
	v_add_f64 v[0:1], v[0:1], v[114:115]
	s_waitcnt vmcnt(2) lgkmcnt(0)
	v_mul_f64 v[114:115], v[110:111], v[240:241]
	s_waitcnt vmcnt(0)
	v_fmac_f64_e32 v[114:115], v[112:113], v[242:243]
	v_add_f64 v[0:1], v[0:1], v[114:115]
	ds_read_b128 v[114:117], v254 offset:1680
	buffer_load_dword v252, off, s[0:3], 0 offset:320
	buffer_load_dword v253, off, s[0:3], 0 offset:324
	v_fma_f64 v[2:3], v[2:3], v[146:147], -v[4:5]
	s_waitcnt lgkmcnt(0)
	v_mul_f64 v[218:219], v[114:115], v[230:231]
	v_fmac_f64_e32 v[218:219], v[116:117], v[234:235]
	v_add_f64 v[244:245], v[0:1], v[218:219]
	v_add_f64 v[0:1], v[118:119], 0
	;; [unrolled: 1-line block ×4, first 2 shown]
	buffer_load_dword v248, off, s[0:3], 0 offset:328
	buffer_load_dword v249, off, s[0:3], 0 offset:332
	v_add_f64 v[0:1], v[0:1], v[246:247]
	v_add_f64 v[0:1], v[0:1], v[22:23]
	;; [unrolled: 1-line block ×7, first 2 shown]
	v_mul_f64 v[2:3], v[28:29], v[138:139]
	v_fma_f64 v[2:3], v[26:27], v[142:143], -v[2:3]
	v_add_f64 v[0:1], v[0:1], v[2:3]
	v_mul_f64 v[2:3], v[32:33], v[148:149]
	v_fma_f64 v[2:3], v[30:31], v[152:153], -v[2:3]
	v_add_f64 v[0:1], v[0:1], v[2:3]
	;; [unrolled: 3-line block ×23, first 2 shown]
	s_waitcnt vmcnt(2)
	v_add_f64 v[0:1], v[252:253], -v[0:1]
	s_waitcnt vmcnt(0)
	v_add_f64 v[2:3], v[248:249], -v[244:245]
	buffer_store_dword v1, off, s[0:3], 0 offset:324
	buffer_store_dword v0, off, s[0:3], 0 offset:320
	;; [unrolled: 1-line block ×4, first 2 shown]
	s_and_saveexec_b64 s[4:5], vcc
	s_cbranch_execz .LBB116_295
; %bb.294:
	v_accvgpr_read_b32 v0, a140
	buffer_load_dword v2, v0, s[0:3], 0 offen
	buffer_load_dword v3, v0, s[0:3], 0 offen offset:4
	buffer_load_dword v4, v0, s[0:3], 0 offen offset:8
	;; [unrolled: 1-line block ×3, first 2 shown]
	v_accvgpr_read_b32 v0, a159
	buffer_store_dword v254, off, s[0:3], 0 offset:304
	buffer_store_dword v254, off, s[0:3], 0 offset:308
	;; [unrolled: 1-line block ×4, first 2 shown]
	s_waitcnt vmcnt(4)
	ds_write_b128 v0, v[2:5]
.LBB116_295:
	s_or_b64 exec, exec, s[4:5]
	s_waitcnt lgkmcnt(0)
	; wave barrier
	s_waitcnt lgkmcnt(0)
	buffer_load_dword v86, off, s[0:3], 0 offset:320
	buffer_load_dword v87, off, s[0:3], 0 offset:324
	;; [unrolled: 1-line block ×42, first 2 shown]
	ds_read_b128 v[94:97], v254 offset:1152
	ds_read_b128 v[106:109], v254 offset:1168
	;; [unrolled: 1-line block ×10, first 2 shown]
	buffer_load_dword v147, off, s[0:3], 0 offset:468
	buffer_load_dword v146, off, s[0:3], 0 offset:464
	ds_read_b128 v[6:9], v254 offset:1312
	buffer_load_dword v143, off, s[0:3], 0 offset:524
	buffer_load_dword v142, off, s[0:3], 0 offset:520
	;; [unrolled: 1-line block ×80, first 2 shown]
	s_waitcnt vmcnt(62) lgkmcnt(10)
	v_mul_f64 v[0:1], v[94:95], v[88:89]
	v_fmac_f64_e32 v[0:1], v[96:97], v[86:87]
	v_add_f64 v[0:1], v[0:1], 0
	v_mul_f64 v[88:89], v[96:97], v[88:89]
	s_waitcnt lgkmcnt(9)
	v_mul_f64 v[26:27], v[106:107], v[92:93]
	v_fmac_f64_e32 v[26:27], v[108:109], v[90:91]
	s_waitcnt lgkmcnt(8)
	v_mul_f64 v[28:29], v[114:115], v[98:99]
	v_add_f64 v[0:1], v[0:1], v[26:27]
	s_waitcnt lgkmcnt(6)
	v_mul_f64 v[32:33], v[248:249], v[110:111]
	v_fma_f64 v[118:119], v[94:95], v[86:87], -v[88:89]
	v_fmac_f64_e32 v[32:33], v[250:251], v[112:113]
	v_mul_f64 v[92:93], v[108:109], v[92:93]
	v_mul_f64 v[30:31], v[244:245], v[102:103]
	v_fma_f64 v[216:217], v[106:107], v[90:91], -v[92:93]
	s_waitcnt lgkmcnt(4)
	v_mul_f64 v[36:37], v[18:19], v[120:121]
	v_mul_f64 v[98:99], v[116:117], v[98:99]
	v_fmac_f64_e32 v[36:37], v[20:21], v[122:123]
	v_mul_f64 v[102:103], v[246:247], v[102:103]
	v_mul_f64 v[34:35], v[22:23], v[124:125]
	;; [unrolled: 1-line block ×3, first 2 shown]
	s_waitcnt lgkmcnt(2)
	v_mul_f64 v[40:41], v[10:11], v[126:127]
	v_fma_f64 v[248:249], v[248:249], v[112:113], -v[110:111]
	v_mul_f64 v[20:21], v[20:21], v[120:121]
	v_mul_f64 v[38:39], v[14:15], v[132:133]
	v_fma_f64 v[18:19], v[18:19], v[122:123], -v[20:21]
	s_waitcnt lgkmcnt(1)
	v_mul_f64 v[42:43], v[2:3], v[130:131]
	v_fmac_f64_e32 v[28:29], v[116:117], v[100:101]
	v_add_f64 v[0:1], v[0:1], v[28:29]
	v_fmac_f64_e32 v[30:31], v[246:247], v[104:105]
	v_add_f64 v[0:1], v[0:1], v[30:31]
	;; [unrolled: 2-line block ×3, first 2 shown]
	v_add_f64 v[0:1], v[0:1], v[34:35]
	ds_read_b128 v[26:29], v254 offset:1328
	v_fmac_f64_e32 v[38:39], v[16:17], v[134:135]
	v_add_f64 v[0:1], v[0:1], v[36:37]
	v_fmac_f64_e32 v[40:41], v[12:13], v[128:129]
	v_add_f64 v[0:1], v[0:1], v[38:39]
	v_add_f64 v[0:1], v[0:1], v[40:41]
	v_fmac_f64_e32 v[42:43], v[4:5], v[146:147]
	s_waitcnt lgkmcnt(1)
	v_mul_f64 v[30:31], v[6:7], v[138:139]
	v_add_f64 v[0:1], v[0:1], v[42:43]
	v_fmac_f64_e32 v[30:31], v[8:9], v[140:141]
	v_add_f64 v[0:1], v[0:1], v[30:31]
	ds_read_b128 v[30:33], v254 offset:1344
	s_waitcnt lgkmcnt(1)
	v_mul_f64 v[34:35], v[26:27], v[148:149]
	v_fmac_f64_e32 v[34:35], v[28:29], v[164:165]
	v_add_f64 v[0:1], v[0:1], v[34:35]
	ds_read_b128 v[34:37], v254 offset:1360
	s_waitcnt lgkmcnt(1)
	v_mul_f64 v[38:39], v[30:31], v[142:143]
	;; [unrolled: 5-line block ×4, first 2 shown]
	v_fmac_f64_e32 v[46:47], v[40:41], v[152:153]
	v_add_f64 v[0:1], v[0:1], v[46:47]
	ds_read_b128 v[46:49], v254 offset:1408
	s_waitcnt vmcnt(58) lgkmcnt(1)
	v_mul_f64 v[50:51], v[42:43], v[176:177]
	s_waitcnt vmcnt(56)
	v_fmac_f64_e32 v[50:51], v[44:45], v[180:181]
	v_add_f64 v[0:1], v[0:1], v[50:51]
	ds_read_b128 v[50:53], v254 offset:1424
	buffer_load_dword v232, off, s[0:3], 0 offset:840
	buffer_load_dword v237, off, s[0:3], 0 offset:828
	buffer_load_dword v236, off, s[0:3], 0 offset:824
	buffer_load_dword v239, off, s[0:3], 0 offset:820
	buffer_load_dword v238, off, s[0:3], 0 offset:816
	buffer_load_dword v234, off, s[0:3], 0 offset:832
	buffer_load_dword v233, off, s[0:3], 0 offset:844
	buffer_load_dword v235, off, s[0:3], 0 offset:836
	s_waitcnt lgkmcnt(1)
	v_mul_f64 v[54:55], v[46:47], v[154:155]
	v_fmac_f64_e32 v[54:55], v[48:49], v[156:157]
	v_add_f64 v[0:1], v[0:1], v[54:55]
	ds_read_b128 v[54:57], v254 offset:1440
	buffer_load_dword v241, off, s[0:3], 0 offset:860
	buffer_load_dword v240, off, s[0:3], 0 offset:856
	;; [unrolled: 1-line block ×4, first 2 shown]
	s_waitcnt vmcnt(62) lgkmcnt(1)
	v_mul_f64 v[58:59], v[50:51], v[184:185]
	s_waitcnt vmcnt(60)
	v_fmac_f64_e32 v[58:59], v[52:53], v[188:189]
	v_add_f64 v[0:1], v[0:1], v[58:59]
	ds_read_b128 v[58:61], v254 offset:1456
	s_waitcnt lgkmcnt(1)
	v_mul_f64 v[62:63], v[54:55], v[158:159]
	v_fmac_f64_e32 v[62:63], v[56:57], v[160:161]
	v_add_f64 v[0:1], v[0:1], v[62:63]
	ds_read_b128 v[62:65], v254 offset:1472
	s_waitcnt vmcnt(54) lgkmcnt(1)
	v_mul_f64 v[66:67], v[58:59], v[192:193]
	s_waitcnt vmcnt(52)
	v_fmac_f64_e32 v[66:67], v[60:61], v[196:197]
	v_add_f64 v[0:1], v[0:1], v[66:67]
	ds_read_b128 v[66:69], v254 offset:1488
	s_waitcnt lgkmcnt(1)
	v_mul_f64 v[70:71], v[62:63], v[162:163]
	v_fmac_f64_e32 v[70:71], v[64:65], v[166:167]
	v_add_f64 v[0:1], v[0:1], v[70:71]
	ds_read_b128 v[70:73], v254 offset:1504
	s_waitcnt vmcnt(46) lgkmcnt(1)
	v_mul_f64 v[74:75], v[66:67], v[200:201]
	s_waitcnt vmcnt(44)
	v_fmac_f64_e32 v[74:75], v[68:69], v[204:205]
	v_add_f64 v[0:1], v[0:1], v[74:75]
	ds_read_b128 v[74:77], v254 offset:1520
	ds_read_b128 v[78:81], v254 offset:1536
	s_waitcnt lgkmcnt(2)
	v_mul_f64 v[82:83], v[70:71], v[170:171]
	v_fmac_f64_e32 v[82:83], v[72:73], v[174:175]
	v_add_f64 v[0:1], v[0:1], v[82:83]
	s_waitcnt vmcnt(38) lgkmcnt(1)
	v_mul_f64 v[82:83], v[74:75], v[208:209]
	s_waitcnt vmcnt(36)
	v_fmac_f64_e32 v[82:83], v[76:77], v[210:211]
	v_add_f64 v[0:1], v[0:1], v[82:83]
	s_waitcnt lgkmcnt(0)
	v_mul_f64 v[82:83], v[78:79], v[178:179]
	v_fmac_f64_e32 v[82:83], v[80:81], v[182:183]
	v_add_f64 v[0:1], v[0:1], v[82:83]
	ds_read_b128 v[82:85], v254 offset:1552
	ds_read_b128 v[86:89], v254 offset:1568
	;; [unrolled: 1-line block ×3, first 2 shown]
	v_fma_f64 v[218:219], v[114:115], v[100:101], -v[98:99]
	ds_read_b128 v[98:101], v254 offset:1616
	s_waitcnt vmcnt(30) lgkmcnt(3)
	v_mul_f64 v[94:95], v[82:83], v[212:213]
	s_waitcnt vmcnt(28)
	v_fmac_f64_e32 v[94:95], v[84:85], v[214:215]
	v_add_f64 v[0:1], v[0:1], v[94:95]
	s_waitcnt lgkmcnt(2)
	v_mul_f64 v[94:95], v[86:87], v[186:187]
	v_fmac_f64_e32 v[94:95], v[88:89], v[190:191]
	v_add_f64 v[0:1], v[0:1], v[94:95]
	ds_read_b128 v[94:97], v254 offset:1600
	s_waitcnt vmcnt(22) lgkmcnt(2)
	v_mul_f64 v[106:107], v[90:91], v[224:225]
	s_waitcnt vmcnt(20)
	v_fmac_f64_e32 v[106:107], v[92:93], v[226:227]
	v_add_f64 v[0:1], v[0:1], v[106:107]
	v_fma_f64 v[246:247], v[244:245], v[104:105], -v[102:103]
	s_waitcnt lgkmcnt(0)
	v_mul_f64 v[106:107], v[94:95], v[194:195]
	v_fmac_f64_e32 v[106:107], v[96:97], v[198:199]
	v_add_f64 v[0:1], v[0:1], v[106:107]
	ds_read_b128 v[106:109], v254 offset:1632
	ds_read_b128 v[102:105], v254 offset:1648
	;; [unrolled: 1-line block ×3, first 2 shown]
	s_waitcnt vmcnt(14)
	v_mul_f64 v[114:115], v[98:99], v[228:229]
	s_waitcnt vmcnt(12)
	v_fmac_f64_e32 v[114:115], v[100:101], v[230:231]
	v_add_f64 v[0:1], v[0:1], v[114:115]
	s_waitcnt lgkmcnt(2)
	v_mul_f64 v[114:115], v[106:107], v[202:203]
	v_fmac_f64_e32 v[114:115], v[108:109], v[206:207]
	v_add_f64 v[0:1], v[0:1], v[114:115]
	v_mul_f64 v[24:25], v[24:25], v[124:125]
	v_fma_f64 v[22:23], v[22:23], v[136:137], -v[24:25]
	v_mul_f64 v[16:17], v[16:17], v[132:133]
	v_fma_f64 v[14:15], v[14:15], v[134:135], -v[16:17]
	;; [unrolled: 2-line block ×4, first 2 shown]
	s_waitcnt vmcnt(9) lgkmcnt(1)
	v_mul_f64 v[114:115], v[102:103], v[236:237]
	s_waitcnt vmcnt(7)
	v_fmac_f64_e32 v[114:115], v[104:105], v[238:239]
	v_add_f64 v[0:1], v[0:1], v[114:115]
	s_waitcnt vmcnt(5) lgkmcnt(0)
	v_mul_f64 v[114:115], v[110:111], v[232:233]
	s_waitcnt vmcnt(4)
	v_fmac_f64_e32 v[114:115], v[112:113], v[234:235]
	v_add_f64 v[0:1], v[0:1], v[114:115]
	ds_read_b128 v[114:117], v254 offset:1680
	buffer_load_dword v254, off, s[0:3], 0 offset:304
	buffer_load_dword v255, off, s[0:3], 0 offset:308
	;; [unrolled: 1-line block ×4, first 2 shown]
	s_waitcnt vmcnt(6) lgkmcnt(0)
	v_mul_f64 v[220:221], v[114:115], v[240:241]
	s_waitcnt vmcnt(4)
	v_fmac_f64_e32 v[220:221], v[116:117], v[242:243]
	v_add_f64 v[244:245], v[0:1], v[220:221]
	v_add_f64 v[0:1], v[118:119], 0
	;; [unrolled: 1-line block ×11, first 2 shown]
	v_mul_f64 v[2:3], v[8:9], v[138:139]
	v_fma_f64 v[2:3], v[6:7], v[140:141], -v[2:3]
	v_add_f64 v[0:1], v[0:1], v[2:3]
	v_mul_f64 v[2:3], v[28:29], v[148:149]
	v_fma_f64 v[2:3], v[26:27], v[164:165], -v[2:3]
	v_add_f64 v[0:1], v[0:1], v[2:3]
	;; [unrolled: 3-line block ×24, first 2 shown]
	s_waitcnt vmcnt(2)
	v_add_f64 v[0:1], v[254:255], -v[0:1]
	v_accvgpr_read_b32 v255, a158
	v_cmp_lt_u32_e32 vcc, 17, v255
	s_waitcnt vmcnt(0)
	v_add_f64 v[2:3], v[252:253], -v[244:245]
	buffer_store_dword v1, off, s[0:3], 0 offset:308
	buffer_store_dword v0, off, s[0:3], 0 offset:304
	;; [unrolled: 1-line block ×4, first 2 shown]
	s_and_saveexec_b64 s[4:5], vcc
	s_cbranch_execz .LBB116_297
; %bb.296:
	v_accvgpr_read_b32 v0, a141
	buffer_load_dword v2, v0, s[0:3], 0 offen
	buffer_load_dword v3, v0, s[0:3], 0 offen offset:4
	buffer_load_dword v4, v0, s[0:3], 0 offen offset:8
	;; [unrolled: 1-line block ×3, first 2 shown]
	v_mov_b32_e32 v0, 0
	v_accvgpr_read_b32 v1, a159
	buffer_store_dword v0, off, s[0:3], 0 offset:288
	buffer_store_dword v0, off, s[0:3], 0 offset:292
	;; [unrolled: 1-line block ×4, first 2 shown]
	s_waitcnt vmcnt(4)
	ds_write_b128 v1, v[2:5]
.LBB116_297:
	s_or_b64 exec, exec, s[4:5]
	s_waitcnt lgkmcnt(0)
	; wave barrier
	s_waitcnt lgkmcnt(0)
	buffer_load_dword v82, off, s[0:3], 0 offset:304
	buffer_load_dword v83, off, s[0:3], 0 offset:308
	;; [unrolled: 1-line block ×54, first 2 shown]
	v_mov_b32_e32 v254, 0
	ds_read_b128 v[90:93], v254 offset:1136
	ds_read_b128 v[106:109], v254 offset:1152
	;; [unrolled: 1-line block ×9, first 2 shown]
	buffer_load_dword v151, off, s[0:3], 0 offset:532
	buffer_load_dword v150, off, s[0:3], 0 offset:528
	;; [unrolled: 1-line block ×62, first 2 shown]
	v_cmp_lt_u32_e32 vcc, 16, v255
	s_waitcnt vmcnt(62) lgkmcnt(8)
	v_mul_f64 v[0:1], v[90:91], v[84:85]
	v_fmac_f64_e32 v[0:1], v[92:93], v[82:83]
	v_add_f64 v[0:1], v[0:1], 0
	v_mul_f64 v[84:85], v[92:93], v[84:85]
	s_waitcnt lgkmcnt(7)
	v_mul_f64 v[14:15], v[106:107], v[88:89]
	v_fmac_f64_e32 v[14:15], v[108:109], v[86:87]
	s_waitcnt lgkmcnt(6)
	v_mul_f64 v[16:17], v[114:115], v[94:95]
	v_add_f64 v[0:1], v[0:1], v[14:15]
	s_waitcnt lgkmcnt(4)
	v_mul_f64 v[20:21], v[246:247], v[102:103]
	v_fma_f64 v[118:119], v[90:91], v[82:83], -v[84:85]
	v_fmac_f64_e32 v[20:21], v[248:249], v[104:105]
	v_mul_f64 v[88:89], v[108:109], v[88:89]
	v_mul_f64 v[18:19], v[242:243], v[98:99]
	v_fma_f64 v[216:217], v[106:107], v[86:87], -v[88:89]
	s_waitcnt lgkmcnt(2)
	v_mul_f64 v[24:25], v[10:11], v[120:121]
	v_mul_f64 v[94:95], v[116:117], v[94:95]
	v_fmac_f64_e32 v[24:25], v[12:13], v[122:123]
	v_mul_f64 v[98:99], v[244:245], v[98:99]
	v_mul_f64 v[22:23], v[250:251], v[110:111]
	;; [unrolled: 1-line block ×3, first 2 shown]
	s_waitcnt lgkmcnt(1)
	v_mul_f64 v[26:27], v[6:7], v[124:125]
	v_mul_f64 v[110:111], v[252:253], v[110:111]
	v_fmac_f64_e32 v[16:17], v[116:117], v[96:97]
	v_add_f64 v[0:1], v[0:1], v[16:17]
	v_fmac_f64_e32 v[18:19], v[244:245], v[100:101]
	v_add_f64 v[0:1], v[0:1], v[18:19]
	ds_read_b128 v[14:17], v254 offset:1280
	v_fmac_f64_e32 v[22:23], v[252:253], v[112:113]
	v_add_f64 v[0:1], v[0:1], v[20:21]
	v_add_f64 v[0:1], v[0:1], v[22:23]
	v_fmac_f64_e32 v[26:27], v[8:9], v[128:129]
	v_add_f64 v[0:1], v[0:1], v[24:25]
	s_waitcnt lgkmcnt(1)
	v_mul_f64 v[18:19], v[2:3], v[126:127]
	v_add_f64 v[0:1], v[0:1], v[26:27]
	v_fmac_f64_e32 v[18:19], v[4:5], v[130:131]
	v_add_f64 v[0:1], v[0:1], v[18:19]
	ds_read_b128 v[18:21], v254 offset:1296
	s_waitcnt lgkmcnt(1)
	v_mul_f64 v[22:23], v[14:15], v[136:137]
	v_fmac_f64_e32 v[22:23], v[16:17], v[138:139]
	v_add_f64 v[0:1], v[0:1], v[22:23]
	ds_read_b128 v[22:25], v254 offset:1312
	s_waitcnt lgkmcnt(1)
	v_mul_f64 v[26:27], v[18:19], v[132:133]
	;; [unrolled: 5-line block ×4, first 2 shown]
	v_fmac_f64_e32 v[34:35], v[28:29], v[142:143]
	v_add_f64 v[0:1], v[0:1], v[34:35]
	ds_read_b128 v[34:37], v254 offset:1360
	s_waitcnt vmcnt(58) lgkmcnt(1)
	v_mul_f64 v[38:39], v[30:31], v[164:165]
	s_waitcnt vmcnt(56)
	v_fmac_f64_e32 v[38:39], v[32:33], v[168:169]
	v_add_f64 v[0:1], v[0:1], v[38:39]
	ds_read_b128 v[38:41], v254 offset:1376
	s_waitcnt lgkmcnt(1)
	v_mul_f64 v[42:43], v[34:35], v[144:145]
	v_fmac_f64_e32 v[42:43], v[36:37], v[150:151]
	v_add_f64 v[0:1], v[0:1], v[42:43]
	ds_read_b128 v[42:45], v254 offset:1392
	s_waitcnt vmcnt(50) lgkmcnt(1)
	v_mul_f64 v[46:47], v[38:39], v[172:173]
	s_waitcnt vmcnt(48)
	v_fmac_f64_e32 v[46:47], v[40:41], v[176:177]
	v_add_f64 v[0:1], v[0:1], v[46:47]
	ds_read_b128 v[46:49], v254 offset:1408
	buffer_load_dword v213, off, s[0:3], 0 offset:780
	buffer_load_dword v212, off, s[0:3], 0 offset:776
	buffer_load_dword v215, off, s[0:3], 0 offset:772
	buffer_load_dword v214, off, s[0:3], 0 offset:768
	buffer_load_dword v227, off, s[0:3], 0 offset:796
	buffer_load_dword v226, off, s[0:3], 0 offset:792
	buffer_load_dword v229, off, s[0:3], 0 offset:788
	buffer_load_dword v228, off, s[0:3], 0 offset:784
	s_waitcnt lgkmcnt(1)
	v_mul_f64 v[50:51], v[42:43], v[152:153]
	v_fmac_f64_e32 v[50:51], v[44:45], v[154:155]
	v_add_f64 v[0:1], v[0:1], v[50:51]
	ds_read_b128 v[50:53], v254 offset:1424
	s_waitcnt vmcnt(50) lgkmcnt(1)
	v_mul_f64 v[54:55], v[46:47], v[180:181]
	s_waitcnt vmcnt(48)
	v_fmac_f64_e32 v[54:55], v[48:49], v[184:185]
	buffer_load_dword v225, off, s[0:3], 0 offset:828
	buffer_load_dword v231, off, s[0:3], 0 offset:812
	buffer_load_dword v230, off, s[0:3], 0 offset:808
	buffer_load_dword v237, off, s[0:3], 0 offset:804
	buffer_load_dword v236, off, s[0:3], 0 offset:800
	buffer_load_dword v224, off, s[0:3], 0 offset:824
	buffer_load_dword v235, off, s[0:3], 0 offset:820
	buffer_load_dword v234, off, s[0:3], 0 offset:816
	buffer_load_dword v233, off, s[0:3], 0 offset:844
	buffer_load_dword v232, off, s[0:3], 0 offset:840
	buffer_load_dword v239, off, s[0:3], 0 offset:836
	buffer_load_dword v238, off, s[0:3], 0 offset:832
	v_add_f64 v[0:1], v[0:1], v[54:55]
	ds_read_b128 v[54:57], v254 offset:1440
	s_waitcnt lgkmcnt(1)
	v_mul_f64 v[58:59], v[50:51], v[156:157]
	v_fmac_f64_e32 v[58:59], v[52:53], v[158:159]
	v_add_f64 v[0:1], v[0:1], v[58:59]
	ds_read_b128 v[58:61], v254 offset:1456
	s_waitcnt vmcnt(54) lgkmcnt(1)
	v_mul_f64 v[62:63], v[54:55], v[188:189]
	s_waitcnt vmcnt(52)
	v_fmac_f64_e32 v[62:63], v[56:57], v[192:193]
	v_add_f64 v[0:1], v[0:1], v[62:63]
	ds_read_b128 v[62:65], v254 offset:1472
	s_waitcnt lgkmcnt(1)
	v_mul_f64 v[66:67], v[58:59], v[160:161]
	v_fmac_f64_e32 v[66:67], v[60:61], v[162:163]
	v_add_f64 v[0:1], v[0:1], v[66:67]
	ds_read_b128 v[66:69], v254 offset:1488
	s_waitcnt vmcnt(46) lgkmcnt(1)
	v_mul_f64 v[70:71], v[62:63], v[196:197]
	s_waitcnt vmcnt(44)
	v_fmac_f64_e32 v[70:71], v[64:65], v[198:199]
	v_add_f64 v[0:1], v[0:1], v[70:71]
	ds_read_b128 v[70:73], v254 offset:1504
	ds_read_b128 v[74:77], v254 offset:1520
	s_waitcnt lgkmcnt(2)
	v_mul_f64 v[78:79], v[66:67], v[166:167]
	v_fmac_f64_e32 v[78:79], v[68:69], v[170:171]
	v_add_f64 v[0:1], v[0:1], v[78:79]
	s_waitcnt vmcnt(38) lgkmcnt(1)
	v_mul_f64 v[78:79], v[70:71], v[200:201]
	s_waitcnt vmcnt(36)
	v_fmac_f64_e32 v[78:79], v[72:73], v[202:203]
	v_add_f64 v[0:1], v[0:1], v[78:79]
	s_waitcnt lgkmcnt(0)
	v_mul_f64 v[78:79], v[74:75], v[174:175]
	v_fmac_f64_e32 v[78:79], v[76:77], v[178:179]
	v_add_f64 v[0:1], v[0:1], v[78:79]
	ds_read_b128 v[78:81], v254 offset:1536
	ds_read_b128 v[82:85], v254 offset:1552
	;; [unrolled: 1-line block ×3, first 2 shown]
	v_fma_f64 v[218:219], v[114:115], v[96:97], -v[94:95]
	ds_read_b128 v[94:97], v254 offset:1600
	s_waitcnt vmcnt(30) lgkmcnt(3)
	v_mul_f64 v[90:91], v[78:79], v[204:205]
	s_waitcnt vmcnt(28)
	v_fmac_f64_e32 v[90:91], v[80:81], v[206:207]
	v_add_f64 v[0:1], v[0:1], v[90:91]
	s_waitcnt lgkmcnt(2)
	v_mul_f64 v[90:91], v[82:83], v[182:183]
	v_fmac_f64_e32 v[90:91], v[84:85], v[186:187]
	v_add_f64 v[0:1], v[0:1], v[90:91]
	s_waitcnt vmcnt(22) lgkmcnt(1)
	v_mul_f64 v[90:91], v[86:87], v[208:209]
	s_waitcnt vmcnt(20)
	v_fmac_f64_e32 v[90:91], v[88:89], v[210:211]
	v_add_f64 v[0:1], v[0:1], v[90:91]
	ds_read_b128 v[90:93], v254 offset:1584
	v_fma_f64 v[220:221], v[242:243], v[100:101], -v[98:99]
	ds_read_b128 v[98:101], v254 offset:1616
	buffer_load_dword v240, off, s[0:3], 0 offset:856
	v_fma_f64 v[222:223], v[246:247], v[104:105], -v[102:103]
	s_waitcnt lgkmcnt(1)
	v_mul_f64 v[106:107], v[90:91], v[190:191]
	v_fmac_f64_e32 v[106:107], v[92:93], v[194:195]
	v_add_f64 v[0:1], v[0:1], v[106:107]
	ds_read_b128 v[102:105], v254 offset:1632
	v_fma_f64 v[250:251], v[250:251], v[112:113], -v[110:111]
	ds_read_b128 v[110:113], v254 offset:1664
	v_mul_f64 v[12:13], v[12:13], v[120:121]
	v_fma_f64 v[10:11], v[10:11], v[122:123], -v[12:13]
	v_mul_f64 v[8:9], v[8:9], v[124:125]
	v_fma_f64 v[6:7], v[6:7], v[128:129], -v[8:9]
	v_mul_f64 v[4:5], v[4:5], v[126:127]
	v_fma_f64 v[2:3], v[2:3], v[130:131], -v[4:5]
	s_waitcnt vmcnt(19)
	v_mul_f64 v[106:107], v[94:95], v[212:213]
	s_waitcnt vmcnt(17)
	v_fmac_f64_e32 v[106:107], v[96:97], v[214:215]
	v_add_f64 v[0:1], v[0:1], v[106:107]
	s_waitcnt vmcnt(15) lgkmcnt(2)
	v_mul_f64 v[106:107], v[98:99], v[226:227]
	s_waitcnt vmcnt(13)
	v_fmac_f64_e32 v[106:107], v[100:101], v[228:229]
	v_add_f64 v[0:1], v[0:1], v[106:107]
	ds_read_b128 v[106:109], v254 offset:1648
	buffer_load_dword v244, off, s[0:3], 0 offset:848
	buffer_load_dword v241, off, s[0:3], 0 offset:860
	;; [unrolled: 1-line block ×3, first 2 shown]
	s_waitcnt vmcnt(13) lgkmcnt(2)
	v_mul_f64 v[114:115], v[102:103], v[230:231]
	s_waitcnt vmcnt(11)
	v_fmac_f64_e32 v[114:115], v[104:105], v[236:237]
	v_add_f64 v[0:1], v[0:1], v[114:115]
	s_waitcnt vmcnt(10) lgkmcnt(0)
	v_mul_f64 v[114:115], v[106:107], v[224:225]
	s_waitcnt vmcnt(8)
	v_fmac_f64_e32 v[114:115], v[108:109], v[234:235]
	v_add_f64 v[0:1], v[0:1], v[114:115]
	s_waitcnt vmcnt(6)
	v_mul_f64 v[114:115], v[110:111], v[232:233]
	s_waitcnt vmcnt(4)
	v_fmac_f64_e32 v[114:115], v[112:113], v[238:239]
	v_add_f64 v[0:1], v[0:1], v[114:115]
	ds_read_b128 v[114:117], v254 offset:1680
	buffer_load_dword v248, off, s[0:3], 0 offset:288
	buffer_load_dword v249, off, s[0:3], 0 offset:292
	;; [unrolled: 1-line block ×4, first 2 shown]
	s_waitcnt vmcnt(5) lgkmcnt(0)
	v_mul_f64 v[242:243], v[114:115], v[240:241]
	s_waitcnt vmcnt(4)
	v_fmac_f64_e32 v[242:243], v[116:117], v[244:245]
	v_add_f64 v[242:243], v[0:1], v[242:243]
	v_add_f64 v[0:1], v[118:119], 0
	;; [unrolled: 1-line block ×10, first 2 shown]
	v_mul_f64 v[2:3], v[16:17], v[136:137]
	v_fma_f64 v[2:3], v[14:15], v[138:139], -v[2:3]
	v_add_f64 v[0:1], v[0:1], v[2:3]
	v_mul_f64 v[2:3], v[20:21], v[132:133]
	v_fma_f64 v[2:3], v[18:19], v[134:135], -v[2:3]
	v_add_f64 v[0:1], v[0:1], v[2:3]
	;; [unrolled: 3-line block ×26, first 2 shown]
	s_waitcnt vmcnt(2)
	v_add_f64 v[0:1], v[248:249], -v[0:1]
	s_waitcnt vmcnt(0)
	v_add_f64 v[2:3], v[246:247], -v[242:243]
	buffer_store_dword v1, off, s[0:3], 0 offset:292
	buffer_store_dword v0, off, s[0:3], 0 offset:288
	;; [unrolled: 1-line block ×4, first 2 shown]
	s_and_saveexec_b64 s[4:5], vcc
	s_cbranch_execz .LBB116_299
; %bb.298:
	v_accvgpr_read_b32 v0, a142
	buffer_load_dword v2, v0, s[0:3], 0 offen
	buffer_load_dword v3, v0, s[0:3], 0 offen offset:4
	buffer_load_dword v4, v0, s[0:3], 0 offen offset:8
	;; [unrolled: 1-line block ×3, first 2 shown]
	v_accvgpr_read_b32 v0, a159
	buffer_store_dword v254, off, s[0:3], 0 offset:272
	buffer_store_dword v254, off, s[0:3], 0 offset:276
	buffer_store_dword v254, off, s[0:3], 0 offset:280
	buffer_store_dword v254, off, s[0:3], 0 offset:284
	s_waitcnt vmcnt(4)
	ds_write_b128 v0, v[2:5]
.LBB116_299:
	s_or_b64 exec, exec, s[4:5]
	s_waitcnt lgkmcnt(0)
	; wave barrier
	s_waitcnt lgkmcnt(0)
	buffer_load_dword v84, off, s[0:3], 0 offset:288
	buffer_load_dword v85, off, s[0:3], 0 offset:292
	;; [unrolled: 1-line block ×34, first 2 shown]
	ds_read_b128 v[74:77], v254 offset:1120
	ds_read_b128 v[78:81], v254 offset:1136
	;; [unrolled: 1-line block ×8, first 2 shown]
	buffer_load_dword v127, off, s[0:3], 0 offset:404
	buffer_load_dword v126, off, s[0:3], 0 offset:400
	ds_read_b128 v[6:9], v254 offset:1248
	buffer_load_dword v129, off, s[0:3], 0 offset:460
	buffer_load_dword v128, off, s[0:3], 0 offset:456
	;; [unrolled: 1-line block ×80, first 2 shown]
	s_waitcnt vmcnt(62) lgkmcnt(8)
	v_mul_f64 v[0:1], v[74:75], v[106:107]
	v_fmac_f64_e32 v[0:1], v[76:77], v[84:85]
	v_add_f64 v[0:1], v[0:1], 0
	v_mul_f64 v[76:77], v[76:77], v[106:107]
	s_waitcnt lgkmcnt(7)
	v_mul_f64 v[10:11], v[78:79], v[96:97]
	v_fmac_f64_e32 v[10:11], v[80:81], v[82:83]
	s_waitcnt lgkmcnt(6)
	v_mul_f64 v[12:13], v[86:87], v[94:95]
	v_add_f64 v[0:1], v[0:1], v[10:11]
	s_waitcnt lgkmcnt(4)
	v_mul_f64 v[16:17], v[98:99], v[108:109]
	v_fma_f64 v[118:119], v[74:75], v[84:85], -v[76:77]
	v_fmac_f64_e32 v[16:17], v[100:101], v[114:115]
	v_mul_f64 v[80:81], v[80:81], v[96:97]
	v_mul_f64 v[14:15], v[90:91], v[116:117]
	v_fma_f64 v[216:217], v[78:79], v[82:83], -v[80:81]
	s_waitcnt lgkmcnt(2)
	v_mul_f64 v[20:21], v[110:111], v[240:241]
	v_mul_f64 v[100:101], v[100:101], v[108:109]
	v_fma_f64 v[222:223], v[98:99], v[114:115], -v[100:101]
	v_mul_f64 v[18:19], v[102:103], v[244:245]
	s_waitcnt lgkmcnt(1)
	v_mul_f64 v[22:23], v[2:3], v[120:121]
	v_fmac_f64_e32 v[12:13], v[88:89], v[250:251]
	v_add_f64 v[0:1], v[0:1], v[12:13]
	v_fmac_f64_e32 v[14:15], v[92:93], v[248:249]
	v_add_f64 v[0:1], v[0:1], v[14:15]
	;; [unrolled: 2-line block ×4, first 2 shown]
	v_add_f64 v[0:1], v[0:1], v[20:21]
	s_waitcnt lgkmcnt(0)
	v_mul_f64 v[14:15], v[6:7], v[122:123]
	ds_read_b128 v[10:13], v254 offset:1264
	v_fmac_f64_e32 v[22:23], v[4:5], v[126:127]
	v_add_f64 v[0:1], v[0:1], v[22:23]
	v_fmac_f64_e32 v[14:15], v[8:9], v[124:125]
	v_add_f64 v[0:1], v[0:1], v[14:15]
	ds_read_b128 v[14:17], v254 offset:1280
	s_waitcnt lgkmcnt(1)
	v_mul_f64 v[18:19], v[10:11], v[132:133]
	v_fmac_f64_e32 v[18:19], v[12:13], v[134:135]
	v_add_f64 v[0:1], v[0:1], v[18:19]
	ds_read_b128 v[18:21], v254 offset:1296
	s_waitcnt lgkmcnt(1)
	v_mul_f64 v[22:23], v[14:15], v[128:129]
	;; [unrolled: 5-line block ×4, first 2 shown]
	v_fmac_f64_e32 v[30:31], v[24:25], v[138:139]
	v_add_f64 v[0:1], v[0:1], v[30:31]
	ds_read_b128 v[30:33], v254 offset:1344
	s_waitcnt vmcnt(58) lgkmcnt(1)
	v_mul_f64 v[34:35], v[26:27], v[160:161]
	s_waitcnt vmcnt(56)
	v_fmac_f64_e32 v[34:35], v[28:29], v[164:165]
	v_add_f64 v[0:1], v[0:1], v[34:35]
	ds_read_b128 v[34:37], v254 offset:1360
	s_waitcnt lgkmcnt(1)
	v_mul_f64 v[38:39], v[30:31], v[140:141]
	v_fmac_f64_e32 v[38:39], v[32:33], v[142:143]
	v_add_f64 v[0:1], v[0:1], v[38:39]
	ds_read_b128 v[38:41], v254 offset:1376
	s_waitcnt vmcnt(50) lgkmcnt(1)
	v_mul_f64 v[42:43], v[34:35], v[168:169]
	s_waitcnt vmcnt(48)
	v_fmac_f64_e32 v[42:43], v[36:37], v[172:173]
	v_add_f64 v[0:1], v[0:1], v[42:43]
	ds_read_b128 v[42:45], v254 offset:1392
	s_waitcnt lgkmcnt(1)
	v_mul_f64 v[46:47], v[38:39], v[148:149]
	v_fmac_f64_e32 v[46:47], v[40:41], v[150:151]
	v_add_f64 v[0:1], v[0:1], v[46:47]
	ds_read_b128 v[46:49], v254 offset:1408
	buffer_load_dword v209, off, s[0:3], 0 offset:780
	buffer_load_dword v211, off, s[0:3], 0 offset:764
	;; [unrolled: 1-line block ×12, first 2 shown]
	s_waitcnt vmcnt(54) lgkmcnt(1)
	v_mul_f64 v[50:51], v[42:43], v[176:177]
	s_waitcnt vmcnt(52)
	v_fmac_f64_e32 v[50:51], v[44:45], v[180:181]
	v_add_f64 v[0:1], v[0:1], v[50:51]
	ds_read_b128 v[50:53], v254 offset:1424
	s_waitcnt lgkmcnt(1)
	v_mul_f64 v[54:55], v[46:47], v[152:153]
	v_fmac_f64_e32 v[54:55], v[48:49], v[154:155]
	buffer_load_dword v231, off, s[0:3], 0 offset:812
	buffer_load_dword v230, off, s[0:3], 0 offset:808
	;; [unrolled: 1-line block ×12, first 2 shown]
	v_add_f64 v[0:1], v[0:1], v[54:55]
	ds_read_b128 v[54:57], v254 offset:1440
	s_waitcnt vmcnt(58) lgkmcnt(1)
	v_mul_f64 v[58:59], v[50:51], v[184:185]
	s_waitcnt vmcnt(56)
	v_fmac_f64_e32 v[58:59], v[52:53], v[188:189]
	v_add_f64 v[0:1], v[0:1], v[58:59]
	ds_read_b128 v[58:61], v254 offset:1456
	s_waitcnt lgkmcnt(1)
	v_mul_f64 v[62:63], v[54:55], v[156:157]
	v_fmac_f64_e32 v[62:63], v[56:57], v[158:159]
	v_add_f64 v[0:1], v[0:1], v[62:63]
	ds_read_b128 v[62:65], v254 offset:1472
	ds_read_b128 v[66:69], v254 offset:1488
	s_waitcnt vmcnt(50) lgkmcnt(2)
	v_mul_f64 v[70:71], v[58:59], v[192:193]
	s_waitcnt vmcnt(48)
	v_fmac_f64_e32 v[70:71], v[60:61], v[194:195]
	v_add_f64 v[0:1], v[0:1], v[70:71]
	s_waitcnt lgkmcnt(1)
	v_mul_f64 v[70:71], v[62:63], v[162:163]
	v_fmac_f64_e32 v[70:71], v[64:65], v[166:167]
	v_add_f64 v[0:1], v[0:1], v[70:71]
	s_waitcnt vmcnt(42) lgkmcnt(0)
	v_mul_f64 v[70:71], v[66:67], v[196:197]
	s_waitcnt vmcnt(40)
	v_fmac_f64_e32 v[70:71], v[68:69], v[198:199]
	v_add_f64 v[0:1], v[0:1], v[70:71]
	ds_read_b128 v[70:73], v254 offset:1504
	ds_read_b128 v[74:77], v254 offset:1520
	;; [unrolled: 1-line block ×3, first 2 shown]
	v_mul_f64 v[88:89], v[88:89], v[94:95]
	v_fma_f64 v[218:219], v[86:87], v[250:251], -v[88:89]
	ds_read_b128 v[86:89], v254 offset:1568
	s_waitcnt lgkmcnt(3)
	v_mul_f64 v[84:85], v[70:71], v[170:171]
	v_fmac_f64_e32 v[84:85], v[72:73], v[174:175]
	s_waitcnt vmcnt(34) lgkmcnt(2)
	v_mul_f64 v[82:83], v[74:75], v[200:201]
	v_add_f64 v[0:1], v[0:1], v[84:85]
	s_waitcnt vmcnt(32)
	v_fmac_f64_e32 v[82:83], v[76:77], v[202:203]
	v_add_f64 v[0:1], v[0:1], v[82:83]
	s_waitcnt lgkmcnt(1)
	v_mul_f64 v[82:83], v[78:79], v[178:179]
	v_fmac_f64_e32 v[82:83], v[80:81], v[182:183]
	v_add_f64 v[0:1], v[0:1], v[82:83]
	ds_read_b128 v[82:85], v254 offset:1552
	v_mul_f64 v[92:93], v[92:93], v[116:117]
	v_fma_f64 v[220:221], v[90:91], v[248:249], -v[92:93]
	ds_read_b128 v[90:93], v254 offset:1584
	ds_read_b128 v[98:101], v254 offset:1616
	s_waitcnt vmcnt(26) lgkmcnt(2)
	v_mul_f64 v[94:95], v[82:83], v[204:205]
	s_waitcnt vmcnt(24)
	v_fmac_f64_e32 v[94:95], v[84:85], v[206:207]
	v_add_f64 v[0:1], v[0:1], v[94:95]
	v_mul_f64 v[94:95], v[86:87], v[186:187]
	v_fmac_f64_e32 v[94:95], v[88:89], v[190:191]
	v_add_f64 v[0:1], v[0:1], v[94:95]
	ds_read_b128 v[94:97], v254 offset:1600
	v_mul_f64 v[104:105], v[104:105], v[244:245]
	v_mul_f64 v[112:113], v[112:113], v[240:241]
	v_fma_f64 v[250:251], v[102:103], v[246:247], -v[104:105]
	v_fma_f64 v[252:253], v[110:111], v[242:243], -v[112:113]
	ds_read_b128 v[110:113], v254 offset:1664
	v_mul_f64 v[4:5], v[4:5], v[120:121]
	v_fma_f64 v[2:3], v[2:3], v[126:127], -v[4:5]
	ds_read_b128 v[102:105], v254 offset:1648
	s_waitcnt vmcnt(21) lgkmcnt(4)
	v_mul_f64 v[106:107], v[90:91], v[210:211]
	s_waitcnt vmcnt(19)
	v_fmac_f64_e32 v[106:107], v[92:93], v[224:225]
	v_add_f64 v[0:1], v[0:1], v[106:107]
	s_waitcnt vmcnt(18) lgkmcnt(2)
	v_mul_f64 v[106:107], v[94:95], v[208:209]
	s_waitcnt vmcnt(16)
	v_fmac_f64_e32 v[106:107], v[96:97], v[214:215]
	v_add_f64 v[0:1], v[0:1], v[106:107]
	ds_read_b128 v[106:109], v254 offset:1632
	buffer_load_dword v243, off, s[0:3], 0 offset:860
	buffer_load_dword v242, off, s[0:3], 0 offset:856
	;; [unrolled: 1-line block ×4, first 2 shown]
	s_waitcnt vmcnt(18)
	v_mul_f64 v[114:115], v[98:99], v[212:213]
	s_waitcnt vmcnt(16)
	v_fmac_f64_e32 v[114:115], v[100:101], v[226:227]
	v_add_f64 v[0:1], v[0:1], v[114:115]
	s_waitcnt vmcnt(14) lgkmcnt(0)
	v_mul_f64 v[114:115], v[106:107], v[230:231]
	s_waitcnt vmcnt(12)
	v_fmac_f64_e32 v[114:115], v[108:109], v[232:233]
	v_add_f64 v[0:1], v[0:1], v[114:115]
	s_waitcnt vmcnt(9)
	v_mul_f64 v[114:115], v[102:103], v[236:237]
	s_waitcnt vmcnt(7)
	v_fmac_f64_e32 v[114:115], v[104:105], v[238:239]
	v_add_f64 v[0:1], v[0:1], v[114:115]
	s_waitcnt vmcnt(5)
	v_mul_f64 v[114:115], v[110:111], v[228:229]
	s_waitcnt vmcnt(4)
	v_fmac_f64_e32 v[114:115], v[112:113], v[234:235]
	v_add_f64 v[0:1], v[0:1], v[114:115]
	ds_read_b128 v[114:117], v254 offset:1680
	buffer_load_dword v248, off, s[0:3], 0 offset:272
	buffer_load_dword v249, off, s[0:3], 0 offset:276
	;; [unrolled: 1-line block ×4, first 2 shown]
	s_waitcnt vmcnt(6) lgkmcnt(0)
	v_mul_f64 v[240:241], v[114:115], v[242:243]
	s_waitcnt vmcnt(4)
	v_fmac_f64_e32 v[240:241], v[116:117], v[244:245]
	v_add_f64 v[240:241], v[0:1], v[240:241]
	v_add_f64 v[0:1], v[118:119], 0
	;; [unrolled: 1-line block ×9, first 2 shown]
	v_mul_f64 v[2:3], v[8:9], v[122:123]
	v_fma_f64 v[2:3], v[6:7], v[124:125], -v[2:3]
	v_add_f64 v[0:1], v[0:1], v[2:3]
	v_mul_f64 v[2:3], v[12:13], v[132:133]
	v_fma_f64 v[2:3], v[10:11], v[134:135], -v[2:3]
	v_add_f64 v[0:1], v[0:1], v[2:3]
	;; [unrolled: 3-line block ×28, first 2 shown]
	v_accvgpr_read_b32 v255, a158
	s_waitcnt vmcnt(2)
	v_add_f64 v[0:1], v[248:249], -v[0:1]
	v_cmp_lt_u32_e32 vcc, 15, v255
	s_waitcnt vmcnt(0)
	v_add_f64 v[2:3], v[246:247], -v[240:241]
	buffer_store_dword v1, off, s[0:3], 0 offset:276
	buffer_store_dword v0, off, s[0:3], 0 offset:272
	;; [unrolled: 1-line block ×4, first 2 shown]
	s_and_saveexec_b64 s[4:5], vcc
	s_cbranch_execz .LBB116_301
; %bb.300:
	v_accvgpr_read_b32 v0, a143
	buffer_load_dword v2, v0, s[0:3], 0 offen
	buffer_load_dword v3, v0, s[0:3], 0 offen offset:4
	buffer_load_dword v4, v0, s[0:3], 0 offen offset:8
	;; [unrolled: 1-line block ×3, first 2 shown]
	v_mov_b32_e32 v0, 0
	v_accvgpr_read_b32 v1, a159
	buffer_store_dword v0, off, s[0:3], 0 offset:256
	buffer_store_dword v0, off, s[0:3], 0 offset:260
	;; [unrolled: 1-line block ×4, first 2 shown]
	s_waitcnt vmcnt(4)
	ds_write_b128 v1, v[2:5]
.LBB116_301:
	s_or_b64 exec, exec, s[4:5]
	s_waitcnt lgkmcnt(0)
	; wave barrier
	s_waitcnt lgkmcnt(0)
	buffer_load_dword v66, off, s[0:3], 0 offset:272
	buffer_load_dword v67, off, s[0:3], 0 offset:276
	;; [unrolled: 1-line block ×55, first 2 shown]
	v_mov_b32_e32 v254, 0
	ds_read_b128 v[74:77], v254 offset:1104
	ds_read_b128 v[86:89], v254 offset:1120
	;; [unrolled: 1-line block ×9, first 2 shown]
	buffer_load_dword v138, off, s[0:3], 0 offset:496
	buffer_load_dword v157, off, s[0:3], 0 offset:492
	;; [unrolled: 1-line block ×61, first 2 shown]
	v_cmp_lt_u32_e32 vcc, 14, v255
	s_waitcnt vmcnt(62) lgkmcnt(8)
	v_mul_f64 v[0:1], v[74:75], v[68:69]
	v_fmac_f64_e32 v[0:1], v[76:77], v[66:67]
	v_add_f64 v[0:1], v[0:1], 0
	v_mul_f64 v[68:69], v[76:77], v[68:69]
	s_waitcnt lgkmcnt(7)
	v_mul_f64 v[6:7], v[86:87], v[72:73]
	v_fmac_f64_e32 v[6:7], v[88:89], v[70:71]
	s_waitcnt lgkmcnt(6)
	v_mul_f64 v[8:9], v[98:99], v[78:79]
	v_add_f64 v[0:1], v[0:1], v[6:7]
	s_waitcnt lgkmcnt(4)
	v_mul_f64 v[12:13], v[114:115], v[90:91]
	v_fma_f64 v[118:119], v[74:75], v[66:67], -v[68:69]
	v_fmac_f64_e32 v[12:13], v[116:117], v[92:93]
	v_mul_f64 v[72:73], v[88:89], v[72:73]
	v_mul_f64 v[10:11], v[110:111], v[82:83]
	v_fma_f64 v[216:217], v[86:87], v[70:71], -v[72:73]
	s_waitcnt lgkmcnt(2)
	v_mul_f64 v[16:17], v[244:245], v[102:103]
	v_mul_f64 v[78:79], v[100:101], v[78:79]
	;; [unrolled: 1-line block ×5, first 2 shown]
	s_waitcnt lgkmcnt(1)
	v_mul_f64 v[18:19], v[248:249], v[106:107]
	v_fmac_f64_e32 v[18:19], v[250:251], v[108:109]
	v_fmac_f64_e32 v[8:9], v[100:101], v[80:81]
	v_add_f64 v[0:1], v[0:1], v[8:9]
	v_fmac_f64_e32 v[10:11], v[112:113], v[84:85]
	v_add_f64 v[0:1], v[0:1], v[10:11]
	;; [unrolled: 2-line block ×3, first 2 shown]
	ds_read_b128 v[6:9], v254 offset:1248
	v_fmac_f64_e32 v[16:17], v[246:247], v[104:105]
	v_add_f64 v[0:1], v[0:1], v[14:15]
	v_add_f64 v[0:1], v[0:1], v[16:17]
	s_waitcnt lgkmcnt(1)
	v_mul_f64 v[10:11], v[2:3], v[120:121]
	v_add_f64 v[0:1], v[0:1], v[18:19]
	v_fmac_f64_e32 v[10:11], v[4:5], v[122:123]
	v_add_f64 v[0:1], v[0:1], v[10:11]
	ds_read_b128 v[10:13], v254 offset:1264
	s_waitcnt lgkmcnt(1)
	v_mul_f64 v[14:15], v[6:7], v[128:129]
	v_fmac_f64_e32 v[14:15], v[8:9], v[130:131]
	v_add_f64 v[0:1], v[0:1], v[14:15]
	ds_read_b128 v[14:17], v254 offset:1280
	s_waitcnt lgkmcnt(1)
	v_mul_f64 v[18:19], v[10:11], v[124:125]
	;; [unrolled: 5-line block ×4, first 2 shown]
	v_fmac_f64_e32 v[26:27], v[20:21], v[134:135]
	v_add_f64 v[0:1], v[0:1], v[26:27]
	ds_read_b128 v[26:29], v254 offset:1328
	s_waitcnt vmcnt(58) lgkmcnt(1)
	v_mul_f64 v[30:31], v[22:23], v[156:157]
	s_waitcnt vmcnt(56)
	v_fmac_f64_e32 v[30:31], v[24:25], v[160:161]
	v_add_f64 v[0:1], v[0:1], v[30:31]
	ds_read_b128 v[30:33], v254 offset:1344
	s_waitcnt lgkmcnt(1)
	v_mul_f64 v[34:35], v[26:27], v[136:137]
	v_fmac_f64_e32 v[34:35], v[28:29], v[138:139]
	v_add_f64 v[0:1], v[0:1], v[34:35]
	ds_read_b128 v[34:37], v254 offset:1360
	s_waitcnt vmcnt(50) lgkmcnt(1)
	v_mul_f64 v[38:39], v[30:31], v[164:165]
	s_waitcnt vmcnt(48)
	v_fmac_f64_e32 v[38:39], v[32:33], v[168:169]
	v_add_f64 v[0:1], v[0:1], v[38:39]
	ds_read_b128 v[38:41], v254 offset:1376
	s_waitcnt lgkmcnt(1)
	v_mul_f64 v[42:43], v[34:35], v[144:145]
	v_fmac_f64_e32 v[42:43], v[36:37], v[146:147]
	v_add_f64 v[0:1], v[0:1], v[42:43]
	ds_read_b128 v[42:45], v254 offset:1392
	s_waitcnt vmcnt(42) lgkmcnt(1)
	v_mul_f64 v[46:47], v[38:39], v[172:173]
	s_waitcnt vmcnt(40)
	v_fmac_f64_e32 v[46:47], v[40:41], v[176:177]
	v_add_f64 v[0:1], v[0:1], v[46:47]
	ds_read_b128 v[46:49], v254 offset:1408
	buffer_load_dword v205, off, s[0:3], 0 offset:748
	buffer_load_dword v204, off, s[0:3], 0 offset:744
	;; [unrolled: 1-line block ×4, first 2 shown]
	s_waitcnt lgkmcnt(1)
	v_mul_f64 v[50:51], v[42:43], v[148:149]
	v_fmac_f64_e32 v[50:51], v[44:45], v[150:151]
	v_add_f64 v[0:1], v[0:1], v[50:51]
	ds_read_b128 v[50:53], v254 offset:1424
	buffer_load_dword v209, off, s[0:3], 0 offset:764
	buffer_load_dword v208, off, s[0:3], 0 offset:760
	;; [unrolled: 1-line block ×8, first 2 shown]
	s_waitcnt vmcnt(46) lgkmcnt(1)
	v_mul_f64 v[54:55], v[46:47], v[180:181]
	s_waitcnt vmcnt(44)
	v_fmac_f64_e32 v[54:55], v[48:49], v[184:185]
	v_add_f64 v[0:1], v[0:1], v[54:55]
	ds_read_b128 v[54:57], v254 offset:1440
	buffer_load_dword v227, off, s[0:3], 0 offset:796
	buffer_load_dword v226, off, s[0:3], 0 offset:792
	;; [unrolled: 1-line block ×12, first 2 shown]
	s_waitcnt lgkmcnt(1)
	v_mul_f64 v[58:59], v[50:51], v[152:153]
	v_fmac_f64_e32 v[58:59], v[52:53], v[154:155]
	v_add_f64 v[0:1], v[0:1], v[58:59]
	ds_read_b128 v[58:61], v254 offset:1456
	s_waitcnt vmcnt(50) lgkmcnt(1)
	v_mul_f64 v[62:63], v[54:55], v[188:189]
	s_waitcnt vmcnt(48)
	v_fmac_f64_e32 v[62:63], v[56:57], v[190:191]
	v_add_f64 v[0:1], v[0:1], v[62:63]
	buffer_load_dword v237, off, s[0:3], 0 offset:844
	buffer_load_dword v236, off, s[0:3], 0 offset:840
	;; [unrolled: 1-line block ×4, first 2 shown]
	s_waitcnt lgkmcnt(0)
	v_mul_f64 v[62:63], v[58:59], v[158:159]
	v_fmac_f64_e32 v[62:63], v[60:61], v[162:163]
	v_add_f64 v[0:1], v[0:1], v[62:63]
	ds_read_b128 v[62:65], v254 offset:1472
	ds_read_b128 v[66:69], v254 offset:1488
	;; [unrolled: 1-line block ×3, first 2 shown]
	v_fma_f64 v[218:219], v[98:99], v[80:81], -v[78:79]
	ds_read_b128 v[78:81], v254 offset:1536
	s_waitcnt vmcnt(46) lgkmcnt(3)
	v_mul_f64 v[74:75], v[62:63], v[192:193]
	s_waitcnt vmcnt(44)
	v_fmac_f64_e32 v[74:75], v[64:65], v[194:195]
	v_add_f64 v[0:1], v[0:1], v[74:75]
	s_waitcnt lgkmcnt(2)
	v_mul_f64 v[74:75], v[66:67], v[166:167]
	v_fmac_f64_e32 v[74:75], v[68:69], v[170:171]
	v_add_f64 v[0:1], v[0:1], v[74:75]
	ds_read_b128 v[74:77], v254 offset:1520
	s_waitcnt vmcnt(38) lgkmcnt(2)
	v_mul_f64 v[86:87], v[70:71], v[196:197]
	s_waitcnt vmcnt(36)
	v_fmac_f64_e32 v[86:87], v[72:73], v[198:199]
	v_fma_f64 v[220:221], v[110:111], v[84:85], -v[82:83]
	ds_read_b128 v[82:85], v254 offset:1552
	v_add_f64 v[0:1], v[0:1], v[86:87]
	s_waitcnt lgkmcnt(1)
	v_mul_f64 v[86:87], v[74:75], v[174:175]
	v_fmac_f64_e32 v[86:87], v[76:77], v[178:179]
	v_add_f64 v[0:1], v[0:1], v[86:87]
	s_waitcnt vmcnt(30)
	v_mul_f64 v[86:87], v[78:79], v[200:201]
	s_waitcnt vmcnt(28)
	v_fmac_f64_e32 v[86:87], v[80:81], v[202:203]
	v_add_f64 v[0:1], v[0:1], v[86:87]
	s_waitcnt lgkmcnt(0)
	v_mul_f64 v[86:87], v[82:83], v[182:183]
	v_fmac_f64_e32 v[86:87], v[84:85], v[186:187]
	v_add_f64 v[0:1], v[0:1], v[86:87]
	ds_read_b128 v[86:89], v254 offset:1568
	v_fma_f64 v[222:223], v[114:115], v[92:93], -v[90:91]
	ds_read_b128 v[90:93], v254 offset:1584
	v_mul_f64 v[94:95], v[242:243], v[94:95]
	v_fma_f64 v[252:253], v[240:241], v[96:97], -v[94:95]
	ds_read_b128 v[94:97], v254 offset:1600
	v_mul_f64 v[102:103], v[246:247], v[102:103]
	;; [unrolled: 3-line block ×3, first 2 shown]
	v_fma_f64 v[250:251], v[248:249], v[108:109], -v[106:107]
	v_mul_f64 v[4:5], v[4:5], v[120:121]
	v_fma_f64 v[2:3], v[2:3], v[122:123], -v[4:5]
	ds_read_b128 v[106:109], v254 offset:1648
	s_waitcnt vmcnt(26) lgkmcnt(4)
	v_mul_f64 v[98:99], v[86:87], v[204:205]
	s_waitcnt vmcnt(24)
	v_fmac_f64_e32 v[98:99], v[88:89], v[206:207]
	v_add_f64 v[0:1], v[0:1], v[98:99]
	s_waitcnt vmcnt(22) lgkmcnt(3)
	v_mul_f64 v[98:99], v[90:91], v[208:209]
	s_waitcnt vmcnt(20)
	v_fmac_f64_e32 v[98:99], v[92:93], v[212:213]
	v_add_f64 v[0:1], v[0:1], v[98:99]
	;; [unrolled: 5-line block ×3, first 2 shown]
	ds_read_b128 v[98:101], v254 offset:1616
	s_waitcnt vmcnt(14) lgkmcnt(0)
	v_mul_f64 v[110:111], v[98:99], v[226:227]
	s_waitcnt vmcnt(12)
	v_fmac_f64_e32 v[110:111], v[100:101], v[228:229]
	v_add_f64 v[0:1], v[0:1], v[110:111]
	s_waitcnt vmcnt(9)
	v_mul_f64 v[110:111], v[102:103], v[232:233]
	s_waitcnt vmcnt(7)
	v_fmac_f64_e32 v[110:111], v[104:105], v[234:235]
	v_add_f64 v[0:1], v[0:1], v[110:111]
	s_waitcnt vmcnt(5)
	v_mul_f64 v[110:111], v[106:107], v[224:225]
	s_waitcnt vmcnt(4)
	v_fmac_f64_e32 v[110:111], v[108:109], v[230:231]
	v_add_f64 v[0:1], v[0:1], v[110:111]
	ds_read_b128 v[110:113], v254 offset:1664
	buffer_load_dword v242, off, s[0:3], 0 offset:856
	buffer_load_dword v243, off, s[0:3], 0 offset:860
	;; [unrolled: 1-line block ×4, first 2 shown]
	s_waitcnt vmcnt(6) lgkmcnt(0)
	v_mul_f64 v[114:115], v[110:111], v[236:237]
	s_waitcnt vmcnt(4)
	v_fmac_f64_e32 v[114:115], v[112:113], v[238:239]
	v_add_f64 v[0:1], v[0:1], v[114:115]
	ds_read_b128 v[114:117], v254 offset:1680
	buffer_load_dword v248, off, s[0:3], 0 offset:256
	buffer_load_dword v249, off, s[0:3], 0 offset:260
	s_waitcnt vmcnt(4) lgkmcnt(0)
	v_mul_f64 v[240:241], v[114:115], v[242:243]
	s_waitcnt vmcnt(2)
	v_fmac_f64_e32 v[240:241], v[116:117], v[244:245]
	v_add_f64 v[240:241], v[0:1], v[240:241]
	v_add_f64 v[0:1], v[118:119], 0
	;; [unrolled: 1-line block ×8, first 2 shown]
	buffer_load_dword v246, off, s[0:3], 0 offset:264
	buffer_load_dword v247, off, s[0:3], 0 offset:268
	v_add_f64 v[0:1], v[252:253], v[250:251]
	v_add_f64 v[0:1], v[0:1], v[2:3]
	v_mul_f64 v[2:3], v[8:9], v[128:129]
	v_fma_f64 v[2:3], v[6:7], v[130:131], -v[2:3]
	v_add_f64 v[0:1], v[0:1], v[2:3]
	v_mul_f64 v[2:3], v[12:13], v[124:125]
	v_fma_f64 v[2:3], v[10:11], v[126:127], -v[2:3]
	;; [unrolled: 3-line block ×28, first 2 shown]
	v_add_f64 v[0:1], v[0:1], v[2:3]
	s_waitcnt vmcnt(2)
	v_add_f64 v[0:1], v[248:249], -v[0:1]
	s_waitcnt vmcnt(0)
	v_add_f64 v[2:3], v[246:247], -v[240:241]
	buffer_store_dword v1, off, s[0:3], 0 offset:260
	buffer_store_dword v0, off, s[0:3], 0 offset:256
	;; [unrolled: 1-line block ×4, first 2 shown]
	s_and_saveexec_b64 s[4:5], vcc
	s_cbranch_execz .LBB116_303
; %bb.302:
	v_accvgpr_read_b32 v0, a144
	buffer_load_dword v2, v0, s[0:3], 0 offen
	buffer_load_dword v3, v0, s[0:3], 0 offen offset:4
	buffer_load_dword v4, v0, s[0:3], 0 offen offset:8
	;; [unrolled: 1-line block ×3, first 2 shown]
	v_accvgpr_read_b32 v0, a159
	buffer_store_dword v254, off, s[0:3], 0 offset:240
	buffer_store_dword v254, off, s[0:3], 0 offset:244
	;; [unrolled: 1-line block ×4, first 2 shown]
	s_waitcnt vmcnt(4)
	ds_write_b128 v0, v[2:5]
.LBB116_303:
	s_or_b64 exec, exec, s[4:5]
	s_waitcnt lgkmcnt(0)
	; wave barrier
	s_waitcnt lgkmcnt(0)
	buffer_load_dword v66, off, s[0:3], 0 offset:256
	buffer_load_dword v67, off, s[0:3], 0 offset:260
	;; [unrolled: 1-line block ×42, first 2 shown]
	ds_read_b128 v[78:81], v254 offset:1088
	ds_read_b128 v[90:93], v254 offset:1104
	;; [unrolled: 1-line block ×10, first 2 shown]
	buffer_load_dword v131, off, s[0:3], 0 offset:404
	buffer_load_dword v130, off, s[0:3], 0 offset:400
	ds_read_b128 v[6:9], v254 offset:1248
	buffer_load_dword v127, off, s[0:3], 0 offset:460
	buffer_load_dword v126, off, s[0:3], 0 offset:456
	;; [unrolled: 1-line block ×80, first 2 shown]
	s_waitcnt vmcnt(62) lgkmcnt(9)
	v_mul_f64 v[10:11], v[90:91], v[64:65]
	v_fmac_f64_e32 v[10:11], v[92:93], v[62:63]
	s_waitcnt lgkmcnt(8)
	v_mul_f64 v[12:13], v[102:103], v[70:71]
	v_mul_f64 v[64:65], v[92:93], v[64:65]
	s_waitcnt lgkmcnt(6)
	v_mul_f64 v[16:17], v[114:115], v[82:83]
	v_fma_f64 v[220:221], v[90:91], v[62:63], -v[64:65]
	v_fmac_f64_e32 v[16:17], v[116:117], v[84:85]
	v_mul_f64 v[70:71], v[104:105], v[70:71]
	v_mul_f64 v[14:15], v[110:111], v[74:75]
	;; [unrolled: 1-line block ×3, first 2 shown]
	s_waitcnt lgkmcnt(4)
	v_mul_f64 v[20:21], v[244:245], v[94:95]
	v_mul_f64 v[82:83], v[116:117], v[82:83]
	v_fmac_f64_e32 v[20:21], v[246:247], v[96:97]
	v_mul_f64 v[94:95], v[246:247], v[94:95]
	v_mul_f64 v[18:19], v[240:241], v[86:87]
	;; [unrolled: 1-line block ×3, first 2 shown]
	s_waitcnt lgkmcnt(2)
	v_mul_f64 v[24:25], v[216:217], v[106:107]
	v_fma_f64 v[246:247], v[244:245], v[96:97], -v[94:95]
	v_mul_f64 v[22:23], v[248:249], v[98:99]
	v_mul_f64 v[98:99], v[250:251], v[98:99]
	s_waitcnt lgkmcnt(1)
	v_mul_f64 v[26:27], v[120:121], v[4:5]
	v_fmac_f64_e32 v[12:13], v[104:105], v[72:73]
	v_fma_f64 v[222:223], v[102:103], v[72:73], -v[70:71]
	v_fmac_f64_e32 v[14:15], v[112:113], v[76:77]
	v_fma_f64 v[252:253], v[110:111], v[76:77], -v[74:75]
	;; [unrolled: 2-line block ×3, first 2 shown]
	v_fmac_f64_e32 v[22:23], v[250:251], v[100:101]
	v_fmac_f64_e32 v[24:25], v[218:219], v[108:109]
	v_fma_f64 v[250:251], v[248:249], v[100:101], -v[98:99]
	v_pk_mov_b32 v[2:3], v[0:1], v[0:1] op_sel:[0,1]
	v_mul_f64 v[0:1], v[78:79], v[68:69]
	v_fmac_f64_e32 v[0:1], v[80:81], v[66:67]
	v_add_f64 v[0:1], v[0:1], 0
	v_add_f64 v[0:1], v[0:1], v[10:11]
	;; [unrolled: 1-line block ×9, first 2 shown]
	v_fmac_f64_e32 v[26:27], v[122:123], v[130:131]
	ds_read_b128 v[10:13], v254 offset:1264
	s_waitcnt lgkmcnt(1)
	v_mul_f64 v[14:15], v[6:7], v[2:3]
	v_add_f64 v[0:1], v[0:1], v[26:27]
	v_fmac_f64_e32 v[14:15], v[8:9], v[124:125]
	v_add_f64 v[0:1], v[0:1], v[14:15]
	ds_read_b128 v[14:17], v254 offset:1280
	s_waitcnt lgkmcnt(1)
	v_mul_f64 v[18:19], v[10:11], v[132:133]
	v_fmac_f64_e32 v[18:19], v[12:13], v[148:149]
	v_add_f64 v[0:1], v[0:1], v[18:19]
	ds_read_b128 v[18:21], v254 offset:1296
	s_waitcnt lgkmcnt(1)
	v_mul_f64 v[22:23], v[14:15], v[126:127]
	;; [unrolled: 5-line block ×4, first 2 shown]
	v_fmac_f64_e32 v[30:31], v[24:25], v[136:137]
	v_add_f64 v[0:1], v[0:1], v[30:31]
	ds_read_b128 v[30:33], v254 offset:1344
	s_waitcnt vmcnt(58) lgkmcnt(1)
	v_mul_f64 v[34:35], v[26:27], v[160:161]
	s_waitcnt vmcnt(56)
	v_fmac_f64_e32 v[34:35], v[28:29], v[164:165]
	v_add_f64 v[0:1], v[0:1], v[34:35]
	ds_read_b128 v[34:37], v254 offset:1360
	s_waitcnt lgkmcnt(1)
	v_mul_f64 v[38:39], v[30:31], v[138:139]
	v_fmac_f64_e32 v[38:39], v[32:33], v[140:141]
	v_add_f64 v[0:1], v[0:1], v[38:39]
	ds_read_b128 v[38:41], v254 offset:1376
	s_waitcnt vmcnt(50) lgkmcnt(1)
	v_mul_f64 v[42:43], v[34:35], v[168:169]
	s_waitcnt vmcnt(48)
	v_fmac_f64_e32 v[42:43], v[36:37], v[172:173]
	v_add_f64 v[0:1], v[0:1], v[42:43]
	ds_read_b128 v[42:45], v254 offset:1392
	s_waitcnt lgkmcnt(1)
	v_mul_f64 v[46:47], v[38:39], v[142:143]
	;; [unrolled: 11-line block ×3, first 2 shown]
	buffer_load_dword v209, off, s[0:3], 0 offset:764
	buffer_load_dword v208, off, s[0:3], 0 offset:760
	;; [unrolled: 1-line block ×4, first 2 shown]
	v_fmac_f64_e32 v[54:55], v[48:49], v[150:151]
	v_add_f64 v[0:1], v[0:1], v[54:55]
	ds_read_b128 v[54:57], v254 offset:1440
	buffer_load_dword v214, off, s[0:3], 0 offset:776
	buffer_load_dword v224, off, s[0:3], 0 offset:768
	;; [unrolled: 1-line block ×16, first 2 shown]
	s_waitcnt vmcnt(54) lgkmcnt(1)
	v_mul_f64 v[58:59], v[50:51], v[184:185]
	s_waitcnt vmcnt(52)
	v_fmac_f64_e32 v[58:59], v[52:53], v[188:189]
	v_add_f64 v[0:1], v[0:1], v[58:59]
	ds_read_b128 v[58:61], v254 offset:1456
	buffer_load_dword v236, off, s[0:3], 0 offset:840
	buffer_load_dword v238, off, s[0:3], 0 offset:832
	;; [unrolled: 1-line block ×4, first 2 shown]
	v_mul_f64 v[68:69], v[80:81], v[68:69]
	ds_read_b128 v[62:65], v254 offset:1472
	ds_read_b128 v[70:73], v254 offset:1504
	v_fma_f64 v[118:119], v[78:79], v[66:67], -v[68:69]
	s_waitcnt lgkmcnt(3)
	v_mul_f64 v[66:67], v[54:55], v[154:155]
	v_fmac_f64_e32 v[66:67], v[56:57], v[158:159]
	v_add_f64 v[0:1], v[0:1], v[66:67]
	s_waitcnt vmcnt(50) lgkmcnt(2)
	v_mul_f64 v[66:67], v[58:59], v[192:193]
	s_waitcnt vmcnt(48)
	v_fmac_f64_e32 v[66:67], v[60:61], v[194:195]
	v_add_f64 v[0:1], v[0:1], v[66:67]
	s_waitcnt lgkmcnt(1)
	v_mul_f64 v[66:67], v[62:63], v[162:163]
	v_fmac_f64_e32 v[66:67], v[64:65], v[166:167]
	v_add_f64 v[0:1], v[0:1], v[66:67]
	ds_read_b128 v[66:69], v254 offset:1488
	ds_read_b128 v[74:77], v254 offset:1520
	v_accvgpr_write_b32 a161, v3
	v_accvgpr_write_b32 a160, v2
	v_fma_f64 v[2:3], v[114:115], v[84:85], -v[82:83]
	s_waitcnt vmcnt(42) lgkmcnt(1)
	v_mul_f64 v[78:79], v[66:67], v[196:197]
	s_waitcnt vmcnt(40)
	v_fmac_f64_e32 v[78:79], v[68:69], v[198:199]
	v_add_f64 v[0:1], v[0:1], v[78:79]
	v_mul_f64 v[78:79], v[70:71], v[170:171]
	v_fmac_f64_e32 v[78:79], v[72:73], v[174:175]
	v_add_f64 v[0:1], v[0:1], v[78:79]
	ds_read_b128 v[78:81], v254 offset:1536
	ds_read_b128 v[82:85], v254 offset:1552
	s_waitcnt vmcnt(34) lgkmcnt(2)
	v_mul_f64 v[90:91], v[74:75], v[200:201]
	s_waitcnt vmcnt(32)
	v_fmac_f64_e32 v[90:91], v[76:77], v[202:203]
	ds_read_b128 v[86:89], v254 offset:1568
	ds_read_b128 v[94:97], v254 offset:1600
	v_add_f64 v[0:1], v[0:1], v[90:91]
	s_waitcnt lgkmcnt(3)
	v_mul_f64 v[90:91], v[78:79], v[178:179]
	v_fmac_f64_e32 v[90:91], v[80:81], v[182:183]
	v_add_f64 v[0:1], v[0:1], v[90:91]
	s_waitcnt vmcnt(26) lgkmcnt(2)
	v_mul_f64 v[90:91], v[82:83], v[204:205]
	s_waitcnt vmcnt(24)
	v_fmac_f64_e32 v[90:91], v[84:85], v[206:207]
	v_add_f64 v[0:1], v[0:1], v[90:91]
	s_waitcnt lgkmcnt(1)
	v_mul_f64 v[90:91], v[86:87], v[186:187]
	v_fmac_f64_e32 v[90:91], v[88:89], v[190:191]
	v_add_f64 v[0:1], v[0:1], v[90:91]
	ds_read_b128 v[90:93], v254 offset:1584
	ds_read_b128 v[98:101], v254 offset:1616
	v_add_f64 v[118:119], v[118:119], 0
	v_add_f64 v[118:119], v[118:119], v[220:221]
	;; [unrolled: 1-line block ×6, first 2 shown]
	s_waitcnt vmcnt(13) lgkmcnt(0)
	v_mul_f64 v[112:113], v[98:99], v[226:227]
	v_mul_f64 v[102:103], v[90:91], v[208:209]
	s_waitcnt vmcnt(11)
	v_fmac_f64_e32 v[112:113], v[100:101], v[232:233]
	v_fmac_f64_e32 v[102:103], v[92:93], v[210:211]
	v_add_f64 v[0:1], v[0:1], v[102:103]
	v_mul_f64 v[102:103], v[94:95], v[214:215]
	v_fmac_f64_e32 v[102:103], v[96:97], v[224:225]
	v_add_f64 v[110:111], v[0:1], v[102:103]
	ds_read_b128 v[102:105], v254 offset:1632
	v_mul_f64 v[0:1], v[218:219], v[106:107]
	v_fma_f64 v[0:1], v[216:217], v[108:109], -v[0:1]
	ds_read_b128 v[106:109], v254 offset:1648
	v_add_f64 v[110:111], v[110:111], v[112:113]
	s_waitcnt vmcnt(10) lgkmcnt(1)
	v_mul_f64 v[112:113], v[102:103], v[212:213]
	s_waitcnt vmcnt(8)
	v_fmac_f64_e32 v[112:113], v[104:105], v[230:231]
	v_add_f64 v[110:111], v[110:111], v[112:113]
	s_waitcnt vmcnt(6) lgkmcnt(0)
	v_mul_f64 v[112:113], v[106:107], v[228:229]
	s_waitcnt vmcnt(4)
	v_fmac_f64_e32 v[112:113], v[108:109], v[234:235]
	v_add_f64 v[114:115], v[110:111], v[112:113]
	ds_read_b128 v[110:113], v254 offset:1664
	buffer_load_dword v243, off, s[0:3], 0 offset:860
	buffer_load_dword v242, off, s[0:3], 0 offset:856
	;; [unrolled: 1-line block ×4, first 2 shown]
	s_waitcnt vmcnt(5) lgkmcnt(0)
	v_mul_f64 v[116:117], v[110:111], v[236:237]
	s_waitcnt vmcnt(4)
	v_fmac_f64_e32 v[116:117], v[112:113], v[238:239]
	v_add_f64 v[216:217], v[114:115], v[116:117]
	ds_read_b128 v[114:117], v254 offset:1680
	v_add_f64 v[254:255], v[2:3], v[246:247]
	buffer_load_dword v248, off, s[0:3], 0 offset:240
	buffer_load_dword v249, off, s[0:3], 0 offset:244
	;; [unrolled: 1-line block ×4, first 2 shown]
	v_add_f64 v[2:3], v[254:255], v[250:251]
	v_add_f64 v[0:1], v[2:3], v[0:1]
	v_mul_f64 v[2:3], v[122:123], v[4:5]
	v_fma_f64 v[2:3], v[120:121], v[130:131], -v[2:3]
	v_add_f64 v[0:1], v[0:1], v[2:3]
	v_accvgpr_read_b32 v2, a160
	v_accvgpr_read_b32 v3, a161
	v_mul_f64 v[2:3], v[8:9], v[2:3]
	v_fma_f64 v[2:3], v[6:7], v[124:125], -v[2:3]
	v_add_f64 v[0:1], v[0:1], v[2:3]
	v_mul_f64 v[2:3], v[12:13], v[132:133]
	v_fma_f64 v[2:3], v[10:11], v[148:149], -v[2:3]
	v_add_f64 v[0:1], v[0:1], v[2:3]
	;; [unrolled: 3-line block ×27, first 2 shown]
	s_waitcnt vmcnt(6) lgkmcnt(0)
	v_mul_f64 v[2:3], v[116:117], v[242:243]
	v_mul_f64 v[218:219], v[114:115], v[242:243]
	s_waitcnt vmcnt(4)
	v_fma_f64 v[2:3], v[114:115], v[244:245], -v[2:3]
	v_fmac_f64_e32 v[218:219], v[116:117], v[244:245]
	v_add_f64 v[0:1], v[0:1], v[2:3]
	v_accvgpr_read_b32 v255, a158
	v_add_f64 v[216:217], v[216:217], v[218:219]
	s_waitcnt vmcnt(2)
	v_add_f64 v[0:1], v[248:249], -v[0:1]
	v_cmp_lt_u32_e32 vcc, 13, v255
	s_waitcnt vmcnt(0)
	v_add_f64 v[2:3], v[246:247], -v[216:217]
	buffer_store_dword v1, off, s[0:3], 0 offset:244
	buffer_store_dword v0, off, s[0:3], 0 offset:240
	buffer_store_dword v3, off, s[0:3], 0 offset:252
	buffer_store_dword v2, off, s[0:3], 0 offset:248
	s_and_saveexec_b64 s[4:5], vcc
	s_cbranch_execz .LBB116_305
; %bb.304:
	v_accvgpr_read_b32 v0, a145
	buffer_load_dword v2, v0, s[0:3], 0 offen
	buffer_load_dword v3, v0, s[0:3], 0 offen offset:4
	buffer_load_dword v4, v0, s[0:3], 0 offen offset:8
	;; [unrolled: 1-line block ×3, first 2 shown]
	v_mov_b32_e32 v0, 0
	v_accvgpr_read_b32 v1, a159
	buffer_store_dword v0, off, s[0:3], 0 offset:224
	buffer_store_dword v0, off, s[0:3], 0 offset:228
	;; [unrolled: 1-line block ×4, first 2 shown]
	s_waitcnt vmcnt(4)
	ds_write_b128 v1, v[2:5]
.LBB116_305:
	s_or_b64 exec, exec, s[4:5]
	s_waitcnt lgkmcnt(0)
	; wave barrier
	s_waitcnt lgkmcnt(0)
	buffer_load_dword v54, off, s[0:3], 0 offset:240
	buffer_load_dword v55, off, s[0:3], 0 offset:244
	;; [unrolled: 1-line block ×49, first 2 shown]
	v_mov_b32_e32 v254, 0
	ds_read_b128 v[62:65], v254 offset:1072
	ds_read_b128 v[74:77], v254 offset:1088
	;; [unrolled: 1-line block ×11, first 2 shown]
	buffer_load_dword v128, off, s[0:3], 0 offset:424
	buffer_load_dword v145, off, s[0:3], 0 offset:420
	;; [unrolled: 1-line block ×75, first 2 shown]
	v_cmp_lt_u32_e32 vcc, 12, v255
	s_waitcnt vmcnt(62) lgkmcnt(9)
	v_mul_f64 v[6:7], v[74:75], v[60:61]
	v_fmac_f64_e32 v[6:7], v[76:77], v[58:59]
	s_waitcnt lgkmcnt(8)
	v_mul_f64 v[8:9], v[86:87], v[66:67]
	v_mul_f64 v[60:61], v[76:77], v[60:61]
	s_waitcnt lgkmcnt(6)
	v_mul_f64 v[12:13], v[110:111], v[78:79]
	v_fma_f64 v[220:221], v[74:75], v[58:59], -v[60:61]
	v_fmac_f64_e32 v[12:13], v[112:113], v[80:81]
	v_mul_f64 v[66:67], v[88:89], v[66:67]
	v_mul_f64 v[10:11], v[98:99], v[70:71]
	;; [unrolled: 1-line block ×3, first 2 shown]
	s_waitcnt lgkmcnt(4)
	v_mul_f64 v[16:17], v[216:217], v[90:91]
	v_mul_f64 v[78:79], v[112:113], v[78:79]
	v_fmac_f64_e32 v[16:17], v[218:219], v[92:93]
	v_fma_f64 v[252:253], v[110:111], v[80:81], -v[78:79]
	v_mul_f64 v[14:15], v[114:115], v[82:83]
	v_mul_f64 v[82:83], v[116:117], v[82:83]
	s_waitcnt lgkmcnt(2)
	v_mul_f64 v[20:21], v[240:241], v[102:103]
	v_mul_f64 v[90:91], v[218:219], v[90:91]
	v_fma_f64 v[216:217], v[216:217], v[92:93], -v[90:91]
	v_mul_f64 v[18:19], v[236:237], v[94:95]
	v_mul_f64 v[94:95], v[238:239], v[94:95]
	s_waitcnt lgkmcnt(1)
	v_mul_f64 v[22:23], v[244:245], v[106:107]
	v_mul_f64 v[102:103], v[242:243], v[102:103]
	v_fmac_f64_e32 v[8:9], v[88:89], v[68:69]
	v_fma_f64 v[222:223], v[86:87], v[68:69], -v[66:67]
	v_fmac_f64_e32 v[10:11], v[100:101], v[72:73]
	v_fma_f64 v[248:249], v[98:99], v[72:73], -v[70:71]
	;; [unrolled: 2-line block ×3, first 2 shown]
	v_fmac_f64_e32 v[18:19], v[238:239], v[96:97]
	v_fmac_f64_e32 v[20:21], v[242:243], v[104:105]
	;; [unrolled: 1-line block ×3, first 2 shown]
	v_fma_f64 v[218:219], v[236:237], v[96:97], -v[94:95]
	v_pk_mov_b32 v[2:3], v[0:1], v[0:1] op_sel:[0,1]
	v_mul_f64 v[0:1], v[62:63], v[56:57]
	v_fmac_f64_e32 v[0:1], v[64:65], v[54:55]
	v_add_f64 v[0:1], v[0:1], 0
	v_add_f64 v[0:1], v[0:1], v[6:7]
	v_add_f64 v[0:1], v[0:1], v[8:9]
	v_add_f64 v[0:1], v[0:1], v[10:11]
	v_add_f64 v[0:1], v[0:1], v[12:13]
	v_add_f64 v[0:1], v[0:1], v[14:15]
	v_add_f64 v[0:1], v[0:1], v[16:17]
	v_add_f64 v[0:1], v[0:1], v[18:19]
	v_add_f64 v[0:1], v[0:1], v[20:21]
	ds_read_b128 v[6:9], v254 offset:1248
	s_waitcnt lgkmcnt(1)
	v_mul_f64 v[10:11], v[120:121], v[4:5]
	v_add_f64 v[0:1], v[0:1], v[22:23]
	v_fmac_f64_e32 v[10:11], v[122:123], v[2:3]
	v_add_f64 v[0:1], v[0:1], v[10:11]
	ds_read_b128 v[10:13], v254 offset:1264
	s_waitcnt lgkmcnt(1)
	v_mul_f64 v[14:15], v[6:7], v[128:129]
	v_fmac_f64_e32 v[14:15], v[8:9], v[144:145]
	v_add_f64 v[0:1], v[0:1], v[14:15]
	ds_read_b128 v[14:17], v254 offset:1280
	s_waitcnt lgkmcnt(1)
	v_mul_f64 v[18:19], v[10:11], v[124:125]
	;; [unrolled: 5-line block ×4, first 2 shown]
	v_fmac_f64_e32 v[26:27], v[20:21], v[132:133]
	v_add_f64 v[0:1], v[0:1], v[26:27]
	ds_read_b128 v[26:29], v254 offset:1328
	s_waitcnt vmcnt(58) lgkmcnt(1)
	v_mul_f64 v[30:31], v[22:23], v[156:157]
	s_waitcnt vmcnt(56)
	v_fmac_f64_e32 v[30:31], v[24:25], v[160:161]
	v_add_f64 v[0:1], v[0:1], v[30:31]
	ds_read_b128 v[30:33], v254 offset:1344
	s_waitcnt lgkmcnt(1)
	v_mul_f64 v[34:35], v[26:27], v[134:135]
	v_fmac_f64_e32 v[34:35], v[28:29], v[136:137]
	v_add_f64 v[0:1], v[0:1], v[34:35]
	ds_read_b128 v[34:37], v254 offset:1360
	s_waitcnt vmcnt(50) lgkmcnt(1)
	v_mul_f64 v[38:39], v[30:31], v[164:165]
	s_waitcnt vmcnt(48)
	v_fmac_f64_e32 v[38:39], v[32:33], v[168:169]
	v_add_f64 v[0:1], v[0:1], v[38:39]
	ds_read_b128 v[38:41], v254 offset:1376
	s_waitcnt lgkmcnt(1)
	v_mul_f64 v[42:43], v[34:35], v[138:139]
	;; [unrolled: 11-line block ×3, first 2 shown]
	buffer_load_dword v205, off, s[0:3], 0 offset:748
	buffer_load_dword v204, off, s[0:3], 0 offset:744
	;; [unrolled: 1-line block ×4, first 2 shown]
	v_fmac_f64_e32 v[50:51], v[44:45], v[146:147]
	v_add_f64 v[0:1], v[0:1], v[50:51]
	ds_read_b128 v[50:53], v254 offset:1424
	buffer_load_dword v208, off, s[0:3], 0 offset:760
	buffer_load_dword v210, off, s[0:3], 0 offset:752
	;; [unrolled: 1-line block ×20, first 2 shown]
	s_waitcnt vmcnt(58) lgkmcnt(1)
	v_mul_f64 v[118:119], v[46:47], v[180:181]
	s_waitcnt vmcnt(56)
	v_fmac_f64_e32 v[118:119], v[48:49], v[184:185]
	v_mul_f64 v[56:57], v[64:65], v[56:57]
	v_add_f64 v[0:1], v[0:1], v[118:119]
	v_fma_f64 v[118:119], v[62:63], v[54:55], -v[56:57]
	ds_read_b128 v[54:57], v254 offset:1440
	ds_read_b128 v[58:61], v254 offset:1456
	s_waitcnt lgkmcnt(2)
	v_mul_f64 v[62:63], v[50:51], v[150:151]
	v_fmac_f64_e32 v[62:63], v[52:53], v[154:155]
	v_add_f64 v[0:1], v[0:1], v[62:63]
	s_waitcnt vmcnt(50) lgkmcnt(1)
	v_mul_f64 v[62:63], v[54:55], v[188:189]
	s_waitcnt vmcnt(48)
	v_fmac_f64_e32 v[62:63], v[56:57], v[190:191]
	v_add_f64 v[0:1], v[0:1], v[62:63]
	s_waitcnt lgkmcnt(0)
	v_mul_f64 v[62:63], v[58:59], v[158:159]
	v_fmac_f64_e32 v[62:63], v[60:61], v[162:163]
	v_add_f64 v[0:1], v[0:1], v[62:63]
	ds_read_b128 v[62:65], v254 offset:1472
	ds_read_b128 v[66:69], v254 offset:1488
	;; [unrolled: 1-line block ×5, first 2 shown]
	s_waitcnt vmcnt(42) lgkmcnt(4)
	v_mul_f64 v[74:75], v[62:63], v[192:193]
	s_waitcnt vmcnt(40)
	v_fmac_f64_e32 v[74:75], v[64:65], v[194:195]
	v_add_f64 v[0:1], v[0:1], v[74:75]
	s_waitcnt lgkmcnt(3)
	v_mul_f64 v[74:75], v[66:67], v[166:167]
	v_fmac_f64_e32 v[74:75], v[68:69], v[170:171]
	v_add_f64 v[0:1], v[0:1], v[74:75]
	ds_read_b128 v[74:77], v254 offset:1520
	s_waitcnt vmcnt(34) lgkmcnt(3)
	v_mul_f64 v[86:87], v[70:71], v[196:197]
	s_waitcnt vmcnt(32)
	v_fmac_f64_e32 v[86:87], v[72:73], v[198:199]
	v_add_f64 v[0:1], v[0:1], v[86:87]
	ds_read_b128 v[90:93], v254 offset:1584
	s_waitcnt lgkmcnt(1)
	v_mul_f64 v[86:87], v[74:75], v[174:175]
	v_fmac_f64_e32 v[86:87], v[76:77], v[178:179]
	v_add_f64 v[0:1], v[0:1], v[86:87]
	s_waitcnt vmcnt(26)
	v_mul_f64 v[86:87], v[78:79], v[200:201]
	s_waitcnt vmcnt(24)
	v_fmac_f64_e32 v[86:87], v[80:81], v[202:203]
	v_add_f64 v[0:1], v[0:1], v[86:87]
	v_mul_f64 v[86:87], v[82:83], v[182:183]
	v_fmac_f64_e32 v[86:87], v[84:85], v[186:187]
	v_add_f64 v[0:1], v[0:1], v[86:87]
	ds_read_b128 v[86:89], v254 offset:1568
	ds_read_b128 v[94:97], v254 offset:1600
	v_accvgpr_write_b32 a161, v3
	v_accvgpr_write_b32 a160, v2
	v_fma_f64 v[2:3], v[240:241], v[104:105], -v[102:103]
	ds_read_b128 v[102:105], v254 offset:1632
	v_add_f64 v[118:119], v[118:119], 0
	v_add_f64 v[118:119], v[118:119], v[220:221]
	;; [unrolled: 1-line block ×9, first 2 shown]
	v_mul_f64 v[2:3], v[122:123], v[4:5]
	v_accvgpr_read_b32 v4, a160
	v_accvgpr_read_b32 v5, a161
	v_fma_f64 v[2:3], v[120:121], v[4:5], -v[2:3]
	s_waitcnt vmcnt(22) lgkmcnt(2)
	v_mul_f64 v[98:99], v[86:87], v[204:205]
	s_waitcnt vmcnt(20)
	v_fmac_f64_e32 v[98:99], v[88:89], v[206:207]
	v_add_f64 v[0:1], v[0:1], v[98:99]
	s_waitcnt vmcnt(17)
	v_mul_f64 v[98:99], v[90:91], v[208:209]
	s_waitcnt vmcnt(16)
	v_fmac_f64_e32 v[98:99], v[92:93], v[210:211]
	v_add_f64 v[0:1], v[0:1], v[98:99]
	ds_read_b128 v[98:101], v254 offset:1616
	s_waitcnt vmcnt(14) lgkmcnt(2)
	v_mul_f64 v[110:111], v[94:95], v[214:215]
	s_waitcnt vmcnt(12)
	v_fmac_f64_e32 v[110:111], v[96:97], v[226:227]
	v_add_f64 v[110:111], v[0:1], v[110:111]
	v_mul_f64 v[0:1], v[246:247], v[106:107]
	v_fma_f64 v[0:1], v[244:245], v[108:109], -v[0:1]
	ds_read_b128 v[106:109], v254 offset:1648
	buffer_load_dword v237, off, s[0:3], 0 offset:844
	buffer_load_dword v236, off, s[0:3], 0 offset:840
	;; [unrolled: 1-line block ×4, first 2 shown]
	s_waitcnt vmcnt(14) lgkmcnt(1)
	v_mul_f64 v[112:113], v[98:99], v[224:225]
	s_waitcnt vmcnt(12)
	v_fmac_f64_e32 v[112:113], v[100:101], v[228:229]
	v_add_f64 v[110:111], v[110:111], v[112:113]
	s_waitcnt vmcnt(9)
	v_mul_f64 v[112:113], v[102:103], v[232:233]
	s_waitcnt vmcnt(7)
	v_fmac_f64_e32 v[112:113], v[104:105], v[234:235]
	v_add_f64 v[110:111], v[110:111], v[112:113]
	s_waitcnt vmcnt(5) lgkmcnt(0)
	v_mul_f64 v[112:113], v[106:107], v[212:213]
	s_waitcnt vmcnt(4)
	v_fmac_f64_e32 v[112:113], v[108:109], v[230:231]
	v_add_f64 v[114:115], v[110:111], v[112:113]
	ds_read_b128 v[110:113], v254 offset:1664
	buffer_load_dword v242, off, s[0:3], 0 offset:856
	buffer_load_dword v243, off, s[0:3], 0 offset:860
	;; [unrolled: 1-line block ×4, first 2 shown]
	v_add_f64 v[0:1], v[252:253], v[0:1]
	v_add_f64 v[0:1], v[0:1], v[2:3]
	v_mul_f64 v[2:3], v[8:9], v[128:129]
	v_fma_f64 v[2:3], v[6:7], v[144:145], -v[2:3]
	v_add_f64 v[0:1], v[0:1], v[2:3]
	v_mul_f64 v[2:3], v[12:13], v[124:125]
	v_fma_f64 v[2:3], v[10:11], v[126:127], -v[2:3]
	;; [unrolled: 3-line block ×21, first 2 shown]
	v_add_f64 v[0:1], v[0:1], v[2:3]
	v_mul_f64 v[2:3], v[92:93], v[208:209]
	s_waitcnt vmcnt(6) lgkmcnt(0)
	v_mul_f64 v[116:117], v[110:111], v[236:237]
	v_fma_f64 v[2:3], v[90:91], v[210:211], -v[2:3]
	s_waitcnt vmcnt(4)
	v_fmac_f64_e32 v[116:117], v[112:113], v[238:239]
	v_add_f64 v[240:241], v[114:115], v[116:117]
	ds_read_b128 v[114:117], v254 offset:1680
	buffer_load_dword v248, off, s[0:3], 0 offset:224
	buffer_load_dword v249, off, s[0:3], 0 offset:228
	v_add_f64 v[0:1], v[0:1], v[2:3]
	v_mul_f64 v[2:3], v[96:97], v[214:215]
	v_fma_f64 v[2:3], v[94:95], v[226:227], -v[2:3]
	v_add_f64 v[0:1], v[0:1], v[2:3]
	v_mul_f64 v[2:3], v[100:101], v[224:225]
	s_waitcnt vmcnt(4) lgkmcnt(0)
	v_mul_f64 v[246:247], v[114:115], v[242:243]
	v_fma_f64 v[2:3], v[98:99], v[228:229], -v[2:3]
	s_waitcnt vmcnt(2)
	v_fmac_f64_e32 v[246:247], v[116:117], v[244:245]
	v_add_f64 v[240:241], v[240:241], v[246:247]
	buffer_load_dword v246, off, s[0:3], 0 offset:232
	buffer_load_dword v247, off, s[0:3], 0 offset:236
	v_add_f64 v[0:1], v[0:1], v[2:3]
	v_mul_f64 v[2:3], v[104:105], v[232:233]
	v_fma_f64 v[2:3], v[102:103], v[234:235], -v[2:3]
	v_add_f64 v[0:1], v[0:1], v[2:3]
	v_mul_f64 v[2:3], v[108:109], v[212:213]
	v_fma_f64 v[2:3], v[106:107], v[230:231], -v[2:3]
	;; [unrolled: 3-line block ×4, first 2 shown]
	v_add_f64 v[0:1], v[0:1], v[2:3]
	s_waitcnt vmcnt(2)
	v_add_f64 v[0:1], v[248:249], -v[0:1]
	s_waitcnt vmcnt(0)
	v_add_f64 v[2:3], v[246:247], -v[240:241]
	buffer_store_dword v1, off, s[0:3], 0 offset:228
	buffer_store_dword v0, off, s[0:3], 0 offset:224
	;; [unrolled: 1-line block ×4, first 2 shown]
	s_and_saveexec_b64 s[4:5], vcc
	s_cbranch_execz .LBB116_307
; %bb.306:
	v_accvgpr_read_b32 v0, a146
	buffer_load_dword v2, v0, s[0:3], 0 offen
	buffer_load_dword v3, v0, s[0:3], 0 offen offset:4
	buffer_load_dword v4, v0, s[0:3], 0 offen offset:8
	;; [unrolled: 1-line block ×3, first 2 shown]
	v_accvgpr_read_b32 v0, a159
	buffer_store_dword v254, off, s[0:3], 0 offset:208
	buffer_store_dword v254, off, s[0:3], 0 offset:212
	;; [unrolled: 1-line block ×4, first 2 shown]
	s_waitcnt vmcnt(4)
	ds_write_b128 v0, v[2:5]
.LBB116_307:
	s_or_b64 exec, exec, s[4:5]
	s_waitcnt lgkmcnt(0)
	; wave barrier
	s_waitcnt lgkmcnt(0)
	buffer_load_dword v56, off, s[0:3], 0 offset:224
	buffer_load_dword v57, off, s[0:3], 0 offset:228
	;; [unrolled: 1-line block ×42, first 2 shown]
	ds_read_b128 v[78:81], v254 offset:1056
	ds_read_b128 v[90:93], v254 offset:1072
	;; [unrolled: 1-line block ×10, first 2 shown]
	buffer_load_dword v1, off, s[0:3], 0 offset:372
	buffer_load_dword v0, off, s[0:3], 0 offset:368
	ds_read_b128 v[106:109], v254 offset:1216
	buffer_load_dword v3, off, s[0:3], 0 offset:428
	buffer_load_dword v2, off, s[0:3], 0 offset:424
	s_waitcnt vmcnt(38) lgkmcnt(9)
	v_mul_f64 v[4:5], v[90:91], v[62:63]
	v_fmac_f64_e32 v[4:5], v[92:93], v[54:55]
	s_waitcnt vmcnt(36) lgkmcnt(8)
	v_mul_f64 v[6:7], v[114:115], v[58:59]
	v_mul_f64 v[58:59], v[116:117], v[58:59]
	s_waitcnt vmcnt(34) lgkmcnt(6)
	v_mul_f64 v[10:11], v[236:237], v[70:71]
	v_mul_f64 v[70:71], v[238:239], v[70:71]
	s_waitcnt vmcnt(32)
	v_fmac_f64_e32 v[10:11], v[238:239], v[72:73]
	s_waitcnt vmcnt(30)
	v_mul_f64 v[8:9], v[216:217], v[64:65]
	s_waitcnt vmcnt(28) lgkmcnt(4)
	v_mul_f64 v[14:15], v[244:245], v[82:83]
	v_mul_f64 v[82:83], v[246:247], v[82:83]
	s_waitcnt vmcnt(26)
	v_fmac_f64_e32 v[14:15], v[246:247], v[84:85]
	v_fma_f64 v[246:247], v[244:245], v[84:85], -v[82:83]
	s_waitcnt vmcnt(24)
	v_mul_f64 v[12:13], v[240:241], v[74:75]
	v_mul_f64 v[74:75], v[242:243], v[74:75]
	s_waitcnt vmcnt(22) lgkmcnt(2)
	v_mul_f64 v[18:19], v[220:221], v[94:95]
	v_mul_f64 v[94:95], v[222:223], v[94:95]
	s_waitcnt vmcnt(19)
	v_mul_f64 v[16:17], v[248:249], v[86:87]
	v_mul_f64 v[86:87], v[250:251], v[86:87]
	s_waitcnt vmcnt(17) lgkmcnt(1)
	v_mul_f64 v[20:21], v[98:99], v[102:103]
	s_waitcnt vmcnt(15)
	v_fmac_f64_e32 v[6:7], v[116:117], v[68:69]
	s_waitcnt vmcnt(13)
	v_fmac_f64_e32 v[8:9], v[218:219], v[66:67]
	;; [unrolled: 2-line block ×3, first 2 shown]
	v_fma_f64 v[240:241], v[240:241], v[76:77], -v[74:75]
	s_waitcnt vmcnt(9)
	v_fmac_f64_e32 v[16:17], v[250:251], v[88:89]
	s_waitcnt vmcnt(8)
	v_fmac_f64_e32 v[18:19], v[222:223], v[96:97]
	v_fma_f64 v[248:249], v[248:249], v[88:89], -v[86:87]
	v_fma_f64 v[220:221], v[220:221], v[96:97], -v[94:95]
	s_waitcnt vmcnt(2)
	v_fmac_f64_e32 v[20:21], v[100:101], v[0:1]
	v_mul_f64 v[100:101], v[100:101], v[102:103]
	s_waitcnt vmcnt(0)
	v_pk_mov_b32 v[22:23], v[2:3], v[2:3] op_sel:[0,1]
	buffer_load_dword v3, off, s[0:3], 0 offset:420
	buffer_load_dword v2, off, s[0:3], 0 offset:416
	;; [unrolled: 1-line block ×78, first 2 shown]
	ds_read_b128 v[120:123], v254 offset:1232
	v_accvgpr_write_b32 a161, v23
	v_accvgpr_write_b32 a160, v22
	v_fma_f64 v[250:251], v[98:99], v[0:1], -v[100:101]
	s_waitcnt vmcnt(62)
	v_pk_mov_b32 v[24:25], v[2:3], v[2:3] op_sel:[0,1]
	v_mul_f64 v[2:3], v[78:79], v[60:61]
	v_fmac_f64_e32 v[2:3], v[80:81], v[56:57]
	v_add_f64 v[2:3], v[2:3], 0
	v_add_f64 v[2:3], v[2:3], v[4:5]
	;; [unrolled: 1-line block ×9, first 2 shown]
	s_waitcnt lgkmcnt(1)
	v_mul_f64 v[8:9], v[106:107], v[110:111]
	v_add_f64 v[6:7], v[2:3], v[20:21]
	v_fmac_f64_e32 v[8:9], v[108:109], v[112:113]
	v_add_f64 v[10:11], v[6:7], v[8:9]
	ds_read_b128 v[6:9], v254 offset:1248
	s_waitcnt lgkmcnt(1)
	v_mul_f64 v[12:13], v[120:121], v[124:125]
	v_fmac_f64_e32 v[12:13], v[122:123], v[140:141]
	v_add_f64 v[14:15], v[10:11], v[12:13]
	ds_read_b128 v[10:13], v254 offset:1264
	s_waitcnt lgkmcnt(1)
	v_mul_f64 v[16:17], v[6:7], v[22:23]
	;; [unrolled: 5-line block ×3, first 2 shown]
	v_fmac_f64_e32 v[20:21], v[12:13], v[148:149]
	v_add_f64 v[22:23], v[18:19], v[20:21]
	ds_read_b128 v[18:21], v254 offset:1296
	v_accvgpr_write_b32 a163, v25
	v_accvgpr_write_b32 a162, v24
	s_waitcnt lgkmcnt(1)
	v_mul_f64 v[24:25], v[14:15], v[126:127]
	v_fmac_f64_e32 v[24:25], v[16:17], v[128:129]
	v_add_f64 v[26:27], v[22:23], v[24:25]
	ds_read_b128 v[22:25], v254 offset:1312
	s_waitcnt vmcnt(58) lgkmcnt(1)
	v_mul_f64 v[28:29], v[18:19], v[152:153]
	s_waitcnt vmcnt(56)
	v_fmac_f64_e32 v[28:29], v[20:21], v[156:157]
	v_add_f64 v[30:31], v[26:27], v[28:29]
	ds_read_b128 v[26:29], v254 offset:1328
	s_waitcnt lgkmcnt(1)
	v_mul_f64 v[32:33], v[22:23], v[130:131]
	v_fmac_f64_e32 v[32:33], v[24:25], v[132:133]
	v_add_f64 v[34:35], v[30:31], v[32:33]
	ds_read_b128 v[30:33], v254 offset:1344
	s_waitcnt vmcnt(50) lgkmcnt(1)
	v_mul_f64 v[36:37], v[26:27], v[160:161]
	s_waitcnt vmcnt(48)
	v_fmac_f64_e32 v[36:37], v[28:29], v[164:165]
	v_add_f64 v[38:39], v[34:35], v[36:37]
	ds_read_b128 v[34:37], v254 offset:1360
	;; [unrolled: 11-line block ×4, first 2 shown]
	buffer_load_dword v200, off, s[0:3], 0 offset:744
	buffer_load_dword v205, off, s[0:3], 0 offset:732
	;; [unrolled: 1-line block ×28, first 2 shown]
	s_waitcnt lgkmcnt(1)
	v_mul_f64 v[118:119], v[46:47], v[146:147]
	v_fmac_f64_e32 v[118:119], v[48:49], v[150:151]
	v_mul_f64 v[60:61], v[80:81], v[60:61]
	v_add_f64 v[104:105], v[104:105], v[118:119]
	s_waitcnt vmcnt(54) lgkmcnt(0)
	v_mul_f64 v[118:119], v[50:51], v[184:185]
	v_fma_f64 v[252:253], v[78:79], v[56:57], -v[60:61]
	v_mul_f64 v[56:57], v[92:93], v[62:63]
	v_fma_f64 v[2:3], v[90:91], v[54:55], -v[56:57]
	s_waitcnt vmcnt(52)
	v_fmac_f64_e32 v[118:119], v[52:53], v[186:187]
	ds_read_b128 v[54:57], v254 offset:1440
	v_add_f64 v[4:5], v[104:105], v[118:119]
	v_fma_f64 v[118:119], v[114:115], v[68:69], -v[58:59]
	ds_read_b128 v[58:61], v254 offset:1456
	v_mul_f64 v[62:63], v[218:219], v[64:65]
	v_fma_f64 v[216:217], v[216:217], v[66:67], -v[62:63]
	ds_read_b128 v[62:65], v254 offset:1472
	s_waitcnt lgkmcnt(2)
	v_mul_f64 v[68:69], v[54:55], v[154:155]
	v_fmac_f64_e32 v[68:69], v[56:57], v[158:159]
	s_waitcnt vmcnt(46) lgkmcnt(1)
	v_mul_f64 v[66:67], v[58:59], v[188:189]
	v_add_f64 v[4:5], v[4:5], v[68:69]
	s_waitcnt vmcnt(44)
	v_fmac_f64_e32 v[66:67], v[60:61], v[190:191]
	v_add_f64 v[4:5], v[4:5], v[66:67]
	v_fma_f64 v[218:219], v[236:237], v[72:73], -v[70:71]
	ds_read_b128 v[70:73], v254 offset:1504
	s_waitcnt lgkmcnt(1)
	v_mul_f64 v[66:67], v[62:63], v[162:163]
	v_fmac_f64_e32 v[66:67], v[64:65], v[166:167]
	v_add_f64 v[4:5], v[4:5], v[66:67]
	ds_read_b128 v[66:69], v254 offset:1488
	ds_read_b128 v[74:77], v254 offset:1520
	;; [unrolled: 1-line block ×5, first 2 shown]
	s_waitcnt vmcnt(38) lgkmcnt(4)
	v_mul_f64 v[78:79], v[66:67], v[192:193]
	s_waitcnt vmcnt(36)
	v_fmac_f64_e32 v[78:79], v[68:69], v[194:195]
	v_add_f64 v[4:5], v[4:5], v[78:79]
	v_mul_f64 v[78:79], v[70:71], v[170:171]
	v_fmac_f64_e32 v[78:79], v[72:73], v[174:175]
	v_add_f64 v[4:5], v[4:5], v[78:79]
	s_waitcnt vmcnt(30) lgkmcnt(3)
	v_mul_f64 v[78:79], v[74:75], v[196:197]
	s_waitcnt vmcnt(28)
	v_fmac_f64_e32 v[78:79], v[76:77], v[198:199]
	v_add_f64 v[4:5], v[4:5], v[78:79]
	ds_read_b128 v[78:81], v254 offset:1536
	ds_read_b128 v[98:101], v254 offset:1616
	s_waitcnt lgkmcnt(1)
	v_mul_f64 v[90:91], v[78:79], v[178:179]
	v_fmac_f64_e32 v[90:91], v[80:81], v[182:183]
	v_add_f64 v[4:5], v[4:5], v[90:91]
	s_waitcnt vmcnt(25)
	v_mul_f64 v[90:91], v[82:83], v[204:205]
	s_waitcnt vmcnt(23)
	v_fmac_f64_e32 v[90:91], v[84:85], v[206:207]
	v_add_f64 v[4:5], v[4:5], v[90:91]
	s_waitcnt vmcnt(21)
	v_mul_f64 v[90:91], v[86:87], v[200:201]
	s_waitcnt vmcnt(20)
	v_fmac_f64_e32 v[90:91], v[88:89], v[202:203]
	v_add_f64 v[4:5], v[4:5], v[90:91]
	ds_read_b128 v[90:93], v254 offset:1584
	s_waitcnt vmcnt(18) lgkmcnt(0)
	v_mul_f64 v[104:105], v[90:91], v[208:209]
	s_waitcnt vmcnt(16)
	v_fmac_f64_e32 v[104:105], v[92:93], v[210:211]
	v_add_f64 v[0:1], v[4:5], v[104:105]
	s_waitcnt vmcnt(14)
	v_mul_f64 v[4:5], v[94:95], v[214:215]
	s_waitcnt vmcnt(12)
	v_fmac_f64_e32 v[4:5], v[96:97], v[224:225]
	ds_read_b128 v[102:105], v254 offset:1632
	v_add_f64 v[4:5], v[0:1], v[4:5]
	v_mul_f64 v[0:1], v[108:109], v[110:111]
	v_fma_f64 v[0:1], v[106:107], v[112:113], -v[0:1]
	ds_read_b128 v[106:109], v254 offset:1648
	buffer_load_dword v236, off, s[0:3], 0 offset:840
	buffer_load_dword v237, off, s[0:3], 0 offset:844
	;; [unrolled: 1-line block ×4, first 2 shown]
	s_waitcnt vmcnt(13)
	v_mul_f64 v[110:111], v[98:99], v[228:229]
	s_waitcnt vmcnt(11)
	v_fmac_f64_e32 v[110:111], v[100:101], v[232:233]
	v_add_f64 v[4:5], v[4:5], v[110:111]
	s_waitcnt vmcnt(9) lgkmcnt(1)
	v_mul_f64 v[110:111], v[102:103], v[212:213]
	s_waitcnt vmcnt(8)
	v_fmac_f64_e32 v[110:111], v[104:105], v[226:227]
	v_add_f64 v[4:5], v[4:5], v[110:111]
	s_waitcnt vmcnt(6) lgkmcnt(0)
	v_mul_f64 v[110:111], v[106:107], v[230:231]
	s_waitcnt vmcnt(4)
	v_fmac_f64_e32 v[110:111], v[108:109], v[234:235]
	v_add_f64 v[4:5], v[4:5], v[110:111]
	ds_read_b128 v[110:113], v254 offset:1664
	buffer_load_dword v243, off, s[0:3], 0 offset:860
	buffer_load_dword v242, off, s[0:3], 0 offset:856
	;; [unrolled: 1-line block ×4, first 2 shown]
	s_waitcnt vmcnt(6) lgkmcnt(0)
	v_mul_f64 v[114:115], v[110:111], v[236:237]
	s_waitcnt vmcnt(4)
	v_fmac_f64_e32 v[114:115], v[112:113], v[238:239]
	v_add_f64 v[4:5], v[4:5], v[114:115]
	ds_read_b128 v[114:117], v254 offset:1680
	s_waitcnt vmcnt(2) lgkmcnt(0)
	v_mul_f64 v[222:223], v[114:115], v[242:243]
	s_waitcnt vmcnt(0)
	v_fmac_f64_e32 v[222:223], v[116:117], v[244:245]
	v_add_f64 v[4:5], v[4:5], v[222:223]
	v_add_f64 v[222:223], v[252:253], 0
	;; [unrolled: 1-line block ×9, first 2 shown]
	buffer_load_dword v248, off, s[0:3], 0 offset:208
	buffer_load_dword v249, off, s[0:3], 0 offset:212
	;; [unrolled: 1-line block ×4, first 2 shown]
	v_add_f64 v[254:255], v[2:3], v[220:221]
	v_add_f64 v[2:3], v[254:255], v[250:251]
	;; [unrolled: 1-line block ×3, first 2 shown]
	v_mul_f64 v[2:3], v[122:123], v[124:125]
	v_fma_f64 v[2:3], v[120:121], v[140:141], -v[2:3]
	v_add_f64 v[0:1], v[0:1], v[2:3]
	v_accvgpr_read_b32 v2, a160
	v_accvgpr_read_b32 v3, a161
	v_mul_f64 v[2:3], v[8:9], v[2:3]
	v_accvgpr_read_b32 v8, a162
	v_accvgpr_read_b32 v9, a163
	v_fma_f64 v[2:3], v[6:7], v[8:9], -v[2:3]
	v_add_f64 v[0:1], v[0:1], v[2:3]
	v_mul_f64 v[2:3], v[12:13], v[144:145]
	v_fma_f64 v[2:3], v[10:11], v[148:149], -v[2:3]
	v_add_f64 v[0:1], v[0:1], v[2:3]
	v_mul_f64 v[2:3], v[16:17], v[126:127]
	;; [unrolled: 3-line block ×27, first 2 shown]
	v_fma_f64 v[2:3], v[114:115], v[244:245], -v[2:3]
	v_add_f64 v[0:1], v[0:1], v[2:3]
	v_accvgpr_read_b32 v255, a158
	s_waitcnt vmcnt(2)
	v_add_f64 v[0:1], v[248:249], -v[0:1]
	v_cmp_lt_u32_e32 vcc, 11, v255
	s_waitcnt vmcnt(0)
	v_add_f64 v[2:3], v[246:247], -v[4:5]
	buffer_store_dword v1, off, s[0:3], 0 offset:212
	buffer_store_dword v0, off, s[0:3], 0 offset:208
	;; [unrolled: 1-line block ×4, first 2 shown]
	s_and_saveexec_b64 s[4:5], vcc
	s_cbranch_execz .LBB116_309
; %bb.308:
	v_accvgpr_read_b32 v0, a147
	buffer_load_dword v2, v0, s[0:3], 0 offen
	buffer_load_dword v3, v0, s[0:3], 0 offen offset:4
	buffer_load_dword v4, v0, s[0:3], 0 offen offset:8
	;; [unrolled: 1-line block ×3, first 2 shown]
	v_mov_b32_e32 v0, 0
	v_accvgpr_read_b32 v1, a159
	buffer_store_dword v0, off, s[0:3], 0 offset:192
	buffer_store_dword v0, off, s[0:3], 0 offset:196
	;; [unrolled: 1-line block ×4, first 2 shown]
	s_waitcnt vmcnt(4)
	ds_write_b128 v1, v[2:5]
.LBB116_309:
	s_or_b64 exec, exec, s[4:5]
	s_waitcnt lgkmcnt(0)
	; wave barrier
	s_waitcnt lgkmcnt(0)
	buffer_load_dword v54, off, s[0:3], 0 offset:208
	buffer_load_dword v55, off, s[0:3], 0 offset:212
	;; [unrolled: 1-line block ×46, first 2 shown]
	v_mov_b32_e32 v254, 0
	v_cmp_lt_u32_e32 vcc, 10, v255
	s_waitcnt vmcnt(0)
	v_pk_mov_b32 v[20:21], v[0:1], v[0:1] op_sel:[0,1]
	buffer_load_dword v1, off, s[0:3], 0 offset:404
	buffer_load_dword v0, off, s[0:3], 0 offset:400
	;; [unrolled: 1-line block ×3, first 2 shown]
	ds_read_b128 v[94:97], v254 offset:1040
	ds_read_b128 v[108:111], v254 offset:1056
	;; [unrolled: 1-line block ×11, first 2 shown]
	s_waitcnt lgkmcnt(9)
	v_mul_f64 v[2:3], v[108:109], v[62:63]
	s_waitcnt lgkmcnt(8)
	v_mul_f64 v[4:5], v[112:113], v[60:61]
	v_fmac_f64_e32 v[2:3], v[110:111], v[58:59]
	s_waitcnt lgkmcnt(7)
	v_mul_f64 v[6:7], v[216:217], v[68:69]
	v_fmac_f64_e32 v[4:5], v[114:115], v[84:85]
	;; [unrolled: 3-line block ×3, first 2 shown]
	v_fmac_f64_e32 v[8:9], v[222:223], v[66:67]
	s_waitcnt lgkmcnt(5)
	v_mul_f64 v[10:11], v[236:237], v[70:71]
	s_waitcnt lgkmcnt(4)
	v_mul_f64 v[12:13], v[240:241], v[74:75]
	v_fmac_f64_e32 v[10:11], v[238:239], v[72:73]
	s_waitcnt lgkmcnt(3)
	v_mul_f64 v[14:15], v[244:245], v[78:79]
	v_fmac_f64_e32 v[12:13], v[242:243], v[76:77]
	;; [unrolled: 3-line block ×4, first 2 shown]
	v_fmac_f64_e32 v[18:19], v[118:119], v[92:93]
	v_accvgpr_write_b32 a161, v21
	v_accvgpr_write_b32 a160, v20
	v_mul_f64 v[62:63], v[110:111], v[62:63]
	v_fma_f64 v[62:63], v[108:109], v[58:59], -v[62:63]
	v_mul_f64 v[58:59], v[114:115], v[60:61]
	v_fma_f64 v[108:109], v[112:113], v[84:85], -v[58:59]
	;; [unrolled: 2-line block ×8, first 2 shown]
	s_waitcnt vmcnt(1)
	v_pk_mov_b32 v[22:23], v[0:1], v[0:1] op_sel:[0,1]
	v_mul_f64 v[0:1], v[94:95], v[56:57]
	v_fmac_f64_e32 v[0:1], v[96:97], v[54:55]
	v_add_f64 v[0:1], v[0:1], 0
	v_add_f64 v[0:1], v[0:1], v[2:3]
	v_add_f64 v[0:1], v[0:1], v[4:5]
	v_add_f64 v[0:1], v[0:1], v[6:7]
	v_add_f64 v[0:1], v[0:1], v[8:9]
	buffer_load_dword v106, off, s[0:3], 0 offset:392
	buffer_load_dword v253, off, s[0:3], 0 offset:388
	;; [unrolled: 1-line block ×75, first 2 shown]
	ds_read_b128 v[232:235], v254 offset:1216
	ds_read_b128 v[120:123], v254 offset:1232
	v_add_f64 v[0:1], v[0:1], v[10:11]
	v_add_f64 v[0:1], v[0:1], v[12:13]
	;; [unrolled: 1-line block ×5, first 2 shown]
	s_waitcnt lgkmcnt(0)
	v_mul_f64 v[10:11], v[120:121], v[20:21]
	ds_read_b128 v[124:127], v254 offset:1248
	v_fmac_f64_e32 v[10:11], v[122:123], v[22:23]
	v_accvgpr_write_b32 a163, v23
	v_accvgpr_write_b32 a162, v22
	v_mul_f64 v[56:57], v[96:97], v[56:57]
	s_waitcnt vmcnt(62)
	v_mul_f64 v[6:7], v[232:233], v[106:107]
	v_fmac_f64_e32 v[6:7], v[234:235], v[252:253]
	v_pk_mov_b32 v[4:5], v[2:3], v[2:3] op_sel:[0,1]
	v_mul_f64 v[2:3], v[98:99], v[102:103]
	v_fmac_f64_e32 v[2:3], v[100:101], v[104:105]
	v_add_f64 v[0:1], v[0:1], v[2:3]
	v_add_f64 v[0:1], v[0:1], v[6:7]
	;; [unrolled: 1-line block ×3, first 2 shown]
	ds_read_b128 v[10:13], v254 offset:1264
	s_waitcnt lgkmcnt(1)
	v_mul_f64 v[14:15], v[124:125], v[140:141]
	v_fmac_f64_e32 v[14:15], v[126:127], v[144:145]
	v_add_f64 v[0:1], v[0:1], v[14:15]
	ds_read_b128 v[14:17], v254 offset:1280
	s_waitcnt lgkmcnt(1)
	v_mul_f64 v[18:19], v[10:11], v[8:9]
	v_fmac_f64_e32 v[18:19], v[12:13], v[4:5]
	v_add_f64 v[0:1], v[0:1], v[18:19]
	ds_read_b128 v[18:21], v254 offset:1296
	s_waitcnt vmcnt(58) lgkmcnt(1)
	v_mul_f64 v[22:23], v[14:15], v[148:149]
	s_waitcnt vmcnt(56)
	v_fmac_f64_e32 v[22:23], v[16:17], v[152:153]
	v_add_f64 v[0:1], v[0:1], v[22:23]
	ds_read_b128 v[22:25], v254 offset:1312
	s_waitcnt lgkmcnt(1)
	v_mul_f64 v[26:27], v[18:19], v[128:129]
	v_fmac_f64_e32 v[26:27], v[20:21], v[130:131]
	v_add_f64 v[0:1], v[0:1], v[26:27]
	ds_read_b128 v[26:29], v254 offset:1328
	s_waitcnt vmcnt(50) lgkmcnt(1)
	v_mul_f64 v[30:31], v[22:23], v[156:157]
	s_waitcnt vmcnt(48)
	;; [unrolled: 11-line block ×4, first 2 shown]
	v_fmac_f64_e32 v[46:47], v[40:41], v[176:177]
	v_add_f64 v[0:1], v[0:1], v[46:47]
	ds_read_b128 v[46:49], v254 offset:1408
	s_waitcnt lgkmcnt(1)
	v_mul_f64 v[50:51], v[42:43], v[142:143]
	v_fmac_f64_e32 v[50:51], v[44:45], v[146:147]
	v_add_f64 v[0:1], v[0:1], v[50:51]
	ds_read_b128 v[50:53], v254 offset:1424
	buffer_load_dword v197, off, s[0:3], 0 offset:716
	buffer_load_dword v196, off, s[0:3], 0 offset:712
	;; [unrolled: 1-line block ×8, first 2 shown]
	s_waitcnt vmcnt(34) lgkmcnt(1)
	v_mul_f64 v[200:201], v[46:47], v[180:181]
	s_waitcnt vmcnt(32)
	v_fmac_f64_e32 v[200:201], v[48:49], v[182:183]
	v_add_f64 v[0:1], v[0:1], v[200:201]
	buffer_load_dword v201, off, s[0:3], 0 offset:764
	buffer_load_dword v207, off, s[0:3], 0 offset:748
	;; [unrolled: 1-line block ×8, first 2 shown]
	v_fma_f64 v[6:7], v[94:95], v[54:55], -v[56:57]
	ds_read_b128 v[54:57], v254 offset:1440
	buffer_load_dword v213, off, s[0:3], 0 offset:780
	buffer_load_dword v212, off, s[0:3], 0 offset:776
	;; [unrolled: 1-line block ×4, first 2 shown]
	v_accvgpr_write_b32 a165, v5
	v_accvgpr_write_b32 a164, v4
	s_waitcnt lgkmcnt(1)
	v_mul_f64 v[4:5], v[50:51], v[150:151]
	buffer_load_dword v224, off, s[0:3], 0 offset:792
	buffer_load_dword v226, off, s[0:3], 0 offset:784
	;; [unrolled: 1-line block ×8, first 2 shown]
	v_fmac_f64_e32 v[4:5], v[52:53], v[154:155]
	v_add_f64 v[0:1], v[0:1], v[4:5]
	v_mul_f64 v[4:5], v[218:219], v[68:69]
	v_fma_f64 v[4:5], v[216:217], v[82:83], -v[4:5]
	buffer_load_dword v216, off, s[0:3], 0 offset:824
	buffer_load_dword v218, off, s[0:3], 0 offset:816
	;; [unrolled: 1-line block ×4, first 2 shown]
	s_waitcnt vmcnt(50) lgkmcnt(0)
	v_mul_f64 v[58:59], v[54:55], v[184:185]
	s_waitcnt vmcnt(48)
	v_fmac_f64_e32 v[58:59], v[56:57], v[186:187]
	v_add_f64 v[0:1], v[0:1], v[58:59]
	ds_read_b128 v[58:61], v254 offset:1456
	ds_read_b128 v[220:223], v254 offset:1472
	;; [unrolled: 1-line block ×5, first 2 shown]
	s_waitcnt lgkmcnt(4)
	v_mul_f64 v[82:83], v[58:59], v[158:159]
	v_fmac_f64_e32 v[82:83], v[60:61], v[162:163]
	s_waitcnt vmcnt(42) lgkmcnt(3)
	v_mul_f64 v[70:71], v[220:221], v[188:189]
	v_add_f64 v[0:1], v[0:1], v[82:83]
	s_waitcnt vmcnt(40)
	v_fmac_f64_e32 v[70:71], v[222:223], v[190:191]
	v_add_f64 v[0:1], v[0:1], v[70:71]
	s_waitcnt lgkmcnt(2)
	v_mul_f64 v[70:71], v[66:67], v[166:167]
	v_fmac_f64_e32 v[70:71], v[68:69], v[170:171]
	v_add_f64 v[0:1], v[0:1], v[70:71]
	ds_read_b128 v[70:73], v254 offset:1504
	ds_read_b128 v[90:93], v254 offset:1584
	v_mul_f64 v[100:101], v[100:101], v[102:103]
	v_fma_f64 v[2:3], v[98:99], v[104:105], -v[100:101]
	ds_read_b128 v[98:101], v254 offset:1616
	s_waitcnt vmcnt(34) lgkmcnt(2)
	v_mul_f64 v[82:83], v[70:71], v[192:193]
	s_waitcnt vmcnt(32)
	v_fmac_f64_e32 v[82:83], v[72:73], v[194:195]
	v_add_f64 v[0:1], v[0:1], v[82:83]
	v_mul_f64 v[82:83], v[74:75], v[174:175]
	v_fmac_f64_e32 v[82:83], v[76:77], v[178:179]
	v_add_f64 v[0:1], v[0:1], v[82:83]
	v_mul_f64 v[102:103], v[234:235], v[106:107]
	v_fma_f64 v[250:251], v[232:233], v[252:253], -v[102:103]
	ds_read_b128 v[232:235], v254 offset:1648
	v_add_f64 v[6:7], v[6:7], 0
	v_add_f64 v[6:7], v[6:7], v[62:63]
	;; [unrolled: 1-line block ×10, first 2 shown]
	v_accvgpr_read_b32 v6, a162
	v_accvgpr_read_b32 v7, a163
	ds_read_b128 v[86:89], v254 offset:1568
	ds_read_b128 v[102:105], v254 offset:1632
	s_waitcnt vmcnt(30)
	v_mul_f64 v[82:83], v[78:79], v[196:197]
	s_waitcnt vmcnt(28)
	v_fmac_f64_e32 v[82:83], v[80:81], v[198:199]
	v_add_f64 v[0:1], v[0:1], v[82:83]
	ds_read_b128 v[82:85], v254 offset:1552
	s_waitcnt vmcnt(25) lgkmcnt(0)
	v_mul_f64 v[94:95], v[82:83], v[202:203]
	s_waitcnt vmcnt(24)
	v_fmac_f64_e32 v[94:95], v[84:85], v[204:205]
	v_add_f64 v[0:1], v[0:1], v[94:95]
	s_waitcnt vmcnt(21)
	v_mul_f64 v[94:95], v[86:87], v[206:207]
	s_waitcnt vmcnt(19)
	v_fmac_f64_e32 v[94:95], v[88:89], v[210:211]
	v_add_f64 v[0:1], v[0:1], v[94:95]
	s_waitcnt vmcnt(18)
	v_mul_f64 v[94:95], v[90:91], v[200:201]
	s_waitcnt vmcnt(16)
	v_fmac_f64_e32 v[94:95], v[92:93], v[208:209]
	v_add_f64 v[0:1], v[0:1], v[94:95]
	ds_read_b128 v[94:97], v254 offset:1600
	s_waitcnt vmcnt(9)
	v_mul_f64 v[106:107], v[98:99], v[224:225]
	s_waitcnt vmcnt(8)
	v_fmac_f64_e32 v[106:107], v[100:101], v[226:227]
	s_waitcnt lgkmcnt(0)
	v_mul_f64 v[110:111], v[94:95], v[212:213]
	v_fmac_f64_e32 v[110:111], v[96:97], v[214:215]
	v_add_f64 v[0:1], v[0:1], v[110:111]
	v_add_f64 v[0:1], v[0:1], v[106:107]
	s_waitcnt vmcnt(6)
	v_mul_f64 v[106:107], v[102:103], v[228:229]
	s_waitcnt vmcnt(4)
	v_fmac_f64_e32 v[106:107], v[104:105], v[230:231]
	v_add_f64 v[0:1], v[0:1], v[106:107]
	s_waitcnt vmcnt(1)
	v_mul_f64 v[106:107], v[232:233], v[216:217]
	s_waitcnt vmcnt(0)
	v_fmac_f64_e32 v[106:107], v[234:235], v[218:219]
	v_add_f64 v[106:107], v[0:1], v[106:107]
	buffer_load_dword v1, off, s[0:3], 0 offset:844
	buffer_load_dword v0, off, s[0:3], 0 offset:840
	;; [unrolled: 1-line block ×4, first 2 shown]
	ds_read_b128 v[110:113], v254 offset:1664
	buffer_load_dword v242, off, s[0:3], 0 offset:856
	buffer_load_dword v243, off, s[0:3], 0 offset:860
	buffer_load_dword v244, off, s[0:3], 0 offset:848
	buffer_load_dword v245, off, s[0:3], 0 offset:852
	s_waitcnt vmcnt(6) lgkmcnt(0)
	v_mul_f64 v[114:115], v[110:111], v[0:1]
	v_mul_f64 v[0:1], v[112:113], v[0:1]
	s_waitcnt vmcnt(4)
	v_fmac_f64_e32 v[114:115], v[112:113], v[238:239]
	v_add_f64 v[106:107], v[106:107], v[114:115]
	ds_read_b128 v[114:117], v254 offset:1680
	buffer_load_dword v248, off, s[0:3], 0 offset:192
	buffer_load_dword v249, off, s[0:3], 0 offset:196
	buffer_load_dword v246, off, s[0:3], 0 offset:200
	buffer_load_dword v247, off, s[0:3], 0 offset:204
	v_fma_f64 v[0:1], v[110:111], v[238:239], -v[0:1]
	s_waitcnt vmcnt(6) lgkmcnt(0)
	v_mul_f64 v[252:253], v[114:115], v[242:243]
	s_waitcnt vmcnt(4)
	v_fmac_f64_e32 v[252:253], v[116:117], v[244:245]
	v_add_f64 v[106:107], v[106:107], v[252:253]
	v_add_f64 v[252:253], v[4:5], v[2:3]
	v_accvgpr_read_b32 v4, a160
	v_accvgpr_read_b32 v5, a161
	v_mul_f64 v[4:5], v[122:123], v[4:5]
	v_add_f64 v[2:3], v[252:253], v[250:251]
	v_fma_f64 v[4:5], v[120:121], v[6:7], -v[4:5]
	v_add_f64 v[2:3], v[2:3], v[4:5]
	v_mul_f64 v[4:5], v[126:127], v[140:141]
	v_fma_f64 v[4:5], v[124:125], v[144:145], -v[4:5]
	v_accvgpr_read_b32 v6, a164
	v_add_f64 v[2:3], v[2:3], v[4:5]
	v_mul_f64 v[4:5], v[12:13], v[8:9]
	v_accvgpr_read_b32 v7, a165
	v_fma_f64 v[4:5], v[10:11], v[6:7], -v[4:5]
	v_add_f64 v[2:3], v[2:3], v[4:5]
	v_mul_f64 v[4:5], v[16:17], v[148:149]
	v_fma_f64 v[4:5], v[14:15], v[152:153], -v[4:5]
	v_add_f64 v[2:3], v[2:3], v[4:5]
	v_mul_f64 v[4:5], v[20:21], v[128:129]
	;; [unrolled: 3-line block ×24, first 2 shown]
	v_fma_f64 v[4:5], v[232:233], v[218:219], -v[4:5]
	v_add_f64 v[2:3], v[2:3], v[4:5]
	v_add_f64 v[0:1], v[2:3], v[0:1]
	v_mul_f64 v[2:3], v[116:117], v[242:243]
	v_fma_f64 v[2:3], v[114:115], v[244:245], -v[2:3]
	v_add_f64 v[0:1], v[0:1], v[2:3]
	s_waitcnt vmcnt(2)
	v_add_f64 v[0:1], v[248:249], -v[0:1]
	s_waitcnt vmcnt(0)
	v_add_f64 v[2:3], v[246:247], -v[106:107]
	buffer_store_dword v1, off, s[0:3], 0 offset:196
	buffer_store_dword v0, off, s[0:3], 0 offset:192
	;; [unrolled: 1-line block ×4, first 2 shown]
	s_and_saveexec_b64 s[4:5], vcc
	s_cbranch_execz .LBB116_311
; %bb.310:
	v_accvgpr_read_b32 v0, a148
	buffer_load_dword v2, v0, s[0:3], 0 offen
	buffer_load_dword v3, v0, s[0:3], 0 offen offset:4
	buffer_load_dword v4, v0, s[0:3], 0 offen offset:8
	;; [unrolled: 1-line block ×3, first 2 shown]
	v_accvgpr_read_b32 v0, a159
	buffer_store_dword v254, off, s[0:3], 0 offset:176
	buffer_store_dword v254, off, s[0:3], 0 offset:180
	buffer_store_dword v254, off, s[0:3], 0 offset:184
	buffer_store_dword v254, off, s[0:3], 0 offset:188
	s_waitcnt vmcnt(4)
	ds_write_b128 v0, v[2:5]
.LBB116_311:
	s_or_b64 exec, exec, s[4:5]
	s_waitcnt lgkmcnt(0)
	; wave barrier
	s_waitcnt lgkmcnt(0)
	buffer_load_dword v58, off, s[0:3], 0 offset:192
	buffer_load_dword v59, off, s[0:3], 0 offset:196
	;; [unrolled: 1-line block ×42, first 2 shown]
	ds_read_b128 v[110:113], v254 offset:1024
	ds_read_b128 v[114:117], v254 offset:1040
	;; [unrolled: 1-line block ×10, first 2 shown]
	buffer_load_dword v1, off, s[0:3], 0 offset:340
	buffer_load_dword v0, off, s[0:3], 0 offset:336
	ds_read_b128 v[90:93], v254 offset:1184
	buffer_load_dword v105, off, s[0:3], 0 offset:396
	buffer_load_dword v104, off, s[0:3], 0 offset:392
	;; [unrolled: 1-line block ×6, first 2 shown]
	s_waitcnt vmcnt(46) lgkmcnt(10)
	v_mul_f64 v[2:3], v[110:111], v[60:61]
	v_fmac_f64_e32 v[2:3], v[112:113], v[58:59]
	v_add_f64 v[2:3], v[2:3], 0
	v_mul_f64 v[60:61], v[112:113], v[60:61]
	s_waitcnt vmcnt(42) lgkmcnt(9)
	v_mul_f64 v[4:5], v[114:115], v[62:63]
	v_fmac_f64_e32 v[4:5], v[116:117], v[56:57]
	v_add_f64 v[2:3], v[2:3], v[4:5]
	buffer_load_dword v233, off, s[0:3], 0 offset:372
	buffer_load_dword v232, off, s[0:3], 0 offset:368
	;; [unrolled: 1-line block ×4, first 2 shown]
	s_waitcnt vmcnt(44) lgkmcnt(8)
	v_mul_f64 v[6:7], v[212:213], v[228:229]
	s_waitcnt vmcnt(42) lgkmcnt(6)
	v_mul_f64 v[10:11], v[220:221], v[64:65]
	s_waitcnt vmcnt(40)
	v_fmac_f64_e32 v[10:11], v[222:223], v[66:67]
	s_waitcnt vmcnt(38)
	v_mul_f64 v[8:9], v[216:217], v[68:69]
	s_waitcnt vmcnt(36) lgkmcnt(4)
	v_mul_f64 v[14:15], v[240:241], v[70:71]
	s_waitcnt vmcnt(34)
	v_fmac_f64_e32 v[14:15], v[242:243], v[72:73]
	s_waitcnt vmcnt(32)
	v_mul_f64 v[12:13], v[236:237], v[74:75]
	s_waitcnt vmcnt(30) lgkmcnt(2)
	v_mul_f64 v[18:19], v[248:249], v[78:79]
	v_mul_f64 v[78:79], v[250:251], v[78:79]
	s_waitcnt vmcnt(27)
	v_mul_f64 v[16:17], v[244:245], v[76:77]
	s_waitcnt vmcnt(25) lgkmcnt(1)
	v_mul_f64 v[20:21], v[82:83], v[86:87]
	s_waitcnt vmcnt(23)
	v_fmac_f64_e32 v[6:7], v[214:215], v[100:101]
	v_add_f64 v[2:3], v[2:3], v[6:7]
	s_waitcnt vmcnt(21)
	v_fmac_f64_e32 v[8:9], v[218:219], v[98:99]
	v_add_f64 v[2:3], v[2:3], v[8:9]
	;; [unrolled: 3-line block ×3, first 2 shown]
	v_add_f64 v[2:3], v[2:3], v[12:13]
	s_waitcnt vmcnt(17)
	v_fmac_f64_e32 v[16:17], v[246:247], v[88:89]
	v_add_f64 v[2:3], v[2:3], v[14:15]
	s_waitcnt vmcnt(16)
	v_fmac_f64_e32 v[18:19], v[250:251], v[80:81]
	v_add_f64 v[2:3], v[2:3], v[16:17]
	v_add_f64 v[2:3], v[2:3], v[18:19]
	v_fma_f64 v[248:249], v[248:249], v[80:81], -v[78:79]
	s_waitcnt vmcnt(10)
	v_fmac_f64_e32 v[20:21], v[84:85], v[0:1]
	v_add_f64 v[2:3], v[2:3], v[20:21]
	v_mul_f64 v[84:85], v[84:85], v[86:87]
	v_fma_f64 v[250:251], v[82:83], v[0:1], -v[84:85]
	s_waitcnt vmcnt(0)
	v_pk_mov_b32 v[18:19], v[4:5], v[4:5] op_sel:[0,1]
	buffer_load_dword v5, off, s[0:3], 0 offset:420
	buffer_load_dword v4, off, s[0:3], 0 offset:416
	v_accvgpr_write_b32 a161, v19
	v_accvgpr_write_b32 a160, v18
	s_waitcnt vmcnt(0)
	v_pk_mov_b32 v[22:23], v[4:5], v[4:5] op_sel:[0,1]
	buffer_load_dword v137, off, s[0:3], 0 offset:412
	buffer_load_dword v136, off, s[0:3], 0 offset:408
	;; [unrolled: 1-line block ×68, first 2 shown]
	ds_read_b128 v[118:121], v254 offset:1200
	ds_read_b128 v[224:227], v254 offset:1216
	;; [unrolled: 1-line block ×4, first 2 shown]
	v_accvgpr_write_b32 a163, v23
	v_accvgpr_write_b32 a162, v22
	s_waitcnt lgkmcnt(2)
	v_mul_f64 v[8:9], v[224:225], v[104:105]
	v_fmac_f64_e32 v[8:9], v[226:227], v[106:107]
	s_waitcnt lgkmcnt(0)
	v_mul_f64 v[16:17], v[192:193], v[18:19]
	v_fmac_f64_e32 v[16:17], v[194:195], v[22:23]
	s_waitcnt vmcnt(62)
	v_mul_f64 v[12:13], v[122:123], v[136:137]
	v_fmac_f64_e32 v[12:13], v[124:125], v[140:141]
	v_pk_mov_b32 v[26:27], v[4:5], v[4:5] op_sel:[0,1]
	v_mul_f64 v[4:5], v[90:91], v[96:97]
	v_fmac_f64_e32 v[4:5], v[92:93], v[102:103]
	v_add_f64 v[2:3], v[2:3], v[4:5]
	v_mul_f64 v[4:5], v[118:119], v[108:109]
	v_fmac_f64_e32 v[4:5], v[120:121], v[232:233]
	v_add_f64 v[6:7], v[2:3], v[4:5]
	v_add_f64 v[10:11], v[6:7], v[8:9]
	;; [unrolled: 1-line block ×3, first 2 shown]
	ds_read_b128 v[10:13], v254 offset:1264
	v_add_f64 v[18:19], v[14:15], v[16:17]
	ds_read_b128 v[14:17], v254 offset:1280
	v_accvgpr_write_b32 a165, v27
	v_accvgpr_write_b32 a164, v26
	s_waitcnt vmcnt(58) lgkmcnt(1)
	v_mul_f64 v[20:21], v[10:11], v[144:145]
	s_waitcnt vmcnt(56)
	v_fmac_f64_e32 v[20:21], v[12:13], v[148:149]
	v_add_f64 v[22:23], v[18:19], v[20:21]
	ds_read_b128 v[18:21], v254 offset:1296
	s_waitcnt lgkmcnt(1)
	v_mul_f64 v[24:25], v[14:15], v[26:27]
	v_fmac_f64_e32 v[24:25], v[16:17], v[252:253]
	v_add_f64 v[26:27], v[22:23], v[24:25]
	ds_read_b128 v[22:25], v254 offset:1312
	s_waitcnt vmcnt(50) lgkmcnt(1)
	v_mul_f64 v[28:29], v[18:19], v[152:153]
	s_waitcnt vmcnt(48)
	v_fmac_f64_e32 v[28:29], v[20:21], v[156:157]
	v_add_f64 v[30:31], v[26:27], v[28:29]
	ds_read_b128 v[26:29], v254 offset:1328
	s_waitcnt lgkmcnt(1)
	v_mul_f64 v[32:33], v[22:23], v[128:129]
	v_fmac_f64_e32 v[32:33], v[24:25], v[130:131]
	v_add_f64 v[34:35], v[30:31], v[32:33]
	ds_read_b128 v[30:33], v254 offset:1344
	s_waitcnt vmcnt(42) lgkmcnt(1)
	v_mul_f64 v[36:37], v[26:27], v[160:161]
	s_waitcnt vmcnt(40)
	v_fmac_f64_e32 v[36:37], v[28:29], v[164:165]
	v_add_f64 v[38:39], v[34:35], v[36:37]
	ds_read_b128 v[34:37], v254 offset:1360
	s_waitcnt lgkmcnt(1)
	v_mul_f64 v[40:41], v[30:31], v[132:133]
	v_fmac_f64_e32 v[40:41], v[32:33], v[134:135]
	v_add_f64 v[42:43], v[38:39], v[40:41]
	ds_read_b128 v[38:41], v254 offset:1376
	s_waitcnt vmcnt(34) lgkmcnt(1)
	v_mul_f64 v[44:45], v[34:35], v[168:169]
	s_waitcnt vmcnt(32)
	v_fmac_f64_e32 v[44:45], v[36:37], v[172:173]
	v_add_f64 v[46:47], v[42:43], v[44:45]
	ds_read_b128 v[42:45], v254 offset:1392
	s_waitcnt lgkmcnt(1)
	v_mul_f64 v[48:49], v[38:39], v[138:139]
	v_fmac_f64_e32 v[48:49], v[40:41], v[142:143]
	v_add_f64 v[50:51], v[46:47], v[48:49]
	ds_read_b128 v[46:49], v254 offset:1408
	s_waitcnt vmcnt(26) lgkmcnt(1)
	v_mul_f64 v[52:53], v[42:43], v[176:177]
	s_waitcnt vmcnt(24)
	v_fmac_f64_e32 v[52:53], v[44:45], v[178:179]
	v_add_f64 v[234:235], v[50:51], v[52:53]
	ds_read_b128 v[50:53], v254 offset:1424
	buffer_load_dword v9, off, s[0:3], 0 offset:700
	buffer_load_dword v8, off, s[0:3], 0 offset:696
	;; [unrolled: 1-line block ×20, first 2 shown]
	v_mul_f64 v[4:5], v[116:117], v[62:63]
	v_fma_f64 v[4:5], v[114:115], v[56:57], -v[4:5]
	v_mul_f64 v[56:57], v[214:215], v[228:229]
	v_fma_f64 v[6:7], v[110:111], v[58:59], -v[60:61]
	v_fma_f64 v[110:111], v[212:213], v[100:101], -v[56:57]
	v_mul_f64 v[56:57], v[218:219], v[68:69]
	v_fma_f64 v[112:113], v[216:217], v[98:99], -v[56:57]
	buffer_load_dword v214, off, s[0:3], 0 offset:776
	buffer_load_dword v216, off, s[0:3], 0 offset:768
	;; [unrolled: 1-line block ×12, first 2 shown]
	s_waitcnt lgkmcnt(1)
	v_mul_f64 v[54:55], v[46:47], v[146:147]
	v_fmac_f64_e32 v[54:55], v[48:49], v[150:151]
	v_add_f64 v[58:59], v[234:235], v[54:55]
	v_mul_f64 v[54:55], v[222:223], v[64:65]
	v_fma_f64 v[2:3], v[220:221], v[66:67], -v[54:55]
	buffer_load_dword v221, off, s[0:3], 0 offset:828
	buffer_load_dword v220, off, s[0:3], 0 offset:824
	;; [unrolled: 1-line block ×4, first 2 shown]
	s_waitcnt vmcnt(54) lgkmcnt(0)
	v_mul_f64 v[60:61], v[50:51], v[180:181]
	ds_read_b128 v[54:57], v254 offset:1440
	s_waitcnt vmcnt(52)
	v_fmac_f64_e32 v[60:61], v[52:53], v[182:183]
	v_add_f64 v[62:63], v[58:59], v[60:61]
	v_mul_f64 v[58:59], v[238:239], v[74:75]
	v_fma_f64 v[236:237], v[236:237], v[94:95], -v[58:59]
	ds_read_b128 v[58:61], v254 offset:1456
	s_waitcnt lgkmcnt(1)
	v_mul_f64 v[64:65], v[54:55], v[154:155]
	v_fmac_f64_e32 v[64:65], v[56:57], v[158:159]
	v_add_f64 v[74:75], v[62:63], v[64:65]
	ds_read_b128 v[62:65], v254 offset:1472
	v_mul_f64 v[66:67], v[242:243], v[70:71]
	s_waitcnt vmcnt(46) lgkmcnt(1)
	v_mul_f64 v[70:71], v[58:59], v[184:185]
	v_fma_f64 v[240:241], v[240:241], v[72:73], -v[66:67]
	ds_read_b128 v[66:69], v254 offset:1488
	s_waitcnt vmcnt(44)
	v_fmac_f64_e32 v[70:71], v[60:61], v[186:187]
	v_add_f64 v[74:75], v[74:75], v[70:71]
	v_mul_f64 v[70:71], v[246:247], v[76:77]
	v_fma_f64 v[246:247], v[244:245], v[88:89], -v[70:71]
	ds_read_b128 v[70:73], v254 offset:1504
	ds_read_b128 v[78:81], v254 offset:1536
	s_waitcnt lgkmcnt(3)
	v_mul_f64 v[94:95], v[62:63], v[162:163]
	v_fmac_f64_e32 v[94:95], v[64:65], v[166:167]
	s_waitcnt vmcnt(38) lgkmcnt(2)
	v_mul_f64 v[76:77], v[66:67], v[188:189]
	v_add_f64 v[74:75], v[74:75], v[94:95]
	s_waitcnt vmcnt(36)
	v_fmac_f64_e32 v[76:77], v[68:69], v[190:191]
	v_add_f64 v[74:75], v[74:75], v[76:77]
	s_waitcnt lgkmcnt(1)
	v_mul_f64 v[76:77], v[70:71], v[170:171]
	v_fmac_f64_e32 v[76:77], v[72:73], v[174:175]
	v_add_f64 v[88:89], v[74:75], v[76:77]
	ds_read_b128 v[74:77], v254 offset:1520
	ds_read_b128 v[82:85], v254 offset:1552
	v_mul_f64 v[92:93], v[92:93], v[96:97]
	v_fma_f64 v[238:239], v[90:91], v[102:103], -v[92:93]
	ds_read_b128 v[98:101], v254 offset:1600
	v_mul_f64 v[96:97], v[120:121], v[108:109]
	v_fma_f64 v[232:233], v[118:119], v[232:233], -v[96:97]
	v_mul_f64 v[102:103], v[226:227], v[104:105]
	v_fma_f64 v[118:119], v[224:225], v[106:107], -v[102:103]
	ds_read_b128 v[102:105], v254 offset:1632
	v_add_f64 v[6:7], v[6:7], 0
	v_add_f64 v[4:5], v[6:7], v[4:5]
	;; [unrolled: 1-line block ×10, first 2 shown]
	ds_read_b128 v[90:93], v254 offset:1584
	v_mul_f64 v[4:5], v[124:125], v[136:137]
	v_fma_f64 v[4:5], v[122:123], v[140:141], -v[4:5]
	v_accvgpr_read_b32 v6, a162
	v_accvgpr_read_b32 v7, a163
	s_waitcnt vmcnt(34) lgkmcnt(4)
	v_mul_f64 v[94:95], v[74:75], v[8:9]
	s_waitcnt vmcnt(32)
	v_fmac_f64_e32 v[94:95], v[76:77], v[126:127]
	s_waitcnt vmcnt(29)
	v_mul_f64 v[0:1], v[78:79], v[198:199]
	v_add_f64 v[88:89], v[88:89], v[94:95]
	s_waitcnt vmcnt(28)
	v_fmac_f64_e32 v[0:1], v[80:81], v[200:201]
	v_add_f64 v[0:1], v[88:89], v[0:1]
	ds_read_b128 v[86:89], v254 offset:1568
	s_waitcnt vmcnt(25) lgkmcnt(4)
	v_mul_f64 v[94:95], v[82:83], v[202:203]
	s_waitcnt vmcnt(23)
	v_fmac_f64_e32 v[94:95], v[84:85], v[208:209]
	v_add_f64 v[0:1], v[0:1], v[94:95]
	s_waitcnt vmcnt(22) lgkmcnt(0)
	v_mul_f64 v[94:95], v[86:87], v[196:197]
	s_waitcnt vmcnt(20)
	v_fmac_f64_e32 v[94:95], v[88:89], v[206:207]
	v_add_f64 v[0:1], v[0:1], v[94:95]
	s_waitcnt vmcnt(18)
	v_mul_f64 v[94:95], v[90:91], v[204:205]
	s_waitcnt vmcnt(16)
	v_fmac_f64_e32 v[94:95], v[92:93], v[210:211]
	v_add_f64 v[0:1], v[0:1], v[94:95]
	ds_read_b128 v[94:97], v254 offset:1616
	s_waitcnt vmcnt(13)
	v_mul_f64 v[106:107], v[98:99], v[214:215]
	s_waitcnt vmcnt(12)
	v_fmac_f64_e32 v[106:107], v[100:101], v[216:217]
	v_add_f64 v[0:1], v[0:1], v[106:107]
	s_waitcnt vmcnt(9) lgkmcnt(0)
	v_mul_f64 v[106:107], v[94:95], v[228:229]
	s_waitcnt vmcnt(7)
	v_fmac_f64_e32 v[106:107], v[96:97], v[230:231]
	v_add_f64 v[0:1], v[0:1], v[106:107]
	s_waitcnt vmcnt(5)
	v_mul_f64 v[106:107], v[102:103], v[212:213]
	s_waitcnt vmcnt(4)
	v_fmac_f64_e32 v[106:107], v[104:105], v[218:219]
	v_add_f64 v[0:1], v[0:1], v[106:107]
	ds_read_b128 v[106:109], v254 offset:1648
	s_waitcnt vmcnt(2) lgkmcnt(0)
	v_mul_f64 v[114:115], v[106:107], v[220:221]
	s_waitcnt vmcnt(0)
	v_fmac_f64_e32 v[114:115], v[108:109], v[234:235]
	v_add_f64 v[114:115], v[0:1], v[114:115]
	buffer_load_dword v0, off, s[0:3], 0 offset:840
	buffer_load_dword v1, off, s[0:3], 0 offset:844
	;; [unrolled: 1-line block ×4, first 2 shown]
	ds_read_b128 v[222:225], v254 offset:1664
	buffer_load_dword v243, off, s[0:3], 0 offset:860
	buffer_load_dword v242, off, s[0:3], 0 offset:856
	buffer_load_dword v245, off, s[0:3], 0 offset:852
	buffer_load_dword v244, off, s[0:3], 0 offset:848
	s_waitcnt vmcnt(6) lgkmcnt(0)
	v_mul_f64 v[116:117], v[222:223], v[0:1]
	v_mul_f64 v[0:1], v[224:225], v[0:1]
	s_waitcnt vmcnt(4)
	v_fmac_f64_e32 v[116:117], v[224:225], v[226:227]
	v_add_f64 v[120:121], v[114:115], v[116:117]
	ds_read_b128 v[114:117], v254 offset:1680
	buffer_load_dword v248, off, s[0:3], 0 offset:176
	buffer_load_dword v249, off, s[0:3], 0 offset:180
	;; [unrolled: 1-line block ×4, first 2 shown]
	v_fma_f64 v[0:1], v[222:223], v[226:227], -v[0:1]
	s_waitcnt vmcnt(6) lgkmcnt(0)
	v_mul_f64 v[254:255], v[114:115], v[242:243]
	s_waitcnt vmcnt(4)
	v_fmac_f64_e32 v[254:255], v[116:117], v[244:245]
	v_add_f64 v[120:121], v[120:121], v[254:255]
	v_add_f64 v[254:255], v[2:3], v[238:239]
	;; [unrolled: 1-line block ×5, first 2 shown]
	v_accvgpr_read_b32 v4, a160
	v_accvgpr_read_b32 v5, a161
	v_mul_f64 v[4:5], v[194:195], v[4:5]
	v_fma_f64 v[4:5], v[192:193], v[6:7], -v[4:5]
	v_add_f64 v[2:3], v[2:3], v[4:5]
	v_mul_f64 v[4:5], v[12:13], v[144:145]
	v_fma_f64 v[4:5], v[10:11], v[148:149], -v[4:5]
	v_add_f64 v[2:3], v[2:3], v[4:5]
	v_accvgpr_read_b32 v4, a164
	v_accvgpr_read_b32 v5, a165
	v_mul_f64 v[4:5], v[16:17], v[4:5]
	v_fma_f64 v[4:5], v[14:15], v[252:253], -v[4:5]
	v_add_f64 v[2:3], v[2:3], v[4:5]
	v_mul_f64 v[4:5], v[20:21], v[152:153]
	v_fma_f64 v[4:5], v[18:19], v[156:157], -v[4:5]
	v_add_f64 v[2:3], v[2:3], v[4:5]
	;; [unrolled: 3-line block ×24, first 2 shown]
	v_add_f64 v[0:1], v[2:3], v[0:1]
	v_mul_f64 v[2:3], v[116:117], v[242:243]
	v_fma_f64 v[2:3], v[114:115], v[244:245], -v[2:3]
	v_add_f64 v[0:1], v[0:1], v[2:3]
	v_accvgpr_read_b32 v255, a158
	s_waitcnt vmcnt(2)
	v_add_f64 v[0:1], v[248:249], -v[0:1]
	v_cmp_lt_u32_e32 vcc, 9, v255
	s_waitcnt vmcnt(0)
	v_add_f64 v[2:3], v[246:247], -v[120:121]
	buffer_store_dword v1, off, s[0:3], 0 offset:180
	buffer_store_dword v0, off, s[0:3], 0 offset:176
	;; [unrolled: 1-line block ×4, first 2 shown]
	s_and_saveexec_b64 s[4:5], vcc
	s_cbranch_execz .LBB116_313
; %bb.312:
	v_accvgpr_read_b32 v0, a149
	buffer_load_dword v2, v0, s[0:3], 0 offen
	buffer_load_dword v3, v0, s[0:3], 0 offen offset:4
	buffer_load_dword v4, v0, s[0:3], 0 offen offset:8
	;; [unrolled: 1-line block ×3, first 2 shown]
	v_mov_b32_e32 v0, 0
	v_accvgpr_read_b32 v1, a159
	buffer_store_dword v0, off, s[0:3], 0 offset:160
	buffer_store_dword v0, off, s[0:3], 0 offset:164
	;; [unrolled: 1-line block ×4, first 2 shown]
	s_waitcnt vmcnt(4)
	ds_write_b128 v1, v[2:5]
.LBB116_313:
	s_or_b64 exec, exec, s[4:5]
	s_waitcnt lgkmcnt(0)
	; wave barrier
	s_waitcnt lgkmcnt(0)
	buffer_load_dword v50, off, s[0:3], 0 offset:176
	buffer_load_dword v51, off, s[0:3], 0 offset:180
	;; [unrolled: 1-line block ×54, first 2 shown]
	v_mov_b32_e32 v254, 0
	ds_read_b128 v[102:105], v254 offset:1008
	ds_read_b128 v[106:109], v254 offset:1024
	;; [unrolled: 1-line block ×9, first 2 shown]
	v_cmp_lt_u32_e32 vcc, 8, v255
	s_waitcnt vmcnt(46) lgkmcnt(7)
	v_mul_f64 v[2:3], v[106:107], v[58:59]
	v_fmac_f64_e32 v[2:3], v[108:109], v[52:53]
	s_waitcnt vmcnt(44) lgkmcnt(6)
	v_mul_f64 v[4:5], v[110:111], v[204:205]
	s_waitcnt vmcnt(42) lgkmcnt(4)
	v_mul_f64 v[8:9], v[208:209], v[212:213]
	s_waitcnt vmcnt(40)
	v_fmac_f64_e32 v[8:9], v[210:211], v[60:61]
	s_waitcnt vmcnt(38)
	v_mul_f64 v[6:7], v[114:115], v[64:65]
	s_waitcnt vmcnt(36) lgkmcnt(2)
	v_mul_f64 v[12:13], v[220:221], v[66:67]
	v_mul_f64 v[66:67], v[222:223], v[66:67]
	s_waitcnt vmcnt(34)
	v_fmac_f64_e32 v[12:13], v[222:223], v[70:71]
	s_waitcnt vmcnt(32)
	v_mul_f64 v[10:11], v[216:217], v[76:77]
	s_waitcnt vmcnt(30) lgkmcnt(1)
	v_mul_f64 v[14:15], v[232:233], v[68:69]
	s_waitcnt vmcnt(28)
	v_fmac_f64_e32 v[4:5], v[112:113], v[82:83]
	s_waitcnt vmcnt(26)
	v_fmac_f64_e32 v[6:7], v[116:117], v[80:81]
	s_waitcnt vmcnt(24)
	v_fmac_f64_e32 v[10:11], v[218:219], v[78:79]
	s_waitcnt vmcnt(22)
	v_fmac_f64_e32 v[14:15], v[234:235], v[72:73]
	s_waitcnt vmcnt(0)
	v_pk_mov_b32 v[16:17], v[0:1], v[0:1] op_sel:[0,1]
	v_mul_f64 v[0:1], v[102:103], v[200:201]
	v_fmac_f64_e32 v[0:1], v[104:105], v[50:51]
	v_add_f64 v[0:1], v[0:1], 0
	v_add_f64 v[0:1], v[0:1], v[2:3]
	buffer_load_dword v3, off, s[0:3], 0 offset:404
	buffer_load_dword v2, off, s[0:3], 0 offset:400
	v_add_f64 v[0:1], v[0:1], v[4:5]
	v_add_f64 v[0:1], v[0:1], v[6:7]
	;; [unrolled: 1-line block ×6, first 2 shown]
	v_accvgpr_write_b32 a161, v17
	v_accvgpr_write_b32 a160, v16
	v_mul_f64 v[104:105], v[104:105], v[200:201]
	s_waitcnt vmcnt(0)
	v_pk_mov_b32 v[4:5], v[2:3], v[2:3] op_sel:[0,1]
	buffer_load_dword v181, off, s[0:3], 0 offset:396
	buffer_load_dword v180, off, s[0:3], 0 offset:392
	;; [unrolled: 1-line block ×6, first 2 shown]
	v_accvgpr_write_b32 a163, v5
	v_accvgpr_write_b32 a162, v4
	s_waitcnt vmcnt(0)
	v_pk_mov_b32 v[8:9], v[2:3], v[2:3] op_sel:[0,1]
	buffer_load_dword v3, off, s[0:3], 0 offset:436
	buffer_load_dword v2, off, s[0:3], 0 offset:432
	v_accvgpr_write_b32 a165, v9
	v_accvgpr_write_b32 a164, v8
	s_waitcnt vmcnt(0)
	v_pk_mov_b32 v[20:21], v[2:3], v[2:3] op_sel:[0,1]
	buffer_load_dword v141, off, s[0:3], 0 offset:428
	buffer_load_dword v140, off, s[0:3], 0 offset:424
	;; [unrolled: 1-line block ×52, first 2 shown]
	ds_read_b128 v[240:243], v254 offset:1152
	ds_read_b128 v[244:247], v254 offset:1168
	;; [unrolled: 1-line block ×7, first 2 shown]
	v_accvgpr_write_b32 a167, v21
	v_accvgpr_write_b32 a166, v20
	s_waitcnt lgkmcnt(2)
	v_mul_f64 v[6:7], v[54:55], v[180:181]
	v_fmac_f64_e32 v[6:7], v[56:57], v[62:63]
	s_waitcnt lgkmcnt(1)
	v_mul_f64 v[10:11], v[124:125], v[16:17]
	v_fmac_f64_e32 v[10:11], v[126:127], v[4:5]
	v_mul_f64 v[56:57], v[56:57], v[180:181]
	s_waitcnt vmcnt(46)
	v_pk_mov_b32 v[28:29], v[2:3], v[2:3] op_sel:[0,1]
	v_mul_f64 v[2:3], v[236:237], v[74:75]
	v_fmac_f64_e32 v[2:3], v[238:239], v[84:85]
	v_add_f64 v[0:1], v[0:1], v[2:3]
	v_mul_f64 v[2:3], v[240:241], v[90:91]
	v_fmac_f64_e32 v[2:3], v[242:243], v[92:93]
	v_add_f64 v[0:1], v[0:1], v[2:3]
	;; [unrolled: 3-line block ×5, first 2 shown]
	v_add_f64 v[0:1], v[0:1], v[6:7]
	v_add_f64 v[0:1], v[0:1], v[10:11]
	ds_read_b128 v[10:13], v254 offset:1264
	s_waitcnt lgkmcnt(1)
	v_mul_f64 v[14:15], v[128:129], v[140:141]
	v_fmac_f64_e32 v[14:15], v[130:131], v[144:145]
	v_add_f64 v[0:1], v[0:1], v[14:15]
	ds_read_b128 v[14:17], v254 offset:1280
	s_waitcnt lgkmcnt(1)
	v_mul_f64 v[18:19], v[10:11], v[8:9]
	v_fmac_f64_e32 v[18:19], v[12:13], v[20:21]
	v_add_f64 v[0:1], v[0:1], v[18:19]
	ds_read_b128 v[18:21], v254 offset:1296
	s_waitcnt vmcnt(42) lgkmcnt(1)
	v_mul_f64 v[22:23], v[14:15], v[148:149]
	s_waitcnt vmcnt(40)
	v_fmac_f64_e32 v[22:23], v[16:17], v[152:153]
	v_add_f64 v[0:1], v[0:1], v[22:23]
	ds_read_b128 v[22:25], v254 offset:1312
	s_waitcnt lgkmcnt(1)
	v_mul_f64 v[26:27], v[18:19], v[28:29]
	v_accvgpr_write_b32 a169, v29
	v_fmac_f64_e32 v[26:27], v[20:21], v[252:253]
	v_accvgpr_write_b32 a168, v28
	v_add_f64 v[0:1], v[0:1], v[26:27]
	ds_read_b128 v[26:29], v254 offset:1328
	s_waitcnt vmcnt(34) lgkmcnt(1)
	v_mul_f64 v[30:31], v[22:23], v[156:157]
	s_waitcnt vmcnt(32)
	v_fmac_f64_e32 v[30:31], v[24:25], v[160:161]
	v_add_f64 v[0:1], v[0:1], v[30:31]
	ds_read_b128 v[30:33], v254 offset:1344
	s_waitcnt lgkmcnt(1)
	v_mul_f64 v[34:35], v[26:27], v[132:133]
	v_fmac_f64_e32 v[34:35], v[28:29], v[134:135]
	v_add_f64 v[0:1], v[0:1], v[34:35]
	ds_read_b128 v[34:37], v254 offset:1360
	s_waitcnt vmcnt(26) lgkmcnt(1)
	v_mul_f64 v[38:39], v[30:31], v[164:165]
	s_waitcnt vmcnt(24)
	v_fmac_f64_e32 v[38:39], v[32:33], v[166:167]
	v_add_f64 v[0:1], v[0:1], v[38:39]
	ds_read_b128 v[38:41], v254 offset:1376
	s_waitcnt lgkmcnt(1)
	v_mul_f64 v[42:43], v[34:35], v[136:137]
	v_fmac_f64_e32 v[42:43], v[36:37], v[138:139]
	v_add_f64 v[46:47], v[0:1], v[42:43]
	ds_read_b128 v[42:45], v254 offset:1392
	buffer_load_dword v123, off, s[0:3], 0 offset:668
	buffer_load_dword v183, off, s[0:3], 0 offset:652
	buffer_load_dword v182, off, s[0:3], 0 offset:648
	buffer_load_dword v187, off, s[0:3], 0 offset:644
	buffer_load_dword v186, off, s[0:3], 0 offset:640
	buffer_load_dword v122, off, s[0:3], 0 offset:664
	buffer_load_dword v185, off, s[0:3], 0 offset:660
	buffer_load_dword v184, off, s[0:3], 0 offset:656
	s_waitcnt vmcnt(26) lgkmcnt(1)
	v_mul_f64 v[48:49], v[38:39], v[168:169]
	s_waitcnt vmcnt(24)
	v_fmac_f64_e32 v[48:49], v[40:41], v[170:171]
	v_add_f64 v[192:193], v[46:47], v[48:49]
	ds_read_b128 v[46:49], v254 offset:1408
	buffer_load_dword v189, off, s[0:3], 0 offset:684
	buffer_load_dword v188, off, s[0:3], 0 offset:680
	;; [unrolled: 1-line block ×4, first 2 shown]
	s_waitcnt lgkmcnt(1)
	v_mul_f64 v[194:195], v[42:43], v[142:143]
	v_fmac_f64_e32 v[194:195], v[44:45], v[146:147]
	v_add_f64 v[0:1], v[192:193], v[194:195]
	buffer_load_dword v193, off, s[0:3], 0 offset:700
	buffer_load_dword v192, off, s[0:3], 0 offset:696
	;; [unrolled: 1-line block ×12, first 2 shown]
	v_fma_f64 v[8:9], v[102:103], v[50:51], -v[104:105]
	v_mul_f64 v[50:51], v[108:109], v[58:59]
	v_fma_f64 v[214:215], v[106:107], v[52:53], -v[50:51]
	v_mul_f64 v[50:51], v[112:113], v[204:205]
	v_fma_f64 v[102:103], v[110:111], v[82:83], -v[50:51]
	buffer_load_dword v205, off, s[0:3], 0 offset:748
	buffer_load_dword v204, off, s[0:3], 0 offset:744
	;; [unrolled: 1-line block ×4, first 2 shown]
	v_mul_f64 v[50:51], v[116:117], v[64:65]
	v_fma_f64 v[104:105], v[114:115], v[80:81], -v[50:51]
	v_mul_f64 v[50:51], v[210:211], v[212:213]
	buffer_load_dword v211, off, s[0:3], 0 offset:764
	buffer_load_dword v210, off, s[0:3], 0 offset:760
	;; [unrolled: 1-line block ×4, first 2 shown]
	v_fma_f64 v[6:7], v[208:209], v[60:61], -v[50:51]
	buffer_load_dword v209, off, s[0:3], 0 offset:796
	buffer_load_dword v65, off, s[0:3], 0 offset:780
	;; [unrolled: 1-line block ×12, first 2 shown]
	ds_read_b128 v[50:53], v254 offset:1424
	v_mul_f64 v[60:61], v[218:219], v[76:77]
	v_fma_f64 v[4:5], v[216:217], v[78:79], -v[60:61]
	ds_read_b128 v[216:219], v254 offset:1440
	s_waitcnt vmcnt(54) lgkmcnt(2)
	v_mul_f64 v[58:59], v[46:47], v[172:173]
	s_waitcnt vmcnt(52)
	v_fmac_f64_e32 v[58:59], v[48:49], v[174:175]
	v_add_f64 v[0:1], v[0:1], v[58:59]
	s_waitcnt lgkmcnt(1)
	v_mul_f64 v[58:59], v[50:51], v[150:151]
	v_fmac_f64_e32 v[58:59], v[52:53], v[154:155]
	v_add_f64 v[0:1], v[0:1], v[58:59]
	s_waitcnt vmcnt(46) lgkmcnt(0)
	v_mul_f64 v[58:59], v[216:217], v[176:177]
	s_waitcnt vmcnt(44)
	v_fmac_f64_e32 v[58:59], v[218:219], v[178:179]
	v_add_f64 v[0:1], v[0:1], v[58:59]
	ds_read_b128 v[58:61], v254 offset:1456
	v_fma_f64 v[2:3], v[220:221], v[70:71], -v[66:67]
	ds_read_b128 v[220:223], v254 offset:1472
	v_mul_f64 v[66:67], v[234:235], v[68:69]
	v_fma_f64 v[232:233], v[232:233], v[72:73], -v[66:67]
	ds_read_b128 v[66:69], v254 offset:1488
	s_waitcnt lgkmcnt(2)
	v_mul_f64 v[70:71], v[58:59], v[158:159]
	v_fmac_f64_e32 v[70:71], v[60:61], v[162:163]
	v_add_f64 v[0:1], v[0:1], v[70:71]
	v_mul_f64 v[74:75], v[238:239], v[74:75]
	v_fma_f64 v[234:235], v[236:237], v[84:85], -v[74:75]
	ds_read_b128 v[74:77], v254 offset:1520
	v_mul_f64 v[78:79], v[242:243], v[90:91]
	v_fma_f64 v[240:241], v[240:241], v[92:93], -v[78:79]
	v_mul_f64 v[86:87], v[246:247], v[86:87]
	v_fma_f64 v[246:247], v[244:245], v[88:89], -v[86:87]
	;; [unrolled: 2-line block ×3, first 2 shown]
	v_add_f64 v[8:9], v[8:9], 0
	v_add_f64 v[8:9], v[8:9], v[214:215]
	;; [unrolled: 1-line block ×5, first 2 shown]
	ds_read_b128 v[78:81], v254 offset:1536
	v_add_f64 v[4:5], v[6:7], v[4:5]
	v_add_f64 v[2:3], v[4:5], v[2:3]
	v_add_f64 v[2:3], v[2:3], v[232:233]
	v_add_f64 v[2:3], v[2:3], v[234:235]
	v_add_f64 v[2:3], v[2:3], v[240:241]
	v_add_f64 v[2:3], v[2:3], v[246:247]
	v_accvgpr_read_b32 v4, a160
	v_accvgpr_read_b32 v5, a161
	;; [unrolled: 1-line block ×3, first 2 shown]
	v_mul_f64 v[4:5], v[126:127], v[4:5]
	ds_read_b128 v[86:89], v254 offset:1568
	v_accvgpr_read_b32 v7, a163
	v_fma_f64 v[4:5], v[124:125], v[6:7], -v[4:5]
	v_accvgpr_read_b32 v6, a166
	s_waitcnt vmcnt(41) lgkmcnt(4)
	v_mul_f64 v[70:71], v[220:221], v[182:183]
	v_accvgpr_read_b32 v7, a167
	s_waitcnt vmcnt(39)
	v_fmac_f64_e32 v[70:71], v[222:223], v[186:187]
	v_add_f64 v[0:1], v[0:1], v[70:71]
	s_waitcnt vmcnt(38) lgkmcnt(3)
	v_mul_f64 v[70:71], v[66:67], v[122:123]
	s_waitcnt vmcnt(36)
	v_fmac_f64_e32 v[70:71], v[68:69], v[184:185]
	v_add_f64 v[0:1], v[0:1], v[70:71]
	ds_read_b128 v[70:73], v254 offset:1504
	ds_read_b128 v[94:97], v254 offset:1600
	s_waitcnt vmcnt(34) lgkmcnt(1)
	v_mul_f64 v[82:83], v[70:71], v[188:189]
	s_waitcnt vmcnt(32)
	v_fmac_f64_e32 v[82:83], v[72:73], v[190:191]
	v_add_f64 v[0:1], v[0:1], v[82:83]
	s_waitcnt vmcnt(30)
	v_mul_f64 v[82:83], v[74:75], v[192:193]
	s_waitcnt vmcnt(28)
	v_fmac_f64_e32 v[82:83], v[76:77], v[196:197]
	v_add_f64 v[0:1], v[0:1], v[82:83]
	s_waitcnt vmcnt(26)
	v_mul_f64 v[82:83], v[78:79], v[194:195]
	s_waitcnt vmcnt(24)
	v_fmac_f64_e32 v[82:83], v[80:81], v[198:199]
	v_add_f64 v[0:1], v[0:1], v[82:83]
	ds_read_b128 v[82:85], v254 offset:1552
	s_waitcnt vmcnt(21) lgkmcnt(0)
	v_mul_f64 v[90:91], v[82:83], v[200:201]
	s_waitcnt vmcnt(20)
	v_fmac_f64_e32 v[90:91], v[84:85], v[202:203]
	v_add_f64 v[106:107], v[0:1], v[90:91]
	v_mul_f64 v[90:91], v[250:251], v[98:99]
	v_fma_f64 v[248:249], v[248:249], v[100:101], -v[90:91]
	ds_read_b128 v[90:93], v254 offset:1584
	s_waitcnt vmcnt(18)
	v_mul_f64 v[98:99], v[86:87], v[204:205]
	s_waitcnt vmcnt(16)
	v_fmac_f64_e32 v[98:99], v[88:89], v[206:207]
	v_add_f64 v[98:99], v[106:107], v[98:99]
	v_fma_f64 v[250:251], v[54:55], v[62:63], -v[56:57]
	s_waitcnt vmcnt(14) lgkmcnt(0)
	v_mul_f64 v[100:101], v[90:91], v[210:211]
	s_waitcnt vmcnt(12)
	v_fmac_f64_e32 v[100:101], v[92:93], v[212:213]
	v_add_f64 v[106:107], v[98:99], v[100:101]
	ds_read_b128 v[98:101], v254 offset:1616
	ds_read_b128 v[54:57], v254 offset:1632
	s_waitcnt vmcnt(9)
	v_mul_f64 v[62:63], v[94:95], v[64:65]
	s_waitcnt vmcnt(7)
	v_fmac_f64_e32 v[62:63], v[96:97], v[228:229]
	v_add_f64 v[62:63], v[106:107], v[62:63]
	s_waitcnt vmcnt(6) lgkmcnt(1)
	v_mul_f64 v[106:107], v[98:99], v[208:209]
	s_waitcnt vmcnt(4)
	v_fmac_f64_e32 v[106:107], v[100:101], v[226:227]
	v_add_f64 v[62:63], v[62:63], v[106:107]
	s_waitcnt vmcnt(2) lgkmcnt(0)
	v_mul_f64 v[106:107], v[54:55], v[224:225]
	buffer_load_dword v0, off, s[0:3], 0 offset:824
	s_waitcnt vmcnt(1)
	v_fmac_f64_e32 v[106:107], v[56:57], v[230:231]
	v_add_f64 v[110:111], v[62:63], v[106:107]
	buffer_load_dword v62, off, s[0:3], 0 offset:816
	buffer_load_dword v1, off, s[0:3], 0 offset:828
	;; [unrolled: 1-line block ×3, first 2 shown]
	ds_read_b128 v[106:109], v254 offset:1648
	buffer_load_dword v237, off, s[0:3], 0 offset:844
	buffer_load_dword v236, off, s[0:3], 0 offset:840
	;; [unrolled: 1-line block ×4, first 2 shown]
	v_add_f64 v[2:3], v[2:3], v[248:249]
	v_add_f64 v[118:119], v[2:3], v[118:119]
	;; [unrolled: 1-line block ×4, first 2 shown]
	v_mul_f64 v[4:5], v[130:131], v[140:141]
	v_fma_f64 v[4:5], v[128:129], v[144:145], -v[4:5]
	v_add_f64 v[2:3], v[2:3], v[4:5]
	v_accvgpr_read_b32 v4, a164
	v_accvgpr_read_b32 v5, a165
	v_mul_f64 v[4:5], v[12:13], v[4:5]
	v_fma_f64 v[4:5], v[10:11], v[6:7], -v[4:5]
	v_add_f64 v[2:3], v[2:3], v[4:5]
	v_mul_f64 v[4:5], v[16:17], v[148:149]
	v_fma_f64 v[4:5], v[14:15], v[152:153], -v[4:5]
	v_add_f64 v[2:3], v[2:3], v[4:5]
	v_accvgpr_read_b32 v4, a168
	v_accvgpr_read_b32 v5, a169
	v_mul_f64 v[4:5], v[20:21], v[4:5]
	v_fma_f64 v[4:5], v[18:19], v[252:253], -v[4:5]
	v_add_f64 v[2:3], v[2:3], v[4:5]
	v_mul_f64 v[4:5], v[24:25], v[156:157]
	v_fma_f64 v[4:5], v[22:23], v[160:161], -v[4:5]
	v_add_f64 v[2:3], v[2:3], v[4:5]
	;; [unrolled: 3-line block ×19, first 2 shown]
	v_mul_f64 v[4:5], v[96:97], v[64:65]
	v_fma_f64 v[4:5], v[94:95], v[228:229], -v[4:5]
	s_waitcnt vmcnt(5) lgkmcnt(0)
	v_mul_f64 v[112:113], v[106:107], v[0:1]
	s_waitcnt vmcnt(4)
	v_fmac_f64_e32 v[112:113], v[108:109], v[62:63]
	v_add_f64 v[114:115], v[110:111], v[112:113]
	ds_read_b128 v[110:113], v254 offset:1664
	buffer_load_dword v242, off, s[0:3], 0 offset:856
	buffer_load_dword v243, off, s[0:3], 0 offset:860
	;; [unrolled: 1-line block ×4, first 2 shown]
	v_add_f64 v[2:3], v[2:3], v[4:5]
	v_mul_f64 v[4:5], v[100:101], v[208:209]
	v_fma_f64 v[4:5], v[98:99], v[226:227], -v[4:5]
	s_waitcnt vmcnt(6) lgkmcnt(0)
	v_mul_f64 v[116:117], v[110:111], v[236:237]
	s_waitcnt vmcnt(4)
	v_fmac_f64_e32 v[116:117], v[112:113], v[238:239]
	v_add_f64 v[120:121], v[114:115], v[116:117]
	ds_read_b128 v[114:117], v254 offset:1680
	buffer_load_dword v248, off, s[0:3], 0 offset:160
	buffer_load_dword v249, off, s[0:3], 0 offset:164
	;; [unrolled: 1-line block ×4, first 2 shown]
	v_add_f64 v[2:3], v[2:3], v[4:5]
	v_mul_f64 v[4:5], v[56:57], v[224:225]
	v_fma_f64 v[4:5], v[54:55], v[230:231], -v[4:5]
	v_mul_f64 v[0:1], v[108:109], v[0:1]
	v_add_f64 v[2:3], v[2:3], v[4:5]
	v_fma_f64 v[0:1], v[106:107], v[62:63], -v[0:1]
	v_add_f64 v[0:1], v[2:3], v[0:1]
	v_mul_f64 v[2:3], v[112:113], v[236:237]
	v_fma_f64 v[2:3], v[110:111], v[238:239], -v[2:3]
	v_add_f64 v[0:1], v[0:1], v[2:3]
	s_waitcnt vmcnt(6) lgkmcnt(0)
	v_mul_f64 v[2:3], v[116:117], v[242:243]
	v_mul_f64 v[180:181], v[114:115], v[242:243]
	s_waitcnt vmcnt(4)
	v_fma_f64 v[2:3], v[114:115], v[244:245], -v[2:3]
	v_fmac_f64_e32 v[180:181], v[116:117], v[244:245]
	v_add_f64 v[0:1], v[0:1], v[2:3]
	v_add_f64 v[120:121], v[120:121], v[180:181]
	s_waitcnt vmcnt(2)
	v_add_f64 v[0:1], v[248:249], -v[0:1]
	s_waitcnt vmcnt(0)
	v_add_f64 v[2:3], v[246:247], -v[120:121]
	buffer_store_dword v1, off, s[0:3], 0 offset:164
	buffer_store_dword v0, off, s[0:3], 0 offset:160
	;; [unrolled: 1-line block ×4, first 2 shown]
	s_and_saveexec_b64 s[4:5], vcc
	s_cbranch_execz .LBB116_315
; %bb.314:
	v_accvgpr_read_b32 v0, a150
	buffer_load_dword v2, v0, s[0:3], 0 offen
	buffer_load_dword v3, v0, s[0:3], 0 offen offset:4
	buffer_load_dword v4, v0, s[0:3], 0 offen offset:8
	buffer_load_dword v5, v0, s[0:3], 0 offen offset:12
	v_accvgpr_read_b32 v0, a159
	buffer_store_dword v254, off, s[0:3], 0 offset:144
	buffer_store_dword v254, off, s[0:3], 0 offset:148
	;; [unrolled: 1-line block ×4, first 2 shown]
	s_waitcnt vmcnt(4)
	ds_write_b128 v0, v[2:5]
.LBB116_315:
	s_or_b64 exec, exec, s[4:5]
	s_waitcnt lgkmcnt(0)
	; wave barrier
	s_waitcnt lgkmcnt(0)
	buffer_load_dword v90, off, s[0:3], 0 offset:160
	buffer_load_dword v91, off, s[0:3], 0 offset:164
	;; [unrolled: 1-line block ×36, first 2 shown]
	ds_read_b128 v[82:85], v254 offset:992
	ds_read_b128 v[78:81], v254 offset:1008
	;; [unrolled: 1-line block ×9, first 2 shown]
	buffer_load_dword v235, off, s[0:3], 0 offset:332
	buffer_load_dword v234, off, s[0:3], 0 offset:328
	;; [unrolled: 1-line block ×19, first 2 shown]
	s_waitcnt vmcnt(51) lgkmcnt(8)
	v_mul_f64 v[0:1], v[82:83], v[92:93]
	v_fmac_f64_e32 v[0:1], v[84:85], v[90:91]
	v_add_f64 v[0:1], v[0:1], 0
	s_waitcnt vmcnt(47) lgkmcnt(7)
	v_mul_f64 v[2:3], v[78:79], v[94:95]
	v_fmac_f64_e32 v[2:3], v[80:81], v[196:197]
	s_waitcnt vmcnt(45) lgkmcnt(6)
	v_mul_f64 v[4:5], v[74:75], v[88:89]
	v_add_f64 v[0:1], v[0:1], v[2:3]
	s_waitcnt vmcnt(43) lgkmcnt(4)
	v_mul_f64 v[8:9], v[62:63], v[96:97]
	v_mul_f64 v[80:81], v[80:81], v[94:95]
	s_waitcnt vmcnt(41)
	v_fmac_f64_e32 v[8:9], v[64:65], v[98:99]
	v_fma_f64 v[202:203], v[78:79], v[196:197], -v[80:81]
	s_waitcnt vmcnt(39)
	v_mul_f64 v[6:7], v[70:71], v[100:101]
	v_mul_f64 v[64:65], v[64:65], v[96:97]
	s_waitcnt vmcnt(37) lgkmcnt(2)
	v_mul_f64 v[12:13], v[54:55], v[104:105]
	v_fma_f64 v[78:79], v[62:63], v[98:99], -v[64:65]
	s_waitcnt vmcnt(35)
	v_fmac_f64_e32 v[12:13], v[56:57], v[108:109]
	v_mul_f64 v[56:57], v[56:57], v[104:105]
	s_waitcnt vmcnt(33)
	v_mul_f64 v[10:11], v[50:51], v[112:113]
	s_waitcnt vmcnt(31) lgkmcnt(1)
	v_mul_f64 v[14:15], v[58:59], v[106:107]
	s_waitcnt vmcnt(29)
	v_fmac_f64_e32 v[4:5], v[76:77], v[200:201]
	v_add_f64 v[0:1], v[0:1], v[4:5]
	s_waitcnt vmcnt(27)
	v_fmac_f64_e32 v[6:7], v[72:73], v[116:117]
	v_add_f64 v[0:1], v[0:1], v[6:7]
	;; [unrolled: 3-line block ×3, first 2 shown]
	v_add_f64 v[0:1], v[0:1], v[10:11]
	v_add_f64 v[0:1], v[0:1], v[12:13]
	buffer_load_dword v244, off, s[0:3], 0 offset:384
	buffer_load_dword v13, off, s[0:3], 0 offset:380
	;; [unrolled: 1-line block ×7, first 2 shown]
	s_waitcnt vmcnt(30)
	v_fmac_f64_e32 v[14:15], v[60:61], v[110:111]
	v_add_f64 v[0:1], v[0:1], v[14:15]
	v_mul_f64 v[76:77], v[76:77], v[88:89]
	v_fma_f64 v[74:75], v[74:75], v[200:201], -v[76:77]
	v_mul_f64 v[52:53], v[52:53], v[112:113]
	v_fma_f64 v[80:81], v[50:51], v[114:115], -v[52:53]
	v_mul_f64 v[60:61], v[60:61], v[106:107]
	v_mul_f64 v[72:73], v[72:73], v[100:101]
	v_fma_f64 v[76:77], v[70:71], v[116:117], -v[72:73]
	s_waitcnt vmcnt(0)
	v_pk_mov_b32 v[18:19], v[2:3], v[2:3] op_sel:[0,1]
	buffer_load_dword v3, off, s[0:3], 0 offset:420
	buffer_load_dword v2, off, s[0:3], 0 offset:416
	v_accvgpr_write_b32 a163, v19
	v_accvgpr_write_b32 a162, v18
	s_waitcnt vmcnt(0)
	v_pk_mov_b32 v[20:21], v[2:3], v[2:3] op_sel:[0,1]
	buffer_load_dword v3, off, s[0:3], 0 offset:412
	buffer_load_dword v2, off, s[0:3], 0 offset:408
	v_accvgpr_write_b32 a165, v21
	v_accvgpr_write_b32 a164, v20
	s_waitcnt vmcnt(0)
	v_pk_mov_b32 v[22:23], v[2:3], v[2:3] op_sel:[0,1]
	buffer_load_dword v141, off, s[0:3], 0 offset:404
	buffer_load_dword v140, off, s[0:3], 0 offset:400
	;; [unrolled: 1-line block ×4, first 2 shown]
	v_accvgpr_write_b32 a161, v23
	v_accvgpr_write_b32 a160, v22
	s_waitcnt vmcnt(0)
	v_pk_mov_b32 v[26:27], v[2:3], v[2:3] op_sel:[0,1]
	buffer_load_dword v3, off, s[0:3], 0 offset:452
	buffer_load_dword v2, off, s[0:3], 0 offset:448
	v_accvgpr_write_b32 a167, v27
	v_accvgpr_write_b32 a166, v26
	s_waitcnt vmcnt(0)
	v_pk_mov_b32 v[28:29], v[2:3], v[2:3] op_sel:[0,1]
	buffer_load_dword v145, off, s[0:3], 0 offset:444
	buffer_load_dword v144, off, s[0:3], 0 offset:440
	;; [unrolled: 1-line block ×6, first 2 shown]
	v_accvgpr_write_b32 a169, v29
	v_accvgpr_write_b32 a168, v28
	s_waitcnt vmcnt(0)
	v_pk_mov_b32 v[34:35], v[2:3], v[2:3] op_sel:[0,1]
	buffer_load_dword v3, off, s[0:3], 0 offset:484
	buffer_load_dword v2, off, s[0:3], 0 offset:480
	v_accvgpr_write_b32 a171, v35
	v_accvgpr_write_b32 a170, v34
	s_waitcnt vmcnt(0)
	v_pk_mov_b32 v[36:37], v[2:3], v[2:3] op_sel:[0,1]
	buffer_load_dword v153, off, s[0:3], 0 offset:476
	buffer_load_dword v152, off, s[0:3], 0 offset:472
	;; [unrolled: 1-line block ×6, first 2 shown]
	v_accvgpr_write_b32 a173, v37
	v_accvgpr_write_b32 a172, v36
	s_waitcnt vmcnt(0)
	v_pk_mov_b32 v[42:43], v[2:3], v[2:3] op_sel:[0,1]
	buffer_load_dword v3, off, s[0:3], 0 offset:516
	buffer_load_dword v2, off, s[0:3], 0 offset:512
	;; [unrolled: 1-line block ×30, first 2 shown]
	ds_read_b128 v[216:219], v254 offset:1136
	ds_read_b128 v[220:223], v254 offset:1152
	;; [unrolled: 1-line block ×7, first 2 shown]
	v_accvgpr_write_b32 a175, v43
	v_accvgpr_write_b32 a174, v42
	s_waitcnt lgkmcnt(6)
	v_mul_f64 v[70:71], v[218:219], v[238:239]
	v_fma_f64 v[96:97], v[216:217], v[240:241], -v[70:71]
	s_waitcnt lgkmcnt(0)
	v_mul_f64 v[24:25], v[122:123], v[26:27]
	v_fmac_f64_e32 v[24:25], v[124:125], v[28:29]
	s_waitcnt vmcnt(28)
	v_pk_mov_b32 v[44:45], v[2:3], v[2:3] op_sel:[0,1]
	v_mul_f64 v[2:3], v[66:67], v[102:103]
	v_fmac_f64_e32 v[2:3], v[68:69], v[232:233]
	v_add_f64 v[0:1], v[0:1], v[2:3]
	v_mul_f64 v[2:3], v[216:217], v[238:239]
	v_fmac_f64_e32 v[2:3], v[218:219], v[240:241]
	v_add_f64 v[0:1], v[0:1], v[2:3]
	;; [unrolled: 3-line block ×3, first 2 shown]
	ds_read_b128 v[0:3], v254 offset:1184
	v_mul_f64 v[6:7], v[118:119], v[250:251]
	v_fmac_f64_e32 v[6:7], v[120:121], v[252:253]
	v_add_f64 v[8:9], v[4:5], v[6:7]
	ds_read_b128 v[4:7], v254 offset:1200
	s_waitcnt lgkmcnt(1)
	v_mul_f64 v[10:11], v[0:1], v[246:247]
	v_fmac_f64_e32 v[10:11], v[2:3], v[248:249]
	v_add_f64 v[14:15], v[8:9], v[10:11]
	ds_read_b128 v[8:11], v254 offset:1216
	s_waitcnt lgkmcnt(1)
	v_mul_f64 v[16:17], v[4:5], v[12:13]
	v_fmac_f64_e32 v[16:17], v[6:7], v[86:87]
	v_add_f64 v[14:15], v[14:15], v[16:17]
	v_accvgpr_write_b32 a177, v45
	s_waitcnt lgkmcnt(0)
	v_mul_f64 v[16:17], v[8:9], v[242:243]
	v_fmac_f64_e32 v[16:17], v[10:11], v[244:245]
	v_add_f64 v[14:15], v[14:15], v[16:17]
	v_mul_f64 v[16:17], v[134:135], v[22:23]
	v_fmac_f64_e32 v[16:17], v[136:137], v[140:141]
	v_add_f64 v[14:15], v[14:15], v[16:17]
	v_mul_f64 v[16:17], v[126:127], v[18:19]
	v_fmac_f64_e32 v[16:17], v[128:129], v[20:21]
	v_mul_f64 v[20:21], v[130:131], v[144:145]
	v_add_f64 v[18:19], v[14:15], v[16:17]
	v_fmac_f64_e32 v[20:21], v[132:133], v[148:149]
	v_add_f64 v[22:23], v[18:19], v[20:21]
	ds_read_b128 v[18:21], v254 offset:1296
	v_add_f64 v[26:27], v[22:23], v[24:25]
	ds_read_b128 v[22:25], v254 offset:1312
	v_accvgpr_write_b32 a176, v44
	v_mul_f64 v[16:17], v[84:85], v[92:93]
	s_waitcnt lgkmcnt(1)
	v_mul_f64 v[28:29], v[18:19], v[152:153]
	v_fmac_f64_e32 v[28:29], v[20:21], v[156:157]
	v_add_f64 v[30:31], v[26:27], v[28:29]
	ds_read_b128 v[26:29], v254 offset:1328
	s_waitcnt lgkmcnt(1)
	v_mul_f64 v[32:33], v[22:23], v[34:35]
	v_fmac_f64_e32 v[32:33], v[24:25], v[36:37]
	v_add_f64 v[34:35], v[30:31], v[32:33]
	ds_read_b128 v[30:33], v254 offset:1344
	s_waitcnt vmcnt(26) lgkmcnt(1)
	v_mul_f64 v[36:37], v[26:27], v[160:161]
	s_waitcnt vmcnt(24)
	v_fmac_f64_e32 v[36:37], v[28:29], v[162:163]
	v_add_f64 v[38:39], v[34:35], v[36:37]
	ds_read_b128 v[34:37], v254 offset:1360
	s_waitcnt lgkmcnt(1)
	v_mul_f64 v[40:41], v[30:31], v[42:43]
	v_fmac_f64_e32 v[40:41], v[32:33], v[44:45]
	v_add_f64 v[42:43], v[38:39], v[40:41]
	ds_read_b128 v[38:41], v254 offset:1376
	s_waitcnt vmcnt(18) lgkmcnt(1)
	v_mul_f64 v[44:45], v[34:35], v[164:165]
	s_waitcnt vmcnt(16)
	v_fmac_f64_e32 v[44:45], v[36:37], v[166:167]
	v_add_f64 v[46:47], v[42:43], v[44:45]
	ds_read_b128 v[42:45], v254 offset:1392
	buffer_load_dword v177, off, s[0:3], 0 offset:636
	buffer_load_dword v176, off, s[0:3], 0 offset:632
	;; [unrolled: 1-line block ×4, first 2 shown]
	s_waitcnt lgkmcnt(1)
	v_mul_f64 v[48:49], v[38:39], v[138:139]
	v_fmac_f64_e32 v[48:49], v[40:41], v[142:143]
	v_add_f64 v[180:181], v[46:47], v[48:49]
	ds_read_b128 v[46:49], v254 offset:1408
	buffer_load_dword v183, off, s[0:3], 0 offset:652
	buffer_load_dword v182, off, s[0:3], 0 offset:648
	buffer_load_dword v185, off, s[0:3], 0 offset:644
	buffer_load_dword v184, off, s[0:3], 0 offset:640
	s_waitcnt vmcnt(18) lgkmcnt(1)
	v_mul_f64 v[186:187], v[42:43], v[168:169]
	s_waitcnt vmcnt(16)
	v_fmac_f64_e32 v[186:187], v[44:45], v[170:171]
	v_add_f64 v[14:15], v[180:181], v[186:187]
	buffer_load_dword v181, off, s[0:3], 0 offset:684
	buffer_load_dword v189, off, s[0:3], 0 offset:668
	;; [unrolled: 1-line block ×28, first 2 shown]
	s_waitcnt lgkmcnt(0)
	v_mul_f64 v[50:51], v[46:47], v[146:147]
	v_fmac_f64_e32 v[50:51], v[48:49], v[150:151]
	buffer_load_dword v215, off, s[0:3], 0 offset:780
	buffer_load_dword v214, off, s[0:3], 0 offset:776
	;; [unrolled: 1-line block ×12, first 2 shown]
	v_add_f64 v[14:15], v[14:15], v[50:51]
	ds_read_b128 v[50:53], v254 offset:1424
	v_fma_f64 v[16:17], v[82:83], v[90:91], -v[16:17]
	v_fma_f64 v[90:91], v[54:55], v[108:109], -v[56:57]
	ds_read_b128 v[54:57], v254 offset:1440
	v_fma_f64 v[92:93], v[58:59], v[110:111], -v[60:61]
	ds_read_b128 v[58:61], v254 offset:1456
	s_waitcnt vmcnt(50) lgkmcnt(2)
	v_mul_f64 v[62:63], v[50:51], v[172:173]
	s_waitcnt vmcnt(48)
	v_fmac_f64_e32 v[62:63], v[52:53], v[174:175]
	v_add_f64 v[14:15], v[14:15], v[62:63]
	s_waitcnt lgkmcnt(1)
	v_mul_f64 v[62:63], v[54:55], v[154:155]
	v_fmac_f64_e32 v[62:63], v[56:57], v[158:159]
	v_mul_f64 v[68:69], v[68:69], v[102:103]
	v_add_f64 v[14:15], v[14:15], v[62:63]
	v_fma_f64 v[94:95], v[66:67], v[232:233], -v[68:69]
	ds_read_b128 v[66:69], v254 offset:1488
	ds_read_b128 v[216:219], v254 offset:1520
	v_mul_f64 v[2:3], v[2:3], v[246:247]
	v_fma_f64 v[246:247], v[0:1], v[248:249], -v[2:3]
	ds_read_b128 v[0:3], v254 offset:1584
	v_mul_f64 v[6:7], v[6:7], v[12:13]
	v_fma_f64 v[12:13], v[4:5], v[86:87], -v[6:7]
	ds_read_b128 v[4:7], v254 offset:1616
	v_mul_f64 v[10:11], v[10:11], v[242:243]
	ds_read_b128 v[70:73], v254 offset:1504
	s_waitcnt vmcnt(46) lgkmcnt(5)
	v_mul_f64 v[62:63], v[58:59], v[176:177]
	s_waitcnt vmcnt(44)
	v_fmac_f64_e32 v[62:63], v[60:61], v[178:179]
	v_add_f64 v[14:15], v[14:15], v[62:63]
	ds_read_b128 v[62:65], v254 offset:1472
	s_waitcnt vmcnt(42) lgkmcnt(0)
	v_mul_f64 v[82:83], v[62:63], v[182:183]
	s_waitcnt vmcnt(40)
	v_fmac_f64_e32 v[82:83], v[64:65], v[184:185]
	v_add_f64 v[14:15], v[14:15], v[82:83]
	s_waitcnt vmcnt(37)
	v_mul_f64 v[82:83], v[66:67], v[188:189]
	s_waitcnt vmcnt(35)
	v_fmac_f64_e32 v[82:83], v[68:69], v[192:193]
	v_add_f64 v[14:15], v[14:15], v[82:83]
	s_waitcnt vmcnt(34)
	v_mul_f64 v[82:83], v[70:71], v[180:181]
	s_waitcnt vmcnt(32)
	v_fmac_f64_e32 v[82:83], v[72:73], v[190:191]
	v_add_f64 v[14:15], v[14:15], v[82:83]
	v_mul_f64 v[82:83], v[222:223], v[234:235]
	v_fma_f64 v[240:241], v[220:221], v[236:237], -v[82:83]
	ds_read_b128 v[220:223], v254 offset:1536
	s_waitcnt vmcnt(29)
	v_mul_f64 v[82:83], v[216:217], v[194:195]
	s_waitcnt vmcnt(27)
	v_fmac_f64_e32 v[82:83], v[218:219], v[198:199]
	v_add_f64 v[14:15], v[14:15], v[82:83]
	v_mul_f64 v[82:83], v[120:121], v[250:251]
	v_fma_f64 v[250:251], v[118:119], v[252:253], -v[82:83]
	ds_read_b128 v[82:85], v254 offset:1552
	ds_read_b128 v[118:121], v254 offset:1568
	s_waitcnt vmcnt(25) lgkmcnt(2)
	v_mul_f64 v[98:99], v[220:221], v[186:187]
	s_waitcnt vmcnt(24)
	v_fmac_f64_e32 v[98:99], v[222:223], v[196:197]
	v_add_f64 v[14:15], v[14:15], v[98:99]
	s_waitcnt vmcnt(21) lgkmcnt(1)
	v_mul_f64 v[98:99], v[82:83], v[88:89]
	s_waitcnt vmcnt(19)
	v_fmac_f64_e32 v[98:99], v[84:85], v[208:209]
	v_add_f64 v[14:15], v[14:15], v[98:99]
	;; [unrolled: 5-line block ×3, first 2 shown]
	ds_read_b128 v[98:101], v254 offset:1600
	s_waitcnt vmcnt(14)
	v_mul_f64 v[102:103], v[0:1], v[204:205]
	s_waitcnt vmcnt(12)
	v_fmac_f64_e32 v[102:103], v[2:3], v[210:211]
	v_add_f64 v[14:15], v[14:15], v[102:103]
	ds_read_b128 v[102:105], v254 offset:1632
	buffer_load_dword v233, off, s[0:3], 0 offset:828
	buffer_load_dword v232, off, s[0:3], 0 offset:824
	;; [unrolled: 1-line block ×4, first 2 shown]
	ds_read_b128 v[106:109], v254 offset:1648
	buffer_load_dword v236, off, s[0:3], 0 offset:840
	buffer_load_dword v237, off, s[0:3], 0 offset:844
	buffer_load_dword v238, off, s[0:3], 0 offset:832
	buffer_load_dword v239, off, s[0:3], 0 offset:836
	v_fma_f64 v[252:253], v[8:9], v[244:245], -v[10:11]
	ds_read_b128 v[110:113], v254 offset:1664
	buffer_load_dword v243, off, s[0:3], 0 offset:860
	buffer_load_dword v242, off, s[0:3], 0 offset:856
	;; [unrolled: 1-line block ×4, first 2 shown]
	s_waitcnt vmcnt(22) lgkmcnt(3)
	v_mul_f64 v[8:9], v[98:99], v[214:215]
	s_waitcnt vmcnt(20)
	v_fmac_f64_e32 v[8:9], v[100:101], v[224:225]
	s_waitcnt vmcnt(17)
	v_mul_f64 v[10:11], v[4:5], v[228:229]
	v_add_f64 v[8:9], v[14:15], v[8:9]
	s_waitcnt vmcnt(15)
	v_fmac_f64_e32 v[10:11], v[6:7], v[230:231]
	v_add_f64 v[8:9], v[8:9], v[10:11]
	s_waitcnt vmcnt(13) lgkmcnt(2)
	v_mul_f64 v[10:11], v[102:103], v[212:213]
	s_waitcnt vmcnt(12)
	v_fmac_f64_e32 v[10:11], v[104:105], v[226:227]
	ds_read_b128 v[114:117], v254 offset:1680
	v_add_f64 v[8:9], v[8:9], v[10:11]
	v_accvgpr_read_b32 v14, a164
	v_accvgpr_read_b32 v15, a165
	v_mul_f64 v[2:3], v[2:3], v[204:205]
	v_fma_f64 v[0:1], v[0:1], v[210:211], -v[2:3]
	v_mul_f64 v[2:3], v[100:101], v[214:215]
	v_fma_f64 v[2:3], v[98:99], v[224:225], -v[2:3]
	s_waitcnt vmcnt(10) lgkmcnt(2)
	v_mul_f64 v[10:11], v[106:107], v[232:233]
	s_waitcnt vmcnt(8)
	v_fmac_f64_e32 v[10:11], v[108:109], v[234:235]
	v_add_f64 v[8:9], v[8:9], v[10:11]
	s_waitcnt vmcnt(6) lgkmcnt(1)
	v_mul_f64 v[10:11], v[110:111], v[236:237]
	s_waitcnt vmcnt(4)
	v_fmac_f64_e32 v[10:11], v[112:113], v[238:239]
	v_add_f64 v[8:9], v[8:9], v[10:11]
	;; [unrolled: 5-line block ×3, first 2 shown]
	v_add_f64 v[10:11], v[16:17], 0
	v_add_f64 v[10:11], v[10:11], v[202:203]
	;; [unrolled: 1-line block ×13, first 2 shown]
	buffer_load_dword v248, off, s[0:3], 0 offset:144
	buffer_load_dword v249, off, s[0:3], 0 offset:148
	;; [unrolled: 1-line block ×4, first 2 shown]
	v_add_f64 v[10:11], v[254:255], v[12:13]
	v_accvgpr_read_b32 v12, a160
	v_accvgpr_read_b32 v13, a161
	v_mul_f64 v[12:13], v[136:137], v[12:13]
	v_add_f64 v[10:11], v[10:11], v[252:253]
	v_fma_f64 v[12:13], v[134:135], v[140:141], -v[12:13]
	v_add_f64 v[10:11], v[10:11], v[12:13]
	v_accvgpr_read_b32 v12, a162
	v_accvgpr_read_b32 v13, a163
	v_mul_f64 v[12:13], v[128:129], v[12:13]
	v_fma_f64 v[12:13], v[126:127], v[14:15], -v[12:13]
	v_add_f64 v[10:11], v[10:11], v[12:13]
	v_mul_f64 v[12:13], v[132:133], v[144:145]
	v_fma_f64 v[12:13], v[130:131], v[148:149], -v[12:13]
	v_add_f64 v[10:11], v[10:11], v[12:13]
	v_accvgpr_read_b32 v12, a166
	v_accvgpr_read_b32 v13, a167
	v_accvgpr_read_b32 v14, a168
	v_mul_f64 v[12:13], v[124:125], v[12:13]
	v_accvgpr_read_b32 v15, a169
	v_fma_f64 v[12:13], v[122:123], v[14:15], -v[12:13]
	v_add_f64 v[10:11], v[10:11], v[12:13]
	v_mul_f64 v[12:13], v[20:21], v[152:153]
	v_fma_f64 v[12:13], v[18:19], v[156:157], -v[12:13]
	v_add_f64 v[10:11], v[10:11], v[12:13]
	v_accvgpr_read_b32 v12, a170
	v_accvgpr_read_b32 v13, a171
	v_accvgpr_read_b32 v14, a172
	v_mul_f64 v[12:13], v[24:25], v[12:13]
	v_accvgpr_read_b32 v15, a173
	;; [unrolled: 10-line block ×3, first 2 shown]
	v_fma_f64 v[12:13], v[30:31], v[14:15], -v[12:13]
	v_add_f64 v[10:11], v[10:11], v[12:13]
	v_mul_f64 v[12:13], v[36:37], v[164:165]
	v_fma_f64 v[12:13], v[34:35], v[166:167], -v[12:13]
	v_add_f64 v[10:11], v[10:11], v[12:13]
	v_mul_f64 v[12:13], v[40:41], v[138:139]
	;; [unrolled: 3-line block ×14, first 2 shown]
	v_fma_f64 v[12:13], v[118:119], v[206:207], -v[12:13]
	v_add_f64 v[10:11], v[10:11], v[12:13]
	v_add_f64 v[0:1], v[10:11], v[0:1]
	v_add_f64 v[0:1], v[0:1], v[2:3]
	v_mul_f64 v[2:3], v[6:7], v[228:229]
	v_fma_f64 v[2:3], v[4:5], v[230:231], -v[2:3]
	v_add_f64 v[0:1], v[0:1], v[2:3]
	v_mul_f64 v[2:3], v[104:105], v[212:213]
	v_fma_f64 v[2:3], v[102:103], v[226:227], -v[2:3]
	v_add_f64 v[0:1], v[0:1], v[2:3]
	;; [unrolled: 3-line block ×5, first 2 shown]
	v_accvgpr_read_b32 v255, a158
	s_waitcnt vmcnt(2)
	v_add_f64 v[0:1], v[248:249], -v[0:1]
	v_cmp_lt_u32_e32 vcc, 7, v255
	s_waitcnt vmcnt(0)
	v_add_f64 v[2:3], v[246:247], -v[8:9]
	buffer_store_dword v1, off, s[0:3], 0 offset:148
	buffer_store_dword v0, off, s[0:3], 0 offset:144
	;; [unrolled: 1-line block ×4, first 2 shown]
	s_and_saveexec_b64 s[4:5], vcc
	s_cbranch_execz .LBB116_317
; %bb.316:
	v_accvgpr_read_b32 v3, a151
	buffer_load_dword v0, v3, s[0:3], 0 offen
	buffer_load_dword v1, v3, s[0:3], 0 offen offset:4
	buffer_load_dword v2, v3, s[0:3], 0 offen offset:8
	s_nop 0
	buffer_load_dword v3, v3, s[0:3], 0 offen offset:12
	v_mov_b32_e32 v4, 0
	v_accvgpr_read_b32 v5, a159
	buffer_store_dword v4, off, s[0:3], 0 offset:128
	buffer_store_dword v4, off, s[0:3], 0 offset:132
	;; [unrolled: 1-line block ×4, first 2 shown]
	s_waitcnt vmcnt(4)
	ds_write_b128 v5, v[0:3]
.LBB116_317:
	s_or_b64 exec, exec, s[4:5]
	s_waitcnt lgkmcnt(0)
	; wave barrier
	s_waitcnt lgkmcnt(0)
	buffer_load_dword v56, off, s[0:3], 0 offset:144
	buffer_load_dword v57, off, s[0:3], 0 offset:148
	;; [unrolled: 1-line block ×36, first 2 shown]
	v_mov_b32_e32 v254, 0
	buffer_load_dword v87, off, s[0:3], 0 offset:316
	buffer_load_dword v86, off, s[0:3], 0 offset:312
	;; [unrolled: 1-line block ×18, first 2 shown]
	ds_read_b128 v[110:113], v254 offset:976
	ds_read_b128 v[114:117], v254 offset:992
	;; [unrolled: 1-line block ×9, first 2 shown]
	v_cmp_lt_u32_e32 vcc, 6, v255
	s_waitcnt vmcnt(50) lgkmcnt(8)
	v_mul_f64 v[0:1], v[110:111], v[58:59]
	v_fmac_f64_e32 v[0:1], v[112:113], v[56:57]
	v_add_f64 v[0:1], v[0:1], 0
	s_waitcnt vmcnt(46) lgkmcnt(7)
	v_mul_f64 v[2:3], v[114:115], v[54:55]
	v_fmac_f64_e32 v[2:3], v[116:117], v[52:53]
	s_waitcnt vmcnt(44) lgkmcnt(6)
	v_mul_f64 v[4:5], v[196:197], v[50:51]
	v_add_f64 v[0:1], v[0:1], v[2:3]
	s_waitcnt vmcnt(42) lgkmcnt(4)
	v_mul_f64 v[8:9], v[204:205], v[60:61]
	v_mul_f64 v[50:51], v[198:199], v[50:51]
	s_waitcnt vmcnt(40)
	v_fmac_f64_e32 v[8:9], v[206:207], v[62:63]
	v_mul_f64 v[54:55], v[116:117], v[54:55]
	s_waitcnt vmcnt(38)
	v_mul_f64 v[6:7], v[200:201], v[64:65]
	v_fma_f64 v[228:229], v[114:115], v[52:53], -v[54:55]
	s_waitcnt vmcnt(36) lgkmcnt(2)
	v_mul_f64 v[12:13], v[214:215], v[74:75]
	s_waitcnt vmcnt(34)
	v_fmac_f64_e32 v[12:13], v[216:217], v[72:73]
	s_waitcnt vmcnt(32)
	v_mul_f64 v[10:11], v[208:209], v[76:77]
	v_mul_f64 v[54:55], v[210:211], v[76:77]
	s_waitcnt vmcnt(30) lgkmcnt(1)
	v_mul_f64 v[14:15], v[218:219], v[68:69]
	s_waitcnt vmcnt(28)
	v_fmac_f64_e32 v[4:5], v[198:199], v[82:83]
	v_add_f64 v[0:1], v[0:1], v[4:5]
	buffer_load_dword v105, off, s[0:3], 0 offset:372
	buffer_load_dword v104, off, s[0:3], 0 offset:368
	;; [unrolled: 1-line block ×8, first 2 shown]
	s_waitcnt vmcnt(34)
	v_fmac_f64_e32 v[6:7], v[202:203], v[80:81]
	v_add_f64 v[0:1], v[0:1], v[6:7]
	s_waitcnt vmcnt(32)
	v_fmac_f64_e32 v[10:11], v[210:211], v[78:79]
	v_add_f64 v[0:1], v[0:1], v[8:9]
	v_add_f64 v[0:1], v[0:1], v[10:11]
	s_waitcnt vmcnt(30)
	v_fmac_f64_e32 v[14:15], v[220:221], v[70:71]
	v_add_f64 v[0:1], v[0:1], v[12:13]
	v_add_f64 v[0:1], v[0:1], v[14:15]
	v_fma_f64 v[230:231], v[196:197], v[82:83], -v[50:51]
	v_mul_f64 v[50:51], v[202:203], v[64:65]
	v_fma_f64 v[114:115], v[208:209], v[78:79], -v[54:55]
	v_mul_f64 v[54:55], v[216:217], v[74:75]
	v_fma_f64 v[116:117], v[214:215], v[72:73], -v[54:55]
	s_waitcnt vmcnt(0)
	v_pk_mov_b32 v[16:17], v[2:3], v[2:3] op_sel:[0,1]
	buffer_load_dword v3, off, s[0:3], 0 offset:404
	buffer_load_dword v2, off, s[0:3], 0 offset:400
	v_accvgpr_write_b32 a161, v17
	v_accvgpr_write_b32 a160, v16
	s_waitcnt vmcnt(0)
	v_pk_mov_b32 v[18:19], v[2:3], v[2:3] op_sel:[0,1]
	buffer_load_dword v107, off, s[0:3], 0 offset:396
	buffer_load_dword v106, off, s[0:3], 0 offset:392
	;; [unrolled: 1-line block ×6, first 2 shown]
	v_accvgpr_write_b32 a163, v19
	v_accvgpr_write_b32 a162, v18
	s_waitcnt vmcnt(0)
	v_pk_mov_b32 v[22:23], v[2:3], v[2:3] op_sel:[0,1]
	buffer_load_dword v3, off, s[0:3], 0 offset:436
	buffer_load_dword v2, off, s[0:3], 0 offset:432
	v_accvgpr_write_b32 a165, v23
	v_accvgpr_write_b32 a164, v22
	s_waitcnt vmcnt(0)
	v_pk_mov_b32 v[24:25], v[2:3], v[2:3] op_sel:[0,1]
	buffer_load_dword v141, off, s[0:3], 0 offset:428
	buffer_load_dword v140, off, s[0:3], 0 offset:424
	;; [unrolled: 1-line block ×6, first 2 shown]
	v_accvgpr_write_b32 a167, v25
	v_accvgpr_write_b32 a166, v24
	s_waitcnt vmcnt(0)
	v_pk_mov_b32 v[30:31], v[2:3], v[2:3] op_sel:[0,1]
	buffer_load_dword v3, off, s[0:3], 0 offset:468
	buffer_load_dword v2, off, s[0:3], 0 offset:464
	v_accvgpr_write_b32 a169, v31
	v_accvgpr_write_b32 a168, v30
	s_waitcnt vmcnt(0)
	v_pk_mov_b32 v[32:33], v[2:3], v[2:3] op_sel:[0,1]
	buffer_load_dword v149, off, s[0:3], 0 offset:460
	buffer_load_dword v148, off, s[0:3], 0 offset:456
	;; [unrolled: 1-line block ×36, first 2 shown]
	ds_read_b128 v[236:239], v254 offset:1120
	ds_read_b128 v[240:243], v254 offset:1136
	;; [unrolled: 1-line block ×8, first 2 shown]
	v_accvgpr_write_b32 a171, v33
	v_accvgpr_write_b32 a170, v32
	s_waitcnt lgkmcnt(2)
	v_mul_f64 v[8:9], v[122:123], v[94:95]
	v_fmac_f64_e32 v[8:9], v[124:125], v[104:105]
	s_waitcnt lgkmcnt(0)
	v_mul_f64 v[20:21], v[126:127], v[22:23]
	v_fmac_f64_e32 v[20:21], v[128:129], v[24:25]
	v_mul_f64 v[82:83], v[250:251], v[96:97]
	ds_read_b128 v[134:137], v254 offset:1232
	s_waitcnt lgkmcnt(0)
	v_mul_f64 v[12:13], v[134:135], v[16:17]
	v_mul_f64 v[16:17], v[130:131], v[140:141]
	v_fmac_f64_e32 v[12:13], v[136:137], v[18:19]
	v_fmac_f64_e32 v[16:17], v[132:133], v[144:145]
	s_waitcnt vmcnt(30)
	v_pk_mov_b32 v[38:39], v[2:3], v[2:3] op_sel:[0,1]
	v_mul_f64 v[2:3], v[232:233], v[66:67]
	v_fmac_f64_e32 v[2:3], v[234:235], v[84:85]
	v_add_f64 v[0:1], v[0:1], v[2:3]
	v_mul_f64 v[2:3], v[236:237], v[90:91]
	v_fmac_f64_e32 v[2:3], v[238:239], v[92:93]
	v_add_f64 v[0:1], v[0:1], v[2:3]
	;; [unrolled: 3-line block ×6, first 2 shown]
	ds_read_b128 v[0:3], v254 offset:1216
	v_add_f64 v[6:7], v[6:7], v[8:9]
	v_accvgpr_write_b32 a173, v39
	v_accvgpr_write_b32 a172, v38
	v_fma_f64 v[248:249], v[248:249], v[98:99], -v[82:83]
	s_waitcnt lgkmcnt(0)
	v_mul_f64 v[8:9], v[0:1], v[106:107]
	v_fmac_f64_e32 v[8:9], v[2:3], v[108:109]
	v_add_f64 v[10:11], v[6:7], v[8:9]
	v_add_f64 v[14:15], v[10:11], v[12:13]
	;; [unrolled: 1-line block ×3, first 2 shown]
	ds_read_b128 v[14:17], v254 offset:1280
	v_add_f64 v[22:23], v[18:19], v[20:21]
	ds_read_b128 v[18:21], v254 offset:1296
	v_mul_f64 v[8:9], v[112:113], v[58:59]
	v_fma_f64 v[10:11], v[110:111], v[56:57], -v[8:9]
	s_waitcnt lgkmcnt(1)
	v_mul_f64 v[24:25], v[14:15], v[148:149]
	v_fmac_f64_e32 v[24:25], v[16:17], v[152:153]
	v_add_f64 v[26:27], v[22:23], v[24:25]
	ds_read_b128 v[22:25], v254 offset:1312
	s_waitcnt lgkmcnt(1)
	v_mul_f64 v[28:29], v[18:19], v[30:31]
	v_fmac_f64_e32 v[28:29], v[20:21], v[32:33]
	v_add_f64 v[30:31], v[26:27], v[28:29]
	ds_read_b128 v[26:29], v254 offset:1328
	s_waitcnt vmcnt(26) lgkmcnt(1)
	v_mul_f64 v[32:33], v[22:23], v[156:157]
	s_waitcnt vmcnt(24)
	v_fmac_f64_e32 v[32:33], v[24:25], v[158:159]
	v_add_f64 v[34:35], v[30:31], v[32:33]
	ds_read_b128 v[30:33], v254 offset:1344
	s_waitcnt lgkmcnt(1)
	v_mul_f64 v[36:37], v[26:27], v[38:39]
	v_fmac_f64_e32 v[36:37], v[28:29], v[222:223]
	v_add_f64 v[38:39], v[34:35], v[36:37]
	ds_read_b128 v[34:37], v254 offset:1360
	s_waitcnt vmcnt(18) lgkmcnt(1)
	v_mul_f64 v[40:41], v[30:31], v[160:161]
	s_waitcnt vmcnt(16)
	;; [unrolled: 11-line block ×3, first 2 shown]
	v_fmac_f64_e32 v[48:49], v[40:41], v[166:167]
	v_add_f64 v[174:175], v[46:47], v[48:49]
	ds_read_b128 v[46:49], v254 offset:1408
	buffer_load_dword v173, off, s[0:3], 0 offset:620
	buffer_load_dword v172, off, s[0:3], 0 offset:616
	;; [unrolled: 1-line block ×4, first 2 shown]
	s_waitcnt lgkmcnt(1)
	v_mul_f64 v[178:179], v[42:43], v[142:143]
	v_fmac_f64_e32 v[178:179], v[44:45], v[146:147]
	v_add_f64 v[6:7], v[174:175], v[178:179]
	buffer_load_dword v179, off, s[0:3], 0 offset:636
	buffer_load_dword v178, off, s[0:3], 0 offset:632
	;; [unrolled: 1-line block ×24, first 2 shown]
	v_fma_f64 v[110:111], v[200:201], v[80:81], -v[50:51]
	v_mul_f64 v[50:51], v[206:207], v[60:61]
	v_fma_f64 v[112:113], v[204:205], v[62:63], -v[50:51]
	buffer_load_dword v201, off, s[0:3], 0 offset:732
	buffer_load_dword v200, off, s[0:3], 0 offset:728
	;; [unrolled: 1-line block ×8, first 2 shown]
	s_waitcnt vmcnt(38) lgkmcnt(0)
	v_mul_f64 v[54:55], v[46:47], v[168:169]
	ds_read_b128 v[50:53], v254 offset:1424
	s_waitcnt vmcnt(36)
	v_fmac_f64_e32 v[54:55], v[48:49], v[170:171]
	v_mul_f64 v[56:57], v[220:221], v[68:69]
	buffer_load_dword v211, off, s[0:3], 0 offset:764
	buffer_load_dword v210, off, s[0:3], 0 offset:760
	;; [unrolled: 1-line block ×12, first 2 shown]
	v_fma_f64 v[8:9], v[218:219], v[70:71], -v[56:57]
	buffer_load_dword v219, off, s[0:3], 0 offset:812
	buffer_load_dword v218, off, s[0:3], 0 offset:808
	;; [unrolled: 1-line block ×4, first 2 shown]
	v_add_f64 v[6:7], v[6:7], v[54:55]
	ds_read_b128 v[54:57], v254 offset:1440
	ds_read_b128 v[58:61], v254 offset:1456
	s_waitcnt lgkmcnt(2)
	v_mul_f64 v[12:13], v[50:51], v[150:151]
	v_fmac_f64_e32 v[12:13], v[52:53], v[154:155]
	v_add_f64 v[6:7], v[6:7], v[12:13]
	v_mul_f64 v[12:13], v[234:235], v[66:67]
	v_fma_f64 v[12:13], v[232:233], v[84:85], -v[12:13]
	v_mul_f64 v[70:71], v[242:243], v[86:87]
	v_fma_f64 v[240:241], v[240:241], v[88:89], -v[70:71]
	ds_read_b128 v[70:73], v254 offset:1504
	ds_read_b128 v[86:89], v254 offset:1568
	v_mul_f64 v[4:5], v[120:121], v[4:5]
	v_fma_f64 v[118:119], v[118:119], v[212:213], -v[4:5]
	v_mul_f64 v[2:3], v[2:3], v[106:107]
	v_fma_f64 v[250:251], v[0:1], v[108:109], -v[2:3]
	v_add_f64 v[10:11], v[10:11], 0
	v_add_f64 v[10:11], v[10:11], v[228:229]
	;; [unrolled: 1-line block ×9, first 2 shown]
	v_accvgpr_read_b32 v10, a160
	v_accvgpr_read_b32 v11, a161
	;; [unrolled: 1-line block ×3, first 2 shown]
	v_mul_f64 v[10:11], v[136:137], v[10:11]
	v_accvgpr_read_b32 v13, a163
	v_fma_f64 v[10:11], v[134:135], v[12:13], -v[10:11]
	v_accvgpr_read_b32 v12, a166
	v_accvgpr_read_b32 v13, a167
	ds_read_b128 v[82:85], v254 offset:1552
	s_waitcnt vmcnt(50) lgkmcnt(4)
	v_mul_f64 v[62:63], v[54:55], v[172:173]
	s_waitcnt vmcnt(48)
	v_fmac_f64_e32 v[62:63], v[56:57], v[176:177]
	v_add_f64 v[6:7], v[6:7], v[62:63]
	v_mul_f64 v[62:63], v[238:239], v[90:91]
	v_fma_f64 v[232:233], v[236:237], v[92:93], -v[62:63]
	ds_read_b128 v[62:65], v254 offset:1472
	s_waitcnt vmcnt(46) lgkmcnt(4)
	v_mul_f64 v[66:67], v[58:59], v[178:179]
	s_waitcnt vmcnt(44)
	v_fmac_f64_e32 v[66:67], v[60:61], v[180:181]
	v_add_f64 v[6:7], v[6:7], v[66:67]
	ds_read_b128 v[66:69], v254 offset:1488
	s_waitcnt vmcnt(41) lgkmcnt(1)
	v_mul_f64 v[74:75], v[62:63], v[184:185]
	s_waitcnt vmcnt(39)
	v_fmac_f64_e32 v[74:75], v[64:65], v[188:189]
	v_add_f64 v[6:7], v[6:7], v[74:75]
	v_mul_f64 v[74:75], v[246:247], v[100:101]
	v_fma_f64 v[246:247], v[244:245], v[102:103], -v[74:75]
	ds_read_b128 v[74:77], v254 offset:1520
	s_waitcnt vmcnt(38) lgkmcnt(1)
	v_mul_f64 v[78:79], v[66:67], v[174:175]
	s_waitcnt vmcnt(36)
	v_fmac_f64_e32 v[78:79], v[68:69], v[186:187]
	v_add_f64 v[6:7], v[6:7], v[78:79]
	s_waitcnt vmcnt(33)
	v_mul_f64 v[78:79], v[70:71], v[192:193]
	s_waitcnt vmcnt(31)
	v_fmac_f64_e32 v[78:79], v[72:73], v[194:195]
	v_add_f64 v[6:7], v[6:7], v[78:79]
	s_waitcnt vmcnt(29) lgkmcnt(0)
	v_mul_f64 v[78:79], v[74:75], v[182:183]
	s_waitcnt vmcnt(28)
	v_fmac_f64_e32 v[78:79], v[76:77], v[190:191]
	v_add_f64 v[6:7], v[6:7], v[78:79]
	ds_read_b128 v[78:81], v254 offset:1536
	ds_read_b128 v[98:101], v254 offset:1616
	v_add_f64 v[8:9], v[8:9], v[232:233]
	v_add_f64 v[8:9], v[8:9], v[240:241]
	v_add_f64 v[8:9], v[8:9], v[246:247]
	s_waitcnt vmcnt(26) lgkmcnt(1)
	v_mul_f64 v[90:91], v[78:79], v[196:197]
	s_waitcnt vmcnt(24)
	v_fmac_f64_e32 v[90:91], v[80:81], v[198:199]
	v_add_f64 v[4:5], v[6:7], v[90:91]
	s_waitcnt vmcnt(22)
	v_mul_f64 v[6:7], v[82:83], v[200:201]
	s_waitcnt vmcnt(20)
	v_fmac_f64_e32 v[6:7], v[84:85], v[204:205]
	v_add_f64 v[4:5], v[4:5], v[6:7]
	ds_read_b128 v[90:93], v254 offset:1584
	s_waitcnt vmcnt(18)
	v_mul_f64 v[6:7], v[86:87], v[202:203]
	s_waitcnt vmcnt(16)
	v_fmac_f64_e32 v[6:7], v[88:89], v[206:207]
	v_add_f64 v[4:5], v[4:5], v[6:7]
	v_mul_f64 v[6:7], v[124:125], v[94:95]
	v_fma_f64 v[124:125], v[122:123], v[104:105], -v[6:7]
	ds_read_b128 v[94:97], v254 offset:1600
	ds_read_b128 v[102:105], v254 offset:1632
	buffer_load_dword v120, off, s[0:3], 0 offset:824
	buffer_load_dword v121, off, s[0:3], 0 offset:828
	buffer_load_dword v234, off, s[0:3], 0 offset:816
	buffer_load_dword v235, off, s[0:3], 0 offset:820
	ds_read_b128 v[106:109], v254 offset:1648
	buffer_load_dword v237, off, s[0:3], 0 offset:844
	buffer_load_dword v236, off, s[0:3], 0 offset:840
	;; [unrolled: 1-line block ×4, first 2 shown]
	s_waitcnt vmcnt(22) lgkmcnt(3)
	v_mul_f64 v[6:7], v[90:91], v[210:211]
	s_waitcnt vmcnt(20)
	v_fmac_f64_e32 v[6:7], v[92:93], v[216:217]
	s_waitcnt vmcnt(17) lgkmcnt(2)
	v_mul_f64 v[2:3], v[94:95], v[224:225]
	v_add_f64 v[0:1], v[4:5], v[6:7]
	s_waitcnt vmcnt(15)
	v_fmac_f64_e32 v[2:3], v[96:97], v[226:227]
	v_add_f64 v[0:1], v[0:1], v[2:3]
	s_waitcnt vmcnt(13)
	v_mul_f64 v[2:3], v[98:99], v[208:209]
	s_waitcnt vmcnt(12)
	v_fmac_f64_e32 v[2:3], v[100:101], v[214:215]
	v_add_f64 v[0:1], v[0:1], v[2:3]
	s_waitcnt vmcnt(10) lgkmcnt(1)
	v_mul_f64 v[2:3], v[102:103], v[218:219]
	s_waitcnt vmcnt(8)
	v_fmac_f64_e32 v[2:3], v[104:105], v[220:221]
	v_add_f64 v[0:1], v[0:1], v[2:3]
	v_add_f64 v[8:9], v[8:9], v[248:249]
	v_add_f64 v[8:9], v[8:9], v[118:119]
	v_add_f64 v[118:119], v[8:9], v[124:125]
	v_add_f64 v[8:9], v[118:119], v[250:251]
	v_add_f64 v[8:9], v[8:9], v[10:11]
	v_mul_f64 v[10:11], v[132:133], v[140:141]
	v_fma_f64 v[10:11], v[130:131], v[144:145], -v[10:11]
	v_add_f64 v[8:9], v[8:9], v[10:11]
	v_accvgpr_read_b32 v10, a164
	v_accvgpr_read_b32 v11, a165
	v_mul_f64 v[10:11], v[128:129], v[10:11]
	v_fma_f64 v[10:11], v[126:127], v[12:13], -v[10:11]
	v_add_f64 v[8:9], v[8:9], v[10:11]
	v_mul_f64 v[10:11], v[16:17], v[148:149]
	v_fma_f64 v[10:11], v[14:15], v[152:153], -v[10:11]
	v_add_f64 v[8:9], v[8:9], v[10:11]
	v_accvgpr_read_b32 v10, a168
	v_accvgpr_read_b32 v11, a169
	;; [unrolled: 1-line block ×3, first 2 shown]
	v_mul_f64 v[10:11], v[20:21], v[10:11]
	v_accvgpr_read_b32 v13, a171
	v_fma_f64 v[10:11], v[18:19], v[12:13], -v[10:11]
	v_add_f64 v[8:9], v[8:9], v[10:11]
	v_mul_f64 v[10:11], v[24:25], v[156:157]
	v_fma_f64 v[10:11], v[22:23], v[158:159], -v[10:11]
	v_add_f64 v[8:9], v[8:9], v[10:11]
	v_accvgpr_read_b32 v10, a172
	v_accvgpr_read_b32 v11, a173
	v_mul_f64 v[10:11], v[28:29], v[10:11]
	v_fma_f64 v[10:11], v[26:27], v[222:223], -v[10:11]
	v_add_f64 v[8:9], v[8:9], v[10:11]
	v_mul_f64 v[10:11], v[32:33], v[160:161]
	v_fma_f64 v[10:11], v[30:31], v[162:163], -v[10:11]
	v_add_f64 v[8:9], v[8:9], v[10:11]
	;; [unrolled: 3-line block ×11, first 2 shown]
	v_mul_f64 v[10:11], v[72:73], v[192:193]
	v_fma_f64 v[10:11], v[70:71], v[194:195], -v[10:11]
	s_waitcnt vmcnt(6) lgkmcnt(0)
	v_mul_f64 v[2:3], v[106:107], v[120:121]
	v_add_f64 v[8:9], v[8:9], v[10:11]
	s_waitcnt vmcnt(4)
	v_fmac_f64_e32 v[2:3], v[108:109], v[234:235]
	v_add_f64 v[4:5], v[0:1], v[2:3]
	ds_read_b128 v[0:3], v254 offset:1664
	buffer_load_dword v242, off, s[0:3], 0 offset:856
	buffer_load_dword v243, off, s[0:3], 0 offset:860
	;; [unrolled: 1-line block ×4, first 2 shown]
	v_mul_f64 v[10:11], v[76:77], v[182:183]
	v_fma_f64 v[10:11], v[74:75], v[190:191], -v[10:11]
	v_add_f64 v[8:9], v[8:9], v[10:11]
	s_waitcnt vmcnt(6) lgkmcnt(0)
	v_mul_f64 v[6:7], v[0:1], v[236:237]
	s_waitcnt vmcnt(4)
	v_fmac_f64_e32 v[6:7], v[2:3], v[238:239]
	v_add_f64 v[122:123], v[4:5], v[6:7]
	ds_read_b128 v[4:7], v254 offset:1680
	buffer_load_dword v248, off, s[0:3], 0 offset:128
	buffer_load_dword v249, off, s[0:3], 0 offset:132
	;; [unrolled: 1-line block ×4, first 2 shown]
	v_mul_f64 v[10:11], v[80:81], v[196:197]
	v_fma_f64 v[10:11], v[78:79], v[198:199], -v[10:11]
	v_add_f64 v[8:9], v[8:9], v[10:11]
	v_mul_f64 v[10:11], v[84:85], v[200:201]
	v_fma_f64 v[10:11], v[82:83], v[204:205], -v[10:11]
	v_add_f64 v[8:9], v[8:9], v[10:11]
	;; [unrolled: 3-line block ×7, first 2 shown]
	v_mul_f64 v[10:11], v[108:109], v[120:121]
	v_fma_f64 v[10:11], v[106:107], v[234:235], -v[10:11]
	v_mul_f64 v[2:3], v[2:3], v[236:237]
	v_add_f64 v[8:9], v[8:9], v[10:11]
	v_fma_f64 v[0:1], v[0:1], v[238:239], -v[2:3]
	v_add_f64 v[0:1], v[8:9], v[0:1]
	s_waitcnt vmcnt(6) lgkmcnt(0)
	v_mul_f64 v[2:3], v[6:7], v[242:243]
	v_mul_f64 v[212:213], v[4:5], v[242:243]
	s_waitcnt vmcnt(4)
	v_fma_f64 v[2:3], v[4:5], v[244:245], -v[2:3]
	v_fmac_f64_e32 v[212:213], v[6:7], v[244:245]
	v_add_f64 v[0:1], v[0:1], v[2:3]
	v_add_f64 v[122:123], v[122:123], v[212:213]
	s_waitcnt vmcnt(2)
	v_add_f64 v[0:1], v[248:249], -v[0:1]
	s_waitcnt vmcnt(0)
	v_add_f64 v[2:3], v[246:247], -v[122:123]
	buffer_store_dword v1, off, s[0:3], 0 offset:132
	buffer_store_dword v0, off, s[0:3], 0 offset:128
	;; [unrolled: 1-line block ×4, first 2 shown]
	s_and_saveexec_b64 s[4:5], vcc
	s_cbranch_execz .LBB116_319
; %bb.318:
	v_accvgpr_read_b32 v3, a152
	buffer_load_dword v0, v3, s[0:3], 0 offen
	buffer_load_dword v1, v3, s[0:3], 0 offen offset:4
	buffer_load_dword v2, v3, s[0:3], 0 offen offset:8
	s_nop 0
	buffer_load_dword v3, v3, s[0:3], 0 offen offset:12
	v_accvgpr_read_b32 v4, a159
	buffer_store_dword v254, off, s[0:3], 0 offset:112
	buffer_store_dword v254, off, s[0:3], 0 offset:116
	buffer_store_dword v254, off, s[0:3], 0 offset:120
	buffer_store_dword v254, off, s[0:3], 0 offset:124
	s_waitcnt vmcnt(4)
	ds_write_b128 v4, v[0:3]
.LBB116_319:
	s_or_b64 exec, exec, s[4:5]
	s_waitcnt lgkmcnt(0)
	; wave barrier
	s_waitcnt lgkmcnt(0)
	buffer_load_dword v60, off, s[0:3], 0 offset:128
	buffer_load_dword v61, off, s[0:3], 0 offset:132
	;; [unrolled: 1-line block ×42, first 2 shown]
	ds_read_b128 v[114:117], v254 offset:960
	ds_read_b128 v[182:185], v254 offset:976
	;; [unrolled: 1-line block ×10, first 2 shown]
	buffer_load_dword v1, off, s[0:3], 0 offset:276
	buffer_load_dword v0, off, s[0:3], 0 offset:272
	ds_read_b128 v[62:65], v254 offset:1120
	buffer_load_dword v101, off, s[0:3], 0 offset:332
	buffer_load_dword v100, off, s[0:3], 0 offset:328
	;; [unrolled: 1-line block ×6, first 2 shown]
	s_waitcnt vmcnt(46) lgkmcnt(10)
	v_mul_f64 v[2:3], v[114:115], v[176:177]
	v_fmac_f64_e32 v[2:3], v[116:117], v[60:61]
	v_add_f64 v[2:3], v[2:3], 0
	s_waitcnt vmcnt(42) lgkmcnt(9)
	v_mul_f64 v[4:5], v[182:183], v[58:59]
	v_fmac_f64_e32 v[4:5], v[184:185], v[50:51]
	v_add_f64 v[2:3], v[2:3], v[4:5]
	buffer_load_dword v119, off, s[0:3], 0 offset:308
	buffer_load_dword v118, off, s[0:3], 0 offset:304
	;; [unrolled: 1-line block ×20, first 2 shown]
	s_waitcnt vmcnt(60) lgkmcnt(8)
	v_mul_f64 v[6:7], v[186:187], v[52:53]
	s_waitcnt vmcnt(58) lgkmcnt(6)
	v_mul_f64 v[10:11], v[200:201], v[68:69]
	s_waitcnt vmcnt(56)
	v_fmac_f64_e32 v[10:11], v[202:203], v[70:71]
	v_mul_f64 v[58:59], v[184:185], v[58:59]
	s_waitcnt vmcnt(54)
	v_mul_f64 v[8:9], v[194:195], v[72:73]
	v_fma_f64 v[224:225], v[182:183], v[50:51], -v[58:59]
	s_waitcnt vmcnt(52) lgkmcnt(4)
	v_mul_f64 v[14:15], v[208:209], v[74:75]
	v_mul_f64 v[50:51], v[188:189], v[52:53]
	s_waitcnt vmcnt(50)
	v_fmac_f64_e32 v[14:15], v[210:211], v[76:77]
	s_waitcnt vmcnt(48)
	v_mul_f64 v[12:13], v[204:205], v[78:79]
	s_waitcnt vmcnt(46) lgkmcnt(2)
	v_mul_f64 v[18:19], v[216:217], v[82:83]
	s_waitcnt vmcnt(43)
	v_mul_f64 v[16:17], v[212:213], v[86:87]
	s_waitcnt vmcnt(41) lgkmcnt(1)
	v_mul_f64 v[20:21], v[54:55], v[80:81]
	s_waitcnt vmcnt(39)
	v_fmac_f64_e32 v[6:7], v[188:189], v[96:97]
	v_add_f64 v[2:3], v[2:3], v[6:7]
	s_waitcnt vmcnt(37)
	v_fmac_f64_e32 v[8:9], v[196:197], v[92:93]
	v_add_f64 v[2:3], v[2:3], v[8:9]
	;; [unrolled: 3-line block ×3, first 2 shown]
	v_add_f64 v[2:3], v[2:3], v[12:13]
	s_waitcnt vmcnt(33)
	v_fmac_f64_e32 v[16:17], v[214:215], v[88:89]
	v_add_f64 v[2:3], v[2:3], v[14:15]
	s_waitcnt vmcnt(32)
	v_fmac_f64_e32 v[18:19], v[218:219], v[84:85]
	v_add_f64 v[2:3], v[2:3], v[16:17]
	v_add_f64 v[2:3], v[2:3], v[18:19]
	v_fma_f64 v[96:97], v[186:187], v[96:97], -v[50:51]
	s_waitcnt vmcnt(26)
	v_fmac_f64_e32 v[20:21], v[56:57], v[0:1]
	v_add_f64 v[2:3], v[2:3], v[20:21]
	v_mul_f64 v[50:51], v[196:197], v[72:73]
	v_mul_f64 v[56:57], v[56:57], v[80:81]
	s_waitcnt vmcnt(0)
	v_pk_mov_b32 v[18:19], v[4:5], v[4:5] op_sel:[0,1]
	buffer_load_dword v5, off, s[0:3], 0 offset:420
	buffer_load_dword v4, off, s[0:3], 0 offset:416
	v_accvgpr_write_b32 a163, v19
	v_accvgpr_write_b32 a162, v18
	s_waitcnt vmcnt(0)
	v_pk_mov_b32 v[22:23], v[4:5], v[4:5] op_sel:[0,1]
	buffer_load_dword v5, off, s[0:3], 0 offset:412
	buffer_load_dword v4, off, s[0:3], 0 offset:408
	v_accvgpr_write_b32 a165, v23
	v_accvgpr_write_b32 a164, v22
	s_waitcnt vmcnt(0)
	v_pk_mov_b32 v[14:15], v[4:5], v[4:5] op_sel:[0,1]
	buffer_load_dword v141, off, s[0:3], 0 offset:404
	buffer_load_dword v140, off, s[0:3], 0 offset:400
	buffer_load_dword v5, off, s[0:3], 0 offset:460
	buffer_load_dword v4, off, s[0:3], 0 offset:456
	v_accvgpr_write_b32 a161, v15
	v_accvgpr_write_b32 a160, v14
	s_waitcnt vmcnt(0)
	v_pk_mov_b32 v[26:27], v[4:5], v[4:5] op_sel:[0,1]
	buffer_load_dword v5, off, s[0:3], 0 offset:452
	buffer_load_dword v4, off, s[0:3], 0 offset:448
	v_accvgpr_write_b32 a167, v27
	v_accvgpr_write_b32 a166, v26
	s_waitcnt vmcnt(0)
	v_pk_mov_b32 v[28:29], v[4:5], v[4:5] op_sel:[0,1]
	buffer_load_dword v145, off, s[0:3], 0 offset:444
	buffer_load_dword v144, off, s[0:3], 0 offset:440
	buffer_load_dword v149, off, s[0:3], 0 offset:436
	buffer_load_dword v148, off, s[0:3], 0 offset:432
	buffer_load_dword v5, off, s[0:3], 0 offset:492
	buffer_load_dword v4, off, s[0:3], 0 offset:488
	v_accvgpr_write_b32 a169, v29
	v_accvgpr_write_b32 a168, v28
	s_waitcnt vmcnt(0)
	v_pk_mov_b32 v[34:35], v[4:5], v[4:5] op_sel:[0,1]
	buffer_load_dword v5, off, s[0:3], 0 offset:484
	buffer_load_dword v4, off, s[0:3], 0 offset:480
	v_accvgpr_write_b32 a171, v35
	v_accvgpr_write_b32 a170, v34
	s_waitcnt vmcnt(0)
	v_pk_mov_b32 v[36:37], v[4:5], v[4:5] op_sel:[0,1]
	buffer_load_dword v153, off, s[0:3], 0 offset:476
	buffer_load_dword v152, off, s[0:3], 0 offset:472
	;; [unrolled: 16-line block ×3, first 2 shown]
	buffer_load_dword v163, off, s[0:3], 0 offset:500
	buffer_load_dword v162, off, s[0:3], 0 offset:496
	buffer_load_dword v5, off, s[0:3], 0 offset:556
	buffer_load_dword v4, off, s[0:3], 0 offset:552
	buffer_load_dword v143, off, s[0:3], 0 offset:548
	buffer_load_dword v142, off, s[0:3], 0 offset:544
	buffer_load_dword v165, off, s[0:3], 0 offset:540
	buffer_load_dword v164, off, s[0:3], 0 offset:536
	buffer_load_dword v167, off, s[0:3], 0 offset:532
	buffer_load_dword v166, off, s[0:3], 0 offset:528
	buffer_load_dword v147, off, s[0:3], 0 offset:588
	buffer_load_dword v146, off, s[0:3], 0 offset:584
	buffer_load_dword v151, off, s[0:3], 0 offset:580
	buffer_load_dword v150, off, s[0:3], 0 offset:576
	buffer_load_dword v169, off, s[0:3], 0 offset:572
	buffer_load_dword v168, off, s[0:3], 0 offset:568
	buffer_load_dword v171, off, s[0:3], 0 offset:564
	buffer_load_dword v170, off, s[0:3], 0 offset:560
	buffer_load_dword v155, off, s[0:3], 0 offset:620
	buffer_load_dword v154, off, s[0:3], 0 offset:616
	buffer_load_dword v159, off, s[0:3], 0 offset:612
	buffer_load_dword v158, off, s[0:3], 0 offset:608
	buffer_load_dword v173, off, s[0:3], 0 offset:604
	buffer_load_dword v172, off, s[0:3], 0 offset:600
	buffer_load_dword v175, off, s[0:3], 0 offset:596
	buffer_load_dword v174, off, s[0:3], 0 offset:592
	ds_read_b128 v[220:223], v254 offset:1136
	ds_read_b128 v[232:235], v254 offset:1152
	;; [unrolled: 1-line block ×10, first 2 shown]
	s_waitcnt lgkmcnt(4)
	v_mul_f64 v[8:9], v[248:249], v[106:107]
	v_fmac_f64_e32 v[8:9], v[250:251], v[108:109]
	s_waitcnt lgkmcnt(3)
	v_mul_f64 v[12:13], v[136:137], v[14:15]
	v_fmac_f64_e32 v[12:13], v[138:139], v[140:141]
	;; [unrolled: 3-line block ×4, first 2 shown]
	ds_read_b128 v[120:123], v254 offset:1296
	s_waitcnt lgkmcnt(1)
	v_mul_f64 v[24:25], v[124:125], v[26:27]
	v_fmac_f64_e32 v[24:25], v[126:127], v[28:29]
	v_accvgpr_write_b32 a177, v45
	v_accvgpr_write_b32 a176, v44
	s_waitcnt vmcnt(22)
	v_pk_mov_b32 v[178:179], v[4:5], v[4:5] op_sel:[0,1]
	v_mul_f64 v[4:5], v[62:63], v[94:95]
	v_fmac_f64_e32 v[4:5], v[64:65], v[98:99]
	v_add_f64 v[2:3], v[2:3], v[4:5]
	v_mul_f64 v[4:5], v[220:221], v[104:105]
	v_fmac_f64_e32 v[4:5], v[222:223], v[118:119]
	v_add_f64 v[2:3], v[2:3], v[4:5]
	;; [unrolled: 3-line block ×6, first 2 shown]
	v_add_f64 v[10:11], v[6:7], v[8:9]
	v_add_f64 v[14:15], v[10:11], v[12:13]
	;; [unrolled: 1-line block ×5, first 2 shown]
	ds_read_b128 v[22:25], v254 offset:1312
	s_waitcnt lgkmcnt(1)
	v_mul_f64 v[28:29], v[120:121], v[152:153]
	v_fmac_f64_e32 v[28:29], v[122:123], v[156:157]
	v_add_f64 v[30:31], v[26:27], v[28:29]
	ds_read_b128 v[26:29], v254 offset:1328
	s_waitcnt lgkmcnt(1)
	v_mul_f64 v[32:33], v[22:23], v[34:35]
	v_fmac_f64_e32 v[32:33], v[24:25], v[36:37]
	v_add_f64 v[34:35], v[30:31], v[32:33]
	;; [unrolled: 5-line block ×4, first 2 shown]
	ds_read_b128 v[38:41], v254 offset:1376
	ds_read_b128 v[42:45], v254 offset:1392
	s_waitcnt vmcnt(18) lgkmcnt(2)
	v_mul_f64 v[48:49], v[34:35], v[164:165]
	s_waitcnt vmcnt(16)
	v_fmac_f64_e32 v[48:49], v[36:37], v[166:167]
	v_add_f64 v[46:47], v[46:47], v[48:49]
	s_waitcnt lgkmcnt(1)
	v_mul_f64 v[48:49], v[38:39], v[178:179]
	v_fmac_f64_e32 v[48:49], v[40:41], v[142:143]
	v_add_f64 v[46:47], v[46:47], v[48:49]
	s_waitcnt vmcnt(10) lgkmcnt(0)
	v_mul_f64 v[48:49], v[42:43], v[168:169]
	v_accvgpr_write_b32 a178, v178
	s_waitcnt vmcnt(8)
	v_fmac_f64_e32 v[48:49], v[44:45], v[170:171]
	v_accvgpr_write_b32 a179, v179
	v_add_f64 v[2:3], v[46:47], v[48:49]
	ds_read_b128 v[46:49], v254 offset:1408
	v_mul_f64 v[4:5], v[116:117], v[176:177]
	buffer_load_dword v177, off, s[0:3], 0 offset:636
	buffer_load_dword v176, off, s[0:3], 0 offset:632
	;; [unrolled: 1-line block ×16, first 2 shown]
	v_fma_f64 v[14:15], v[194:195], v[92:93], -v[50:51]
	buffer_load_dword v184, off, s[0:3], 0 offset:712
	buffer_load_dword v197, off, s[0:3], 0 offset:700
	;; [unrolled: 1-line block ×8, first 2 shown]
	v_mul_f64 v[8:9], v[202:203], v[68:69]
	v_fma_f64 v[10:11], v[200:201], v[70:71], -v[8:9]
	buffer_load_dword v201, off, s[0:3], 0 offset:732
	buffer_load_dword v200, off, s[0:3], 0 offset:728
	;; [unrolled: 1-line block ×4, first 2 shown]
	v_mul_f64 v[12:13], v[210:211], v[74:75]
	v_mul_f64 v[50:51], v[206:207], v[78:79]
	v_fma_f64 v[12:13], v[208:209], v[76:77], -v[12:13]
	buffer_load_dword v206, off, s[0:3], 0 offset:744
	buffer_load_dword v208, off, s[0:3], 0 offset:736
	buffer_load_dword v207, off, s[0:3], 0 offset:748
	buffer_load_dword v209, off, s[0:3], 0 offset:740
	v_fma_f64 v[8:9], v[204:205], v[90:91], -v[50:51]
	v_mul_f64 v[50:51], v[214:215], v[86:87]
	v_fma_f64 v[6:7], v[212:213], v[88:89], -v[50:51]
	buffer_load_dword v205, off, s[0:3], 0 offset:780
	buffer_load_dword v211, off, s[0:3], 0 offset:764
	;; [unrolled: 1-line block ×12, first 2 shown]
	v_mul_f64 v[16:17], v[218:219], v[82:83]
	ds_read_b128 v[50:53], v254 offset:1424
	v_fma_f64 v[16:17], v[216:217], v[84:85], -v[16:17]
	buffer_load_dword v216, off, s[0:3], 0 offset:808
	buffer_load_dword v218, off, s[0:3], 0 offset:800
	buffer_load_dword v217, off, s[0:3], 0 offset:812
	buffer_load_dword v219, off, s[0:3], 0 offset:804
	v_fma_f64 v[18:19], v[114:115], v[60:61], -v[4:5]
	v_fma_f64 v[4:5], v[54:55], v[0:1], -v[56:57]
	ds_read_b128 v[54:57], v254 offset:1440
	s_waitcnt lgkmcnt(2)
	v_mul_f64 v[58:59], v[46:47], v[146:147]
	v_fmac_f64_e32 v[58:59], v[48:49], v[150:151]
	v_add_f64 v[2:3], v[2:3], v[58:59]
	s_waitcnt vmcnt(50) lgkmcnt(1)
	v_mul_f64 v[58:59], v[50:51], v[172:173]
	s_waitcnt vmcnt(48)
	v_fmac_f64_e32 v[58:59], v[52:53], v[174:175]
	v_mul_f64 v[64:65], v[64:65], v[94:95]
	v_add_f64 v[2:3], v[2:3], v[58:59]
	v_fma_f64 v[94:95], v[62:63], v[98:99], -v[64:65]
	ds_read_b128 v[62:65], v254 offset:1472
	s_waitcnt lgkmcnt(1)
	v_mul_f64 v[58:59], v[54:55], v[154:155]
	v_fmac_f64_e32 v[58:59], v[56:57], v[158:159]
	v_add_f64 v[2:3], v[2:3], v[58:59]
	ds_read_b128 v[58:61], v254 offset:1456
	v_mul_f64 v[74:75], v[234:235], v[100:101]
	v_fma_f64 v[232:233], v[232:233], v[102:103], -v[74:75]
	ds_read_b128 v[74:77], v254 offset:1520
	v_mul_f64 v[86:87], v[242:243], v[110:111]
	v_fma_f64 v[0:1], v[240:241], v[112:113], -v[86:87]
	v_add_f64 v[18:19], v[18:19], 0
	v_add_f64 v[18:19], v[18:19], v[224:225]
	;; [unrolled: 1-line block ×11, first 2 shown]
	ds_read_b128 v[86:89], v254 offset:1568
	ds_read_b128 v[90:93], v254 offset:1584
	;; [unrolled: 1-line block ×3, first 2 shown]
	s_waitcnt vmcnt(46) lgkmcnt(4)
	v_mul_f64 v[70:71], v[58:59], v[176:177]
	s_waitcnt vmcnt(44)
	v_fmac_f64_e32 v[70:71], v[60:61], v[180:181]
	v_add_f64 v[2:3], v[2:3], v[70:71]
	v_mul_f64 v[70:71], v[222:223], v[104:105]
	v_fma_f64 v[118:119], v[220:221], v[118:119], -v[70:71]
	ds_read_b128 v[220:223], v254 offset:1488
	s_waitcnt vmcnt(41)
	v_mul_f64 v[70:71], v[62:63], v[178:179]
	s_waitcnt vmcnt(40)
	v_fmac_f64_e32 v[70:71], v[64:65], v[182:183]
	v_add_f64 v[2:3], v[2:3], v[70:71]
	ds_read_b128 v[70:73], v254 offset:1504
	s_waitcnt vmcnt(38) lgkmcnt(1)
	v_mul_f64 v[78:79], v[220:221], v[186:187]
	s_waitcnt vmcnt(36)
	v_fmac_f64_e32 v[78:79], v[222:223], v[190:191]
	v_add_f64 v[2:3], v[2:3], v[78:79]
	v_mul_f64 v[78:79], v[238:239], v[252:253]
	v_fma_f64 v[252:253], v[236:237], v[228:229], -v[78:79]
	ds_read_b128 v[78:81], v254 offset:1536
	s_waitcnt vmcnt(34) lgkmcnt(1)
	v_mul_f64 v[82:83], v[70:71], v[188:189]
	s_waitcnt vmcnt(32)
	v_fmac_f64_e32 v[82:83], v[72:73], v[192:193]
	v_add_f64 v[2:3], v[2:3], v[82:83]
	s_waitcnt vmcnt(29)
	v_mul_f64 v[82:83], v[74:75], v[196:197]
	s_waitcnt vmcnt(27)
	v_fmac_f64_e32 v[82:83], v[76:77], v[198:199]
	v_add_f64 v[2:3], v[2:3], v[82:83]
	s_waitcnt vmcnt(25) lgkmcnt(0)
	v_mul_f64 v[82:83], v[78:79], v[184:185]
	s_waitcnt vmcnt(24)
	v_fmac_f64_e32 v[82:83], v[80:81], v[194:195]
	v_add_f64 v[2:3], v[2:3], v[82:83]
	ds_read_b128 v[82:85], v254 offset:1552
	ds_read_b128 v[102:105], v254 offset:1632
	v_add_f64 v[4:5], v[4:5], v[118:119]
	v_add_f64 v[4:5], v[4:5], v[232:233]
	;; [unrolled: 1-line block ×3, first 2 shown]
	s_waitcnt vmcnt(22) lgkmcnt(1)
	v_mul_f64 v[20:21], v[82:83], v[200:201]
	s_waitcnt vmcnt(20)
	v_fmac_f64_e32 v[20:21], v[84:85], v[202:203]
	v_add_f64 v[20:21], v[2:3], v[20:21]
	v_mul_f64 v[2:3], v[246:247], v[230:231]
	v_fma_f64 v[2:3], v[244:245], v[66:67], -v[2:3]
	s_waitcnt vmcnt(17)
	v_mul_f64 v[66:67], v[86:87], v[206:207]
	ds_read_b128 v[228:231], v254 offset:1600
	s_waitcnt vmcnt(16)
	v_fmac_f64_e32 v[66:67], v[88:89], v[208:209]
	v_add_f64 v[20:21], v[20:21], v[66:67]
	v_mul_f64 v[66:67], v[250:251], v[106:107]
	v_fma_f64 v[250:251], v[248:249], v[108:109], -v[66:67]
	s_waitcnt vmcnt(13)
	v_mul_f64 v[66:67], v[90:91], v[210:211]
	s_waitcnt vmcnt(11)
	v_fmac_f64_e32 v[66:67], v[92:93], v[68:69]
	v_add_f64 v[20:21], v[20:21], v[66:67]
	s_waitcnt vmcnt(10) lgkmcnt(0)
	v_mul_f64 v[66:67], v[228:229], v[204:205]
	s_waitcnt vmcnt(8)
	v_fmac_f64_e32 v[66:67], v[230:231], v[214:215]
	v_add_f64 v[20:21], v[20:21], v[66:67]
	s_waitcnt vmcnt(6)
	v_mul_f64 v[66:67], v[98:99], v[212:213]
	s_waitcnt vmcnt(4)
	v_fmac_f64_e32 v[66:67], v[100:101], v[226:227]
	v_add_f64 v[20:21], v[20:21], v[66:67]
	s_waitcnt vmcnt(1)
	v_mul_f64 v[66:67], v[102:103], v[216:217]
	s_waitcnt vmcnt(0)
	v_fmac_f64_e32 v[66:67], v[104:105], v[218:219]
	v_add_f64 v[20:21], v[20:21], v[66:67]
	buffer_load_dword v67, off, s[0:3], 0 offset:828
	buffer_load_dword v66, off, s[0:3], 0 offset:824
	;; [unrolled: 1-line block ×4, first 2 shown]
	ds_read_b128 v[106:109], v254 offset:1648
	buffer_load_dword v236, off, s[0:3], 0 offset:840
	buffer_load_dword v237, off, s[0:3], 0 offset:844
	;; [unrolled: 1-line block ×4, first 2 shown]
	s_waitcnt vmcnt(6) lgkmcnt(0)
	v_mul_f64 v[110:111], v[106:107], v[66:67]
	s_waitcnt vmcnt(4)
	v_fmac_f64_e32 v[110:111], v[108:109], v[234:235]
	v_add_f64 v[20:21], v[20:21], v[110:111]
	ds_read_b128 v[110:113], v254 offset:1664
	buffer_load_dword v243, off, s[0:3], 0 offset:860
	buffer_load_dword v242, off, s[0:3], 0 offset:856
	;; [unrolled: 1-line block ×4, first 2 shown]
	s_waitcnt vmcnt(6) lgkmcnt(0)
	v_mul_f64 v[114:115], v[110:111], v[236:237]
	s_waitcnt vmcnt(4)
	v_fmac_f64_e32 v[114:115], v[112:113], v[238:239]
	v_add_f64 v[20:21], v[20:21], v[114:115]
	ds_read_b128 v[114:117], v254 offset:1680
	buffer_load_dword v248, off, s[0:3], 0 offset:112
	buffer_load_dword v249, off, s[0:3], 0 offset:116
	;; [unrolled: 1-line block ×4, first 2 shown]
	v_add_f64 v[254:255], v[4:5], v[0:1]
	v_add_f64 v[0:1], v[254:255], v[2:3]
	v_accvgpr_read_b32 v2, a160
	v_accvgpr_read_b32 v3, a161
	v_mul_f64 v[2:3], v[138:139], v[2:3]
	v_add_f64 v[0:1], v[0:1], v[250:251]
	v_fma_f64 v[2:3], v[136:137], v[140:141], -v[2:3]
	v_add_f64 v[0:1], v[0:1], v[2:3]
	v_accvgpr_read_b32 v2, a162
	v_accvgpr_read_b32 v3, a163
	v_accvgpr_read_b32 v4, a164
	v_mul_f64 v[2:3], v[134:135], v[2:3]
	v_accvgpr_read_b32 v5, a165
	v_fma_f64 v[2:3], v[132:133], v[4:5], -v[2:3]
	v_add_f64 v[0:1], v[0:1], v[2:3]
	v_mul_f64 v[2:3], v[130:131], v[144:145]
	v_fma_f64 v[2:3], v[128:129], v[148:149], -v[2:3]
	v_add_f64 v[0:1], v[0:1], v[2:3]
	v_accvgpr_read_b32 v2, a166
	v_accvgpr_read_b32 v3, a167
	v_accvgpr_read_b32 v4, a168
	v_mul_f64 v[2:3], v[126:127], v[2:3]
	v_accvgpr_read_b32 v5, a169
	v_fma_f64 v[2:3], v[124:125], v[4:5], -v[2:3]
	v_add_f64 v[0:1], v[0:1], v[2:3]
	v_mul_f64 v[2:3], v[122:123], v[152:153]
	;; [unrolled: 10-line block ×4, first 2 shown]
	v_fma_f64 v[2:3], v[34:35], v[166:167], -v[2:3]
	v_add_f64 v[0:1], v[0:1], v[2:3]
	v_accvgpr_read_b32 v2, a178
	v_accvgpr_read_b32 v3, a179
	v_mul_f64 v[2:3], v[40:41], v[2:3]
	v_fma_f64 v[2:3], v[38:39], v[142:143], -v[2:3]
	v_add_f64 v[0:1], v[0:1], v[2:3]
	v_mul_f64 v[2:3], v[44:45], v[168:169]
	v_fma_f64 v[2:3], v[42:43], v[170:171], -v[2:3]
	v_add_f64 v[0:1], v[0:1], v[2:3]
	;; [unrolled: 3-line block ×19, first 2 shown]
	s_waitcnt vmcnt(6) lgkmcnt(0)
	v_mul_f64 v[2:3], v[116:117], v[242:243]
	v_mul_f64 v[240:241], v[114:115], v[242:243]
	s_waitcnt vmcnt(4)
	v_fma_f64 v[2:3], v[114:115], v[244:245], -v[2:3]
	v_fmac_f64_e32 v[240:241], v[116:117], v[244:245]
	v_add_f64 v[0:1], v[0:1], v[2:3]
	v_accvgpr_read_b32 v255, a158
	v_add_f64 v[240:241], v[20:21], v[240:241]
	s_waitcnt vmcnt(2)
	v_add_f64 v[0:1], v[248:249], -v[0:1]
	v_cmp_lt_u32_e32 vcc, 5, v255
	s_waitcnt vmcnt(0)
	v_add_f64 v[2:3], v[246:247], -v[240:241]
	buffer_store_dword v1, off, s[0:3], 0 offset:116
	buffer_store_dword v0, off, s[0:3], 0 offset:112
	;; [unrolled: 1-line block ×4, first 2 shown]
	s_and_saveexec_b64 s[4:5], vcc
	s_cbranch_execz .LBB116_321
; %bb.320:
	v_accvgpr_read_b32 v3, a153
	buffer_load_dword v0, v3, s[0:3], 0 offen
	buffer_load_dword v1, v3, s[0:3], 0 offen offset:4
	buffer_load_dword v2, v3, s[0:3], 0 offen offset:8
	s_nop 0
	buffer_load_dword v3, v3, s[0:3], 0 offen offset:12
	v_mov_b32_e32 v4, 0
	v_accvgpr_read_b32 v5, a159
	buffer_store_dword v4, off, s[0:3], 0 offset:96
	buffer_store_dword v4, off, s[0:3], 0 offset:100
	;; [unrolled: 1-line block ×4, first 2 shown]
	s_waitcnt vmcnt(4)
	ds_write_b128 v5, v[0:3]
.LBB116_321:
	s_or_b64 exec, exec, s[4:5]
	s_waitcnt lgkmcnt(0)
	; wave barrier
	s_waitcnt lgkmcnt(0)
	buffer_load_dword v48, off, s[0:3], 0 offset:112
	buffer_load_dword v49, off, s[0:3], 0 offset:116
	;; [unrolled: 1-line block ×42, first 2 shown]
	v_mov_b32_e32 v254, 0
	buffer_load_dword v99, off, s[0:3], 0 offset:260
	buffer_load_dword v98, off, s[0:3], 0 offset:256
	;; [unrolled: 1-line block ×7, first 2 shown]
	ds_read_b128 v[112:115], v254 offset:944
	ds_read_b128 v[116:119], v254 offset:960
	;; [unrolled: 1-line block ×11, first 2 shown]
	v_cmp_lt_u32_e32 vcc, 4, v255
	s_waitcnt vmcnt(45) lgkmcnt(10)
	v_mul_f64 v[0:1], v[112:113], v[52:53]
	v_fmac_f64_e32 v[0:1], v[114:115], v[48:49]
	v_add_f64 v[0:1], v[0:1], 0
	v_mul_f64 v[52:53], v[114:115], v[52:53]
	s_waitcnt vmcnt(41) lgkmcnt(9)
	v_mul_f64 v[2:3], v[116:117], v[54:55]
	v_fmac_f64_e32 v[2:3], v[118:119], v[174:175]
	s_waitcnt vmcnt(39) lgkmcnt(8)
	v_mul_f64 v[4:5], v[180:181], v[46:47]
	v_add_f64 v[0:1], v[0:1], v[2:3]
	s_waitcnt vmcnt(37) lgkmcnt(6)
	v_mul_f64 v[8:9], v[190:191], v[62:63]
	v_fma_f64 v[52:53], v[112:113], v[48:49], -v[52:53]
	s_waitcnt vmcnt(35)
	v_fmac_f64_e32 v[8:9], v[192:193], v[56:57]
	v_mul_f64 v[48:49], v[118:119], v[54:55]
	s_waitcnt vmcnt(33)
	v_mul_f64 v[6:7], v[184:185], v[64:65]
	v_add_f64 v[52:53], v[52:53], 0
	s_waitcnt vmcnt(31) lgkmcnt(4)
	v_mul_f64 v[12:13], v[200:201], v[66:67]
	s_waitcnt vmcnt(29)
	v_fmac_f64_e32 v[12:13], v[202:203], v[68:69]
	s_waitcnt vmcnt(27)
	v_mul_f64 v[10:11], v[196:197], v[70:71]
	v_mul_f64 v[54:55], v[198:199], v[70:71]
	s_waitcnt vmcnt(25) lgkmcnt(2)
	v_mul_f64 v[16:17], v[214:215], v[76:77]
	s_waitcnt vmcnt(22)
	v_mul_f64 v[14:15], v[204:205], v[78:79]
	s_waitcnt vmcnt(20) lgkmcnt(1)
	v_mul_f64 v[18:19], v[218:219], v[72:73]
	s_waitcnt vmcnt(18)
	v_fmac_f64_e32 v[4:5], v[182:183], v[90:91]
	v_add_f64 v[0:1], v[0:1], v[4:5]
	s_waitcnt vmcnt(16)
	v_fmac_f64_e32 v[6:7], v[186:187], v[88:89]
	v_add_f64 v[0:1], v[0:1], v[6:7]
	;; [unrolled: 3-line block ×3, first 2 shown]
	v_add_f64 v[0:1], v[0:1], v[10:11]
	s_waitcnt vmcnt(12)
	v_fmac_f64_e32 v[14:15], v[206:207], v[80:81]
	v_add_f64 v[0:1], v[0:1], v[12:13]
	s_waitcnt vmcnt(11)
	v_fmac_f64_e32 v[16:17], v[216:217], v[74:75]
	v_add_f64 v[0:1], v[0:1], v[14:15]
	v_add_f64 v[6:7], v[0:1], v[16:17]
	buffer_load_dword v96, off, s[0:3], 0 offset:296
	buffer_load_dword v1, off, s[0:3], 0 offset:292
	;; [unrolled: 1-line block ×21, first 2 shown]
	s_waitcnt vmcnt(26)
	v_fmac_f64_e32 v[18:19], v[220:221], v[98:99]
	v_add_f64 v[6:7], v[6:7], v[18:19]
	s_waitcnt vmcnt(0)
	v_pk_mov_b32 v[14:15], v[4:5], v[4:5] op_sel:[0,1]
	buffer_load_dword v5, off, s[0:3], 0 offset:404
	buffer_load_dword v4, off, s[0:3], 0 offset:400
	v_accvgpr_write_b32 a161, v15
	v_accvgpr_write_b32 a160, v14
	s_waitcnt vmcnt(0)
	v_pk_mov_b32 v[16:17], v[4:5], v[4:5] op_sel:[0,1]
	buffer_load_dword v105, off, s[0:3], 0 offset:396
	buffer_load_dword v104, off, s[0:3], 0 offset:392
	buffer_load_dword v107, off, s[0:3], 0 offset:388
	buffer_load_dword v106, off, s[0:3], 0 offset:384
	buffer_load_dword v5, off, s[0:3], 0 offset:444
	buffer_load_dword v4, off, s[0:3], 0 offset:440
	v_accvgpr_write_b32 a163, v17
	v_accvgpr_write_b32 a162, v16
	s_waitcnt vmcnt(0)
	v_pk_mov_b32 v[22:23], v[4:5], v[4:5] op_sel:[0,1]
	buffer_load_dword v5, off, s[0:3], 0 offset:436
	buffer_load_dword v4, off, s[0:3], 0 offset:432
	v_accvgpr_write_b32 a165, v23
	v_accvgpr_write_b32 a164, v22
	s_waitcnt vmcnt(0)
	v_pk_mov_b32 v[24:25], v[4:5], v[4:5] op_sel:[0,1]
	buffer_load_dword v141, off, s[0:3], 0 offset:428
	buffer_load_dword v140, off, s[0:3], 0 offset:424
	buffer_load_dword v145, off, s[0:3], 0 offset:420
	buffer_load_dword v144, off, s[0:3], 0 offset:416
	buffer_load_dword v5, off, s[0:3], 0 offset:476
	buffer_load_dword v4, off, s[0:3], 0 offset:472
	v_accvgpr_write_b32 a167, v25
	v_accvgpr_write_b32 a166, v24
	;; [unrolled: 16-line block ×3, first 2 shown]
	s_waitcnt vmcnt(0)
	v_pk_mov_b32 v[38:39], v[4:5], v[4:5] op_sel:[0,1]
	buffer_load_dword v5, off, s[0:3], 0 offset:500
	buffer_load_dword v4, off, s[0:3], 0 offset:496
	;; [unrolled: 1-line block ×30, first 2 shown]
	ds_read_b128 v[230:233], v254 offset:1120
	ds_read_b128 v[234:237], v254 offset:1136
	;; [unrolled: 1-line block ×11, first 2 shown]
	v_accvgpr_write_b32 a173, v39
	s_waitcnt lgkmcnt(3)
	v_mul_f64 v[12:13], v[136:137], v[14:15]
	v_fmac_f64_e32 v[12:13], v[138:139], v[16:17]
	s_waitcnt lgkmcnt(2)
	v_mul_f64 v[16:17], v[132:133], v[140:141]
	v_fmac_f64_e32 v[16:17], v[134:135], v[144:145]
	;; [unrolled: 3-line block ×3, first 2 shown]
	v_accvgpr_write_b32 a172, v38
	s_waitcnt vmcnt(28)
	v_accvgpr_write_b32 a175, v5
	v_accvgpr_write_b32 a174, v4
	s_waitcnt vmcnt(20)
	v_pk_mov_b32 v[176:177], v[8:9], v[8:9] op_sel:[0,1]
	v_mul_f64 v[8:9], v[58:59], v[84:85]
	v_fmac_f64_e32 v[8:9], v[60:61], v[86:87]
	v_add_f64 v[6:7], v[6:7], v[8:9]
	v_mul_f64 v[8:9], v[230:231], v[96:97]
	v_fmac_f64_e32 v[8:9], v[232:233], v[0:1]
	v_add_f64 v[6:7], v[6:7], v[8:9]
	;; [unrolled: 3-line block ×8, first 2 shown]
	v_add_f64 v[14:15], v[10:11], v[12:13]
	v_add_f64 v[18:19], v[14:15], v[16:17]
	;; [unrolled: 1-line block ×3, first 2 shown]
	ds_read_b128 v[18:21], v254 offset:1296
	s_waitcnt lgkmcnt(1)
	v_mul_f64 v[24:25], v[124:125], v[148:149]
	v_fmac_f64_e32 v[24:25], v[126:127], v[152:153]
	v_add_f64 v[26:27], v[22:23], v[24:25]
	ds_read_b128 v[22:25], v254 offset:1312
	s_waitcnt lgkmcnt(1)
	v_mul_f64 v[28:29], v[18:19], v[30:31]
	v_fmac_f64_e32 v[28:29], v[20:21], v[32:33]
	v_add_f64 v[30:31], v[26:27], v[28:29]
	;; [unrolled: 5-line block ×4, first 2 shown]
	ds_read_b128 v[34:37], v254 offset:1360
	s_waitcnt vmcnt(18) lgkmcnt(1)
	v_mul_f64 v[40:41], v[30:31], v[160:161]
	s_waitcnt vmcnt(16)
	v_fmac_f64_e32 v[40:41], v[32:33], v[162:163]
	v_add_f64 v[42:43], v[38:39], v[40:41]
	v_accvgpr_write_b32 a176, v176
	s_waitcnt lgkmcnt(0)
	v_mul_f64 v[44:45], v[34:35], v[222:223]
	v_fmac_f64_e32 v[44:45], v[36:37], v[176:177]
	ds_read_b128 v[38:41], v254 offset:1376
	v_accvgpr_write_b32 a177, v177
	v_add_f64 v[4:5], v[42:43], v[44:45]
	ds_read_b128 v[42:45], v254 offset:1392
	v_fma_f64 v[14:15], v[116:117], v[174:175], -v[48:49]
	buffer_load_dword v119, off, s[0:3], 0 offset:620
	buffer_load_dword v118, off, s[0:3], 0 offset:616
	;; [unrolled: 1-line block ×8, first 2 shown]
	v_mul_f64 v[8:9], v[182:183], v[46:47]
	v_mul_f64 v[46:47], v[186:187], v[64:65]
	v_fma_f64 v[10:11], v[180:181], v[90:91], -v[8:9]
	v_fma_f64 v[88:89], v[184:185], v[88:89], -v[46:47]
	buffer_load_dword v181, off, s[0:3], 0 offset:668
	buffer_load_dword v185, off, s[0:3], 0 offset:652
	;; [unrolled: 1-line block ×8, first 2 shown]
	v_mul_f64 v[46:47], v[192:193], v[62:63]
	v_fma_f64 v[114:115], v[190:191], v[56:57], -v[46:47]
	buffer_load_dword v182, off, s[0:3], 0 offset:696
	buffer_load_dword v193, off, s[0:3], 0 offset:684
	;; [unrolled: 1-line block ×8, first 2 shown]
	ds_read_b128 v[46:49], v254 offset:1408
	v_fma_f64 v[116:117], v[196:197], v[82:83], -v[54:55]
	buffer_load_dword v197, off, s[0:3], 0 offset:716
	buffer_load_dword v196, off, s[0:3], 0 offset:712
	;; [unrolled: 1-line block ×4, first 2 shown]
	v_mul_f64 v[54:55], v[202:203], v[66:67]
	v_fma_f64 v[8:9], v[200:201], v[68:69], -v[54:55]
	buffer_load_dword v200, off, s[0:3], 0 offset:728
	buffer_load_dword v202, off, s[0:3], 0 offset:720
	;; [unrolled: 1-line block ×4, first 2 shown]
	v_mul_f64 v[12:13], v[206:207], v[78:79]
	v_mul_f64 v[54:55], v[216:217], v[76:77]
	buffer_load_dword v207, off, s[0:3], 0 offset:748
	buffer_load_dword v206, off, s[0:3], 0 offset:744
	;; [unrolled: 1-line block ×8, first 2 shown]
	v_fma_f64 v[12:13], v[204:205], v[80:81], -v[12:13]
	buffer_load_dword v204, off, s[0:3], 0 offset:792
	buffer_load_dword v227, off, s[0:3], 0 offset:780
	;; [unrolled: 1-line block ×8, first 2 shown]
	s_waitcnt vmcnt(58) lgkmcnt(2)
	v_mul_f64 v[112:113], v[38:39], v[164:165]
	s_waitcnt vmcnt(56)
	v_fmac_f64_e32 v[112:113], v[40:41], v[166:167]
	v_fma_f64 v[214:215], v[214:215], v[74:75], -v[54:55]
	s_waitcnt lgkmcnt(1)
	v_mul_f64 v[54:55], v[42:43], v[142:143]
	v_mul_f64 v[56:57], v[220:221], v[72:73]
	v_add_f64 v[4:5], v[4:5], v[112:113]
	v_fmac_f64_e32 v[54:55], v[44:45], v[146:147]
	v_fma_f64 v[6:7], v[218:219], v[98:99], -v[56:57]
	ds_read_b128 v[218:221], v254 offset:1424
	v_add_f64 v[4:5], v[4:5], v[54:55]
	ds_read_b128 v[54:57], v254 offset:1440
	s_waitcnt vmcnt(50) lgkmcnt(2)
	v_mul_f64 v[16:17], v[46:47], v[168:169]
	s_waitcnt vmcnt(48)
	v_fmac_f64_e32 v[16:17], v[48:49], v[170:171]
	v_add_f64 v[4:5], v[4:5], v[16:17]
	s_waitcnt lgkmcnt(1)
	v_mul_f64 v[16:17], v[218:219], v[150:151]
	v_fmac_f64_e32 v[16:17], v[220:221], v[154:155]
	v_add_f64 v[4:5], v[4:5], v[16:17]
	v_mul_f64 v[16:17], v[60:61], v[84:85]
	v_fma_f64 v[16:17], v[58:59], v[86:87], -v[16:17]
	ds_read_b128 v[58:61], v254 offset:1456
	ds_read_b128 v[66:69], v254 offset:1488
	;; [unrolled: 1-line block ×3, first 2 shown]
	v_mul_f64 v[82:83], v[244:245], v[108:109]
	v_add_f64 v[14:15], v[52:53], v[14:15]
	v_add_f64 v[10:11], v[14:15], v[10:11]
	;; [unrolled: 1-line block ×10, first 2 shown]
	v_accvgpr_read_b32 v8, a162
	v_accvgpr_read_b32 v9, a163
	s_waitcnt vmcnt(46) lgkmcnt(3)
	v_mul_f64 v[62:63], v[54:55], v[118:119]
	s_waitcnt vmcnt(44)
	v_fmac_f64_e32 v[62:63], v[56:57], v[178:179]
	v_add_f64 v[4:5], v[4:5], v[62:63]
	v_mul_f64 v[62:63], v[232:233], v[96:97]
	v_fma_f64 v[86:87], v[230:231], v[0:1], -v[62:63]
	ds_read_b128 v[62:65], v254 offset:1472
	s_waitcnt vmcnt(41) lgkmcnt(3)
	v_mul_f64 v[0:1], v[58:59], v[174:175]
	s_waitcnt vmcnt(40)
	v_fmac_f64_e32 v[0:1], v[60:61], v[176:177]
	v_add_f64 v[0:1], v[4:5], v[0:1]
	v_mul_f64 v[4:5], v[236:237], v[92:93]
	s_waitcnt vmcnt(37) lgkmcnt(0)
	v_mul_f64 v[74:75], v[62:63], v[184:185]
	s_waitcnt vmcnt(35)
	v_fmac_f64_e32 v[74:75], v[64:65], v[186:187]
	v_add_f64 v[0:1], v[0:1], v[74:75]
	v_mul_f64 v[74:75], v[240:241], v[172:173]
	v_fma_f64 v[172:173], v[238:239], v[208:209], -v[74:75]
	ds_read_b128 v[74:77], v254 offset:1520
	s_waitcnt vmcnt(34)
	v_mul_f64 v[78:79], v[66:67], v[180:181]
	s_waitcnt vmcnt(32)
	v_fmac_f64_e32 v[78:79], v[68:69], v[188:189]
	v_add_f64 v[0:1], v[0:1], v[78:79]
	s_waitcnt vmcnt(29)
	v_mul_f64 v[78:79], v[70:71], v[192:193]
	s_waitcnt vmcnt(27)
	v_fmac_f64_e32 v[78:79], v[72:73], v[194:195]
	v_add_f64 v[0:1], v[0:1], v[78:79]
	v_fma_f64 v[208:209], v[242:243], v[110:111], -v[82:83]
	ds_read_b128 v[82:85], v254 offset:1552
	s_waitcnt vmcnt(25) lgkmcnt(1)
	v_mul_f64 v[78:79], v[74:75], v[182:183]
	s_waitcnt vmcnt(24)
	v_fmac_f64_e32 v[78:79], v[76:77], v[190:191]
	v_add_f64 v[0:1], v[0:1], v[78:79]
	ds_read_b128 v[78:81], v254 offset:1536
	v_fma_f64 v[4:5], v[234:235], v[94:95], -v[4:5]
	v_mul_f64 v[94:95], v[252:253], v[100:101]
	v_fma_f64 v[252:253], v[250:251], v[102:103], -v[94:95]
	ds_read_b128 v[94:97], v254 offset:1600
	s_waitcnt vmcnt(22) lgkmcnt(1)
	v_mul_f64 v[90:91], v[78:79], v[196:197]
	s_waitcnt vmcnt(20)
	v_fmac_f64_e32 v[90:91], v[80:81], v[198:199]
	v_add_f64 v[90:91], v[0:1], v[90:91]
	v_mul_f64 v[0:1], v[248:249], v[2:3]
	v_fma_f64 v[50:51], v[246:247], v[50:51], -v[0:1]
	ds_read_b128 v[0:3], v254 offset:1568
	s_waitcnt vmcnt(17)
	v_mul_f64 v[92:93], v[82:83], v[200:201]
	s_waitcnt vmcnt(16)
	v_fmac_f64_e32 v[92:93], v[84:85], v[202:203]
	v_add_f64 v[98:99], v[90:91], v[92:93]
	ds_read_b128 v[90:93], v254 offset:1584
	s_waitcnt vmcnt(14) lgkmcnt(1)
	v_mul_f64 v[100:101], v[0:1], v[206:207]
	s_waitcnt vmcnt(12)
	v_fmac_f64_e32 v[100:101], v[2:3], v[210:211]
	v_add_f64 v[102:103], v[98:99], v[100:101]
	v_mul_f64 v[98:99], v[122:123], v[104:105]
	v_fma_f64 v[250:251], v[120:121], v[106:107], -v[98:99]
	ds_read_b128 v[98:101], v254 offset:1616
	buffer_load_dword v231, off, s[0:3], 0 offset:812
	buffer_load_dword v230, off, s[0:3], 0 offset:808
	;; [unrolled: 1-line block ×4, first 2 shown]
	s_waitcnt vmcnt(14) lgkmcnt(1)
	v_mul_f64 v[108:109], v[90:91], v[216:217]
	s_waitcnt vmcnt(12)
	v_fmac_f64_e32 v[108:109], v[92:93], v[212:213]
	s_waitcnt vmcnt(9)
	v_mul_f64 v[104:105], v[94:95], v[226:227]
	v_add_f64 v[102:103], v[102:103], v[108:109]
	s_waitcnt vmcnt(7)
	v_fmac_f64_e32 v[104:105], v[96:97], v[228:229]
	v_add_f64 v[102:103], v[102:103], v[104:105]
	s_waitcnt vmcnt(5) lgkmcnt(0)
	v_mul_f64 v[104:105], v[98:99], v[204:205]
	s_waitcnt vmcnt(4)
	v_fmac_f64_e32 v[104:105], v[100:101], v[224:225]
	v_add_f64 v[106:107], v[102:103], v[104:105]
	ds_read_b128 v[102:105], v254 offset:1632
	buffer_load_dword v234, off, s[0:3], 0 offset:824
	buffer_load_dword v235, off, s[0:3], 0 offset:828
	;; [unrolled: 1-line block ×4, first 2 shown]
	v_add_f64 v[6:7], v[6:7], v[86:87]
	v_add_f64 v[4:5], v[6:7], v[4:5]
	;; [unrolled: 1-line block ×4, first 2 shown]
	v_accvgpr_read_b32 v6, a160
	v_add_f64 v[4:5], v[4:5], v[50:51]
	v_accvgpr_read_b32 v7, a161
	v_add_f64 v[252:253], v[4:5], v[252:253]
	v_mul_f64 v[6:7], v[138:139], v[6:7]
	v_add_f64 v[4:5], v[252:253], v[250:251]
	v_fma_f64 v[6:7], v[136:137], v[8:9], -v[6:7]
	v_add_f64 v[4:5], v[4:5], v[6:7]
	v_mul_f64 v[6:7], v[134:135], v[140:141]
	v_fma_f64 v[6:7], v[132:133], v[144:145], -v[6:7]
	v_add_f64 v[4:5], v[4:5], v[6:7]
	v_accvgpr_read_b32 v6, a164
	v_accvgpr_read_b32 v7, a165
	v_accvgpr_read_b32 v8, a166
	v_mul_f64 v[6:7], v[130:131], v[6:7]
	v_accvgpr_read_b32 v9, a167
	v_fma_f64 v[6:7], v[128:129], v[8:9], -v[6:7]
	v_add_f64 v[4:5], v[4:5], v[6:7]
	v_mul_f64 v[6:7], v[126:127], v[148:149]
	v_fma_f64 v[6:7], v[124:125], v[152:153], -v[6:7]
	v_add_f64 v[4:5], v[4:5], v[6:7]
	v_accvgpr_read_b32 v6, a168
	v_accvgpr_read_b32 v7, a169
	v_accvgpr_read_b32 v8, a170
	v_mul_f64 v[6:7], v[20:21], v[6:7]
	v_accvgpr_read_b32 v9, a171
	;; [unrolled: 10-line block ×3, first 2 shown]
	v_fma_f64 v[6:7], v[26:27], v[8:9], -v[6:7]
	v_add_f64 v[4:5], v[4:5], v[6:7]
	v_mul_f64 v[6:7], v[32:33], v[160:161]
	v_fma_f64 v[6:7], v[30:31], v[162:163], -v[6:7]
	v_accvgpr_read_b32 v8, a176
	v_add_f64 v[4:5], v[4:5], v[6:7]
	v_mul_f64 v[6:7], v[36:37], v[222:223]
	v_accvgpr_read_b32 v9, a177
	v_fma_f64 v[6:7], v[34:35], v[8:9], -v[6:7]
	v_add_f64 v[4:5], v[4:5], v[6:7]
	v_mul_f64 v[6:7], v[40:41], v[164:165]
	v_fma_f64 v[6:7], v[38:39], v[166:167], -v[6:7]
	v_add_f64 v[4:5], v[4:5], v[6:7]
	v_mul_f64 v[6:7], v[44:45], v[142:143]
	;; [unrolled: 3-line block ×6, first 2 shown]
	s_waitcnt vmcnt(6) lgkmcnt(0)
	v_mul_f64 v[108:109], v[102:103], v[230:231]
	v_fma_f64 v[6:7], v[58:59], v[176:177], -v[6:7]
	s_waitcnt vmcnt(4)
	v_fmac_f64_e32 v[108:109], v[104:105], v[232:233]
	v_add_f64 v[110:111], v[106:107], v[108:109]
	ds_read_b128 v[106:109], v254 offset:1648
	buffer_load_dword v239, off, s[0:3], 0 offset:844
	buffer_load_dword v238, off, s[0:3], 0 offset:840
	buffer_load_dword v241, off, s[0:3], 0 offset:836
	buffer_load_dword v240, off, s[0:3], 0 offset:832
	v_add_f64 v[4:5], v[4:5], v[6:7]
	v_mul_f64 v[6:7], v[64:65], v[184:185]
	v_fma_f64 v[6:7], v[62:63], v[186:187], -v[6:7]
	v_add_f64 v[4:5], v[4:5], v[6:7]
	v_mul_f64 v[6:7], v[68:69], v[180:181]
	s_waitcnt vmcnt(6) lgkmcnt(0)
	v_mul_f64 v[112:113], v[106:107], v[234:235]
	v_fma_f64 v[6:7], v[66:67], v[188:189], -v[6:7]
	s_waitcnt vmcnt(4)
	v_fmac_f64_e32 v[112:113], v[108:109], v[236:237]
	v_add_f64 v[120:121], v[110:111], v[112:113]
	ds_read_b128 v[110:113], v254 offset:1664
	buffer_load_dword v244, off, s[0:3], 0 offset:856
	buffer_load_dword v245, off, s[0:3], 0 offset:860
	;; [unrolled: 1-line block ×4, first 2 shown]
	v_add_f64 v[4:5], v[4:5], v[6:7]
	v_mul_f64 v[6:7], v[72:73], v[192:193]
	v_fma_f64 v[6:7], v[70:71], v[194:195], -v[6:7]
	v_add_f64 v[4:5], v[4:5], v[6:7]
	v_mul_f64 v[6:7], v[76:77], v[182:183]
	v_fma_f64 v[6:7], v[74:75], v[190:191], -v[6:7]
	;; [unrolled: 3-line block ×4, first 2 shown]
	v_mul_f64 v[2:3], v[2:3], v[206:207]
	v_add_f64 v[4:5], v[4:5], v[6:7]
	v_fma_f64 v[0:1], v[0:1], v[210:211], -v[2:3]
	v_mul_f64 v[2:3], v[92:93], v[216:217]
	v_add_f64 v[0:1], v[4:5], v[0:1]
	v_fma_f64 v[2:3], v[90:91], v[212:213], -v[2:3]
	v_add_f64 v[0:1], v[0:1], v[2:3]
	v_mul_f64 v[2:3], v[96:97], v[226:227]
	v_fma_f64 v[2:3], v[94:95], v[228:229], -v[2:3]
	v_add_f64 v[0:1], v[0:1], v[2:3]
	v_mul_f64 v[2:3], v[100:101], v[204:205]
	;; [unrolled: 3-line block ×4, first 2 shown]
	v_fma_f64 v[2:3], v[106:107], v[236:237], -v[2:3]
	v_add_f64 v[0:1], v[0:1], v[2:3]
	s_waitcnt vmcnt(6) lgkmcnt(0)
	v_mul_f64 v[122:123], v[110:111], v[238:239]
	v_mul_f64 v[2:3], v[112:113], v[238:239]
	s_waitcnt vmcnt(4)
	v_fmac_f64_e32 v[122:123], v[112:113], v[240:241]
	v_add_f64 v[242:243], v[120:121], v[122:123]
	ds_read_b128 v[120:123], v254 offset:1680
	v_fma_f64 v[2:3], v[110:111], v[240:241], -v[2:3]
	v_add_f64 v[0:1], v[0:1], v[2:3]
	s_waitcnt vmcnt(2) lgkmcnt(0)
	v_mul_f64 v[248:249], v[120:121], v[244:245]
	v_mul_f64 v[2:3], v[122:123], v[244:245]
	s_waitcnt vmcnt(0)
	v_fmac_f64_e32 v[248:249], v[122:123], v[246:247]
	v_add_f64 v[242:243], v[242:243], v[248:249]
	buffer_load_dword v248, off, s[0:3], 0 offset:96
	buffer_load_dword v249, off, s[0:3], 0 offset:100
	;; [unrolled: 1-line block ×4, first 2 shown]
	v_fma_f64 v[2:3], v[120:121], v[246:247], -v[2:3]
	v_add_f64 v[0:1], v[0:1], v[2:3]
	s_waitcnt vmcnt(2)
	v_add_f64 v[0:1], v[248:249], -v[0:1]
	s_waitcnt vmcnt(0)
	v_add_f64 v[2:3], v[214:215], -v[242:243]
	buffer_store_dword v1, off, s[0:3], 0 offset:100
	buffer_store_dword v0, off, s[0:3], 0 offset:96
	;; [unrolled: 1-line block ×4, first 2 shown]
	s_and_saveexec_b64 s[4:5], vcc
	s_cbranch_execz .LBB116_323
; %bb.322:
	v_accvgpr_read_b32 v3, a154
	buffer_load_dword v0, v3, s[0:3], 0 offen
	buffer_load_dword v1, v3, s[0:3], 0 offen offset:4
	buffer_load_dword v2, v3, s[0:3], 0 offen offset:8
	s_nop 0
	buffer_load_dword v3, v3, s[0:3], 0 offen offset:12
	v_accvgpr_read_b32 v4, a159
	buffer_store_dword v254, off, s[0:3], 0 offset:80
	buffer_store_dword v254, off, s[0:3], 0 offset:84
	;; [unrolled: 1-line block ×4, first 2 shown]
	s_waitcnt vmcnt(4)
	ds_write_b128 v4, v[0:3]
.LBB116_323:
	s_or_b64 exec, exec, s[4:5]
	s_waitcnt lgkmcnt(0)
	; wave barrier
	s_waitcnt lgkmcnt(0)
	buffer_load_dword v42, off, s[0:3], 0 offset:96
	buffer_load_dword v43, off, s[0:3], 0 offset:100
	;; [unrolled: 1-line block ×42, first 2 shown]
	ds_read_b128 v[110:113], v254 offset:928
	ds_read_b128 v[114:117], v254 offset:944
	;; [unrolled: 1-line block ×10, first 2 shown]
	buffer_load_dword v1, off, s[0:3], 0 offset:244
	buffer_load_dword v0, off, s[0:3], 0 offset:240
	ds_read_b128 v[50:53], v254 offset:1088
	buffer_load_dword v89, off, s[0:3], 0 offset:300
	buffer_load_dword v88, off, s[0:3], 0 offset:296
	;; [unrolled: 1-line block ×8, first 2 shown]
	s_waitcnt vmcnt(48) lgkmcnt(10)
	v_mul_f64 v[2:3], v[110:111], v[48:49]
	v_fmac_f64_e32 v[2:3], v[112:113], v[42:43]
	v_add_f64 v[2:3], v[2:3], 0
	v_mul_f64 v[48:49], v[112:113], v[48:49]
	s_waitcnt vmcnt(44) lgkmcnt(9)
	v_mul_f64 v[4:5], v[114:115], v[54:55]
	v_fmac_f64_e32 v[4:5], v[116:117], v[44:45]
	s_waitcnt vmcnt(42) lgkmcnt(8)
	v_mul_f64 v[6:7], v[176:177], v[46:47]
	v_add_f64 v[2:3], v[2:3], v[4:5]
	s_waitcnt vmcnt(40) lgkmcnt(6)
	v_mul_f64 v[10:11], v[188:189], v[58:59]
	v_mul_f64 v[46:47], v[178:179], v[46:47]
	s_waitcnt vmcnt(38)
	v_fmac_f64_e32 v[10:11], v[190:191], v[56:57]
	s_waitcnt vmcnt(36)
	v_mul_f64 v[8:9], v[180:181], v[60:61]
	s_waitcnt vmcnt(34) lgkmcnt(4)
	v_mul_f64 v[14:15], v[196:197], v[208:209]
	s_waitcnt vmcnt(32)
	v_fmac_f64_e32 v[14:15], v[198:199], v[64:65]
	s_waitcnt vmcnt(30)
	v_mul_f64 v[12:13], v[192:193], v[66:67]
	s_waitcnt vmcnt(28) lgkmcnt(2)
	v_mul_f64 v[18:19], v[204:205], v[68:69]
	s_waitcnt vmcnt(25)
	v_mul_f64 v[16:17], v[200:201], v[74:75]
	s_waitcnt vmcnt(23) lgkmcnt(1)
	v_mul_f64 v[20:21], v[210:211], v[72:73]
	s_waitcnt vmcnt(21)
	v_fmac_f64_e32 v[6:7], v[178:179], v[82:83]
	v_add_f64 v[2:3], v[2:3], v[6:7]
	s_waitcnt vmcnt(19)
	v_fmac_f64_e32 v[8:9], v[182:183], v[80:81]
	v_add_f64 v[2:3], v[2:3], v[8:9]
	;; [unrolled: 3-line block ×3, first 2 shown]
	v_add_f64 v[2:3], v[2:3], v[12:13]
	s_waitcnt vmcnt(15)
	v_fmac_f64_e32 v[16:17], v[202:203], v[76:77]
	v_add_f64 v[2:3], v[2:3], v[14:15]
	s_waitcnt vmcnt(14)
	v_fmac_f64_e32 v[18:19], v[206:207], v[70:71]
	v_add_f64 v[2:3], v[2:3], v[16:17]
	v_add_f64 v[6:7], v[2:3], v[18:19]
	buffer_load_dword v107, off, s[0:3], 0 offset:332
	buffer_load_dword v106, off, s[0:3], 0 offset:328
	;; [unrolled: 1-line block ×26, first 2 shown]
	s_waitcnt vmcnt(34)
	v_fmac_f64_e32 v[20:21], v[212:213], v[0:1]
	v_add_f64 v[6:7], v[6:7], v[20:21]
	v_fma_f64 v[82:83], v[176:177], v[82:83], -v[46:47]
	v_mul_f64 v[46:47], v[182:183], v[60:61]
	v_fma_f64 v[80:81], v[180:181], v[80:81], -v[46:47]
	v_mul_f64 v[46:47], v[190:191], v[58:59]
	;; [unrolled: 2-line block ×3, first 2 shown]
	s_waitcnt vmcnt(0)
	v_pk_mov_b32 v[18:19], v[4:5], v[4:5] op_sel:[0,1]
	buffer_load_dword v5, off, s[0:3], 0 offset:420
	buffer_load_dword v9, off, s[0:3], 0 offset:412
	;; [unrolled: 1-line block ×3, first 2 shown]
	v_accvgpr_write_b32 a165, v19
	v_accvgpr_write_b32 a164, v18
	s_waitcnt vmcnt(0)
	v_pk_mov_b32 v[14:15], v[8:9], v[8:9] op_sel:[0,1]
	buffer_load_dword v9, off, s[0:3], 0 offset:404
	buffer_load_dword v8, off, s[0:3], 0 offset:400
	;; [unrolled: 1-line block ×3, first 2 shown]
	v_accvgpr_write_b32 a161, v15
	v_accvgpr_write_b32 a160, v14
	s_waitcnt vmcnt(1)
	v_pk_mov_b32 v[16:17], v[8:9], v[8:9] op_sel:[0,1]
	s_waitcnt vmcnt(0)
	v_pk_mov_b32 v[22:23], v[4:5], v[4:5] op_sel:[0,1]
	buffer_load_dword v5, off, s[0:3], 0 offset:460
	buffer_load_dword v4, off, s[0:3], 0 offset:456
	s_waitcnt lgkmcnt(0)
	v_mul_f64 v[8:9], v[50:51], v[84:85]
	v_fmac_f64_e32 v[8:9], v[52:53], v[86:87]
	v_add_f64 v[6:7], v[6:7], v[8:9]
	v_accvgpr_write_b32 a163, v17
	v_accvgpr_write_b32 a162, v16
	;; [unrolled: 1-line block ×4, first 2 shown]
	v_mul_f64 v[52:53], v[52:53], v[84:85]
	v_fma_f64 v[84:85], v[50:51], v[86:87], -v[52:53]
	s_waitcnt vmcnt(0)
	v_pk_mov_b32 v[26:27], v[4:5], v[4:5] op_sel:[0,1]
	buffer_load_dword v5, off, s[0:3], 0 offset:452
	buffer_load_dword v143, off, s[0:3], 0 offset:444
	;; [unrolled: 1-line block ×6, first 2 shown]
	v_accvgpr_write_b32 a169, v27
	v_accvgpr_write_b32 a168, v26
	s_waitcnt vmcnt(0)
	v_pk_mov_b32 v[28:29], v[4:5], v[4:5] op_sel:[0,1]
	buffer_load_dword v5, off, s[0:3], 0 offset:492
	buffer_load_dword v4, off, s[0:3], 0 offset:488
	v_accvgpr_write_b32 a171, v29
	v_accvgpr_write_b32 a170, v28
	s_waitcnt vmcnt(0)
	v_pk_mov_b32 v[34:35], v[4:5], v[4:5] op_sel:[0,1]
	buffer_load_dword v5, off, s[0:3], 0 offset:484
	buffer_load_dword v151, off, s[0:3], 0 offset:476
	;; [unrolled: 1-line block ×6, first 2 shown]
	v_accvgpr_write_b32 a173, v35
	v_accvgpr_write_b32 a172, v34
	s_waitcnt vmcnt(0)
	v_pk_mov_b32 v[36:37], v[4:5], v[4:5] op_sel:[0,1]
	buffer_load_dword v5, off, s[0:3], 0 offset:524
	buffer_load_dword v4, off, s[0:3], 0 offset:520
	v_accvgpr_write_b32 a175, v37
	v_accvgpr_write_b32 a174, v36
	s_waitcnt vmcnt(0)
	v_pk_mov_b32 v[38:39], v[4:5], v[4:5] op_sel:[0,1]
	buffer_load_dword v5, off, s[0:3], 0 offset:516
	buffer_load_dword v155, off, s[0:3], 0 offset:508
	;; [unrolled: 1-line block ×20, first 2 shown]
	ds_read_b128 v[214:217], v254 offset:1104
	ds_read_b128 v[218:221], v254 offset:1120
	;; [unrolled: 1-line block ×6, first 2 shown]
	s_waitcnt lgkmcnt(5)
	v_mul_f64 v[8:9], v[214:215], v[96:97]
	v_fmac_f64_e32 v[8:9], v[216:217], v[118:119]
	v_add_f64 v[6:7], v[6:7], v[8:9]
	s_waitcnt lgkmcnt(4)
	v_mul_f64 v[8:9], v[218:219], v[88:89]
	v_fmac_f64_e32 v[8:9], v[220:221], v[90:91]
	v_add_f64 v[6:7], v[6:7], v[8:9]
	;; [unrolled: 4-line block ×3, first 2 shown]
	s_waitcnt lgkmcnt(2)
	v_mul_f64 v[8:9], v[234:235], v[106:107]
	v_fmac_f64_e32 v[8:9], v[236:237], v[108:109]
	ds_read_b128 v[246:249], v254 offset:1200
	ds_read_b128 v[250:253], v254 offset:1216
	v_add_f64 v[6:7], v[6:7], v[8:9]
	s_waitcnt lgkmcnt(3)
	v_mul_f64 v[8:9], v[238:239], v[224:225]
	v_fmac_f64_e32 v[8:9], v[240:241], v[2:3]
	v_add_f64 v[6:7], v[6:7], v[8:9]
	s_waitcnt lgkmcnt(2)
	v_mul_f64 v[8:9], v[242:243], v[92:93]
	ds_read_b128 v[136:139], v254 offset:1232
	ds_read_b128 v[132:135], v254 offset:1248
	v_fmac_f64_e32 v[8:9], v[244:245], v[94:95]
	v_add_f64 v[6:7], v[6:7], v[8:9]
	s_waitcnt lgkmcnt(3)
	v_mul_f64 v[8:9], v[246:247], v[102:103]
	ds_read_b128 v[128:131], v254 offset:1264
	ds_read_b128 v[124:127], v254 offset:1280
	v_fmac_f64_e32 v[8:9], v[248:249], v[104:105]
	v_add_f64 v[6:7], v[6:7], v[8:9]
	s_waitcnt lgkmcnt(4)
	v_mul_f64 v[8:9], v[250:251], v[98:99]
	v_fmac_f64_e32 v[8:9], v[252:253], v[100:101]
	s_waitcnt lgkmcnt(3)
	v_mul_f64 v[12:13], v[136:137], v[14:15]
	v_add_f64 v[10:11], v[6:7], v[8:9]
	v_fmac_f64_e32 v[12:13], v[138:139], v[16:17]
	s_waitcnt lgkmcnt(2)
	v_mul_f64 v[16:17], v[132:133], v[18:19]
	ds_read_b128 v[120:123], v254 offset:1296
	v_add_f64 v[14:15], v[10:11], v[12:13]
	v_fmac_f64_e32 v[16:17], v[134:135], v[22:23]
	s_waitcnt lgkmcnt(2)
	v_mul_f64 v[20:21], v[128:129], v[142:143]
	v_add_f64 v[18:19], v[14:15], v[16:17]
	v_fmac_f64_e32 v[20:21], v[130:131], v[146:147]
	s_waitcnt lgkmcnt(1)
	v_mul_f64 v[24:25], v[124:125], v[26:27]
	v_add_f64 v[22:23], v[18:19], v[20:21]
	v_fmac_f64_e32 v[24:25], v[126:127], v[28:29]
	v_add_f64 v[26:27], v[22:23], v[24:25]
	ds_read_b128 v[22:25], v254 offset:1312
	s_waitcnt lgkmcnt(1)
	v_mul_f64 v[28:29], v[120:121], v[150:151]
	v_fmac_f64_e32 v[28:29], v[122:123], v[152:153]
	v_add_f64 v[30:31], v[26:27], v[28:29]
	ds_read_b128 v[26:29], v254 offset:1328
	s_waitcnt lgkmcnt(1)
	v_mul_f64 v[32:33], v[22:23], v[34:35]
	v_fmac_f64_e32 v[32:33], v[24:25], v[36:37]
	v_add_f64 v[34:35], v[30:31], v[32:33]
	ds_read_b128 v[30:33], v254 offset:1344
	v_accvgpr_write_b32 a177, v39
	v_accvgpr_write_b32 a176, v38
	v_mul_f64 v[8:9], v[116:117], v[54:55]
	v_fma_f64 v[18:19], v[110:111], v[42:43], -v[48:49]
	s_waitcnt vmcnt(17) lgkmcnt(1)
	v_mul_f64 v[36:37], v[26:27], v[154:155]
	s_waitcnt lgkmcnt(0)
	v_mul_f64 v[168:169], v[30:31], v[38:39]
	s_waitcnt vmcnt(15)
	v_fmac_f64_e32 v[36:37], v[28:29], v[156:157]
	v_add_f64 v[166:167], v[34:35], v[36:37]
	ds_read_b128 v[34:37], v254 offset:1360
	ds_read_b128 v[38:41], v254 offset:1376
	s_waitcnt vmcnt(14)
	v_fmac_f64_e32 v[168:169], v[32:33], v[4:5]
	v_add_f64 v[166:167], v[166:167], v[168:169]
	v_accvgpr_write_b32 a179, v5
	s_waitcnt vmcnt(9) lgkmcnt(1)
	v_mul_f64 v[168:169], v[34:35], v[158:159]
	s_waitcnt vmcnt(7)
	v_fmac_f64_e32 v[168:169], v[36:37], v[162:163]
	v_add_f64 v[166:167], v[166:167], v[168:169]
	s_waitcnt lgkmcnt(0)
	v_mul_f64 v[168:169], v[38:39], v[140:141]
	s_waitcnt vmcnt(6)
	v_fmac_f64_e32 v[168:169], v[40:41], v[144:145]
	v_accvgpr_write_b32 a178, v4
	v_add_f64 v[4:5], v[166:167], v[168:169]
	buffer_load_dword v169, off, s[0:3], 0 offset:580
	buffer_load_dword v168, off, s[0:3], 0 offset:576
	;; [unrolled: 1-line block ×10, first 2 shown]
	v_fma_f64 v[14:15], v[114:115], v[44:45], -v[8:9]
	ds_read_b128 v[42:45], v254 offset:1392
	buffer_load_dword v177, off, s[0:3], 0 offset:636
	buffer_load_dword v176, off, s[0:3], 0 offset:632
	;; [unrolled: 1-line block ×13, first 2 shown]
	v_fma_f64 v[10:11], v[192:193], v[78:79], -v[46:47]
	buffer_load_dword v192, off, s[0:3], 0 offset:672
	buffer_load_dword v189, off, s[0:3], 0 offset:684
	;; [unrolled: 1-line block ×3, first 2 shown]
	v_mul_f64 v[12:13], v[198:199], v[208:209]
	v_fma_f64 v[12:13], v[196:197], v[64:65], -v[12:13]
	buffer_load_dword v78, off, s[0:3], 0 offset:712
	buffer_load_dword v197, off, s[0:3], 0 offset:700
	;; [unrolled: 1-line block ×8, first 2 shown]
	v_mul_f64 v[48:49], v[202:203], v[74:75]
	v_fma_f64 v[8:9], v[200:201], v[76:77], -v[48:49]
	buffer_load_dword v201, off, s[0:3], 0 offset:732
	buffer_load_dword v200, off, s[0:3], 0 offset:728
	;; [unrolled: 1-line block ×4, first 2 shown]
	v_mul_f64 v[16:17], v[206:207], v[68:69]
	buffer_load_dword v207, off, s[0:3], 0 offset:748
	buffer_load_dword v206, off, s[0:3], 0 offset:744
	;; [unrolled: 1-line block ×4, first 2 shown]
	v_mul_f64 v[48:49], v[212:213], v[72:73]
	v_fma_f64 v[16:17], v[204:205], v[70:71], -v[16:17]
	v_fma_f64 v[6:7], v[210:211], v[0:1], -v[48:49]
	buffer_load_dword v204, off, s[0:3], 0 offset:776
	buffer_load_dword v213, off, s[0:3], 0 offset:764
	;; [unrolled: 1-line block ×12, first 2 shown]
	s_waitcnt vmcnt(56) lgkmcnt(0)
	v_mul_f64 v[46:47], v[42:43], v[160:161]
	s_waitcnt vmcnt(54)
	v_fmac_f64_e32 v[46:47], v[44:45], v[164:165]
	v_add_f64 v[4:5], v[4:5], v[46:47]
	ds_read_b128 v[46:49], v254 offset:1408
	ds_read_b128 v[50:53], v254 offset:1424
	v_mul_f64 v[54:55], v[216:217], v[96:97]
	v_fma_f64 v[118:119], v[214:215], v[118:119], -v[54:55]
	ds_read_b128 v[54:57], v254 offset:1440
	s_waitcnt lgkmcnt(2)
	v_mul_f64 v[58:59], v[46:47], v[148:149]
	v_mul_f64 v[66:67], v[220:221], v[88:89]
	v_fma_f64 v[214:215], v[218:219], v[90:91], -v[66:67]
	ds_read_b128 v[216:219], v254 offset:1472
	v_mul_f64 v[66:67], v[232:233], v[222:223]
	v_fma_f64 v[62:63], v[230:231], v[62:63], -v[66:67]
	v_mul_f64 v[74:75], v[236:237], v[106:107]
	v_fma_f64 v[230:231], v[234:235], v[108:109], -v[74:75]
	ds_read_b128 v[220:223], v254 offset:1536
	v_mul_f64 v[88:89], v[240:241], v[224:225]
	v_fma_f64 v[0:1], v[238:239], v[2:3], -v[88:89]
	v_mul_f64 v[90:91], v[248:249], v[102:103]
	v_fma_f64 v[224:225], v[246:247], v[104:105], -v[90:91]
	;; [unrolled: 2-line block ×3, first 2 shown]
	v_add_f64 v[18:19], v[18:19], 0
	v_add_f64 v[14:15], v[18:19], v[14:15]
	;; [unrolled: 1-line block ×16, first 2 shown]
	v_accvgpr_read_b32 v6, a160
	v_accvgpr_read_b32 v7, a161
	;; [unrolled: 1-line block ×3, first 2 shown]
	v_mul_f64 v[6:7], v[138:139], v[6:7]
	v_accvgpr_read_b32 v9, a163
	ds_read_b128 v[66:69], v254 offset:1488
	v_fma_f64 v[6:7], v[136:137], v[8:9], -v[6:7]
	v_accvgpr_read_b32 v8, a166
	v_accvgpr_read_b32 v9, a167
	ds_read_b128 v[74:77], v254 offset:1520
	ds_read_b128 v[98:101], v254 offset:1616
	s_waitcnt vmcnt(52)
	v_fmac_f64_e32 v[58:59], v[48:49], v[168:169]
	v_add_f64 v[4:5], v[4:5], v[58:59]
	s_waitcnt vmcnt(49) lgkmcnt(6)
	v_mul_f64 v[58:59], v[50:51], v[172:173]
	s_waitcnt vmcnt(47)
	v_fmac_f64_e32 v[58:59], v[52:53], v[174:175]
	v_add_f64 v[4:5], v[4:5], v[58:59]
	s_waitcnt vmcnt(45) lgkmcnt(5)
	v_mul_f64 v[58:59], v[54:55], v[166:167]
	s_waitcnt vmcnt(44)
	v_fmac_f64_e32 v[58:59], v[56:57], v[170:171]
	v_add_f64 v[4:5], v[4:5], v[58:59]
	ds_read_b128 v[58:61], v254 offset:1456
	s_waitcnt vmcnt(42) lgkmcnt(0)
	v_mul_f64 v[70:71], v[58:59], v[176:177]
	s_waitcnt vmcnt(40)
	v_fmac_f64_e32 v[70:71], v[60:61], v[178:179]
	v_add_f64 v[4:5], v[4:5], v[70:71]
	s_waitcnt vmcnt(38)
	v_mul_f64 v[70:71], v[216:217], v[180:181]
	s_waitcnt vmcnt(36)
	v_fmac_f64_e32 v[70:71], v[218:219], v[184:185]
	v_add_f64 v[4:5], v[4:5], v[70:71]
	s_waitcnt vmcnt(34)
	v_mul_f64 v[70:71], v[66:67], v[182:183]
	s_waitcnt vmcnt(32)
	v_fmac_f64_e32 v[70:71], v[68:69], v[186:187]
	v_add_f64 v[4:5], v[4:5], v[70:71]
	ds_read_b128 v[70:73], v254 offset:1504
	s_waitcnt vmcnt(29) lgkmcnt(0)
	v_mul_f64 v[86:87], v[70:71], v[188:189]
	s_waitcnt vmcnt(28)
	v_fmac_f64_e32 v[86:87], v[72:73], v[192:193]
	v_add_f64 v[2:3], v[4:5], v[86:87]
	s_waitcnt vmcnt(25)
	v_mul_f64 v[4:5], v[74:75], v[196:197]
	s_waitcnt vmcnt(23)
	v_fmac_f64_e32 v[4:5], v[76:77], v[198:199]
	v_mul_f64 v[86:87], v[244:245], v[92:93]
	v_add_f64 v[2:3], v[2:3], v[4:5]
	v_fma_f64 v[242:243], v[242:243], v[94:95], -v[86:87]
	ds_read_b128 v[86:89], v254 offset:1568
	s_waitcnt vmcnt(21)
	v_mul_f64 v[4:5], v[220:221], v[78:79]
	s_waitcnt vmcnt(20)
	v_fmac_f64_e32 v[4:5], v[222:223], v[194:195]
	v_add_f64 v[20:21], v[2:3], v[4:5]
	ds_read_b128 v[2:5], v254 offset:1552
	ds_read_b128 v[90:93], v254 offset:1584
	s_waitcnt vmcnt(18) lgkmcnt(1)
	v_mul_f64 v[94:95], v[2:3], v[200:201]
	s_waitcnt vmcnt(16)
	v_fmac_f64_e32 v[94:95], v[4:5], v[202:203]
	v_add_f64 v[20:21], v[20:21], v[94:95]
	s_waitcnt vmcnt(14)
	v_mul_f64 v[94:95], v[86:87], v[206:207]
	s_waitcnt vmcnt(12)
	v_fmac_f64_e32 v[94:95], v[88:89], v[208:209]
	v_add_f64 v[20:21], v[20:21], v[94:95]
	ds_read_b128 v[94:97], v254 offset:1600
	buffer_load_dword v250, off, s[0:3], 0 offset:808
	buffer_load_dword v251, off, s[0:3], 0 offset:812
	;; [unrolled: 1-line block ×4, first 2 shown]
	s_waitcnt vmcnt(13) lgkmcnt(1)
	v_mul_f64 v[102:103], v[90:91], v[212:213]
	s_waitcnt vmcnt(11)
	v_fmac_f64_e32 v[102:103], v[92:93], v[226:227]
	v_add_f64 v[20:21], v[20:21], v[102:103]
	s_waitcnt vmcnt(9) lgkmcnt(0)
	v_mul_f64 v[102:103], v[94:95], v[204:205]
	s_waitcnt vmcnt(8)
	v_fmac_f64_e32 v[102:103], v[96:97], v[210:211]
	v_add_f64 v[20:21], v[20:21], v[102:103]
	s_waitcnt vmcnt(6)
	v_mul_f64 v[102:103], v[98:99], v[64:65]
	s_waitcnt vmcnt(4)
	v_fmac_f64_e32 v[102:103], v[100:101], v[228:229]
	v_add_f64 v[20:21], v[20:21], v[102:103]
	ds_read_b128 v[102:105], v254 offset:1632
	buffer_load_dword v235, off, s[0:3], 0 offset:828
	buffer_load_dword v234, off, s[0:3], 0 offset:824
	;; [unrolled: 1-line block ×4, first 2 shown]
	v_mul_f64 v[4:5], v[4:5], v[200:201]
	v_fma_f64 v[2:3], v[2:3], v[202:203], -v[4:5]
	s_waitcnt vmcnt(6) lgkmcnt(0)
	v_mul_f64 v[106:107], v[102:103], v[250:251]
	s_waitcnt vmcnt(4)
	v_fmac_f64_e32 v[106:107], v[104:105], v[232:233]
	v_add_f64 v[20:21], v[20:21], v[106:107]
	ds_read_b128 v[106:109], v254 offset:1648
	buffer_load_dword v238, off, s[0:3], 0 offset:840
	buffer_load_dword v239, off, s[0:3], 0 offset:844
	;; [unrolled: 1-line block ×4, first 2 shown]
	s_waitcnt vmcnt(6) lgkmcnt(0)
	v_mul_f64 v[110:111], v[106:107], v[234:235]
	s_waitcnt vmcnt(4)
	v_fmac_f64_e32 v[110:111], v[108:109], v[236:237]
	v_add_f64 v[20:21], v[20:21], v[110:111]
	ds_read_b128 v[110:113], v254 offset:1664
	buffer_load_dword v245, off, s[0:3], 0 offset:860
	buffer_load_dword v244, off, s[0:3], 0 offset:856
	;; [unrolled: 1-line block ×4, first 2 shown]
	s_waitcnt vmcnt(6) lgkmcnt(0)
	v_mul_f64 v[114:115], v[110:111], v[238:239]
	s_waitcnt vmcnt(4)
	v_fmac_f64_e32 v[114:115], v[112:113], v[240:241]
	v_add_f64 v[20:21], v[20:21], v[114:115]
	ds_read_b128 v[114:117], v254 offset:1680
	v_add_f64 v[254:255], v[0:1], v[242:243]
	v_add_f64 v[0:1], v[254:255], v[224:225]
	v_add_f64 v[0:1], v[0:1], v[252:253]
	v_add_f64 v[0:1], v[0:1], v[6:7]
	v_accvgpr_read_b32 v6, a164
	v_accvgpr_read_b32 v7, a165
	s_waitcnt vmcnt(2) lgkmcnt(0)
	v_mul_f64 v[248:249], v[114:115], v[244:245]
	v_mul_f64 v[6:7], v[134:135], v[6:7]
	s_waitcnt vmcnt(0)
	v_fmac_f64_e32 v[248:249], v[116:117], v[246:247]
	v_add_f64 v[20:21], v[20:21], v[248:249]
	buffer_load_dword v248, off, s[0:3], 0 offset:80
	buffer_load_dword v249, off, s[0:3], 0 offset:84
	buffer_load_dword v214, off, s[0:3], 0 offset:88
	buffer_load_dword v215, off, s[0:3], 0 offset:92
	v_fma_f64 v[6:7], v[132:133], v[8:9], -v[6:7]
	v_add_f64 v[0:1], v[0:1], v[6:7]
	v_mul_f64 v[6:7], v[130:131], v[142:143]
	v_fma_f64 v[6:7], v[128:129], v[146:147], -v[6:7]
	v_add_f64 v[0:1], v[0:1], v[6:7]
	v_accvgpr_read_b32 v6, a168
	v_accvgpr_read_b32 v7, a169
	v_accvgpr_read_b32 v8, a170
	v_mul_f64 v[6:7], v[126:127], v[6:7]
	v_accvgpr_read_b32 v9, a171
	v_fma_f64 v[6:7], v[124:125], v[8:9], -v[6:7]
	v_add_f64 v[0:1], v[0:1], v[6:7]
	v_mul_f64 v[6:7], v[122:123], v[150:151]
	v_fma_f64 v[6:7], v[120:121], v[152:153], -v[6:7]
	v_add_f64 v[0:1], v[0:1], v[6:7]
	v_accvgpr_read_b32 v6, a172
	v_accvgpr_read_b32 v7, a173
	v_accvgpr_read_b32 v8, a174
	v_mul_f64 v[6:7], v[24:25], v[6:7]
	v_accvgpr_read_b32 v9, a175
	;; [unrolled: 10-line block ×3, first 2 shown]
	v_fma_f64 v[6:7], v[30:31], v[8:9], -v[6:7]
	v_add_f64 v[0:1], v[0:1], v[6:7]
	v_mul_f64 v[6:7], v[36:37], v[158:159]
	v_fma_f64 v[6:7], v[34:35], v[162:163], -v[6:7]
	v_add_f64 v[0:1], v[0:1], v[6:7]
	v_mul_f64 v[6:7], v[40:41], v[140:141]
	;; [unrolled: 3-line block ×12, first 2 shown]
	v_fma_f64 v[6:7], v[220:221], v[194:195], -v[6:7]
	v_add_f64 v[0:1], v[0:1], v[6:7]
	v_add_f64 v[0:1], v[0:1], v[2:3]
	v_mul_f64 v[2:3], v[88:89], v[206:207]
	v_fma_f64 v[2:3], v[86:87], v[208:209], -v[2:3]
	v_add_f64 v[0:1], v[0:1], v[2:3]
	v_mul_f64 v[2:3], v[92:93], v[212:213]
	v_fma_f64 v[2:3], v[90:91], v[226:227], -v[2:3]
	;; [unrolled: 3-line block ×8, first 2 shown]
	v_add_f64 v[0:1], v[0:1], v[2:3]
	s_waitcnt vmcnt(2)
	v_add_f64 v[0:1], v[248:249], -v[0:1]
	s_waitcnt vmcnt(0)
	v_add_f64 v[2:3], v[214:215], -v[20:21]
	buffer_store_dword v1, off, s[0:3], 0 offset:84
	buffer_store_dword v0, off, s[0:3], 0 offset:80
	;; [unrolled: 1-line block ×4, first 2 shown]
	v_accvgpr_read_b32 v0, a158
	v_cmp_lt_u32_e32 vcc, 3, v0
	s_and_saveexec_b64 s[4:5], vcc
	s_cbranch_execz .LBB116_325
; %bb.324:
	v_accvgpr_read_b32 v3, a155
	buffer_load_dword v0, v3, s[0:3], 0 offen
	buffer_load_dword v1, v3, s[0:3], 0 offen offset:4
	buffer_load_dword v2, v3, s[0:3], 0 offen offset:8
	s_nop 0
	buffer_load_dword v3, v3, s[0:3], 0 offen offset:12
	v_mov_b32_e32 v4, 0
	v_accvgpr_read_b32 v5, a159
	buffer_store_dword v4, off, s[0:3], 0 offset:64
	buffer_store_dword v4, off, s[0:3], 0 offset:68
	;; [unrolled: 1-line block ×4, first 2 shown]
	s_waitcnt vmcnt(4)
	ds_write_b128 v5, v[0:3]
.LBB116_325:
	s_or_b64 exec, exec, s[4:5]
	s_waitcnt lgkmcnt(0)
	; wave barrier
	s_waitcnt lgkmcnt(0)
	buffer_load_dword v38, off, s[0:3], 0 offset:80
	buffer_load_dword v39, off, s[0:3], 0 offset:84
	;; [unrolled: 1-line block ×42, first 2 shown]
	v_mov_b32_e32 v214, 0
	buffer_load_dword v99, off, s[0:3], 0 offset:228
	buffer_load_dword v98, off, s[0:3], 0 offset:224
	;; [unrolled: 1-line block ×7, first 2 shown]
	ds_read_b128 v[108:111], v214 offset:912
	ds_read_b128 v[112:115], v214 offset:928
	;; [unrolled: 1-line block ×11, first 2 shown]
	s_waitcnt vmcnt(45) lgkmcnt(10)
	v_mul_f64 v[0:1], v[108:109], v[40:41]
	v_fmac_f64_e32 v[0:1], v[110:111], v[38:39]
	v_add_f64 v[0:1], v[0:1], 0
	v_mul_f64 v[40:41], v[110:111], v[40:41]
	s_waitcnt vmcnt(41) lgkmcnt(9)
	v_mul_f64 v[2:3], v[112:113], v[46:47]
	v_fmac_f64_e32 v[2:3], v[114:115], v[44:45]
	s_waitcnt vmcnt(39) lgkmcnt(8)
	v_mul_f64 v[4:5], v[116:117], v[42:43]
	v_add_f64 v[0:1], v[0:1], v[2:3]
	s_waitcnt vmcnt(37) lgkmcnt(6)
	v_mul_f64 v[8:9], v[182:183], v[48:49]
	v_mul_f64 v[42:43], v[118:119], v[42:43]
	s_waitcnt vmcnt(35)
	v_fmac_f64_e32 v[8:9], v[184:185], v[176:177]
	v_mul_f64 v[46:47], v[114:115], v[46:47]
	s_waitcnt vmcnt(33)
	v_mul_f64 v[6:7], v[172:173], v[52:53]
	s_waitcnt vmcnt(31) lgkmcnt(4)
	v_mul_f64 v[12:13], v[192:193], v[56:57]
	s_waitcnt vmcnt(29)
	v_fmac_f64_e32 v[12:13], v[194:195], v[54:55]
	s_waitcnt vmcnt(27)
	v_mul_f64 v[10:11], v[186:187], v[58:59]
	s_waitcnt vmcnt(25) lgkmcnt(2)
	v_mul_f64 v[16:17], v[200:201], v[64:65]
	s_waitcnt vmcnt(22)
	v_mul_f64 v[14:15], v[196:197], v[66:67]
	s_waitcnt vmcnt(20) lgkmcnt(1)
	v_mul_f64 v[18:19], v[204:205], v[60:61]
	s_waitcnt vmcnt(18)
	v_fmac_f64_e32 v[4:5], v[118:119], v[74:75]
	v_add_f64 v[0:1], v[0:1], v[4:5]
	s_waitcnt vmcnt(16)
	v_fmac_f64_e32 v[6:7], v[174:175], v[72:73]
	v_add_f64 v[0:1], v[0:1], v[6:7]
	v_add_f64 v[0:1], v[0:1], v[8:9]
	buffer_load_dword v84, off, s[0:3], 0 offset:264
	buffer_load_dword v5, off, s[0:3], 0 offset:260
	buffer_load_dword v4, off, s[0:3], 0 offset:256
	buffer_load_dword v105, off, s[0:3], 0 offset:316
	buffer_load_dword v104, off, s[0:3], 0 offset:312
	buffer_load_dword v107, off, s[0:3], 0 offset:308
	buffer_load_dword v106, off, s[0:3], 0 offset:304
	buffer_load_dword v7, off, s[0:3], 0 offset:300
	buffer_load_dword v6, off, s[0:3], 0 offset:296
	buffer_load_dword v51, off, s[0:3], 0 offset:292
	buffer_load_dword v50, off, s[0:3], 0 offset:288
	buffer_load_dword v87, off, s[0:3], 0 offset:348
	buffer_load_dword v86, off, s[0:3], 0 offset:344
	buffer_load_dword v89, off, s[0:3], 0 offset:340
	buffer_load_dword v88, off, s[0:3], 0 offset:336
	buffer_load_dword v9, off, s[0:3], 0 offset:332
	buffer_load_dword v8, off, s[0:3], 0 offset:328
	buffer_load_dword v179, off, s[0:3], 0 offset:324
	buffer_load_dword v178, off, s[0:3], 0 offset:320
	buffer_load_dword v91, off, s[0:3], 0 offset:380
	buffer_load_dword v90, off, s[0:3], 0 offset:376
	buffer_load_dword v93, off, s[0:3], 0 offset:372
	buffer_load_dword v92, off, s[0:3], 0 offset:368
	buffer_load_dword v101, off, s[0:3], 0 offset:364
	buffer_load_dword v100, off, s[0:3], 0 offset:360
	buffer_load_dword v103, off, s[0:3], 0 offset:356
	buffer_load_dword v102, off, s[0:3], 0 offset:352
	buffer_load_dword v3, off, s[0:3], 0 offset:412
	buffer_load_dword v2, off, s[0:3], 0 offset:408
	s_waitcnt vmcnt(43)
	v_fmac_f64_e32 v[10:11], v[188:189], v[70:71]
	v_add_f64 v[0:1], v[0:1], v[10:11]
	s_waitcnt vmcnt(41)
	v_fmac_f64_e32 v[14:15], v[198:199], v[68:69]
	v_add_f64 v[0:1], v[0:1], v[12:13]
	v_add_f64 v[0:1], v[0:1], v[14:15]
	s_waitcnt vmcnt(40)
	v_fmac_f64_e32 v[16:17], v[202:203], v[62:63]
	v_add_f64 v[0:1], v[0:1], v[16:17]
	s_waitcnt vmcnt(34)
	v_fmac_f64_e32 v[18:19], v[206:207], v[98:99]
	v_add_f64 v[0:1], v[0:1], v[18:19]
	v_fma_f64 v[118:119], v[116:117], v[74:75], -v[42:43]
	v_mul_f64 v[42:43], v[174:175], v[52:53]
	v_fma_f64 v[72:73], v[172:173], v[72:73], -v[42:43]
	s_waitcnt vmcnt(0)
	v_pk_mov_b32 v[14:15], v[2:3], v[2:3] op_sel:[0,1]
	buffer_load_dword v3, off, s[0:3], 0 offset:404
	buffer_load_dword v2, off, s[0:3], 0 offset:400
	v_accvgpr_write_b32 a161, v15
	v_accvgpr_write_b32 a160, v14
	s_waitcnt vmcnt(0)
	v_pk_mov_b32 v[16:17], v[2:3], v[2:3] op_sel:[0,1]
	buffer_load_dword v95, off, s[0:3], 0 offset:396
	buffer_load_dword v94, off, s[0:3], 0 offset:392
	buffer_load_dword v97, off, s[0:3], 0 offset:388
	buffer_load_dword v96, off, s[0:3], 0 offset:384
	buffer_load_dword v3, off, s[0:3], 0 offset:444
	buffer_load_dword v2, off, s[0:3], 0 offset:440
	v_accvgpr_write_b32 a163, v17
	v_accvgpr_write_b32 a162, v16
	s_waitcnt vmcnt(0)
	v_pk_mov_b32 v[22:23], v[2:3], v[2:3] op_sel:[0,1]
	buffer_load_dword v3, off, s[0:3], 0 offset:436
	buffer_load_dword v2, off, s[0:3], 0 offset:432
	v_accvgpr_write_b32 a165, v23
	v_accvgpr_write_b32 a164, v22
	s_waitcnt vmcnt(0)
	v_pk_mov_b32 v[24:25], v[2:3], v[2:3] op_sel:[0,1]
	buffer_load_dword v213, off, s[0:3], 0 offset:428
	buffer_load_dword v212, off, s[0:3], 0 offset:424
	buffer_load_dword v145, off, s[0:3], 0 offset:420
	buffer_load_dword v144, off, s[0:3], 0 offset:416
	buffer_load_dword v3, off, s[0:3], 0 offset:476
	buffer_load_dword v2, off, s[0:3], 0 offset:472
	v_accvgpr_write_b32 a167, v25
	v_accvgpr_write_b32 a166, v24
	;; [unrolled: 16-line block ×4, first 2 shown]
	s_waitcnt vmcnt(0)
	v_pk_mov_b32 v[168:169], v[2:3], v[2:3] op_sel:[0,1]
	buffer_load_dword v3, off, s[0:3], 0 offset:532
	buffer_load_dword v2, off, s[0:3], 0 offset:528
	v_accvgpr_write_b32 a177, v169
	v_accvgpr_write_b32 a176, v168
	s_waitcnt vmcnt(0)
	v_pk_mov_b32 v[170:171], v[2:3], v[2:3] op_sel:[0,1]
	buffer_load_dword v157, off, s[0:3], 0 offset:524
	buffer_load_dword v156, off, s[0:3], 0 offset:520
	;; [unrolled: 1-line block ×12, first 2 shown]
	ds_read_b128 v[216:219], v214 offset:1088
	ds_read_b128 v[220:223], v214 offset:1104
	;; [unrolled: 1-line block ×12, first 2 shown]
	s_waitcnt lgkmcnt(4)
	v_mul_f64 v[12:13], v[120:121], v[90:91]
	v_fmac_f64_e32 v[12:13], v[122:123], v[92:93]
	s_waitcnt lgkmcnt(2)
	v_mul_f64 v[20:21], v[132:133], v[22:23]
	v_fmac_f64_e32 v[20:21], v[134:135], v[24:25]
	;; [unrolled: 3-line block ×4, first 2 shown]
	v_accvgpr_write_b32 a179, v171
	v_accvgpr_write_b32 a178, v170
	ds_read_b128 v[140:143], v214 offset:1232
	s_waitcnt vmcnt(6)
	v_pk_mov_b32 v[226:227], v[2:3], v[2:3] op_sel:[0,1]
	v_mul_f64 v[2:3], v[208:209], v[76:77]
	v_fmac_f64_e32 v[2:3], v[210:211], v[82:83]
	v_add_f64 v[0:1], v[0:1], v[2:3]
	v_mul_f64 v[2:3], v[216:217], v[84:85]
	v_fmac_f64_e32 v[2:3], v[218:219], v[4:5]
	v_add_f64 v[0:1], v[0:1], v[2:3]
	;; [unrolled: 3-line block ×8, first 2 shown]
	ds_read_b128 v[0:3], v214 offset:1216
	v_add_f64 v[10:11], v[10:11], v[12:13]
	v_accvgpr_write_b32 a180, v226
	v_accvgpr_write_b32 a181, v227
	v_mul_f64 v[6:7], v[238:239], v[6:7]
	s_waitcnt lgkmcnt(0)
	v_mul_f64 v[12:13], v[0:1], v[94:95]
	v_fmac_f64_e32 v[12:13], v[2:3], v[96:97]
	v_add_f64 v[10:11], v[10:11], v[12:13]
	v_mul_f64 v[12:13], v[140:141], v[14:15]
	v_fmac_f64_e32 v[12:13], v[142:143], v[16:17]
	v_mul_f64 v[16:17], v[136:137], v[212:213]
	v_add_f64 v[14:15], v[10:11], v[12:13]
	v_fmac_f64_e32 v[16:17], v[138:139], v[144:145]
	v_add_f64 v[18:19], v[14:15], v[16:17]
	v_add_f64 v[22:23], v[18:19], v[20:21]
	;; [unrolled: 1-line block ×3, first 2 shown]
	ds_read_b128 v[22:25], v214 offset:1312
	v_add_f64 v[30:31], v[26:27], v[28:29]
	ds_read_b128 v[26:29], v214 offset:1328
	v_fma_f64 v[16:17], v[108:109], v[38:39], -v[40:41]
	ds_read_b128 v[38:41], v214 offset:1376
	s_waitcnt lgkmcnt(2)
	v_mul_f64 v[32:33], v[22:23], v[152:153]
	v_fmac_f64_e32 v[32:33], v[24:25], v[154:155]
	v_add_f64 v[34:35], v[30:31], v[32:33]
	ds_read_b128 v[30:33], v214 offset:1344
	s_waitcnt lgkmcnt(2)
	v_mul_f64 v[36:37], v[26:27], v[164:165]
	v_fmac_f64_e32 v[36:37], v[28:29], v[166:167]
	v_add_f64 v[164:165], v[34:35], v[36:37]
	;; [unrolled: 5-line block ×3, first 2 shown]
	buffer_load_dword v165, off, s[0:3], 0 offset:588
	buffer_load_dword v164, off, s[0:3], 0 offset:584
	;; [unrolled: 1-line block ×4, first 2 shown]
	s_waitcnt lgkmcnt(0)
	v_mul_f64 v[108:109], v[34:35], v[168:169]
	v_fmac_f64_e32 v[108:109], v[36:37], v[170:171]
	buffer_load_dword v18, off, s[0:3], 0 offset:600
	buffer_load_dword v170, off, s[0:3], 0 offset:592
	;; [unrolled: 1-line block ×12, first 2 shown]
	v_fma_f64 v[168:169], v[112:113], v[44:45], -v[46:47]
	v_mul_f64 v[46:47], v[184:185], v[48:49]
	ds_read_b128 v[42:45], v214 offset:1392
	v_fma_f64 v[190:191], v[182:183], v[176:177], -v[46:47]
	buffer_load_dword v176, off, s[0:3], 0 offset:664
	buffer_load_dword v183, off, s[0:3], 0 offset:652
	;; [unrolled: 1-line block ×5, first 2 shown]
	v_mul_f64 v[46:47], v[188:189], v[58:59]
	v_fma_f64 v[58:59], v[186:187], v[70:71], -v[46:47]
	buffer_load_dword v186, off, s[0:3], 0 offset:656
	buffer_load_dword v177, off, s[0:3], 0 offset:668
	;; [unrolled: 1-line block ×7, first 2 shown]
	v_mul_f64 v[46:47], v[194:195], v[56:57]
	v_fma_f64 v[224:225], v[192:193], v[54:55], -v[46:47]
	v_mul_f64 v[46:47], v[198:199], v[66:67]
	v_fma_f64 v[110:111], v[196:197], v[68:69], -v[46:47]
	buffer_load_dword v194, off, s[0:3], 0 offset:696
	buffer_load_dword v196, off, s[0:3], 0 offset:688
	buffer_load_dword v195, off, s[0:3], 0 offset:700
	buffer_load_dword v197, off, s[0:3], 0 offset:692
	v_mul_f64 v[46:47], v[202:203], v[64:65]
	v_fma_f64 v[112:113], v[200:201], v[62:63], -v[46:47]
	buffer_load_dword v193, off, s[0:3], 0 offset:732
	buffer_load_dword v199, off, s[0:3], 0 offset:716
	;; [unrolled: 1-line block ×8, first 2 shown]
	ds_read_b128 v[46:49], v214 offset:1408
	s_waitcnt lgkmcnt(1)
	v_mul_f64 v[54:55], v[42:43], v[226:227]
	v_mul_f64 v[56:57], v[206:207], v[60:61]
	buffer_load_dword v61, off, s[0:3], 0 offset:748
	buffer_load_dword v60, off, s[0:3], 0 offset:744
	;; [unrolled: 1-line block ×4, first 2 shown]
	v_add_f64 v[12:13], v[12:13], v[108:109]
	s_waitcnt vmcnt(46)
	v_mul_f64 v[108:109], v[38:39], v[160:161]
	v_fma_f64 v[98:99], v[204:205], v[98:99], -v[56:57]
	v_mul_f64 v[56:57], v[210:211], v[76:77]
	s_waitcnt vmcnt(44)
	v_fmac_f64_e32 v[108:109], v[40:41], v[162:163]
	v_fma_f64 v[208:209], v[208:209], v[82:83], -v[56:57]
	v_mul_f64 v[56:57], v[218:219], v[84:85]
	v_add_f64 v[108:109], v[12:13], v[108:109]
	buffer_load_dword v228, off, s[0:3], 0 offset:760
	buffer_load_dword v230, off, s[0:3], 0 offset:752
	buffer_load_dword v229, off, s[0:3], 0 offset:764
	buffer_load_dword v231, off, s[0:3], 0 offset:756
	buffer_load_dword v233, off, s[0:3], 0 offset:780
	buffer_load_dword v232, off, s[0:3], 0 offset:776
	buffer_load_dword v235, off, s[0:3], 0 offset:772
	buffer_load_dword v234, off, s[0:3], 0 offset:768
	v_fmac_f64_e32 v[54:55], v[44:45], v[146:147]
	v_fma_f64 v[10:11], v[216:217], v[4:5], -v[56:57]
	buffer_load_dword v204, off, s[0:3], 0 offset:792
	buffer_load_dword v206, off, s[0:3], 0 offset:784
	;; [unrolled: 1-line block ×4, first 2 shown]
	ds_read_b128 v[216:219], v214 offset:1424
	v_add_f64 v[54:55], v[108:109], v[54:55]
	v_mul_f64 v[14:15], v[222:223], v[78:79]
	v_fma_f64 v[210:211], v[220:221], v[80:81], -v[14:15]
	ds_read_b128 v[220:223], v214 offset:1456
	ds_read_b128 v[62:65], v214 offset:1472
	v_fma_f64 v[50:51], v[236:237], v[50:51], -v[6:7]
	ds_read_b128 v[66:69], v214 offset:1488
	v_mul_f64 v[8:9], v[246:247], v[8:9]
	v_fma_f64 v[178:179], v[244:245], v[178:179], -v[8:9]
	v_mul_f64 v[82:83], v[254:255], v[100:101]
	v_fma_f64 v[254:255], v[252:253], v[102:103], -v[82:83]
	ds_read_b128 v[82:85], v214 offset:1552
	v_mul_f64 v[2:3], v[2:3], v[94:95]
	v_fma_f64 v[252:253], v[0:1], v[96:97], -v[2:3]
	v_add_f64 v[16:17], v[16:17], 0
	v_add_f64 v[16:17], v[16:17], v[168:169]
	;; [unrolled: 1-line block ×10, first 2 shown]
	ds_read_b128 v[78:81], v214 offset:1536
	v_add_f64 v[16:17], v[16:17], v[208:209]
	v_add_f64 v[10:11], v[16:17], v[10:11]
	;; [unrolled: 1-line block ×4, first 2 shown]
	v_accvgpr_read_b32 v16, a162
	v_accvgpr_read_b32 v17, a163
	ds_read_b128 v[94:97], v214 offset:1600
	s_waitcnt vmcnt(54) lgkmcnt(7)
	v_mul_f64 v[12:13], v[46:47], v[164:165]
	s_waitcnt vmcnt(52)
	v_fmac_f64_e32 v[12:13], v[48:49], v[166:167]
	v_add_f64 v[12:13], v[54:55], v[12:13]
	ds_read_b128 v[54:57], v214 offset:1440
	s_waitcnt vmcnt(49) lgkmcnt(7)
	v_mul_f64 v[14:15], v[216:217], v[18:19]
	s_waitcnt vmcnt(48)
	v_fmac_f64_e32 v[14:15], v[218:219], v[170:171]
	v_add_f64 v[6:7], v[12:13], v[14:15]
	s_waitcnt vmcnt(45) lgkmcnt(0)
	v_mul_f64 v[12:13], v[54:55], v[174:175]
	s_waitcnt vmcnt(43)
	v_fmac_f64_e32 v[12:13], v[56:57], v[180:181]
	v_add_f64 v[6:7], v[6:7], v[12:13]
	s_waitcnt vmcnt(42)
	v_mul_f64 v[12:13], v[220:221], v[172:173]
	s_waitcnt vmcnt(40)
	v_fmac_f64_e32 v[12:13], v[222:223], v[52:53]
	v_add_f64 v[6:7], v[6:7], v[12:13]
	v_mul_f64 v[12:13], v[242:243], v[104:105]
	v_fma_f64 v[236:237], v[240:241], v[106:107], -v[12:13]
	ds_read_b128 v[12:15], v214 offset:1504
	s_waitcnt vmcnt(37)
	v_mul_f64 v[74:75], v[62:63], v[182:183]
	s_waitcnt vmcnt(35)
	v_fmac_f64_e32 v[74:75], v[64:65], v[184:185]
	v_add_f64 v[6:7], v[6:7], v[74:75]
	s_waitcnt vmcnt(33)
	v_mul_f64 v[8:9], v[66:67], v[176:177]
	ds_read_b128 v[74:77], v214 offset:1520
	s_waitcnt vmcnt(32)
	v_fmac_f64_e32 v[8:9], v[68:69], v[186:187]
	v_add_f64 v[6:7], v[6:7], v[8:9]
	s_waitcnt vmcnt(30) lgkmcnt(1)
	v_mul_f64 v[8:9], v[12:13], v[188:189]
	s_waitcnt vmcnt(28)
	v_fmac_f64_e32 v[8:9], v[14:15], v[70:71]
	v_add_f64 v[6:7], v[6:7], v[8:9]
	v_mul_f64 v[8:9], v[250:251], v[86:87]
	v_fma_f64 v[250:251], v[248:249], v[88:89], -v[8:9]
	s_waitcnt vmcnt(25) lgkmcnt(0)
	v_mul_f64 v[8:9], v[74:75], v[194:195]
	s_waitcnt vmcnt(24)
	v_fmac_f64_e32 v[8:9], v[76:77], v[196:197]
	v_add_f64 v[6:7], v[6:7], v[8:9]
	s_waitcnt vmcnt(21)
	v_mul_f64 v[8:9], v[78:79], v[198:199]
	ds_read_b128 v[86:89], v214 offset:1568
	s_waitcnt vmcnt(19)
	v_fmac_f64_e32 v[8:9], v[80:81], v[202:203]
	v_add_f64 v[6:7], v[6:7], v[8:9]
	s_waitcnt vmcnt(18)
	v_mul_f64 v[8:9], v[82:83], v[192:193]
	s_waitcnt vmcnt(16)
	v_fmac_f64_e32 v[8:9], v[84:85], v[200:201]
	v_add_f64 v[6:7], v[6:7], v[8:9]
	v_mul_f64 v[8:9], v[122:123], v[90:91]
	v_fma_f64 v[4:5], v[120:121], v[92:93], -v[8:9]
	s_waitcnt vmcnt(14) lgkmcnt(0)
	v_mul_f64 v[8:9], v[86:87], v[60:61]
	s_waitcnt vmcnt(12)
	v_fmac_f64_e32 v[8:9], v[88:89], v[226:227]
	ds_read_b128 v[90:93], v214 offset:1584
	v_add_f64 v[0:1], v[6:7], v[8:9]
	ds_read_b128 v[120:123], v214 offset:1616
	buffer_load_dword v9, off, s[0:3], 0 offset:812
	buffer_load_dword v8, off, s[0:3], 0 offset:808
	buffer_load_dword v7, off, s[0:3], 0 offset:804
	buffer_load_dword v6, off, s[0:3], 0 offset:800
	ds_read_b128 v[102:105], v214 offset:1632
	buffer_load_dword v100, off, s[0:3], 0 offset:824
	buffer_load_dword v101, off, s[0:3], 0 offset:828
	buffer_load_dword v238, off, s[0:3], 0 offset:816
	buffer_load_dword v239, off, s[0:3], 0 offset:820
	;; [unrolled: 5-line block ×3, first 2 shown]
	s_waitcnt vmcnt(21) lgkmcnt(3)
	v_mul_f64 v[2:3], v[90:91], v[228:229]
	s_waitcnt vmcnt(20)
	v_fmac_f64_e32 v[2:3], v[92:93], v[230:231]
	v_add_f64 v[0:1], v[0:1], v[2:3]
	s_waitcnt vmcnt(18)
	v_mul_f64 v[2:3], v[94:95], v[232:233]
	s_waitcnt vmcnt(16)
	v_fmac_f64_e32 v[2:3], v[96:97], v[234:235]
	v_add_f64 v[0:1], v[0:1], v[2:3]
	s_waitcnt vmcnt(13) lgkmcnt(2)
	v_mul_f64 v[2:3], v[120:121], v[204:205]
	s_waitcnt vmcnt(12)
	v_fmac_f64_e32 v[2:3], v[122:123], v[206:207]
	v_add_f64 v[0:1], v[0:1], v[2:3]
	v_add_f64 v[10:11], v[10:11], v[236:237]
	v_add_f64 v[10:11], v[10:11], v[178:179]
	v_add_f64 v[10:11], v[10:11], v[250:251]
	v_add_f64 v[10:11], v[10:11], v[254:255]
	v_add_f64 v[254:255], v[10:11], v[4:5]
	v_accvgpr_read_b32 v10, a160
	v_accvgpr_read_b32 v11, a161
	v_mul_f64 v[10:11], v[142:143], v[10:11]
	v_add_f64 v[4:5], v[254:255], v[252:253]
	v_fma_f64 v[10:11], v[140:141], v[16:17], -v[10:11]
	v_add_f64 v[4:5], v[4:5], v[10:11]
	v_mul_f64 v[10:11], v[138:139], v[212:213]
	v_fma_f64 v[10:11], v[136:137], v[144:145], -v[10:11]
	v_add_f64 v[4:5], v[4:5], v[10:11]
	v_accvgpr_read_b32 v10, a164
	v_accvgpr_read_b32 v11, a165
	v_accvgpr_read_b32 v16, a166
	v_mul_f64 v[10:11], v[134:135], v[10:11]
	v_accvgpr_read_b32 v17, a167
	v_fma_f64 v[10:11], v[132:133], v[16:17], -v[10:11]
	v_add_f64 v[4:5], v[4:5], v[10:11]
	v_mul_f64 v[10:11], v[130:131], v[148:149]
	v_fma_f64 v[10:11], v[128:129], v[150:151], -v[10:11]
	v_add_f64 v[4:5], v[4:5], v[10:11]
	v_accvgpr_read_b32 v10, a168
	v_accvgpr_read_b32 v11, a169
	v_accvgpr_read_b32 v16, a170
	v_mul_f64 v[10:11], v[126:127], v[10:11]
	v_accvgpr_read_b32 v17, a171
	;; [unrolled: 10-line block ×4, first 2 shown]
	v_fma_f64 v[10:11], v[34:35], v[16:17], -v[10:11]
	v_add_f64 v[4:5], v[4:5], v[10:11]
	v_mul_f64 v[10:11], v[40:41], v[160:161]
	v_fma_f64 v[10:11], v[38:39], v[162:163], -v[10:11]
	v_add_f64 v[4:5], v[4:5], v[10:11]
	v_accvgpr_read_b32 v10, a180
	v_accvgpr_read_b32 v11, a181
	v_mul_f64 v[10:11], v[44:45], v[10:11]
	v_fma_f64 v[10:11], v[42:43], v[146:147], -v[10:11]
	v_add_f64 v[4:5], v[4:5], v[10:11]
	v_mul_f64 v[10:11], v[48:49], v[164:165]
	v_fma_f64 v[10:11], v[46:47], v[166:167], -v[10:11]
	v_add_f64 v[4:5], v[4:5], v[10:11]
	v_mul_f64 v[10:11], v[218:219], v[18:19]
	v_fma_f64 v[10:11], v[216:217], v[170:171], -v[10:11]
	s_waitcnt vmcnt(10) lgkmcnt(1)
	v_mul_f64 v[2:3], v[102:103], v[8:9]
	v_add_f64 v[4:5], v[4:5], v[10:11]
	s_waitcnt vmcnt(8)
	v_fmac_f64_e32 v[2:3], v[104:105], v[6:7]
	v_add_f64 v[0:1], v[0:1], v[2:3]
	s_waitcnt vmcnt(6) lgkmcnt(0)
	v_mul_f64 v[2:3], v[106:107], v[100:101]
	s_waitcnt vmcnt(4)
	v_fmac_f64_e32 v[2:3], v[108:109], v[238:239]
	v_add_f64 v[20:21], v[0:1], v[2:3]
	ds_read_b128 v[0:3], v214 offset:1664
	buffer_load_dword v246, off, s[0:3], 0 offset:856
	buffer_load_dword v247, off, s[0:3], 0 offset:860
	;; [unrolled: 1-line block ×4, first 2 shown]
	v_mul_f64 v[10:11], v[56:57], v[174:175]
	v_fma_f64 v[10:11], v[54:55], v[180:181], -v[10:11]
	v_add_f64 v[4:5], v[4:5], v[10:11]
	s_waitcnt vmcnt(6) lgkmcnt(0)
	v_mul_f64 v[114:115], v[0:1], v[240:241]
	s_waitcnt vmcnt(4)
	v_fmac_f64_e32 v[114:115], v[2:3], v[242:243]
	v_add_f64 v[20:21], v[20:21], v[114:115]
	ds_read_b128 v[114:117], v214 offset:1680
	buffer_load_dword v250, off, s[0:3], 0 offset:64
	buffer_load_dword v251, off, s[0:3], 0 offset:68
	;; [unrolled: 1-line block ×4, first 2 shown]
	v_mul_f64 v[10:11], v[222:223], v[172:173]
	v_fma_f64 v[10:11], v[220:221], v[52:53], -v[10:11]
	v_add_f64 v[4:5], v[4:5], v[10:11]
	v_mul_f64 v[10:11], v[64:65], v[182:183]
	v_fma_f64 v[10:11], v[62:63], v[184:185], -v[10:11]
	v_add_f64 v[4:5], v[4:5], v[10:11]
	;; [unrolled: 3-line block ×10, first 2 shown]
	v_mul_f64 v[10:11], v[122:123], v[204:205]
	v_fma_f64 v[10:11], v[120:121], v[206:207], -v[10:11]
	v_mul_f64 v[8:9], v[104:105], v[8:9]
	v_add_f64 v[4:5], v[4:5], v[10:11]
	v_fma_f64 v[6:7], v[102:103], v[6:7], -v[8:9]
	v_add_f64 v[4:5], v[4:5], v[6:7]
	v_mul_f64 v[6:7], v[108:109], v[100:101]
	v_fma_f64 v[6:7], v[106:107], v[238:239], -v[6:7]
	v_mul_f64 v[2:3], v[2:3], v[240:241]
	v_add_f64 v[4:5], v[4:5], v[6:7]
	v_fma_f64 v[0:1], v[0:1], v[242:243], -v[2:3]
	v_add_f64 v[0:1], v[4:5], v[0:1]
	s_waitcnt vmcnt(6) lgkmcnt(0)
	v_mul_f64 v[2:3], v[116:117], v[246:247]
	v_mul_f64 v[244:245], v[114:115], v[246:247]
	s_waitcnt vmcnt(4)
	v_fma_f64 v[2:3], v[114:115], v[248:249], -v[2:3]
	v_fmac_f64_e32 v[244:245], v[116:117], v[248:249]
	v_add_f64 v[0:1], v[0:1], v[2:3]
	v_add_f64 v[244:245], v[20:21], v[244:245]
	s_waitcnt vmcnt(2)
	v_add_f64 v[0:1], v[250:251], -v[0:1]
	s_waitcnt vmcnt(0)
	v_add_f64 v[2:3], v[118:119], -v[244:245]
	buffer_store_dword v1, off, s[0:3], 0 offset:68
	buffer_store_dword v0, off, s[0:3], 0 offset:64
	;; [unrolled: 1-line block ×4, first 2 shown]
	v_accvgpr_read_b32 v0, a158
	v_cmp_lt_u32_e32 vcc, 2, v0
	s_and_saveexec_b64 s[4:5], vcc
	s_cbranch_execz .LBB116_327
; %bb.326:
	v_accvgpr_read_b32 v3, a156
	buffer_load_dword v0, v3, s[0:3], 0 offen
	buffer_load_dword v1, v3, s[0:3], 0 offen offset:4
	buffer_load_dword v2, v3, s[0:3], 0 offen offset:8
	s_nop 0
	buffer_load_dword v3, v3, s[0:3], 0 offen offset:12
	v_accvgpr_read_b32 v4, a159
	buffer_store_dword v214, off, s[0:3], 0 offset:48
	buffer_store_dword v214, off, s[0:3], 0 offset:52
	;; [unrolled: 1-line block ×4, first 2 shown]
	s_waitcnt vmcnt(4)
	ds_write_b128 v4, v[0:3]
.LBB116_327:
	s_or_b64 exec, exec, s[4:5]
	s_waitcnt lgkmcnt(0)
	; wave barrier
	s_waitcnt lgkmcnt(0)
	buffer_load_dword v34, off, s[0:3], 0 offset:64
	buffer_load_dword v35, off, s[0:3], 0 offset:68
	;; [unrolled: 1-line block ×42, first 2 shown]
	ds_read_b128 v[42:45], v214 offset:896
	ds_read_b128 v[108:111], v214 offset:912
	;; [unrolled: 1-line block ×10, first 2 shown]
	buffer_load_dword v201, off, s[0:3], 0 offset:212
	buffer_load_dword v200, off, s[0:3], 0 offset:208
	ds_read_b128 v[46:49], v214 offset:1056
	buffer_load_dword v85, off, s[0:3], 0 offset:268
	buffer_load_dword v84, off, s[0:3], 0 offset:264
	;; [unrolled: 1-line block ×6, first 2 shown]
	s_waitcnt vmcnt(46) lgkmcnt(10)
	v_mul_f64 v[0:1], v[42:43], v[36:37]
	v_fmac_f64_e32 v[0:1], v[44:45], v[34:35]
	v_add_f64 v[0:1], v[0:1], 0
	v_mul_f64 v[36:37], v[44:45], v[36:37]
	s_waitcnt vmcnt(42) lgkmcnt(9)
	v_mul_f64 v[2:3], v[108:109], v[40:41]
	v_fmac_f64_e32 v[2:3], v[110:111], v[38:39]
	s_waitcnt vmcnt(40) lgkmcnt(8)
	v_mul_f64 v[4:5], v[112:113], v[160:161]
	v_add_f64 v[0:1], v[0:1], v[2:3]
	s_waitcnt vmcnt(38) lgkmcnt(6)
	v_mul_f64 v[8:9], v[170:171], v[174:175]
	v_mul_f64 v[40:41], v[110:111], v[40:41]
	s_waitcnt vmcnt(36)
	v_fmac_f64_e32 v[8:9], v[172:173], v[176:177]
	v_fma_f64 v[232:233], v[108:109], v[38:39], -v[40:41]
	s_waitcnt vmcnt(34)
	v_mul_f64 v[6:7], v[116:117], v[56:57]
	v_mul_f64 v[108:109], v[114:115], v[160:161]
	s_waitcnt vmcnt(32) lgkmcnt(4)
	v_mul_f64 v[12:13], v[184:185], v[58:59]
	v_mul_f64 v[56:57], v[118:119], v[56:57]
	s_waitcnt vmcnt(30)
	v_fmac_f64_e32 v[12:13], v[186:187], v[60:61]
	s_waitcnt vmcnt(28)
	v_mul_f64 v[10:11], v[180:181], v[62:63]
	v_mul_f64 v[62:63], v[182:183], v[62:63]
	s_waitcnt vmcnt(26) lgkmcnt(2)
	v_mul_f64 v[16:17], v[192:193], v[64:65]
	s_waitcnt vmcnt(23)
	v_mul_f64 v[14:15], v[188:189], v[70:71]
	s_waitcnt vmcnt(21) lgkmcnt(1)
	v_mul_f64 v[18:19], v[196:197], v[68:69]
	s_waitcnt vmcnt(19)
	v_fmac_f64_e32 v[4:5], v[114:115], v[78:79]
	v_add_f64 v[0:1], v[0:1], v[4:5]
	s_waitcnt vmcnt(17)
	v_fmac_f64_e32 v[6:7], v[118:119], v[76:77]
	v_add_f64 v[0:1], v[0:1], v[6:7]
	;; [unrolled: 3-line block ×3, first 2 shown]
	v_add_f64 v[0:1], v[0:1], v[10:11]
	s_waitcnt vmcnt(13)
	v_fmac_f64_e32 v[14:15], v[190:191], v[72:73]
	v_add_f64 v[0:1], v[0:1], v[12:13]
	s_waitcnt vmcnt(12)
	v_fmac_f64_e32 v[16:17], v[194:195], v[66:67]
	v_add_f64 v[0:1], v[0:1], v[14:15]
	v_add_f64 v[2:3], v[0:1], v[16:17]
	buffer_load_dword v225, off, s[0:3], 0 offset:244
	buffer_load_dword v224, off, s[0:3], 0 offset:240
	;; [unrolled: 1-line block ×36, first 2 shown]
	s_waitcnt vmcnt(42)
	v_fmac_f64_e32 v[18:19], v[198:199], v[200:201]
	v_add_f64 v[2:3], v[2:3], v[18:19]
	v_fma_f64 v[226:227], v[116:117], v[76:77], -v[56:57]
	v_mul_f64 v[76:77], v[172:173], v[174:175]
	v_fma_f64 v[78:79], v[112:113], v[78:79], -v[108:109]
	v_fma_f64 v[108:109], v[170:171], v[176:177], -v[76:77]
	s_waitcnt vmcnt(0)
	v_pk_mov_b32 v[20:21], v[4:5], v[4:5] op_sel:[0,1]
	buffer_load_dword v5, off, s[0:3], 0 offset:420
	buffer_load_dword v4, off, s[0:3], 0 offset:416
	v_accvgpr_write_b32 a165, v21
	v_accvgpr_write_b32 a164, v20
	s_waitcnt vmcnt(0)
	v_pk_mov_b32 v[22:23], v[4:5], v[4:5] op_sel:[0,1]
	buffer_load_dword v5, off, s[0:3], 0 offset:412
	buffer_load_dword v4, off, s[0:3], 0 offset:408
	v_accvgpr_write_b32 a167, v23
	v_accvgpr_write_b32 a166, v22
	;; [unrolled: 6-line block ×5, first 2 shown]
	s_waitcnt vmcnt(0)
	v_pk_mov_b32 v[28:29], v[4:5], v[4:5] op_sel:[0,1]
	buffer_load_dword v145, off, s[0:3], 0 offset:444
	buffer_load_dword v144, off, s[0:3], 0 offset:440
	;; [unrolled: 1-line block ×6, first 2 shown]
	v_accvgpr_write_b32 a171, v29
	v_accvgpr_write_b32 a170, v28
	s_waitcnt vmcnt(0)
	v_pk_mov_b32 v[164:165], v[4:5], v[4:5] op_sel:[0,1]
	buffer_load_dword v5, off, s[0:3], 0 offset:484
	buffer_load_dword v4, off, s[0:3], 0 offset:480
	v_accvgpr_write_b32 a173, v165
	v_accvgpr_write_b32 a172, v164
	s_waitcnt vmcnt(0)
	v_pk_mov_b32 v[166:167], v[4:5], v[4:5] op_sel:[0,1]
	buffer_load_dword v149, off, s[0:3], 0 offset:476
	buffer_load_dword v148, off, s[0:3], 0 offset:472
	;; [unrolled: 1-line block ×6, first 2 shown]
	v_accvgpr_write_b32 a175, v167
	v_accvgpr_write_b32 a174, v166
	s_waitcnt vmcnt(0)
	v_pk_mov_b32 v[178:179], v[4:5], v[4:5] op_sel:[0,1]
	buffer_load_dword v5, off, s[0:3], 0 offset:516
	buffer_load_dword v4, off, s[0:3], 0 offset:512
	v_accvgpr_write_b32 a176, v178
	v_accvgpr_write_b32 a177, v179
	s_waitcnt vmcnt(0)
	v_pk_mov_b32 v[202:203], v[4:5], v[4:5] op_sel:[0,1]
	buffer_load_dword v153, off, s[0:3], 0 offset:508
	buffer_load_dword v152, off, s[0:3], 0 offset:504
	;; [unrolled: 1-line block ×6, first 2 shown]
	v_accvgpr_write_b32 a178, v202
	v_accvgpr_write_b32 a179, v203
	s_waitcnt vmcnt(0)
	v_pk_mov_b32 v[228:229], v[4:5], v[4:5] op_sel:[0,1]
	buffer_load_dword v5, off, s[0:3], 0 offset:548
	buffer_load_dword v4, off, s[0:3], 0 offset:544
	;; [unrolled: 1-line block ×6, first 2 shown]
	ds_read_b128 v[204:207], v214 offset:1072
	ds_read_b128 v[208:211], v214 offset:1088
	ds_read_b128 v[216:219], v214 offset:1104
	ds_read_b128 v[220:223], v214 offset:1120
	ds_read_b128 v[236:239], v214 offset:1136
	ds_read_b128 v[240:243], v214 offset:1152
	ds_read_b128 v[244:247], v214 offset:1168
	ds_read_b128 v[248:251], v214 offset:1184
	ds_read_b128 v[252:255], v214 offset:1200
	ds_read_b128 v[120:123], v214 offset:1216
	ds_read_b128 v[140:143], v214 offset:1232
	ds_read_b128 v[136:139], v214 offset:1248
	ds_read_b128 v[132:135], v214 offset:1264
	ds_read_b128 v[128:131], v214 offset:1280
	s_waitcnt lgkmcnt(4)
	v_mul_f64 v[8:9], v[120:121], v[94:95]
	v_fmac_f64_e32 v[8:9], v[122:123], v[96:97]
	s_waitcnt lgkmcnt(3)
	v_mul_f64 v[12:13], v[140:141], v[14:15]
	v_fmac_f64_e32 v[12:13], v[142:143], v[16:17]
	;; [unrolled: 3-line block ×4, first 2 shown]
	s_waitcnt lgkmcnt(0)
	v_mul_f64 v[24:25], v[128:129], v[26:27]
	ds_read_b128 v[124:127], v214 offset:1296
	v_fmac_f64_e32 v[24:25], v[130:131], v[28:29]
	v_accvgpr_write_b32 a180, v228
	v_accvgpr_write_b32 a181, v229
	s_waitcnt vmcnt(4)
	v_pk_mov_b32 v[234:235], v[4:5], v[4:5] op_sel:[0,1]
	v_mul_f64 v[4:5], v[46:47], v[80:81]
	v_fmac_f64_e32 v[4:5], v[48:49], v[82:83]
	v_add_f64 v[2:3], v[2:3], v[4:5]
	v_mul_f64 v[4:5], v[204:205], v[212:213]
	v_fmac_f64_e32 v[4:5], v[206:207], v[224:225]
	v_add_f64 v[2:3], v[2:3], v[4:5]
	;; [unrolled: 3-line block ×10, first 2 shown]
	v_add_f64 v[10:11], v[6:7], v[8:9]
	v_add_f64 v[14:15], v[10:11], v[12:13]
	;; [unrolled: 1-line block ×5, first 2 shown]
	ds_read_b128 v[22:25], v214 offset:1312
	s_waitcnt lgkmcnt(1)
	v_mul_f64 v[28:29], v[124:125], v[148:149]
	v_fmac_f64_e32 v[28:29], v[126:127], v[150:151]
	v_add_f64 v[30:31], v[26:27], v[28:29]
	ds_read_b128 v[26:29], v214 offset:1328
	s_waitcnt lgkmcnt(1)
	v_mul_f64 v[32:33], v[22:23], v[164:165]
	v_fmac_f64_e32 v[32:33], v[24:25], v[166:167]
	v_add_f64 v[164:165], v[30:31], v[32:33]
	ds_read_b128 v[30:33], v214 offset:1344
	v_fma_f64 v[18:19], v[42:43], v[34:35], -v[36:37]
	ds_read_b128 v[34:37], v214 offset:1360
	s_waitcnt lgkmcnt(2)
	v_mul_f64 v[4:5], v[26:27], v[152:153]
	v_fmac_f64_e32 v[4:5], v[28:29], v[154:155]
	s_waitcnt lgkmcnt(1)
	v_mul_f64 v[42:43], v[30:31], v[178:179]
	v_add_f64 v[4:5], v[164:165], v[4:5]
	v_fmac_f64_e32 v[42:43], v[32:33], v[202:203]
	v_add_f64 v[4:5], v[4:5], v[42:43]
	s_waitcnt vmcnt(2) lgkmcnt(0)
	v_mul_f64 v[42:43], v[34:35], v[156:157]
	s_waitcnt vmcnt(0)
	v_fmac_f64_e32 v[42:43], v[36:37], v[158:159]
	v_add_f64 v[4:5], v[4:5], v[42:43]
	ds_read_b128 v[42:45], v214 offset:1376
	ds_read_b128 v[38:41], v214 offset:1392
	buffer_load_dword v160, off, s[0:3], 0 offset:584
	buffer_load_dword v165, off, s[0:3], 0 offset:572
	;; [unrolled: 1-line block ×17, first 2 shown]
	v_fma_f64 v[14:15], v[180:181], v[74:75], -v[62:63]
	buffer_load_dword v172, off, s[0:3], 0 offset:640
	buffer_load_dword v181, off, s[0:3], 0 offset:636
	;; [unrolled: 1-line block ×7, first 2 shown]
	v_mul_f64 v[8:9], v[186:187], v[58:59]
	v_fma_f64 v[10:11], v[184:185], v[60:61], -v[8:9]
	v_mul_f64 v[60:61], v[190:191], v[70:71]
	buffer_load_dword v185, off, s[0:3], 0 offset:668
	buffer_load_dword v184, off, s[0:3], 0 offset:664
	;; [unrolled: 1-line block ×4, first 2 shown]
	v_mul_f64 v[12:13], v[194:195], v[64:65]
	buffer_load_dword v190, off, s[0:3], 0 offset:680
	v_fma_f64 v[12:13], v[192:193], v[66:67], -v[12:13]
	buffer_load_dword v192, off, s[0:3], 0 offset:672
	buffer_load_dword v191, off, s[0:3], 0 offset:684
	;; [unrolled: 1-line block ×3, first 2 shown]
	v_fma_f64 v[8:9], v[188:189], v[72:73], -v[60:61]
	v_mul_f64 v[60:61], v[198:199], v[68:69]
	v_fma_f64 v[6:7], v[196:197], v[200:201], -v[60:61]
	buffer_load_dword v189, off, s[0:3], 0 offset:716
	buffer_load_dword v195, off, s[0:3], 0 offset:700
	;; [unrolled: 1-line block ×12, first 2 shown]
	v_mul_f64 v[16:17], v[48:49], v[80:81]
	s_waitcnt lgkmcnt(1)
	v_mul_f64 v[58:59], v[42:43], v[228:229]
	v_fma_f64 v[16:17], v[46:47], v[82:83], -v[16:17]
	v_mul_f64 v[46:47], v[206:207], v[212:213]
	v_fma_f64 v[212:213], v[204:205], v[224:225], -v[46:47]
	buffer_load_dword v206, off, s[0:3], 0 offset:744
	buffer_load_dword v224, off, s[0:3], 0 offset:736
	;; [unrolled: 1-line block ×12, first 2 shown]
	v_fmac_f64_e32 v[58:59], v[44:45], v[234:235]
	v_accvgpr_write_b32 a182, v234
	v_add_f64 v[58:59], v[4:5], v[58:59]
	v_mul_f64 v[4:5], v[210:211], v[84:85]
	v_accvgpr_write_b32 a183, v235
	v_fma_f64 v[208:209], v[208:209], v[86:87], -v[4:5]
	buffer_load_dword v5, off, s[0:3], 0 offset:796
	buffer_load_dword v4, off, s[0:3], 0 offset:792
	;; [unrolled: 1-line block ×4, first 2 shown]
	ds_read_b128 v[46:49], v214 offset:1408
	v_mul_f64 v[50:51], v[218:219], v[50:51]
	v_fma_f64 v[210:211], v[216:217], v[52:53], -v[50:51]
	ds_read_b128 v[50:53], v214 offset:1424
	ds_read_b128 v[216:219], v214 offset:1440
	v_mul_f64 v[0:1], v[222:223], v[0:1]
	v_fma_f64 v[162:163], v[220:221], v[162:163], -v[0:1]
	v_mul_f64 v[54:55], v[238:239], v[54:55]
	v_fma_f64 v[168:169], v[236:237], v[168:169], -v[54:55]
	ds_read_b128 v[70:73], v214 offset:1504
	ds_read_b128 v[74:77], v214 offset:1520
	;; [unrolled: 1-line block ×4, first 2 shown]
	v_mul_f64 v[86:87], v[254:255], v[90:91]
	v_fma_f64 v[252:253], v[252:253], v[98:99], -v[86:87]
	v_add_f64 v[18:19], v[18:19], 0
	v_add_f64 v[18:19], v[18:19], v[232:233]
	v_add_f64 v[18:19], v[18:19], v[78:79]
	v_add_f64 v[18:19], v[18:19], v[226:227]
	v_add_f64 v[18:19], v[18:19], v[108:109]
	v_add_f64 v[14:15], v[18:19], v[14:15]
	v_add_f64 v[10:11], v[14:15], v[10:11]
	v_add_f64 v[8:9], v[10:11], v[8:9]
	v_add_f64 v[8:9], v[8:9], v[12:13]
	v_add_f64 v[6:7], v[8:9], v[6:7]
	v_add_f64 v[6:7], v[6:7], v[16:17]
	v_add_f64 v[6:7], v[6:7], v[212:213]
	v_add_f64 v[6:7], v[6:7], v[208:209]
	v_add_f64 v[6:7], v[6:7], v[210:211]
	v_add_f64 v[6:7], v[6:7], v[162:163]
	v_add_f64 v[6:7], v[6:7], v[168:169]
	v_accvgpr_read_b32 v8, a162
	v_accvgpr_read_b32 v9, a163
	s_waitcnt vmcnt(48) lgkmcnt(5)
	v_mul_f64 v[0:1], v[50:51], v[176:177]
	v_mul_f64 v[60:61], v[38:39], v[164:165]
	s_waitcnt vmcnt(46)
	v_fmac_f64_e32 v[0:1], v[52:53], v[178:179]
	v_fmac_f64_e32 v[60:61], v[40:41], v[166:167]
	v_add_f64 v[58:59], v[58:59], v[60:61]
	v_mul_f64 v[60:61], v[46:47], v[160:161]
	v_fmac_f64_e32 v[60:61], v[48:49], v[56:57]
	v_add_f64 v[62:63], v[58:59], v[60:61]
	ds_read_b128 v[58:61], v214 offset:1456
	v_add_f64 v[0:1], v[62:63], v[0:1]
	s_waitcnt lgkmcnt(5)
	v_mul_f64 v[66:67], v[216:217], v[118:119]
	ds_read_b128 v[62:65], v214 offset:1472
	s_waitcnt vmcnt(44)
	v_fmac_f64_e32 v[66:67], v[218:219], v[174:175]
	v_add_f64 v[0:1], v[0:1], v[66:67]
	ds_read_b128 v[66:69], v214 offset:1488
	s_waitcnt vmcnt(40) lgkmcnt(2)
	v_mul_f64 v[54:55], v[58:59], v[180:181]
	s_waitcnt vmcnt(38)
	v_fmac_f64_e32 v[54:55], v[60:61], v[182:183]
	v_add_f64 v[0:1], v[0:1], v[54:55]
	s_waitcnt vmcnt(37) lgkmcnt(1)
	v_mul_f64 v[54:55], v[62:63], v[170:171]
	s_waitcnt vmcnt(36)
	v_fmac_f64_e32 v[54:55], v[64:65], v[172:173]
	v_add_f64 v[0:1], v[0:1], v[54:55]
	v_mul_f64 v[54:55], v[242:243], v[100:101]
	s_waitcnt vmcnt(34) lgkmcnt(0)
	v_mul_f64 v[20:21], v[66:67], v[184:185]
	v_fma_f64 v[2:3], v[240:241], v[102:103], -v[54:55]
	s_waitcnt vmcnt(32)
	v_fmac_f64_e32 v[20:21], v[68:69], v[186:187]
	s_waitcnt vmcnt(29)
	v_mul_f64 v[54:55], v[70:71], v[190:191]
	v_add_f64 v[0:1], v[0:1], v[20:21]
	s_waitcnt vmcnt(28)
	v_fmac_f64_e32 v[54:55], v[72:73], v[192:193]
	v_add_f64 v[0:1], v[0:1], v[54:55]
	v_mul_f64 v[54:55], v[250:251], v[88:89]
	v_fma_f64 v[248:249], v[248:249], v[92:93], -v[54:55]
	s_waitcnt vmcnt(25)
	v_mul_f64 v[54:55], v[74:75], v[194:195]
	s_waitcnt vmcnt(23)
	v_fmac_f64_e32 v[54:55], v[76:77], v[200:201]
	v_add_f64 v[0:1], v[0:1], v[54:55]
	s_waitcnt vmcnt(22)
	v_mul_f64 v[54:55], v[220:221], v[188:189]
	s_waitcnt vmcnt(20)
	v_fmac_f64_e32 v[54:55], v[222:223], v[198:199]
	ds_read_b128 v[90:93], v214 offset:1568
	ds_read_b128 v[86:89], v214 offset:1584
	v_add_f64 v[0:1], v[0:1], v[54:55]
	s_waitcnt vmcnt(18)
	v_mul_f64 v[54:55], v[82:83], v[196:197]
	s_waitcnt vmcnt(16)
	v_fmac_f64_e32 v[54:55], v[84:85], v[202:203]
	v_add_f64 v[0:1], v[0:1], v[54:55]
	v_mul_f64 v[54:55], v[122:123], v[94:95]
	v_fma_f64 v[254:255], v[120:121], v[96:97], -v[54:55]
	ds_read_b128 v[94:97], v214 offset:1600
	ds_read_b128 v[98:101], v214 offset:1616
	s_waitcnt vmcnt(13) lgkmcnt(3)
	v_mul_f64 v[54:55], v[90:91], v[206:207]
	s_waitcnt vmcnt(12)
	v_fmac_f64_e32 v[54:55], v[92:93], v[224:225]
	v_add_f64 v[0:1], v[0:1], v[54:55]
	s_waitcnt vmcnt(9) lgkmcnt(2)
	v_mul_f64 v[54:55], v[86:87], v[228:229]
	s_waitcnt vmcnt(7)
	v_fmac_f64_e32 v[54:55], v[88:89], v[230:231]
	v_add_f64 v[0:1], v[0:1], v[54:55]
	;; [unrolled: 5-line block ×3, first 2 shown]
	s_waitcnt vmcnt(2) lgkmcnt(0)
	v_mul_f64 v[54:55], v[98:99], v[4:5]
	v_mul_f64 v[20:21], v[246:247], v[104:105]
	s_waitcnt vmcnt(0)
	v_fmac_f64_e32 v[54:55], v[100:101], v[234:235]
	v_fma_f64 v[20:21], v[244:245], v[106:107], -v[20:21]
	v_add_f64 v[0:1], v[0:1], v[54:55]
	buffer_load_dword v54, off, s[0:3], 0 offset:808
	buffer_load_dword v55, off, s[0:3], 0 offset:812
	;; [unrolled: 1-line block ×4, first 2 shown]
	ds_read_b128 v[102:105], v214 offset:1632
	buffer_load_dword v237, off, s[0:3], 0 offset:828
	buffer_load_dword v236, off, s[0:3], 0 offset:824
	;; [unrolled: 1-line block ×4, first 2 shown]
	ds_read_b128 v[120:123], v214 offset:1648
	v_add_f64 v[2:3], v[6:7], v[2:3]
	v_add_f64 v[2:3], v[2:3], v[20:21]
	v_accvgpr_read_b32 v6, a160
	v_accvgpr_read_b32 v7, a161
	v_mul_f64 v[6:7], v[142:143], v[6:7]
	v_fma_f64 v[6:7], v[140:141], v[8:9], -v[6:7]
	v_accvgpr_read_b32 v8, a166
	v_accvgpr_read_b32 v9, a167
	v_mul_f64 v[4:5], v[100:101], v[4:5]
	v_fma_f64 v[4:5], v[98:99], v[234:235], -v[4:5]
	s_waitcnt vmcnt(6) lgkmcnt(1)
	v_mul_f64 v[110:111], v[102:103], v[54:55]
	s_waitcnt vmcnt(4)
	v_fmac_f64_e32 v[110:111], v[104:105], v[106:107]
	v_add_f64 v[0:1], v[0:1], v[110:111]
	s_waitcnt vmcnt(2) lgkmcnt(0)
	v_mul_f64 v[110:111], v[120:121], v[236:237]
	s_waitcnt vmcnt(0)
	v_fmac_f64_e32 v[110:111], v[122:123], v[238:239]
	v_add_f64 v[114:115], v[0:1], v[110:111]
	buffer_load_dword v0, off, s[0:3], 0 offset:840
	buffer_load_dword v1, off, s[0:3], 0 offset:844
	buffer_load_dword v240, off, s[0:3], 0 offset:832
	buffer_load_dword v241, off, s[0:3], 0 offset:836
	ds_read_b128 v[110:113], v214 offset:1664
	buffer_load_dword v245, off, s[0:3], 0 offset:860
	buffer_load_dword v244, off, s[0:3], 0 offset:856
	;; [unrolled: 1-line block ×4, first 2 shown]
	s_waitcnt vmcnt(6) lgkmcnt(0)
	v_mul_f64 v[116:117], v[110:111], v[0:1]
	v_mul_f64 v[0:1], v[112:113], v[0:1]
	s_waitcnt vmcnt(4)
	v_fmac_f64_e32 v[116:117], v[112:113], v[240:241]
	v_add_f64 v[242:243], v[114:115], v[116:117]
	ds_read_b128 v[114:117], v214 offset:1680
	v_fma_f64 v[0:1], v[110:111], v[240:241], -v[0:1]
	s_waitcnt vmcnt(2) lgkmcnt(0)
	v_mul_f64 v[214:215], v[114:115], v[244:245]
	s_waitcnt vmcnt(0)
	v_fmac_f64_e32 v[214:215], v[116:117], v[246:247]
	v_add_f64 v[242:243], v[242:243], v[214:215]
	v_add_f64 v[214:215], v[2:3], v[248:249]
	buffer_load_dword v250, off, s[0:3], 0 offset:48
	buffer_load_dword v251, off, s[0:3], 0 offset:52
	buffer_load_dword v248, off, s[0:3], 0 offset:56
	buffer_load_dword v249, off, s[0:3], 0 offset:60
	v_add_f64 v[2:3], v[214:215], v[252:253]
	v_add_f64 v[2:3], v[2:3], v[254:255]
	;; [unrolled: 1-line block ×3, first 2 shown]
	v_accvgpr_read_b32 v6, a164
	v_accvgpr_read_b32 v7, a165
	v_mul_f64 v[6:7], v[138:139], v[6:7]
	v_fma_f64 v[6:7], v[136:137], v[8:9], -v[6:7]
	v_add_f64 v[2:3], v[2:3], v[6:7]
	v_mul_f64 v[6:7], v[134:135], v[144:145]
	v_fma_f64 v[6:7], v[132:133], v[146:147], -v[6:7]
	v_add_f64 v[2:3], v[2:3], v[6:7]
	v_accvgpr_read_b32 v6, a168
	v_accvgpr_read_b32 v7, a169
	v_accvgpr_read_b32 v8, a170
	v_mul_f64 v[6:7], v[130:131], v[6:7]
	v_accvgpr_read_b32 v9, a171
	v_fma_f64 v[6:7], v[128:129], v[8:9], -v[6:7]
	v_add_f64 v[2:3], v[2:3], v[6:7]
	v_mul_f64 v[6:7], v[126:127], v[148:149]
	v_fma_f64 v[6:7], v[124:125], v[150:151], -v[6:7]
	v_add_f64 v[2:3], v[2:3], v[6:7]
	v_accvgpr_read_b32 v6, a172
	v_accvgpr_read_b32 v7, a173
	v_accvgpr_read_b32 v8, a174
	v_mul_f64 v[6:7], v[24:25], v[6:7]
	v_accvgpr_read_b32 v9, a175
	;; [unrolled: 10-line block ×4, first 2 shown]
	v_fma_f64 v[6:7], v[42:43], v[8:9], -v[6:7]
	v_add_f64 v[2:3], v[2:3], v[6:7]
	v_mul_f64 v[6:7], v[40:41], v[164:165]
	v_fma_f64 v[6:7], v[38:39], v[166:167], -v[6:7]
	v_add_f64 v[2:3], v[2:3], v[6:7]
	v_mul_f64 v[6:7], v[48:49], v[160:161]
	;; [unrolled: 3-line block ×14, first 2 shown]
	v_fma_f64 v[6:7], v[94:95], v[80:81], -v[6:7]
	v_add_f64 v[2:3], v[2:3], v[6:7]
	v_add_f64 v[2:3], v[2:3], v[4:5]
	v_mul_f64 v[4:5], v[104:105], v[54:55]
	v_fma_f64 v[4:5], v[102:103], v[106:107], -v[4:5]
	v_add_f64 v[2:3], v[2:3], v[4:5]
	v_mul_f64 v[4:5], v[122:123], v[236:237]
	v_fma_f64 v[4:5], v[120:121], v[238:239], -v[4:5]
	v_add_f64 v[2:3], v[2:3], v[4:5]
	v_add_f64 v[0:1], v[2:3], v[0:1]
	v_mul_f64 v[2:3], v[116:117], v[244:245]
	v_fma_f64 v[2:3], v[114:115], v[246:247], -v[2:3]
	v_add_f64 v[0:1], v[0:1], v[2:3]
	s_waitcnt vmcnt(2)
	v_add_f64 v[0:1], v[250:251], -v[0:1]
	s_waitcnt vmcnt(0)
	v_add_f64 v[2:3], v[248:249], -v[242:243]
	buffer_store_dword v1, off, s[0:3], 0 offset:52
	buffer_store_dword v0, off, s[0:3], 0 offset:48
	;; [unrolled: 1-line block ×4, first 2 shown]
	v_accvgpr_read_b32 v0, a158
	v_cmp_lt_u32_e32 vcc, 1, v0
	s_and_saveexec_b64 s[4:5], vcc
	s_cbranch_execz .LBB116_329
; %bb.328:
	v_accvgpr_read_b32 v3, a157
	buffer_load_dword v0, v3, s[0:3], 0 offen
	buffer_load_dword v1, v3, s[0:3], 0 offen offset:4
	buffer_load_dword v2, v3, s[0:3], 0 offen offset:8
	s_nop 0
	buffer_load_dword v3, v3, s[0:3], 0 offen offset:12
	v_mov_b32_e32 v4, 0
	v_accvgpr_read_b32 v5, a159
	buffer_store_dword v4, off, s[0:3], 0 offset:32
	buffer_store_dword v4, off, s[0:3], 0 offset:36
	;; [unrolled: 1-line block ×4, first 2 shown]
	s_waitcnt vmcnt(4)
	ds_write_b128 v5, v[0:3]
.LBB116_329:
	s_or_b64 exec, exec, s[4:5]
	s_waitcnt lgkmcnt(0)
	; wave barrier
	s_waitcnt lgkmcnt(0)
	buffer_load_dword v30, off, s[0:3], 0 offset:48
	buffer_load_dword v31, off, s[0:3], 0 offset:52
	;; [unrolled: 1-line block ×36, first 2 shown]
	v_mov_b32_e32 v214, 0
	buffer_load_dword v67, off, s[0:3], 0 offset:220
	buffer_load_dword v66, off, s[0:3], 0 offset:216
	;; [unrolled: 1-line block ×18, first 2 shown]
	ds_read_b128 v[114:117], v214 offset:880
	ds_read_b128 v[126:129], v214 offset:896
	;; [unrolled: 1-line block ×9, first 2 shown]
	s_waitcnt vmcnt(50) lgkmcnt(8)
	v_mul_f64 v[0:1], v[114:115], v[32:33]
	v_fmac_f64_e32 v[0:1], v[116:117], v[30:31]
	v_add_f64 v[0:1], v[0:1], 0
	v_mul_f64 v[32:33], v[116:117], v[32:33]
	s_waitcnt vmcnt(46) lgkmcnt(7)
	v_mul_f64 v[2:3], v[126:127], v[38:39]
	v_fmac_f64_e32 v[2:3], v[128:129], v[36:37]
	v_add_f64 v[0:1], v[0:1], v[2:3]
	buffer_load_dword v109, off, s[0:3], 0 offset:276
	buffer_load_dword v108, off, s[0:3], 0 offset:272
	;; [unrolled: 1-line block ×32, first 2 shown]
	s_waitcnt vmcnt(62) lgkmcnt(6)
	v_mul_f64 v[4:5], v[136:137], v[34:35]
	s_waitcnt lgkmcnt(4)
	v_mul_f64 v[8:9], v[144:145], v[40:41]
	v_fmac_f64_e32 v[8:9], v[146:147], v[42:43]
	v_mul_f64 v[38:39], v[128:129], v[38:39]
	v_mul_f64 v[6:7], v[140:141], v[44:45]
	v_fma_f64 v[180:181], v[126:127], v[36:37], -v[38:39]
	s_waitcnt lgkmcnt(2)
	v_mul_f64 v[12:13], v[152:153], v[48:49]
	v_mul_f64 v[34:35], v[138:139], v[34:35]
	v_fmac_f64_e32 v[12:13], v[154:155], v[50:51]
	v_mul_f64 v[10:11], v[148:149], v[56:57]
	s_waitcnt lgkmcnt(1)
	v_mul_f64 v[14:15], v[156:157], v[52:53]
	s_waitcnt vmcnt(60)
	v_fmac_f64_e32 v[4:5], v[138:139], v[62:63]
	v_add_f64 v[0:1], v[0:1], v[4:5]
	s_waitcnt vmcnt(58)
	v_fmac_f64_e32 v[6:7], v[142:143], v[60:61]
	v_add_f64 v[0:1], v[0:1], v[6:7]
	v_add_f64 v[0:1], v[0:1], v[8:9]
	s_waitcnt vmcnt(56)
	v_fmac_f64_e32 v[10:11], v[150:151], v[58:59]
	v_add_f64 v[0:1], v[0:1], v[10:11]
	;; [unrolled: 4-line block ×3, first 2 shown]
	s_waitcnt vmcnt(0)
	v_pk_mov_b32 v[4:5], v[2:3], v[2:3] op_sel:[0,1]
	buffer_load_dword v3, off, s[0:3], 0 offset:404
	buffer_load_dword v2, off, s[0:3], 0 offset:400
	v_accvgpr_write_b32 a161, v5
	v_accvgpr_write_b32 a160, v4
	s_waitcnt vmcnt(0)
	v_pk_mov_b32 v[8:9], v[2:3], v[2:3] op_sel:[0,1]
	buffer_load_dword v95, off, s[0:3], 0 offset:396
	buffer_load_dword v94, off, s[0:3], 0 offset:392
	;; [unrolled: 1-line block ×6, first 2 shown]
	v_accvgpr_write_b32 a163, v9
	v_accvgpr_write_b32 a162, v8
	s_waitcnt vmcnt(0)
	v_pk_mov_b32 v[12:13], v[2:3], v[2:3] op_sel:[0,1]
	buffer_load_dword v3, off, s[0:3], 0 offset:436
	buffer_load_dword v2, off, s[0:3], 0 offset:432
	v_accvgpr_write_b32 a169, v13
	v_accvgpr_write_b32 a168, v12
	s_waitcnt vmcnt(0)
	v_pk_mov_b32 v[16:17], v[2:3], v[2:3] op_sel:[0,1]
	buffer_load_dword v3, off, s[0:3], 0 offset:428
	buffer_load_dword v2, off, s[0:3], 0 offset:424
	;; [unrolled: 6-line block ×9, first 2 shown]
	buffer_load_dword v249, off, s[0:3], 0 offset:492
	buffer_load_dword v248, off, s[0:3], 0 offset:488
	;; [unrolled: 1-line block ×4, first 2 shown]
	ds_read_b128 v[164:167], v214 offset:1024
	ds_read_b128 v[168:171], v214 offset:1040
	;; [unrolled: 1-line block ×8, first 2 shown]
	buffer_load_dword v121, off, s[0:3], 0 offset:540
	buffer_load_dword v253, off, s[0:3], 0 offset:524
	;; [unrolled: 1-line block ×8, first 2 shown]
	ds_read_b128 v[200:203], v214 offset:1152
	ds_read_b128 v[204:207], v214 offset:1168
	;; [unrolled: 1-line block ×10, first 2 shown]
	s_waitcnt lgkmcnt(5)
	v_mul_f64 v[6:7], v[220:221], v[94:95]
	v_fmac_f64_e32 v[6:7], v[222:223], v[96:97]
	s_waitcnt lgkmcnt(4)
	v_mul_f64 v[10:11], v[224:225], v[4:5]
	v_fmac_f64_e32 v[10:11], v[226:227], v[8:9]
	;; [unrolled: 3-line block ×3, first 2 shown]
	s_waitcnt lgkmcnt(2)
	v_mul_f64 v[18:19], v[232:233], v[12:13]
	ds_read_b128 v[244:247], v214 offset:1312
	v_fmac_f64_e32 v[18:19], v[234:235], v[16:17]
	s_waitcnt lgkmcnt(2)
	v_mul_f64 v[26:27], v[236:237], v[28:29]
	v_fmac_f64_e32 v[26:27], v[238:239], v[130:131]
	v_mul_f64 v[4:5], v[150:151], v[56:57]
	v_accvgpr_write_b32 a181, v25
	v_accvgpr_write_b32 a180, v24
	v_mul_f64 v[94:95], v[222:223], v[94:95]
	v_fma_f64 v[94:95], v[220:221], v[96:97], -v[94:95]
	v_accvgpr_write_b32 a185, v95
	v_accvgpr_write_b32 a184, v94
	s_waitcnt vmcnt(12)
	v_pk_mov_b32 v[124:125], v[2:3], v[2:3] op_sel:[0,1]
	v_mul_f64 v[2:3], v[160:161], v[46:47]
	v_fmac_f64_e32 v[2:3], v[162:163], v[64:65]
	v_add_f64 v[0:1], v[0:1], v[2:3]
	v_mul_f64 v[2:3], v[164:165], v[70:71]
	v_fmac_f64_e32 v[2:3], v[166:167], v[72:73]
	v_add_f64 v[0:1], v[0:1], v[2:3]
	;; [unrolled: 3-line block ×13, first 2 shown]
	v_add_f64 v[0:1], v[0:1], v[6:7]
	v_add_f64 v[0:1], v[0:1], v[10:11]
	v_add_f64 v[0:1], v[0:1], v[14:15]
	v_add_f64 v[0:1], v[0:1], v[18:19]
	v_add_f64 v[0:1], v[0:1], v[26:27]
	s_waitcnt lgkmcnt(1)
	v_mul_f64 v[26:27], v[240:241], v[20:21]
	v_fmac_f64_e32 v[26:27], v[242:243], v[22:23]
	v_add_f64 v[0:1], v[0:1], v[26:27]
	v_fma_f64 v[22:23], v[114:115], v[30:31], -v[32:33]
	ds_read_b128 v[30:33], v214 offset:1344
	s_waitcnt vmcnt(10) lgkmcnt(1)
	v_mul_f64 v[26:27], v[244:245], v[248:249]
	s_waitcnt vmcnt(8)
	v_fmac_f64_e32 v[26:27], v[246:247], v[250:251]
	v_add_f64 v[0:1], v[0:1], v[26:27]
	ds_read_b128 v[26:29], v214 offset:1328
	v_accvgpr_write_b32 a183, v125
	v_accvgpr_write_b32 a182, v124
	s_waitcnt vmcnt(5) lgkmcnt(1)
	v_mul_f64 v[38:39], v[30:31], v[252:253]
	s_waitcnt vmcnt(3)
	v_fmac_f64_e32 v[38:39], v[32:33], v[254:255]
	s_waitcnt lgkmcnt(0)
	v_mul_f64 v[114:115], v[26:27], v[24:25]
	v_fmac_f64_e32 v[114:115], v[28:29], v[124:125]
	buffer_load_dword v125, off, s[0:3], 0 offset:572
	buffer_load_dword v124, off, s[0:3], 0 offset:568
	buffer_load_dword v127, off, s[0:3], 0 offset:564
	buffer_load_dword v126, off, s[0:3], 0 offset:560
	buffer_load_dword v131, off, s[0:3], 0 offset:556
	buffer_load_dword v130, off, s[0:3], 0 offset:552
	buffer_load_dword v135, off, s[0:3], 0 offset:548
	buffer_load_dword v134, off, s[0:3], 0 offset:544
	v_add_f64 v[0:1], v[0:1], v[114:115]
	v_fma_f64 v[114:115], v[136:137], v[62:63], -v[34:35]
	buffer_load_dword v128, off, s[0:3], 0 offset:600
	buffer_load_dword v133, off, s[0:3], 0 offset:588
	;; [unrolled: 1-line block ×5, first 2 shown]
	v_mul_f64 v[34:35], v[142:143], v[44:45]
	v_fma_f64 v[116:117], v[140:141], v[60:61], -v[34:35]
	ds_read_b128 v[34:37], v214 offset:1360
	buffer_load_dword v138, off, s[0:3], 0 offset:592
	buffer_load_dword v129, off, s[0:3], 0 offset:604
	;; [unrolled: 1-line block ×3, first 2 shown]
	v_add_f64 v[0:1], v[0:1], v[38:39]
	v_fma_f64 v[18:19], v[148:149], v[58:59], -v[4:5]
	v_mul_f64 v[4:5], v[154:155], v[48:49]
	s_waitcnt vmcnt(18) lgkmcnt(0)
	v_mul_f64 v[38:39], v[34:35], v[120:121]
	s_waitcnt vmcnt(16)
	v_fmac_f64_e32 v[38:39], v[36:37], v[122:123]
	v_add_f64 v[60:61], v[0:1], v[38:39]
	v_mul_f64 v[0:1], v[146:147], v[40:41]
	v_fma_f64 v[20:21], v[144:145], v[42:43], -v[0:1]
	buffer_load_dword v141, off, s[0:3], 0 offset:636
	buffer_load_dword v143, off, s[0:3], 0 offset:620
	;; [unrolled: 1-line block ×8, first 2 shown]
	ds_read_b128 v[38:41], v214 offset:1376
	buffer_load_dword v149, off, s[0:3], 0 offset:652
	buffer_load_dword v148, off, s[0:3], 0 offset:648
	;; [unrolled: 1-line block ×4, first 2 shown]
	v_fma_f64 v[16:17], v[152:153], v[50:51], -v[4:5]
	v_mul_f64 v[4:5], v[158:159], v[52:53]
	v_fma_f64 v[14:15], v[156:157], v[54:55], -v[4:5]
	buffer_load_dword v153, off, s[0:3], 0 offset:668
	buffer_load_dword v152, off, s[0:3], 0 offset:664
	;; [unrolled: 1-line block ×8, first 2 shown]
	v_mul_f64 v[4:5], v[162:163], v[46:47]
	v_fma_f64 v[12:13], v[160:161], v[64:65], -v[4:5]
	buffer_load_dword v160, off, s[0:3], 0 offset:696
	buffer_load_dword v162, off, s[0:3], 0 offset:688
	;; [unrolled: 1-line block ×4, first 2 shown]
	v_mul_f64 v[4:5], v[166:167], v[70:71]
	v_fma_f64 v[10:11], v[164:165], v[72:73], -v[4:5]
	v_mul_f64 v[4:5], v[170:171], v[66:67]
	buffer_load_dword v165, off, s[0:3], 0 offset:716
	buffer_load_dword v164, off, s[0:3], 0 offset:712
	;; [unrolled: 1-line block ×4, first 2 shown]
	v_fma_f64 v[8:9], v[168:169], v[68:69], -v[4:5]
	v_mul_f64 v[4:5], v[174:175], v[100:101]
	v_fma_f64 v[100:101], v[172:173], v[104:105], -v[4:5]
	buffer_load_dword v171, off, s[0:3], 0 offset:732
	buffer_load_dword v170, off, s[0:3], 0 offset:728
	;; [unrolled: 1-line block ×4, first 2 shown]
	v_mul_f64 v[4:5], v[178:179], v[92:93]
	v_fma_f64 v[6:7], v[176:177], v[76:77], -v[4:5]
	buffer_load_dword v169, off, s[0:3], 0 offset:764
	buffer_load_dword v175, off, s[0:3], 0 offset:748
	;; [unrolled: 1-line block ×12, first 2 shown]
	ds_read_b128 v[42:45], v214 offset:1392
	v_mul_f64 v[46:47], v[186:187], v[118:119]
	v_fma_f64 v[118:119], v[184:185], v[212:213], -v[46:47]
	ds_read_b128 v[46:49], v214 offset:1408
	v_mul_f64 v[54:55], v[190:191], v[74:75]
	v_fma_f64 v[212:213], v[188:189], v[108:109], -v[54:55]
	v_mul_f64 v[58:59], v[194:195], v[110:111]
	v_fma_f64 v[184:185], v[192:193], v[112:113], -v[58:59]
	;; [unrolled: 2-line block ×3, first 2 shown]
	ds_read_b128 v[66:69], v214 offset:1488
	ds_read_b128 v[54:57], v214 offset:1440
	v_mul_f64 v[70:71], v[202:203], v[102:103]
	v_fma_f64 v[2:3], v[200:201], v[106:107], -v[70:71]
	v_mul_f64 v[78:79], v[206:207], v[78:79]
	v_fma_f64 v[206:207], v[204:205], v[80:81], -v[78:79]
	;; [unrolled: 2-line block ×3, first 2 shown]
	ds_read_b128 v[82:85], v214 offset:1552
	v_mul_f64 v[86:87], v[218:219], v[86:87]
	v_fma_f64 v[0:1], v[216:217], v[88:89], -v[86:87]
	ds_read_b128 v[86:89], v214 offset:1568
	ds_read_b128 v[70:73], v214 offset:1504
	buffer_load_dword v98, off, s[0:3], 0 offset:792
	v_add_f64 v[22:23], v[22:23], 0
	v_add_f64 v[22:23], v[22:23], v[180:181]
	;; [unrolled: 1-line block ×9, first 2 shown]
	ds_read_b128 v[78:81], v214 offset:1536
	v_add_f64 v[10:11], v[12:13], v[10:11]
	v_add_f64 v[8:9], v[10:11], v[8:9]
	;; [unrolled: 1-line block ×5, first 2 shown]
	s_waitcnt vmcnt(55) lgkmcnt(8)
	v_mul_f64 v[50:51], v[38:39], v[130:131]
	s_waitcnt lgkmcnt(7)
	v_mul_f64 v[52:53], v[42:43], v[124:125]
	s_waitcnt vmcnt(53)
	v_fmac_f64_e32 v[50:51], v[40:41], v[134:135]
	v_add_f64 v[50:51], v[60:61], v[50:51]
	v_fmac_f64_e32 v[52:53], v[44:45], v[126:127]
	v_add_f64 v[50:51], v[50:51], v[52:53]
	s_waitcnt vmcnt(50) lgkmcnt(6)
	v_mul_f64 v[52:53], v[46:47], v[132:133]
	s_waitcnt vmcnt(48)
	v_fmac_f64_e32 v[52:53], v[48:49], v[136:137]
	v_add_f64 v[62:63], v[50:51], v[52:53]
	ds_read_b128 v[50:53], v214 offset:1424
	ds_read_b128 v[58:61], v214 offset:1456
	;; [unrolled: 1-line block ×3, first 2 shown]
	v_add_f64 v[6:7], v[6:7], v[212:213]
	v_add_f64 v[6:7], v[6:7], v[184:185]
	s_waitcnt vmcnt(46) lgkmcnt(2)
	v_mul_f64 v[64:65], v[50:51], v[128:129]
	s_waitcnt vmcnt(45)
	v_fmac_f64_e32 v[64:65], v[52:53], v[138:139]
	v_add_f64 v[62:63], v[62:63], v[64:65]
	s_waitcnt vmcnt(42)
	v_mul_f64 v[64:65], v[54:55], v[142:143]
	s_waitcnt vmcnt(40)
	v_fmac_f64_e32 v[64:65], v[56:57], v[146:147]
	v_add_f64 v[62:63], v[62:63], v[64:65]
	s_waitcnt vmcnt(39) lgkmcnt(1)
	v_mul_f64 v[64:65], v[58:59], v[140:141]
	s_waitcnt vmcnt(37)
	v_fmac_f64_e32 v[64:65], v[60:61], v[144:145]
	v_add_f64 v[74:75], v[62:63], v[64:65]
	ds_read_b128 v[62:65], v214 offset:1472
	v_add_f64 v[4:5], v[6:7], v[4:5]
	v_add_f64 v[2:3], v[4:5], v[2:3]
	;; [unrolled: 1-line block ×4, first 2 shown]
	s_waitcnt vmcnt(35) lgkmcnt(0)
	v_mul_f64 v[76:77], v[62:63], v[148:149]
	s_waitcnt vmcnt(33)
	v_fmac_f64_e32 v[76:77], v[64:65], v[150:151]
	v_add_f64 v[74:75], v[74:75], v[76:77]
	s_waitcnt vmcnt(31)
	v_mul_f64 v[76:77], v[66:67], v[152:153]
	s_waitcnt vmcnt(29)
	v_fmac_f64_e32 v[76:77], v[68:69], v[156:157]
	v_add_f64 v[74:75], v[74:75], v[76:77]
	s_waitcnt vmcnt(27)
	v_mul_f64 v[76:77], v[70:71], v[154:155]
	s_waitcnt vmcnt(25)
	v_fmac_f64_e32 v[76:77], v[72:73], v[158:159]
	v_add_f64 v[90:91], v[74:75], v[76:77]
	ds_read_b128 v[74:77], v214 offset:1520
	s_waitcnt vmcnt(10)
	v_mul_f64 v[104:105], v[86:87], v[174:175]
	s_waitcnt vmcnt(8)
	v_fmac_f64_e32 v[104:105], v[88:89], v[24:25]
	v_add_f64 v[212:213], v[2:3], v[0:1]
	v_accvgpr_read_b32 v2, a160
	s_waitcnt lgkmcnt(0)
	v_mul_f64 v[92:93], v[74:75], v[160:161]
	v_fmac_f64_e32 v[92:93], v[76:77], v[162:163]
	v_add_f64 v[90:91], v[90:91], v[92:93]
	v_mul_f64 v[92:93], v[78:79], v[164:165]
	v_fmac_f64_e32 v[92:93], v[80:81], v[166:167]
	v_add_f64 v[90:91], v[90:91], v[92:93]
	;; [unrolled: 3-line block ×3, first 2 shown]
	ds_read_b128 v[90:93], v214 offset:1584
	buffer_load_dword v186, off, s[0:3], 0 offset:784
	buffer_load_dword v99, off, s[0:3], 0 offset:796
	;; [unrolled: 1-line block ×3, first 2 shown]
	ds_read_b128 v[220:223], v214 offset:1616
	buffer_load_dword v189, off, s[0:3], 0 offset:812
	buffer_load_dword v188, off, s[0:3], 0 offset:808
	;; [unrolled: 1-line block ×4, first 2 shown]
	v_add_f64 v[102:103], v[102:103], v[104:105]
	s_waitcnt vmcnt(14) lgkmcnt(1)
	v_mul_f64 v[104:105], v[90:91], v[168:169]
	s_waitcnt vmcnt(12)
	v_fmac_f64_e32 v[104:105], v[92:93], v[178:179]
	v_add_f64 v[102:103], v[102:103], v[104:105]
	s_waitcnt vmcnt(10)
	v_mul_f64 v[104:105], v[94:95], v[176:177]
	s_waitcnt vmcnt(8)
	v_fmac_f64_e32 v[104:105], v[96:97], v[182:183]
	v_add_f64 v[102:103], v[102:103], v[104:105]
	v_accvgpr_read_b32 v0, a184
	v_accvgpr_read_b32 v3, a161
	v_accvgpr_read_b32 v4, a162
	v_accvgpr_read_b32 v1, a185
	v_mul_f64 v[2:3], v[226:227], v[2:3]
	v_accvgpr_read_b32 v5, a163
	v_add_f64 v[0:1], v[212:213], v[0:1]
	v_fma_f64 v[2:3], v[224:225], v[4:5], -v[2:3]
	v_add_f64 v[0:1], v[0:1], v[2:3]
	v_accvgpr_read_b32 v2, a164
	v_accvgpr_read_b32 v3, a165
	v_accvgpr_read_b32 v4, a166
	v_mul_f64 v[2:3], v[230:231], v[2:3]
	v_accvgpr_read_b32 v5, a167
	v_fma_f64 v[2:3], v[228:229], v[4:5], -v[2:3]
	v_add_f64 v[0:1], v[0:1], v[2:3]
	v_accvgpr_read_b32 v2, a168
	v_accvgpr_read_b32 v3, a169
	v_accvgpr_read_b32 v4, a170
	v_mul_f64 v[2:3], v[234:235], v[2:3]
	v_accvgpr_read_b32 v5, a171
	;; [unrolled: 7-line block ×4, first 2 shown]
	v_fma_f64 v[2:3], v[240:241], v[4:5], -v[2:3]
	v_add_f64 v[0:1], v[0:1], v[2:3]
	v_mul_f64 v[2:3], v[246:247], v[248:249]
	v_fma_f64 v[2:3], v[244:245], v[250:251], -v[2:3]
	v_add_f64 v[0:1], v[0:1], v[2:3]
	v_accvgpr_read_b32 v2, a180
	v_accvgpr_read_b32 v3, a181
	;; [unrolled: 1-line block ×3, first 2 shown]
	v_mul_f64 v[2:3], v[28:29], v[2:3]
	v_accvgpr_read_b32 v5, a183
	v_fma_f64 v[2:3], v[26:27], v[4:5], -v[2:3]
	v_add_f64 v[0:1], v[0:1], v[2:3]
	v_mul_f64 v[2:3], v[32:33], v[252:253]
	v_fma_f64 v[2:3], v[30:31], v[254:255], -v[2:3]
	v_add_f64 v[0:1], v[0:1], v[2:3]
	v_mul_f64 v[2:3], v[36:37], v[120:121]
	v_fma_f64 v[2:3], v[34:35], v[122:123], -v[2:3]
	v_add_f64 v[0:1], v[0:1], v[2:3]
	v_mul_f64 v[2:3], v[40:41], v[130:131]
	v_fma_f64 v[2:3], v[38:39], v[134:135], -v[2:3]
	v_add_f64 v[0:1], v[0:1], v[2:3]
	v_mul_f64 v[2:3], v[44:45], v[124:125]
	v_fma_f64 v[2:3], v[42:43], v[126:127], -v[2:3]
	v_add_f64 v[0:1], v[0:1], v[2:3]
	v_mul_f64 v[2:3], v[48:49], v[132:133]
	v_fma_f64 v[2:3], v[46:47], v[136:137], -v[2:3]
	v_add_f64 v[0:1], v[0:1], v[2:3]
	v_mul_f64 v[2:3], v[52:53], v[128:129]
	v_fma_f64 v[2:3], v[50:51], v[138:139], -v[2:3]
	v_add_f64 v[0:1], v[0:1], v[2:3]
	v_mul_f64 v[2:3], v[56:57], v[142:143]
	v_fma_f64 v[2:3], v[54:55], v[146:147], -v[2:3]
	v_add_f64 v[0:1], v[0:1], v[2:3]
	v_mul_f64 v[2:3], v[60:61], v[140:141]
	s_waitcnt vmcnt(5) lgkmcnt(0)
	v_mul_f64 v[104:105], v[220:221], v[98:99]
	s_waitcnt vmcnt(4)
	v_fmac_f64_e32 v[104:105], v[222:223], v[186:187]
	v_add_f64 v[106:107], v[102:103], v[104:105]
	ds_read_b128 v[102:105], v214 offset:1632
	buffer_load_dword v192, off, s[0:3], 0 offset:824
	buffer_load_dword v193, off, s[0:3], 0 offset:828
	;; [unrolled: 1-line block ×4, first 2 shown]
	v_fma_f64 v[2:3], v[58:59], v[144:145], -v[2:3]
	v_add_f64 v[0:1], v[0:1], v[2:3]
	v_mul_f64 v[2:3], v[64:65], v[148:149]
	s_waitcnt vmcnt(6) lgkmcnt(0)
	v_mul_f64 v[108:109], v[102:103], v[188:189]
	s_waitcnt vmcnt(4)
	v_fmac_f64_e32 v[108:109], v[104:105], v[190:191]
	v_add_f64 v[110:111], v[106:107], v[108:109]
	ds_read_b128 v[106:109], v214 offset:1648
	buffer_load_dword v197, off, s[0:3], 0 offset:844
	buffer_load_dword v196, off, s[0:3], 0 offset:840
	;; [unrolled: 1-line block ×4, first 2 shown]
	v_fma_f64 v[2:3], v[62:63], v[150:151], -v[2:3]
	v_add_f64 v[0:1], v[0:1], v[2:3]
	v_mul_f64 v[2:3], v[68:69], v[152:153]
	v_fma_f64 v[2:3], v[66:67], v[156:157], -v[2:3]
	v_add_f64 v[0:1], v[0:1], v[2:3]
	v_mul_f64 v[2:3], v[72:73], v[154:155]
	v_fma_f64 v[2:3], v[70:71], v[158:159], -v[2:3]
	v_add_f64 v[0:1], v[0:1], v[2:3]
	v_mul_f64 v[2:3], v[76:77], v[160:161]
	v_fma_f64 v[2:3], v[74:75], v[162:163], -v[2:3]
	v_add_f64 v[0:1], v[0:1], v[2:3]
	v_mul_f64 v[2:3], v[80:81], v[164:165]
	v_fma_f64 v[2:3], v[78:79], v[166:167], -v[2:3]
	v_add_f64 v[0:1], v[0:1], v[2:3]
	v_mul_f64 v[2:3], v[84:85], v[170:171]
	v_fma_f64 v[2:3], v[82:83], v[172:173], -v[2:3]
	v_add_f64 v[0:1], v[0:1], v[2:3]
	v_mul_f64 v[2:3], v[88:89], v[174:175]
	v_fma_f64 v[2:3], v[86:87], v[24:25], -v[2:3]
	v_add_f64 v[0:1], v[0:1], v[2:3]
	v_mul_f64 v[2:3], v[92:93], v[168:169]
	v_fma_f64 v[2:3], v[90:91], v[178:179], -v[2:3]
	v_add_f64 v[0:1], v[0:1], v[2:3]
	v_mul_f64 v[2:3], v[96:97], v[176:177]
	v_fma_f64 v[2:3], v[94:95], v[182:183], -v[2:3]
	v_add_f64 v[0:1], v[0:1], v[2:3]
	v_mul_f64 v[2:3], v[222:223], v[98:99]
	v_fma_f64 v[2:3], v[220:221], v[186:187], -v[2:3]
	v_add_f64 v[0:1], v[0:1], v[2:3]
	v_mul_f64 v[2:3], v[104:105], v[188:189]
	v_fma_f64 v[2:3], v[102:103], v[190:191], -v[2:3]
	v_add_f64 v[0:1], v[0:1], v[2:3]
	s_waitcnt vmcnt(6) lgkmcnt(0)
	v_mul_f64 v[112:113], v[106:107], v[192:193]
	v_mul_f64 v[2:3], v[108:109], v[192:193]
	s_waitcnt vmcnt(4)
	v_fmac_f64_e32 v[112:113], v[108:109], v[194:195]
	v_add_f64 v[200:201], v[110:111], v[112:113]
	ds_read_b128 v[110:113], v214 offset:1664
	v_fma_f64 v[2:3], v[106:107], v[194:195], -v[2:3]
	v_add_f64 v[0:1], v[0:1], v[2:3]
	s_waitcnt vmcnt(2) lgkmcnt(0)
	v_mul_f64 v[202:203], v[110:111], v[196:197]
	s_waitcnt vmcnt(0)
	v_fmac_f64_e32 v[202:203], v[112:113], v[198:199]
	v_add_f64 v[200:201], v[200:201], v[202:203]
	buffer_load_dword v202, off, s[0:3], 0 offset:856
	buffer_load_dword v203, off, s[0:3], 0 offset:860
	;; [unrolled: 1-line block ×4, first 2 shown]
	ds_read_b128 v[216:219], v214 offset:1680
	buffer_load_dword v208, off, s[0:3], 0 offset:32
	buffer_load_dword v209, off, s[0:3], 0 offset:36
	;; [unrolled: 1-line block ×4, first 2 shown]
	v_mul_f64 v[2:3], v[112:113], v[196:197]
	v_fma_f64 v[2:3], v[110:111], v[198:199], -v[2:3]
	v_add_f64 v[0:1], v[0:1], v[2:3]
	s_waitcnt vmcnt(6) lgkmcnt(0)
	v_mul_f64 v[2:3], v[218:219], v[202:203]
	v_mul_f64 v[210:211], v[216:217], v[202:203]
	s_waitcnt vmcnt(4)
	v_fma_f64 v[2:3], v[216:217], v[204:205], -v[2:3]
	v_fmac_f64_e32 v[210:211], v[218:219], v[204:205]
	v_add_f64 v[0:1], v[0:1], v[2:3]
	v_add_f64 v[200:201], v[200:201], v[210:211]
	s_waitcnt vmcnt(2)
	v_add_f64 v[0:1], v[208:209], -v[0:1]
	s_waitcnt vmcnt(0)
	v_add_f64 v[2:3], v[206:207], -v[200:201]
	buffer_store_dword v1, off, s[0:3], 0 offset:36
	buffer_store_dword v0, off, s[0:3], 0 offset:32
	buffer_store_dword v3, off, s[0:3], 0 offset:44
	buffer_store_dword v2, off, s[0:3], 0 offset:40
	v_accvgpr_read_b32 v0, a158
	v_cmp_ne_u32_e32 vcc, 0, v0
	s_and_saveexec_b64 s[4:5], vcc
	s_cbranch_execz .LBB116_331
; %bb.330:
	buffer_load_dword v0, off, s[0:3], 0 offset:16
	buffer_load_dword v1, off, s[0:3], 0 offset:20
	;; [unrolled: 1-line block ×4, first 2 shown]
	v_accvgpr_read_b32 v4, a159
	buffer_store_dword v214, off, s[0:3], 0 offset:16
	buffer_store_dword v214, off, s[0:3], 0 offset:20
	;; [unrolled: 1-line block ×4, first 2 shown]
	s_waitcnt vmcnt(4)
	ds_write_b128 v4, v[0:3]
.LBB116_331:
	s_or_b64 exec, exec, s[4:5]
	s_waitcnt lgkmcnt(0)
	; wave barrier
	s_waitcnt lgkmcnt(0)
	buffer_load_dword v24, off, s[0:3], 0 offset:32
	buffer_load_dword v25, off, s[0:3], 0 offset:36
	;; [unrolled: 1-line block ×36, first 2 shown]
	ds_read_b128 v[20:23], v214 offset:864
	ds_read_b128 v[56:59], v214 offset:880
	;; [unrolled: 1-line block ×9, first 2 shown]
	buffer_load_dword v93, off, s[0:3], 0 offset:204
	buffer_load_dword v92, off, s[0:3], 0 offset:200
	;; [unrolled: 1-line block ×19, first 2 shown]
	s_and_b64 vcc, exec, s[16:17]
	s_waitcnt vmcnt(51) lgkmcnt(8)
	v_mul_f64 v[0:1], v[20:21], v[26:27]
	v_fmac_f64_e32 v[0:1], v[22:23], v[24:25]
	v_add_f64 v[0:1], v[0:1], 0
	v_mul_f64 v[22:23], v[22:23], v[26:27]
	s_waitcnt vmcnt(47) lgkmcnt(7)
	v_mul_f64 v[2:3], v[56:57], v[64:65]
	v_fmac_f64_e32 v[2:3], v[58:59], v[62:63]
	s_waitcnt vmcnt(45) lgkmcnt(6)
	v_mul_f64 v[4:5], v[36:37], v[60:61]
	v_add_f64 v[0:1], v[0:1], v[2:3]
	s_waitcnt vmcnt(43) lgkmcnt(4)
	v_mul_f64 v[8:9], v[32:33], v[66:67]
	v_fma_f64 v[20:21], v[20:21], v[24:25], -v[22:23]
	s_waitcnt vmcnt(41)
	v_fmac_f64_e32 v[8:9], v[34:35], v[68:69]
	v_mul_f64 v[34:35], v[34:35], v[66:67]
	s_waitcnt vmcnt(39)
	v_mul_f64 v[6:7], v[28:29], v[70:71]
	v_fma_f64 v[68:69], v[32:33], v[68:69], -v[34:35]
	s_waitcnt vmcnt(37) lgkmcnt(2)
	v_mul_f64 v[12:13], v[48:49], v[76:77]
	v_mul_f64 v[58:59], v[58:59], v[64:65]
	s_waitcnt vmcnt(35)
	v_fmac_f64_e32 v[12:13], v[50:51], v[78:79]
	v_fma_f64 v[64:65], v[56:57], v[62:63], -v[58:59]
	s_waitcnt vmcnt(33)
	v_mul_f64 v[10:11], v[52:53], v[82:83]
	v_mul_f64 v[50:51], v[50:51], v[76:77]
	s_waitcnt vmcnt(31) lgkmcnt(1)
	v_mul_f64 v[14:15], v[44:45], v[74:75]
	v_fma_f64 v[66:67], v[48:49], v[78:79], -v[50:51]
	s_waitcnt vmcnt(29)
	v_fmac_f64_e32 v[4:5], v[38:39], v[88:89]
	v_add_f64 v[0:1], v[0:1], v[4:5]
	s_waitcnt vmcnt(27)
	v_fmac_f64_e32 v[6:7], v[30:31], v[86:87]
	v_add_f64 v[0:1], v[0:1], v[6:7]
	;; [unrolled: 3-line block ×3, first 2 shown]
	v_add_f64 v[0:1], v[0:1], v[10:11]
	v_add_f64 v[0:1], v[0:1], v[12:13]
	buffer_load_dword v114, off, s[0:3], 0 offset:256
	buffer_load_dword v13, off, s[0:3], 0 offset:252
	buffer_load_dword v12, off, s[0:3], 0 offset:248
	buffer_load_dword v17, off, s[0:3], 0 offset:244
	buffer_load_dword v16, off, s[0:3], 0 offset:240
	buffer_load_dword v191, off, s[0:3], 0 offset:300
	buffer_load_dword v190, off, s[0:3], 0 offset:296
	buffer_load_dword v193, off, s[0:3], 0 offset:292
	buffer_load_dword v192, off, s[0:3], 0 offset:288
	buffer_load_dword v199, off, s[0:3], 0 offset:284
	buffer_load_dword v198, off, s[0:3], 0 offset:280
	buffer_load_dword v201, off, s[0:3], 0 offset:276
	buffer_load_dword v200, off, s[0:3], 0 offset:272
	buffer_load_dword v183, off, s[0:3], 0 offset:332
	buffer_load_dword v182, off, s[0:3], 0 offset:328
	buffer_load_dword v187, off, s[0:3], 0 offset:324
	buffer_load_dword v186, off, s[0:3], 0 offset:320
	buffer_load_dword v195, off, s[0:3], 0 offset:316
	buffer_load_dword v194, off, s[0:3], 0 offset:312
	buffer_load_dword v197, off, s[0:3], 0 offset:308
	buffer_load_dword v196, off, s[0:3], 0 offset:304
	buffer_load_dword v105, off, s[0:3], 0 offset:364
	buffer_load_dword v104, off, s[0:3], 0 offset:360
	buffer_load_dword v109, off, s[0:3], 0 offset:356
	buffer_load_dword v108, off, s[0:3], 0 offset:352
	buffer_load_dword v185, off, s[0:3], 0 offset:348
	buffer_load_dword v184, off, s[0:3], 0 offset:344
	buffer_load_dword v189, off, s[0:3], 0 offset:340
	buffer_load_dword v188, off, s[0:3], 0 offset:336
	buffer_load_dword v97, off, s[0:3], 0 offset:396
	buffer_load_dword v96, off, s[0:3], 0 offset:392
	buffer_load_dword v99, off, s[0:3], 0 offset:388
	buffer_load_dword v98, off, s[0:3], 0 offset:384
	buffer_load_dword v107, off, s[0:3], 0 offset:380
	buffer_load_dword v106, off, s[0:3], 0 offset:376
	buffer_load_dword v113, off, s[0:3], 0 offset:372
	buffer_load_dword v112, off, s[0:3], 0 offset:368
	buffer_load_dword v3, off, s[0:3], 0 offset:428
	buffer_load_dword v2, off, s[0:3], 0 offset:424
	s_waitcnt vmcnt(62)
	v_fmac_f64_e32 v[14:15], v[46:47], v[80:81]
	v_add_f64 v[0:1], v[0:1], v[14:15]
	v_mul_f64 v[30:31], v[30:31], v[70:71]
	v_fma_f64 v[70:71], v[28:29], v[86:87], -v[30:31]
	v_mul_f64 v[38:39], v[38:39], v[60:61]
	v_mul_f64 v[46:47], v[46:47], v[74:75]
	v_fma_f64 v[76:77], v[44:45], v[80:81], -v[46:47]
	v_mul_f64 v[54:55], v[54:55], v[82:83]
	v_fma_f64 v[82:83], v[52:53], v[84:85], -v[54:55]
	v_add_f64 v[20:21], v[20:21], 0
	v_add_f64 v[20:21], v[20:21], v[64:65]
	s_waitcnt vmcnt(0)
	v_pk_mov_b32 v[18:19], v[2:3], v[2:3] op_sel:[0,1]
	buffer_load_dword v3, off, s[0:3], 0 offset:420
	buffer_load_dword v2, off, s[0:3], 0 offset:416
	v_accvgpr_write_b32 a163, v19
	v_accvgpr_write_b32 a162, v18
	s_waitcnt vmcnt(0)
	v_pk_mov_b32 v[124:125], v[2:3], v[2:3] op_sel:[0,1]
	buffer_load_dword v3, off, s[0:3], 0 offset:412
	buffer_load_dword v2, off, s[0:3], 0 offset:408
	v_accvgpr_write_b32 a165, v125
	v_accvgpr_write_b32 a164, v124
	;; [unrolled: 6-line block ×10, first 2 shown]
	s_waitcnt vmcnt(0)
	v_pk_mov_b32 v[142:143], v[2:3], v[2:3] op_sel:[0,1]
	buffer_load_dword v3, off, s[0:3], 0 offset:468
	buffer_load_dword v2, off, s[0:3], 0 offset:464
	ds_read_b128 v[152:155], v214 offset:1008
	ds_read_b128 v[158:161], v214 offset:1024
	;; [unrolled: 1-line block ×9, first 2 shown]
	buffer_load_dword v5, off, s[0:3], 0 offset:508
	buffer_load_dword v4, off, s[0:3], 0 offset:504
	;; [unrolled: 1-line block ×4, first 2 shown]
	ds_read_b128 v[220:223], v214 offset:1152
	buffer_load_dword v251, off, s[0:3], 0 offset:524
	buffer_load_dword v250, off, s[0:3], 0 offset:520
	;; [unrolled: 1-line block ×6, first 2 shown]
	ds_read_b128 v[116:119], v214 offset:1168
	ds_read_b128 v[242:245], v214 offset:1232
	;; [unrolled: 1-line block ×5, first 2 shown]
	v_accvgpr_write_b32 a179, v143
	v_accvgpr_write_b32 a178, v142
	s_waitcnt lgkmcnt(13)
	v_mul_f64 v[44:45], v[160:161], v[92:93]
	s_waitcnt lgkmcnt(5)
	v_mul_f64 v[74:75], v[222:223], v[182:183]
	s_waitcnt vmcnt(10)
	v_pk_mov_b32 v[144:145], v[2:3], v[2:3] op_sel:[0,1]
	v_mul_f64 v[2:3], v[40:41], v[72:73]
	v_fmac_f64_e32 v[2:3], v[42:43], v[90:91]
	v_add_f64 v[0:1], v[0:1], v[2:3]
	v_mul_f64 v[2:3], v[152:153], v[100:101]
	v_fmac_f64_e32 v[2:3], v[154:155], v[102:103]
	v_add_f64 v[0:1], v[0:1], v[2:3]
	;; [unrolled: 3-line block ×10, first 2 shown]
	v_mul_f64 v[2:3], v[220:221], v[182:183]
	v_fmac_f64_e32 v[2:3], v[222:223], v[186:187]
	s_waitcnt vmcnt(8)
	v_pk_mov_b32 v[14:15], v[4:5], v[4:5] op_sel:[0,1]
	v_add_f64 v[4:5], v[0:1], v[2:3]
	ds_read_b128 v[0:3], v214 offset:1184
	s_waitcnt lgkmcnt(5)
	v_mul_f64 v[6:7], v[116:117], v[184:185]
	v_fmac_f64_e32 v[6:7], v[118:119], v[188:189]
	v_add_f64 v[8:9], v[4:5], v[6:7]
	ds_read_b128 v[4:7], v214 offset:1200
	s_waitcnt lgkmcnt(1)
	v_mul_f64 v[10:11], v[0:1], v[104:105]
	v_fmac_f64_e32 v[10:11], v[2:3], v[108:109]
	;; [unrolled: 5-line block ×3, first 2 shown]
	v_add_f64 v[120:121], v[120:121], v[122:123]
	v_accvgpr_write_b32 a181, v145
	s_waitcnt lgkmcnt(0)
	v_mul_f64 v[122:123], v[8:9], v[96:97]
	v_fmac_f64_e32 v[122:123], v[10:11], v[98:99]
	v_add_f64 v[120:121], v[120:121], v[122:123]
	v_mul_f64 v[122:123], v[242:243], v[134:135]
	v_fmac_f64_e32 v[122:123], v[244:245], v[136:137]
	v_add_f64 v[120:121], v[120:121], v[122:123]
	;; [unrolled: 3-line block ×3, first 2 shown]
	buffer_load_dword v121, off, s[0:3], 0 offset:532
	buffer_load_dword v120, off, s[0:3], 0 offset:528
	ds_read_b128 v[238:241], v214 offset:1296
	ds_read_b128 v[224:227], v214 offset:1312
	v_mul_f64 v[124:125], v[228:229], v[138:139]
	v_fmac_f64_e32 v[124:125], v[230:231], v[140:141]
	v_add_f64 v[122:123], v[122:123], v[124:125]
	v_mul_f64 v[124:125], v[246:247], v[126:127]
	v_fmac_f64_e32 v[124:125], v[248:249], v[128:129]
	s_waitcnt lgkmcnt(1)
	v_mul_f64 v[26:27], v[238:239], v[142:143]
	v_add_f64 v[24:25], v[122:123], v[124:125]
	v_fmac_f64_e32 v[26:27], v[240:241], v[144:145]
	v_add_f64 v[24:25], v[24:25], v[26:27]
	s_waitcnt lgkmcnt(0)
	v_mul_f64 v[26:27], v[224:225], v[130:131]
	v_fmac_f64_e32 v[26:27], v[226:227], v[132:133]
	v_add_f64 v[134:135], v[24:25], v[26:27]
	ds_read_b128 v[24:27], v214 offset:1328
	buffer_load_dword v127, off, s[0:3], 0 offset:556
	buffer_load_dword v126, off, s[0:3], 0 offset:552
	buffer_load_dword v129, off, s[0:3], 0 offset:548
	buffer_load_dword v128, off, s[0:3], 0 offset:544
	buffer_load_dword v122, off, s[0:3], 0 offset:584
	buffer_load_dword v124, off, s[0:3], 0 offset:576
	buffer_load_dword v131, off, s[0:3], 0 offset:572
	buffer_load_dword v130, off, s[0:3], 0 offset:568
	buffer_load_dword v133, off, s[0:3], 0 offset:564
	buffer_load_dword v132, off, s[0:3], 0 offset:560
	buffer_load_dword v123, off, s[0:3], 0 offset:588
	buffer_load_dword v125, off, s[0:3], 0 offset:580
	ds_read_b128 v[28:31], v214 offset:1344
	ds_read_b128 v[32:35], v214 offset:1360
	v_fma_f64 v[136:137], v[36:37], v[88:89], -v[38:39]
	s_waitcnt lgkmcnt(2)
	v_mul_f64 v[36:37], v[24:25], v[14:15]
	s_waitcnt vmcnt(20)
	v_fmac_f64_e32 v[36:37], v[26:27], v[236:237]
	s_waitcnt vmcnt(18) lgkmcnt(1)
	v_mul_f64 v[38:39], v[28:29], v[250:251]
	v_add_f64 v[36:37], v[134:135], v[36:37]
	s_waitcnt vmcnt(16)
	v_fmac_f64_e32 v[38:39], v[30:31], v[252:253]
	v_accvgpr_write_b32 a180, v144
	v_add_f64 v[56:57], v[36:37], v[38:39]
	ds_read_b128 v[36:39], v214 offset:1376
	buffer_load_dword v135, off, s[0:3], 0 offset:604
	buffer_load_dword v134, off, s[0:3], 0 offset:600
	;; [unrolled: 1-line block ×16, first 2 shown]
	v_mul_f64 v[42:43], v[42:43], v[72:73]
	v_fma_f64 v[78:79], v[40:41], v[90:91], -v[42:43]
	buffer_load_dword v146, off, s[0:3], 0 offset:680
	v_mul_f64 v[40:41], v[154:155], v[100:101]
	v_fma_f64 v[88:89], v[152:153], v[102:103], -v[40:41]
	buffer_load_dword v155, off, s[0:3], 0 offset:668
	buffer_load_dword v154, off, s[0:3], 0 offset:664
	;; [unrolled: 1-line block ×7, first 2 shown]
	ds_read_b128 v[40:43], v214 offset:1392
	v_fma_f64 v[90:91], v[158:159], v[94:95], -v[44:45]
	buffer_load_dword v159, off, s[0:3], 0 offset:700
	buffer_load_dword v158, off, s[0:3], 0 offset:696
	;; [unrolled: 1-line block ×4, first 2 shown]
	v_mul_f64 v[44:45], v[168:169], v[162:163]
	v_fma_f64 v[92:93], v[166:167], v[164:165], -v[44:45]
	buffer_load_dword v163, off, s[0:3], 0 offset:716
	buffer_load_dword v162, off, s[0:3], 0 offset:712
	;; [unrolled: 1-line block ×8, first 2 shown]
	v_mul_f64 v[44:45], v[176:177], v[170:171]
	v_fma_f64 v[94:95], v[174:175], v[172:173], -v[44:45]
	buffer_load_dword v173, off, s[0:3], 0 offset:748
	buffer_load_dword v172, off, s[0:3], 0 offset:744
	;; [unrolled: 1-line block ×4, first 2 shown]
	v_mul_f64 v[12:13], v[180:181], v[12:13]
	v_fma_f64 v[18:19], v[178:179], v[16:17], -v[12:13]
	buffer_load_dword v170, off, s[0:3], 0 offset:776
	buffer_load_dword v179, off, s[0:3], 0 offset:764
	;; [unrolled: 1-line block ×8, first 2 shown]
	v_mul_f64 v[44:45], v[204:205], v[110:111]
	s_waitcnt vmcnt(62) lgkmcnt(2)
	v_mul_f64 v[52:53], v[32:33], v[254:255]
	v_fma_f64 v[204:205], v[202:203], v[114:115], -v[44:45]
	ds_read_b128 v[44:47], v214 offset:1408
	v_mul_f64 v[72:73], v[218:219], v[194:195]
	v_accvgpr_write_b32 a183, v15
	v_accvgpr_write_b32 a182, v14
	v_fma_f64 v[14:15], v[220:221], v[186:187], -v[74:75]
	ds_read_b128 v[220:223], v214 offset:1504
	v_mul_f64 v[84:85], v[118:119], v[184:185]
	v_fma_f64 v[12:13], v[116:117], v[188:189], -v[84:85]
	ds_read_b128 v[116:119], v214 offset:1536
	v_mul_f64 v[2:3], v[2:3], v[104:105]
	ds_read_b128 v[84:87], v214 offset:1568
	v_mul_f64 v[6:7], v[6:7], v[106:107]
	v_mul_f64 v[10:11], v[10:11], v[96:97]
	v_add_f64 v[20:21], v[20:21], v[136:137]
	v_add_f64 v[20:21], v[20:21], v[70:71]
	v_add_f64 v[20:21], v[20:21], v[68:69]
	v_add_f64 v[20:21], v[20:21], v[82:83]
	v_add_f64 v[20:21], v[20:21], v[66:67]
	v_add_f64 v[20:21], v[20:21], v[76:77]
	v_add_f64 v[20:21], v[20:21], v[78:79]
	v_add_f64 v[20:21], v[20:21], v[88:89]
	v_add_f64 v[20:21], v[20:21], v[90:91]
	v_add_f64 v[20:21], v[20:21], v[92:93]
	v_add_f64 v[20:21], v[20:21], v[94:95]
	v_add_f64 v[18:19], v[20:21], v[18:19]
	v_add_f64 v[18:19], v[18:19], v[204:205]
	s_waitcnt vmcnt(60)
	v_fmac_f64_e32 v[52:53], v[34:35], v[120:121]
	v_add_f64 v[48:49], v[56:57], v[52:53]
	v_mul_f64 v[52:53], v[208:209], v[198:199]
	v_fma_f64 v[206:207], v[206:207], v[200:201], -v[52:53]
	ds_read_b128 v[52:55], v214 offset:1440
	v_fma_f64 v[198:199], v[216:217], v[196:197], -v[72:73]
	ds_read_b128 v[216:219], v214 offset:1488
	;; [unrolled: 2-line block ×3, first 2 shown]
	v_add_f64 v[18:19], v[18:19], v[206:207]
	s_waitcnt vmcnt(58) lgkmcnt(8)
	v_mul_f64 v[16:17], v[36:37], v[126:127]
	s_waitcnt vmcnt(56)
	v_fmac_f64_e32 v[16:17], v[38:39], v[128:129]
	v_add_f64 v[16:17], v[48:49], v[16:17]
	s_waitcnt vmcnt(52) lgkmcnt(7)
	v_mul_f64 v[48:49], v[40:41], v[130:131]
	s_waitcnt vmcnt(50)
	v_fmac_f64_e32 v[48:49], v[42:43], v[132:133]
	;; [unrolled: 5-line block ×3, first 2 shown]
	v_add_f64 v[16:17], v[16:17], v[48:49]
	ds_read_b128 v[48:51], v214 offset:1424
	s_waitcnt vmcnt(42) lgkmcnt(3)
	v_mul_f64 v[60:61], v[52:53], v[138:139]
	s_waitcnt lgkmcnt(0)
	v_mul_f64 v[56:57], v[48:49], v[134:135]
	v_fmac_f64_e32 v[56:57], v[50:51], v[140:141]
	v_add_f64 v[16:17], v[16:17], v[56:57]
	v_mul_f64 v[56:57], v[212:213], v[190:191]
	v_fma_f64 v[212:213], v[210:211], v[192:193], -v[56:57]
	ds_read_b128 v[56:59], v214 offset:1456
	s_waitcnt vmcnt(40)
	v_fmac_f64_e32 v[60:61], v[54:55], v[144:145]
	v_add_f64 v[16:17], v[16:17], v[60:61]
	ds_read_b128 v[60:63], v214 offset:1472
	v_fma_f64 v[210:211], v[8:9], v[98:99], -v[10:11]
	s_waitcnt vmcnt(35) lgkmcnt(1)
	v_mul_f64 v[72:73], v[56:57], v[148:149]
	s_waitcnt vmcnt(33)
	v_fmac_f64_e32 v[72:73], v[58:59], v[150:151]
	v_add_f64 v[16:17], v[16:17], v[72:73]
	s_waitcnt lgkmcnt(0)
	v_mul_f64 v[72:73], v[60:61], v[80:81]
	s_waitcnt vmcnt(32)
	v_fmac_f64_e32 v[72:73], v[62:63], v[142:143]
	v_add_f64 v[16:17], v[16:17], v[72:73]
	s_waitcnt vmcnt(29)
	v_mul_f64 v[72:73], v[216:217], v[154:155]
	s_waitcnt vmcnt(27)
	v_fmac_f64_e32 v[72:73], v[218:219], v[156:157]
	v_add_f64 v[16:17], v[16:17], v[72:73]
	s_waitcnt vmcnt(25)
	v_mul_f64 v[72:73], v[220:221], v[146:147]
	s_waitcnt vmcnt(24)
	v_fmac_f64_e32 v[72:73], v[222:223], v[152:153]
	v_add_f64 v[16:17], v[16:17], v[72:73]
	ds_read_b128 v[72:75], v214 offset:1520
	ds_read_b128 v[8:11], v214 offset:1600
	v_add_f64 v[18:19], v[18:19], v[212:213]
	v_add_f64 v[18:19], v[18:19], v[198:199]
	v_add_f64 v[14:15], v[18:19], v[14:15]
	s_waitcnt vmcnt(22) lgkmcnt(1)
	v_mul_f64 v[22:23], v[72:73], v[158:159]
	s_waitcnt vmcnt(20)
	v_fmac_f64_e32 v[22:23], v[74:75], v[160:161]
	v_add_f64 v[16:17], v[16:17], v[22:23]
	s_waitcnt vmcnt(18)
	v_mul_f64 v[22:23], v[116:117], v[162:163]
	s_waitcnt vmcnt(16)
	v_fmac_f64_e32 v[22:23], v[118:119], v[166:167]
	v_add_f64 v[16:17], v[16:17], v[22:23]
	s_waitcnt vmcnt(14)
	v_mul_f64 v[22:23], v[0:1], v[164:165]
	s_waitcnt vmcnt(12)
	v_fmac_f64_e32 v[22:23], v[2:3], v[168:169]
	v_add_f64 v[16:17], v[16:17], v[22:23]
	v_fma_f64 v[22:23], v[4:5], v[112:113], -v[6:7]
	ds_read_b128 v[4:7], v214 offset:1584
	buffer_load_dword v183, off, s[0:3], 0 offset:796
	buffer_load_dword v182, off, s[0:3], 0 offset:792
	;; [unrolled: 1-line block ×4, first 2 shown]
	s_waitcnt vmcnt(14)
	v_mul_f64 v[100:101], v[84:85], v[172:173]
	s_waitcnt vmcnt(12)
	v_fmac_f64_e32 v[100:101], v[86:87], v[174:175]
	v_add_f64 v[16:17], v[16:17], v[100:101]
	s_waitcnt vmcnt(9) lgkmcnt(0)
	v_mul_f64 v[96:97], v[4:5], v[178:179]
	s_waitcnt vmcnt(7)
	v_fmac_f64_e32 v[96:97], v[6:7], v[180:181]
	v_add_f64 v[16:17], v[16:17], v[96:97]
	s_waitcnt vmcnt(5)
	v_mul_f64 v[96:97], v[8:9], v[170:171]
	s_waitcnt vmcnt(4)
	v_fmac_f64_e32 v[96:97], v[10:11], v[176:177]
	v_add_f64 v[16:17], v[16:17], v[96:97]
	ds_read_b128 v[96:99], v214 offset:1616
	buffer_load_dword v186, off, s[0:3], 0 offset:808
	buffer_load_dword v187, off, s[0:3], 0 offset:812
	;; [unrolled: 1-line block ×4, first 2 shown]
	v_add_f64 v[12:13], v[14:15], v[12:13]
	v_accvgpr_read_b32 v14, a158
	v_add_f64 v[212:213], v[12:13], v[208:209]
	v_accvgpr_read_b32 v15, a159
	v_accvgpr_read_b32 v18, a160
	v_add_f64 v[12:13], v[212:213], v[22:23]
	v_mul_f64 v[14:15], v[244:245], v[14:15]
	v_accvgpr_read_b32 v19, a161
	v_add_f64 v[12:13], v[12:13], v[210:211]
	v_fma_f64 v[14:15], v[242:243], v[18:19], -v[14:15]
	v_add_f64 v[12:13], v[12:13], v[14:15]
	v_accvgpr_read_b32 v14, a162
	v_accvgpr_read_b32 v15, a163
	v_accvgpr_read_b32 v18, a164
	v_mul_f64 v[14:15], v[234:235], v[14:15]
	v_accvgpr_read_b32 v19, a165
	v_fma_f64 v[14:15], v[232:233], v[18:19], -v[14:15]
	v_add_f64 v[12:13], v[12:13], v[14:15]
	v_accvgpr_read_b32 v14, a166
	v_accvgpr_read_b32 v15, a167
	v_accvgpr_read_b32 v18, a168
	v_mul_f64 v[14:15], v[230:231], v[14:15]
	v_accvgpr_read_b32 v19, a169
	;; [unrolled: 7-line block ×5, first 2 shown]
	v_fma_f64 v[14:15], v[224:225], v[18:19], -v[14:15]
	v_add_f64 v[12:13], v[12:13], v[14:15]
	v_accvgpr_read_b32 v14, a182
	v_accvgpr_read_b32 v15, a183
	v_mul_f64 v[14:15], v[26:27], v[14:15]
	v_fma_f64 v[14:15], v[24:25], v[236:237], -v[14:15]
	v_add_f64 v[12:13], v[12:13], v[14:15]
	v_mul_f64 v[14:15], v[30:31], v[250:251]
	v_fma_f64 v[14:15], v[28:29], v[252:253], -v[14:15]
	v_add_f64 v[12:13], v[12:13], v[14:15]
	;; [unrolled: 3-line block ×6, first 2 shown]
	s_waitcnt vmcnt(6) lgkmcnt(0)
	v_mul_f64 v[100:101], v[96:97], v[182:183]
	v_mul_f64 v[14:15], v[50:51], v[134:135]
	s_waitcnt vmcnt(4)
	v_fmac_f64_e32 v[100:101], v[98:99], v[184:185]
	v_add_f64 v[16:17], v[16:17], v[100:101]
	ds_read_b128 v[100:103], v214 offset:1632
	buffer_load_dword v191, off, s[0:3], 0 offset:828
	buffer_load_dword v190, off, s[0:3], 0 offset:824
	;; [unrolled: 1-line block ×4, first 2 shown]
	v_fma_f64 v[14:15], v[48:49], v[140:141], -v[14:15]
	v_add_f64 v[12:13], v[12:13], v[14:15]
	v_mul_f64 v[14:15], v[54:55], v[138:139]
	v_fma_f64 v[14:15], v[52:53], v[144:145], -v[14:15]
	v_add_f64 v[12:13], v[12:13], v[14:15]
	s_waitcnt vmcnt(6) lgkmcnt(0)
	v_mul_f64 v[104:105], v[100:101], v[186:187]
	v_mul_f64 v[14:15], v[58:59], v[148:149]
	s_waitcnt vmcnt(4)
	v_fmac_f64_e32 v[104:105], v[102:103], v[188:189]
	v_add_f64 v[16:17], v[16:17], v[104:105]
	ds_read_b128 v[104:107], v214 offset:1648
	buffer_load_dword v194, off, s[0:3], 0 offset:840
	buffer_load_dword v195, off, s[0:3], 0 offset:844
	;; [unrolled: 1-line block ×4, first 2 shown]
	v_fma_f64 v[14:15], v[56:57], v[150:151], -v[14:15]
	v_add_f64 v[12:13], v[12:13], v[14:15]
	v_mul_f64 v[14:15], v[62:63], v[80:81]
	v_fma_f64 v[14:15], v[60:61], v[142:143], -v[14:15]
	v_add_f64 v[12:13], v[12:13], v[14:15]
	v_mul_f64 v[14:15], v[218:219], v[154:155]
	;; [unrolled: 3-line block ×5, first 2 shown]
	v_fma_f64 v[14:15], v[116:117], v[166:167], -v[14:15]
	v_mul_f64 v[2:3], v[2:3], v[164:165]
	v_add_f64 v[12:13], v[12:13], v[14:15]
	v_fma_f64 v[0:1], v[0:1], v[168:169], -v[2:3]
	v_mul_f64 v[2:3], v[86:87], v[172:173]
	v_add_f64 v[0:1], v[12:13], v[0:1]
	v_fma_f64 v[2:3], v[84:85], v[174:175], -v[2:3]
	v_add_f64 v[0:1], v[0:1], v[2:3]
	v_mul_f64 v[2:3], v[6:7], v[178:179]
	v_fma_f64 v[2:3], v[4:5], v[180:181], -v[2:3]
	v_add_f64 v[0:1], v[0:1], v[2:3]
	v_mul_f64 v[2:3], v[10:11], v[170:171]
	;; [unrolled: 3-line block ×4, first 2 shown]
	v_fma_f64 v[2:3], v[100:101], v[188:189], -v[2:3]
	v_add_f64 v[0:1], v[0:1], v[2:3]
	s_waitcnt vmcnt(6) lgkmcnt(0)
	v_mul_f64 v[108:109], v[104:105], v[190:191]
	v_mul_f64 v[2:3], v[106:107], v[190:191]
	s_waitcnt vmcnt(4)
	v_fmac_f64_e32 v[108:109], v[106:107], v[192:193]
	v_add_f64 v[16:17], v[16:17], v[108:109]
	ds_read_b128 v[108:111], v214 offset:1664
	buffer_load_dword v201, off, s[0:3], 0 offset:860
	buffer_load_dword v200, off, s[0:3], 0 offset:856
	;; [unrolled: 1-line block ×4, first 2 shown]
	v_fma_f64 v[2:3], v[104:105], v[192:193], -v[2:3]
	v_add_f64 v[0:1], v[0:1], v[2:3]
	s_waitcnt vmcnt(6) lgkmcnt(0)
	v_mul_f64 v[112:113], v[108:109], v[194:195]
	v_mul_f64 v[2:3], v[110:111], v[194:195]
	s_waitcnt vmcnt(4)
	v_fmac_f64_e32 v[112:113], v[110:111], v[196:197]
	v_add_f64 v[16:17], v[16:17], v[112:113]
	ds_read_b128 v[112:115], v214 offset:1680
	buffer_load_dword v206, off, s[0:3], 0 offset:16
	buffer_load_dword v207, off, s[0:3], 0 offset:20
	;; [unrolled: 1-line block ×4, first 2 shown]
	v_fma_f64 v[2:3], v[108:109], v[196:197], -v[2:3]
	v_add_f64 v[0:1], v[0:1], v[2:3]
	s_waitcnt vmcnt(6) lgkmcnt(0)
	v_mul_f64 v[2:3], v[114:115], v[200:201]
	v_mul_f64 v[214:215], v[112:113], v[200:201]
	s_waitcnt vmcnt(4)
	v_fma_f64 v[2:3], v[112:113], v[202:203], -v[2:3]
	v_fmac_f64_e32 v[214:215], v[114:115], v[202:203]
	v_add_f64 v[0:1], v[0:1], v[2:3]
	v_add_f64 v[16:17], v[16:17], v[214:215]
	s_waitcnt vmcnt(2)
	v_add_f64 v[0:1], v[206:207], -v[0:1]
	s_waitcnt vmcnt(0)
	v_add_f64 v[2:3], v[204:205], -v[16:17]
	buffer_store_dword v1, off, s[0:3], 0 offset:20
	buffer_store_dword v0, off, s[0:3], 0 offset:16
	buffer_store_dword v3, off, s[0:3], 0 offset:28
	buffer_store_dword v2, off, s[0:3], 0 offset:24
	s_cbranch_vccz .LBB116_437
; %bb.332:
	v_pk_mov_b32 v[0:1], s[10:11], s[10:11] op_sel:[0,1]
	flat_load_dword v0, v[0:1] offset:204
	s_waitcnt vmcnt(0) lgkmcnt(0)
	v_add_u32_e32 v0, -1, v0
	v_cmp_ne_u32_e32 vcc, 51, v0
	s_and_saveexec_b64 s[4:5], vcc
	s_cbranch_execz .LBB116_334
; %bb.333:
	v_mov_b32_e32 v1, 16
	v_accvgpr_read_b32 v9, a107
	v_lshl_add_u32 v0, v0, 4, v1
	buffer_load_dword v1, v9, s[0:3], 0 offen offset:4
	buffer_load_dword v2, v9, s[0:3], 0 offen offset:8
	buffer_load_dword v3, v9, s[0:3], 0 offen offset:12
	buffer_load_dword v4, v0, s[0:3], 0 offen
	buffer_load_dword v5, v0, s[0:3], 0 offen offset:4
	buffer_load_dword v6, v0, s[0:3], 0 offen offset:8
	buffer_load_dword v7, v0, s[0:3], 0 offen offset:12
	buffer_load_dword v8, v9, s[0:3], 0 offen
	s_waitcnt vmcnt(4)
	buffer_store_dword v4, v9, s[0:3], 0 offen
	s_waitcnt vmcnt(4)
	buffer_store_dword v5, v9, s[0:3], 0 offen offset:4
	s_waitcnt vmcnt(4)
	buffer_store_dword v6, v9, s[0:3], 0 offen offset:8
	s_waitcnt vmcnt(4)
	buffer_store_dword v7, v9, s[0:3], 0 offen offset:12
	buffer_store_dword v3, v0, s[0:3], 0 offen offset:12
	buffer_store_dword v2, v0, s[0:3], 0 offen offset:8
	buffer_store_dword v1, v0, s[0:3], 0 offen offset:4
	s_waitcnt vmcnt(7)
	buffer_store_dword v8, v0, s[0:3], 0 offen
.LBB116_334:
	s_or_b64 exec, exec, s[4:5]
	v_pk_mov_b32 v[0:1], s[10:11], s[10:11] op_sel:[0,1]
	flat_load_dword v0, v[0:1] offset:200
	s_waitcnt vmcnt(0) lgkmcnt(0)
	v_add_u32_e32 v0, -1, v0
	v_cmp_ne_u32_e32 vcc, 50, v0
	s_and_saveexec_b64 s[4:5], vcc
	s_cbranch_execz .LBB116_336
; %bb.335:
	v_mov_b32_e32 v1, 16
	v_accvgpr_read_b32 v9, a108
	v_lshl_add_u32 v0, v0, 4, v1
	buffer_load_dword v1, v9, s[0:3], 0 offen offset:4
	buffer_load_dword v2, v9, s[0:3], 0 offen offset:8
	buffer_load_dword v3, v9, s[0:3], 0 offen offset:12
	buffer_load_dword v4, v0, s[0:3], 0 offen
	buffer_load_dword v5, v0, s[0:3], 0 offen offset:4
	buffer_load_dword v6, v0, s[0:3], 0 offen offset:8
	buffer_load_dword v7, v0, s[0:3], 0 offen offset:12
	buffer_load_dword v8, v9, s[0:3], 0 offen
	s_waitcnt vmcnt(4)
	buffer_store_dword v4, v9, s[0:3], 0 offen
	s_waitcnt vmcnt(4)
	buffer_store_dword v5, v9, s[0:3], 0 offen offset:4
	s_waitcnt vmcnt(4)
	buffer_store_dword v6, v9, s[0:3], 0 offen offset:8
	s_waitcnt vmcnt(4)
	buffer_store_dword v7, v9, s[0:3], 0 offen offset:12
	buffer_store_dword v3, v0, s[0:3], 0 offen offset:12
	buffer_store_dword v2, v0, s[0:3], 0 offen offset:8
	buffer_store_dword v1, v0, s[0:3], 0 offen offset:4
	s_waitcnt vmcnt(7)
	buffer_store_dword v8, v0, s[0:3], 0 offen
.LBB116_336:
	s_or_b64 exec, exec, s[4:5]
	;; [unrolled: 34-line block ×51, first 2 shown]
	v_pk_mov_b32 v[0:1], s[10:11], s[10:11] op_sel:[0,1]
	flat_load_dword v0, v[0:1]
	s_waitcnt vmcnt(0) lgkmcnt(0)
	v_add_u32_e32 v0, -1, v0
	v_cmp_ne_u32_e32 vcc, 0, v0
	s_and_saveexec_b64 s[4:5], vcc
	s_cbranch_execz .LBB116_436
; %bb.435:
	v_mov_b32_e32 v1, 16
	v_lshl_add_u32 v0, v0, 4, v1
	buffer_load_dword v1, v0, s[0:3], 0 offen
	buffer_load_dword v2, v0, s[0:3], 0 offen offset:4
	buffer_load_dword v3, v0, s[0:3], 0 offen offset:8
	;; [unrolled: 1-line block ×3, first 2 shown]
	buffer_load_dword v5, off, s[0:3], 0 offset:28
	buffer_load_dword v6, off, s[0:3], 0 offset:24
	buffer_load_dword v7, off, s[0:3], 0 offset:20
	buffer_load_dword v8, off, s[0:3], 0 offset:16
	s_waitcnt vmcnt(7)
	buffer_store_dword v1, off, s[0:3], 0 offset:16
	s_waitcnt vmcnt(7)
	buffer_store_dword v2, off, s[0:3], 0 offset:20
	;; [unrolled: 2-line block ×4, first 2 shown]
	s_waitcnt vmcnt(7)
	buffer_store_dword v5, v0, s[0:3], 0 offen offset:12
	s_waitcnt vmcnt(7)
	buffer_store_dword v6, v0, s[0:3], 0 offen offset:8
	;; [unrolled: 2-line block ×3, first 2 shown]
	s_waitcnt vmcnt(7)
	buffer_store_dword v8, v0, s[0:3], 0 offen
.LBB116_436:
	s_or_b64 exec, exec, s[4:5]
.LBB116_437:
	buffer_load_dword v0, off, s[0:3], 0 offset:16
	buffer_load_dword v1, off, s[0:3], 0 offset:20
	;; [unrolled: 1-line block ×4, first 2 shown]
	v_accvgpr_read_b32 v5, a1
	v_accvgpr_read_b32 v4, a0
	s_waitcnt vmcnt(0)
	global_store_dwordx4 v[4:5], v[0:3], off
	s_nop 0
	v_accvgpr_read_b32 v3, a157
	buffer_load_dword v0, v3, s[0:3], 0 offen
	buffer_load_dword v1, v3, s[0:3], 0 offen offset:4
	buffer_load_dword v2, v3, s[0:3], 0 offen offset:8
	s_nop 0
	buffer_load_dword v3, v3, s[0:3], 0 offen offset:12
	v_accvgpr_read_b32 v5, a3
	v_accvgpr_read_b32 v4, a2
	s_waitcnt vmcnt(0)
	global_store_dwordx4 v[4:5], v[0:3], off
	s_nop 0
	v_accvgpr_read_b32 v3, a156
	buffer_load_dword v0, v3, s[0:3], 0 offen
	buffer_load_dword v1, v3, s[0:3], 0 offen offset:4
	buffer_load_dword v2, v3, s[0:3], 0 offen offset:8
	s_nop 0
	buffer_load_dword v3, v3, s[0:3], 0 offen offset:12
	;; [unrolled: 11-line block ×11, first 2 shown]
	v_accvgpr_read_b32 v4, a22
	v_accvgpr_read_b32 v5, a23
	s_waitcnt vmcnt(0)
	global_store_dwordx4 v[4:5], v[0:3], off
	v_accvgpr_read_b32 v4, a146
	buffer_load_dword v0, v4, s[0:3], 0 offen
	buffer_load_dword v1, v4, s[0:3], 0 offen offset:4
	buffer_load_dword v2, v4, s[0:3], 0 offen offset:8
	buffer_load_dword v3, v4, s[0:3], 0 offen offset:12
	v_accvgpr_read_b32 v4, a24
	v_accvgpr_read_b32 v5, a25
	s_waitcnt vmcnt(0)
	global_store_dwordx4 v[4:5], v[0:3], off
	v_accvgpr_read_b32 v4, a145
	buffer_load_dword v0, v4, s[0:3], 0 offen
	buffer_load_dword v1, v4, s[0:3], 0 offen offset:4
	buffer_load_dword v2, v4, s[0:3], 0 offen offset:8
	buffer_load_dword v3, v4, s[0:3], 0 offen offset:12
	;; [unrolled: 9-line block ×41, first 2 shown]
	v_accvgpr_read_b32 v4, a66
	v_accvgpr_read_b32 v5, a67
	s_waitcnt vmcnt(0)
	global_store_dwordx4 v[4:5], v[0:3], off
	s_endpgm
	.section	.rodata,"a",@progbits
	.p2align	6, 0x0
	.amdhsa_kernel _ZN9rocsolver6v33100L18getri_kernel_smallILi53E19rocblas_complex_numIdEPKPS3_EEvT1_iilPiilS8_bb
		.amdhsa_group_segment_fixed_size 1704
		.amdhsa_private_segment_fixed_size 880
		.amdhsa_kernarg_size 60
		.amdhsa_user_sgpr_count 8
		.amdhsa_user_sgpr_private_segment_buffer 1
		.amdhsa_user_sgpr_dispatch_ptr 0
		.amdhsa_user_sgpr_queue_ptr 0
		.amdhsa_user_sgpr_kernarg_segment_ptr 1
		.amdhsa_user_sgpr_dispatch_id 0
		.amdhsa_user_sgpr_flat_scratch_init 1
		.amdhsa_user_sgpr_kernarg_preload_length 0
		.amdhsa_user_sgpr_kernarg_preload_offset 0
		.amdhsa_user_sgpr_private_segment_size 0
		.amdhsa_uses_dynamic_stack 0
		.amdhsa_system_sgpr_private_segment_wavefront_offset 1
		.amdhsa_system_sgpr_workgroup_id_x 1
		.amdhsa_system_sgpr_workgroup_id_y 0
		.amdhsa_system_sgpr_workgroup_id_z 0
		.amdhsa_system_sgpr_workgroup_info 0
		.amdhsa_system_vgpr_workitem_id 0
		.amdhsa_next_free_vgpr 442
		.amdhsa_next_free_sgpr 22
		.amdhsa_accum_offset 256
		.amdhsa_reserve_vcc 1
		.amdhsa_reserve_flat_scratch 1
		.amdhsa_float_round_mode_32 0
		.amdhsa_float_round_mode_16_64 0
		.amdhsa_float_denorm_mode_32 3
		.amdhsa_float_denorm_mode_16_64 3
		.amdhsa_dx10_clamp 1
		.amdhsa_ieee_mode 1
		.amdhsa_fp16_overflow 0
		.amdhsa_tg_split 0
		.amdhsa_exception_fp_ieee_invalid_op 0
		.amdhsa_exception_fp_denorm_src 0
		.amdhsa_exception_fp_ieee_div_zero 0
		.amdhsa_exception_fp_ieee_overflow 0
		.amdhsa_exception_fp_ieee_underflow 0
		.amdhsa_exception_fp_ieee_inexact 0
		.amdhsa_exception_int_div_zero 0
	.end_amdhsa_kernel
	.section	.text._ZN9rocsolver6v33100L18getri_kernel_smallILi53E19rocblas_complex_numIdEPKPS3_EEvT1_iilPiilS8_bb,"axG",@progbits,_ZN9rocsolver6v33100L18getri_kernel_smallILi53E19rocblas_complex_numIdEPKPS3_EEvT1_iilPiilS8_bb,comdat
.Lfunc_end116:
	.size	_ZN9rocsolver6v33100L18getri_kernel_smallILi53E19rocblas_complex_numIdEPKPS3_EEvT1_iilPiilS8_bb, .Lfunc_end116-_ZN9rocsolver6v33100L18getri_kernel_smallILi53E19rocblas_complex_numIdEPKPS3_EEvT1_iilPiilS8_bb
                                        ; -- End function
	.section	.AMDGPU.csdata,"",@progbits
; Kernel info:
; codeLenInByte = 176404
; NumSgprs: 28
; NumVgprs: 256
; NumAgprs: 186
; TotalNumVgprs: 442
; ScratchSize: 880
; MemoryBound: 0
; FloatMode: 240
; IeeeMode: 1
; LDSByteSize: 1704 bytes/workgroup (compile time only)
; SGPRBlocks: 3
; VGPRBlocks: 55
; NumSGPRsForWavesPerEU: 28
; NumVGPRsForWavesPerEU: 442
; AccumOffset: 256
; Occupancy: 1
; WaveLimiterHint : 1
; COMPUTE_PGM_RSRC2:SCRATCH_EN: 1
; COMPUTE_PGM_RSRC2:USER_SGPR: 8
; COMPUTE_PGM_RSRC2:TRAP_HANDLER: 0
; COMPUTE_PGM_RSRC2:TGID_X_EN: 1
; COMPUTE_PGM_RSRC2:TGID_Y_EN: 0
; COMPUTE_PGM_RSRC2:TGID_Z_EN: 0
; COMPUTE_PGM_RSRC2:TIDIG_COMP_CNT: 0
; COMPUTE_PGM_RSRC3_GFX90A:ACCUM_OFFSET: 63
; COMPUTE_PGM_RSRC3_GFX90A:TG_SPLIT: 0
	.section	.text._ZN9rocsolver6v33100L18getri_kernel_smallILi54E19rocblas_complex_numIdEPKPS3_EEvT1_iilPiilS8_bb,"axG",@progbits,_ZN9rocsolver6v33100L18getri_kernel_smallILi54E19rocblas_complex_numIdEPKPS3_EEvT1_iilPiilS8_bb,comdat
	.globl	_ZN9rocsolver6v33100L18getri_kernel_smallILi54E19rocblas_complex_numIdEPKPS3_EEvT1_iilPiilS8_bb ; -- Begin function _ZN9rocsolver6v33100L18getri_kernel_smallILi54E19rocblas_complex_numIdEPKPS3_EEvT1_iilPiilS8_bb
	.p2align	8
	.type	_ZN9rocsolver6v33100L18getri_kernel_smallILi54E19rocblas_complex_numIdEPKPS3_EEvT1_iilPiilS8_bb,@function
_ZN9rocsolver6v33100L18getri_kernel_smallILi54E19rocblas_complex_numIdEPKPS3_EEvT1_iilPiilS8_bb: ; @_ZN9rocsolver6v33100L18getri_kernel_smallILi54E19rocblas_complex_numIdEPKPS3_EEvT1_iilPiilS8_bb
; %bb.0:
	s_add_u32 flat_scratch_lo, s6, s9
	s_addc_u32 flat_scratch_hi, s7, 0
	s_add_u32 s0, s0, s9
	s_addc_u32 s1, s1, 0
	v_cmp_gt_u32_e32 vcc, 54, v0
	s_and_saveexec_b64 s[6:7], vcc
	s_cbranch_execz .LBB117_230
; %bb.1:
	s_load_dword s18, s[4:5], 0x38
	s_load_dwordx2 s[6:7], s[4:5], 0x0
	s_load_dwordx4 s[12:15], s[4:5], 0x28
	s_waitcnt lgkmcnt(0)
	s_bitcmp1_b32 s18, 8
	s_cselect_b64 s[16:17], -1, 0
	s_ashr_i32 s9, s8, 31
	s_lshl_b64 s[10:11], s[8:9], 3
	s_add_u32 s6, s6, s10
	s_addc_u32 s7, s7, s11
	s_load_dwordx2 s[6:7], s[6:7], 0x0
	s_bfe_u32 s10, s18, 0x10008
	s_cmp_eq_u32 s10, 0
                                        ; implicit-def: $sgpr10_sgpr11
	s_cbranch_scc1 .LBB117_3
; %bb.2:
	s_load_dword s10, s[4:5], 0x20
	s_load_dwordx2 s[20:21], s[4:5], 0x18
	s_mul_i32 s11, s8, s13
	s_mul_hi_u32 s13, s8, s12
	s_add_i32 s13, s13, s11
	s_mul_i32 s19, s9, s12
	s_add_i32 s13, s13, s19
	s_mul_i32 s12, s8, s12
	s_waitcnt lgkmcnt(0)
	s_ashr_i32 s11, s10, 31
	s_lshl_b64 s[12:13], s[12:13], 2
	s_add_u32 s12, s20, s12
	s_addc_u32 s13, s21, s13
	s_lshl_b64 s[10:11], s[10:11], 2
	s_add_u32 s10, s12, s10
	s_addc_u32 s11, s13, s11
.LBB117_3:
	s_load_dwordx2 s[4:5], s[4:5], 0x8
	v_lshlrev_b32_e32 v1, 4, v0
	s_waitcnt lgkmcnt(0)
	s_ashr_i32 s13, s4, 31
	s_mov_b32 s12, s4
	s_lshl_b64 s[12:13], s[12:13], 4
	s_add_u32 s6, s6, s12
	s_addc_u32 s7, s7, s13
	s_add_i32 s4, s5, s5
	v_add_u32_e32 v2, s4, v0
	v_ashrrev_i32_e32 v3, 31, v2
	v_add_u32_e32 v4, s5, v2
	v_lshlrev_b64 v[2:3], 4, v[2:3]
	v_mov_b32_e32 v5, s7
	v_add_co_u32_e32 v28, vcc, s6, v2
	v_addc_co_u32_e32 v29, vcc, v5, v3, vcc
	global_load_dwordx4 v[82:85], v1, s[6:7]
	v_mov_b32_e32 v2, s7
	v_add_co_u32_e32 v32, vcc, s6, v1
	s_mov_b32 s12, s5
	s_ashr_i32 s13, s5, 31
	v_addc_co_u32_e32 v33, vcc, 0, v2, vcc
	s_lshl_b64 s[12:13], s[12:13], 4
	v_mov_b32_e32 v2, s13
	v_add_co_u32_e32 v30, vcc, s12, v32
	v_addc_co_u32_e32 v31, vcc, v33, v2, vcc
	global_load_dwordx4 v[86:89], v[30:31], off
	global_load_dwordx4 v[90:93], v[28:29], off
	v_ashrrev_i32_e32 v5, 31, v4
	v_accvgpr_write_b32 a69, v29
	v_lshlrev_b64 v[2:3], 4, v[4:5]
	v_add_u32_e32 v10, s5, v4
	v_accvgpr_write_b32 a68, v28
	v_mov_b32_e32 v4, s7
	v_add_co_u32_e32 v28, vcc, s6, v2
	v_addc_co_u32_e32 v29, vcc, v4, v3, vcc
	v_ashrrev_i32_e32 v11, 31, v10
	global_load_dwordx4 v[94:97], v[28:29], off
	v_lshlrev_b64 v[2:3], 4, v[10:11]
	v_add_co_u32_e32 v2, vcc, s6, v2
	v_add_u32_e32 v12, s5, v10
	v_addc_co_u32_e32 v3, vcc, v4, v3, vcc
	v_accvgpr_write_b32 a71, v3
	global_load_dwordx4 v[98:101], v[2:3], off
	v_ashrrev_i32_e32 v13, 31, v12
	v_accvgpr_write_b32 a70, v2
	v_lshlrev_b64 v[2:3], 4, v[12:13]
	v_add_co_u32_e32 v10, vcc, s6, v2
	v_add_u32_e32 v14, s5, v12
	v_addc_co_u32_e32 v11, vcc, v4, v3, vcc
	v_ashrrev_i32_e32 v15, 31, v14
	global_load_dwordx4 v[102:105], v[10:11], off
	v_lshlrev_b64 v[2:3], 4, v[14:15]
	v_add_co_u32_e32 v2, vcc, s6, v2
	v_add_u32_e32 v16, s5, v14
	v_addc_co_u32_e32 v3, vcc, v4, v3, vcc
	global_load_dwordx4 v[106:109], v[2:3], off
	v_accvgpr_write_b32 a61, v3
	v_ashrrev_i32_e32 v17, 31, v16
	v_accvgpr_write_b32 a77, v11
	v_accvgpr_write_b32 a60, v2
	v_lshlrev_b64 v[2:3], 4, v[16:17]
	v_accvgpr_write_b32 a76, v10
	v_add_co_u32_e32 v10, vcc, s6, v2
	v_add_u32_e32 v18, s5, v16
	v_addc_co_u32_e32 v11, vcc, v4, v3, vcc
	v_ashrrev_i32_e32 v19, 31, v18
	global_load_dwordx4 v[110:113], v[10:11], off
	v_lshlrev_b64 v[2:3], 4, v[18:19]
	v_add_co_u32_e32 v2, vcc, s6, v2
	v_add_u32_e32 v20, s5, v18
	v_addc_co_u32_e32 v3, vcc, v4, v3, vcc
	global_load_dwordx4 v[114:117], v[2:3], off
	v_add_u32_e32 v22, s5, v20
	v_accvgpr_write_b32 a53, v3
	v_ashrrev_i32_e32 v21, 31, v20
	v_add_u32_e32 v24, s5, v22
	v_accvgpr_write_b32 a63, v11
	v_accvgpr_write_b32 a52, v2
	v_lshlrev_b64 v[2:3], 4, v[20:21]
	v_add_u32_e32 v26, s5, v24
	v_accvgpr_write_b32 a62, v10
	v_add_co_u32_e32 v10, vcc, s6, v2
	v_add_u32_e32 v130, s5, v26
	v_addc_co_u32_e32 v11, vcc, v4, v3, vcc
	v_add_u32_e32 v132, s5, v130
	v_ashrrev_i32_e32 v23, 31, v22
	global_load_dwordx4 v[118:121], v[10:11], off
	v_add_u32_e32 v134, s5, v132
	v_lshlrev_b64 v[2:3], 4, v[22:23]
	v_add_u32_e32 v136, s5, v134
	v_add_co_u32_e32 v2, vcc, s6, v2
	v_add_u32_e32 v78, s5, v136
	v_addc_co_u32_e32 v3, vcc, v4, v3, vcc
	global_load_dwordx4 v[122:125], v[2:3], off
	v_add_u32_e32 v74, s5, v78
	v_accvgpr_write_b32 a41, v3
	v_ashrrev_i32_e32 v25, 31, v24
	v_add_u32_e32 v72, s5, v74
	v_accvgpr_write_b32 a55, v11
	v_accvgpr_write_b32 a40, v2
	v_lshlrev_b64 v[2:3], 4, v[24:25]
	v_add_u32_e32 v70, s5, v72
	v_accvgpr_write_b32 a54, v10
	v_add_co_u32_e32 v10, vcc, s6, v2
	v_add_u32_e32 v68, s5, v70
	v_addc_co_u32_e32 v11, vcc, v4, v3, vcc
	v_add_u32_e32 v66, s5, v68
	v_ashrrev_i32_e32 v27, 31, v26
	global_load_dwordx4 v[126:129], v[10:11], off
	v_add_u32_e32 v64, s5, v66
	v_lshlrev_b64 v[2:3], 4, v[26:27]
	v_add_u32_e32 v62, s5, v64
	v_add_co_u32_e32 v2, vcc, s6, v2
	v_add_u32_e32 v60, s5, v62
	v_accvgpr_write_b32 a43, v11
	v_addc_co_u32_e32 v3, vcc, v4, v3, vcc
	v_add_u32_e32 v58, s5, v60
	v_accvgpr_write_b32 a42, v10
	global_load_dwordx4 v[10:13], v[2:3], off
	v_add_u32_e32 v56, s5, v58
	v_add_u32_e32 v54, s5, v56
	;; [unrolled: 1-line block ×15, first 2 shown]
	v_accvgpr_write_b32 a101, v33
	v_add_u32_e32 v34, s5, v36
	v_accvgpr_write_b32 a100, v32
	v_accvgpr_write_b32 a95, v31
	v_add_u32_e32 v32, s5, v34
	v_accvgpr_write_b32 a94, v30
	;; [unrolled: 3-line block ×3, first 2 shown]
	v_add_u32_e32 v28, s5, v30
	v_add_u32_e32 v26, s5, v28
	v_add_u32_e32 v24, s5, v26
	v_add_u32_e32 v22, s5, v24
	v_add_u32_e32 v20, s5, v22
	v_add_u32_e32 v18, s5, v20
	v_add_u32_e32 v16, s5, v18
	v_accvgpr_write_b32 a35, v3
	v_add_u32_e32 v14, s5, v16
	v_accvgpr_write_b32 a34, v2
	v_add_u32_e32 v2, s5, v14
	v_ashrrev_i32_e32 v3, 31, v2
	v_lshlrev_b64 v[2:3], 4, v[2:3]
	v_add_co_u32_e32 v2, vcc, s6, v2
	v_addc_co_u32_e32 v3, vcc, v4, v3, vcc
	v_accvgpr_write_b32 a0, v2
	v_ashrrev_i32_e32 v131, 31, v130
	v_accvgpr_write_b32 a1, v3
	global_load_dwordx4 v[2:5], v[2:3], off
	s_waitcnt vmcnt(13)
	buffer_store_dword v85, off, s[0:3], 0 offset:28
	buffer_store_dword v84, off, s[0:3], 0 offset:24
	buffer_store_dword v83, off, s[0:3], 0 offset:20
	buffer_store_dword v82, off, s[0:3], 0 offset:16
	s_waitcnt vmcnt(16)
	buffer_store_dword v89, off, s[0:3], 0 offset:44
	buffer_store_dword v88, off, s[0:3], 0 offset:40
	buffer_store_dword v87, off, s[0:3], 0 offset:36
	buffer_store_dword v86, off, s[0:3], 0 offset:32
	;; [unrolled: 5-line block ×12, first 2 shown]
	s_waitcnt vmcnt(49)
	buffer_store_dword v13, off, s[0:3], 0 offset:220
	v_lshlrev_b64 v[82:83], 4, v[130:131]
	v_mov_b32_e32 v7, s7
	v_add_co_u32_e32 v84, vcc, s6, v82
	v_ashrrev_i32_e32 v133, 31, v132
	v_addc_co_u32_e32 v85, vcc, v7, v83, vcc
	v_lshlrev_b64 v[82:83], 4, v[132:133]
	v_add_co_u32_e32 v86, vcc, s6, v82
	v_accvgpr_write_b32 a107, v85
	v_addc_co_u32_e32 v87, vcc, v7, v83, vcc
	v_accvgpr_write_b32 a106, v84
	global_load_dwordx4 v[82:85], v[84:85], off
	v_accvgpr_write_b32 a103, v87
	v_ashrrev_i32_e32 v135, 31, v134
	v_accvgpr_write_b32 a102, v86
	global_load_dwordx4 v[86:89], v[86:87], off
	v_lshlrev_b64 v[90:91], 4, v[134:135]
	v_add_co_u32_e32 v92, vcc, s6, v90
	v_ashrrev_i32_e32 v137, 31, v136
	v_addc_co_u32_e32 v93, vcc, v7, v91, vcc
	v_lshlrev_b64 v[90:91], 4, v[136:137]
	v_add_co_u32_e32 v94, vcc, s6, v90
	v_accvgpr_write_b32 a105, v93
	v_addc_co_u32_e32 v95, vcc, v7, v91, vcc
	v_accvgpr_write_b32 a104, v92
	global_load_dwordx4 v[90:93], v[92:93], off
	v_accvgpr_write_b32 a97, v95
	v_accvgpr_write_b32 a96, v94
	global_load_dwordx4 v[94:97], v[94:95], off
	v_ashrrev_i32_e32 v79, 31, v78
	v_lshlrev_b64 v[78:79], 4, v[78:79]
	v_add_co_u32_e32 v78, vcc, s6, v78
	v_addc_co_u32_e32 v79, vcc, v7, v79, vcc
	v_ashrrev_i32_e32 v75, 31, v74
	global_load_dwordx4 v[98:101], v[78:79], off
	v_lshlrev_b64 v[74:75], 4, v[74:75]
	v_add_co_u32_e32 v74, vcc, s6, v74
	v_addc_co_u32_e32 v75, vcc, v7, v75, vcc
	global_load_dwordx4 v[102:105], v[74:75], off
	v_ashrrev_i32_e32 v73, 31, v72
	v_lshlrev_b64 v[72:73], 4, v[72:73]
	v_add_co_u32_e32 v72, vcc, s6, v72
	v_ashrrev_i32_e32 v71, 31, v70
	v_accvgpr_write_b32 a89, v75
	v_addc_co_u32_e32 v73, vcc, v7, v73, vcc
	v_lshlrev_b64 v[70:71], 4, v[70:71]
	v_accvgpr_write_b32 a88, v74
	v_add_co_u32_e32 v74, vcc, s6, v70
	v_accvgpr_write_b32 a91, v73
	v_addc_co_u32_e32 v75, vcc, v7, v71, vcc
	v_accvgpr_write_b32 a90, v72
	global_load_dwordx4 v[70:73], v[72:73], off
	v_ashrrev_i32_e32 v69, 31, v68
	global_load_dwordx4 v[106:109], v[74:75], off
	v_lshlrev_b64 v[68:69], 4, v[68:69]
	v_add_co_u32_e32 v68, vcc, s6, v68
	v_ashrrev_i32_e32 v67, 31, v66
	v_accvgpr_write_b32 a79, v75
	v_addc_co_u32_e32 v69, vcc, v7, v69, vcc
	v_lshlrev_b64 v[66:67], 4, v[66:67]
	v_accvgpr_write_b32 a78, v74
	v_add_co_u32_e32 v74, vcc, s6, v66
	v_accvgpr_write_b32 a81, v69
	v_addc_co_u32_e32 v75, vcc, v7, v67, vcc
	v_accvgpr_write_b32 a80, v68
	global_load_dwordx4 v[66:69], v[68:69], off
	v_ashrrev_i32_e32 v65, 31, v64
	global_load_dwordx4 v[110:113], v[74:75], off
	;; [unrolled: 14-line block ×5, first 2 shown]
	v_accvgpr_write_b32 a26, v74
	v_lshlrev_b64 v[8:9], 4, v[8:9]
	v_accvgpr_write_b32 a27, v75
	v_add_co_u32_e32 v74, vcc, s6, v8
	v_addc_co_u32_e32 v75, vcc, v7, v9, vcc
	v_ashrrev_i32_e32 v7, 31, v6
	global_load_dwordx4 v[126:129], v[74:75], off
	v_lshlrev_b64 v[6:7], 4, v[6:7]
	v_mov_b32_e32 v8, s7
	v_add_co_u32_e32 v6, vcc, s6, v6
	v_addc_co_u32_e32 v7, vcc, v8, v7, vcc
	global_load_dwordx4 v[130:133], v[6:7], off
	v_accvgpr_write_b32 a19, v7
	v_ashrrev_i32_e32 v81, 31, v80
	v_accvgpr_write_b32 a28, v74
	v_accvgpr_write_b32 a18, v6
	v_lshlrev_b64 v[6:7], 4, v[80:81]
	v_accvgpr_write_b32 a29, v75
	v_add_co_u32_e32 v74, vcc, s6, v6
	v_addc_co_u32_e32 v75, vcc, v8, v7, vcc
	v_ashrrev_i32_e32 v77, 31, v76
	v_accvgpr_write_b32 a20, v74
	v_lshlrev_b64 v[6:7], 4, v[76:77]
	v_accvgpr_write_b32 a21, v75
	global_load_dwordx4 v[74:77], v[74:75], off
	v_add_co_u32_e32 v6, vcc, s6, v6
	v_addc_co_u32_e32 v7, vcc, v8, v7, vcc
	v_accvgpr_write_b32 a13, v7
	v_accvgpr_write_b32 a12, v6
	global_load_dwordx4 v[6:9], v[6:7], off
	v_ashrrev_i32_e32 v53, 31, v52
	buffer_store_dword v12, off, s[0:3], 0 offset:216
	buffer_store_dword v11, off, s[0:3], 0 offset:212
	buffer_store_dword v10, off, s[0:3], 0 offset:208
	s_waitcnt vmcnt(22)
	buffer_store_dword v85, off, s[0:3], 0 offset:236
	buffer_store_dword v84, off, s[0:3], 0 offset:232
	buffer_store_dword v83, off, s[0:3], 0 offset:228
	buffer_store_dword v82, off, s[0:3], 0 offset:224
	s_waitcnt vmcnt(25)
	buffer_store_dword v89, off, s[0:3], 0 offset:252
	;; [unrolled: 5-line block ×15, first 2 shown]
	buffer_store_dword v56, off, s[0:3], 0 offset:456
	buffer_store_dword v55, off, s[0:3], 0 offset:452
	buffer_store_dword v54, off, s[0:3], 0 offset:448
	buffer_store_dword v125, off, s[0:3], 0 offset:476
	buffer_store_dword v124, off, s[0:3], 0 offset:472
	buffer_store_dword v123, off, s[0:3], 0 offset:468
	buffer_store_dword v122, off, s[0:3], 0 offset:464
	buffer_store_dword v129, off, s[0:3], 0 offset:492
	buffer_store_dword v128, off, s[0:3], 0 offset:488
	buffer_store_dword v127, off, s[0:3], 0 offset:484
	buffer_store_dword v126, off, s[0:3], 0 offset:480
	s_waitcnt vmcnt(62)
	buffer_store_dword v133, off, s[0:3], 0 offset:508
	buffer_store_dword v132, off, s[0:3], 0 offset:504
	;; [unrolled: 1-line block ×9, first 2 shown]
	v_lshlrev_b64 v[10:11], 4, v[52:53]
	v_mov_b32_e32 v9, s7
	v_add_co_u32_e32 v12, vcc, s6, v10
	v_ashrrev_i32_e32 v51, 31, v50
	v_addc_co_u32_e32 v13, vcc, v9, v11, vcc
	v_lshlrev_b64 v[10:11], 4, v[50:51]
	v_add_co_u32_e32 v50, vcc, s6, v10
	v_accvgpr_write_b32 a93, v13
	v_addc_co_u32_e32 v51, vcc, v9, v11, vcc
	v_accvgpr_write_b32 a92, v12
	global_load_dwordx4 v[10:13], v[12:13], off
	v_accvgpr_write_b32 a85, v51
	v_ashrrev_i32_e32 v49, 31, v48
	v_accvgpr_write_b32 a84, v50
	global_load_dwordx4 v[50:53], v[50:51], off
	v_lshlrev_b64 v[48:49], 4, v[48:49]
	v_add_co_u32_e32 v48, vcc, s6, v48
	v_ashrrev_i32_e32 v47, 31, v46
	v_addc_co_u32_e32 v49, vcc, v9, v49, vcc
	v_lshlrev_b64 v[46:47], 4, v[46:47]
	v_add_co_u32_e32 v54, vcc, s6, v46
	v_accvgpr_write_b32 a87, v49
	v_addc_co_u32_e32 v55, vcc, v9, v47, vcc
	v_accvgpr_write_b32 a86, v48
	global_load_dwordx4 v[46:49], v[48:49], off
	v_accvgpr_write_b32 a73, v55
	v_ashrrev_i32_e32 v45, 31, v44
	v_accvgpr_write_b32 a72, v54
	global_load_dwordx4 v[54:57], v[54:55], off
	v_lshlrev_b64 v[44:45], 4, v[44:45]
	;; [unrolled: 14-line block ×7, first 2 shown]
	v_add_co_u32_e32 v24, vcc, s6, v24
	v_ashrrev_i32_e32 v23, 31, v22
	v_accvgpr_write_b32 a99, v79
	v_addc_co_u32_e32 v25, vcc, v9, v25, vcc
	v_lshlrev_b64 v[22:23], 4, v[22:23]
	v_accvgpr_write_b32 a98, v78
	v_add_co_u32_e32 v78, vcc, s6, v22
	v_accvgpr_write_b32 a16, v24
	v_addc_co_u32_e32 v79, vcc, v9, v23, vcc
	v_accvgpr_write_b32 a17, v25
	global_load_dwordx4 v[22:25], v[24:25], off
	v_accvgpr_write_b32 a8, v78
	v_ashrrev_i32_e32 v21, 31, v20
	v_accvgpr_write_b32 a9, v79
	global_load_dwordx4 v[78:81], v[78:79], off
	v_lshlrev_b64 v[20:21], 4, v[20:21]
	v_add_co_u32_e32 v20, vcc, s6, v20
	v_ashrrev_i32_e32 v19, 31, v18
	v_addc_co_u32_e32 v21, vcc, v9, v21, vcc
	v_lshlrev_b64 v[18:19], 4, v[18:19]
	v_add_co_u32_e32 v82, vcc, s6, v18
	v_accvgpr_write_b32 a10, v20
	v_addc_co_u32_e32 v83, vcc, v9, v19, vcc
	v_accvgpr_write_b32 a11, v21
	global_load_dwordx4 v[18:21], v[20:21], off
	v_accvgpr_write_b32 a4, v82
	v_accvgpr_write_b32 a5, v83
	global_load_dwordx4 v[82:85], v[82:83], off
	v_ashrrev_i32_e32 v17, 31, v16
	v_lshlrev_b64 v[16:17], 4, v[16:17]
	v_add_co_u32_e32 v16, vcc, s6, v16
	v_addc_co_u32_e32 v17, vcc, v9, v17, vcc
	v_ashrrev_i32_e32 v15, 31, v14
	v_accvgpr_write_b32 a6, v16
	v_lshlrev_b64 v[86:87], 4, v[14:15]
	v_accvgpr_write_b32 a7, v17
	global_load_dwordx4 v[14:17], v[16:17], off
	v_add_co_u32_e32 v86, vcc, s6, v86
	v_addc_co_u32_e32 v87, vcc, v9, v87, vcc
	v_accvgpr_write_b32 a2, v86
	v_accvgpr_write_b32 a3, v87
	global_load_dwordx4 v[86:89], v[86:87], off
	s_nop 0
	buffer_store_dword v8, off, s[0:3], 0 offset:536
	buffer_store_dword v7, off, s[0:3], 0 offset:532
	buffer_store_dword v6, off, s[0:3], 0 offset:528
	s_waitcnt vmcnt(22)
	buffer_store_dword v13, off, s[0:3], 0 offset:556
	buffer_store_dword v12, off, s[0:3], 0 offset:552
	buffer_store_dword v11, off, s[0:3], 0 offset:548
	buffer_store_dword v10, off, s[0:3], 0 offset:544
	s_waitcnt vmcnt(25)
	buffer_store_dword v53, off, s[0:3], 0 offset:572
	;; [unrolled: 5-line block ×15, first 2 shown]
	buffer_store_dword v24, off, s[0:3], 0 offset:776
	buffer_store_dword v23, off, s[0:3], 0 offset:772
	;; [unrolled: 1-line block ×11, first 2 shown]
	s_waitcnt vmcnt(62)
	buffer_store_dword v85, off, s[0:3], 0 offset:828
	buffer_store_dword v84, off, s[0:3], 0 offset:824
	;; [unrolled: 1-line block ×16, first 2 shown]
	v_mov_b32_e32 v2, 16
	v_add_u32_e32 v3, 16, v2
	v_accvgpr_write_b32 a160, v3
	v_add_u32_e32 v3, 32, v2
	v_accvgpr_write_b32 a159, v3
	v_add_u32_e32 v3, 48, v2
	v_accvgpr_write_b32 a158, v3
	v_add_u32_e32 v3, 64, v2
	v_accvgpr_write_b32 a157, v3
	v_add_u32_e32 v3, 0x50, v2
	v_accvgpr_write_b32 a156, v3
	v_add_u32_e32 v3, 0x60, v2
	v_accvgpr_write_b32 a155, v3
	v_add_u32_e32 v3, 0x70, v2
	v_accvgpr_write_b32 a154, v3
	v_add_u32_e32 v3, 0x80, v2
	v_accvgpr_write_b32 a153, v3
	v_add_u32_e32 v3, 0x90, v2
	v_accvgpr_write_b32 a152, v3
	v_add_u32_e32 v3, 0xa0, v2
	v_accvgpr_write_b32 a151, v3
	v_add_u32_e32 v3, 0xb0, v2
	v_accvgpr_write_b32 a150, v3
	v_add_u32_e32 v3, 0xc0, v2
	v_accvgpr_write_b32 a149, v3
	v_add_u32_e32 v3, 0xd0, v2
	v_accvgpr_write_b32 a148, v3
	v_add_u32_e32 v3, 0xe0, v2
	v_accvgpr_write_b32 a147, v3
	v_add_u32_e32 v3, 0xf0, v2
	v_accvgpr_write_b32 a146, v3
	v_add_u32_e32 v3, 0x100, v2
	v_accvgpr_write_b32 a145, v3
	v_add_u32_e32 v3, 0x110, v2
	v_accvgpr_write_b32 a144, v3
	v_add_u32_e32 v3, 0x120, v2
	v_accvgpr_write_b32 a143, v3
	v_add_u32_e32 v3, 0x130, v2
	v_accvgpr_write_b32 a142, v3
	v_add_u32_e32 v3, 0x140, v2
	v_accvgpr_write_b32 a141, v3
	v_add_u32_e32 v3, 0x150, v2
	v_accvgpr_write_b32 a140, v3
	v_add_u32_e32 v3, 0x160, v2
	v_accvgpr_write_b32 a139, v3
	v_add_u32_e32 v3, 0x170, v2
	v_accvgpr_write_b32 a138, v3
	v_add_u32_e32 v3, 0x180, v2
	v_accvgpr_write_b32 a137, v3
	v_add_u32_e32 v3, 0x190, v2
	v_accvgpr_write_b32 a136, v3
	v_add_u32_e32 v3, 0x1a0, v2
	v_accvgpr_write_b32 a135, v3
	v_add_u32_e32 v3, 0x1b0, v2
	v_accvgpr_write_b32 a134, v3
	v_add_u32_e32 v3, 0x1c0, v2
	v_accvgpr_write_b32 a133, v3
	v_add_u32_e32 v3, 0x1d0, v2
	v_accvgpr_write_b32 a132, v3
	v_add_u32_e32 v3, 0x1e0, v2
	v_accvgpr_write_b32 a131, v3
	v_add_u32_e32 v3, 0x1f0, v2
	v_accvgpr_write_b32 a130, v3
	v_add_u32_e32 v3, 0x200, v2
	v_accvgpr_write_b32 a129, v3
	v_add_u32_e32 v3, 0x210, v2
	v_accvgpr_write_b32 a128, v3
	v_add_u32_e32 v3, 0x220, v2
	v_accvgpr_write_b32 a127, v3
	v_add_u32_e32 v3, 0x230, v2
	v_accvgpr_write_b32 a126, v3
	v_add_u32_e32 v3, 0x240, v2
	v_accvgpr_write_b32 a125, v3
	v_add_u32_e32 v3, 0x250, v2
	v_accvgpr_write_b32 a124, v3
	v_add_u32_e32 v3, 0x260, v2
	v_accvgpr_write_b32 a123, v3
	v_add_u32_e32 v3, 0x270, v2
	v_accvgpr_write_b32 a122, v3
	v_add_u32_e32 v3, 0x280, v2
	v_accvgpr_write_b32 a121, v3
	v_add_u32_e32 v3, 0x290, v2
	v_accvgpr_write_b32 a120, v3
	v_add_u32_e32 v3, 0x2a0, v2
	v_accvgpr_write_b32 a119, v3
	v_add_u32_e32 v3, 0x2b0, v2
	v_accvgpr_write_b32 a118, v3
	v_add_u32_e32 v3, 0x2c0, v2
	v_accvgpr_write_b32 a117, v3
	v_add_u32_e32 v3, 0x2d0, v2
	v_accvgpr_write_b32 a116, v3
	v_add_u32_e32 v3, 0x2e0, v2
	v_accvgpr_write_b32 a115, v3
	v_add_u32_e32 v3, 0x2f0, v2
	v_accvgpr_write_b32 a114, v3
	v_add_u32_e32 v3, 0x300, v2
	v_accvgpr_write_b32 a113, v3
	v_add_u32_e32 v3, 0x310, v2
	v_accvgpr_write_b32 a112, v3
	v_add_u32_e32 v3, 0x320, v2
	v_accvgpr_write_b32 a111, v3
	v_add_u32_e32 v3, 0x330, v2
	v_accvgpr_write_b32 a110, v3
	v_add_u32_e32 v3, 0x340, v2
	v_add_u32_e32 v2, 0x350, v2
	s_bitcmp0_b32 s18, 0
	v_accvgpr_write_b32 a109, v3
	v_accvgpr_write_b32 a108, v2
	s_mov_b64 s[6:7], -1
	s_cbranch_scc1 .LBB117_228
; %bb.4:
	v_cmp_eq_u32_e64 s[4:5], 0, v0
	s_and_saveexec_b64 s[6:7], s[4:5]
	s_cbranch_execz .LBB117_6
; %bb.5:
	v_mov_b32_e32 v2, 0
	ds_write_b32 v2, v2 offset:1728
.LBB117_6:
	s_or_b64 exec, exec, s[6:7]
	v_mov_b32_e32 v2, 16
	v_lshl_add_u32 v12, v0, 4, v2
	s_waitcnt lgkmcnt(0)
	; wave barrier
	s_waitcnt lgkmcnt(0)
	buffer_load_dword v2, v12, s[0:3], 0 offen
	buffer_load_dword v3, v12, s[0:3], 0 offen offset:4
	buffer_load_dword v4, v12, s[0:3], 0 offen offset:8
	;; [unrolled: 1-line block ×3, first 2 shown]
	s_waitcnt vmcnt(2)
	v_cmp_eq_f64_e32 vcc, 0, v[2:3]
	s_waitcnt vmcnt(0)
	v_cmp_eq_f64_e64 s[6:7], 0, v[4:5]
	s_and_b64 s[6:7], vcc, s[6:7]
	s_and_saveexec_b64 s[12:13], s[6:7]
	s_cbranch_execz .LBB117_10
; %bb.7:
	v_mov_b32_e32 v2, 0
	ds_read_b32 v4, v2 offset:1728
	v_add_u32_e32 v3, 1, v0
	s_waitcnt lgkmcnt(0)
	v_readfirstlane_b32 s6, v4
	s_cmp_eq_u32 s6, 0
	s_cselect_b64 s[18:19], -1, 0
	v_cmp_gt_i32_e32 vcc, s6, v3
	s_or_b64 s[18:19], s[18:19], vcc
	s_and_b64 exec, exec, s[18:19]
	s_cbranch_execz .LBB117_10
; %bb.8:
	s_mov_b64 s[18:19], 0
	v_mov_b32_e32 v4, s6
.LBB117_9:                              ; =>This Inner Loop Header: Depth=1
	ds_cmpst_rtn_b32 v4, v2, v4, v3 offset:1728
	s_waitcnt lgkmcnt(0)
	v_cmp_ne_u32_e32 vcc, 0, v4
	v_cmp_le_i32_e64 s[6:7], v4, v3
	s_and_b64 s[6:7], vcc, s[6:7]
	s_and_b64 s[6:7], exec, s[6:7]
	s_or_b64 s[18:19], s[6:7], s[18:19]
	s_andn2_b64 exec, exec, s[18:19]
	s_cbranch_execnz .LBB117_9
.LBB117_10:
	s_or_b64 exec, exec, s[12:13]
	v_mov_b32_e32 v3, 0
	s_waitcnt lgkmcnt(0)
	; wave barrier
	ds_read_b32 v2, v3 offset:1728
	s_and_saveexec_b64 s[6:7], s[4:5]
	s_cbranch_execz .LBB117_12
; %bb.11:
	s_lshl_b64 s[12:13], s[8:9], 2
	s_add_u32 s12, s14, s12
	s_addc_u32 s13, s15, s13
	s_waitcnt lgkmcnt(0)
	global_store_dword v3, v2, s[12:13]
.LBB117_12:
	s_or_b64 exec, exec, s[6:7]
	s_waitcnt lgkmcnt(0)
	v_cmp_ne_u32_e32 vcc, 0, v2
	s_mov_b64 s[6:7], 0
	s_cbranch_vccnz .LBB117_228
; %bb.13:
	buffer_load_dword v7, v12, s[0:3], 0 offen offset:4
	buffer_load_dword v6, v12, s[0:3], 0 offen
	buffer_load_dword v9, v12, s[0:3], 0 offen offset:12
	buffer_load_dword v8, v12, s[0:3], 0 offen offset:8
                                        ; implicit-def: $vgpr10_vgpr11
	s_waitcnt vmcnt(3)
	v_xor_b32_e32 v3, 0x80000000, v7
	s_waitcnt vmcnt(2)
	v_cmp_gt_f64_e32 vcc, 0, v[6:7]
	s_waitcnt vmcnt(1)
	v_xor_b32_e32 v4, 0x80000000, v9
	v_cndmask_b32_e32 v3, v7, v3, vcc
	s_waitcnt vmcnt(0)
	v_cmp_gt_f64_e32 vcc, 0, v[8:9]
	v_mov_b32_e32 v2, v6
	v_cndmask_b32_e32 v5, v9, v4, vcc
	v_mov_b32_e32 v4, v8
	v_cmp_ngt_f64_e32 vcc, v[2:3], v[4:5]
                                        ; implicit-def: $vgpr4_vgpr5
	s_and_saveexec_b64 s[6:7], vcc
	s_xor_b64 s[6:7], exec, s[6:7]
	s_cbranch_execz .LBB117_15
; %bb.14:
	v_div_scale_f64 v[2:3], s[12:13], v[8:9], v[8:9], v[6:7]
	v_rcp_f64_e32 v[4:5], v[2:3]
	v_div_scale_f64 v[10:11], vcc, v[6:7], v[8:9], v[6:7]
	v_fma_f64 v[14:15], -v[2:3], v[4:5], 1.0
	v_fmac_f64_e32 v[4:5], v[4:5], v[14:15]
	v_fma_f64 v[14:15], -v[2:3], v[4:5], 1.0
	v_fmac_f64_e32 v[4:5], v[4:5], v[14:15]
	v_mul_f64 v[14:15], v[10:11], v[4:5]
	v_fma_f64 v[2:3], -v[2:3], v[14:15], v[10:11]
	v_div_fmas_f64 v[2:3], v[2:3], v[4:5], v[14:15]
	v_div_fixup_f64 v[2:3], v[2:3], v[8:9], v[6:7]
	v_fmac_f64_e32 v[8:9], v[6:7], v[2:3]
	v_div_scale_f64 v[4:5], s[12:13], v[8:9], v[8:9], 1.0
	v_rcp_f64_e32 v[6:7], v[4:5]
	v_fma_f64 v[10:11], -v[4:5], v[6:7], 1.0
	v_fmac_f64_e32 v[6:7], v[6:7], v[10:11]
	v_fma_f64 v[10:11], -v[4:5], v[6:7], 1.0
	v_fmac_f64_e32 v[6:7], v[6:7], v[10:11]
	v_div_scale_f64 v[10:11], vcc, 1.0, v[8:9], 1.0
	v_mul_f64 v[14:15], v[10:11], v[6:7]
	v_fma_f64 v[4:5], -v[4:5], v[14:15], v[10:11]
	s_nop 1
	v_div_fmas_f64 v[4:5], v[4:5], v[6:7], v[14:15]
	v_div_fixup_f64 v[4:5], v[4:5], v[8:9], 1.0
	v_mul_f64 v[10:11], v[2:3], v[4:5]
	v_xor_b32_e32 v5, 0x80000000, v5
	v_xor_b32_e32 v3, 0x80000000, v11
	v_mov_b32_e32 v2, v10
                                        ; implicit-def: $vgpr6_vgpr7
                                        ; implicit-def: $vgpr8_vgpr9
.LBB117_15:
	s_andn2_saveexec_b64 s[6:7], s[6:7]
	s_cbranch_execz .LBB117_17
; %bb.16:
	v_div_scale_f64 v[2:3], s[12:13], v[6:7], v[6:7], v[8:9]
	v_rcp_f64_e32 v[4:5], v[2:3]
	v_div_scale_f64 v[10:11], vcc, v[8:9], v[6:7], v[8:9]
	v_fma_f64 v[14:15], -v[2:3], v[4:5], 1.0
	v_fmac_f64_e32 v[4:5], v[4:5], v[14:15]
	v_fma_f64 v[14:15], -v[2:3], v[4:5], 1.0
	v_fmac_f64_e32 v[4:5], v[4:5], v[14:15]
	v_mul_f64 v[14:15], v[10:11], v[4:5]
	v_fma_f64 v[2:3], -v[2:3], v[14:15], v[10:11]
	v_div_fmas_f64 v[2:3], v[2:3], v[4:5], v[14:15]
	v_div_fixup_f64 v[4:5], v[2:3], v[6:7], v[8:9]
	v_fmac_f64_e32 v[6:7], v[8:9], v[4:5]
	v_div_scale_f64 v[2:3], s[12:13], v[6:7], v[6:7], 1.0
	v_rcp_f64_e32 v[8:9], v[2:3]
	v_fma_f64 v[10:11], -v[2:3], v[8:9], 1.0
	v_fmac_f64_e32 v[8:9], v[8:9], v[10:11]
	v_fma_f64 v[10:11], -v[2:3], v[8:9], 1.0
	v_fmac_f64_e32 v[8:9], v[8:9], v[10:11]
	v_div_scale_f64 v[10:11], vcc, 1.0, v[6:7], 1.0
	v_mul_f64 v[14:15], v[10:11], v[8:9]
	v_fma_f64 v[2:3], -v[2:3], v[14:15], v[10:11]
	s_nop 1
	v_div_fmas_f64 v[2:3], v[2:3], v[8:9], v[14:15]
	v_div_fixup_f64 v[10:11], v[2:3], v[6:7], 1.0
	v_xor_b32_e32 v3, 0x80000000, v11
	v_mov_b32_e32 v2, v10
	v_mul_f64 v[4:5], v[4:5], -v[10:11]
.LBB117_17:
	s_or_b64 exec, exec, s[6:7]
	buffer_store_dword v11, v12, s[0:3], 0 offen offset:4
	buffer_store_dword v10, v12, s[0:3], 0 offen
	buffer_store_dword v5, v12, s[0:3], 0 offen offset:12
	buffer_store_dword v4, v12, s[0:3], 0 offen offset:8
	v_accvgpr_read_b32 v6, a160
	buffer_load_dword v11, v6, s[0:3], 0 offen offset:12
	buffer_load_dword v10, v6, s[0:3], 0 offen offset:8
	;; [unrolled: 1-line block ×3, first 2 shown]
	buffer_load_dword v8, v6, s[0:3], 0 offen
	v_xor_b32_e32 v5, 0x80000000, v5
	v_add_u32_e32 v6, 0x360, v1
	ds_write_b128 v1, v[2:5]
	s_waitcnt vmcnt(0)
	ds_write_b128 v1, v[8:11] offset:864
	s_waitcnt lgkmcnt(0)
	; wave barrier
	s_waitcnt lgkmcnt(0)
	s_and_saveexec_b64 s[6:7], s[4:5]
	s_cbranch_execz .LBB117_19
; %bb.18:
	buffer_load_dword v14, v12, s[0:3], 0 offen offset:8
	buffer_load_dword v15, v12, s[0:3], 0 offen offset:12
	buffer_load_dword v16, v12, s[0:3], 0 offen
	buffer_load_dword v17, v12, s[0:3], 0 offen offset:4
	ds_read_b128 v[2:5], v6
	v_mov_b32_e32 v7, 0
	ds_read_b128 v[8:11], v7 offset:16
	s_waitcnt vmcnt(2) lgkmcnt(1)
	v_mul_f64 v[18:19], v[4:5], v[14:15]
	v_mul_f64 v[14:15], v[2:3], v[14:15]
	s_waitcnt vmcnt(0)
	v_fmac_f64_e32 v[14:15], v[4:5], v[16:17]
	v_fma_f64 v[2:3], v[2:3], v[16:17], -v[18:19]
	v_add_f64 v[4:5], v[14:15], 0
	v_add_f64 v[2:3], v[2:3], 0
	s_waitcnt lgkmcnt(0)
	v_mul_f64 v[14:15], v[4:5], v[10:11]
	v_mul_f64 v[10:11], v[2:3], v[10:11]
	v_fma_f64 v[2:3], v[2:3], v[8:9], -v[14:15]
	v_fmac_f64_e32 v[10:11], v[4:5], v[8:9]
	buffer_store_dword v2, off, s[0:3], 0 offset:32
	buffer_store_dword v3, off, s[0:3], 0 offset:36
	;; [unrolled: 1-line block ×4, first 2 shown]
.LBB117_19:
	s_or_b64 exec, exec, s[6:7]
	v_accvgpr_read_b32 v5, a159
	s_waitcnt lgkmcnt(0)
	; wave barrier
	buffer_load_dword v2, v5, s[0:3], 0 offen
	buffer_load_dword v3, v5, s[0:3], 0 offen offset:4
	buffer_load_dword v4, v5, s[0:3], 0 offen offset:8
	s_nop 0
	buffer_load_dword v5, v5, s[0:3], 0 offen offset:12
	v_cmp_gt_u32_e32 vcc, 2, v0
	s_waitcnt vmcnt(0)
	ds_write_b128 v6, v[2:5]
	s_waitcnt lgkmcnt(0)
	; wave barrier
	s_waitcnt lgkmcnt(0)
	s_and_saveexec_b64 s[6:7], vcc
	s_cbranch_execz .LBB117_23
; %bb.20:
	buffer_load_dword v8, v12, s[0:3], 0 offen offset:8
	buffer_load_dword v9, v12, s[0:3], 0 offen offset:12
	buffer_load_dword v10, v12, s[0:3], 0 offen
	buffer_load_dword v11, v12, s[0:3], 0 offen offset:4
	ds_read_b128 v[2:5], v6
	s_waitcnt vmcnt(2) lgkmcnt(0)
	v_mul_f64 v[12:13], v[4:5], v[8:9]
	v_mul_f64 v[8:9], v[2:3], v[8:9]
	s_waitcnt vmcnt(0)
	v_fma_f64 v[2:3], v[2:3], v[10:11], -v[12:13]
	v_fmac_f64_e32 v[8:9], v[4:5], v[10:11]
	v_add_f64 v[4:5], v[2:3], 0
	v_add_f64 v[2:3], v[8:9], 0
	s_and_saveexec_b64 s[12:13], s[4:5]
	s_cbranch_execz .LBB117_22
; %bb.21:
	buffer_load_dword v12, off, s[0:3], 0 offset:40
	buffer_load_dword v13, off, s[0:3], 0 offset:44
	;; [unrolled: 1-line block ×4, first 2 shown]
	v_mov_b32_e32 v7, 0
	ds_read_b128 v[8:11], v7 offset:880
	s_waitcnt vmcnt(2) lgkmcnt(0)
	v_mul_f64 v[16:17], v[8:9], v[12:13]
	v_mul_f64 v[12:13], v[10:11], v[12:13]
	s_waitcnt vmcnt(0)
	v_fmac_f64_e32 v[16:17], v[10:11], v[14:15]
	v_fma_f64 v[8:9], v[8:9], v[14:15], -v[12:13]
	v_add_f64 v[2:3], v[2:3], v[16:17]
	v_add_f64 v[4:5], v[4:5], v[8:9]
.LBB117_22:
	s_or_b64 exec, exec, s[12:13]
	v_mov_b32_e32 v7, 0
	ds_read_b128 v[8:11], v7 offset:32
	s_waitcnt lgkmcnt(0)
	v_mul_f64 v[12:13], v[2:3], v[10:11]
	v_mul_f64 v[10:11], v[4:5], v[10:11]
	v_fma_f64 v[4:5], v[4:5], v[8:9], -v[12:13]
	v_fmac_f64_e32 v[10:11], v[2:3], v[8:9]
	buffer_store_dword v5, off, s[0:3], 0 offset:52
	buffer_store_dword v4, off, s[0:3], 0 offset:48
	;; [unrolled: 1-line block ×4, first 2 shown]
.LBB117_23:
	s_or_b64 exec, exec, s[6:7]
	v_accvgpr_read_b32 v5, a158
	s_waitcnt lgkmcnt(0)
	; wave barrier
	buffer_load_dword v2, v5, s[0:3], 0 offen
	buffer_load_dword v3, v5, s[0:3], 0 offen offset:4
	buffer_load_dword v4, v5, s[0:3], 0 offen offset:8
	s_nop 0
	buffer_load_dword v5, v5, s[0:3], 0 offen offset:12
	v_cmp_gt_u32_e32 vcc, 3, v0
	v_add_u32_e32 v7, -1, v0
	s_waitcnt vmcnt(0)
	ds_write_b128 v6, v[2:5]
	s_waitcnt lgkmcnt(0)
	; wave barrier
	s_waitcnt lgkmcnt(0)
	s_and_saveexec_b64 s[4:5], vcc
	s_cbranch_execz .LBB117_27
; %bb.24:
	v_pk_mov_b32 v[2:3], 0, 0
	v_add_u32_e32 v8, -1, v0
	v_add_u32_e32 v9, 0x360, v1
	v_add_u32_e32 v10, 16, v1
	s_mov_b64 s[6:7], 0
	v_pk_mov_b32 v[4:5], v[2:3], v[2:3] op_sel:[0,1]
.LBB117_25:                             ; =>This Inner Loop Header: Depth=1
	buffer_load_dword v16, v10, s[0:3], 0 offen offset:8
	buffer_load_dword v17, v10, s[0:3], 0 offen offset:12
	buffer_load_dword v18, v10, s[0:3], 0 offen
	buffer_load_dword v19, v10, s[0:3], 0 offen offset:4
	ds_read_b128 v[12:15], v9
	v_add_u32_e32 v8, 1, v8
	v_cmp_lt_u32_e32 vcc, 1, v8
	v_add_u32_e32 v9, 16, v9
	v_add_u32_e32 v10, 16, v10
	s_or_b64 s[6:7], vcc, s[6:7]
	s_waitcnt vmcnt(2) lgkmcnt(0)
	v_mul_f64 v[20:21], v[14:15], v[16:17]
	v_mul_f64 v[16:17], v[12:13], v[16:17]
	s_waitcnt vmcnt(0)
	v_fma_f64 v[12:13], v[12:13], v[18:19], -v[20:21]
	v_fmac_f64_e32 v[16:17], v[14:15], v[18:19]
	v_add_f64 v[4:5], v[4:5], v[12:13]
	v_add_f64 v[2:3], v[2:3], v[16:17]
	s_andn2_b64 exec, exec, s[6:7]
	s_cbranch_execnz .LBB117_25
; %bb.26:
	s_or_b64 exec, exec, s[6:7]
	v_mov_b32_e32 v8, 0
	ds_read_b128 v[8:11], v8 offset:48
	s_waitcnt lgkmcnt(0)
	v_mul_f64 v[12:13], v[2:3], v[10:11]
	v_mul_f64 v[10:11], v[4:5], v[10:11]
	v_fma_f64 v[4:5], v[4:5], v[8:9], -v[12:13]
	v_fmac_f64_e32 v[10:11], v[2:3], v[8:9]
	buffer_store_dword v5, off, s[0:3], 0 offset:68
	buffer_store_dword v4, off, s[0:3], 0 offset:64
	buffer_store_dword v11, off, s[0:3], 0 offset:76
	buffer_store_dword v10, off, s[0:3], 0 offset:72
.LBB117_27:
	s_or_b64 exec, exec, s[4:5]
	v_accvgpr_read_b32 v5, a157
	s_waitcnt lgkmcnt(0)
	; wave barrier
	buffer_load_dword v2, v5, s[0:3], 0 offen
	buffer_load_dword v3, v5, s[0:3], 0 offen offset:4
	buffer_load_dword v4, v5, s[0:3], 0 offen offset:8
	s_nop 0
	buffer_load_dword v5, v5, s[0:3], 0 offen offset:12
	v_cmp_gt_u32_e32 vcc, 4, v0
	s_waitcnt vmcnt(0)
	ds_write_b128 v6, v[2:5]
	s_waitcnt lgkmcnt(0)
	; wave barrier
	s_waitcnt lgkmcnt(0)
	s_and_saveexec_b64 s[4:5], vcc
	s_cbranch_execz .LBB117_31
; %bb.28:
	v_pk_mov_b32 v[2:3], 0, 0
	v_add_u32_e32 v8, -1, v0
	v_add_u32_e32 v9, 0x360, v1
	v_add_u32_e32 v10, 16, v1
	s_mov_b64 s[6:7], 0
	v_pk_mov_b32 v[4:5], v[2:3], v[2:3] op_sel:[0,1]
.LBB117_29:                             ; =>This Inner Loop Header: Depth=1
	buffer_load_dword v16, v10, s[0:3], 0 offen offset:8
	buffer_load_dword v17, v10, s[0:3], 0 offen offset:12
	buffer_load_dword v18, v10, s[0:3], 0 offen
	buffer_load_dword v19, v10, s[0:3], 0 offen offset:4
	ds_read_b128 v[12:15], v9
	v_add_u32_e32 v8, 1, v8
	v_cmp_lt_u32_e32 vcc, 2, v8
	v_add_u32_e32 v9, 16, v9
	v_add_u32_e32 v10, 16, v10
	s_or_b64 s[6:7], vcc, s[6:7]
	s_waitcnt vmcnt(2) lgkmcnt(0)
	v_mul_f64 v[20:21], v[14:15], v[16:17]
	v_mul_f64 v[16:17], v[12:13], v[16:17]
	s_waitcnt vmcnt(0)
	v_fma_f64 v[12:13], v[12:13], v[18:19], -v[20:21]
	v_fmac_f64_e32 v[16:17], v[14:15], v[18:19]
	v_add_f64 v[4:5], v[4:5], v[12:13]
	v_add_f64 v[2:3], v[2:3], v[16:17]
	s_andn2_b64 exec, exec, s[6:7]
	s_cbranch_execnz .LBB117_29
; %bb.30:
	s_or_b64 exec, exec, s[6:7]
	v_mov_b32_e32 v8, 0
	ds_read_b128 v[8:11], v8 offset:64
	s_waitcnt lgkmcnt(0)
	v_mul_f64 v[12:13], v[2:3], v[10:11]
	v_mul_f64 v[10:11], v[4:5], v[10:11]
	v_fma_f64 v[4:5], v[4:5], v[8:9], -v[12:13]
	v_fmac_f64_e32 v[10:11], v[2:3], v[8:9]
	buffer_store_dword v5, off, s[0:3], 0 offset:84
	buffer_store_dword v4, off, s[0:3], 0 offset:80
	buffer_store_dword v11, off, s[0:3], 0 offset:92
	buffer_store_dword v10, off, s[0:3], 0 offset:88
.LBB117_31:
	s_or_b64 exec, exec, s[4:5]
	v_accvgpr_read_b32 v5, a156
	s_waitcnt lgkmcnt(0)
	; wave barrier
	buffer_load_dword v2, v5, s[0:3], 0 offen
	buffer_load_dword v3, v5, s[0:3], 0 offen offset:4
	buffer_load_dword v4, v5, s[0:3], 0 offen offset:8
	s_nop 0
	buffer_load_dword v5, v5, s[0:3], 0 offen offset:12
	v_cmp_gt_u32_e32 vcc, 5, v0
	;; [unrolled: 59-line block ×19, first 2 shown]
	s_waitcnt vmcnt(0)
	ds_write_b128 v6, v[2:5]
	s_waitcnt lgkmcnt(0)
	; wave barrier
	s_waitcnt lgkmcnt(0)
	s_and_saveexec_b64 s[4:5], vcc
	s_cbranch_execz .LBB117_103
; %bb.100:
	v_pk_mov_b32 v[2:3], 0, 0
	v_add_u32_e32 v8, -1, v0
	v_add_u32_e32 v9, 0x360, v1
	v_add_u32_e32 v10, 16, v1
	s_mov_b64 s[6:7], 0
	v_pk_mov_b32 v[4:5], v[2:3], v[2:3] op_sel:[0,1]
.LBB117_101:                            ; =>This Inner Loop Header: Depth=1
	buffer_load_dword v16, v10, s[0:3], 0 offen offset:8
	buffer_load_dword v17, v10, s[0:3], 0 offen offset:12
	buffer_load_dword v18, v10, s[0:3], 0 offen
	buffer_load_dword v19, v10, s[0:3], 0 offen offset:4
	ds_read_b128 v[12:15], v9
	v_add_u32_e32 v8, 1, v8
	v_cmp_lt_u32_e32 vcc, 20, v8
	v_add_u32_e32 v9, 16, v9
	v_add_u32_e32 v10, 16, v10
	s_or_b64 s[6:7], vcc, s[6:7]
	s_waitcnt vmcnt(2) lgkmcnt(0)
	v_mul_f64 v[20:21], v[14:15], v[16:17]
	v_mul_f64 v[16:17], v[12:13], v[16:17]
	s_waitcnt vmcnt(0)
	v_fma_f64 v[12:13], v[12:13], v[18:19], -v[20:21]
	v_fmac_f64_e32 v[16:17], v[14:15], v[18:19]
	v_add_f64 v[4:5], v[4:5], v[12:13]
	v_add_f64 v[2:3], v[2:3], v[16:17]
	s_andn2_b64 exec, exec, s[6:7]
	s_cbranch_execnz .LBB117_101
; %bb.102:
	s_or_b64 exec, exec, s[6:7]
	v_mov_b32_e32 v8, 0
	ds_read_b128 v[8:11], v8 offset:352
	s_waitcnt lgkmcnt(0)
	v_mul_f64 v[12:13], v[2:3], v[10:11]
	v_mul_f64 v[10:11], v[4:5], v[10:11]
	v_fma_f64 v[4:5], v[4:5], v[8:9], -v[12:13]
	v_fmac_f64_e32 v[10:11], v[2:3], v[8:9]
	buffer_store_dword v5, off, s[0:3], 0 offset:372
	buffer_store_dword v4, off, s[0:3], 0 offset:368
	buffer_store_dword v11, off, s[0:3], 0 offset:380
	buffer_store_dword v10, off, s[0:3], 0 offset:376
.LBB117_103:
	s_or_b64 exec, exec, s[4:5]
	v_accvgpr_read_b32 v5, a138
	s_waitcnt lgkmcnt(0)
	; wave barrier
	buffer_load_dword v2, v5, s[0:3], 0 offen
	buffer_load_dword v3, v5, s[0:3], 0 offen offset:4
	buffer_load_dword v4, v5, s[0:3], 0 offen offset:8
	s_nop 0
	buffer_load_dword v5, v5, s[0:3], 0 offen offset:12
	v_cmp_gt_u32_e32 vcc, 23, v0
	s_waitcnt vmcnt(0)
	ds_write_b128 v6, v[2:5]
	s_waitcnt lgkmcnt(0)
	; wave barrier
	s_waitcnt lgkmcnt(0)
	s_and_saveexec_b64 s[4:5], vcc
	s_cbranch_execz .LBB117_107
; %bb.104:
	v_pk_mov_b32 v[2:3], 0, 0
	v_add_u32_e32 v8, -1, v0
	v_add_u32_e32 v9, 0x360, v1
	v_add_u32_e32 v10, 16, v1
	s_mov_b64 s[6:7], 0
	v_pk_mov_b32 v[4:5], v[2:3], v[2:3] op_sel:[0,1]
.LBB117_105:                            ; =>This Inner Loop Header: Depth=1
	buffer_load_dword v16, v10, s[0:3], 0 offen offset:8
	buffer_load_dword v17, v10, s[0:3], 0 offen offset:12
	buffer_load_dword v18, v10, s[0:3], 0 offen
	buffer_load_dword v19, v10, s[0:3], 0 offen offset:4
	ds_read_b128 v[12:15], v9
	v_add_u32_e32 v8, 1, v8
	v_cmp_lt_u32_e32 vcc, 21, v8
	v_add_u32_e32 v9, 16, v9
	v_add_u32_e32 v10, 16, v10
	s_or_b64 s[6:7], vcc, s[6:7]
	s_waitcnt vmcnt(2) lgkmcnt(0)
	v_mul_f64 v[20:21], v[14:15], v[16:17]
	v_mul_f64 v[16:17], v[12:13], v[16:17]
	s_waitcnt vmcnt(0)
	v_fma_f64 v[12:13], v[12:13], v[18:19], -v[20:21]
	v_fmac_f64_e32 v[16:17], v[14:15], v[18:19]
	v_add_f64 v[4:5], v[4:5], v[12:13]
	v_add_f64 v[2:3], v[2:3], v[16:17]
	s_andn2_b64 exec, exec, s[6:7]
	s_cbranch_execnz .LBB117_105
; %bb.106:
	s_or_b64 exec, exec, s[6:7]
	v_mov_b32_e32 v8, 0
	ds_read_b128 v[8:11], v8 offset:368
	s_waitcnt lgkmcnt(0)
	v_mul_f64 v[12:13], v[2:3], v[10:11]
	v_mul_f64 v[10:11], v[4:5], v[10:11]
	v_fma_f64 v[4:5], v[4:5], v[8:9], -v[12:13]
	v_fmac_f64_e32 v[10:11], v[2:3], v[8:9]
	buffer_store_dword v5, off, s[0:3], 0 offset:388
	buffer_store_dword v4, off, s[0:3], 0 offset:384
	buffer_store_dword v11, off, s[0:3], 0 offset:396
	buffer_store_dword v10, off, s[0:3], 0 offset:392
.LBB117_107:
	s_or_b64 exec, exec, s[4:5]
	v_accvgpr_read_b32 v5, a137
	s_waitcnt lgkmcnt(0)
	; wave barrier
	buffer_load_dword v2, v5, s[0:3], 0 offen
	buffer_load_dword v3, v5, s[0:3], 0 offen offset:4
	buffer_load_dword v4, v5, s[0:3], 0 offen offset:8
	s_nop 0
	buffer_load_dword v5, v5, s[0:3], 0 offen offset:12
	v_cmp_gt_u32_e32 vcc, 24, v0
	;; [unrolled: 59-line block ×30, first 2 shown]
	s_waitcnt vmcnt(0)
	ds_write_b128 v6, v[2:5]
	s_waitcnt lgkmcnt(0)
	; wave barrier
	s_waitcnt lgkmcnt(0)
	s_and_saveexec_b64 s[4:5], vcc
	s_cbranch_execz .LBB117_223
; %bb.220:
	v_pk_mov_b32 v[2:3], 0, 0
	v_add_u32_e32 v8, -1, v0
	v_add_u32_e32 v9, 0x360, v1
	v_add_u32_e32 v10, 16, v1
	s_mov_b64 s[6:7], 0
	v_pk_mov_b32 v[4:5], v[2:3], v[2:3] op_sel:[0,1]
.LBB117_221:                            ; =>This Inner Loop Header: Depth=1
	buffer_load_dword v16, v10, s[0:3], 0 offen offset:8
	buffer_load_dword v17, v10, s[0:3], 0 offen offset:12
	buffer_load_dword v18, v10, s[0:3], 0 offen
	buffer_load_dword v19, v10, s[0:3], 0 offen offset:4
	ds_read_b128 v[12:15], v9
	v_add_u32_e32 v8, 1, v8
	v_cmp_lt_u32_e32 vcc, 50, v8
	v_add_u32_e32 v9, 16, v9
	v_add_u32_e32 v10, 16, v10
	s_or_b64 s[6:7], vcc, s[6:7]
	s_waitcnt vmcnt(2) lgkmcnt(0)
	v_mul_f64 v[20:21], v[14:15], v[16:17]
	v_mul_f64 v[16:17], v[12:13], v[16:17]
	s_waitcnt vmcnt(0)
	v_fma_f64 v[12:13], v[12:13], v[18:19], -v[20:21]
	v_fmac_f64_e32 v[16:17], v[14:15], v[18:19]
	v_add_f64 v[4:5], v[4:5], v[12:13]
	v_add_f64 v[2:3], v[2:3], v[16:17]
	s_andn2_b64 exec, exec, s[6:7]
	s_cbranch_execnz .LBB117_221
; %bb.222:
	s_or_b64 exec, exec, s[6:7]
	v_mov_b32_e32 v8, 0
	ds_read_b128 v[8:11], v8 offset:832
	s_waitcnt lgkmcnt(0)
	v_mul_f64 v[12:13], v[2:3], v[10:11]
	v_mul_f64 v[10:11], v[4:5], v[10:11]
	v_fma_f64 v[4:5], v[4:5], v[8:9], -v[12:13]
	v_fmac_f64_e32 v[10:11], v[2:3], v[8:9]
	buffer_store_dword v5, off, s[0:3], 0 offset:852
	buffer_store_dword v4, off, s[0:3], 0 offset:848
	;; [unrolled: 1-line block ×4, first 2 shown]
.LBB117_223:
	s_or_b64 exec, exec, s[4:5]
	v_accvgpr_read_b32 v5, a108
	s_waitcnt lgkmcnt(0)
	; wave barrier
	buffer_load_dword v2, v5, s[0:3], 0 offen
	buffer_load_dword v3, v5, s[0:3], 0 offen offset:4
	buffer_load_dword v4, v5, s[0:3], 0 offen offset:8
	s_nop 0
	buffer_load_dword v5, v5, s[0:3], 0 offen offset:12
	v_cmp_ne_u32_e32 vcc, 53, v0
	s_waitcnt vmcnt(0)
	ds_write_b128 v6, v[2:5]
	s_waitcnt lgkmcnt(0)
	; wave barrier
	s_waitcnt lgkmcnt(0)
	s_and_saveexec_b64 s[4:5], vcc
	s_cbranch_execz .LBB117_227
; %bb.224:
	v_pk_mov_b32 v[2:3], 0, 0
	v_add_u32_e32 v6, 0x360, v1
	v_add_u32_e32 v1, 16, v1
	s_mov_b64 s[6:7], 0
	v_pk_mov_b32 v[4:5], v[2:3], v[2:3] op_sel:[0,1]
.LBB117_225:                            ; =>This Inner Loop Header: Depth=1
	buffer_load_dword v12, v1, s[0:3], 0 offen offset:8
	buffer_load_dword v13, v1, s[0:3], 0 offen offset:12
	buffer_load_dword v14, v1, s[0:3], 0 offen
	buffer_load_dword v15, v1, s[0:3], 0 offen offset:4
	ds_read_b128 v[8:11], v6
	v_add_u32_e32 v7, 1, v7
	v_cmp_lt_u32_e32 vcc, 51, v7
	v_add_u32_e32 v6, 16, v6
	v_add_u32_e32 v1, 16, v1
	s_or_b64 s[6:7], vcc, s[6:7]
	s_waitcnt vmcnt(2) lgkmcnt(0)
	v_mul_f64 v[16:17], v[10:11], v[12:13]
	v_mul_f64 v[12:13], v[8:9], v[12:13]
	s_waitcnt vmcnt(0)
	v_fma_f64 v[8:9], v[8:9], v[14:15], -v[16:17]
	v_fmac_f64_e32 v[12:13], v[10:11], v[14:15]
	v_add_f64 v[4:5], v[4:5], v[8:9]
	v_add_f64 v[2:3], v[2:3], v[12:13]
	s_andn2_b64 exec, exec, s[6:7]
	s_cbranch_execnz .LBB117_225
; %bb.226:
	s_or_b64 exec, exec, s[6:7]
	v_mov_b32_e32 v1, 0
	ds_read_b128 v[6:9], v1 offset:848
	s_waitcnt lgkmcnt(0)
	v_mul_f64 v[10:11], v[2:3], v[8:9]
	v_mul_f64 v[8:9], v[4:5], v[8:9]
	v_fma_f64 v[4:5], v[4:5], v[6:7], -v[10:11]
	v_fmac_f64_e32 v[8:9], v[2:3], v[6:7]
	buffer_store_dword v5, off, s[0:3], 0 offset:868
	buffer_store_dword v4, off, s[0:3], 0 offset:864
	;; [unrolled: 1-line block ×4, first 2 shown]
.LBB117_227:
	s_or_b64 exec, exec, s[4:5]
	s_mov_b64 s[6:7], -1
	s_waitcnt lgkmcnt(0)
	; wave barrier
.LBB117_228:
	s_and_b64 vcc, exec, s[6:7]
	s_cbranch_vccz .LBB117_230
; %bb.229:
	s_lshl_b64 s[4:5], s[8:9], 2
	s_add_u32 s4, s14, s4
	s_addc_u32 s5, s15, s5
	v_mov_b32_e32 v1, 0
	global_load_dword v1, v1, s[4:5]
	s_waitcnt vmcnt(0)
	v_cmp_ne_u32_e32 vcc, 0, v1
	s_cbranch_vccz .LBB117_231
.LBB117_230:
	s_endpgm
.LBB117_231:
	v_mov_b32_e32 v1, 0x360
	v_lshl_add_u32 v1, v0, 4, v1
	v_accvgpr_write_b32 a161, v1
	v_cmp_eq_u32_e32 vcc, 53, v0
	s_and_saveexec_b64 s[4:5], vcc
	s_cbranch_execz .LBB117_233
; %bb.232:
	v_accvgpr_read_b32 v1, a109
	buffer_load_dword v2, v1, s[0:3], 0 offen
	buffer_load_dword v3, v1, s[0:3], 0 offen offset:4
	buffer_load_dword v4, v1, s[0:3], 0 offen offset:8
	;; [unrolled: 1-line block ×3, first 2 shown]
	v_mov_b32_e32 v1, 0
	v_accvgpr_read_b32 v6, a161
	buffer_store_dword v1, off, s[0:3], 0 offset:848
	buffer_store_dword v1, off, s[0:3], 0 offset:852
	;; [unrolled: 1-line block ×4, first 2 shown]
	s_waitcnt vmcnt(4)
	ds_write_b128 v6, v[2:5]
.LBB117_233:
	s_or_b64 exec, exec, s[4:5]
	s_waitcnt lgkmcnt(0)
	; wave barrier
	s_waitcnt lgkmcnt(0)
	buffer_load_dword v6, off, s[0:3], 0 offset:872
	buffer_load_dword v7, off, s[0:3], 0 offset:876
	;; [unrolled: 1-line block ×8, first 2 shown]
	v_mov_b32_e32 v1, 0
	ds_read_b128 v[2:5], v1 offset:1712
	v_cmp_lt_u32_e32 vcc, 51, v0
	s_waitcnt vmcnt(6) lgkmcnt(0)
	v_mul_f64 v[14:15], v[2:3], v[6:7]
	v_mul_f64 v[6:7], v[4:5], v[6:7]
	s_waitcnt vmcnt(4)
	v_fma_f64 v[2:3], v[2:3], v[8:9], -v[6:7]
	v_fmac_f64_e32 v[14:15], v[4:5], v[8:9]
	v_add_f64 v[2:3], v[2:3], 0
	v_add_f64 v[4:5], v[14:15], 0
	s_waitcnt vmcnt(2)
	v_add_f64 v[2:3], v[10:11], -v[2:3]
	s_waitcnt vmcnt(0)
	v_add_f64 v[4:5], v[12:13], -v[4:5]
	buffer_store_dword v2, off, s[0:3], 0 offset:848
	buffer_store_dword v3, off, s[0:3], 0 offset:852
	;; [unrolled: 1-line block ×4, first 2 shown]
	s_and_saveexec_b64 s[4:5], vcc
	s_cbranch_execz .LBB117_235
; %bb.234:
	v_accvgpr_read_b32 v5, a110
	buffer_load_dword v2, v5, s[0:3], 0 offen
	buffer_load_dword v3, v5, s[0:3], 0 offen offset:4
	buffer_load_dword v4, v5, s[0:3], 0 offen offset:8
	s_nop 0
	buffer_load_dword v5, v5, s[0:3], 0 offen offset:12
	v_accvgpr_read_b32 v6, a161
	buffer_store_dword v1, off, s[0:3], 0 offset:832
	buffer_store_dword v1, off, s[0:3], 0 offset:836
	buffer_store_dword v1, off, s[0:3], 0 offset:840
	buffer_store_dword v1, off, s[0:3], 0 offset:844
	s_waitcnt vmcnt(4)
	ds_write_b128 v6, v[2:5]
.LBB117_235:
	s_or_b64 exec, exec, s[4:5]
	s_waitcnt lgkmcnt(0)
	; wave barrier
	s_waitcnt lgkmcnt(0)
	buffer_load_dword v10, off, s[0:3], 0 offset:856
	buffer_load_dword v11, off, s[0:3], 0 offset:860
	buffer_load_dword v12, off, s[0:3], 0 offset:872
	buffer_load_dword v13, off, s[0:3], 0 offset:876
	buffer_load_dword v14, off, s[0:3], 0 offset:848
	buffer_load_dword v15, off, s[0:3], 0 offset:852
	buffer_load_dword v16, off, s[0:3], 0 offset:864
	buffer_load_dword v17, off, s[0:3], 0 offset:868
	buffer_load_dword v18, off, s[0:3], 0 offset:832
	buffer_load_dword v19, off, s[0:3], 0 offset:836
	buffer_load_dword v20, off, s[0:3], 0 offset:840
	buffer_load_dword v21, off, s[0:3], 0 offset:844
	ds_read_b128 v[2:5], v1 offset:1696
	ds_read_b128 v[6:9], v1 offset:1712
	v_cmp_lt_u32_e32 vcc, 50, v0
	s_waitcnt vmcnt(10) lgkmcnt(1)
	v_mul_f64 v[22:23], v[2:3], v[10:11]
	v_mul_f64 v[10:11], v[4:5], v[10:11]
	s_waitcnt vmcnt(8) lgkmcnt(0)
	v_mul_f64 v[24:25], v[6:7], v[12:13]
	v_mul_f64 v[12:13], v[8:9], v[12:13]
	s_waitcnt vmcnt(6)
	v_fma_f64 v[2:3], v[2:3], v[14:15], -v[10:11]
	v_fmac_f64_e32 v[22:23], v[4:5], v[14:15]
	s_waitcnt vmcnt(4)
	v_fma_f64 v[4:5], v[6:7], v[16:17], -v[12:13]
	v_add_f64 v[2:3], v[2:3], 0
	v_fmac_f64_e32 v[24:25], v[8:9], v[16:17]
	v_add_f64 v[6:7], v[22:23], 0
	v_add_f64 v[2:3], v[2:3], v[4:5]
	;; [unrolled: 1-line block ×3, first 2 shown]
	s_waitcnt vmcnt(2)
	v_add_f64 v[2:3], v[18:19], -v[2:3]
	s_waitcnt vmcnt(0)
	v_add_f64 v[4:5], v[20:21], -v[6:7]
	buffer_store_dword v2, off, s[0:3], 0 offset:832
	buffer_store_dword v3, off, s[0:3], 0 offset:836
	buffer_store_dword v4, off, s[0:3], 0 offset:840
	buffer_store_dword v5, off, s[0:3], 0 offset:844
	s_and_saveexec_b64 s[4:5], vcc
	s_cbranch_execz .LBB117_237
; %bb.236:
	v_accvgpr_read_b32 v1, a111
	buffer_load_dword v2, v1, s[0:3], 0 offen
	buffer_load_dword v3, v1, s[0:3], 0 offen offset:4
	buffer_load_dword v4, v1, s[0:3], 0 offen offset:8
	;; [unrolled: 1-line block ×3, first 2 shown]
	v_mov_b32_e32 v1, 0
	v_accvgpr_read_b32 v6, a161
	buffer_store_dword v1, off, s[0:3], 0 offset:816
	buffer_store_dword v1, off, s[0:3], 0 offset:820
	;; [unrolled: 1-line block ×4, first 2 shown]
	s_waitcnt vmcnt(4)
	ds_write_b128 v6, v[2:5]
.LBB117_237:
	s_or_b64 exec, exec, s[4:5]
	s_waitcnt lgkmcnt(0)
	; wave barrier
	s_waitcnt lgkmcnt(0)
	buffer_load_dword v14, off, s[0:3], 0 offset:840
	buffer_load_dword v15, off, s[0:3], 0 offset:844
	;; [unrolled: 1-line block ×16, first 2 shown]
	v_mov_b32_e32 v1, 0
	ds_read_b128 v[2:5], v1 offset:1680
	ds_read_b128 v[6:9], v1 offset:1696
	;; [unrolled: 1-line block ×3, first 2 shown]
	v_cmp_lt_u32_e32 vcc, 49, v0
	s_waitcnt vmcnt(14) lgkmcnt(2)
	v_mul_f64 v[30:31], v[2:3], v[14:15]
	v_mul_f64 v[14:15], v[4:5], v[14:15]
	s_waitcnt vmcnt(12) lgkmcnt(1)
	v_mul_f64 v[32:33], v[6:7], v[16:17]
	v_mul_f64 v[16:17], v[8:9], v[16:17]
	;; [unrolled: 3-line block ×3, first 2 shown]
	s_waitcnt vmcnt(8)
	v_fma_f64 v[2:3], v[2:3], v[20:21], -v[14:15]
	v_fmac_f64_e32 v[30:31], v[4:5], v[20:21]
	s_waitcnt vmcnt(6)
	v_fma_f64 v[4:5], v[6:7], v[22:23], -v[16:17]
	v_add_f64 v[2:3], v[2:3], 0
	v_fmac_f64_e32 v[32:33], v[8:9], v[22:23]
	s_waitcnt vmcnt(4)
	v_fma_f64 v[6:7], v[10:11], v[24:25], -v[18:19]
	v_add_f64 v[8:9], v[30:31], 0
	v_add_f64 v[2:3], v[2:3], v[4:5]
	v_fmac_f64_e32 v[34:35], v[12:13], v[24:25]
	v_add_f64 v[8:9], v[8:9], v[32:33]
	v_add_f64 v[2:3], v[2:3], v[6:7]
	;; [unrolled: 1-line block ×3, first 2 shown]
	s_waitcnt vmcnt(2)
	v_add_f64 v[2:3], v[26:27], -v[2:3]
	s_waitcnt vmcnt(0)
	v_add_f64 v[4:5], v[28:29], -v[4:5]
	buffer_store_dword v2, off, s[0:3], 0 offset:816
	buffer_store_dword v3, off, s[0:3], 0 offset:820
	;; [unrolled: 1-line block ×4, first 2 shown]
	s_and_saveexec_b64 s[4:5], vcc
	s_cbranch_execz .LBB117_239
; %bb.238:
	v_accvgpr_read_b32 v5, a112
	buffer_load_dword v2, v5, s[0:3], 0 offen
	buffer_load_dword v3, v5, s[0:3], 0 offen offset:4
	buffer_load_dword v4, v5, s[0:3], 0 offen offset:8
	s_nop 0
	buffer_load_dword v5, v5, s[0:3], 0 offen offset:12
	v_accvgpr_read_b32 v6, a161
	buffer_store_dword v1, off, s[0:3], 0 offset:800
	buffer_store_dword v1, off, s[0:3], 0 offset:804
	;; [unrolled: 1-line block ×4, first 2 shown]
	s_waitcnt vmcnt(4)
	ds_write_b128 v6, v[2:5]
.LBB117_239:
	s_or_b64 exec, exec, s[4:5]
	s_waitcnt lgkmcnt(0)
	; wave barrier
	s_waitcnt lgkmcnt(0)
	buffer_load_dword v18, off, s[0:3], 0 offset:824
	buffer_load_dword v19, off, s[0:3], 0 offset:828
	;; [unrolled: 1-line block ×20, first 2 shown]
	ds_read_b128 v[2:5], v1 offset:1664
	ds_read_b128 v[6:9], v1 offset:1680
	;; [unrolled: 1-line block ×4, first 2 shown]
	v_cmp_lt_u32_e32 vcc, 48, v0
	s_waitcnt vmcnt(18) lgkmcnt(3)
	v_mul_f64 v[38:39], v[2:3], v[18:19]
	v_mul_f64 v[18:19], v[4:5], v[18:19]
	s_waitcnt vmcnt(16) lgkmcnt(2)
	v_mul_f64 v[40:41], v[6:7], v[20:21]
	v_mul_f64 v[20:21], v[8:9], v[20:21]
	;; [unrolled: 3-line block ×4, first 2 shown]
	s_waitcnt vmcnt(10)
	v_fma_f64 v[2:3], v[2:3], v[26:27], -v[18:19]
	v_fmac_f64_e32 v[38:39], v[4:5], v[26:27]
	s_waitcnt vmcnt(8)
	v_fma_f64 v[4:5], v[6:7], v[28:29], -v[20:21]
	v_add_f64 v[2:3], v[2:3], 0
	v_fmac_f64_e32 v[40:41], v[8:9], v[28:29]
	s_waitcnt vmcnt(6)
	v_fma_f64 v[6:7], v[10:11], v[30:31], -v[22:23]
	v_add_f64 v[10:11], v[38:39], 0
	v_add_f64 v[2:3], v[2:3], v[4:5]
	v_fmac_f64_e32 v[42:43], v[12:13], v[30:31]
	s_waitcnt vmcnt(4)
	v_fma_f64 v[8:9], v[14:15], v[32:33], -v[24:25]
	v_add_f64 v[10:11], v[10:11], v[40:41]
	v_add_f64 v[2:3], v[2:3], v[6:7]
	v_fmac_f64_e32 v[44:45], v[16:17], v[32:33]
	v_add_f64 v[4:5], v[10:11], v[42:43]
	v_add_f64 v[2:3], v[2:3], v[8:9]
	;; [unrolled: 1-line block ×3, first 2 shown]
	s_waitcnt vmcnt(2)
	v_add_f64 v[2:3], v[34:35], -v[2:3]
	s_waitcnt vmcnt(0)
	v_add_f64 v[4:5], v[36:37], -v[4:5]
	buffer_store_dword v2, off, s[0:3], 0 offset:800
	buffer_store_dword v3, off, s[0:3], 0 offset:804
	;; [unrolled: 1-line block ×4, first 2 shown]
	s_and_saveexec_b64 s[4:5], vcc
	s_cbranch_execz .LBB117_241
; %bb.240:
	v_accvgpr_read_b32 v1, a113
	buffer_load_dword v2, v1, s[0:3], 0 offen
	buffer_load_dword v3, v1, s[0:3], 0 offen offset:4
	buffer_load_dword v4, v1, s[0:3], 0 offen offset:8
	;; [unrolled: 1-line block ×3, first 2 shown]
	v_mov_b32_e32 v1, 0
	v_accvgpr_read_b32 v6, a161
	buffer_store_dword v1, off, s[0:3], 0 offset:784
	buffer_store_dword v1, off, s[0:3], 0 offset:788
	;; [unrolled: 1-line block ×4, first 2 shown]
	s_waitcnt vmcnt(4)
	ds_write_b128 v6, v[2:5]
.LBB117_241:
	s_or_b64 exec, exec, s[4:5]
	s_waitcnt lgkmcnt(0)
	; wave barrier
	s_waitcnt lgkmcnt(0)
	buffer_load_dword v22, off, s[0:3], 0 offset:808
	buffer_load_dword v23, off, s[0:3], 0 offset:812
	;; [unrolled: 1-line block ×24, first 2 shown]
	v_mov_b32_e32 v1, 0
	ds_read_b128 v[2:5], v1 offset:1648
	ds_read_b128 v[6:9], v1 offset:1664
	;; [unrolled: 1-line block ×5, first 2 shown]
	v_cmp_lt_u32_e32 vcc, 47, v0
	s_waitcnt vmcnt(22) lgkmcnt(4)
	v_mul_f64 v[46:47], v[2:3], v[22:23]
	v_mul_f64 v[22:23], v[4:5], v[22:23]
	s_waitcnt vmcnt(20) lgkmcnt(3)
	v_mul_f64 v[48:49], v[6:7], v[24:25]
	v_mul_f64 v[24:25], v[8:9], v[24:25]
	;; [unrolled: 3-line block ×4, first 2 shown]
	s_waitcnt vmcnt(13) lgkmcnt(0)
	v_mul_f64 v[54:55], v[18:19], v[28:29]
	s_waitcnt vmcnt(11)
	v_fma_f64 v[2:3], v[2:3], v[34:35], -v[22:23]
	v_fmac_f64_e32 v[46:47], v[4:5], v[34:35]
	s_waitcnt vmcnt(9)
	v_fma_f64 v[4:5], v[6:7], v[36:37], -v[24:25]
	v_add_f64 v[2:3], v[2:3], 0
	v_fmac_f64_e32 v[48:49], v[8:9], v[36:37]
	s_waitcnt vmcnt(7)
	v_fmac_f64_e32 v[50:51], v[12:13], v[38:39]
	v_fma_f64 v[6:7], v[10:11], v[38:39], -v[26:27]
	v_add_f64 v[12:13], v[46:47], 0
	v_add_f64 v[2:3], v[2:3], v[4:5]
	v_mul_f64 v[28:29], v[20:21], v[28:29]
	s_waitcnt vmcnt(5)
	v_fma_f64 v[8:9], v[14:15], v[40:41], -v[32:33]
	v_add_f64 v[12:13], v[12:13], v[48:49]
	v_add_f64 v[2:3], v[2:3], v[6:7]
	v_fmac_f64_e32 v[52:53], v[16:17], v[40:41]
	s_waitcnt vmcnt(4)
	v_fma_f64 v[10:11], v[18:19], v[30:31], -v[28:29]
	v_add_f64 v[4:5], v[12:13], v[50:51]
	v_add_f64 v[2:3], v[2:3], v[8:9]
	v_fmac_f64_e32 v[54:55], v[20:21], v[30:31]
	v_add_f64 v[4:5], v[4:5], v[52:53]
	v_add_f64 v[2:3], v[2:3], v[10:11]
	;; [unrolled: 1-line block ×3, first 2 shown]
	s_waitcnt vmcnt(2)
	v_add_f64 v[2:3], v[42:43], -v[2:3]
	s_waitcnt vmcnt(0)
	v_add_f64 v[4:5], v[44:45], -v[4:5]
	buffer_store_dword v3, off, s[0:3], 0 offset:788
	buffer_store_dword v2, off, s[0:3], 0 offset:784
	;; [unrolled: 1-line block ×4, first 2 shown]
	s_and_saveexec_b64 s[4:5], vcc
	s_cbranch_execz .LBB117_243
; %bb.242:
	v_accvgpr_read_b32 v5, a114
	buffer_load_dword v2, v5, s[0:3], 0 offen
	buffer_load_dword v3, v5, s[0:3], 0 offen offset:4
	buffer_load_dword v4, v5, s[0:3], 0 offen offset:8
	s_nop 0
	buffer_load_dword v5, v5, s[0:3], 0 offen offset:12
	v_accvgpr_read_b32 v6, a161
	buffer_store_dword v1, off, s[0:3], 0 offset:768
	buffer_store_dword v1, off, s[0:3], 0 offset:772
	;; [unrolled: 1-line block ×4, first 2 shown]
	s_waitcnt vmcnt(4)
	ds_write_b128 v6, v[2:5]
.LBB117_243:
	s_or_b64 exec, exec, s[4:5]
	s_waitcnt lgkmcnt(0)
	; wave barrier
	s_waitcnt lgkmcnt(0)
	buffer_load_dword v26, off, s[0:3], 0 offset:792
	buffer_load_dword v27, off, s[0:3], 0 offset:796
	;; [unrolled: 1-line block ×28, first 2 shown]
	ds_read_b128 v[2:5], v1 offset:1632
	ds_read_b128 v[6:9], v1 offset:1648
	;; [unrolled: 1-line block ×6, first 2 shown]
	v_cmp_lt_u32_e32 vcc, 46, v0
	s_waitcnt vmcnt(26) lgkmcnt(5)
	v_mul_f64 v[54:55], v[2:3], v[26:27]
	v_mul_f64 v[26:27], v[4:5], v[26:27]
	s_waitcnt vmcnt(24) lgkmcnt(4)
	v_mul_f64 v[56:57], v[6:7], v[28:29]
	v_mul_f64 v[28:29], v[8:9], v[28:29]
	;; [unrolled: 3-line block ×4, first 2 shown]
	s_waitcnt vmcnt(17)
	v_mul_f64 v[60:61], v[14:15], v[36:37]
	v_mul_f64 v[36:37], v[16:17], v[36:37]
	s_waitcnt vmcnt(15) lgkmcnt(0)
	v_mul_f64 v[64:65], v[22:23], v[38:39]
	v_mul_f64 v[38:39], v[24:25], v[38:39]
	s_waitcnt vmcnt(14)
	v_fmac_f64_e32 v[62:63], v[20:21], v[34:35]
	s_waitcnt vmcnt(12)
	v_fma_f64 v[2:3], v[2:3], v[40:41], -v[26:27]
	v_fmac_f64_e32 v[54:55], v[4:5], v[40:41]
	s_waitcnt vmcnt(10)
	v_fma_f64 v[4:5], v[6:7], v[42:43], -v[28:29]
	v_add_f64 v[2:3], v[2:3], 0
	v_fmac_f64_e32 v[56:57], v[8:9], v[42:43]
	s_waitcnt vmcnt(8)
	v_fma_f64 v[6:7], v[10:11], v[44:45], -v[30:31]
	s_waitcnt vmcnt(6)
	v_fma_f64 v[8:9], v[14:15], v[46:47], -v[36:37]
	v_add_f64 v[14:15], v[54:55], 0
	v_add_f64 v[2:3], v[2:3], v[4:5]
	v_fmac_f64_e32 v[58:59], v[12:13], v[44:45]
	v_add_f64 v[14:15], v[14:15], v[56:57]
	v_add_f64 v[2:3], v[2:3], v[6:7]
	v_fmac_f64_e32 v[60:61], v[16:17], v[46:47]
	v_fma_f64 v[10:11], v[18:19], v[34:35], -v[32:33]
	v_add_f64 v[4:5], v[14:15], v[58:59]
	v_add_f64 v[2:3], v[2:3], v[8:9]
	s_waitcnt vmcnt(4)
	v_fma_f64 v[12:13], v[22:23], v[48:49], -v[38:39]
	v_add_f64 v[4:5], v[4:5], v[60:61]
	v_add_f64 v[2:3], v[2:3], v[10:11]
	v_fmac_f64_e32 v[64:65], v[24:25], v[48:49]
	v_add_f64 v[4:5], v[4:5], v[62:63]
	v_add_f64 v[2:3], v[2:3], v[12:13]
	;; [unrolled: 1-line block ×3, first 2 shown]
	s_waitcnt vmcnt(2)
	v_add_f64 v[2:3], v[50:51], -v[2:3]
	s_waitcnt vmcnt(0)
	v_add_f64 v[4:5], v[52:53], -v[4:5]
	buffer_store_dword v3, off, s[0:3], 0 offset:772
	buffer_store_dword v2, off, s[0:3], 0 offset:768
	;; [unrolled: 1-line block ×4, first 2 shown]
	s_and_saveexec_b64 s[4:5], vcc
	s_cbranch_execz .LBB117_245
; %bb.244:
	v_accvgpr_read_b32 v1, a115
	buffer_load_dword v2, v1, s[0:3], 0 offen
	buffer_load_dword v3, v1, s[0:3], 0 offen offset:4
	buffer_load_dword v4, v1, s[0:3], 0 offen offset:8
	;; [unrolled: 1-line block ×3, first 2 shown]
	v_mov_b32_e32 v1, 0
	v_accvgpr_read_b32 v6, a161
	buffer_store_dword v1, off, s[0:3], 0 offset:752
	buffer_store_dword v1, off, s[0:3], 0 offset:756
	;; [unrolled: 1-line block ×4, first 2 shown]
	s_waitcnt vmcnt(4)
	ds_write_b128 v6, v[2:5]
.LBB117_245:
	s_or_b64 exec, exec, s[4:5]
	s_waitcnt lgkmcnt(0)
	; wave barrier
	s_waitcnt lgkmcnt(0)
	buffer_load_dword v30, off, s[0:3], 0 offset:776
	buffer_load_dword v31, off, s[0:3], 0 offset:780
	;; [unrolled: 1-line block ×32, first 2 shown]
	v_mov_b32_e32 v1, 0
	ds_read_b128 v[2:5], v1 offset:1616
	ds_read_b128 v[6:9], v1 offset:1632
	;; [unrolled: 1-line block ×7, first 2 shown]
	v_cmp_lt_u32_e32 vcc, 45, v0
	s_waitcnt vmcnt(30) lgkmcnt(6)
	v_mul_f64 v[62:63], v[2:3], v[30:31]
	v_mul_f64 v[30:31], v[4:5], v[30:31]
	s_waitcnt vmcnt(28) lgkmcnt(5)
	v_mul_f64 v[64:65], v[6:7], v[32:33]
	v_mul_f64 v[32:33], v[8:9], v[32:33]
	;; [unrolled: 3-line block ×4, first 2 shown]
	s_waitcnt vmcnt(21)
	v_mul_f64 v[68:69], v[14:15], v[40:41]
	v_mul_f64 v[40:41], v[16:17], v[40:41]
	s_waitcnt vmcnt(17) lgkmcnt(1)
	v_mul_f64 v[72:73], v[22:23], v[46:47]
	v_mul_f64 v[46:47], v[24:25], v[46:47]
	s_waitcnt vmcnt(16) lgkmcnt(0)
	v_mul_f64 v[74:75], v[26:27], v[42:43]
	v_mul_f64 v[42:43], v[28:29], v[42:43]
	s_waitcnt vmcnt(13)
	v_fma_f64 v[2:3], v[2:3], v[48:49], -v[30:31]
	v_fmac_f64_e32 v[62:63], v[4:5], v[48:49]
	s_waitcnt vmcnt(11)
	v_fma_f64 v[4:5], v[6:7], v[50:51], -v[32:33]
	v_add_f64 v[2:3], v[2:3], 0
	v_fmac_f64_e32 v[64:65], v[8:9], v[50:51]
	s_waitcnt vmcnt(9)
	v_fma_f64 v[6:7], v[10:11], v[52:53], -v[34:35]
	s_waitcnt vmcnt(7)
	v_fmac_f64_e32 v[68:69], v[16:17], v[54:55]
	v_add_f64 v[16:17], v[62:63], 0
	v_add_f64 v[2:3], v[2:3], v[4:5]
	v_fmac_f64_e32 v[66:67], v[12:13], v[52:53]
	v_fma_f64 v[8:9], v[14:15], v[54:55], -v[40:41]
	v_add_f64 v[16:17], v[16:17], v[64:65]
	v_add_f64 v[2:3], v[2:3], v[6:7]
	v_fma_f64 v[10:11], v[18:19], v[38:39], -v[36:37]
	v_add_f64 v[4:5], v[16:17], v[66:67]
	v_add_f64 v[2:3], v[2:3], v[8:9]
	v_fmac_f64_e32 v[70:71], v[20:21], v[38:39]
	s_waitcnt vmcnt(5)
	v_fma_f64 v[12:13], v[22:23], v[56:57], -v[46:47]
	v_add_f64 v[4:5], v[4:5], v[68:69]
	v_add_f64 v[2:3], v[2:3], v[10:11]
	v_fmac_f64_e32 v[72:73], v[24:25], v[56:57]
	s_waitcnt vmcnt(4)
	v_fma_f64 v[14:15], v[26:27], v[44:45], -v[42:43]
	v_add_f64 v[4:5], v[4:5], v[70:71]
	v_add_f64 v[2:3], v[2:3], v[12:13]
	v_fmac_f64_e32 v[74:75], v[28:29], v[44:45]
	v_add_f64 v[4:5], v[4:5], v[72:73]
	v_add_f64 v[2:3], v[2:3], v[14:15]
	;; [unrolled: 1-line block ×3, first 2 shown]
	s_waitcnt vmcnt(2)
	v_add_f64 v[2:3], v[58:59], -v[2:3]
	s_waitcnt vmcnt(0)
	v_add_f64 v[4:5], v[60:61], -v[4:5]
	buffer_store_dword v3, off, s[0:3], 0 offset:756
	buffer_store_dword v2, off, s[0:3], 0 offset:752
	;; [unrolled: 1-line block ×4, first 2 shown]
	s_and_saveexec_b64 s[4:5], vcc
	s_cbranch_execz .LBB117_247
; %bb.246:
	v_accvgpr_read_b32 v5, a116
	buffer_load_dword v2, v5, s[0:3], 0 offen
	buffer_load_dword v3, v5, s[0:3], 0 offen offset:4
	buffer_load_dword v4, v5, s[0:3], 0 offen offset:8
	s_nop 0
	buffer_load_dword v5, v5, s[0:3], 0 offen offset:12
	v_accvgpr_read_b32 v6, a161
	buffer_store_dword v1, off, s[0:3], 0 offset:736
	buffer_store_dword v1, off, s[0:3], 0 offset:740
	;; [unrolled: 1-line block ×4, first 2 shown]
	s_waitcnt vmcnt(4)
	ds_write_b128 v6, v[2:5]
.LBB117_247:
	s_or_b64 exec, exec, s[4:5]
	s_waitcnt lgkmcnt(0)
	; wave barrier
	s_waitcnt lgkmcnt(0)
	buffer_load_dword v34, off, s[0:3], 0 offset:760
	buffer_load_dword v35, off, s[0:3], 0 offset:764
	;; [unrolled: 1-line block ×36, first 2 shown]
	ds_read_b128 v[2:5], v1 offset:1600
	ds_read_b128 v[6:9], v1 offset:1616
	;; [unrolled: 1-line block ×8, first 2 shown]
	v_cmp_lt_u32_e32 vcc, 44, v0
	s_waitcnt vmcnt(34) lgkmcnt(7)
	v_mul_f64 v[70:71], v[2:3], v[34:35]
	v_mul_f64 v[34:35], v[4:5], v[34:35]
	s_waitcnt vmcnt(32) lgkmcnt(6)
	v_mul_f64 v[72:73], v[6:7], v[36:37]
	v_mul_f64 v[36:37], v[8:9], v[36:37]
	;; [unrolled: 3-line block ×4, first 2 shown]
	s_waitcnt vmcnt(25)
	v_mul_f64 v[76:77], v[14:15], v[44:45]
	v_mul_f64 v[44:45], v[16:17], v[44:45]
	s_waitcnt vmcnt(23) lgkmcnt(1)
	v_mul_f64 v[82:83], v[26:27], v[46:47]
	v_mul_f64 v[46:47], v[28:29], v[46:47]
	s_waitcnt vmcnt(20)
	v_mul_f64 v[80:81], v[22:23], v[50:51]
	v_mul_f64 v[50:51], v[24:25], v[50:51]
	s_waitcnt vmcnt(18) lgkmcnt(0)
	v_mul_f64 v[84:85], v[30:31], v[52:53]
	s_waitcnt vmcnt(17)
	v_fmac_f64_e32 v[78:79], v[20:21], v[42:43]
	s_waitcnt vmcnt(16)
	v_fmac_f64_e32 v[82:83], v[28:29], v[48:49]
	s_waitcnt vmcnt(14)
	v_fma_f64 v[2:3], v[2:3], v[54:55], -v[34:35]
	v_fmac_f64_e32 v[70:71], v[4:5], v[54:55]
	s_waitcnt vmcnt(12)
	v_fma_f64 v[4:5], v[6:7], v[56:57], -v[36:37]
	v_add_f64 v[2:3], v[2:3], 0
	v_fmac_f64_e32 v[72:73], v[8:9], v[56:57]
	s_waitcnt vmcnt(10)
	v_fma_f64 v[6:7], v[10:11], v[58:59], -v[38:39]
	s_waitcnt vmcnt(8)
	v_fmac_f64_e32 v[76:77], v[16:17], v[60:61]
	v_add_f64 v[16:17], v[70:71], 0
	v_add_f64 v[2:3], v[2:3], v[4:5]
	v_fmac_f64_e32 v[74:75], v[12:13], v[58:59]
	v_fma_f64 v[8:9], v[14:15], v[60:61], -v[44:45]
	v_add_f64 v[16:17], v[16:17], v[72:73]
	v_add_f64 v[2:3], v[2:3], v[6:7]
	v_fma_f64 v[10:11], v[18:19], v[42:43], -v[40:41]
	v_add_f64 v[4:5], v[16:17], v[74:75]
	v_add_f64 v[2:3], v[2:3], v[8:9]
	s_waitcnt vmcnt(6)
	v_fma_f64 v[12:13], v[22:23], v[62:63], -v[50:51]
	v_add_f64 v[4:5], v[4:5], v[76:77]
	v_add_f64 v[2:3], v[2:3], v[10:11]
	v_fmac_f64_e32 v[80:81], v[24:25], v[62:63]
	v_fma_f64 v[14:15], v[26:27], v[48:49], -v[46:47]
	v_add_f64 v[4:5], v[4:5], v[78:79]
	v_add_f64 v[2:3], v[2:3], v[12:13]
	v_mul_f64 v[6:7], v[32:33], v[52:53]
	v_add_f64 v[4:5], v[4:5], v[80:81]
	v_add_f64 v[2:3], v[2:3], v[14:15]
	s_waitcnt vmcnt(4)
	v_fma_f64 v[6:7], v[30:31], v[64:65], -v[6:7]
	v_fmac_f64_e32 v[84:85], v[32:33], v[64:65]
	v_add_f64 v[4:5], v[4:5], v[82:83]
	v_add_f64 v[2:3], v[2:3], v[6:7]
	;; [unrolled: 1-line block ×3, first 2 shown]
	s_waitcnt vmcnt(2)
	v_add_f64 v[2:3], v[66:67], -v[2:3]
	s_waitcnt vmcnt(0)
	v_add_f64 v[4:5], v[68:69], -v[4:5]
	buffer_store_dword v3, off, s[0:3], 0 offset:740
	buffer_store_dword v2, off, s[0:3], 0 offset:736
	;; [unrolled: 1-line block ×4, first 2 shown]
	s_and_saveexec_b64 s[4:5], vcc
	s_cbranch_execz .LBB117_249
; %bb.248:
	v_accvgpr_read_b32 v1, a117
	buffer_load_dword v2, v1, s[0:3], 0 offen
	buffer_load_dword v3, v1, s[0:3], 0 offen offset:4
	buffer_load_dword v4, v1, s[0:3], 0 offen offset:8
	;; [unrolled: 1-line block ×3, first 2 shown]
	v_mov_b32_e32 v1, 0
	v_accvgpr_read_b32 v6, a161
	buffer_store_dword v1, off, s[0:3], 0 offset:720
	buffer_store_dword v1, off, s[0:3], 0 offset:724
	;; [unrolled: 1-line block ×4, first 2 shown]
	s_waitcnt vmcnt(4)
	ds_write_b128 v6, v[2:5]
.LBB117_249:
	s_or_b64 exec, exec, s[4:5]
	v_mov_b32_e32 v1, 0
	s_waitcnt lgkmcnt(0)
	; wave barrier
	s_waitcnt lgkmcnt(0)
	ds_read_b128 v[18:21], v1 offset:1584
	ds_read_b128 v[14:17], v1 offset:1600
	ds_read_b128 v[10:13], v1 offset:1616
	ds_read_b128 v[2:5], v1 offset:1632
	buffer_load_dword v40, off, s[0:3], 0 offset:720
	buffer_load_dword v41, off, s[0:3], 0 offset:724
	;; [unrolled: 1-line block ×20, first 2 shown]
	v_cmp_lt_u32_e32 vcc, 43, v0
	s_waitcnt vmcnt(12) lgkmcnt(3)
	v_mul_f64 v[6:7], v[18:19], v[56:57]
	v_fmac_f64_e32 v[6:7], v[20:21], v[44:45]
	v_add_f64 v[6:7], v[6:7], 0
	v_mul_f64 v[20:21], v[20:21], v[56:57]
	s_waitcnt vmcnt(8) lgkmcnt(2)
	v_mul_f64 v[8:9], v[14:15], v[54:55]
	v_fmac_f64_e32 v[8:9], v[16:17], v[50:51]
	v_add_f64 v[6:7], v[6:7], v[8:9]
	v_fma_f64 v[18:19], v[18:19], v[44:45], -v[20:21]
	s_waitcnt vmcnt(4) lgkmcnt(1)
	v_mul_f64 v[8:9], v[10:11], v[52:53]
	v_fmac_f64_e32 v[8:9], v[12:13], v[48:49]
	v_add_f64 v[6:7], v[6:7], v[8:9]
	s_waitcnt vmcnt(0) lgkmcnt(0)
	v_mul_f64 v[8:9], v[2:3], v[58:59]
	v_fmac_f64_e32 v[8:9], v[4:5], v[46:47]
	v_add_f64 v[22:23], v[6:7], v[8:9]
	ds_read_b128 v[6:9], v1 offset:1648
	buffer_load_dword v43, off, s[0:3], 0 offset:804
	buffer_load_dword v42, off, s[0:3], 0 offset:800
	;; [unrolled: 1-line block ×4, first 2 shown]
	v_mul_f64 v[16:17], v[16:17], v[54:55]
	v_add_f64 v[18:19], v[18:19], 0
	v_fma_f64 v[14:15], v[14:15], v[50:51], -v[16:17]
	v_mul_f64 v[12:13], v[12:13], v[52:53]
	v_add_f64 v[14:15], v[18:19], v[14:15]
	v_fma_f64 v[10:11], v[10:11], v[48:49], -v[12:13]
	;; [unrolled: 3-line block ×3, first 2 shown]
	v_add_f64 v[2:3], v[10:11], v[2:3]
	s_waitcnt vmcnt(0) lgkmcnt(0)
	v_mul_f64 v[24:25], v[6:7], v[60:61]
	v_fmac_f64_e32 v[24:25], v[8:9], v[42:43]
	v_add_f64 v[26:27], v[22:23], v[24:25]
	ds_read_b128 v[22:25], v1 offset:1664
	buffer_load_dword v63, off, s[0:3], 0 offset:820
	buffer_load_dword v62, off, s[0:3], 0 offset:816
	buffer_load_dword v65, off, s[0:3], 0 offset:828
	buffer_load_dword v64, off, s[0:3], 0 offset:824
	v_mul_f64 v[4:5], v[8:9], v[60:61]
	v_fma_f64 v[4:5], v[6:7], v[42:43], -v[4:5]
	v_add_f64 v[2:3], v[2:3], v[4:5]
	s_waitcnt vmcnt(0) lgkmcnt(0)
	v_mul_f64 v[28:29], v[22:23], v[64:65]
	v_fmac_f64_e32 v[28:29], v[24:25], v[62:63]
	v_add_f64 v[30:31], v[26:27], v[28:29]
	ds_read_b128 v[26:29], v1 offset:1680
	buffer_load_dword v67, off, s[0:3], 0 offset:836
	buffer_load_dword v66, off, s[0:3], 0 offset:832
	buffer_load_dword v69, off, s[0:3], 0 offset:844
	buffer_load_dword v68, off, s[0:3], 0 offset:840
	v_mul_f64 v[4:5], v[24:25], v[64:65]
	v_fma_f64 v[4:5], v[22:23], v[62:63], -v[4:5]
	;; [unrolled: 12-line block ×4, first 2 shown]
	v_add_f64 v[2:3], v[2:3], v[4:5]
	s_waitcnt vmcnt(0) lgkmcnt(0)
	v_mul_f64 v[4:5], v[36:37], v[76:77]
	v_mul_f64 v[80:81], v[34:35], v[76:77]
	v_fma_f64 v[4:5], v[34:35], v[74:75], -v[4:5]
	v_fmac_f64_e32 v[80:81], v[36:37], v[74:75]
	v_add_f64 v[2:3], v[2:3], v[4:5]
	v_add_f64 v[78:79], v[78:79], v[80:81]
	v_add_f64 v[2:3], v[40:41], -v[2:3]
	v_add_f64 v[4:5], v[38:39], -v[78:79]
	buffer_store_dword v3, off, s[0:3], 0 offset:724
	buffer_store_dword v2, off, s[0:3], 0 offset:720
	;; [unrolled: 1-line block ×4, first 2 shown]
	s_and_saveexec_b64 s[4:5], vcc
	s_cbranch_execz .LBB117_251
; %bb.250:
	v_accvgpr_read_b32 v5, a118
	buffer_load_dword v2, v5, s[0:3], 0 offen
	buffer_load_dword v3, v5, s[0:3], 0 offen offset:4
	buffer_load_dword v4, v5, s[0:3], 0 offen offset:8
	s_nop 0
	buffer_load_dword v5, v5, s[0:3], 0 offen offset:12
	v_accvgpr_read_b32 v6, a161
	buffer_store_dword v1, off, s[0:3], 0 offset:704
	buffer_store_dword v1, off, s[0:3], 0 offset:708
	buffer_store_dword v1, off, s[0:3], 0 offset:712
	buffer_store_dword v1, off, s[0:3], 0 offset:716
	s_waitcnt vmcnt(4)
	ds_write_b128 v6, v[2:5]
.LBB117_251:
	s_or_b64 exec, exec, s[4:5]
	s_waitcnt lgkmcnt(0)
	; wave barrier
	s_waitcnt lgkmcnt(0)
	ds_read_b128 v[18:21], v1 offset:1568
	ds_read_b128 v[10:13], v1 offset:1584
	;; [unrolled: 1-line block ×4, first 2 shown]
	buffer_load_dword v44, off, s[0:3], 0 offset:704
	buffer_load_dword v45, off, s[0:3], 0 offset:708
	;; [unrolled: 1-line block ×20, first 2 shown]
	v_cmp_lt_u32_e32 vcc, 42, v0
	s_waitcnt vmcnt(12) lgkmcnt(3)
	v_mul_f64 v[14:15], v[18:19], v[62:63]
	v_fmac_f64_e32 v[14:15], v[20:21], v[58:59]
	v_add_f64 v[14:15], v[14:15], 0
	v_mul_f64 v[20:21], v[20:21], v[62:63]
	s_waitcnt vmcnt(8) lgkmcnt(2)
	v_mul_f64 v[16:17], v[10:11], v[60:61]
	v_fmac_f64_e32 v[16:17], v[12:13], v[56:57]
	v_add_f64 v[14:15], v[14:15], v[16:17]
	v_fma_f64 v[18:19], v[18:19], v[58:59], -v[20:21]
	s_waitcnt vmcnt(4) lgkmcnt(1)
	v_mul_f64 v[16:17], v[6:7], v[48:49]
	v_fmac_f64_e32 v[16:17], v[8:9], v[46:47]
	v_add_f64 v[14:15], v[14:15], v[16:17]
	s_waitcnt vmcnt(0) lgkmcnt(0)
	v_mul_f64 v[16:17], v[2:3], v[52:53]
	v_fmac_f64_e32 v[16:17], v[4:5], v[50:51]
	v_add_f64 v[22:23], v[14:15], v[16:17]
	ds_read_b128 v[14:17], v1 offset:1632
	buffer_load_dword v55, off, s[0:3], 0 offset:788
	buffer_load_dword v54, off, s[0:3], 0 offset:784
	;; [unrolled: 1-line block ×4, first 2 shown]
	v_mul_f64 v[12:13], v[12:13], v[60:61]
	v_add_f64 v[18:19], v[18:19], 0
	v_fma_f64 v[10:11], v[10:11], v[56:57], -v[12:13]
	v_mul_f64 v[8:9], v[8:9], v[48:49]
	v_add_f64 v[10:11], v[18:19], v[10:11]
	v_fma_f64 v[6:7], v[6:7], v[46:47], -v[8:9]
	v_mul_f64 v[4:5], v[4:5], v[52:53]
	v_add_f64 v[6:7], v[10:11], v[6:7]
	v_fma_f64 v[2:3], v[2:3], v[50:51], -v[4:5]
	v_add_f64 v[2:3], v[6:7], v[2:3]
	s_waitcnt vmcnt(0) lgkmcnt(0)
	v_mul_f64 v[24:25], v[14:15], v[64:65]
	v_fmac_f64_e32 v[24:25], v[16:17], v[54:55]
	v_add_f64 v[26:27], v[22:23], v[24:25]
	ds_read_b128 v[22:25], v1 offset:1648
	buffer_load_dword v67, off, s[0:3], 0 offset:804
	buffer_load_dword v66, off, s[0:3], 0 offset:800
	buffer_load_dword v69, off, s[0:3], 0 offset:812
	buffer_load_dword v68, off, s[0:3], 0 offset:808
	v_mul_f64 v[4:5], v[16:17], v[64:65]
	v_fma_f64 v[4:5], v[14:15], v[54:55], -v[4:5]
	v_add_f64 v[2:3], v[2:3], v[4:5]
	s_waitcnt vmcnt(0) lgkmcnt(0)
	v_mul_f64 v[28:29], v[22:23], v[68:69]
	v_fmac_f64_e32 v[28:29], v[24:25], v[66:67]
	v_add_f64 v[30:31], v[26:27], v[28:29]
	ds_read_b128 v[26:29], v1 offset:1664
	buffer_load_dword v71, off, s[0:3], 0 offset:820
	buffer_load_dword v70, off, s[0:3], 0 offset:816
	buffer_load_dword v73, off, s[0:3], 0 offset:828
	buffer_load_dword v72, off, s[0:3], 0 offset:824
	v_mul_f64 v[4:5], v[24:25], v[68:69]
	v_fma_f64 v[4:5], v[22:23], v[66:67], -v[4:5]
	;; [unrolled: 12-line block ×5, first 2 shown]
	v_add_f64 v[2:3], v[2:3], v[4:5]
	s_waitcnt vmcnt(0) lgkmcnt(0)
	v_mul_f64 v[4:5], v[40:41], v[86:87]
	v_mul_f64 v[88:89], v[38:39], v[86:87]
	v_fma_f64 v[4:5], v[38:39], v[82:83], -v[4:5]
	v_fmac_f64_e32 v[88:89], v[40:41], v[82:83]
	v_add_f64 v[2:3], v[2:3], v[4:5]
	v_add_f64 v[84:85], v[84:85], v[88:89]
	v_add_f64 v[2:3], v[44:45], -v[2:3]
	v_add_f64 v[4:5], v[42:43], -v[84:85]
	buffer_store_dword v3, off, s[0:3], 0 offset:708
	buffer_store_dword v2, off, s[0:3], 0 offset:704
	;; [unrolled: 1-line block ×4, first 2 shown]
	s_and_saveexec_b64 s[4:5], vcc
	s_cbranch_execz .LBB117_253
; %bb.252:
	v_accvgpr_read_b32 v1, a119
	buffer_load_dword v2, v1, s[0:3], 0 offen
	buffer_load_dword v3, v1, s[0:3], 0 offen offset:4
	buffer_load_dword v4, v1, s[0:3], 0 offen offset:8
	;; [unrolled: 1-line block ×3, first 2 shown]
	v_mov_b32_e32 v1, 0
	v_accvgpr_read_b32 v6, a161
	buffer_store_dword v1, off, s[0:3], 0 offset:688
	buffer_store_dword v1, off, s[0:3], 0 offset:692
	;; [unrolled: 1-line block ×4, first 2 shown]
	s_waitcnt vmcnt(4)
	ds_write_b128 v6, v[2:5]
.LBB117_253:
	s_or_b64 exec, exec, s[4:5]
	v_mov_b32_e32 v1, 0
	s_waitcnt lgkmcnt(0)
	; wave barrier
	s_waitcnt lgkmcnt(0)
	ds_read_b128 v[14:17], v1 offset:1552
	ds_read_b128 v[10:13], v1 offset:1568
	;; [unrolled: 1-line block ×4, first 2 shown]
	buffer_load_dword v48, off, s[0:3], 0 offset:688
	buffer_load_dword v49, off, s[0:3], 0 offset:692
	;; [unrolled: 1-line block ×20, first 2 shown]
	v_cmp_lt_u32_e32 vcc, 41, v0
	s_waitcnt vmcnt(12) lgkmcnt(3)
	v_mul_f64 v[18:19], v[14:15], v[56:57]
	v_fmac_f64_e32 v[18:19], v[16:17], v[50:51]
	v_add_f64 v[18:19], v[18:19], 0
	v_mul_f64 v[16:17], v[16:17], v[56:57]
	s_waitcnt vmcnt(8) lgkmcnt(2)
	v_mul_f64 v[20:21], v[10:11], v[58:59]
	v_fmac_f64_e32 v[20:21], v[12:13], v[52:53]
	v_add_f64 v[18:19], v[18:19], v[20:21]
	v_fma_f64 v[14:15], v[14:15], v[50:51], -v[16:17]
	s_waitcnt vmcnt(4) lgkmcnt(1)
	v_mul_f64 v[20:21], v[6:7], v[60:61]
	v_fmac_f64_e32 v[20:21], v[8:9], v[54:55]
	v_add_f64 v[18:19], v[18:19], v[20:21]
	s_waitcnt vmcnt(0) lgkmcnt(0)
	v_mul_f64 v[20:21], v[2:3], v[64:65]
	v_fmac_f64_e32 v[20:21], v[4:5], v[62:63]
	v_add_f64 v[22:23], v[18:19], v[20:21]
	ds_read_b128 v[18:21], v1 offset:1616
	buffer_load_dword v67, off, s[0:3], 0 offset:772
	buffer_load_dword v66, off, s[0:3], 0 offset:768
	;; [unrolled: 1-line block ×4, first 2 shown]
	v_mul_f64 v[12:13], v[12:13], v[58:59]
	v_add_f64 v[14:15], v[14:15], 0
	v_fma_f64 v[10:11], v[10:11], v[52:53], -v[12:13]
	v_mul_f64 v[8:9], v[8:9], v[60:61]
	v_add_f64 v[10:11], v[14:15], v[10:11]
	v_fma_f64 v[6:7], v[6:7], v[54:55], -v[8:9]
	;; [unrolled: 3-line block ×3, first 2 shown]
	v_add_f64 v[2:3], v[6:7], v[2:3]
	s_waitcnt vmcnt(0) lgkmcnt(0)
	v_mul_f64 v[24:25], v[18:19], v[68:69]
	v_fmac_f64_e32 v[24:25], v[20:21], v[66:67]
	v_add_f64 v[26:27], v[22:23], v[24:25]
	ds_read_b128 v[22:25], v1 offset:1632
	buffer_load_dword v71, off, s[0:3], 0 offset:788
	buffer_load_dword v70, off, s[0:3], 0 offset:784
	buffer_load_dword v73, off, s[0:3], 0 offset:796
	buffer_load_dword v72, off, s[0:3], 0 offset:792
	v_mul_f64 v[4:5], v[20:21], v[68:69]
	v_fma_f64 v[4:5], v[18:19], v[66:67], -v[4:5]
	v_add_f64 v[2:3], v[2:3], v[4:5]
	s_waitcnt vmcnt(0) lgkmcnt(0)
	v_mul_f64 v[28:29], v[22:23], v[72:73]
	v_fmac_f64_e32 v[28:29], v[24:25], v[70:71]
	v_add_f64 v[30:31], v[26:27], v[28:29]
	ds_read_b128 v[26:29], v1 offset:1648
	buffer_load_dword v75, off, s[0:3], 0 offset:804
	buffer_load_dword v74, off, s[0:3], 0 offset:800
	buffer_load_dword v77, off, s[0:3], 0 offset:812
	buffer_load_dword v76, off, s[0:3], 0 offset:808
	v_mul_f64 v[4:5], v[24:25], v[72:73]
	v_fma_f64 v[4:5], v[22:23], v[70:71], -v[4:5]
	;; [unrolled: 12-line block ×6, first 2 shown]
	v_add_f64 v[2:3], v[2:3], v[4:5]
	s_waitcnt vmcnt(0) lgkmcnt(0)
	v_mul_f64 v[4:5], v[44:45], v[92:93]
	v_mul_f64 v[96:97], v[42:43], v[92:93]
	v_fma_f64 v[4:5], v[42:43], v[90:91], -v[4:5]
	v_fmac_f64_e32 v[96:97], v[44:45], v[90:91]
	v_add_f64 v[2:3], v[2:3], v[4:5]
	v_add_f64 v[94:95], v[94:95], v[96:97]
	v_add_f64 v[2:3], v[48:49], -v[2:3]
	v_add_f64 v[4:5], v[46:47], -v[94:95]
	buffer_store_dword v3, off, s[0:3], 0 offset:692
	buffer_store_dword v2, off, s[0:3], 0 offset:688
	;; [unrolled: 1-line block ×4, first 2 shown]
	s_and_saveexec_b64 s[4:5], vcc
	s_cbranch_execz .LBB117_255
; %bb.254:
	v_accvgpr_read_b32 v5, a120
	buffer_load_dword v2, v5, s[0:3], 0 offen
	buffer_load_dword v3, v5, s[0:3], 0 offen offset:4
	buffer_load_dword v4, v5, s[0:3], 0 offen offset:8
	s_nop 0
	buffer_load_dword v5, v5, s[0:3], 0 offen offset:12
	v_accvgpr_read_b32 v6, a161
	buffer_store_dword v1, off, s[0:3], 0 offset:672
	buffer_store_dword v1, off, s[0:3], 0 offset:676
	;; [unrolled: 1-line block ×4, first 2 shown]
	s_waitcnt vmcnt(4)
	ds_write_b128 v6, v[2:5]
.LBB117_255:
	s_or_b64 exec, exec, s[4:5]
	s_waitcnt lgkmcnt(0)
	; wave barrier
	s_waitcnt lgkmcnt(0)
	ds_read_b128 v[14:17], v1 offset:1536
	ds_read_b128 v[10:13], v1 offset:1552
	;; [unrolled: 1-line block ×4, first 2 shown]
	buffer_load_dword v48, off, s[0:3], 0 offset:672
	buffer_load_dword v49, off, s[0:3], 0 offset:676
	;; [unrolled: 1-line block ×20, first 2 shown]
	v_cmp_lt_u32_e32 vcc, 40, v0
	s_waitcnt vmcnt(12) lgkmcnt(3)
	v_mul_f64 v[18:19], v[14:15], v[56:57]
	v_fmac_f64_e32 v[18:19], v[16:17], v[50:51]
	v_add_f64 v[18:19], v[18:19], 0
	v_mul_f64 v[16:17], v[16:17], v[56:57]
	s_waitcnt vmcnt(8) lgkmcnt(2)
	v_mul_f64 v[20:21], v[10:11], v[58:59]
	v_fmac_f64_e32 v[20:21], v[12:13], v[52:53]
	v_add_f64 v[18:19], v[18:19], v[20:21]
	v_fma_f64 v[14:15], v[14:15], v[50:51], -v[16:17]
	s_waitcnt vmcnt(4) lgkmcnt(1)
	v_mul_f64 v[20:21], v[6:7], v[60:61]
	v_fmac_f64_e32 v[20:21], v[8:9], v[54:55]
	v_add_f64 v[18:19], v[18:19], v[20:21]
	s_waitcnt vmcnt(0) lgkmcnt(0)
	v_mul_f64 v[20:21], v[2:3], v[64:65]
	v_fmac_f64_e32 v[20:21], v[4:5], v[62:63]
	v_add_f64 v[22:23], v[18:19], v[20:21]
	ds_read_b128 v[18:21], v1 offset:1600
	buffer_load_dword v67, off, s[0:3], 0 offset:756
	buffer_load_dword v66, off, s[0:3], 0 offset:752
	;; [unrolled: 1-line block ×4, first 2 shown]
	v_mul_f64 v[12:13], v[12:13], v[58:59]
	v_add_f64 v[14:15], v[14:15], 0
	v_fma_f64 v[10:11], v[10:11], v[52:53], -v[12:13]
	v_mul_f64 v[8:9], v[8:9], v[60:61]
	v_add_f64 v[10:11], v[14:15], v[10:11]
	v_fma_f64 v[6:7], v[6:7], v[54:55], -v[8:9]
	;; [unrolled: 3-line block ×3, first 2 shown]
	v_add_f64 v[2:3], v[6:7], v[2:3]
	s_waitcnt vmcnt(0) lgkmcnt(0)
	v_mul_f64 v[24:25], v[18:19], v[68:69]
	v_fmac_f64_e32 v[24:25], v[20:21], v[66:67]
	v_add_f64 v[26:27], v[22:23], v[24:25]
	ds_read_b128 v[22:25], v1 offset:1616
	buffer_load_dword v71, off, s[0:3], 0 offset:772
	buffer_load_dword v70, off, s[0:3], 0 offset:768
	buffer_load_dword v73, off, s[0:3], 0 offset:780
	buffer_load_dword v72, off, s[0:3], 0 offset:776
	v_mul_f64 v[4:5], v[20:21], v[68:69]
	v_fma_f64 v[4:5], v[18:19], v[66:67], -v[4:5]
	v_add_f64 v[2:3], v[2:3], v[4:5]
	s_waitcnt vmcnt(0) lgkmcnt(0)
	v_mul_f64 v[28:29], v[22:23], v[72:73]
	v_fmac_f64_e32 v[28:29], v[24:25], v[70:71]
	v_add_f64 v[30:31], v[26:27], v[28:29]
	ds_read_b128 v[26:29], v1 offset:1632
	buffer_load_dword v75, off, s[0:3], 0 offset:788
	buffer_load_dword v74, off, s[0:3], 0 offset:784
	buffer_load_dword v77, off, s[0:3], 0 offset:796
	buffer_load_dword v76, off, s[0:3], 0 offset:792
	v_mul_f64 v[4:5], v[24:25], v[72:73]
	v_fma_f64 v[4:5], v[22:23], v[70:71], -v[4:5]
	;; [unrolled: 12-line block ×7, first 2 shown]
	v_add_f64 v[2:3], v[2:3], v[4:5]
	s_waitcnt vmcnt(0) lgkmcnt(0)
	v_mul_f64 v[4:5], v[96:97], v[102:103]
	v_mul_f64 v[104:105], v[94:95], v[102:103]
	v_fma_f64 v[4:5], v[94:95], v[100:101], -v[4:5]
	v_fmac_f64_e32 v[104:105], v[96:97], v[100:101]
	v_add_f64 v[2:3], v[2:3], v[4:5]
	v_add_f64 v[98:99], v[98:99], v[104:105]
	v_add_f64 v[2:3], v[48:49], -v[2:3]
	v_add_f64 v[4:5], v[46:47], -v[98:99]
	buffer_store_dword v3, off, s[0:3], 0 offset:676
	buffer_store_dword v2, off, s[0:3], 0 offset:672
	;; [unrolled: 1-line block ×4, first 2 shown]
	s_and_saveexec_b64 s[4:5], vcc
	s_cbranch_execz .LBB117_257
; %bb.256:
	v_accvgpr_read_b32 v1, a121
	buffer_load_dword v2, v1, s[0:3], 0 offen
	buffer_load_dword v3, v1, s[0:3], 0 offen offset:4
	buffer_load_dword v4, v1, s[0:3], 0 offen offset:8
	;; [unrolled: 1-line block ×3, first 2 shown]
	v_mov_b32_e32 v1, 0
	v_accvgpr_read_b32 v6, a161
	buffer_store_dword v1, off, s[0:3], 0 offset:656
	buffer_store_dword v1, off, s[0:3], 0 offset:660
	;; [unrolled: 1-line block ×4, first 2 shown]
	s_waitcnt vmcnt(4)
	ds_write_b128 v6, v[2:5]
.LBB117_257:
	s_or_b64 exec, exec, s[4:5]
	s_waitcnt lgkmcnt(0)
	; wave barrier
	s_waitcnt lgkmcnt(0)
	buffer_load_dword v2, off, s[0:3], 0 offset:672
	buffer_load_dword v3, off, s[0:3], 0 offset:676
	;; [unrolled: 1-line block ×56, first 2 shown]
	v_mov_b32_e32 v1, 0
	ds_read_b128 v[30:33], v1 offset:1520
	ds_read_b128 v[34:37], v1 offset:1536
	;; [unrolled: 1-line block ×9, first 2 shown]
	v_cmp_lt_u32_e32 vcc, 39, v0
	s_waitcnt vmcnt(52) lgkmcnt(8)
	v_mul_f64 v[62:63], v[30:31], v[6:7]
	v_fmac_f64_e32 v[62:63], v[32:33], v[2:3]
	v_mul_f64 v[6:7], v[32:33], v[6:7]
	v_add_f64 v[62:63], v[62:63], 0
	s_waitcnt vmcnt(48) lgkmcnt(7)
	v_mul_f64 v[64:65], v[34:35], v[8:9]
	v_fmac_f64_e32 v[64:65], v[36:37], v[4:5]
	s_waitcnt vmcnt(46) lgkmcnt(6)
	v_mul_f64 v[66:67], v[38:39], v[10:11]
	v_fma_f64 v[2:3], v[30:31], v[2:3], -v[6:7]
	v_mul_f64 v[6:7], v[36:37], v[8:9]
	s_waitcnt vmcnt(44) lgkmcnt(5)
	v_mul_f64 v[68:69], v[42:43], v[12:13]
	v_add_f64 v[62:63], v[62:63], v[64:65]
	v_add_f64 v[2:3], v[2:3], 0
	v_fma_f64 v[4:5], v[34:35], v[4:5], -v[6:7]
	v_add_f64 v[2:3], v[2:3], v[4:5]
	v_mul_f64 v[4:5], v[40:41], v[10:11]
	s_waitcnt vmcnt(37) lgkmcnt(4)
	v_mul_f64 v[70:71], v[46:47], v[20:21]
	s_waitcnt lgkmcnt(3)
	v_mul_f64 v[72:73], v[50:51], v[18:19]
	s_waitcnt vmcnt(35)
	v_fmac_f64_e32 v[70:71], v[48:49], v[22:23]
	s_waitcnt lgkmcnt(2)
	v_mul_f64 v[74:75], v[54:55], v[14:15]
	s_waitcnt vmcnt(33)
	v_fmac_f64_e32 v[66:67], v[40:41], v[28:29]
	v_add_f64 v[62:63], v[62:63], v[66:67]
	s_waitcnt vmcnt(31)
	v_fmac_f64_e32 v[68:69], v[44:45], v[26:27]
	v_add_f64 v[62:63], v[62:63], v[68:69]
	v_fma_f64 v[4:5], v[38:39], v[28:29], -v[4:5]
	s_waitcnt vmcnt(29)
	v_fmac_f64_e32 v[72:73], v[52:53], v[24:25]
	v_add_f64 v[62:63], v[62:63], v[70:71]
	v_add_f64 v[2:3], v[2:3], v[4:5]
	v_mul_f64 v[4:5], v[44:45], v[12:13]
	s_waitcnt vmcnt(28)
	v_fmac_f64_e32 v[74:75], v[56:57], v[16:17]
	v_add_f64 v[62:63], v[62:63], v[72:73]
	v_fma_f64 v[4:5], v[42:43], v[26:27], -v[4:5]
	v_add_f64 v[66:67], v[62:63], v[74:75]
	ds_read_b128 v[62:65], v1 offset:1648
	s_waitcnt vmcnt(24) lgkmcnt(2)
	v_mul_f64 v[68:69], v[58:59], v[86:87]
	v_add_f64 v[2:3], v[2:3], v[4:5]
	v_mul_f64 v[4:5], v[48:49], v[20:21]
	s_waitcnt vmcnt(22)
	v_fmac_f64_e32 v[68:69], v[60:61], v[88:89]
	v_fma_f64 v[4:5], v[46:47], v[22:23], -v[4:5]
	v_add_f64 v[70:71], v[66:67], v[68:69]
	ds_read_b128 v[66:69], v1 offset:1664
	v_add_f64 v[2:3], v[2:3], v[4:5]
	v_mul_f64 v[4:5], v[52:53], v[18:19]
	v_fma_f64 v[4:5], v[50:51], v[24:25], -v[4:5]
	v_add_f64 v[2:3], v[2:3], v[4:5]
	v_mul_f64 v[4:5], v[56:57], v[14:15]
	s_waitcnt vmcnt(21) lgkmcnt(1)
	v_mul_f64 v[72:73], v[62:63], v[82:83]
	v_fma_f64 v[4:5], v[54:55], v[16:17], -v[4:5]
	s_waitcnt vmcnt(20)
	v_fmac_f64_e32 v[72:73], v[64:65], v[84:85]
	v_add_f64 v[2:3], v[2:3], v[4:5]
	v_mul_f64 v[4:5], v[60:61], v[86:87]
	v_add_f64 v[74:75], v[70:71], v[72:73]
	ds_read_b128 v[70:73], v1 offset:1680
	s_waitcnt vmcnt(16) lgkmcnt(1)
	v_mul_f64 v[76:77], v[66:67], v[94:95]
	v_fma_f64 v[4:5], v[58:59], v[88:89], -v[4:5]
	s_waitcnt vmcnt(14)
	v_fmac_f64_e32 v[76:77], v[68:69], v[96:97]
	v_add_f64 v[2:3], v[2:3], v[4:5]
	v_mul_f64 v[4:5], v[64:65], v[82:83]
	v_add_f64 v[110:111], v[74:75], v[76:77]
	ds_read_b128 v[74:77], v1 offset:1696
	v_fma_f64 v[4:5], v[62:63], v[84:85], -v[4:5]
	v_add_f64 v[2:3], v[2:3], v[4:5]
	v_mul_f64 v[4:5], v[68:69], v[94:95]
	v_fma_f64 v[4:5], v[66:67], v[96:97], -v[4:5]
	v_add_f64 v[2:3], v[2:3], v[4:5]
	s_waitcnt vmcnt(13) lgkmcnt(1)
	v_mul_f64 v[4:5], v[72:73], v[90:91]
	v_mul_f64 v[112:113], v[70:71], v[90:91]
	s_waitcnt vmcnt(12)
	v_fma_f64 v[4:5], v[70:71], v[92:93], -v[4:5]
	v_fmac_f64_e32 v[112:113], v[72:73], v[92:93]
	v_add_f64 v[2:3], v[2:3], v[4:5]
	s_waitcnt vmcnt(8) lgkmcnt(0)
	v_mul_f64 v[4:5], v[76:77], v[102:103]
	v_add_f64 v[110:111], v[110:111], v[112:113]
	v_mul_f64 v[112:113], v[74:75], v[102:103]
	s_waitcnt vmcnt(6)
	v_fma_f64 v[4:5], v[74:75], v[104:105], -v[4:5]
	v_fmac_f64_e32 v[112:113], v[76:77], v[104:105]
	v_add_f64 v[2:3], v[2:3], v[4:5]
	s_waitcnt vmcnt(5)
	v_mul_f64 v[4:5], v[80:81], v[98:99]
	v_add_f64 v[110:111], v[110:111], v[112:113]
	v_mul_f64 v[112:113], v[78:79], v[98:99]
	s_waitcnt vmcnt(4)
	v_fma_f64 v[4:5], v[78:79], v[100:101], -v[4:5]
	v_fmac_f64_e32 v[112:113], v[80:81], v[100:101]
	v_add_f64 v[2:3], v[2:3], v[4:5]
	v_add_f64 v[110:111], v[110:111], v[112:113]
	s_waitcnt vmcnt(2)
	v_add_f64 v[2:3], v[106:107], -v[2:3]
	s_waitcnt vmcnt(0)
	v_add_f64 v[4:5], v[108:109], -v[110:111]
	buffer_store_dword v3, off, s[0:3], 0 offset:660
	buffer_store_dword v2, off, s[0:3], 0 offset:656
	buffer_store_dword v5, off, s[0:3], 0 offset:668
	buffer_store_dword v4, off, s[0:3], 0 offset:664
	s_and_saveexec_b64 s[4:5], vcc
	s_cbranch_execz .LBB117_259
; %bb.258:
	v_accvgpr_read_b32 v5, a122
	buffer_load_dword v2, v5, s[0:3], 0 offen
	buffer_load_dword v3, v5, s[0:3], 0 offen offset:4
	buffer_load_dword v4, v5, s[0:3], 0 offen offset:8
	s_nop 0
	buffer_load_dword v5, v5, s[0:3], 0 offen offset:12
	v_accvgpr_read_b32 v6, a161
	buffer_store_dword v1, off, s[0:3], 0 offset:640
	buffer_store_dword v1, off, s[0:3], 0 offset:644
	;; [unrolled: 1-line block ×4, first 2 shown]
	s_waitcnt vmcnt(4)
	ds_write_b128 v6, v[2:5]
.LBB117_259:
	s_or_b64 exec, exec, s[4:5]
	s_waitcnt lgkmcnt(0)
	; wave barrier
	s_waitcnt lgkmcnt(0)
	buffer_load_dword v2, off, s[0:3], 0 offset:656
	buffer_load_dword v3, off, s[0:3], 0 offset:660
	buffer_load_dword v6, off, s[0:3], 0 offset:664
	buffer_load_dword v7, off, s[0:3], 0 offset:668
	buffer_load_dword v4, off, s[0:3], 0 offset:672
	buffer_load_dword v5, off, s[0:3], 0 offset:676
	buffer_load_dword v8, off, s[0:3], 0 offset:680
	buffer_load_dword v9, off, s[0:3], 0 offset:684
	buffer_load_dword v10, off, s[0:3], 0 offset:696
	buffer_load_dword v11, off, s[0:3], 0 offset:700
	buffer_load_dword v13, off, s[0:3], 0 offset:732
	buffer_load_dword v12, off, s[0:3], 0 offset:728
	buffer_load_dword v15, off, s[0:3], 0 offset:724
	buffer_load_dword v14, off, s[0:3], 0 offset:720
	buffer_load_dword v17, off, s[0:3], 0 offset:716
	buffer_load_dword v16, off, s[0:3], 0 offset:712
	buffer_load_dword v19, off, s[0:3], 0 offset:764
	buffer_load_dword v21, off, s[0:3], 0 offset:756
	buffer_load_dword v23, off, s[0:3], 0 offset:748
	buffer_load_dword v22, off, s[0:3], 0 offset:744
	buffer_load_dword v28, off, s[0:3], 0 offset:688
	buffer_load_dword v29, off, s[0:3], 0 offset:692
	buffer_load_dword v27, off, s[0:3], 0 offset:708
	buffer_load_dword v26, off, s[0:3], 0 offset:704
	buffer_load_dword v25, off, s[0:3], 0 offset:740
	buffer_load_dword v24, off, s[0:3], 0 offset:736
	buffer_load_dword v18, off, s[0:3], 0 offset:760
	buffer_load_dword v20, off, s[0:3], 0 offset:752
	buffer_load_dword v87, off, s[0:3], 0 offset:796
	buffer_load_dword v89, off, s[0:3], 0 offset:788
	buffer_load_dword v91, off, s[0:3], 0 offset:780
	buffer_load_dword v90, off, s[0:3], 0 offset:776
	buffer_load_dword v93, off, s[0:3], 0 offset:772
	buffer_load_dword v92, off, s[0:3], 0 offset:768
	buffer_load_dword v86, off, s[0:3], 0 offset:792
	buffer_load_dword v88, off, s[0:3], 0 offset:784
	buffer_load_dword v95, off, s[0:3], 0 offset:828
	buffer_load_dword v97, off, s[0:3], 0 offset:820
	buffer_load_dword v99, off, s[0:3], 0 offset:812
	buffer_load_dword v98, off, s[0:3], 0 offset:808
	buffer_load_dword v101, off, s[0:3], 0 offset:804
	buffer_load_dword v100, off, s[0:3], 0 offset:800
	buffer_load_dword v94, off, s[0:3], 0 offset:824
	buffer_load_dword v96, off, s[0:3], 0 offset:816
	buffer_load_dword v103, off, s[0:3], 0 offset:860
	buffer_load_dword v105, off, s[0:3], 0 offset:852
	buffer_load_dword v107, off, s[0:3], 0 offset:844
	buffer_load_dword v106, off, s[0:3], 0 offset:840
	buffer_load_dword v109, off, s[0:3], 0 offset:836
	buffer_load_dword v108, off, s[0:3], 0 offset:832
	buffer_load_dword v102, off, s[0:3], 0 offset:856
	buffer_load_dword v104, off, s[0:3], 0 offset:848
	buffer_load_dword v111, off, s[0:3], 0 offset:876
	buffer_load_dword v110, off, s[0:3], 0 offset:872
	buffer_load_dword v113, off, s[0:3], 0 offset:868
	buffer_load_dword v112, off, s[0:3], 0 offset:864
	buffer_load_dword v114, off, s[0:3], 0 offset:640
	buffer_load_dword v115, off, s[0:3], 0 offset:644
	buffer_load_dword v116, off, s[0:3], 0 offset:648
	buffer_load_dword v117, off, s[0:3], 0 offset:652
	ds_read_b128 v[30:33], v1 offset:1504
	ds_read_b128 v[34:37], v1 offset:1520
	;; [unrolled: 1-line block ×8, first 2 shown]
	v_cmp_lt_u32_e32 vcc, 38, v0
	ds_read_b128 v[82:85], v1 offset:1712
	s_waitcnt vmcnt(56) lgkmcnt(8)
	v_mul_f64 v[62:63], v[30:31], v[6:7]
	v_fmac_f64_e32 v[62:63], v[32:33], v[2:3]
	v_add_f64 v[62:63], v[62:63], 0
	v_mul_f64 v[6:7], v[32:33], v[6:7]
	s_waitcnt vmcnt(52) lgkmcnt(7)
	v_mul_f64 v[64:65], v[34:35], v[8:9]
	v_fmac_f64_e32 v[64:65], v[36:37], v[4:5]
	s_waitcnt vmcnt(50) lgkmcnt(6)
	v_mul_f64 v[66:67], v[38:39], v[10:11]
	v_add_f64 v[62:63], v[62:63], v[64:65]
	s_waitcnt vmcnt(48) lgkmcnt(4)
	v_mul_f64 v[70:71], v[46:47], v[12:13]
	v_fma_f64 v[2:3], v[30:31], v[2:3], -v[6:7]
	s_waitcnt vmcnt(46)
	v_fmac_f64_e32 v[70:71], v[48:49], v[14:15]
	v_mul_f64 v[6:7], v[36:37], v[8:9]
	s_waitcnt vmcnt(44)
	v_mul_f64 v[68:69], v[42:43], v[16:17]
	v_add_f64 v[2:3], v[2:3], 0
	v_fma_f64 v[4:5], v[34:35], v[4:5], -v[6:7]
	v_add_f64 v[2:3], v[2:3], v[4:5]
	s_waitcnt vmcnt(40) lgkmcnt(3)
	v_mul_f64 v[72:73], v[50:51], v[22:23]
	v_mul_f64 v[4:5], v[40:41], v[10:11]
	s_waitcnt vmcnt(38)
	v_fmac_f64_e32 v[66:67], v[40:41], v[28:29]
	v_add_f64 v[62:63], v[62:63], v[66:67]
	s_waitcnt vmcnt(36)
	v_fmac_f64_e32 v[68:69], v[44:45], v[26:27]
	v_add_f64 v[62:63], v[62:63], v[68:69]
	;; [unrolled: 3-line block ×3, first 2 shown]
	s_waitcnt vmcnt(33) lgkmcnt(2)
	v_mul_f64 v[64:65], v[54:55], v[18:19]
	v_add_f64 v[62:63], v[62:63], v[72:73]
	s_waitcnt vmcnt(32)
	v_fmac_f64_e32 v[64:65], v[56:57], v[20:21]
	v_add_f64 v[66:67], v[62:63], v[64:65]
	ds_read_b128 v[62:65], v1 offset:1632
	v_fma_f64 v[4:5], v[38:39], v[28:29], -v[4:5]
	v_add_f64 v[2:3], v[2:3], v[4:5]
	v_mul_f64 v[4:5], v[44:45], v[16:17]
	v_fma_f64 v[4:5], v[42:43], v[26:27], -v[4:5]
	s_waitcnt vmcnt(28) lgkmcnt(2)
	v_mul_f64 v[68:69], v[58:59], v[90:91]
	v_add_f64 v[2:3], v[2:3], v[4:5]
	v_mul_f64 v[4:5], v[48:49], v[12:13]
	s_waitcnt vmcnt(26)
	v_fmac_f64_e32 v[68:69], v[60:61], v[92:93]
	v_fma_f64 v[4:5], v[46:47], v[14:15], -v[4:5]
	v_add_f64 v[70:71], v[66:67], v[68:69]
	ds_read_b128 v[66:69], v1 offset:1648
	s_waitcnt vmcnt(25) lgkmcnt(1)
	v_mul_f64 v[72:73], v[62:63], v[86:87]
	v_add_f64 v[2:3], v[2:3], v[4:5]
	v_mul_f64 v[4:5], v[52:53], v[22:23]
	s_waitcnt vmcnt(24)
	v_fmac_f64_e32 v[72:73], v[64:65], v[88:89]
	v_fma_f64 v[4:5], v[50:51], v[24:25], -v[4:5]
	v_add_f64 v[74:75], v[70:71], v[72:73]
	ds_read_b128 v[70:73], v1 offset:1664
	v_add_f64 v[2:3], v[2:3], v[4:5]
	v_mul_f64 v[4:5], v[56:57], v[18:19]
	v_fma_f64 v[4:5], v[54:55], v[20:21], -v[4:5]
	v_add_f64 v[2:3], v[2:3], v[4:5]
	v_mul_f64 v[4:5], v[60:61], v[90:91]
	s_waitcnt vmcnt(20) lgkmcnt(1)
	v_mul_f64 v[76:77], v[66:67], v[98:99]
	v_fma_f64 v[4:5], v[58:59], v[92:93], -v[4:5]
	s_waitcnt vmcnt(18)
	v_fmac_f64_e32 v[76:77], v[68:69], v[100:101]
	v_add_f64 v[2:3], v[2:3], v[4:5]
	v_mul_f64 v[4:5], v[64:65], v[86:87]
	v_add_f64 v[78:79], v[74:75], v[76:77]
	ds_read_b128 v[74:77], v1 offset:1680
	s_waitcnt vmcnt(17) lgkmcnt(1)
	v_mul_f64 v[80:81], v[70:71], v[94:95]
	v_fma_f64 v[4:5], v[62:63], v[88:89], -v[4:5]
	s_waitcnt vmcnt(16)
	v_fmac_f64_e32 v[80:81], v[72:73], v[96:97]
	v_add_f64 v[2:3], v[2:3], v[4:5]
	v_mul_f64 v[4:5], v[68:69], v[98:99]
	v_add_f64 v[118:119], v[78:79], v[80:81]
	ds_read_b128 v[78:81], v1 offset:1696
	v_fma_f64 v[4:5], v[66:67], v[100:101], -v[4:5]
	v_add_f64 v[2:3], v[2:3], v[4:5]
	v_mul_f64 v[4:5], v[72:73], v[94:95]
	v_fma_f64 v[4:5], v[70:71], v[96:97], -v[4:5]
	v_add_f64 v[2:3], v[2:3], v[4:5]
	s_waitcnt vmcnt(12) lgkmcnt(1)
	v_mul_f64 v[4:5], v[76:77], v[106:107]
	v_mul_f64 v[120:121], v[74:75], v[106:107]
	s_waitcnt vmcnt(10)
	v_fma_f64 v[4:5], v[74:75], v[108:109], -v[4:5]
	v_fmac_f64_e32 v[120:121], v[76:77], v[108:109]
	v_add_f64 v[2:3], v[2:3], v[4:5]
	s_waitcnt vmcnt(9) lgkmcnt(0)
	v_mul_f64 v[4:5], v[80:81], v[102:103]
	v_add_f64 v[118:119], v[118:119], v[120:121]
	v_mul_f64 v[120:121], v[78:79], v[102:103]
	s_waitcnt vmcnt(8)
	v_fma_f64 v[4:5], v[78:79], v[104:105], -v[4:5]
	v_fmac_f64_e32 v[120:121], v[80:81], v[104:105]
	v_add_f64 v[2:3], v[2:3], v[4:5]
	s_waitcnt vmcnt(6)
	v_mul_f64 v[4:5], v[84:85], v[110:111]
	v_add_f64 v[118:119], v[118:119], v[120:121]
	v_mul_f64 v[120:121], v[82:83], v[110:111]
	s_waitcnt vmcnt(4)
	v_fma_f64 v[4:5], v[82:83], v[112:113], -v[4:5]
	v_fmac_f64_e32 v[120:121], v[84:85], v[112:113]
	v_add_f64 v[2:3], v[2:3], v[4:5]
	v_add_f64 v[118:119], v[118:119], v[120:121]
	s_waitcnt vmcnt(2)
	v_add_f64 v[2:3], v[114:115], -v[2:3]
	s_waitcnt vmcnt(0)
	v_add_f64 v[4:5], v[116:117], -v[118:119]
	buffer_store_dword v3, off, s[0:3], 0 offset:644
	buffer_store_dword v2, off, s[0:3], 0 offset:640
	;; [unrolled: 1-line block ×4, first 2 shown]
	s_and_saveexec_b64 s[4:5], vcc
	s_cbranch_execz .LBB117_261
; %bb.260:
	v_accvgpr_read_b32 v1, a123
	buffer_load_dword v2, v1, s[0:3], 0 offen
	buffer_load_dword v3, v1, s[0:3], 0 offen offset:4
	buffer_load_dword v4, v1, s[0:3], 0 offen offset:8
	;; [unrolled: 1-line block ×3, first 2 shown]
	v_mov_b32_e32 v1, 0
	v_accvgpr_read_b32 v6, a161
	buffer_store_dword v1, off, s[0:3], 0 offset:624
	buffer_store_dword v1, off, s[0:3], 0 offset:628
	;; [unrolled: 1-line block ×4, first 2 shown]
	s_waitcnt vmcnt(4)
	ds_write_b128 v6, v[2:5]
.LBB117_261:
	s_or_b64 exec, exec, s[4:5]
	s_waitcnt lgkmcnt(0)
	; wave barrier
	s_waitcnt lgkmcnt(0)
	buffer_load_dword v2, off, s[0:3], 0 offset:640
	buffer_load_dword v3, off, s[0:3], 0 offset:644
	;; [unrolled: 1-line block ×64, first 2 shown]
	v_mov_b32_e32 v1, 0
	ds_read_b128 v[38:41], v1 offset:1488
	ds_read_b128 v[42:45], v1 offset:1504
	;; [unrolled: 1-line block ×7, first 2 shown]
	v_cmp_lt_u32_e32 vcc, 37, v0
	s_waitcnt vmcnt(60) lgkmcnt(6)
	v_mul_f64 v[62:63], v[38:39], v[4:5]
	v_fmac_f64_e32 v[62:63], v[40:41], v[2:3]
	s_waitcnt vmcnt(58) lgkmcnt(5)
	v_mul_f64 v[64:65], v[42:43], v[6:7]
	v_add_f64 v[62:63], v[62:63], 0
	s_waitcnt vmcnt(56) lgkmcnt(4)
	v_mul_f64 v[66:67], v[46:47], v[8:9]
	v_mul_f64 v[4:5], v[40:41], v[4:5]
	s_waitcnt vmcnt(54) lgkmcnt(2)
	v_mul_f64 v[70:71], v[54:55], v[10:11]
	v_fma_f64 v[2:3], v[38:39], v[2:3], -v[4:5]
	v_mul_f64 v[4:5], v[44:45], v[6:7]
	s_waitcnt vmcnt(51)
	v_mul_f64 v[68:69], v[50:51], v[14:15]
	v_add_f64 v[2:3], v[2:3], 0
	s_waitcnt vmcnt(49)
	v_fmac_f64_e32 v[64:65], v[44:45], v[20:21]
	v_add_f64 v[62:63], v[62:63], v[64:65]
	s_waitcnt vmcnt(47)
	v_fmac_f64_e32 v[66:67], v[48:49], v[18:19]
	;; [unrolled: 3-line block ×4, first 2 shown]
	v_add_f64 v[66:67], v[62:63], v[70:71]
	ds_read_b128 v[62:65], v1 offset:1584
	s_waitcnt vmcnt(40) lgkmcnt(2)
	v_mul_f64 v[68:69], v[58:59], v[26:27]
	v_fma_f64 v[4:5], v[42:43], v[20:21], -v[4:5]
	s_waitcnt vmcnt(38)
	v_fmac_f64_e32 v[68:69], v[60:61], v[28:29]
	v_add_f64 v[70:71], v[66:67], v[68:69]
	ds_read_b128 v[66:69], v1 offset:1600
	s_waitcnt vmcnt(37) lgkmcnt(1)
	v_mul_f64 v[72:73], v[62:63], v[22:23]
	s_waitcnt vmcnt(36)
	v_fmac_f64_e32 v[72:73], v[64:65], v[24:25]
	v_add_f64 v[2:3], v[2:3], v[4:5]
	v_mul_f64 v[4:5], v[48:49], v[8:9]
	v_add_f64 v[74:75], v[70:71], v[72:73]
	ds_read_b128 v[70:73], v1 offset:1616
	s_waitcnt vmcnt(32) lgkmcnt(1)
	v_mul_f64 v[76:77], v[66:67], v[34:35]
	v_fma_f64 v[4:5], v[46:47], v[18:19], -v[4:5]
	s_waitcnt vmcnt(30)
	v_fmac_f64_e32 v[76:77], v[68:69], v[36:37]
	v_add_f64 v[2:3], v[2:3], v[4:5]
	v_mul_f64 v[4:5], v[52:53], v[14:15]
	v_add_f64 v[78:79], v[74:75], v[76:77]
	ds_read_b128 v[74:77], v1 offset:1632
	v_fma_f64 v[4:5], v[50:51], v[16:17], -v[4:5]
	v_add_f64 v[2:3], v[2:3], v[4:5]
	v_mul_f64 v[4:5], v[56:57], v[10:11]
	v_fma_f64 v[4:5], v[54:55], v[12:13], -v[4:5]
	s_waitcnt vmcnt(29) lgkmcnt(1)
	v_mul_f64 v[80:81], v[70:71], v[30:31]
	v_add_f64 v[2:3], v[2:3], v[4:5]
	v_mul_f64 v[4:5], v[60:61], v[26:27]
	s_waitcnt vmcnt(28)
	v_fmac_f64_e32 v[80:81], v[72:73], v[32:33]
	v_fma_f64 v[4:5], v[58:59], v[28:29], -v[4:5]
	v_add_f64 v[82:83], v[78:79], v[80:81]
	ds_read_b128 v[78:81], v1 offset:1648
	s_waitcnt vmcnt(24) lgkmcnt(1)
	v_mul_f64 v[84:85], v[74:75], v[102:103]
	v_add_f64 v[2:3], v[2:3], v[4:5]
	v_mul_f64 v[4:5], v[64:65], v[22:23]
	s_waitcnt vmcnt(22)
	v_fmac_f64_e32 v[84:85], v[76:77], v[104:105]
	v_fma_f64 v[4:5], v[62:63], v[24:25], -v[4:5]
	v_add_f64 v[86:87], v[82:83], v[84:85]
	ds_read_b128 v[82:85], v1 offset:1664
	v_add_f64 v[2:3], v[2:3], v[4:5]
	v_mul_f64 v[4:5], v[68:69], v[34:35]
	v_fma_f64 v[4:5], v[66:67], v[36:37], -v[4:5]
	v_add_f64 v[2:3], v[2:3], v[4:5]
	v_mul_f64 v[4:5], v[72:73], v[30:31]
	s_waitcnt vmcnt(21) lgkmcnt(1)
	v_mul_f64 v[88:89], v[78:79], v[98:99]
	v_fma_f64 v[4:5], v[70:71], v[32:33], -v[4:5]
	s_waitcnt vmcnt(20)
	v_fmac_f64_e32 v[88:89], v[80:81], v[100:101]
	v_add_f64 v[2:3], v[2:3], v[4:5]
	v_mul_f64 v[4:5], v[76:77], v[102:103]
	v_add_f64 v[90:91], v[86:87], v[88:89]
	ds_read_b128 v[86:89], v1 offset:1680
	s_waitcnt vmcnt(16) lgkmcnt(1)
	v_mul_f64 v[92:93], v[82:83], v[110:111]
	v_fma_f64 v[4:5], v[74:75], v[104:105], -v[4:5]
	s_waitcnt vmcnt(14)
	v_fmac_f64_e32 v[92:93], v[84:85], v[112:113]
	v_add_f64 v[2:3], v[2:3], v[4:5]
	v_mul_f64 v[4:5], v[80:81], v[98:99]
	v_add_f64 v[126:127], v[90:91], v[92:93]
	ds_read_b128 v[90:93], v1 offset:1696
	v_fma_f64 v[4:5], v[78:79], v[100:101], -v[4:5]
	v_add_f64 v[2:3], v[2:3], v[4:5]
	v_mul_f64 v[4:5], v[84:85], v[110:111]
	v_fma_f64 v[4:5], v[82:83], v[112:113], -v[4:5]
	v_add_f64 v[2:3], v[2:3], v[4:5]
	s_waitcnt vmcnt(13) lgkmcnt(1)
	v_mul_f64 v[4:5], v[88:89], v[106:107]
	v_mul_f64 v[128:129], v[86:87], v[106:107]
	s_waitcnt vmcnt(12)
	v_fma_f64 v[4:5], v[86:87], v[108:109], -v[4:5]
	v_fmac_f64_e32 v[128:129], v[88:89], v[108:109]
	v_add_f64 v[2:3], v[2:3], v[4:5]
	s_waitcnt vmcnt(8) lgkmcnt(0)
	v_mul_f64 v[4:5], v[92:93], v[118:119]
	v_add_f64 v[126:127], v[126:127], v[128:129]
	v_mul_f64 v[128:129], v[90:91], v[118:119]
	s_waitcnt vmcnt(6)
	v_fma_f64 v[4:5], v[90:91], v[120:121], -v[4:5]
	v_fmac_f64_e32 v[128:129], v[92:93], v[120:121]
	v_add_f64 v[2:3], v[2:3], v[4:5]
	s_waitcnt vmcnt(5)
	v_mul_f64 v[4:5], v[96:97], v[114:115]
	v_add_f64 v[126:127], v[126:127], v[128:129]
	v_mul_f64 v[128:129], v[94:95], v[114:115]
	s_waitcnt vmcnt(4)
	v_fma_f64 v[4:5], v[94:95], v[116:117], -v[4:5]
	v_fmac_f64_e32 v[128:129], v[96:97], v[116:117]
	v_add_f64 v[2:3], v[2:3], v[4:5]
	v_add_f64 v[126:127], v[126:127], v[128:129]
	s_waitcnt vmcnt(2)
	v_add_f64 v[2:3], v[122:123], -v[2:3]
	s_waitcnt vmcnt(0)
	v_add_f64 v[4:5], v[124:125], -v[126:127]
	buffer_store_dword v3, off, s[0:3], 0 offset:628
	buffer_store_dword v2, off, s[0:3], 0 offset:624
	;; [unrolled: 1-line block ×4, first 2 shown]
	s_and_saveexec_b64 s[4:5], vcc
	s_cbranch_execz .LBB117_263
; %bb.262:
	v_accvgpr_read_b32 v5, a124
	buffer_load_dword v2, v5, s[0:3], 0 offen
	buffer_load_dword v3, v5, s[0:3], 0 offen offset:4
	buffer_load_dword v4, v5, s[0:3], 0 offen offset:8
	s_nop 0
	buffer_load_dword v5, v5, s[0:3], 0 offen offset:12
	v_accvgpr_read_b32 v6, a161
	buffer_store_dword v1, off, s[0:3], 0 offset:608
	buffer_store_dword v1, off, s[0:3], 0 offset:612
	;; [unrolled: 1-line block ×4, first 2 shown]
	s_waitcnt vmcnt(4)
	ds_write_b128 v6, v[2:5]
.LBB117_263:
	s_or_b64 exec, exec, s[4:5]
	s_waitcnt lgkmcnt(0)
	; wave barrier
	s_waitcnt lgkmcnt(0)
	buffer_load_dword v2, off, s[0:3], 0 offset:624
	buffer_load_dword v3, off, s[0:3], 0 offset:628
	;; [unrolled: 1-line block ×64, first 2 shown]
	ds_read_b128 v[46:49], v1 offset:1472
	ds_read_b128 v[50:53], v1 offset:1488
	;; [unrolled: 1-line block ×4, first 2 shown]
	buffer_load_dword v130, off, s[0:3], 0 offset:608
	buffer_load_dword v131, off, s[0:3], 0 offset:612
	;; [unrolled: 1-line block ×4, first 2 shown]
	v_cmp_lt_u32_e32 vcc, 36, v0
	ds_read_b128 v[106:109], v1 offset:1712
	s_waitcnt vmcnt(62) lgkmcnt(4)
	v_mul_f64 v[62:63], v[46:47], v[4:5]
	v_fmac_f64_e32 v[62:63], v[48:49], v[2:3]
	v_add_f64 v[62:63], v[62:63], 0
	s_waitcnt lgkmcnt(2)
	v_mul_f64 v[66:67], v[54:55], v[6:7]
	v_mul_f64 v[4:5], v[48:49], v[4:5]
	v_fma_f64 v[2:3], v[46:47], v[2:3], -v[4:5]
	s_waitcnt vmcnt(58) lgkmcnt(1)
	v_mul_f64 v[68:69], v[58:59], v[12:13]
	v_add_f64 v[2:3], v[2:3], 0
	s_waitcnt vmcnt(56)
	v_mul_f64 v[64:65], v[50:51], v[18:19]
	v_mul_f64 v[4:5], v[52:53], v[18:19]
	s_waitcnt vmcnt(53)
	v_fmac_f64_e32 v[66:67], v[56:57], v[16:17]
	s_waitcnt vmcnt(52)
	v_fmac_f64_e32 v[64:65], v[52:53], v[20:21]
	v_add_f64 v[70:71], v[62:63], v[64:65]
	ds_read_b128 v[62:65], v1 offset:1536
	v_add_f64 v[66:67], v[70:71], v[66:67]
	s_waitcnt vmcnt(50)
	v_fmac_f64_e32 v[68:69], v[60:61], v[14:15]
	v_add_f64 v[70:71], v[66:67], v[68:69]
	ds_read_b128 v[66:69], v1 offset:1552
	s_waitcnt vmcnt(49) lgkmcnt(1)
	v_mul_f64 v[72:73], v[62:63], v[8:9]
	s_waitcnt vmcnt(48)
	v_fmac_f64_e32 v[72:73], v[64:65], v[10:11]
	v_add_f64 v[74:75], v[70:71], v[72:73]
	ds_read_b128 v[70:73], v1 offset:1568
	s_waitcnt vmcnt(44) lgkmcnt(1)
	v_mul_f64 v[76:77], v[66:67], v[26:27]
	;; [unrolled: 6-line block ×3, first 2 shown]
	s_waitcnt vmcnt(40)
	v_fmac_f64_e32 v[80:81], v[72:73], v[24:25]
	v_add_f64 v[82:83], v[78:79], v[80:81]
	ds_read_b128 v[78:81], v1 offset:1600
	v_fma_f64 v[4:5], v[50:51], v[20:21], -v[4:5]
	v_add_f64 v[2:3], v[2:3], v[4:5]
	v_mul_f64 v[4:5], v[56:57], v[6:7]
	s_waitcnt vmcnt(36) lgkmcnt(1)
	v_mul_f64 v[84:85], v[74:75], v[34:35]
	v_fma_f64 v[4:5], v[54:55], v[16:17], -v[4:5]
	s_waitcnt vmcnt(34)
	v_fmac_f64_e32 v[84:85], v[76:77], v[36:37]
	v_add_f64 v[2:3], v[2:3], v[4:5]
	v_mul_f64 v[4:5], v[60:61], v[12:13]
	v_add_f64 v[86:87], v[82:83], v[84:85]
	ds_read_b128 v[82:85], v1 offset:1616
	s_waitcnt vmcnt(33) lgkmcnt(1)
	v_mul_f64 v[88:89], v[78:79], v[30:31]
	v_fma_f64 v[4:5], v[58:59], v[14:15], -v[4:5]
	s_waitcnt vmcnt(32)
	v_fmac_f64_e32 v[88:89], v[80:81], v[32:33]
	v_add_f64 v[2:3], v[2:3], v[4:5]
	v_mul_f64 v[4:5], v[64:65], v[8:9]
	v_add_f64 v[90:91], v[86:87], v[88:89]
	ds_read_b128 v[86:89], v1 offset:1632
	v_fma_f64 v[4:5], v[62:63], v[10:11], -v[4:5]
	v_add_f64 v[2:3], v[2:3], v[4:5]
	v_mul_f64 v[4:5], v[68:69], v[26:27]
	v_fma_f64 v[4:5], v[66:67], v[28:29], -v[4:5]
	s_waitcnt vmcnt(28) lgkmcnt(1)
	v_mul_f64 v[92:93], v[82:83], v[42:43]
	v_add_f64 v[2:3], v[2:3], v[4:5]
	v_mul_f64 v[4:5], v[72:73], v[22:23]
	s_waitcnt vmcnt(26)
	v_fmac_f64_e32 v[92:93], v[84:85], v[44:45]
	v_fma_f64 v[4:5], v[70:71], v[24:25], -v[4:5]
	v_add_f64 v[94:95], v[90:91], v[92:93]
	ds_read_b128 v[90:93], v1 offset:1648
	s_waitcnt vmcnt(25) lgkmcnt(1)
	v_mul_f64 v[96:97], v[86:87], v[38:39]
	v_add_f64 v[2:3], v[2:3], v[4:5]
	v_mul_f64 v[4:5], v[76:77], v[34:35]
	s_waitcnt vmcnt(24)
	v_fmac_f64_e32 v[96:97], v[88:89], v[40:41]
	v_fma_f64 v[4:5], v[74:75], v[36:37], -v[4:5]
	v_add_f64 v[98:99], v[94:95], v[96:97]
	ds_read_b128 v[94:97], v1 offset:1664
	v_add_f64 v[2:3], v[2:3], v[4:5]
	v_mul_f64 v[4:5], v[80:81], v[30:31]
	v_fma_f64 v[4:5], v[78:79], v[32:33], -v[4:5]
	v_add_f64 v[2:3], v[2:3], v[4:5]
	v_mul_f64 v[4:5], v[84:85], v[42:43]
	s_waitcnt vmcnt(20) lgkmcnt(1)
	v_mul_f64 v[100:101], v[90:91], v[114:115]
	v_fma_f64 v[4:5], v[82:83], v[44:45], -v[4:5]
	s_waitcnt vmcnt(18)
	v_fmac_f64_e32 v[100:101], v[92:93], v[116:117]
	v_add_f64 v[2:3], v[2:3], v[4:5]
	v_mul_f64 v[4:5], v[88:89], v[38:39]
	v_add_f64 v[102:103], v[98:99], v[100:101]
	ds_read_b128 v[98:101], v1 offset:1680
	s_waitcnt vmcnt(17) lgkmcnt(1)
	v_mul_f64 v[104:105], v[94:95], v[110:111]
	v_fma_f64 v[4:5], v[86:87], v[40:41], -v[4:5]
	s_waitcnt vmcnt(16)
	v_fmac_f64_e32 v[104:105], v[96:97], v[112:113]
	v_add_f64 v[2:3], v[2:3], v[4:5]
	v_mul_f64 v[4:5], v[92:93], v[114:115]
	v_add_f64 v[134:135], v[102:103], v[104:105]
	ds_read_b128 v[102:105], v1 offset:1696
	v_fma_f64 v[4:5], v[90:91], v[116:117], -v[4:5]
	v_add_f64 v[2:3], v[2:3], v[4:5]
	v_mul_f64 v[4:5], v[96:97], v[110:111]
	v_fma_f64 v[4:5], v[94:95], v[112:113], -v[4:5]
	v_add_f64 v[2:3], v[2:3], v[4:5]
	s_waitcnt vmcnt(12) lgkmcnt(1)
	v_mul_f64 v[4:5], v[100:101], v[122:123]
	v_mul_f64 v[136:137], v[98:99], v[122:123]
	s_waitcnt vmcnt(10)
	v_fma_f64 v[4:5], v[98:99], v[124:125], -v[4:5]
	v_fmac_f64_e32 v[136:137], v[100:101], v[124:125]
	v_add_f64 v[2:3], v[2:3], v[4:5]
	s_waitcnt vmcnt(9) lgkmcnt(0)
	v_mul_f64 v[4:5], v[104:105], v[118:119]
	v_add_f64 v[134:135], v[134:135], v[136:137]
	v_mul_f64 v[136:137], v[102:103], v[118:119]
	s_waitcnt vmcnt(8)
	v_fma_f64 v[4:5], v[102:103], v[120:121], -v[4:5]
	v_fmac_f64_e32 v[136:137], v[104:105], v[120:121]
	v_add_f64 v[2:3], v[2:3], v[4:5]
	s_waitcnt vmcnt(6)
	v_mul_f64 v[4:5], v[108:109], v[126:127]
	v_add_f64 v[134:135], v[134:135], v[136:137]
	v_mul_f64 v[136:137], v[106:107], v[126:127]
	s_waitcnt vmcnt(4)
	v_fma_f64 v[4:5], v[106:107], v[128:129], -v[4:5]
	v_fmac_f64_e32 v[136:137], v[108:109], v[128:129]
	v_add_f64 v[2:3], v[2:3], v[4:5]
	v_add_f64 v[134:135], v[134:135], v[136:137]
	s_waitcnt vmcnt(2)
	v_add_f64 v[2:3], v[130:131], -v[2:3]
	s_waitcnt vmcnt(0)
	v_add_f64 v[4:5], v[132:133], -v[134:135]
	buffer_store_dword v3, off, s[0:3], 0 offset:612
	buffer_store_dword v2, off, s[0:3], 0 offset:608
	;; [unrolled: 1-line block ×4, first 2 shown]
	s_and_saveexec_b64 s[4:5], vcc
	s_cbranch_execz .LBB117_265
; %bb.264:
	v_accvgpr_read_b32 v1, a125
	buffer_load_dword v2, v1, s[0:3], 0 offen
	buffer_load_dword v3, v1, s[0:3], 0 offen offset:4
	buffer_load_dword v4, v1, s[0:3], 0 offen offset:8
	buffer_load_dword v5, v1, s[0:3], 0 offen offset:12
	v_mov_b32_e32 v1, 0
	v_accvgpr_read_b32 v6, a161
	buffer_store_dword v1, off, s[0:3], 0 offset:592
	buffer_store_dword v1, off, s[0:3], 0 offset:596
	;; [unrolled: 1-line block ×4, first 2 shown]
	s_waitcnt vmcnt(4)
	ds_write_b128 v6, v[2:5]
.LBB117_265:
	s_or_b64 exec, exec, s[4:5]
	s_waitcnt lgkmcnt(0)
	; wave barrier
	s_waitcnt lgkmcnt(0)
	buffer_load_dword v2, off, s[0:3], 0 offset:608
	buffer_load_dword v3, off, s[0:3], 0 offset:612
	buffer_load_dword v6, off, s[0:3], 0 offset:616
	buffer_load_dword v7, off, s[0:3], 0 offset:620
	buffer_load_dword v4, off, s[0:3], 0 offset:624
	buffer_load_dword v5, off, s[0:3], 0 offset:628
	buffer_load_dword v10, off, s[0:3], 0 offset:632
	buffer_load_dword v11, off, s[0:3], 0 offset:636
	buffer_load_dword v8, off, s[0:3], 0 offset:640
	buffer_load_dword v9, off, s[0:3], 0 offset:644
	buffer_load_dword v12, off, s[0:3], 0 offset:648
	buffer_load_dword v13, off, s[0:3], 0 offset:652
	buffer_load_dword v15, off, s[0:3], 0 offset:684
	buffer_load_dword v17, off, s[0:3], 0 offset:676
	buffer_load_dword v19, off, s[0:3], 0 offset:668
	buffer_load_dword v18, off, s[0:3], 0 offset:664
	buffer_load_dword v21, off, s[0:3], 0 offset:660
	buffer_load_dword v20, off, s[0:3], 0 offset:656
	buffer_load_dword v14, off, s[0:3], 0 offset:680
	buffer_load_dword v16, off, s[0:3], 0 offset:672
	buffer_load_dword v23, off, s[0:3], 0 offset:716
	buffer_load_dword v25, off, s[0:3], 0 offset:708
	buffer_load_dword v27, off, s[0:3], 0 offset:700
	buffer_load_dword v26, off, s[0:3], 0 offset:696
	buffer_load_dword v29, off, s[0:3], 0 offset:692
	buffer_load_dword v28, off, s[0:3], 0 offset:688
	buffer_load_dword v22, off, s[0:3], 0 offset:712
	buffer_load_dword v24, off, s[0:3], 0 offset:704
	buffer_load_dword v31, off, s[0:3], 0 offset:748
	buffer_load_dword v33, off, s[0:3], 0 offset:740
	buffer_load_dword v35, off, s[0:3], 0 offset:732
	buffer_load_dword v34, off, s[0:3], 0 offset:728
	buffer_load_dword v37, off, s[0:3], 0 offset:724
	buffer_load_dword v36, off, s[0:3], 0 offset:720
	buffer_load_dword v30, off, s[0:3], 0 offset:744
	buffer_load_dword v32, off, s[0:3], 0 offset:736
	buffer_load_dword v39, off, s[0:3], 0 offset:780
	buffer_load_dword v41, off, s[0:3], 0 offset:772
	buffer_load_dword v43, off, s[0:3], 0 offset:764
	buffer_load_dword v42, off, s[0:3], 0 offset:760
	buffer_load_dword v45, off, s[0:3], 0 offset:756
	buffer_load_dword v44, off, s[0:3], 0 offset:752
	buffer_load_dword v38, off, s[0:3], 0 offset:776
	buffer_load_dword v40, off, s[0:3], 0 offset:768
	buffer_load_dword v115, off, s[0:3], 0 offset:812
	buffer_load_dword v117, off, s[0:3], 0 offset:804
	buffer_load_dword v119, off, s[0:3], 0 offset:796
	buffer_load_dword v118, off, s[0:3], 0 offset:792
	buffer_load_dword v121, off, s[0:3], 0 offset:788
	buffer_load_dword v120, off, s[0:3], 0 offset:784
	buffer_load_dword v114, off, s[0:3], 0 offset:808
	buffer_load_dword v116, off, s[0:3], 0 offset:800
	buffer_load_dword v123, off, s[0:3], 0 offset:844
	buffer_load_dword v125, off, s[0:3], 0 offset:836
	buffer_load_dword v127, off, s[0:3], 0 offset:828
	buffer_load_dword v126, off, s[0:3], 0 offset:824
	buffer_load_dword v129, off, s[0:3], 0 offset:820
	buffer_load_dword v128, off, s[0:3], 0 offset:816
	buffer_load_dword v122, off, s[0:3], 0 offset:840
	buffer_load_dword v124, off, s[0:3], 0 offset:832
	buffer_load_dword v131, off, s[0:3], 0 offset:876
	buffer_load_dword v133, off, s[0:3], 0 offset:868
	buffer_load_dword v135, off, s[0:3], 0 offset:860
	buffer_load_dword v134, off, s[0:3], 0 offset:856
	buffer_load_dword v137, off, s[0:3], 0 offset:852
	buffer_load_dword v136, off, s[0:3], 0 offset:848
	buffer_load_dword v130, off, s[0:3], 0 offset:872
	buffer_load_dword v132, off, s[0:3], 0 offset:864
	v_mov_b32_e32 v1, 0
	buffer_load_dword v138, off, s[0:3], 0 offset:592
	buffer_load_dword v139, off, s[0:3], 0 offset:596
	;; [unrolled: 1-line block ×3, first 2 shown]
	ds_read_b128 v[46:49], v1 offset:1456
	ds_read_b128 v[50:53], v1 offset:1472
	buffer_load_dword v141, off, s[0:3], 0 offset:604
	ds_read_b128 v[54:57], v1 offset:1488
	ds_read_b128 v[58:61], v1 offset:1504
	;; [unrolled: 1-line block ×3, first 2 shown]
	v_cmp_lt_u32_e32 vcc, 35, v0
	s_waitcnt vmcnt(62) lgkmcnt(4)
	v_mul_f64 v[62:63], v[46:47], v[6:7]
	v_fmac_f64_e32 v[62:63], v[48:49], v[2:3]
	v_add_f64 v[62:63], v[62:63], 0
	v_mul_f64 v[6:7], v[48:49], v[6:7]
	s_waitcnt lgkmcnt(3)
	v_mul_f64 v[64:65], v[50:51], v[10:11]
	v_fmac_f64_e32 v[64:65], v[52:53], v[4:5]
	v_add_f64 v[62:63], v[62:63], v[64:65]
	v_fma_f64 v[2:3], v[46:47], v[2:3], -v[6:7]
	s_waitcnt vmcnt(60) lgkmcnt(2)
	v_mul_f64 v[64:65], v[54:55], v[12:13]
	v_fmac_f64_e32 v[64:65], v[56:57], v[8:9]
	v_add_f64 v[66:67], v[62:63], v[64:65]
	ds_read_b128 v[62:65], v1 offset:1520
	s_waitcnt vmcnt(56) lgkmcnt(2)
	v_mul_f64 v[68:69], v[58:59], v[18:19]
	v_mul_f64 v[6:7], v[52:53], v[10:11]
	s_waitcnt vmcnt(54)
	v_fmac_f64_e32 v[68:69], v[60:61], v[20:21]
	v_add_f64 v[70:71], v[66:67], v[68:69]
	ds_read_b128 v[66:69], v1 offset:1536
	s_waitcnt vmcnt(53) lgkmcnt(1)
	v_mul_f64 v[72:73], v[62:63], v[14:15]
	s_waitcnt vmcnt(52)
	v_fmac_f64_e32 v[72:73], v[64:65], v[16:17]
	v_add_f64 v[74:75], v[70:71], v[72:73]
	ds_read_b128 v[70:73], v1 offset:1552
	s_waitcnt vmcnt(48) lgkmcnt(1)
	;; [unrolled: 6-line block ×4, first 2 shown]
	v_mul_f64 v[84:85], v[74:75], v[34:35]
	s_waitcnt vmcnt(38)
	v_fmac_f64_e32 v[84:85], v[76:77], v[36:37]
	v_add_f64 v[2:3], v[2:3], 0
	v_fma_f64 v[4:5], v[50:51], v[4:5], -v[6:7]
	v_add_f64 v[86:87], v[82:83], v[84:85]
	ds_read_b128 v[82:85], v1 offset:1600
	v_add_f64 v[2:3], v[2:3], v[4:5]
	v_mul_f64 v[4:5], v[56:57], v[12:13]
	v_fma_f64 v[4:5], v[54:55], v[8:9], -v[4:5]
	v_add_f64 v[2:3], v[2:3], v[4:5]
	v_mul_f64 v[4:5], v[60:61], v[18:19]
	s_waitcnt vmcnt(37) lgkmcnt(1)
	v_mul_f64 v[88:89], v[78:79], v[30:31]
	v_fma_f64 v[4:5], v[58:59], v[20:21], -v[4:5]
	s_waitcnt vmcnt(36)
	v_fmac_f64_e32 v[88:89], v[80:81], v[32:33]
	v_add_f64 v[2:3], v[2:3], v[4:5]
	v_mul_f64 v[4:5], v[64:65], v[14:15]
	v_add_f64 v[90:91], v[86:87], v[88:89]
	ds_read_b128 v[86:89], v1 offset:1616
	s_waitcnt vmcnt(32) lgkmcnt(1)
	v_mul_f64 v[92:93], v[82:83], v[42:43]
	v_fma_f64 v[4:5], v[62:63], v[16:17], -v[4:5]
	s_waitcnt vmcnt(30)
	v_fmac_f64_e32 v[92:93], v[84:85], v[44:45]
	v_add_f64 v[2:3], v[2:3], v[4:5]
	v_mul_f64 v[4:5], v[68:69], v[26:27]
	v_add_f64 v[94:95], v[90:91], v[92:93]
	ds_read_b128 v[90:93], v1 offset:1632
	v_fma_f64 v[4:5], v[66:67], v[28:29], -v[4:5]
	v_add_f64 v[2:3], v[2:3], v[4:5]
	v_mul_f64 v[4:5], v[72:73], v[22:23]
	v_fma_f64 v[4:5], v[70:71], v[24:25], -v[4:5]
	s_waitcnt vmcnt(29) lgkmcnt(1)
	v_mul_f64 v[96:97], v[86:87], v[38:39]
	v_add_f64 v[2:3], v[2:3], v[4:5]
	v_mul_f64 v[4:5], v[76:77], v[34:35]
	s_waitcnt vmcnt(28)
	v_fmac_f64_e32 v[96:97], v[88:89], v[40:41]
	v_fma_f64 v[4:5], v[74:75], v[36:37], -v[4:5]
	v_add_f64 v[98:99], v[94:95], v[96:97]
	ds_read_b128 v[94:97], v1 offset:1648
	s_waitcnt vmcnt(24) lgkmcnt(1)
	v_mul_f64 v[100:101], v[90:91], v[118:119]
	v_add_f64 v[2:3], v[2:3], v[4:5]
	v_mul_f64 v[4:5], v[80:81], v[30:31]
	s_waitcnt vmcnt(22)
	v_fmac_f64_e32 v[100:101], v[92:93], v[120:121]
	v_fma_f64 v[4:5], v[78:79], v[32:33], -v[4:5]
	v_add_f64 v[102:103], v[98:99], v[100:101]
	ds_read_b128 v[98:101], v1 offset:1664
	v_add_f64 v[2:3], v[2:3], v[4:5]
	v_mul_f64 v[4:5], v[84:85], v[42:43]
	v_fma_f64 v[4:5], v[82:83], v[44:45], -v[4:5]
	v_add_f64 v[2:3], v[2:3], v[4:5]
	v_mul_f64 v[4:5], v[88:89], v[38:39]
	s_waitcnt vmcnt(21) lgkmcnt(1)
	v_mul_f64 v[104:105], v[94:95], v[114:115]
	v_fma_f64 v[4:5], v[86:87], v[40:41], -v[4:5]
	s_waitcnt vmcnt(20)
	v_fmac_f64_e32 v[104:105], v[96:97], v[116:117]
	v_add_f64 v[2:3], v[2:3], v[4:5]
	v_mul_f64 v[4:5], v[92:93], v[118:119]
	v_add_f64 v[106:107], v[102:103], v[104:105]
	ds_read_b128 v[102:105], v1 offset:1680
	s_waitcnt vmcnt(16) lgkmcnt(1)
	v_mul_f64 v[108:109], v[98:99], v[126:127]
	v_fma_f64 v[4:5], v[90:91], v[120:121], -v[4:5]
	s_waitcnt vmcnt(14)
	v_fmac_f64_e32 v[108:109], v[100:101], v[128:129]
	v_add_f64 v[2:3], v[2:3], v[4:5]
	v_mul_f64 v[4:5], v[96:97], v[114:115]
	v_add_f64 v[142:143], v[106:107], v[108:109]
	ds_read_b128 v[106:109], v1 offset:1696
	v_fma_f64 v[4:5], v[94:95], v[116:117], -v[4:5]
	v_add_f64 v[2:3], v[2:3], v[4:5]
	v_mul_f64 v[4:5], v[100:101], v[126:127]
	v_fma_f64 v[4:5], v[98:99], v[128:129], -v[4:5]
	v_add_f64 v[2:3], v[2:3], v[4:5]
	s_waitcnt vmcnt(13) lgkmcnt(1)
	v_mul_f64 v[4:5], v[104:105], v[122:123]
	v_mul_f64 v[144:145], v[102:103], v[122:123]
	s_waitcnt vmcnt(12)
	v_fma_f64 v[4:5], v[102:103], v[124:125], -v[4:5]
	v_fmac_f64_e32 v[144:145], v[104:105], v[124:125]
	v_add_f64 v[2:3], v[2:3], v[4:5]
	s_waitcnt vmcnt(8) lgkmcnt(0)
	v_mul_f64 v[4:5], v[108:109], v[134:135]
	v_add_f64 v[142:143], v[142:143], v[144:145]
	v_mul_f64 v[144:145], v[106:107], v[134:135]
	s_waitcnt vmcnt(6)
	v_fma_f64 v[4:5], v[106:107], v[136:137], -v[4:5]
	v_fmac_f64_e32 v[144:145], v[108:109], v[136:137]
	v_add_f64 v[2:3], v[2:3], v[4:5]
	s_waitcnt vmcnt(5)
	v_mul_f64 v[4:5], v[112:113], v[130:131]
	v_add_f64 v[142:143], v[142:143], v[144:145]
	v_mul_f64 v[144:145], v[110:111], v[130:131]
	s_waitcnt vmcnt(4)
	v_fma_f64 v[4:5], v[110:111], v[132:133], -v[4:5]
	v_fmac_f64_e32 v[144:145], v[112:113], v[132:133]
	v_add_f64 v[2:3], v[2:3], v[4:5]
	v_add_f64 v[142:143], v[142:143], v[144:145]
	s_waitcnt vmcnt(2)
	v_add_f64 v[2:3], v[138:139], -v[2:3]
	s_waitcnt vmcnt(0)
	v_add_f64 v[4:5], v[140:141], -v[142:143]
	buffer_store_dword v3, off, s[0:3], 0 offset:596
	buffer_store_dword v2, off, s[0:3], 0 offset:592
	;; [unrolled: 1-line block ×4, first 2 shown]
	s_and_saveexec_b64 s[4:5], vcc
	s_cbranch_execz .LBB117_267
; %bb.266:
	v_accvgpr_read_b32 v5, a126
	buffer_load_dword v2, v5, s[0:3], 0 offen
	buffer_load_dword v3, v5, s[0:3], 0 offen offset:4
	buffer_load_dword v4, v5, s[0:3], 0 offen offset:8
	s_nop 0
	buffer_load_dword v5, v5, s[0:3], 0 offen offset:12
	v_accvgpr_read_b32 v6, a161
	buffer_store_dword v1, off, s[0:3], 0 offset:576
	buffer_store_dword v1, off, s[0:3], 0 offset:580
	;; [unrolled: 1-line block ×4, first 2 shown]
	s_waitcnt vmcnt(4)
	ds_write_b128 v6, v[2:5]
.LBB117_267:
	s_or_b64 exec, exec, s[4:5]
	s_waitcnt lgkmcnt(0)
	; wave barrier
	s_waitcnt lgkmcnt(0)
	buffer_load_dword v2, off, s[0:3], 0 offset:592
	buffer_load_dword v3, off, s[0:3], 0 offset:596
	;; [unrolled: 1-line block ×72, first 2 shown]
	ds_read_b128 v[52:55], v1 offset:1440
	buffer_load_dword v146, off, s[0:3], 0 offset:576
	buffer_load_dword v147, off, s[0:3], 0 offset:580
	;; [unrolled: 1-line block ×4, first 2 shown]
	ds_read_b128 v[56:59], v1 offset:1456
	ds_read_b128 v[60:63], v1 offset:1472
	;; [unrolled: 1-line block ×3, first 2 shown]
	v_cmp_lt_u32_e32 vcc, 34, v0
	ds_read_b128 v[120:123], v1 offset:1712
	s_waitcnt vmcnt(62) lgkmcnt(4)
	v_mul_f64 v[68:69], v[52:53], v[8:9]
	v_fmac_f64_e32 v[68:69], v[54:55], v[2:3]
	v_add_f64 v[68:69], v[68:69], 0
	v_mul_f64 v[8:9], v[54:55], v[8:9]
	s_waitcnt lgkmcnt(3)
	v_mul_f64 v[70:71], v[56:57], v[10:11]
	v_fmac_f64_e32 v[70:71], v[58:59], v[4:5]
	v_add_f64 v[68:69], v[68:69], v[70:71]
	v_fma_f64 v[2:3], v[52:53], v[2:3], -v[8:9]
	s_waitcnt lgkmcnt(2)
	v_mul_f64 v[70:71], v[60:61], v[12:13]
	v_fmac_f64_e32 v[70:71], v[62:63], v[6:7]
	v_add_f64 v[72:73], v[68:69], v[70:71]
	ds_read_b128 v[68:71], v1 offset:1504
	s_waitcnt vmcnt(60) lgkmcnt(2)
	v_mul_f64 v[74:75], v[64:65], v[18:19]
	v_mul_f64 v[8:9], v[58:59], v[10:11]
	s_waitcnt vmcnt(58)
	v_fmac_f64_e32 v[74:75], v[66:67], v[20:21]
	v_add_f64 v[76:77], v[72:73], v[74:75]
	ds_read_b128 v[72:75], v1 offset:1520
	s_waitcnt vmcnt(57) lgkmcnt(1)
	v_mul_f64 v[78:79], v[68:69], v[14:15]
	s_waitcnt vmcnt(56)
	v_fmac_f64_e32 v[78:79], v[70:71], v[16:17]
	v_add_f64 v[80:81], v[76:77], v[78:79]
	ds_read_b128 v[76:79], v1 offset:1536
	s_waitcnt vmcnt(52) lgkmcnt(1)
	;; [unrolled: 6-line block ×4, first 2 shown]
	v_mul_f64 v[90:91], v[80:81], v[34:35]
	s_waitcnt vmcnt(42)
	v_fmac_f64_e32 v[90:91], v[82:83], v[36:37]
	v_add_f64 v[2:3], v[2:3], 0
	v_fma_f64 v[4:5], v[56:57], v[4:5], -v[8:9]
	v_add_f64 v[92:93], v[88:89], v[90:91]
	ds_read_b128 v[88:91], v1 offset:1584
	s_waitcnt vmcnt(41) lgkmcnt(1)
	v_mul_f64 v[94:95], v[84:85], v[30:31]
	v_add_f64 v[2:3], v[2:3], v[4:5]
	v_mul_f64 v[4:5], v[62:63], v[12:13]
	s_waitcnt vmcnt(40)
	v_fmac_f64_e32 v[94:95], v[86:87], v[32:33]
	v_fma_f64 v[4:5], v[60:61], v[6:7], -v[4:5]
	v_add_f64 v[96:97], v[92:93], v[94:95]
	ds_read_b128 v[92:95], v1 offset:1600
	v_add_f64 v[2:3], v[2:3], v[4:5]
	v_mul_f64 v[4:5], v[66:67], v[18:19]
	v_fma_f64 v[4:5], v[64:65], v[20:21], -v[4:5]
	v_add_f64 v[2:3], v[2:3], v[4:5]
	v_mul_f64 v[4:5], v[70:71], v[14:15]
	s_waitcnt vmcnt(36) lgkmcnt(1)
	v_mul_f64 v[98:99], v[88:89], v[42:43]
	v_fma_f64 v[4:5], v[68:69], v[16:17], -v[4:5]
	s_waitcnt vmcnt(34)
	v_fmac_f64_e32 v[98:99], v[90:91], v[44:45]
	v_add_f64 v[2:3], v[2:3], v[4:5]
	v_mul_f64 v[4:5], v[74:75], v[26:27]
	v_add_f64 v[100:101], v[96:97], v[98:99]
	ds_read_b128 v[96:99], v1 offset:1616
	s_waitcnt vmcnt(33) lgkmcnt(1)
	v_mul_f64 v[102:103], v[92:93], v[38:39]
	v_fma_f64 v[4:5], v[72:73], v[28:29], -v[4:5]
	s_waitcnt vmcnt(32)
	v_fmac_f64_e32 v[102:103], v[94:95], v[40:41]
	v_add_f64 v[2:3], v[2:3], v[4:5]
	v_mul_f64 v[4:5], v[78:79], v[22:23]
	v_add_f64 v[104:105], v[100:101], v[102:103]
	ds_read_b128 v[100:103], v1 offset:1632
	v_fma_f64 v[4:5], v[76:77], v[24:25], -v[4:5]
	v_add_f64 v[2:3], v[2:3], v[4:5]
	v_mul_f64 v[4:5], v[82:83], v[34:35]
	v_fma_f64 v[4:5], v[80:81], v[36:37], -v[4:5]
	s_waitcnt vmcnt(28) lgkmcnt(1)
	v_mul_f64 v[106:107], v[96:97], v[50:51]
	v_add_f64 v[2:3], v[2:3], v[4:5]
	v_mul_f64 v[4:5], v[86:87], v[30:31]
	s_waitcnt vmcnt(26)
	v_fmac_f64_e32 v[106:107], v[98:99], v[124:125]
	v_fma_f64 v[4:5], v[84:85], v[32:33], -v[4:5]
	v_add_f64 v[108:109], v[104:105], v[106:107]
	ds_read_b128 v[104:107], v1 offset:1648
	s_waitcnt vmcnt(25) lgkmcnt(1)
	v_mul_f64 v[110:111], v[100:101], v[46:47]
	v_add_f64 v[2:3], v[2:3], v[4:5]
	v_mul_f64 v[4:5], v[90:91], v[42:43]
	s_waitcnt vmcnt(24)
	v_fmac_f64_e32 v[110:111], v[102:103], v[48:49]
	v_fma_f64 v[4:5], v[88:89], v[44:45], -v[4:5]
	v_add_f64 v[112:113], v[108:109], v[110:111]
	ds_read_b128 v[108:111], v1 offset:1664
	v_add_f64 v[2:3], v[2:3], v[4:5]
	v_mul_f64 v[4:5], v[94:95], v[38:39]
	v_fma_f64 v[4:5], v[92:93], v[40:41], -v[4:5]
	v_add_f64 v[2:3], v[2:3], v[4:5]
	v_mul_f64 v[4:5], v[98:99], v[50:51]
	s_waitcnt vmcnt(20) lgkmcnt(1)
	v_mul_f64 v[114:115], v[104:105], v[130:131]
	v_fma_f64 v[4:5], v[96:97], v[124:125], -v[4:5]
	s_waitcnt vmcnt(18)
	v_fmac_f64_e32 v[114:115], v[106:107], v[132:133]
	v_add_f64 v[2:3], v[2:3], v[4:5]
	v_mul_f64 v[4:5], v[102:103], v[46:47]
	v_add_f64 v[116:117], v[112:113], v[114:115]
	ds_read_b128 v[112:115], v1 offset:1680
	s_waitcnt vmcnt(17) lgkmcnt(1)
	v_mul_f64 v[118:119], v[108:109], v[126:127]
	v_fma_f64 v[4:5], v[100:101], v[48:49], -v[4:5]
	s_waitcnt vmcnt(16)
	v_fmac_f64_e32 v[118:119], v[110:111], v[128:129]
	v_add_f64 v[2:3], v[2:3], v[4:5]
	v_mul_f64 v[4:5], v[106:107], v[130:131]
	v_add_f64 v[150:151], v[116:117], v[118:119]
	ds_read_b128 v[116:119], v1 offset:1696
	v_fma_f64 v[4:5], v[104:105], v[132:133], -v[4:5]
	v_add_f64 v[2:3], v[2:3], v[4:5]
	v_mul_f64 v[4:5], v[110:111], v[126:127]
	v_fma_f64 v[4:5], v[108:109], v[128:129], -v[4:5]
	v_add_f64 v[2:3], v[2:3], v[4:5]
	s_waitcnt vmcnt(12) lgkmcnt(1)
	v_mul_f64 v[4:5], v[114:115], v[138:139]
	v_mul_f64 v[152:153], v[112:113], v[138:139]
	s_waitcnt vmcnt(10)
	v_fma_f64 v[4:5], v[112:113], v[140:141], -v[4:5]
	v_fmac_f64_e32 v[152:153], v[114:115], v[140:141]
	v_add_f64 v[2:3], v[2:3], v[4:5]
	s_waitcnt vmcnt(9) lgkmcnt(0)
	v_mul_f64 v[4:5], v[118:119], v[134:135]
	v_add_f64 v[150:151], v[150:151], v[152:153]
	v_mul_f64 v[152:153], v[116:117], v[134:135]
	s_waitcnt vmcnt(8)
	v_fma_f64 v[4:5], v[116:117], v[136:137], -v[4:5]
	v_fmac_f64_e32 v[152:153], v[118:119], v[136:137]
	v_add_f64 v[2:3], v[2:3], v[4:5]
	s_waitcnt vmcnt(6)
	v_mul_f64 v[4:5], v[122:123], v[142:143]
	v_add_f64 v[150:151], v[150:151], v[152:153]
	v_mul_f64 v[152:153], v[120:121], v[142:143]
	s_waitcnt vmcnt(4)
	v_fma_f64 v[4:5], v[120:121], v[144:145], -v[4:5]
	v_fmac_f64_e32 v[152:153], v[122:123], v[144:145]
	v_add_f64 v[2:3], v[2:3], v[4:5]
	v_add_f64 v[150:151], v[150:151], v[152:153]
	s_waitcnt vmcnt(2)
	v_add_f64 v[2:3], v[146:147], -v[2:3]
	s_waitcnt vmcnt(0)
	v_add_f64 v[4:5], v[148:149], -v[150:151]
	buffer_store_dword v3, off, s[0:3], 0 offset:580
	buffer_store_dword v2, off, s[0:3], 0 offset:576
	;; [unrolled: 1-line block ×4, first 2 shown]
	s_and_saveexec_b64 s[4:5], vcc
	s_cbranch_execz .LBB117_269
; %bb.268:
	v_accvgpr_read_b32 v1, a127
	buffer_load_dword v2, v1, s[0:3], 0 offen
	buffer_load_dword v3, v1, s[0:3], 0 offen offset:4
	buffer_load_dword v4, v1, s[0:3], 0 offen offset:8
	;; [unrolled: 1-line block ×3, first 2 shown]
	v_mov_b32_e32 v1, 0
	v_accvgpr_read_b32 v6, a161
	buffer_store_dword v1, off, s[0:3], 0 offset:560
	buffer_store_dword v1, off, s[0:3], 0 offset:564
	;; [unrolled: 1-line block ×4, first 2 shown]
	s_waitcnt vmcnt(4)
	ds_write_b128 v6, v[2:5]
.LBB117_269:
	s_or_b64 exec, exec, s[4:5]
	s_waitcnt lgkmcnt(0)
	; wave barrier
	s_waitcnt lgkmcnt(0)
	buffer_load_dword v2, off, s[0:3], 0 offset:576
	buffer_load_dword v3, off, s[0:3], 0 offset:580
	;; [unrolled: 1-line block ×76, first 2 shown]
	v_mov_b32_e32 v1, 0
	ds_read_b128 v[54:57], v1 offset:1424
	buffer_load_dword v154, off, s[0:3], 0 offset:560
	buffer_load_dword v155, off, s[0:3], 0 offset:564
	;; [unrolled: 1-line block ×4, first 2 shown]
	ds_read_b128 v[58:61], v1 offset:1440
	ds_read_b128 v[62:65], v1 offset:1456
	ds_read_b128 v[66:69], v1 offset:1472
	ds_read_b128 v[126:129], v1 offset:1712
	v_cmp_lt_u32_e32 vcc, 33, v0
	s_waitcnt vmcnt(62) lgkmcnt(4)
	v_mul_f64 v[70:71], v[54:55], v[8:9]
	v_fmac_f64_e32 v[70:71], v[56:57], v[2:3]
	v_add_f64 v[70:71], v[70:71], 0
	v_mul_f64 v[8:9], v[56:57], v[8:9]
	s_waitcnt lgkmcnt(3)
	v_mul_f64 v[72:73], v[58:59], v[10:11]
	v_fmac_f64_e32 v[72:73], v[60:61], v[4:5]
	v_add_f64 v[70:71], v[70:71], v[72:73]
	v_fma_f64 v[2:3], v[54:55], v[2:3], -v[8:9]
	s_waitcnt lgkmcnt(2)
	v_mul_f64 v[72:73], v[62:63], v[12:13]
	v_fmac_f64_e32 v[72:73], v[64:65], v[6:7]
	v_add_f64 v[74:75], v[70:71], v[72:73]
	ds_read_b128 v[70:73], v1 offset:1488
	s_waitcnt lgkmcnt(2)
	v_mul_f64 v[76:77], v[66:67], v[18:19]
	v_mul_f64 v[8:9], v[60:61], v[10:11]
	v_fmac_f64_e32 v[76:77], v[68:69], v[20:21]
	v_add_f64 v[78:79], v[74:75], v[76:77]
	ds_read_b128 v[74:77], v1 offset:1504
	s_waitcnt vmcnt(61) lgkmcnt(1)
	v_mul_f64 v[80:81], v[70:71], v[14:15]
	s_waitcnt vmcnt(60)
	v_fmac_f64_e32 v[80:81], v[72:73], v[16:17]
	v_add_f64 v[82:83], v[78:79], v[80:81]
	ds_read_b128 v[78:81], v1 offset:1520
	s_waitcnt vmcnt(56) lgkmcnt(1)
	v_mul_f64 v[84:85], v[74:75], v[26:27]
	s_waitcnt vmcnt(54)
	;; [unrolled: 6-line block ×4, first 2 shown]
	v_fmac_f64_e32 v[92:93], v[84:85], v[36:37]
	v_add_f64 v[94:95], v[90:91], v[92:93]
	ds_read_b128 v[90:93], v1 offset:1568
	v_add_f64 v[2:3], v[2:3], 0
	v_fma_f64 v[4:5], v[58:59], v[4:5], -v[8:9]
	s_waitcnt vmcnt(45) lgkmcnt(1)
	v_mul_f64 v[96:97], v[86:87], v[30:31]
	v_add_f64 v[2:3], v[2:3], v[4:5]
	v_mul_f64 v[4:5], v[64:65], v[12:13]
	s_waitcnt vmcnt(44)
	v_fmac_f64_e32 v[96:97], v[88:89], v[32:33]
	v_fma_f64 v[4:5], v[62:63], v[6:7], -v[4:5]
	v_add_f64 v[98:99], v[94:95], v[96:97]
	ds_read_b128 v[94:97], v1 offset:1584
	s_waitcnt vmcnt(40) lgkmcnt(1)
	v_mul_f64 v[100:101], v[90:91], v[42:43]
	v_add_f64 v[2:3], v[2:3], v[4:5]
	v_mul_f64 v[4:5], v[68:69], v[18:19]
	s_waitcnt vmcnt(38)
	v_fmac_f64_e32 v[100:101], v[92:93], v[44:45]
	v_fma_f64 v[4:5], v[66:67], v[20:21], -v[4:5]
	v_add_f64 v[102:103], v[98:99], v[100:101]
	ds_read_b128 v[98:101], v1 offset:1600
	v_add_f64 v[2:3], v[2:3], v[4:5]
	v_mul_f64 v[4:5], v[72:73], v[14:15]
	v_fma_f64 v[4:5], v[70:71], v[16:17], -v[4:5]
	v_add_f64 v[2:3], v[2:3], v[4:5]
	v_mul_f64 v[4:5], v[76:77], v[26:27]
	s_waitcnt vmcnt(37) lgkmcnt(1)
	v_mul_f64 v[104:105], v[94:95], v[38:39]
	v_fma_f64 v[4:5], v[74:75], v[28:29], -v[4:5]
	s_waitcnt vmcnt(36)
	v_fmac_f64_e32 v[104:105], v[96:97], v[40:41]
	v_add_f64 v[2:3], v[2:3], v[4:5]
	v_mul_f64 v[4:5], v[80:81], v[22:23]
	v_add_f64 v[106:107], v[102:103], v[104:105]
	ds_read_b128 v[102:105], v1 offset:1616
	s_waitcnt vmcnt(32) lgkmcnt(1)
	v_mul_f64 v[108:109], v[98:99], v[50:51]
	v_fma_f64 v[4:5], v[78:79], v[24:25], -v[4:5]
	s_waitcnt vmcnt(30)
	v_fmac_f64_e32 v[108:109], v[100:101], v[52:53]
	v_add_f64 v[2:3], v[2:3], v[4:5]
	v_mul_f64 v[4:5], v[84:85], v[34:35]
	v_add_f64 v[110:111], v[106:107], v[108:109]
	ds_read_b128 v[106:109], v1 offset:1632
	v_fma_f64 v[4:5], v[82:83], v[36:37], -v[4:5]
	v_add_f64 v[2:3], v[2:3], v[4:5]
	v_mul_f64 v[4:5], v[88:89], v[30:31]
	v_fma_f64 v[4:5], v[86:87], v[32:33], -v[4:5]
	s_waitcnt vmcnt(29) lgkmcnt(1)
	v_mul_f64 v[112:113], v[102:103], v[46:47]
	v_add_f64 v[2:3], v[2:3], v[4:5]
	v_mul_f64 v[4:5], v[92:93], v[42:43]
	s_waitcnt vmcnt(28)
	v_fmac_f64_e32 v[112:113], v[104:105], v[48:49]
	v_fma_f64 v[4:5], v[90:91], v[44:45], -v[4:5]
	v_add_f64 v[114:115], v[110:111], v[112:113]
	ds_read_b128 v[110:113], v1 offset:1648
	s_waitcnt vmcnt(24) lgkmcnt(1)
	v_mul_f64 v[116:117], v[106:107], v[134:135]
	v_add_f64 v[2:3], v[2:3], v[4:5]
	v_mul_f64 v[4:5], v[96:97], v[38:39]
	s_waitcnt vmcnt(22)
	v_fmac_f64_e32 v[116:117], v[108:109], v[136:137]
	v_fma_f64 v[4:5], v[94:95], v[40:41], -v[4:5]
	v_add_f64 v[118:119], v[114:115], v[116:117]
	ds_read_b128 v[114:117], v1 offset:1664
	v_add_f64 v[2:3], v[2:3], v[4:5]
	v_mul_f64 v[4:5], v[100:101], v[50:51]
	v_fma_f64 v[4:5], v[98:99], v[52:53], -v[4:5]
	v_add_f64 v[2:3], v[2:3], v[4:5]
	v_mul_f64 v[4:5], v[104:105], v[46:47]
	s_waitcnt vmcnt(21) lgkmcnt(1)
	v_mul_f64 v[120:121], v[110:111], v[130:131]
	v_fma_f64 v[4:5], v[102:103], v[48:49], -v[4:5]
	s_waitcnt vmcnt(20)
	v_fmac_f64_e32 v[120:121], v[112:113], v[132:133]
	v_add_f64 v[2:3], v[2:3], v[4:5]
	v_mul_f64 v[4:5], v[108:109], v[134:135]
	v_add_f64 v[122:123], v[118:119], v[120:121]
	ds_read_b128 v[118:121], v1 offset:1680
	s_waitcnt vmcnt(16) lgkmcnt(1)
	v_mul_f64 v[124:125], v[114:115], v[142:143]
	v_fma_f64 v[4:5], v[106:107], v[136:137], -v[4:5]
	s_waitcnt vmcnt(14)
	v_fmac_f64_e32 v[124:125], v[116:117], v[144:145]
	v_add_f64 v[2:3], v[2:3], v[4:5]
	v_mul_f64 v[4:5], v[112:113], v[130:131]
	v_add_f64 v[158:159], v[122:123], v[124:125]
	ds_read_b128 v[122:125], v1 offset:1696
	v_fma_f64 v[4:5], v[110:111], v[132:133], -v[4:5]
	v_add_f64 v[2:3], v[2:3], v[4:5]
	v_mul_f64 v[4:5], v[116:117], v[142:143]
	v_fma_f64 v[4:5], v[114:115], v[144:145], -v[4:5]
	v_add_f64 v[2:3], v[2:3], v[4:5]
	s_waitcnt vmcnt(13) lgkmcnt(1)
	v_mul_f64 v[4:5], v[120:121], v[138:139]
	v_mul_f64 v[160:161], v[118:119], v[138:139]
	s_waitcnt vmcnt(12)
	v_fma_f64 v[4:5], v[118:119], v[140:141], -v[4:5]
	v_fmac_f64_e32 v[160:161], v[120:121], v[140:141]
	v_add_f64 v[2:3], v[2:3], v[4:5]
	s_waitcnt vmcnt(8) lgkmcnt(0)
	v_mul_f64 v[4:5], v[124:125], v[150:151]
	v_add_f64 v[158:159], v[158:159], v[160:161]
	v_mul_f64 v[160:161], v[122:123], v[150:151]
	s_waitcnt vmcnt(6)
	v_fma_f64 v[4:5], v[122:123], v[152:153], -v[4:5]
	v_fmac_f64_e32 v[160:161], v[124:125], v[152:153]
	v_add_f64 v[2:3], v[2:3], v[4:5]
	s_waitcnt vmcnt(5)
	v_mul_f64 v[4:5], v[128:129], v[146:147]
	v_add_f64 v[158:159], v[158:159], v[160:161]
	v_mul_f64 v[160:161], v[126:127], v[146:147]
	s_waitcnt vmcnt(4)
	v_fma_f64 v[4:5], v[126:127], v[148:149], -v[4:5]
	v_fmac_f64_e32 v[160:161], v[128:129], v[148:149]
	v_add_f64 v[2:3], v[2:3], v[4:5]
	v_add_f64 v[158:159], v[158:159], v[160:161]
	s_waitcnt vmcnt(2)
	v_add_f64 v[2:3], v[154:155], -v[2:3]
	s_waitcnt vmcnt(0)
	v_add_f64 v[4:5], v[156:157], -v[158:159]
	buffer_store_dword v3, off, s[0:3], 0 offset:564
	buffer_store_dword v2, off, s[0:3], 0 offset:560
	buffer_store_dword v5, off, s[0:3], 0 offset:572
	buffer_store_dword v4, off, s[0:3], 0 offset:568
	s_and_saveexec_b64 s[4:5], vcc
	s_cbranch_execz .LBB117_271
; %bb.270:
	v_accvgpr_read_b32 v5, a128
	buffer_load_dword v2, v5, s[0:3], 0 offen
	buffer_load_dword v3, v5, s[0:3], 0 offen offset:4
	buffer_load_dword v4, v5, s[0:3], 0 offen offset:8
	s_nop 0
	buffer_load_dword v5, v5, s[0:3], 0 offen offset:12
	v_accvgpr_read_b32 v6, a161
	buffer_store_dword v1, off, s[0:3], 0 offset:544
	buffer_store_dword v1, off, s[0:3], 0 offset:548
	;; [unrolled: 1-line block ×4, first 2 shown]
	s_waitcnt vmcnt(4)
	ds_write_b128 v6, v[2:5]
.LBB117_271:
	s_or_b64 exec, exec, s[4:5]
	s_waitcnt lgkmcnt(0)
	; wave barrier
	s_waitcnt lgkmcnt(0)
	buffer_load_dword v2, off, s[0:3], 0 offset:560
	buffer_load_dword v3, off, s[0:3], 0 offset:564
	;; [unrolled: 1-line block ×76, first 2 shown]
	ds_read_b128 v[54:57], v1 offset:1408
	buffer_load_dword v159, off, s[0:3], 0 offset:876
	buffer_load_dword v158, off, s[0:3], 0 offset:872
	buffer_load_dword v161, off, s[0:3], 0 offset:868
	buffer_load_dword v160, off, s[0:3], 0 offset:864
	buffer_load_dword v162, off, s[0:3], 0 offset:544
	buffer_load_dword v163, off, s[0:3], 0 offset:548
	buffer_load_dword v164, off, s[0:3], 0 offset:552
	buffer_load_dword v165, off, s[0:3], 0 offset:556
	ds_read_b128 v[58:61], v1 offset:1424
	ds_read_b128 v[62:65], v1 offset:1440
	ds_read_b128 v[66:69], v1 offset:1456
	v_cmp_lt_u32_e32 vcc, 32, v0
	ds_read_b128 v[130:133], v1 offset:1712
	s_waitcnt vmcnt(62) lgkmcnt(4)
	v_mul_f64 v[70:71], v[54:55], v[8:9]
	v_fmac_f64_e32 v[70:71], v[56:57], v[2:3]
	v_add_f64 v[70:71], v[70:71], 0
	v_mul_f64 v[8:9], v[56:57], v[8:9]
	s_waitcnt lgkmcnt(3)
	v_mul_f64 v[72:73], v[58:59], v[10:11]
	v_fmac_f64_e32 v[72:73], v[60:61], v[4:5]
	v_add_f64 v[70:71], v[70:71], v[72:73]
	v_fma_f64 v[2:3], v[54:55], v[2:3], -v[8:9]
	s_waitcnt lgkmcnt(2)
	v_mul_f64 v[72:73], v[62:63], v[12:13]
	v_fmac_f64_e32 v[72:73], v[64:65], v[6:7]
	v_add_f64 v[74:75], v[70:71], v[72:73]
	ds_read_b128 v[70:73], v1 offset:1472
	v_mul_f64 v[8:9], v[60:61], v[10:11]
	v_add_f64 v[2:3], v[2:3], 0
	s_waitcnt lgkmcnt(2)
	v_mul_f64 v[76:77], v[66:67], v[18:19]
	v_fma_f64 v[4:5], v[58:59], v[4:5], -v[8:9]
	v_fmac_f64_e32 v[76:77], v[68:69], v[20:21]
	v_add_f64 v[78:79], v[74:75], v[76:77]
	ds_read_b128 v[74:77], v1 offset:1488
	s_waitcnt lgkmcnt(1)
	v_mul_f64 v[80:81], v[70:71], v[14:15]
	v_fmac_f64_e32 v[80:81], v[72:73], v[16:17]
	v_add_f64 v[82:83], v[78:79], v[80:81]
	ds_read_b128 v[78:81], v1 offset:1504
	s_waitcnt vmcnt(58) lgkmcnt(1)
	v_mul_f64 v[84:85], v[74:75], v[26:27]
	s_waitcnt vmcnt(56)
	v_fmac_f64_e32 v[84:85], v[76:77], v[28:29]
	v_add_f64 v[86:87], v[82:83], v[84:85]
	ds_read_b128 v[82:85], v1 offset:1520
	s_waitcnt lgkmcnt(1)
	v_mul_f64 v[88:89], v[78:79], v[22:23]
	v_fmac_f64_e32 v[88:89], v[80:81], v[24:25]
	v_add_f64 v[90:91], v[86:87], v[88:89]
	ds_read_b128 v[86:89], v1 offset:1536
	s_waitcnt vmcnt(50) lgkmcnt(1)
	v_mul_f64 v[92:93], v[82:83], v[34:35]
	s_waitcnt vmcnt(48)
	v_fmac_f64_e32 v[92:93], v[84:85], v[36:37]
	v_add_f64 v[94:95], v[90:91], v[92:93]
	ds_read_b128 v[90:93], v1 offset:1552
	s_waitcnt lgkmcnt(1)
	v_mul_f64 v[96:97], v[86:87], v[30:31]
	v_fmac_f64_e32 v[96:97], v[88:89], v[32:33]
	v_add_f64 v[98:99], v[94:95], v[96:97]
	ds_read_b128 v[94:97], v1 offset:1568
	v_add_f64 v[2:3], v[2:3], v[4:5]
	v_mul_f64 v[4:5], v[64:65], v[12:13]
	v_fma_f64 v[4:5], v[62:63], v[6:7], -v[4:5]
	s_waitcnt vmcnt(42) lgkmcnt(1)
	v_mul_f64 v[100:101], v[90:91], v[42:43]
	v_add_f64 v[2:3], v[2:3], v[4:5]
	v_mul_f64 v[4:5], v[68:69], v[18:19]
	s_waitcnt vmcnt(40)
	v_fmac_f64_e32 v[100:101], v[92:93], v[44:45]
	v_fma_f64 v[4:5], v[66:67], v[20:21], -v[4:5]
	v_add_f64 v[102:103], v[98:99], v[100:101]
	ds_read_b128 v[98:101], v1 offset:1584
	s_waitcnt lgkmcnt(1)
	v_mul_f64 v[104:105], v[94:95], v[38:39]
	v_add_f64 v[2:3], v[2:3], v[4:5]
	v_mul_f64 v[4:5], v[72:73], v[14:15]
	v_fmac_f64_e32 v[104:105], v[96:97], v[40:41]
	v_fma_f64 v[4:5], v[70:71], v[16:17], -v[4:5]
	v_add_f64 v[106:107], v[102:103], v[104:105]
	ds_read_b128 v[102:105], v1 offset:1600
	v_add_f64 v[2:3], v[2:3], v[4:5]
	v_mul_f64 v[4:5], v[76:77], v[26:27]
	v_fma_f64 v[4:5], v[74:75], v[28:29], -v[4:5]
	v_add_f64 v[2:3], v[2:3], v[4:5]
	v_mul_f64 v[4:5], v[80:81], v[22:23]
	s_waitcnt vmcnt(34) lgkmcnt(1)
	v_mul_f64 v[108:109], v[98:99], v[50:51]
	v_fma_f64 v[4:5], v[78:79], v[24:25], -v[4:5]
	s_waitcnt vmcnt(32)
	v_fmac_f64_e32 v[108:109], v[100:101], v[52:53]
	v_add_f64 v[2:3], v[2:3], v[4:5]
	v_mul_f64 v[4:5], v[84:85], v[34:35]
	v_add_f64 v[110:111], v[106:107], v[108:109]
	ds_read_b128 v[106:109], v1 offset:1616
	s_waitcnt lgkmcnt(1)
	v_mul_f64 v[112:113], v[102:103], v[46:47]
	v_fma_f64 v[4:5], v[82:83], v[36:37], -v[4:5]
	v_fmac_f64_e32 v[112:113], v[104:105], v[48:49]
	v_add_f64 v[2:3], v[2:3], v[4:5]
	v_mul_f64 v[4:5], v[88:89], v[30:31]
	v_add_f64 v[114:115], v[110:111], v[112:113]
	ds_read_b128 v[110:113], v1 offset:1632
	v_fma_f64 v[4:5], v[86:87], v[32:33], -v[4:5]
	v_add_f64 v[2:3], v[2:3], v[4:5]
	v_mul_f64 v[4:5], v[92:93], v[42:43]
	v_fma_f64 v[4:5], v[90:91], v[44:45], -v[4:5]
	s_waitcnt vmcnt(26) lgkmcnt(1)
	v_mul_f64 v[116:117], v[106:107], v[138:139]
	v_add_f64 v[2:3], v[2:3], v[4:5]
	v_mul_f64 v[4:5], v[96:97], v[38:39]
	s_waitcnt vmcnt(24)
	v_fmac_f64_e32 v[116:117], v[108:109], v[140:141]
	v_fma_f64 v[4:5], v[94:95], v[40:41], -v[4:5]
	v_add_f64 v[118:119], v[114:115], v[116:117]
	ds_read_b128 v[114:117], v1 offset:1648
	s_waitcnt lgkmcnt(1)
	v_mul_f64 v[120:121], v[110:111], v[134:135]
	v_add_f64 v[2:3], v[2:3], v[4:5]
	v_mul_f64 v[4:5], v[100:101], v[50:51]
	v_fmac_f64_e32 v[120:121], v[112:113], v[136:137]
	v_fma_f64 v[4:5], v[98:99], v[52:53], -v[4:5]
	v_add_f64 v[122:123], v[118:119], v[120:121]
	ds_read_b128 v[118:121], v1 offset:1664
	v_add_f64 v[2:3], v[2:3], v[4:5]
	v_mul_f64 v[4:5], v[104:105], v[46:47]
	v_fma_f64 v[4:5], v[102:103], v[48:49], -v[4:5]
	v_add_f64 v[2:3], v[2:3], v[4:5]
	v_mul_f64 v[4:5], v[108:109], v[138:139]
	s_waitcnt vmcnt(18) lgkmcnt(1)
	v_mul_f64 v[124:125], v[114:115], v[146:147]
	v_fma_f64 v[4:5], v[106:107], v[140:141], -v[4:5]
	s_waitcnt vmcnt(16)
	v_fmac_f64_e32 v[124:125], v[116:117], v[148:149]
	v_add_f64 v[2:3], v[2:3], v[4:5]
	v_mul_f64 v[4:5], v[112:113], v[134:135]
	v_add_f64 v[126:127], v[122:123], v[124:125]
	ds_read_b128 v[122:125], v1 offset:1680
	s_waitcnt lgkmcnt(1)
	v_mul_f64 v[128:129], v[118:119], v[142:143]
	v_fma_f64 v[4:5], v[110:111], v[136:137], -v[4:5]
	v_fmac_f64_e32 v[128:129], v[120:121], v[144:145]
	v_add_f64 v[2:3], v[2:3], v[4:5]
	v_mul_f64 v[4:5], v[116:117], v[146:147]
	v_add_f64 v[166:167], v[126:127], v[128:129]
	ds_read_b128 v[126:129], v1 offset:1696
	v_fma_f64 v[4:5], v[114:115], v[148:149], -v[4:5]
	v_add_f64 v[2:3], v[2:3], v[4:5]
	v_mul_f64 v[4:5], v[120:121], v[142:143]
	v_fma_f64 v[4:5], v[118:119], v[144:145], -v[4:5]
	v_add_f64 v[2:3], v[2:3], v[4:5]
	s_waitcnt vmcnt(10) lgkmcnt(1)
	v_mul_f64 v[4:5], v[124:125], v[154:155]
	v_mul_f64 v[168:169], v[122:123], v[154:155]
	s_waitcnt vmcnt(8)
	v_fma_f64 v[4:5], v[122:123], v[156:157], -v[4:5]
	v_fmac_f64_e32 v[168:169], v[124:125], v[156:157]
	v_add_f64 v[2:3], v[2:3], v[4:5]
	s_waitcnt lgkmcnt(0)
	v_mul_f64 v[4:5], v[128:129], v[150:151]
	v_add_f64 v[166:167], v[166:167], v[168:169]
	v_mul_f64 v[168:169], v[126:127], v[150:151]
	v_fma_f64 v[4:5], v[126:127], v[152:153], -v[4:5]
	v_fmac_f64_e32 v[168:169], v[128:129], v[152:153]
	v_add_f64 v[2:3], v[2:3], v[4:5]
	s_waitcnt vmcnt(6)
	v_mul_f64 v[4:5], v[132:133], v[158:159]
	v_add_f64 v[166:167], v[166:167], v[168:169]
	v_mul_f64 v[168:169], v[130:131], v[158:159]
	s_waitcnt vmcnt(4)
	v_fma_f64 v[4:5], v[130:131], v[160:161], -v[4:5]
	v_fmac_f64_e32 v[168:169], v[132:133], v[160:161]
	v_add_f64 v[2:3], v[2:3], v[4:5]
	v_add_f64 v[166:167], v[166:167], v[168:169]
	s_waitcnt vmcnt(2)
	v_add_f64 v[2:3], v[162:163], -v[2:3]
	s_waitcnt vmcnt(0)
	v_add_f64 v[4:5], v[164:165], -v[166:167]
	buffer_store_dword v3, off, s[0:3], 0 offset:548
	buffer_store_dword v2, off, s[0:3], 0 offset:544
	;; [unrolled: 1-line block ×4, first 2 shown]
	s_and_saveexec_b64 s[4:5], vcc
	s_cbranch_execz .LBB117_273
; %bb.272:
	v_accvgpr_read_b32 v1, a129
	buffer_load_dword v2, v1, s[0:3], 0 offen
	buffer_load_dword v3, v1, s[0:3], 0 offen offset:4
	buffer_load_dword v4, v1, s[0:3], 0 offen offset:8
	buffer_load_dword v5, v1, s[0:3], 0 offen offset:12
	v_mov_b32_e32 v1, 0
	v_accvgpr_read_b32 v6, a161
	buffer_store_dword v1, off, s[0:3], 0 offset:528
	buffer_store_dword v1, off, s[0:3], 0 offset:532
	;; [unrolled: 1-line block ×4, first 2 shown]
	s_waitcnt vmcnt(4)
	ds_write_b128 v6, v[2:5]
.LBB117_273:
	s_or_b64 exec, exec, s[4:5]
	s_waitcnt lgkmcnt(0)
	; wave barrier
	s_waitcnt lgkmcnt(0)
	buffer_load_dword v4, off, s[0:3], 0 offset:528
	buffer_load_dword v5, off, s[0:3], 0 offset:532
	;; [unrolled: 1-line block ×84, first 2 shown]
	v_mov_b32_e32 v1, 0
	ds_read_b128 v[66:69], v1 offset:1392
	buffer_load_dword v171, off, s[0:3], 0 offset:876
	buffer_load_dword v170, off, s[0:3], 0 offset:872
	;; [unrolled: 1-line block ×4, first 2 shown]
	ds_read_b128 v[70:73], v1 offset:1408
	ds_read_b128 v[74:77], v1 offset:1424
	;; [unrolled: 1-line block ×4, first 2 shown]
	v_cmp_lt_u32_e32 vcc, 31, v0
	s_waitcnt vmcnt(62) lgkmcnt(4)
	v_mul_f64 v[82:83], v[66:67], v[12:13]
	v_fmac_f64_e32 v[82:83], v[68:69], v[6:7]
	s_waitcnt lgkmcnt(3)
	v_mul_f64 v[84:85], v[70:71], v[14:15]
	v_add_f64 v[82:83], v[82:83], 0
	v_fmac_f64_e32 v[84:85], v[72:73], v[8:9]
	v_add_f64 v[82:83], v[82:83], v[84:85]
	s_waitcnt lgkmcnt(2)
	v_mul_f64 v[84:85], v[74:75], v[16:17]
	v_fmac_f64_e32 v[84:85], v[76:77], v[10:11]
	v_add_f64 v[86:87], v[82:83], v[84:85]
	ds_read_b128 v[82:85], v1 offset:1456
	v_mul_f64 v[12:13], v[68:69], v[12:13]
	s_waitcnt lgkmcnt(2)
	v_mul_f64 v[88:89], v[78:79], v[22:23]
	v_fma_f64 v[6:7], v[66:67], v[6:7], -v[12:13]
	v_fmac_f64_e32 v[88:89], v[80:81], v[24:25]
	v_add_f64 v[90:91], v[86:87], v[88:89]
	ds_read_b128 v[86:89], v1 offset:1472
	s_waitcnt lgkmcnt(1)
	v_mul_f64 v[92:93], v[82:83], v[18:19]
	v_fmac_f64_e32 v[92:93], v[84:85], v[20:21]
	v_add_f64 v[94:95], v[90:91], v[92:93]
	ds_read_b128 v[90:93], v1 offset:1488
	s_waitcnt vmcnt(58) lgkmcnt(1)
	v_mul_f64 v[96:97], v[86:87], v[30:31]
	s_waitcnt vmcnt(56)
	v_fmac_f64_e32 v[96:97], v[88:89], v[32:33]
	v_add_f64 v[98:99], v[94:95], v[96:97]
	ds_read_b128 v[94:97], v1 offset:1504
	s_waitcnt lgkmcnt(1)
	v_mul_f64 v[100:101], v[90:91], v[26:27]
	v_fmac_f64_e32 v[100:101], v[92:93], v[28:29]
	v_add_f64 v[102:103], v[98:99], v[100:101]
	ds_read_b128 v[98:101], v1 offset:1520
	s_waitcnt vmcnt(50) lgkmcnt(1)
	v_mul_f64 v[104:105], v[94:95], v[38:39]
	s_waitcnt vmcnt(48)
	v_fmac_f64_e32 v[104:105], v[96:97], v[40:41]
	v_add_f64 v[106:107], v[102:103], v[104:105]
	ds_read_b128 v[102:105], v1 offset:1536
	s_waitcnt lgkmcnt(1)
	v_mul_f64 v[108:109], v[98:99], v[34:35]
	v_fmac_f64_e32 v[108:109], v[100:101], v[36:37]
	v_mul_f64 v[12:13], v[72:73], v[14:15]
	v_add_f64 v[110:111], v[106:107], v[108:109]
	ds_read_b128 v[106:109], v1 offset:1552
	s_waitcnt vmcnt(42) lgkmcnt(1)
	v_mul_f64 v[112:113], v[102:103], v[46:47]
	v_add_f64 v[6:7], v[6:7], 0
	v_fma_f64 v[8:9], v[70:71], v[8:9], -v[12:13]
	s_waitcnt vmcnt(40)
	v_fmac_f64_e32 v[112:113], v[104:105], v[48:49]
	v_add_f64 v[6:7], v[6:7], v[8:9]
	v_mul_f64 v[8:9], v[76:77], v[16:17]
	v_add_f64 v[114:115], v[110:111], v[112:113]
	ds_read_b128 v[110:113], v1 offset:1568
	v_fma_f64 v[8:9], v[74:75], v[10:11], -v[8:9]
	v_add_f64 v[6:7], v[6:7], v[8:9]
	v_mul_f64 v[8:9], v[80:81], v[22:23]
	v_fma_f64 v[8:9], v[78:79], v[24:25], -v[8:9]
	s_waitcnt lgkmcnt(1)
	v_mul_f64 v[116:117], v[106:107], v[42:43]
	v_add_f64 v[6:7], v[6:7], v[8:9]
	v_mul_f64 v[8:9], v[84:85], v[18:19]
	v_fmac_f64_e32 v[116:117], v[108:109], v[44:45]
	v_fma_f64 v[8:9], v[82:83], v[20:21], -v[8:9]
	v_add_f64 v[118:119], v[114:115], v[116:117]
	ds_read_b128 v[114:117], v1 offset:1584
	s_waitcnt vmcnt(34) lgkmcnt(1)
	v_mul_f64 v[120:121], v[110:111], v[54:55]
	v_add_f64 v[6:7], v[6:7], v[8:9]
	v_mul_f64 v[8:9], v[88:89], v[30:31]
	s_waitcnt vmcnt(32)
	v_fmac_f64_e32 v[120:121], v[112:113], v[56:57]
	v_fma_f64 v[8:9], v[86:87], v[32:33], -v[8:9]
	v_add_f64 v[122:123], v[118:119], v[120:121]
	ds_read_b128 v[118:121], v1 offset:1600
	v_add_f64 v[6:7], v[6:7], v[8:9]
	v_mul_f64 v[8:9], v[92:93], v[26:27]
	v_fma_f64 v[8:9], v[90:91], v[28:29], -v[8:9]
	v_add_f64 v[6:7], v[6:7], v[8:9]
	v_mul_f64 v[8:9], v[96:97], v[38:39]
	s_waitcnt lgkmcnt(1)
	v_mul_f64 v[124:125], v[114:115], v[50:51]
	v_fma_f64 v[8:9], v[94:95], v[40:41], -v[8:9]
	v_fmac_f64_e32 v[124:125], v[116:117], v[52:53]
	v_add_f64 v[6:7], v[6:7], v[8:9]
	v_mul_f64 v[8:9], v[100:101], v[34:35]
	v_add_f64 v[126:127], v[122:123], v[124:125]
	ds_read_b128 v[122:125], v1 offset:1616
	s_waitcnt vmcnt(26) lgkmcnt(1)
	v_mul_f64 v[128:129], v[118:119], v[62:63]
	v_fma_f64 v[8:9], v[98:99], v[36:37], -v[8:9]
	s_waitcnt vmcnt(24)
	v_fmac_f64_e32 v[128:129], v[120:121], v[64:65]
	v_add_f64 v[6:7], v[6:7], v[8:9]
	v_mul_f64 v[8:9], v[104:105], v[46:47]
	v_add_f64 v[130:131], v[126:127], v[128:129]
	ds_read_b128 v[126:129], v1 offset:1632
	v_fma_f64 v[8:9], v[102:103], v[48:49], -v[8:9]
	v_add_f64 v[6:7], v[6:7], v[8:9]
	v_mul_f64 v[8:9], v[108:109], v[42:43]
	v_fma_f64 v[8:9], v[106:107], v[44:45], -v[8:9]
	s_waitcnt lgkmcnt(1)
	v_mul_f64 v[132:133], v[122:123], v[58:59]
	v_add_f64 v[6:7], v[6:7], v[8:9]
	v_mul_f64 v[8:9], v[112:113], v[54:55]
	v_fmac_f64_e32 v[132:133], v[124:125], v[60:61]
	v_fma_f64 v[8:9], v[110:111], v[56:57], -v[8:9]
	v_add_f64 v[134:135], v[130:131], v[132:133]
	ds_read_b128 v[130:133], v1 offset:1648
	s_waitcnt vmcnt(18) lgkmcnt(1)
	v_mul_f64 v[136:137], v[126:127], v[154:155]
	v_add_f64 v[6:7], v[6:7], v[8:9]
	v_mul_f64 v[8:9], v[116:117], v[50:51]
	s_waitcnt vmcnt(16)
	v_fmac_f64_e32 v[136:137], v[128:129], v[156:157]
	v_fma_f64 v[8:9], v[114:115], v[52:53], -v[8:9]
	v_add_f64 v[138:139], v[134:135], v[136:137]
	ds_read_b128 v[134:137], v1 offset:1664
	v_add_f64 v[6:7], v[6:7], v[8:9]
	v_mul_f64 v[8:9], v[120:121], v[62:63]
	v_fma_f64 v[8:9], v[118:119], v[64:65], -v[8:9]
	v_add_f64 v[6:7], v[6:7], v[8:9]
	v_mul_f64 v[8:9], v[124:125], v[58:59]
	s_waitcnt lgkmcnt(1)
	v_mul_f64 v[140:141], v[130:131], v[150:151]
	v_fma_f64 v[8:9], v[122:123], v[60:61], -v[8:9]
	v_fmac_f64_e32 v[140:141], v[132:133], v[152:153]
	v_add_f64 v[6:7], v[6:7], v[8:9]
	v_mul_f64 v[8:9], v[128:129], v[154:155]
	v_add_f64 v[142:143], v[138:139], v[140:141]
	ds_read_b128 v[138:141], v1 offset:1680
	s_waitcnt vmcnt(10) lgkmcnt(1)
	v_mul_f64 v[144:145], v[134:135], v[162:163]
	v_fma_f64 v[8:9], v[126:127], v[156:157], -v[8:9]
	s_waitcnt vmcnt(8)
	v_fmac_f64_e32 v[144:145], v[136:137], v[164:165]
	v_add_f64 v[6:7], v[6:7], v[8:9]
	v_mul_f64 v[8:9], v[132:133], v[150:151]
	v_add_f64 v[174:175], v[142:143], v[144:145]
	ds_read_b128 v[142:145], v1 offset:1696
	v_fma_f64 v[8:9], v[130:131], v[152:153], -v[8:9]
	v_add_f64 v[6:7], v[6:7], v[8:9]
	v_mul_f64 v[8:9], v[136:137], v[162:163]
	v_fma_f64 v[8:9], v[134:135], v[164:165], -v[8:9]
	v_add_f64 v[6:7], v[6:7], v[8:9]
	s_waitcnt lgkmcnt(1)
	v_mul_f64 v[8:9], v[140:141], v[158:159]
	v_mul_f64 v[176:177], v[138:139], v[158:159]
	v_fma_f64 v[8:9], v[138:139], v[160:161], -v[8:9]
	v_fmac_f64_e32 v[176:177], v[140:141], v[160:161]
	v_add_f64 v[6:7], v[6:7], v[8:9]
	s_waitcnt vmcnt(6) lgkmcnt(0)
	v_mul_f64 v[8:9], v[144:145], v[166:167]
	v_add_f64 v[174:175], v[174:175], v[176:177]
	v_mul_f64 v[176:177], v[142:143], v[166:167]
	s_waitcnt vmcnt(4)
	v_fma_f64 v[8:9], v[142:143], v[168:169], -v[8:9]
	v_fmac_f64_e32 v[176:177], v[144:145], v[168:169]
	v_add_f64 v[6:7], v[6:7], v[8:9]
	s_waitcnt vmcnt(2)
	v_mul_f64 v[8:9], v[148:149], v[170:171]
	v_add_f64 v[174:175], v[174:175], v[176:177]
	v_mul_f64 v[176:177], v[146:147], v[170:171]
	s_waitcnt vmcnt(0)
	v_fma_f64 v[8:9], v[146:147], v[172:173], -v[8:9]
	v_fmac_f64_e32 v[176:177], v[148:149], v[172:173]
	v_add_f64 v[6:7], v[6:7], v[8:9]
	v_add_f64 v[174:175], v[174:175], v[176:177]
	v_add_f64 v[4:5], v[4:5], -v[6:7]
	v_add_f64 v[2:3], v[2:3], -v[174:175]
	buffer_store_dword v5, off, s[0:3], 0 offset:532
	buffer_store_dword v4, off, s[0:3], 0 offset:528
	;; [unrolled: 1-line block ×4, first 2 shown]
	s_and_saveexec_b64 s[4:5], vcc
	s_cbranch_execz .LBB117_275
; %bb.274:
	v_accvgpr_read_b32 v5, a130
	buffer_load_dword v2, v5, s[0:3], 0 offen
	buffer_load_dword v3, v5, s[0:3], 0 offen offset:4
	buffer_load_dword v4, v5, s[0:3], 0 offen offset:8
	s_nop 0
	buffer_load_dword v5, v5, s[0:3], 0 offen offset:12
	v_accvgpr_read_b32 v6, a161
	buffer_store_dword v1, off, s[0:3], 0 offset:512
	buffer_store_dword v1, off, s[0:3], 0 offset:516
	;; [unrolled: 1-line block ×4, first 2 shown]
	s_waitcnt vmcnt(4)
	ds_write_b128 v6, v[2:5]
.LBB117_275:
	s_or_b64 exec, exec, s[4:5]
	s_waitcnt lgkmcnt(0)
	; wave barrier
	s_waitcnt lgkmcnt(0)
	ds_read_b128 v[14:17], v1 offset:1376
	ds_read_b128 v[10:13], v1 offset:1392
	;; [unrolled: 1-line block ×4, first 2 shown]
	buffer_load_dword v20, off, s[0:3], 0 offset:512
	buffer_load_dword v21, off, s[0:3], 0 offset:516
	;; [unrolled: 1-line block ×92, first 2 shown]
	s_waitcnt vmcnt(62) lgkmcnt(3)
	v_mul_f64 v[86:87], v[14:15], v[28:29]
	v_fmac_f64_e32 v[86:87], v[16:17], v[22:23]
	s_waitcnt lgkmcnt(2)
	v_mul_f64 v[88:89], v[10:11], v[30:31]
	v_add_f64 v[86:87], v[86:87], 0
	v_fmac_f64_e32 v[88:89], v[12:13], v[24:25]
	v_add_f64 v[86:87], v[86:87], v[88:89]
	s_waitcnt lgkmcnt(1)
	v_mul_f64 v[88:89], v[6:7], v[32:33]
	v_fmac_f64_e32 v[88:89], v[8:9], v[26:27]
	v_add_f64 v[90:91], v[86:87], v[88:89]
	ds_read_b128 v[86:89], v1 offset:1440
	v_mul_f64 v[16:17], v[16:17], v[28:29]
	v_fma_f64 v[14:15], v[14:15], v[22:23], -v[16:17]
	s_waitcnt lgkmcnt(1)
	v_mul_f64 v[92:93], v[2:3], v[38:39]
	v_mul_f64 v[12:13], v[12:13], v[30:31]
	v_fmac_f64_e32 v[92:93], v[4:5], v[40:41]
	v_add_f64 v[94:95], v[90:91], v[92:93]
	ds_read_b128 v[90:93], v1 offset:1456
	s_waitcnt lgkmcnt(1)
	v_mul_f64 v[96:97], v[86:87], v[34:35]
	v_fmac_f64_e32 v[96:97], v[88:89], v[36:37]
	v_add_f64 v[98:99], v[94:95], v[96:97]
	ds_read_b128 v[94:97], v1 offset:1472
	s_waitcnt lgkmcnt(1)
	v_mul_f64 v[100:101], v[90:91], v[46:47]
	s_waitcnt vmcnt(60)
	v_fmac_f64_e32 v[100:101], v[92:93], v[48:49]
	v_add_f64 v[102:103], v[98:99], v[100:101]
	ds_read_b128 v[98:101], v1 offset:1488
	s_waitcnt lgkmcnt(1)
	v_mul_f64 v[104:105], v[94:95], v[42:43]
	v_fmac_f64_e32 v[104:105], v[96:97], v[44:45]
	v_add_f64 v[106:107], v[102:103], v[104:105]
	ds_read_b128 v[102:105], v1 offset:1504
	s_waitcnt vmcnt(54) lgkmcnt(1)
	v_mul_f64 v[108:109], v[98:99], v[54:55]
	s_waitcnt vmcnt(52)
	v_fmac_f64_e32 v[108:109], v[100:101], v[56:57]
	v_add_f64 v[110:111], v[106:107], v[108:109]
	ds_read_b128 v[106:109], v1 offset:1520
	s_waitcnt lgkmcnt(1)
	v_mul_f64 v[112:113], v[102:103], v[50:51]
	v_fmac_f64_e32 v[112:113], v[104:105], v[52:53]
	v_add_f64 v[114:115], v[110:111], v[112:113]
	ds_read_b128 v[110:113], v1 offset:1536
	s_waitcnt vmcnt(46) lgkmcnt(1)
	v_mul_f64 v[116:117], v[106:107], v[62:63]
	s_waitcnt vmcnt(44)
	v_fmac_f64_e32 v[116:117], v[108:109], v[64:65]
	v_add_f64 v[118:119], v[114:115], v[116:117]
	ds_read_b128 v[114:117], v1 offset:1552
	s_waitcnt lgkmcnt(1)
	v_mul_f64 v[120:121], v[110:111], v[58:59]
	v_fmac_f64_e32 v[120:121], v[112:113], v[60:61]
	v_add_f64 v[14:15], v[14:15], 0
	v_fma_f64 v[10:11], v[10:11], v[24:25], -v[12:13]
	v_mul_f64 v[8:9], v[8:9], v[32:33]
	v_add_f64 v[122:123], v[118:119], v[120:121]
	ds_read_b128 v[118:121], v1 offset:1568
	v_add_f64 v[10:11], v[14:15], v[10:11]
	v_fma_f64 v[6:7], v[6:7], v[26:27], -v[8:9]
	v_mul_f64 v[4:5], v[4:5], v[38:39]
	v_add_f64 v[6:7], v[10:11], v[6:7]
	v_fma_f64 v[2:3], v[2:3], v[40:41], -v[4:5]
	v_mul_f64 v[4:5], v[88:89], v[34:35]
	v_add_f64 v[2:3], v[6:7], v[2:3]
	v_fma_f64 v[4:5], v[86:87], v[36:37], -v[4:5]
	s_waitcnt vmcnt(38) lgkmcnt(1)
	v_mul_f64 v[124:125], v[114:115], v[70:71]
	v_add_f64 v[2:3], v[2:3], v[4:5]
	v_mul_f64 v[4:5], v[92:93], v[46:47]
	s_waitcnt vmcnt(36)
	v_fmac_f64_e32 v[124:125], v[116:117], v[72:73]
	v_fma_f64 v[4:5], v[90:91], v[48:49], -v[4:5]
	v_add_f64 v[126:127], v[122:123], v[124:125]
	ds_read_b128 v[122:125], v1 offset:1584
	s_waitcnt lgkmcnt(1)
	v_mul_f64 v[128:129], v[118:119], v[66:67]
	v_add_f64 v[2:3], v[2:3], v[4:5]
	v_mul_f64 v[4:5], v[96:97], v[42:43]
	v_fmac_f64_e32 v[128:129], v[120:121], v[68:69]
	v_fma_f64 v[4:5], v[94:95], v[44:45], -v[4:5]
	v_add_f64 v[130:131], v[126:127], v[128:129]
	ds_read_b128 v[126:129], v1 offset:1600
	v_add_f64 v[2:3], v[2:3], v[4:5]
	v_mul_f64 v[4:5], v[100:101], v[54:55]
	v_fma_f64 v[4:5], v[98:99], v[56:57], -v[4:5]
	v_add_f64 v[2:3], v[2:3], v[4:5]
	v_mul_f64 v[4:5], v[104:105], v[50:51]
	s_waitcnt vmcnt(30) lgkmcnt(1)
	v_mul_f64 v[132:133], v[122:123], v[78:79]
	v_fma_f64 v[4:5], v[102:103], v[52:53], -v[4:5]
	s_waitcnt vmcnt(28)
	v_fmac_f64_e32 v[132:133], v[124:125], v[80:81]
	v_add_f64 v[2:3], v[2:3], v[4:5]
	v_mul_f64 v[4:5], v[108:109], v[62:63]
	v_add_f64 v[134:135], v[130:131], v[132:133]
	ds_read_b128 v[130:133], v1 offset:1616
	s_waitcnt lgkmcnt(1)
	v_mul_f64 v[136:137], v[126:127], v[74:75]
	v_fma_f64 v[4:5], v[106:107], v[64:65], -v[4:5]
	v_fmac_f64_e32 v[136:137], v[128:129], v[76:77]
	v_add_f64 v[2:3], v[2:3], v[4:5]
	v_mul_f64 v[4:5], v[112:113], v[58:59]
	v_add_f64 v[138:139], v[134:135], v[136:137]
	ds_read_b128 v[134:137], v1 offset:1632
	v_fma_f64 v[4:5], v[110:111], v[60:61], -v[4:5]
	v_add_f64 v[2:3], v[2:3], v[4:5]
	v_mul_f64 v[4:5], v[116:117], v[70:71]
	v_fma_f64 v[4:5], v[114:115], v[72:73], -v[4:5]
	s_waitcnt vmcnt(22) lgkmcnt(1)
	v_mul_f64 v[140:141], v[130:131], v[158:159]
	v_add_f64 v[2:3], v[2:3], v[4:5]
	v_mul_f64 v[4:5], v[120:121], v[66:67]
	s_waitcnt vmcnt(20)
	v_fmac_f64_e32 v[140:141], v[132:133], v[160:161]
	v_fma_f64 v[4:5], v[118:119], v[68:69], -v[4:5]
	v_add_f64 v[142:143], v[138:139], v[140:141]
	ds_read_b128 v[138:141], v1 offset:1648
	s_waitcnt lgkmcnt(1)
	v_mul_f64 v[144:145], v[134:135], v[82:83]
	v_add_f64 v[2:3], v[2:3], v[4:5]
	v_mul_f64 v[4:5], v[124:125], v[78:79]
	v_fmac_f64_e32 v[144:145], v[136:137], v[84:85]
	v_fma_f64 v[4:5], v[122:123], v[80:81], -v[4:5]
	v_add_f64 v[146:147], v[142:143], v[144:145]
	ds_read_b128 v[142:145], v1 offset:1664
	v_add_f64 v[2:3], v[2:3], v[4:5]
	v_mul_f64 v[4:5], v[128:129], v[74:75]
	v_fma_f64 v[4:5], v[126:127], v[76:77], -v[4:5]
	v_add_f64 v[2:3], v[2:3], v[4:5]
	v_mul_f64 v[4:5], v[132:133], v[158:159]
	s_waitcnt vmcnt(14) lgkmcnt(1)
	v_mul_f64 v[148:149], v[138:139], v[166:167]
	v_fma_f64 v[4:5], v[130:131], v[160:161], -v[4:5]
	s_waitcnt vmcnt(12)
	v_fmac_f64_e32 v[148:149], v[140:141], v[168:169]
	v_add_f64 v[2:3], v[2:3], v[4:5]
	v_mul_f64 v[4:5], v[136:137], v[82:83]
	v_add_f64 v[150:151], v[146:147], v[148:149]
	ds_read_b128 v[146:149], v1 offset:1680
	s_waitcnt lgkmcnt(1)
	v_mul_f64 v[152:153], v[142:143], v[162:163]
	v_fma_f64 v[4:5], v[134:135], v[84:85], -v[4:5]
	v_fmac_f64_e32 v[152:153], v[144:145], v[164:165]
	v_add_f64 v[2:3], v[2:3], v[4:5]
	v_mul_f64 v[4:5], v[140:141], v[166:167]
	v_add_f64 v[182:183], v[150:151], v[152:153]
	ds_read_b128 v[150:153], v1 offset:1696
	ds_read_b128 v[154:157], v1 offset:1712
	v_fma_f64 v[4:5], v[138:139], v[168:169], -v[4:5]
	v_add_f64 v[2:3], v[2:3], v[4:5]
	v_mul_f64 v[4:5], v[144:145], v[162:163]
	v_fma_f64 v[4:5], v[142:143], v[164:165], -v[4:5]
	v_add_f64 v[2:3], v[2:3], v[4:5]
	s_waitcnt vmcnt(6) lgkmcnt(2)
	v_mul_f64 v[4:5], v[148:149], v[174:175]
	v_mul_f64 v[184:185], v[146:147], v[174:175]
	s_waitcnt vmcnt(4)
	v_fma_f64 v[4:5], v[146:147], v[176:177], -v[4:5]
	v_fmac_f64_e32 v[184:185], v[148:149], v[176:177]
	v_add_f64 v[2:3], v[2:3], v[4:5]
	s_waitcnt lgkmcnt(1)
	v_mul_f64 v[4:5], v[152:153], v[170:171]
	v_add_f64 v[182:183], v[182:183], v[184:185]
	v_mul_f64 v[184:185], v[150:151], v[170:171]
	v_fma_f64 v[4:5], v[150:151], v[172:173], -v[4:5]
	v_fmac_f64_e32 v[184:185], v[152:153], v[172:173]
	v_add_f64 v[2:3], v[2:3], v[4:5]
	s_waitcnt vmcnt(2) lgkmcnt(0)
	v_mul_f64 v[4:5], v[156:157], v[178:179]
	v_add_f64 v[182:183], v[182:183], v[184:185]
	v_mul_f64 v[184:185], v[154:155], v[178:179]
	s_waitcnt vmcnt(0)
	v_fma_f64 v[4:5], v[154:155], v[180:181], -v[4:5]
	v_fmac_f64_e32 v[184:185], v[156:157], v[180:181]
	v_add_f64 v[2:3], v[2:3], v[4:5]
	v_add_f64 v[182:183], v[182:183], v[184:185]
	v_add_f64 v[2:3], v[20:21], -v[2:3]
	v_cmp_lt_u32_e32 vcc, 30, v0
	v_add_f64 v[4:5], v[18:19], -v[182:183]
	buffer_store_dword v3, off, s[0:3], 0 offset:516
	buffer_store_dword v2, off, s[0:3], 0 offset:512
	;; [unrolled: 1-line block ×4, first 2 shown]
	s_and_saveexec_b64 s[4:5], vcc
	s_cbranch_execz .LBB117_277
; %bb.276:
	v_accvgpr_read_b32 v1, a131
	buffer_load_dword v2, v1, s[0:3], 0 offen
	buffer_load_dword v3, v1, s[0:3], 0 offen offset:4
	buffer_load_dword v4, v1, s[0:3], 0 offen offset:8
	;; [unrolled: 1-line block ×3, first 2 shown]
	v_mov_b32_e32 v1, 0
	v_accvgpr_read_b32 v6, a161
	buffer_store_dword v1, off, s[0:3], 0 offset:496
	buffer_store_dword v1, off, s[0:3], 0 offset:500
	;; [unrolled: 1-line block ×4, first 2 shown]
	s_waitcnt vmcnt(4)
	ds_write_b128 v6, v[2:5]
.LBB117_277:
	s_or_b64 exec, exec, s[4:5]
	s_waitcnt lgkmcnt(0)
	; wave barrier
	s_waitcnt lgkmcnt(0)
	buffer_load_dword v9, off, s[0:3], 0 offset:524
	buffer_load_dword v6, off, s[0:3], 0 offset:536
	;; [unrolled: 1-line block ×64, first 2 shown]
	v_mov_b32_e32 v1, 0
	ds_read_b128 v[74:77], v1 offset:1360
	ds_read_b128 v[78:81], v1 offset:1376
	buffer_load_dword v67, off, s[0:3], 0 offset:780
	buffer_load_dword v66, off, s[0:3], 0 offset:776
	;; [unrolled: 1-line block ×8, first 2 shown]
	ds_read_b128 v[82:85], v1 offset:1392
	ds_read_b128 v[86:89], v1 offset:1408
	buffer_load_dword v167, off, s[0:3], 0 offset:812
	buffer_load_dword v166, off, s[0:3], 0 offset:808
	;; [unrolled: 1-line block ×24, first 2 shown]
	ds_read_b128 v[162:165], v1 offset:1712
	v_cmp_lt_u32_e32 vcc, 29, v0
	s_waitcnt vmcnt(62) lgkmcnt(1)
	v_mul_f64 v[96:97], v[86:87], v[22:23]
	v_fmac_f64_e32 v[96:97], v[88:89], v[24:25]
	v_mul_f64 v[92:93], v[78:79], v[6:7]
	v_mul_f64 v[90:91], v[74:75], v[8:9]
	;; [unrolled: 1-line block ×3, first 2 shown]
	v_fmac_f64_e32 v[90:91], v[76:77], v[10:11]
	v_add_f64 v[90:91], v[90:91], 0
	v_fma_f64 v[8:9], v[74:75], v[10:11], -v[8:9]
	v_mul_f64 v[6:7], v[80:81], v[6:7]
	v_add_f64 v[8:9], v[8:9], 0
	v_fmac_f64_e32 v[92:93], v[80:81], v[14:15]
	v_add_f64 v[90:91], v[90:91], v[92:93]
	v_mul_f64 v[92:93], v[82:83], v[16:17]
	v_fmac_f64_e32 v[92:93], v[84:85], v[12:13]
	v_add_f64 v[94:95], v[90:91], v[92:93]
	ds_read_b128 v[90:93], v1 offset:1424
	v_add_f64 v[98:99], v[94:95], v[96:97]
	ds_read_b128 v[94:97], v1 offset:1440
	v_fma_f64 v[6:7], v[78:79], v[14:15], -v[6:7]
	v_add_f64 v[6:7], v[8:9], v[6:7]
	s_waitcnt lgkmcnt(1)
	v_mul_f64 v[100:101], v[90:91], v[18:19]
	v_fmac_f64_e32 v[100:101], v[92:93], v[20:21]
	v_add_f64 v[102:103], v[98:99], v[100:101]
	ds_read_b128 v[98:101], v1 offset:1456
	s_waitcnt lgkmcnt(1)
	v_mul_f64 v[104:105], v[94:95], v[30:31]
	v_fmac_f64_e32 v[104:105], v[96:97], v[32:33]
	v_add_f64 v[106:107], v[102:103], v[104:105]
	ds_read_b128 v[102:105], v1 offset:1472
	;; [unrolled: 5-line block ×3, first 2 shown]
	s_waitcnt vmcnt(58) lgkmcnt(1)
	v_mul_f64 v[112:113], v[102:103], v[38:39]
	s_waitcnt vmcnt(56)
	v_fmac_f64_e32 v[112:113], v[104:105], v[40:41]
	v_add_f64 v[114:115], v[110:111], v[112:113]
	ds_read_b128 v[110:113], v1 offset:1504
	s_waitcnt lgkmcnt(1)
	v_mul_f64 v[116:117], v[106:107], v[34:35]
	v_fmac_f64_e32 v[116:117], v[108:109], v[36:37]
	v_add_f64 v[118:119], v[114:115], v[116:117]
	ds_read_b128 v[114:117], v1 offset:1520
	s_waitcnt vmcnt(50) lgkmcnt(1)
	v_mul_f64 v[120:121], v[110:111], v[46:47]
	s_waitcnt vmcnt(48)
	v_fmac_f64_e32 v[120:121], v[112:113], v[48:49]
	v_add_f64 v[122:123], v[118:119], v[120:121]
	ds_read_b128 v[118:121], v1 offset:1536
	v_mul_f64 v[8:9], v[84:85], v[16:17]
	s_waitcnt lgkmcnt(1)
	v_mul_f64 v[124:125], v[114:115], v[42:43]
	v_fma_f64 v[8:9], v[82:83], v[12:13], -v[8:9]
	v_fmac_f64_e32 v[124:125], v[116:117], v[44:45]
	v_add_f64 v[6:7], v[6:7], v[8:9]
	v_mul_f64 v[8:9], v[88:89], v[22:23]
	v_add_f64 v[126:127], v[122:123], v[124:125]
	ds_read_b128 v[122:125], v1 offset:1552
	s_waitcnt vmcnt(42) lgkmcnt(1)
	v_mul_f64 v[128:129], v[118:119], v[54:55]
	v_fma_f64 v[8:9], v[86:87], v[24:25], -v[8:9]
	s_waitcnt vmcnt(40)
	v_fmac_f64_e32 v[128:129], v[120:121], v[56:57]
	v_add_f64 v[6:7], v[6:7], v[8:9]
	v_mul_f64 v[8:9], v[92:93], v[18:19]
	v_add_f64 v[130:131], v[126:127], v[128:129]
	ds_read_b128 v[126:129], v1 offset:1568
	v_fma_f64 v[8:9], v[90:91], v[20:21], -v[8:9]
	v_add_f64 v[6:7], v[6:7], v[8:9]
	v_mul_f64 v[8:9], v[96:97], v[30:31]
	v_fma_f64 v[8:9], v[94:95], v[32:33], -v[8:9]
	s_waitcnt lgkmcnt(1)
	v_mul_f64 v[132:133], v[122:123], v[50:51]
	v_add_f64 v[6:7], v[6:7], v[8:9]
	v_mul_f64 v[8:9], v[100:101], v[26:27]
	v_fmac_f64_e32 v[132:133], v[124:125], v[52:53]
	v_fma_f64 v[8:9], v[98:99], v[28:29], -v[8:9]
	v_add_f64 v[134:135], v[130:131], v[132:133]
	ds_read_b128 v[130:133], v1 offset:1584
	s_waitcnt vmcnt(34) lgkmcnt(1)
	v_mul_f64 v[136:137], v[126:127], v[62:63]
	v_add_f64 v[6:7], v[6:7], v[8:9]
	v_mul_f64 v[8:9], v[104:105], v[38:39]
	s_waitcnt vmcnt(32)
	v_fmac_f64_e32 v[136:137], v[128:129], v[64:65]
	v_fma_f64 v[8:9], v[102:103], v[40:41], -v[8:9]
	v_add_f64 v[138:139], v[134:135], v[136:137]
	ds_read_b128 v[134:137], v1 offset:1600
	v_add_f64 v[6:7], v[6:7], v[8:9]
	v_mul_f64 v[8:9], v[108:109], v[34:35]
	v_fma_f64 v[8:9], v[106:107], v[36:37], -v[8:9]
	v_add_f64 v[6:7], v[6:7], v[8:9]
	v_mul_f64 v[8:9], v[112:113], v[46:47]
	s_waitcnt lgkmcnt(1)
	v_mul_f64 v[140:141], v[130:131], v[58:59]
	v_fma_f64 v[8:9], v[110:111], v[48:49], -v[8:9]
	v_fmac_f64_e32 v[140:141], v[132:133], v[60:61]
	v_add_f64 v[6:7], v[6:7], v[8:9]
	v_mul_f64 v[8:9], v[116:117], v[42:43]
	v_add_f64 v[142:143], v[138:139], v[140:141]
	ds_read_b128 v[138:141], v1 offset:1616
	s_waitcnt vmcnt(26) lgkmcnt(1)
	v_mul_f64 v[144:145], v[134:135], v[70:71]
	v_fma_f64 v[8:9], v[114:115], v[44:45], -v[8:9]
	s_waitcnt vmcnt(24)
	v_fmac_f64_e32 v[144:145], v[136:137], v[72:73]
	v_add_f64 v[6:7], v[6:7], v[8:9]
	v_mul_f64 v[8:9], v[120:121], v[54:55]
	v_add_f64 v[146:147], v[142:143], v[144:145]
	ds_read_b128 v[142:145], v1 offset:1632
	v_fma_f64 v[8:9], v[118:119], v[56:57], -v[8:9]
	v_add_f64 v[6:7], v[6:7], v[8:9]
	v_mul_f64 v[8:9], v[124:125], v[50:51]
	v_fma_f64 v[8:9], v[122:123], v[52:53], -v[8:9]
	s_waitcnt lgkmcnt(1)
	v_mul_f64 v[148:149], v[138:139], v[66:67]
	v_add_f64 v[6:7], v[6:7], v[8:9]
	v_mul_f64 v[8:9], v[128:129], v[62:63]
	v_fmac_f64_e32 v[148:149], v[140:141], v[68:69]
	v_fma_f64 v[8:9], v[126:127], v[64:65], -v[8:9]
	v_add_f64 v[150:151], v[146:147], v[148:149]
	ds_read_b128 v[146:149], v1 offset:1648
	s_waitcnt vmcnt(18) lgkmcnt(1)
	v_mul_f64 v[152:153], v[142:143], v[170:171]
	v_add_f64 v[6:7], v[6:7], v[8:9]
	v_mul_f64 v[8:9], v[132:133], v[58:59]
	s_waitcnt vmcnt(16)
	v_fmac_f64_e32 v[152:153], v[144:145], v[172:173]
	v_fma_f64 v[8:9], v[130:131], v[60:61], -v[8:9]
	v_add_f64 v[154:155], v[150:151], v[152:153]
	ds_read_b128 v[150:153], v1 offset:1664
	v_add_f64 v[6:7], v[6:7], v[8:9]
	v_mul_f64 v[8:9], v[136:137], v[70:71]
	v_fma_f64 v[8:9], v[134:135], v[72:73], -v[8:9]
	v_add_f64 v[6:7], v[6:7], v[8:9]
	v_mul_f64 v[8:9], v[140:141], v[66:67]
	s_waitcnt lgkmcnt(1)
	v_mul_f64 v[156:157], v[146:147], v[166:167]
	v_fma_f64 v[8:9], v[138:139], v[68:69], -v[8:9]
	v_fmac_f64_e32 v[156:157], v[148:149], v[168:169]
	v_add_f64 v[6:7], v[6:7], v[8:9]
	v_mul_f64 v[8:9], v[144:145], v[170:171]
	v_add_f64 v[158:159], v[154:155], v[156:157]
	ds_read_b128 v[154:157], v1 offset:1680
	s_waitcnt vmcnt(10) lgkmcnt(1)
	v_mul_f64 v[160:161], v[150:151], v[178:179]
	v_fma_f64 v[8:9], v[142:143], v[172:173], -v[8:9]
	s_waitcnt vmcnt(8)
	v_fmac_f64_e32 v[160:161], v[152:153], v[180:181]
	v_add_f64 v[6:7], v[6:7], v[8:9]
	v_mul_f64 v[8:9], v[148:149], v[166:167]
	v_add_f64 v[190:191], v[158:159], v[160:161]
	ds_read_b128 v[158:161], v1 offset:1696
	v_fma_f64 v[8:9], v[146:147], v[168:169], -v[8:9]
	v_add_f64 v[6:7], v[6:7], v[8:9]
	v_mul_f64 v[8:9], v[152:153], v[178:179]
	v_fma_f64 v[8:9], v[150:151], v[180:181], -v[8:9]
	v_add_f64 v[6:7], v[6:7], v[8:9]
	s_waitcnt lgkmcnt(1)
	v_mul_f64 v[8:9], v[156:157], v[174:175]
	v_mul_f64 v[192:193], v[154:155], v[174:175]
	v_fma_f64 v[8:9], v[154:155], v[176:177], -v[8:9]
	v_fmac_f64_e32 v[192:193], v[156:157], v[176:177]
	v_add_f64 v[6:7], v[6:7], v[8:9]
	s_waitcnt vmcnt(2) lgkmcnt(0)
	v_mul_f64 v[8:9], v[160:161], v[186:187]
	v_add_f64 v[190:191], v[190:191], v[192:193]
	v_mul_f64 v[192:193], v[158:159], v[186:187]
	s_waitcnt vmcnt(0)
	v_fma_f64 v[8:9], v[158:159], v[188:189], -v[8:9]
	v_fmac_f64_e32 v[192:193], v[160:161], v[188:189]
	v_add_f64 v[6:7], v[6:7], v[8:9]
	v_mul_f64 v[8:9], v[164:165], v[182:183]
	v_add_f64 v[190:191], v[190:191], v[192:193]
	v_mul_f64 v[192:193], v[162:163], v[182:183]
	v_fma_f64 v[8:9], v[162:163], v[184:185], -v[8:9]
	v_fmac_f64_e32 v[192:193], v[164:165], v[184:185]
	v_add_f64 v[6:7], v[6:7], v[8:9]
	v_add_f64 v[190:191], v[190:191], v[192:193]
	v_add_f64 v[4:5], v[4:5], -v[6:7]
	v_add_f64 v[2:3], v[2:3], -v[190:191]
	buffer_store_dword v5, off, s[0:3], 0 offset:500
	buffer_store_dword v4, off, s[0:3], 0 offset:496
	;; [unrolled: 1-line block ×4, first 2 shown]
	s_and_saveexec_b64 s[4:5], vcc
	s_cbranch_execz .LBB117_279
; %bb.278:
	v_accvgpr_read_b32 v5, a132
	buffer_load_dword v2, v5, s[0:3], 0 offen
	buffer_load_dword v3, v5, s[0:3], 0 offen offset:4
	buffer_load_dword v4, v5, s[0:3], 0 offen offset:8
	s_nop 0
	buffer_load_dword v5, v5, s[0:3], 0 offen offset:12
	v_accvgpr_read_b32 v6, a161
	buffer_store_dword v1, off, s[0:3], 0 offset:480
	buffer_store_dword v1, off, s[0:3], 0 offset:484
	;; [unrolled: 1-line block ×4, first 2 shown]
	s_waitcnt vmcnt(4)
	ds_write_b128 v6, v[2:5]
.LBB117_279:
	s_or_b64 exec, exec, s[4:5]
	s_waitcnt lgkmcnt(0)
	; wave barrier
	s_waitcnt lgkmcnt(0)
	buffer_load_dword v22, off, s[0:3], 0 offset:496
	buffer_load_dword v23, off, s[0:3], 0 offset:500
	;; [unrolled: 1-line block ×16, first 2 shown]
	ds_read_b128 v[2:5], v1 offset:1344
	ds_read_b128 v[6:9], v1 offset:1360
	;; [unrolled: 1-line block ×4, first 2 shown]
	buffer_load_dword v35, off, s[0:3], 0 offset:572
	buffer_load_dword v34, off, s[0:3], 0 offset:568
	;; [unrolled: 1-line block ×48, first 2 shown]
	v_cmp_lt_u32_e32 vcc, 28, v0
	s_waitcnt vmcnt(42) lgkmcnt(0)
	v_mul_f64 v[104:105], v[14:15], v[38:39]
	s_waitcnt vmcnt(40)
	v_fmac_f64_e32 v[104:105], v[16:17], v[40:41]
	v_mul_f64 v[82:83], v[2:3], v[24:25]
	v_fmac_f64_e32 v[82:83], v[4:5], v[22:23]
	v_add_f64 v[82:83], v[82:83], 0
	v_mul_f64 v[4:5], v[4:5], v[24:25]
	v_mul_f64 v[84:85], v[6:7], v[32:33]
	v_fma_f64 v[2:3], v[2:3], v[22:23], -v[4:5]
	v_mul_f64 v[98:99], v[10:11], v[26:27]
	v_fmac_f64_e32 v[98:99], v[12:13], v[30:31]
	v_fmac_f64_e32 v[84:85], v[8:9], v[28:29]
	v_add_f64 v[100:101], v[82:83], v[84:85]
	buffer_load_dword v83, off, s[0:3], 0 offset:764
	buffer_load_dword v82, off, s[0:3], 0 offset:760
	;; [unrolled: 1-line block ×32, first 2 shown]
	v_add_f64 v[102:103], v[100:101], v[98:99]
	ds_read_b128 v[98:101], v1 offset:1408
	buffer_load_dword v195, off, s[0:3], 0 offset:876
	buffer_load_dword v194, off, s[0:3], 0 offset:872
	;; [unrolled: 1-line block ×4, first 2 shown]
	v_add_f64 v[106:107], v[102:103], v[104:105]
	ds_read_b128 v[102:105], v1 offset:1424
	v_mul_f64 v[4:5], v[8:9], v[32:33]
	s_waitcnt lgkmcnt(1)
	v_mul_f64 v[108:109], v[98:99], v[34:35]
	v_fmac_f64_e32 v[108:109], v[100:101], v[36:37]
	v_add_f64 v[110:111], v[106:107], v[108:109]
	ds_read_b128 v[106:109], v1 offset:1440
	s_waitcnt vmcnt(62) lgkmcnt(1)
	v_mul_f64 v[112:113], v[102:103], v[46:47]
	v_fmac_f64_e32 v[112:113], v[104:105], v[48:49]
	v_add_f64 v[114:115], v[110:111], v[112:113]
	ds_read_b128 v[110:113], v1 offset:1456
	s_waitcnt lgkmcnt(1)
	v_mul_f64 v[116:117], v[106:107], v[42:43]
	v_fmac_f64_e32 v[116:117], v[108:109], v[44:45]
	v_add_f64 v[118:119], v[114:115], v[116:117]
	ds_read_b128 v[114:117], v1 offset:1472
	s_waitcnt lgkmcnt(1)
	v_mul_f64 v[120:121], v[110:111], v[54:55]
	s_waitcnt vmcnt(60)
	v_fmac_f64_e32 v[120:121], v[112:113], v[56:57]
	v_add_f64 v[122:123], v[118:119], v[120:121]
	ds_read_b128 v[118:121], v1 offset:1488
	s_waitcnt lgkmcnt(1)
	v_mul_f64 v[124:125], v[114:115], v[50:51]
	v_fmac_f64_e32 v[124:125], v[116:117], v[52:53]
	v_add_f64 v[126:127], v[122:123], v[124:125]
	ds_read_b128 v[122:125], v1 offset:1504
	s_waitcnt vmcnt(54) lgkmcnt(1)
	v_mul_f64 v[128:129], v[118:119], v[62:63]
	s_waitcnt vmcnt(52)
	v_fmac_f64_e32 v[128:129], v[120:121], v[64:65]
	v_add_f64 v[130:131], v[126:127], v[128:129]
	ds_read_b128 v[126:129], v1 offset:1520
	s_waitcnt lgkmcnt(1)
	v_mul_f64 v[132:133], v[122:123], v[58:59]
	v_fmac_f64_e32 v[132:133], v[124:125], v[60:61]
	v_add_f64 v[2:3], v[2:3], 0
	v_fma_f64 v[4:5], v[6:7], v[28:29], -v[4:5]
	v_add_f64 v[134:135], v[130:131], v[132:133]
	ds_read_b128 v[130:133], v1 offset:1536
	v_add_f64 v[2:3], v[2:3], v[4:5]
	v_mul_f64 v[4:5], v[12:13], v[26:27]
	v_fma_f64 v[4:5], v[10:11], v[30:31], -v[4:5]
	v_add_f64 v[2:3], v[2:3], v[4:5]
	v_mul_f64 v[4:5], v[16:17], v[38:39]
	s_waitcnt vmcnt(46) lgkmcnt(1)
	v_mul_f64 v[136:137], v[126:127], v[70:71]
	v_fma_f64 v[4:5], v[14:15], v[40:41], -v[4:5]
	s_waitcnt vmcnt(44)
	v_fmac_f64_e32 v[136:137], v[128:129], v[72:73]
	v_add_f64 v[2:3], v[2:3], v[4:5]
	v_mul_f64 v[4:5], v[100:101], v[34:35]
	v_add_f64 v[138:139], v[134:135], v[136:137]
	ds_read_b128 v[134:137], v1 offset:1552
	s_waitcnt lgkmcnt(1)
	v_mul_f64 v[140:141], v[130:131], v[66:67]
	v_fma_f64 v[4:5], v[98:99], v[36:37], -v[4:5]
	v_fmac_f64_e32 v[140:141], v[132:133], v[68:69]
	v_add_f64 v[2:3], v[2:3], v[4:5]
	v_mul_f64 v[4:5], v[104:105], v[46:47]
	v_add_f64 v[142:143], v[138:139], v[140:141]
	ds_read_b128 v[138:141], v1 offset:1568
	v_fma_f64 v[4:5], v[102:103], v[48:49], -v[4:5]
	v_add_f64 v[2:3], v[2:3], v[4:5]
	v_mul_f64 v[4:5], v[108:109], v[42:43]
	v_fma_f64 v[4:5], v[106:107], v[44:45], -v[4:5]
	s_waitcnt vmcnt(38) lgkmcnt(1)
	v_mul_f64 v[144:145], v[134:135], v[78:79]
	v_add_f64 v[2:3], v[2:3], v[4:5]
	v_mul_f64 v[4:5], v[112:113], v[54:55]
	s_waitcnt vmcnt(36)
	v_fmac_f64_e32 v[144:145], v[136:137], v[80:81]
	v_fma_f64 v[4:5], v[110:111], v[56:57], -v[4:5]
	v_add_f64 v[146:147], v[142:143], v[144:145]
	ds_read_b128 v[142:145], v1 offset:1584
	s_waitcnt lgkmcnt(1)
	v_mul_f64 v[148:149], v[138:139], v[74:75]
	v_add_f64 v[2:3], v[2:3], v[4:5]
	v_mul_f64 v[4:5], v[116:117], v[50:51]
	v_fmac_f64_e32 v[148:149], v[140:141], v[76:77]
	v_fma_f64 v[4:5], v[114:115], v[52:53], -v[4:5]
	v_add_f64 v[150:151], v[146:147], v[148:149]
	ds_read_b128 v[146:149], v1 offset:1600
	v_add_f64 v[2:3], v[2:3], v[4:5]
	v_mul_f64 v[4:5], v[120:121], v[62:63]
	v_fma_f64 v[4:5], v[118:119], v[64:65], -v[4:5]
	v_add_f64 v[2:3], v[2:3], v[4:5]
	v_mul_f64 v[4:5], v[124:125], v[58:59]
	s_waitcnt vmcnt(30) lgkmcnt(1)
	v_mul_f64 v[152:153], v[142:143], v[86:87]
	v_fma_f64 v[4:5], v[122:123], v[60:61], -v[4:5]
	s_waitcnt vmcnt(28)
	v_fmac_f64_e32 v[152:153], v[144:145], v[88:89]
	v_add_f64 v[2:3], v[2:3], v[4:5]
	v_mul_f64 v[4:5], v[128:129], v[70:71]
	v_add_f64 v[154:155], v[150:151], v[152:153]
	ds_read_b128 v[150:153], v1 offset:1616
	s_waitcnt lgkmcnt(1)
	v_mul_f64 v[156:157], v[146:147], v[82:83]
	v_fma_f64 v[4:5], v[126:127], v[72:73], -v[4:5]
	v_fmac_f64_e32 v[156:157], v[148:149], v[84:85]
	v_add_f64 v[2:3], v[2:3], v[4:5]
	v_mul_f64 v[4:5], v[132:133], v[66:67]
	v_add_f64 v[158:159], v[154:155], v[156:157]
	ds_read_b128 v[154:157], v1 offset:1632
	v_fma_f64 v[4:5], v[130:131], v[68:69], -v[4:5]
	v_add_f64 v[2:3], v[2:3], v[4:5]
	v_mul_f64 v[4:5], v[136:137], v[78:79]
	v_fma_f64 v[4:5], v[134:135], v[80:81], -v[4:5]
	s_waitcnt vmcnt(22) lgkmcnt(1)
	v_mul_f64 v[160:161], v[150:151], v[94:95]
	v_add_f64 v[2:3], v[2:3], v[4:5]
	v_mul_f64 v[4:5], v[140:141], v[74:75]
	s_waitcnt vmcnt(20)
	v_fmac_f64_e32 v[160:161], v[152:153], v[96:97]
	v_fma_f64 v[4:5], v[138:139], v[76:77], -v[4:5]
	v_add_f64 v[162:163], v[158:159], v[160:161]
	ds_read_b128 v[158:161], v1 offset:1648
	s_waitcnt lgkmcnt(1)
	v_mul_f64 v[164:165], v[154:155], v[90:91]
	v_add_f64 v[2:3], v[2:3], v[4:5]
	v_mul_f64 v[4:5], v[144:145], v[86:87]
	v_fmac_f64_e32 v[164:165], v[156:157], v[92:93]
	v_fma_f64 v[4:5], v[142:143], v[88:89], -v[4:5]
	v_add_f64 v[166:167], v[162:163], v[164:165]
	ds_read_b128 v[162:165], v1 offset:1664
	v_add_f64 v[2:3], v[2:3], v[4:5]
	v_mul_f64 v[4:5], v[148:149], v[82:83]
	v_fma_f64 v[4:5], v[146:147], v[84:85], -v[4:5]
	v_add_f64 v[2:3], v[2:3], v[4:5]
	v_mul_f64 v[4:5], v[152:153], v[94:95]
	s_waitcnt vmcnt(14) lgkmcnt(1)
	v_mul_f64 v[168:169], v[158:159], v[182:183]
	v_fma_f64 v[4:5], v[150:151], v[96:97], -v[4:5]
	s_waitcnt vmcnt(12)
	v_fmac_f64_e32 v[168:169], v[160:161], v[184:185]
	v_add_f64 v[2:3], v[2:3], v[4:5]
	v_mul_f64 v[4:5], v[156:157], v[90:91]
	v_add_f64 v[170:171], v[166:167], v[168:169]
	ds_read_b128 v[166:169], v1 offset:1680
	s_waitcnt lgkmcnt(1)
	v_mul_f64 v[172:173], v[162:163], v[178:179]
	v_fma_f64 v[4:5], v[154:155], v[92:93], -v[4:5]
	v_fmac_f64_e32 v[172:173], v[164:165], v[180:181]
	v_add_f64 v[2:3], v[2:3], v[4:5]
	v_mul_f64 v[4:5], v[160:161], v[182:183]
	v_add_f64 v[198:199], v[170:171], v[172:173]
	ds_read_b128 v[170:173], v1 offset:1696
	v_fma_f64 v[4:5], v[158:159], v[184:185], -v[4:5]
	v_add_f64 v[2:3], v[2:3], v[4:5]
	v_mul_f64 v[4:5], v[164:165], v[178:179]
	ds_read_b128 v[174:177], v1 offset:1712
	v_fma_f64 v[4:5], v[162:163], v[180:181], -v[4:5]
	v_add_f64 v[2:3], v[2:3], v[4:5]
	s_waitcnt vmcnt(6) lgkmcnt(2)
	v_mul_f64 v[4:5], v[168:169], v[190:191]
	v_mul_f64 v[200:201], v[166:167], v[190:191]
	s_waitcnt vmcnt(4)
	v_fma_f64 v[4:5], v[166:167], v[192:193], -v[4:5]
	v_fmac_f64_e32 v[200:201], v[168:169], v[192:193]
	v_add_f64 v[2:3], v[2:3], v[4:5]
	s_waitcnt lgkmcnt(1)
	v_mul_f64 v[4:5], v[172:173], v[186:187]
	v_add_f64 v[198:199], v[198:199], v[200:201]
	v_mul_f64 v[200:201], v[170:171], v[186:187]
	v_fma_f64 v[4:5], v[170:171], v[188:189], -v[4:5]
	v_fmac_f64_e32 v[200:201], v[172:173], v[188:189]
	v_add_f64 v[2:3], v[2:3], v[4:5]
	s_waitcnt vmcnt(2) lgkmcnt(0)
	v_mul_f64 v[4:5], v[176:177], v[194:195]
	v_add_f64 v[198:199], v[198:199], v[200:201]
	v_mul_f64 v[200:201], v[174:175], v[194:195]
	s_waitcnt vmcnt(0)
	v_fma_f64 v[4:5], v[174:175], v[196:197], -v[4:5]
	v_fmac_f64_e32 v[200:201], v[176:177], v[196:197]
	v_add_f64 v[2:3], v[2:3], v[4:5]
	v_add_f64 v[198:199], v[198:199], v[200:201]
	v_add_f64 v[2:3], v[20:21], -v[2:3]
	v_add_f64 v[4:5], v[18:19], -v[198:199]
	buffer_store_dword v3, off, s[0:3], 0 offset:484
	buffer_store_dword v2, off, s[0:3], 0 offset:480
	;; [unrolled: 1-line block ×4, first 2 shown]
	s_and_saveexec_b64 s[4:5], vcc
	s_cbranch_execz .LBB117_281
; %bb.280:
	v_accvgpr_read_b32 v1, a133
	buffer_load_dword v2, v1, s[0:3], 0 offen
	buffer_load_dword v3, v1, s[0:3], 0 offen offset:4
	buffer_load_dword v4, v1, s[0:3], 0 offen offset:8
	;; [unrolled: 1-line block ×3, first 2 shown]
	v_mov_b32_e32 v1, 0
	v_accvgpr_read_b32 v6, a161
	buffer_store_dword v1, off, s[0:3], 0 offset:464
	buffer_store_dword v1, off, s[0:3], 0 offset:468
	;; [unrolled: 1-line block ×4, first 2 shown]
	s_waitcnt vmcnt(4)
	ds_write_b128 v6, v[2:5]
.LBB117_281:
	s_or_b64 exec, exec, s[4:5]
	s_waitcnt lgkmcnt(0)
	; wave barrier
	s_waitcnt lgkmcnt(0)
	buffer_load_dword v22, off, s[0:3], 0 offset:480
	buffer_load_dword v23, off, s[0:3], 0 offset:484
	;; [unrolled: 1-line block ×64, first 2 shown]
	v_mov_b32_e32 v1, 0
	ds_read_b128 v[18:21], v1 offset:1328
	ds_read_b128 v[14:17], v1 offset:1344
	;; [unrolled: 1-line block ×5, first 2 shown]
	v_cmp_lt_u32_e32 vcc, 27, v0
	s_waitcnt vmcnt(60) lgkmcnt(4)
	v_mul_f64 v[86:87], v[18:19], v[26:27]
	v_fmac_f64_e32 v[86:87], v[20:21], v[22:23]
	v_add_f64 v[86:87], v[86:87], 0
	v_mul_f64 v[20:21], v[20:21], v[26:27]
	s_waitcnt vmcnt(56) lgkmcnt(3)
	v_mul_f64 v[88:89], v[14:15], v[28:29]
	v_fmac_f64_e32 v[88:89], v[16:17], v[24:25]
	s_waitcnt vmcnt(54) lgkmcnt(2)
	v_mul_f64 v[90:91], v[10:11], v[30:31]
	v_add_f64 v[86:87], v[86:87], v[88:89]
	v_fma_f64 v[18:19], v[18:19], v[22:23], -v[20:21]
	v_mul_f64 v[16:17], v[16:17], v[28:29]
	s_waitcnt vmcnt(50) lgkmcnt(1)
	v_mul_f64 v[102:103], v[6:7], v[40:41]
	v_add_f64 v[18:19], v[18:19], 0
	s_waitcnt vmcnt(48)
	v_fmac_f64_e32 v[90:91], v[12:13], v[44:45]
	v_add_f64 v[104:105], v[86:87], v[90:91]
	buffer_load_dword v87, off, s[0:3], 0 offset:748
	buffer_load_dword v86, off, s[0:3], 0 offset:744
	;; [unrolled: 1-line block ×40, first 2 shown]
	s_waitcnt vmcnt(62)
	v_fmac_f64_e32 v[102:103], v[8:9], v[42:43]
	v_add_f64 v[106:107], v[104:105], v[102:103]
	ds_read_b128 v[102:105], v1 offset:1408
	s_waitcnt lgkmcnt(1)
	v_mul_f64 v[108:109], v[2:3], v[36:37]
	v_fmac_f64_e32 v[108:109], v[4:5], v[38:39]
	v_add_f64 v[110:111], v[106:107], v[108:109]
	ds_read_b128 v[106:109], v1 offset:1424
	s_waitcnt lgkmcnt(1)
	v_mul_f64 v[112:113], v[102:103], v[50:51]
	;; [unrolled: 5-line block ×5, first 2 shown]
	v_fmac_f64_e32 v[124:125], v[116:117], v[56:57]
	v_add_f64 v[126:127], v[122:123], v[124:125]
	ds_read_b128 v[122:125], v1 offset:1488
	s_waitcnt vmcnt(58) lgkmcnt(1)
	v_mul_f64 v[128:129], v[118:119], v[66:67]
	s_waitcnt vmcnt(56)
	v_fmac_f64_e32 v[128:129], v[120:121], v[68:69]
	v_add_f64 v[130:131], v[126:127], v[128:129]
	ds_read_b128 v[126:129], v1 offset:1504
	s_waitcnt lgkmcnt(1)
	v_mul_f64 v[132:133], v[122:123], v[62:63]
	v_fmac_f64_e32 v[132:133], v[124:125], v[64:65]
	v_add_f64 v[134:135], v[130:131], v[132:133]
	ds_read_b128 v[130:133], v1 offset:1520
	s_waitcnt vmcnt(50) lgkmcnt(1)
	v_mul_f64 v[136:137], v[126:127], v[74:75]
	s_waitcnt vmcnt(48)
	v_fmac_f64_e32 v[136:137], v[128:129], v[76:77]
	v_add_f64 v[138:139], v[134:135], v[136:137]
	ds_read_b128 v[134:137], v1 offset:1536
	v_fma_f64 v[14:15], v[14:15], v[24:25], -v[16:17]
	v_mul_f64 v[12:13], v[12:13], v[30:31]
	v_add_f64 v[14:15], v[18:19], v[14:15]
	v_fma_f64 v[10:11], v[10:11], v[44:45], -v[12:13]
	v_mul_f64 v[8:9], v[8:9], v[40:41]
	s_waitcnt lgkmcnt(1)
	v_mul_f64 v[140:141], v[130:131], v[70:71]
	v_add_f64 v[10:11], v[14:15], v[10:11]
	v_fma_f64 v[6:7], v[6:7], v[42:43], -v[8:9]
	v_mul_f64 v[4:5], v[4:5], v[36:37]
	v_fmac_f64_e32 v[140:141], v[132:133], v[72:73]
	v_add_f64 v[6:7], v[10:11], v[6:7]
	v_fma_f64 v[2:3], v[2:3], v[38:39], -v[4:5]
	v_mul_f64 v[4:5], v[104:105], v[50:51]
	v_add_f64 v[142:143], v[138:139], v[140:141]
	ds_read_b128 v[138:141], v1 offset:1552
	s_waitcnt vmcnt(42) lgkmcnt(1)
	v_mul_f64 v[144:145], v[134:135], v[82:83]
	v_add_f64 v[2:3], v[6:7], v[2:3]
	v_fma_f64 v[4:5], v[102:103], v[52:53], -v[4:5]
	s_waitcnt vmcnt(40)
	v_fmac_f64_e32 v[144:145], v[136:137], v[84:85]
	v_add_f64 v[2:3], v[2:3], v[4:5]
	v_mul_f64 v[4:5], v[108:109], v[46:47]
	v_add_f64 v[146:147], v[142:143], v[144:145]
	ds_read_b128 v[142:145], v1 offset:1568
	v_fma_f64 v[4:5], v[106:107], v[48:49], -v[4:5]
	v_add_f64 v[2:3], v[2:3], v[4:5]
	v_mul_f64 v[4:5], v[112:113], v[58:59]
	v_fma_f64 v[4:5], v[110:111], v[60:61], -v[4:5]
	s_waitcnt lgkmcnt(1)
	v_mul_f64 v[148:149], v[138:139], v[78:79]
	v_add_f64 v[2:3], v[2:3], v[4:5]
	v_mul_f64 v[4:5], v[116:117], v[54:55]
	v_fmac_f64_e32 v[148:149], v[140:141], v[80:81]
	v_fma_f64 v[4:5], v[114:115], v[56:57], -v[4:5]
	v_add_f64 v[150:151], v[146:147], v[148:149]
	ds_read_b128 v[146:149], v1 offset:1584
	s_waitcnt vmcnt(34) lgkmcnt(1)
	v_mul_f64 v[152:153], v[142:143], v[90:91]
	v_add_f64 v[2:3], v[2:3], v[4:5]
	v_mul_f64 v[4:5], v[120:121], v[66:67]
	s_waitcnt vmcnt(32)
	v_fmac_f64_e32 v[152:153], v[144:145], v[92:93]
	v_fma_f64 v[4:5], v[118:119], v[68:69], -v[4:5]
	v_add_f64 v[154:155], v[150:151], v[152:153]
	ds_read_b128 v[150:153], v1 offset:1600
	v_add_f64 v[2:3], v[2:3], v[4:5]
	v_mul_f64 v[4:5], v[124:125], v[62:63]
	v_fma_f64 v[4:5], v[122:123], v[64:65], -v[4:5]
	v_add_f64 v[2:3], v[2:3], v[4:5]
	v_mul_f64 v[4:5], v[128:129], v[74:75]
	s_waitcnt lgkmcnt(1)
	v_mul_f64 v[156:157], v[146:147], v[86:87]
	v_fma_f64 v[4:5], v[126:127], v[76:77], -v[4:5]
	v_fmac_f64_e32 v[156:157], v[148:149], v[88:89]
	v_add_f64 v[2:3], v[2:3], v[4:5]
	v_mul_f64 v[4:5], v[132:133], v[70:71]
	v_add_f64 v[158:159], v[154:155], v[156:157]
	ds_read_b128 v[154:157], v1 offset:1616
	s_waitcnt vmcnt(26) lgkmcnt(1)
	v_mul_f64 v[160:161], v[150:151], v[98:99]
	v_fma_f64 v[4:5], v[130:131], v[72:73], -v[4:5]
	s_waitcnt vmcnt(24)
	v_fmac_f64_e32 v[160:161], v[152:153], v[100:101]
	v_add_f64 v[2:3], v[2:3], v[4:5]
	v_mul_f64 v[4:5], v[136:137], v[82:83]
	v_add_f64 v[162:163], v[158:159], v[160:161]
	ds_read_b128 v[158:161], v1 offset:1632
	v_fma_f64 v[4:5], v[134:135], v[84:85], -v[4:5]
	v_add_f64 v[2:3], v[2:3], v[4:5]
	v_mul_f64 v[4:5], v[140:141], v[78:79]
	v_fma_f64 v[4:5], v[138:139], v[80:81], -v[4:5]
	s_waitcnt lgkmcnt(1)
	v_mul_f64 v[164:165], v[154:155], v[94:95]
	v_add_f64 v[2:3], v[2:3], v[4:5]
	v_mul_f64 v[4:5], v[144:145], v[90:91]
	v_fmac_f64_e32 v[164:165], v[156:157], v[96:97]
	v_fma_f64 v[4:5], v[142:143], v[92:93], -v[4:5]
	v_add_f64 v[166:167], v[162:163], v[164:165]
	ds_read_b128 v[162:165], v1 offset:1648
	s_waitcnt vmcnt(18) lgkmcnt(1)
	v_mul_f64 v[168:169], v[158:159], v[186:187]
	v_add_f64 v[2:3], v[2:3], v[4:5]
	v_mul_f64 v[4:5], v[148:149], v[86:87]
	s_waitcnt vmcnt(16)
	v_fmac_f64_e32 v[168:169], v[160:161], v[188:189]
	v_fma_f64 v[4:5], v[146:147], v[88:89], -v[4:5]
	v_add_f64 v[170:171], v[166:167], v[168:169]
	ds_read_b128 v[166:169], v1 offset:1664
	v_add_f64 v[2:3], v[2:3], v[4:5]
	v_mul_f64 v[4:5], v[152:153], v[98:99]
	v_fma_f64 v[4:5], v[150:151], v[100:101], -v[4:5]
	v_add_f64 v[2:3], v[2:3], v[4:5]
	v_mul_f64 v[4:5], v[156:157], v[94:95]
	s_waitcnt lgkmcnt(1)
	v_mul_f64 v[172:173], v[162:163], v[182:183]
	v_fma_f64 v[4:5], v[154:155], v[96:97], -v[4:5]
	v_fmac_f64_e32 v[172:173], v[164:165], v[184:185]
	v_add_f64 v[2:3], v[2:3], v[4:5]
	v_mul_f64 v[4:5], v[160:161], v[186:187]
	v_add_f64 v[174:175], v[170:171], v[172:173]
	ds_read_b128 v[170:173], v1 offset:1680
	s_waitcnt vmcnt(10) lgkmcnt(1)
	v_mul_f64 v[176:177], v[166:167], v[194:195]
	v_fma_f64 v[4:5], v[158:159], v[188:189], -v[4:5]
	s_waitcnt vmcnt(8)
	v_fmac_f64_e32 v[176:177], v[168:169], v[196:197]
	v_add_f64 v[2:3], v[2:3], v[4:5]
	v_mul_f64 v[4:5], v[164:165], v[182:183]
	v_add_f64 v[206:207], v[174:175], v[176:177]
	ds_read_b128 v[174:177], v1 offset:1696
	ds_read_b128 v[178:181], v1 offset:1712
	v_fma_f64 v[4:5], v[162:163], v[184:185], -v[4:5]
	v_add_f64 v[2:3], v[2:3], v[4:5]
	v_mul_f64 v[4:5], v[168:169], v[194:195]
	v_fma_f64 v[4:5], v[166:167], v[196:197], -v[4:5]
	v_add_f64 v[2:3], v[2:3], v[4:5]
	s_waitcnt lgkmcnt(2)
	v_mul_f64 v[4:5], v[172:173], v[190:191]
	v_mul_f64 v[208:209], v[170:171], v[190:191]
	v_fma_f64 v[4:5], v[170:171], v[192:193], -v[4:5]
	v_fmac_f64_e32 v[208:209], v[172:173], v[192:193]
	v_add_f64 v[2:3], v[2:3], v[4:5]
	s_waitcnt vmcnt(2) lgkmcnt(1)
	v_mul_f64 v[4:5], v[176:177], v[202:203]
	v_add_f64 v[206:207], v[206:207], v[208:209]
	v_mul_f64 v[208:209], v[174:175], v[202:203]
	s_waitcnt vmcnt(0)
	v_fma_f64 v[4:5], v[174:175], v[204:205], -v[4:5]
	v_fmac_f64_e32 v[208:209], v[176:177], v[204:205]
	v_add_f64 v[2:3], v[2:3], v[4:5]
	s_waitcnt lgkmcnt(0)
	v_mul_f64 v[4:5], v[180:181], v[198:199]
	v_add_f64 v[206:207], v[206:207], v[208:209]
	v_mul_f64 v[208:209], v[178:179], v[198:199]
	v_fma_f64 v[4:5], v[178:179], v[200:201], -v[4:5]
	v_fmac_f64_e32 v[208:209], v[180:181], v[200:201]
	v_add_f64 v[2:3], v[2:3], v[4:5]
	v_add_f64 v[206:207], v[206:207], v[208:209]
	v_add_f64 v[2:3], v[34:35], -v[2:3]
	v_add_f64 v[4:5], v[32:33], -v[206:207]
	buffer_store_dword v3, off, s[0:3], 0 offset:468
	buffer_store_dword v2, off, s[0:3], 0 offset:464
	;; [unrolled: 1-line block ×4, first 2 shown]
	s_and_saveexec_b64 s[4:5], vcc
	s_cbranch_execz .LBB117_283
; %bb.282:
	v_accvgpr_read_b32 v5, a134
	buffer_load_dword v2, v5, s[0:3], 0 offen
	buffer_load_dword v3, v5, s[0:3], 0 offen offset:4
	buffer_load_dword v4, v5, s[0:3], 0 offen offset:8
	s_nop 0
	buffer_load_dword v5, v5, s[0:3], 0 offen offset:12
	v_accvgpr_read_b32 v6, a161
	buffer_store_dword v1, off, s[0:3], 0 offset:448
	buffer_store_dword v1, off, s[0:3], 0 offset:452
	;; [unrolled: 1-line block ×4, first 2 shown]
	s_waitcnt vmcnt(4)
	ds_write_b128 v6, v[2:5]
.LBB117_283:
	s_or_b64 exec, exec, s[4:5]
	s_waitcnt lgkmcnt(0)
	; wave barrier
	s_waitcnt lgkmcnt(0)
	buffer_load_dword v26, off, s[0:3], 0 offset:464
	buffer_load_dword v27, off, s[0:3], 0 offset:468
	;; [unrolled: 1-line block ×24, first 2 shown]
	ds_read_b128 v[22:25], v1 offset:1312
	ds_read_b128 v[18:21], v1 offset:1328
	;; [unrolled: 1-line block ×6, first 2 shown]
	buffer_load_dword v51, off, s[0:3], 0 offset:572
	buffer_load_dword v50, off, s[0:3], 0 offset:568
	;; [unrolled: 1-line block ×40, first 2 shown]
	v_cmp_lt_u32_e32 vcc, 26, v0
	s_waitcnt vmcnt(34) lgkmcnt(0)
	v_mul_f64 v[120:121], v[14:15], v[54:55]
	s_waitcnt vmcnt(32)
	v_fmac_f64_e32 v[120:121], v[16:17], v[56:57]
	v_mul_f64 v[90:91], v[22:23], v[28:29]
	v_fmac_f64_e32 v[90:91], v[24:25], v[26:27]
	v_mul_f64 v[92:93], v[18:19], v[30:31]
	v_add_f64 v[90:91], v[90:91], 0
	v_mul_f64 v[94:95], v[10:11], v[32:33]
	v_mul_f64 v[24:25], v[24:25], v[28:29]
	;; [unrolled: 1-line block ×3, first 2 shown]
	v_fma_f64 v[22:23], v[22:23], v[26:27], -v[24:25]
	v_add_f64 v[22:23], v[22:23], 0
	v_mul_f64 v[96:97], v[6:7], v[42:43]
	v_fmac_f64_e32 v[92:93], v[20:21], v[48:49]
	v_add_f64 v[90:91], v[90:91], v[92:93]
	v_fmac_f64_e32 v[94:95], v[12:13], v[46:47]
	v_add_f64 v[90:91], v[90:91], v[94:95]
	;; [unrolled: 2-line block ×3, first 2 shown]
	buffer_load_dword v91, off, s[0:3], 0 offset:732
	buffer_load_dword v90, off, s[0:3], 0 offset:728
	buffer_load_dword v93, off, s[0:3], 0 offset:724
	buffer_load_dword v92, off, s[0:3], 0 offset:720
	buffer_load_dword v95, off, s[0:3], 0 offset:716
	buffer_load_dword v94, off, s[0:3], 0 offset:712
	buffer_load_dword v97, off, s[0:3], 0 offset:708
	buffer_load_dword v96, off, s[0:3], 0 offset:704
	buffer_load_dword v99, off, s[0:3], 0 offset:764
	buffer_load_dword v98, off, s[0:3], 0 offset:760
	buffer_load_dword v101, off, s[0:3], 0 offset:756
	buffer_load_dword v100, off, s[0:3], 0 offset:752
	buffer_load_dword v103, off, s[0:3], 0 offset:748
	buffer_load_dword v102, off, s[0:3], 0 offset:744
	buffer_load_dword v105, off, s[0:3], 0 offset:740
	buffer_load_dword v104, off, s[0:3], 0 offset:736
	buffer_load_dword v107, off, s[0:3], 0 offset:796
	buffer_load_dword v106, off, s[0:3], 0 offset:792
	buffer_load_dword v109, off, s[0:3], 0 offset:788
	buffer_load_dword v108, off, s[0:3], 0 offset:784
	buffer_load_dword v111, off, s[0:3], 0 offset:780
	buffer_load_dword v110, off, s[0:3], 0 offset:776
	buffer_load_dword v113, off, s[0:3], 0 offset:772
	buffer_load_dword v112, off, s[0:3], 0 offset:768
	buffer_load_dword v195, off, s[0:3], 0 offset:828
	buffer_load_dword v194, off, s[0:3], 0 offset:824
	buffer_load_dword v197, off, s[0:3], 0 offset:820
	buffer_load_dword v196, off, s[0:3], 0 offset:816
	buffer_load_dword v199, off, s[0:3], 0 offset:812
	buffer_load_dword v198, off, s[0:3], 0 offset:808
	buffer_load_dword v201, off, s[0:3], 0 offset:804
	buffer_load_dword v200, off, s[0:3], 0 offset:800
	buffer_load_dword v203, off, s[0:3], 0 offset:860
	buffer_load_dword v202, off, s[0:3], 0 offset:856
	buffer_load_dword v205, off, s[0:3], 0 offset:852
	buffer_load_dword v204, off, s[0:3], 0 offset:848
	buffer_load_dword v207, off, s[0:3], 0 offset:844
	buffer_load_dword v206, off, s[0:3], 0 offset:840
	buffer_load_dword v209, off, s[0:3], 0 offset:836
	buffer_load_dword v208, off, s[0:3], 0 offset:832
	v_fmac_f64_e32 v[114:115], v[4:5], v[40:41]
	v_add_f64 v[118:119], v[116:117], v[114:115]
	ds_read_b128 v[114:117], v1 offset:1408
	buffer_load_dword v211, off, s[0:3], 0 offset:876
	buffer_load_dword v210, off, s[0:3], 0 offset:872
	buffer_load_dword v213, off, s[0:3], 0 offset:868
	buffer_load_dword v212, off, s[0:3], 0 offset:864
	v_add_f64 v[122:123], v[118:119], v[120:121]
	ds_read_b128 v[118:121], v1 offset:1424
	v_mul_f64 v[20:21], v[20:21], v[30:31]
	s_waitcnt lgkmcnt(1)
	v_mul_f64 v[124:125], v[114:115], v[50:51]
	v_fmac_f64_e32 v[124:125], v[116:117], v[52:53]
	v_add_f64 v[126:127], v[122:123], v[124:125]
	ds_read_b128 v[122:125], v1 offset:1440
	s_waitcnt vmcnt(62) lgkmcnt(1)
	v_mul_f64 v[128:129], v[118:119], v[62:63]
	v_fmac_f64_e32 v[128:129], v[120:121], v[64:65]
	v_add_f64 v[130:131], v[126:127], v[128:129]
	ds_read_b128 v[126:129], v1 offset:1456
	s_waitcnt lgkmcnt(1)
	v_mul_f64 v[132:133], v[122:123], v[58:59]
	v_fmac_f64_e32 v[132:133], v[124:125], v[60:61]
	v_add_f64 v[134:135], v[130:131], v[132:133]
	ds_read_b128 v[130:133], v1 offset:1472
	s_waitcnt lgkmcnt(1)
	v_mul_f64 v[136:137], v[126:127], v[70:71]
	s_waitcnt vmcnt(60)
	v_fmac_f64_e32 v[136:137], v[128:129], v[72:73]
	v_add_f64 v[138:139], v[134:135], v[136:137]
	ds_read_b128 v[134:137], v1 offset:1488
	s_waitcnt lgkmcnt(1)
	v_mul_f64 v[140:141], v[130:131], v[66:67]
	v_fmac_f64_e32 v[140:141], v[132:133], v[68:69]
	v_add_f64 v[142:143], v[138:139], v[140:141]
	ds_read_b128 v[138:141], v1 offset:1504
	s_waitcnt vmcnt(54) lgkmcnt(1)
	v_mul_f64 v[144:145], v[134:135], v[78:79]
	s_waitcnt vmcnt(52)
	v_fmac_f64_e32 v[144:145], v[136:137], v[80:81]
	v_add_f64 v[146:147], v[142:143], v[144:145]
	ds_read_b128 v[142:145], v1 offset:1520
	s_waitcnt lgkmcnt(1)
	v_mul_f64 v[148:149], v[138:139], v[74:75]
	v_fmac_f64_e32 v[148:149], v[140:141], v[76:77]
	v_fma_f64 v[18:19], v[18:19], v[48:49], -v[20:21]
	v_mul_f64 v[12:13], v[12:13], v[32:33]
	v_add_f64 v[150:151], v[146:147], v[148:149]
	ds_read_b128 v[146:149], v1 offset:1536
	v_add_f64 v[18:19], v[22:23], v[18:19]
	v_fma_f64 v[10:11], v[10:11], v[46:47], -v[12:13]
	v_mul_f64 v[8:9], v[8:9], v[42:43]
	v_add_f64 v[10:11], v[18:19], v[10:11]
	v_fma_f64 v[6:7], v[6:7], v[44:45], -v[8:9]
	v_mul_f64 v[4:5], v[4:5], v[38:39]
	;; [unrolled: 3-line block ×3, first 2 shown]
	s_waitcnt vmcnt(46) lgkmcnt(1)
	v_mul_f64 v[152:153], v[142:143], v[86:87]
	v_add_f64 v[2:3], v[6:7], v[2:3]
	v_fma_f64 v[4:5], v[14:15], v[56:57], -v[4:5]
	s_waitcnt vmcnt(44)
	v_fmac_f64_e32 v[152:153], v[144:145], v[88:89]
	v_add_f64 v[2:3], v[2:3], v[4:5]
	v_mul_f64 v[4:5], v[116:117], v[50:51]
	v_add_f64 v[154:155], v[150:151], v[152:153]
	ds_read_b128 v[150:153], v1 offset:1552
	s_waitcnt lgkmcnt(1)
	v_mul_f64 v[156:157], v[146:147], v[82:83]
	v_fma_f64 v[4:5], v[114:115], v[52:53], -v[4:5]
	v_fmac_f64_e32 v[156:157], v[148:149], v[84:85]
	v_add_f64 v[2:3], v[2:3], v[4:5]
	v_mul_f64 v[4:5], v[120:121], v[62:63]
	v_add_f64 v[158:159], v[154:155], v[156:157]
	ds_read_b128 v[154:157], v1 offset:1568
	v_fma_f64 v[4:5], v[118:119], v[64:65], -v[4:5]
	v_add_f64 v[2:3], v[2:3], v[4:5]
	v_mul_f64 v[4:5], v[124:125], v[58:59]
	v_fma_f64 v[4:5], v[122:123], v[60:61], -v[4:5]
	s_waitcnt vmcnt(38) lgkmcnt(1)
	v_mul_f64 v[160:161], v[150:151], v[94:95]
	v_add_f64 v[2:3], v[2:3], v[4:5]
	v_mul_f64 v[4:5], v[128:129], v[70:71]
	s_waitcnt vmcnt(36)
	v_fmac_f64_e32 v[160:161], v[152:153], v[96:97]
	v_fma_f64 v[4:5], v[126:127], v[72:73], -v[4:5]
	v_add_f64 v[162:163], v[158:159], v[160:161]
	ds_read_b128 v[158:161], v1 offset:1584
	s_waitcnt lgkmcnt(1)
	v_mul_f64 v[164:165], v[154:155], v[90:91]
	v_add_f64 v[2:3], v[2:3], v[4:5]
	v_mul_f64 v[4:5], v[132:133], v[66:67]
	v_fmac_f64_e32 v[164:165], v[156:157], v[92:93]
	v_fma_f64 v[4:5], v[130:131], v[68:69], -v[4:5]
	v_add_f64 v[166:167], v[162:163], v[164:165]
	ds_read_b128 v[162:165], v1 offset:1600
	v_add_f64 v[2:3], v[2:3], v[4:5]
	v_mul_f64 v[4:5], v[136:137], v[78:79]
	v_fma_f64 v[4:5], v[134:135], v[80:81], -v[4:5]
	v_add_f64 v[2:3], v[2:3], v[4:5]
	v_mul_f64 v[4:5], v[140:141], v[74:75]
	s_waitcnt vmcnt(30) lgkmcnt(1)
	v_mul_f64 v[168:169], v[158:159], v[102:103]
	v_fma_f64 v[4:5], v[138:139], v[76:77], -v[4:5]
	s_waitcnt vmcnt(28)
	v_fmac_f64_e32 v[168:169], v[160:161], v[104:105]
	v_add_f64 v[2:3], v[2:3], v[4:5]
	v_mul_f64 v[4:5], v[144:145], v[86:87]
	v_add_f64 v[170:171], v[166:167], v[168:169]
	ds_read_b128 v[166:169], v1 offset:1616
	s_waitcnt lgkmcnt(1)
	v_mul_f64 v[172:173], v[162:163], v[98:99]
	v_fma_f64 v[4:5], v[142:143], v[88:89], -v[4:5]
	v_fmac_f64_e32 v[172:173], v[164:165], v[100:101]
	v_add_f64 v[2:3], v[2:3], v[4:5]
	v_mul_f64 v[4:5], v[148:149], v[82:83]
	v_add_f64 v[174:175], v[170:171], v[172:173]
	ds_read_b128 v[170:173], v1 offset:1632
	v_fma_f64 v[4:5], v[146:147], v[84:85], -v[4:5]
	v_add_f64 v[2:3], v[2:3], v[4:5]
	v_mul_f64 v[4:5], v[152:153], v[94:95]
	v_fma_f64 v[4:5], v[150:151], v[96:97], -v[4:5]
	s_waitcnt vmcnt(22) lgkmcnt(1)
	v_mul_f64 v[176:177], v[166:167], v[110:111]
	v_add_f64 v[2:3], v[2:3], v[4:5]
	v_mul_f64 v[4:5], v[156:157], v[90:91]
	s_waitcnt vmcnt(20)
	v_fmac_f64_e32 v[176:177], v[168:169], v[112:113]
	v_fma_f64 v[4:5], v[154:155], v[92:93], -v[4:5]
	v_add_f64 v[178:179], v[174:175], v[176:177]
	ds_read_b128 v[174:177], v1 offset:1648
	s_waitcnt lgkmcnt(1)
	v_mul_f64 v[180:181], v[170:171], v[106:107]
	v_add_f64 v[2:3], v[2:3], v[4:5]
	v_mul_f64 v[4:5], v[160:161], v[102:103]
	v_fmac_f64_e32 v[180:181], v[172:173], v[108:109]
	v_fma_f64 v[4:5], v[158:159], v[104:105], -v[4:5]
	v_add_f64 v[182:183], v[178:179], v[180:181]
	ds_read_b128 v[178:181], v1 offset:1664
	v_add_f64 v[2:3], v[2:3], v[4:5]
	v_mul_f64 v[4:5], v[164:165], v[98:99]
	v_fma_f64 v[4:5], v[162:163], v[100:101], -v[4:5]
	v_add_f64 v[2:3], v[2:3], v[4:5]
	v_mul_f64 v[4:5], v[168:169], v[110:111]
	s_waitcnt vmcnt(14) lgkmcnt(1)
	v_mul_f64 v[184:185], v[174:175], v[198:199]
	v_fma_f64 v[4:5], v[166:167], v[112:113], -v[4:5]
	s_waitcnt vmcnt(12)
	v_fmac_f64_e32 v[184:185], v[176:177], v[200:201]
	v_add_f64 v[2:3], v[2:3], v[4:5]
	v_mul_f64 v[4:5], v[172:173], v[106:107]
	v_add_f64 v[186:187], v[182:183], v[184:185]
	ds_read_b128 v[182:185], v1 offset:1680
	s_waitcnt lgkmcnt(1)
	v_mul_f64 v[188:189], v[178:179], v[194:195]
	v_fma_f64 v[4:5], v[170:171], v[108:109], -v[4:5]
	v_fmac_f64_e32 v[188:189], v[180:181], v[196:197]
	v_add_f64 v[2:3], v[2:3], v[4:5]
	v_mul_f64 v[4:5], v[176:177], v[198:199]
	v_add_f64 v[214:215], v[186:187], v[188:189]
	ds_read_b128 v[186:189], v1 offset:1696
	v_fma_f64 v[4:5], v[174:175], v[200:201], -v[4:5]
	v_add_f64 v[2:3], v[2:3], v[4:5]
	v_mul_f64 v[4:5], v[180:181], v[194:195]
	ds_read_b128 v[190:193], v1 offset:1712
	v_fma_f64 v[4:5], v[178:179], v[196:197], -v[4:5]
	v_add_f64 v[2:3], v[2:3], v[4:5]
	s_waitcnt vmcnt(6) lgkmcnt(2)
	v_mul_f64 v[4:5], v[184:185], v[206:207]
	v_mul_f64 v[216:217], v[182:183], v[206:207]
	s_waitcnt vmcnt(4)
	v_fma_f64 v[4:5], v[182:183], v[208:209], -v[4:5]
	v_fmac_f64_e32 v[216:217], v[184:185], v[208:209]
	v_add_f64 v[2:3], v[2:3], v[4:5]
	s_waitcnt lgkmcnt(1)
	v_mul_f64 v[4:5], v[188:189], v[202:203]
	v_add_f64 v[214:215], v[214:215], v[216:217]
	v_mul_f64 v[216:217], v[186:187], v[202:203]
	v_fma_f64 v[4:5], v[186:187], v[204:205], -v[4:5]
	v_fmac_f64_e32 v[216:217], v[188:189], v[204:205]
	v_add_f64 v[2:3], v[2:3], v[4:5]
	s_waitcnt vmcnt(2) lgkmcnt(0)
	v_mul_f64 v[4:5], v[192:193], v[210:211]
	v_add_f64 v[214:215], v[214:215], v[216:217]
	v_mul_f64 v[216:217], v[190:191], v[210:211]
	s_waitcnt vmcnt(0)
	v_fma_f64 v[4:5], v[190:191], v[212:213], -v[4:5]
	v_fmac_f64_e32 v[216:217], v[192:193], v[212:213]
	v_add_f64 v[2:3], v[2:3], v[4:5]
	v_add_f64 v[214:215], v[214:215], v[216:217]
	v_add_f64 v[2:3], v[36:37], -v[2:3]
	v_add_f64 v[4:5], v[34:35], -v[214:215]
	buffer_store_dword v3, off, s[0:3], 0 offset:452
	buffer_store_dword v2, off, s[0:3], 0 offset:448
	;; [unrolled: 1-line block ×4, first 2 shown]
	s_and_saveexec_b64 s[4:5], vcc
	s_cbranch_execz .LBB117_285
; %bb.284:
	v_accvgpr_read_b32 v1, a135
	buffer_load_dword v2, v1, s[0:3], 0 offen
	buffer_load_dword v3, v1, s[0:3], 0 offen offset:4
	buffer_load_dword v4, v1, s[0:3], 0 offen offset:8
	;; [unrolled: 1-line block ×3, first 2 shown]
	v_mov_b32_e32 v1, 0
	v_accvgpr_read_b32 v6, a161
	buffer_store_dword v1, off, s[0:3], 0 offset:432
	buffer_store_dword v1, off, s[0:3], 0 offset:436
	;; [unrolled: 1-line block ×4, first 2 shown]
	s_waitcnt vmcnt(4)
	ds_write_b128 v6, v[2:5]
.LBB117_285:
	s_or_b64 exec, exec, s[4:5]
	s_waitcnt lgkmcnt(0)
	; wave barrier
	s_waitcnt lgkmcnt(0)
	buffer_load_dword v30, off, s[0:3], 0 offset:448
	buffer_load_dword v31, off, s[0:3], 0 offset:452
	;; [unrolled: 1-line block ×56, first 2 shown]
	v_mov_b32_e32 v1, 0
	ds_read_b128 v[26:29], v1 offset:1296
	ds_read_b128 v[22:25], v1 offset:1312
	;; [unrolled: 1-line block ×7, first 2 shown]
	v_cmp_lt_u32_e32 vcc, 25, v0
	s_waitcnt vmcnt(52) lgkmcnt(6)
	v_mul_f64 v[86:87], v[26:27], v[34:35]
	v_fmac_f64_e32 v[86:87], v[28:29], v[30:31]
	v_add_f64 v[86:87], v[86:87], 0
	v_mul_f64 v[28:29], v[28:29], v[34:35]
	s_waitcnt vmcnt(48) lgkmcnt(5)
	v_mul_f64 v[88:89], v[22:23], v[36:37]
	v_fmac_f64_e32 v[88:89], v[24:25], v[32:33]
	s_waitcnt vmcnt(46) lgkmcnt(4)
	v_mul_f64 v[90:91], v[18:19], v[38:39]
	v_add_f64 v[86:87], v[86:87], v[88:89]
	s_waitcnt vmcnt(44) lgkmcnt(2)
	v_mul_f64 v[94:95], v[10:11], v[40:41]
	v_fma_f64 v[26:27], v[26:27], v[30:31], -v[28:29]
	s_waitcnt vmcnt(42)
	v_fmac_f64_e32 v[94:95], v[12:13], v[42:43]
	v_mul_f64 v[24:25], v[24:25], v[36:37]
	s_waitcnt vmcnt(40)
	v_mul_f64 v[92:93], v[14:15], v[48:49]
	v_add_f64 v[26:27], v[26:27], 0
	v_fma_f64 v[22:23], v[22:23], v[32:33], -v[24:25]
	v_add_f64 v[22:23], v[26:27], v[22:23]
	s_waitcnt vmcnt(36) lgkmcnt(1)
	v_mul_f64 v[110:111], v[6:7], v[54:55]
	v_mul_f64 v[12:13], v[12:13], v[40:41]
	s_waitcnt vmcnt(34)
	v_fmac_f64_e32 v[90:91], v[20:21], v[60:61]
	v_add_f64 v[86:87], v[86:87], v[90:91]
	s_waitcnt vmcnt(32)
	v_fmac_f64_e32 v[92:93], v[16:17], v[58:59]
	v_add_f64 v[86:87], v[86:87], v[92:93]
	v_add_f64 v[116:117], v[86:87], v[94:95]
	buffer_load_dword v87, off, s[0:3], 0 offset:684
	buffer_load_dword v86, off, s[0:3], 0 offset:680
	;; [unrolled: 1-line block ×56, first 2 shown]
	ds_read_b128 v[124:127], v1 offset:1408
	ds_read_b128 v[128:131], v1 offset:1424
	v_mul_f64 v[20:21], v[20:21], v[38:39]
	v_fma_f64 v[18:19], v[18:19], v[60:61], -v[20:21]
	v_mul_f64 v[16:17], v[16:17], v[48:49]
	s_waitcnt vmcnt(62)
	v_fmac_f64_e32 v[110:111], v[8:9], v[56:57]
	v_add_f64 v[18:19], v[22:23], v[18:19]
	v_fma_f64 v[14:15], v[14:15], v[58:59], -v[16:17]
	v_add_f64 v[110:111], v[116:117], v[110:111]
	s_waitcnt lgkmcnt(2)
	v_mul_f64 v[116:117], v[2:3], v[50:51]
	v_add_f64 v[14:15], v[18:19], v[14:15]
	v_fma_f64 v[10:11], v[10:11], v[42:43], -v[12:13]
	v_mul_f64 v[8:9], v[8:9], v[54:55]
	v_fmac_f64_e32 v[116:117], v[4:5], v[52:53]
	ds_read_b128 v[132:135], v1 offset:1440
	ds_read_b128 v[136:139], v1 offset:1456
	v_add_f64 v[10:11], v[14:15], v[10:11]
	v_fma_f64 v[6:7], v[6:7], v[56:57], -v[8:9]
	v_mul_f64 v[4:5], v[4:5], v[50:51]
	v_add_f64 v[6:7], v[10:11], v[6:7]
	v_fma_f64 v[2:3], v[2:3], v[52:53], -v[4:5]
	s_waitcnt lgkmcnt(3)
	v_mul_f64 v[4:5], v[126:127], v[66:67]
	v_add_f64 v[110:111], v[110:111], v[116:117]
	v_mul_f64 v[116:117], v[124:125], v[66:67]
	v_add_f64 v[2:3], v[6:7], v[2:3]
	v_fma_f64 v[4:5], v[124:125], v[68:69], -v[4:5]
	v_fmac_f64_e32 v[116:117], v[126:127], v[68:69]
	v_add_f64 v[2:3], v[2:3], v[4:5]
	s_waitcnt lgkmcnt(2)
	v_mul_f64 v[4:5], v[130:131], v[62:63]
	v_add_f64 v[110:111], v[110:111], v[116:117]
	v_mul_f64 v[116:117], v[128:129], v[62:63]
	ds_read_b128 v[140:143], v1 offset:1472
	ds_read_b128 v[144:147], v1 offset:1488
	v_fma_f64 v[4:5], v[128:129], v[64:65], -v[4:5]
	v_fmac_f64_e32 v[116:117], v[130:131], v[64:65]
	v_add_f64 v[2:3], v[2:3], v[4:5]
	s_waitcnt lgkmcnt(3)
	v_mul_f64 v[4:5], v[134:135], v[74:75]
	v_add_f64 v[110:111], v[110:111], v[116:117]
	v_mul_f64 v[116:117], v[132:133], v[74:75]
	v_fma_f64 v[4:5], v[132:133], v[76:77], -v[4:5]
	v_fmac_f64_e32 v[116:117], v[134:135], v[76:77]
	v_add_f64 v[2:3], v[2:3], v[4:5]
	s_waitcnt lgkmcnt(2)
	v_mul_f64 v[4:5], v[138:139], v[70:71]
	v_add_f64 v[110:111], v[110:111], v[116:117]
	v_mul_f64 v[116:117], v[136:137], v[70:71]
	ds_read_b128 v[148:151], v1 offset:1504
	ds_read_b128 v[152:155], v1 offset:1520
	v_fma_f64 v[4:5], v[136:137], v[72:73], -v[4:5]
	v_fmac_f64_e32 v[116:117], v[138:139], v[72:73]
	v_add_f64 v[2:3], v[2:3], v[4:5]
	s_waitcnt vmcnt(58) lgkmcnt(3)
	v_mul_f64 v[4:5], v[142:143], v[82:83]
	v_add_f64 v[110:111], v[110:111], v[116:117]
	v_mul_f64 v[116:117], v[140:141], v[82:83]
	s_waitcnt vmcnt(56)
	v_fma_f64 v[4:5], v[140:141], v[84:85], -v[4:5]
	v_fmac_f64_e32 v[116:117], v[142:143], v[84:85]
	v_add_f64 v[2:3], v[2:3], v[4:5]
	s_waitcnt lgkmcnt(2)
	v_mul_f64 v[4:5], v[146:147], v[78:79]
	v_add_f64 v[110:111], v[110:111], v[116:117]
	v_mul_f64 v[116:117], v[144:145], v[78:79]
	ds_read_b128 v[156:159], v1 offset:1536
	ds_read_b128 v[160:163], v1 offset:1552
	v_fma_f64 v[4:5], v[144:145], v[80:81], -v[4:5]
	v_fmac_f64_e32 v[116:117], v[146:147], v[80:81]
	v_add_f64 v[2:3], v[2:3], v[4:5]
	s_waitcnt vmcnt(50) lgkmcnt(3)
	v_mul_f64 v[4:5], v[150:151], v[90:91]
	v_add_f64 v[110:111], v[110:111], v[116:117]
	v_mul_f64 v[116:117], v[148:149], v[90:91]
	s_waitcnt vmcnt(48)
	v_fma_f64 v[4:5], v[148:149], v[92:93], -v[4:5]
	v_fmac_f64_e32 v[116:117], v[150:151], v[92:93]
	v_add_f64 v[2:3], v[2:3], v[4:5]
	s_waitcnt lgkmcnt(2)
	v_mul_f64 v[4:5], v[154:155], v[86:87]
	v_add_f64 v[110:111], v[110:111], v[116:117]
	v_mul_f64 v[116:117], v[152:153], v[86:87]
	ds_read_b128 v[164:167], v1 offset:1568
	ds_read_b128 v[168:171], v1 offset:1584
	v_fma_f64 v[4:5], v[152:153], v[88:89], -v[4:5]
	v_fmac_f64_e32 v[116:117], v[154:155], v[88:89]
	v_add_f64 v[2:3], v[2:3], v[4:5]
	s_waitcnt vmcnt(42) lgkmcnt(3)
	v_mul_f64 v[4:5], v[158:159], v[98:99]
	v_add_f64 v[110:111], v[110:111], v[116:117]
	v_mul_f64 v[116:117], v[156:157], v[98:99]
	s_waitcnt vmcnt(40)
	v_fma_f64 v[4:5], v[156:157], v[100:101], -v[4:5]
	v_fmac_f64_e32 v[116:117], v[158:159], v[100:101]
	v_add_f64 v[2:3], v[2:3], v[4:5]
	s_waitcnt lgkmcnt(2)
	v_mul_f64 v[4:5], v[162:163], v[94:95]
	v_add_f64 v[110:111], v[110:111], v[116:117]
	v_mul_f64 v[116:117], v[160:161], v[94:95]
	ds_read_b128 v[172:175], v1 offset:1600
	ds_read_b128 v[176:179], v1 offset:1616
	v_fma_f64 v[4:5], v[160:161], v[96:97], -v[4:5]
	v_fmac_f64_e32 v[116:117], v[162:163], v[96:97]
	v_add_f64 v[2:3], v[2:3], v[4:5]
	s_waitcnt vmcnt(34) lgkmcnt(3)
	v_mul_f64 v[4:5], v[166:167], v[106:107]
	v_add_f64 v[110:111], v[110:111], v[116:117]
	v_mul_f64 v[116:117], v[164:165], v[106:107]
	s_waitcnt vmcnt(32)
	v_fma_f64 v[4:5], v[164:165], v[108:109], -v[4:5]
	v_fmac_f64_e32 v[116:117], v[166:167], v[108:109]
	v_add_f64 v[2:3], v[2:3], v[4:5]
	s_waitcnt lgkmcnt(2)
	v_mul_f64 v[4:5], v[170:171], v[102:103]
	v_add_f64 v[110:111], v[110:111], v[116:117]
	v_mul_f64 v[116:117], v[168:169], v[102:103]
	ds_read_b128 v[180:183], v1 offset:1632
	ds_read_b128 v[184:187], v1 offset:1648
	v_fma_f64 v[4:5], v[168:169], v[104:105], -v[4:5]
	v_fmac_f64_e32 v[116:117], v[170:171], v[104:105]
	v_add_f64 v[2:3], v[2:3], v[4:5]
	s_waitcnt vmcnt(26) lgkmcnt(3)
	v_mul_f64 v[4:5], v[174:175], v[118:119]
	v_add_f64 v[110:111], v[110:111], v[116:117]
	v_mul_f64 v[116:117], v[172:173], v[118:119]
	s_waitcnt vmcnt(24)
	v_fma_f64 v[4:5], v[172:173], v[120:121], -v[4:5]
	v_fmac_f64_e32 v[116:117], v[174:175], v[120:121]
	v_add_f64 v[2:3], v[2:3], v[4:5]
	s_waitcnt lgkmcnt(2)
	v_mul_f64 v[4:5], v[178:179], v[112:113]
	v_add_f64 v[110:111], v[110:111], v[116:117]
	v_mul_f64 v[116:117], v[176:177], v[112:113]
	ds_read_b128 v[188:191], v1 offset:1664
	ds_read_b128 v[192:195], v1 offset:1680
	v_fma_f64 v[4:5], v[176:177], v[114:115], -v[4:5]
	v_fmac_f64_e32 v[116:117], v[178:179], v[114:115]
	v_add_f64 v[2:3], v[2:3], v[4:5]
	s_waitcnt vmcnt(18) lgkmcnt(3)
	v_mul_f64 v[4:5], v[182:183], v[206:207]
	v_add_f64 v[110:111], v[110:111], v[116:117]
	v_mul_f64 v[116:117], v[180:181], v[206:207]
	s_waitcnt vmcnt(16)
	v_fma_f64 v[4:5], v[180:181], v[208:209], -v[4:5]
	v_fmac_f64_e32 v[116:117], v[182:183], v[208:209]
	v_add_f64 v[2:3], v[2:3], v[4:5]
	s_waitcnt lgkmcnt(2)
	v_mul_f64 v[4:5], v[186:187], v[122:123]
	v_add_f64 v[110:111], v[110:111], v[116:117]
	v_mul_f64 v[116:117], v[184:185], v[122:123]
	ds_read_b128 v[196:199], v1 offset:1696
	ds_read_b128 v[200:203], v1 offset:1712
	v_fma_f64 v[4:5], v[184:185], v[204:205], -v[4:5]
	v_fmac_f64_e32 v[116:117], v[186:187], v[204:205]
	v_add_f64 v[2:3], v[2:3], v[4:5]
	s_waitcnt vmcnt(10) lgkmcnt(3)
	v_mul_f64 v[4:5], v[190:191], v[214:215]
	v_add_f64 v[110:111], v[110:111], v[116:117]
	v_mul_f64 v[116:117], v[188:189], v[214:215]
	s_waitcnt vmcnt(8)
	v_fma_f64 v[4:5], v[188:189], v[216:217], -v[4:5]
	v_fmac_f64_e32 v[116:117], v[190:191], v[216:217]
	v_add_f64 v[2:3], v[2:3], v[4:5]
	s_waitcnt lgkmcnt(2)
	v_mul_f64 v[4:5], v[194:195], v[210:211]
	v_add_f64 v[110:111], v[110:111], v[116:117]
	v_mul_f64 v[116:117], v[192:193], v[210:211]
	v_fma_f64 v[4:5], v[192:193], v[212:213], -v[4:5]
	v_fmac_f64_e32 v[116:117], v[194:195], v[212:213]
	v_add_f64 v[2:3], v[2:3], v[4:5]
	s_waitcnt vmcnt(2) lgkmcnt(1)
	v_mul_f64 v[4:5], v[198:199], v[222:223]
	v_add_f64 v[110:111], v[110:111], v[116:117]
	v_mul_f64 v[116:117], v[196:197], v[222:223]
	s_waitcnt vmcnt(0)
	v_fma_f64 v[4:5], v[196:197], v[224:225], -v[4:5]
	v_fmac_f64_e32 v[116:117], v[198:199], v[224:225]
	v_add_f64 v[2:3], v[2:3], v[4:5]
	s_waitcnt lgkmcnt(0)
	v_mul_f64 v[4:5], v[202:203], v[218:219]
	v_add_f64 v[110:111], v[110:111], v[116:117]
	v_mul_f64 v[116:117], v[200:201], v[218:219]
	v_fma_f64 v[4:5], v[200:201], v[220:221], -v[4:5]
	v_fmac_f64_e32 v[116:117], v[202:203], v[220:221]
	v_add_f64 v[2:3], v[2:3], v[4:5]
	v_add_f64 v[110:111], v[110:111], v[116:117]
	v_add_f64 v[2:3], v[46:47], -v[2:3]
	v_add_f64 v[4:5], v[44:45], -v[110:111]
	buffer_store_dword v3, off, s[0:3], 0 offset:436
	buffer_store_dword v2, off, s[0:3], 0 offset:432
	;; [unrolled: 1-line block ×4, first 2 shown]
	s_and_saveexec_b64 s[4:5], vcc
	s_cbranch_execz .LBB117_287
; %bb.286:
	v_accvgpr_read_b32 v5, a136
	buffer_load_dword v2, v5, s[0:3], 0 offen
	buffer_load_dword v3, v5, s[0:3], 0 offen offset:4
	buffer_load_dword v4, v5, s[0:3], 0 offen offset:8
	s_nop 0
	buffer_load_dword v5, v5, s[0:3], 0 offen offset:12
	v_accvgpr_read_b32 v6, a161
	buffer_store_dword v1, off, s[0:3], 0 offset:416
	buffer_store_dword v1, off, s[0:3], 0 offset:420
	;; [unrolled: 1-line block ×4, first 2 shown]
	s_waitcnt vmcnt(4)
	ds_write_b128 v6, v[2:5]
.LBB117_287:
	s_or_b64 exec, exec, s[4:5]
	s_waitcnt lgkmcnt(0)
	; wave barrier
	s_waitcnt lgkmcnt(0)
	buffer_load_dword v34, off, s[0:3], 0 offset:432
	buffer_load_dword v35, off, s[0:3], 0 offset:436
	;; [unrolled: 1-line block ×32, first 2 shown]
	ds_read_b128 v[30:33], v1 offset:1280
	ds_read_b128 v[26:29], v1 offset:1296
	;; [unrolled: 1-line block ×8, first 2 shown]
	buffer_load_dword v67, off, s[0:3], 0 offset:572
	buffer_load_dword v66, off, s[0:3], 0 offset:568
	buffer_load_dword v69, off, s[0:3], 0 offset:564
	buffer_load_dword v68, off, s[0:3], 0 offset:560
	buffer_load_dword v71, off, s[0:3], 0 offset:556
	buffer_load_dword v70, off, s[0:3], 0 offset:552
	buffer_load_dword v73, off, s[0:3], 0 offset:548
	buffer_load_dword v72, off, s[0:3], 0 offset:544
	buffer_load_dword v75, off, s[0:3], 0 offset:604
	buffer_load_dword v74, off, s[0:3], 0 offset:600
	buffer_load_dword v77, off, s[0:3], 0 offset:596
	buffer_load_dword v76, off, s[0:3], 0 offset:592
	buffer_load_dword v79, off, s[0:3], 0 offset:588
	buffer_load_dword v78, off, s[0:3], 0 offset:584
	buffer_load_dword v81, off, s[0:3], 0 offset:580
	buffer_load_dword v80, off, s[0:3], 0 offset:576
	buffer_load_dword v83, off, s[0:3], 0 offset:636
	buffer_load_dword v82, off, s[0:3], 0 offset:632
	buffer_load_dword v85, off, s[0:3], 0 offset:628
	buffer_load_dword v84, off, s[0:3], 0 offset:624
	buffer_load_dword v87, off, s[0:3], 0 offset:620
	buffer_load_dword v86, off, s[0:3], 0 offset:616
	buffer_load_dword v89, off, s[0:3], 0 offset:612
	buffer_load_dword v88, off, s[0:3], 0 offset:608
	v_cmp_lt_u32_e32 vcc, 24, v0
	s_waitcnt vmcnt(52) lgkmcnt(7)
	v_mul_f64 v[90:91], v[30:31], v[38:39]
	v_fmac_f64_e32 v[90:91], v[32:33], v[34:35]
	v_add_f64 v[90:91], v[90:91], 0
	v_mul_f64 v[32:33], v[32:33], v[38:39]
	s_waitcnt vmcnt(48) lgkmcnt(6)
	v_mul_f64 v[92:93], v[26:27], v[40:41]
	v_fmac_f64_e32 v[92:93], v[28:29], v[36:37]
	s_waitcnt vmcnt(46) lgkmcnt(5)
	v_mul_f64 v[94:95], v[22:23], v[42:43]
	v_add_f64 v[90:91], v[90:91], v[92:93]
	s_waitcnt vmcnt(44) lgkmcnt(4)
	v_mul_f64 v[96:97], v[18:19], v[48:49]
	v_fma_f64 v[30:31], v[30:31], v[34:35], -v[32:33]
	s_waitcnt vmcnt(42) lgkmcnt(1)
	v_mul_f64 v[122:123], v[2:3], v[50:51]
	v_mul_f64 v[28:29], v[28:29], v[40:41]
	s_waitcnt vmcnt(18) lgkmcnt(0)
	v_mul_f64 v[136:137], v[14:15], v[70:71]
	v_mul_f64 v[100:101], v[6:7], v[54:55]
	s_waitcnt vmcnt(16)
	v_fmac_f64_e32 v[136:137], v[16:17], v[72:73]
	v_mul_f64 v[98:99], v[10:11], v[56:57]
	v_add_f64 v[30:31], v[30:31], 0
	v_fmac_f64_e32 v[98:99], v[12:13], v[58:59]
	v_fma_f64 v[26:27], v[26:27], v[36:37], -v[28:29]
	v_fmac_f64_e32 v[94:95], v[24:25], v[64:65]
	v_add_f64 v[90:91], v[90:91], v[94:95]
	v_fmac_f64_e32 v[96:97], v[20:21], v[62:63]
	v_add_f64 v[90:91], v[90:91], v[96:97]
	;; [unrolled: 2-line block ×3, first 2 shown]
	v_add_f64 v[124:125], v[90:91], v[100:101]
	buffer_load_dword v91, off, s[0:3], 0 offset:668
	buffer_load_dword v90, off, s[0:3], 0 offset:664
	;; [unrolled: 1-line block ×56, first 2 shown]
	v_fmac_f64_e32 v[122:123], v[4:5], v[52:53]
	v_add_f64 v[134:135], v[124:125], v[122:123]
	ds_read_b128 v[122:125], v1 offset:1408
	buffer_load_dword v227, off, s[0:3], 0 offset:876
	buffer_load_dword v226, off, s[0:3], 0 offset:872
	;; [unrolled: 1-line block ×4, first 2 shown]
	v_add_f64 v[138:139], v[134:135], v[136:137]
	ds_read_b128 v[134:137], v1 offset:1424
	v_mul_f64 v[24:25], v[24:25], v[42:43]
	s_waitcnt lgkmcnt(1)
	v_mul_f64 v[140:141], v[122:123], v[66:67]
	v_fmac_f64_e32 v[140:141], v[124:125], v[68:69]
	v_add_f64 v[142:143], v[138:139], v[140:141]
	ds_read_b128 v[138:141], v1 offset:1440
	s_waitcnt vmcnt(62) lgkmcnt(1)
	v_mul_f64 v[144:145], v[134:135], v[78:79]
	v_fmac_f64_e32 v[144:145], v[136:137], v[80:81]
	v_add_f64 v[146:147], v[142:143], v[144:145]
	ds_read_b128 v[142:145], v1 offset:1456
	s_waitcnt lgkmcnt(1)
	v_mul_f64 v[148:149], v[138:139], v[74:75]
	v_fmac_f64_e32 v[148:149], v[140:141], v[76:77]
	v_add_f64 v[150:151], v[146:147], v[148:149]
	ds_read_b128 v[146:149], v1 offset:1472
	s_waitcnt lgkmcnt(1)
	v_mul_f64 v[152:153], v[142:143], v[86:87]
	s_waitcnt vmcnt(60)
	v_fmac_f64_e32 v[152:153], v[144:145], v[88:89]
	v_add_f64 v[154:155], v[150:151], v[152:153]
	ds_read_b128 v[150:153], v1 offset:1488
	s_waitcnt lgkmcnt(1)
	v_mul_f64 v[156:157], v[146:147], v[82:83]
	v_fmac_f64_e32 v[156:157], v[148:149], v[84:85]
	v_add_f64 v[158:159], v[154:155], v[156:157]
	ds_read_b128 v[154:157], v1 offset:1504
	v_add_f64 v[26:27], v[30:31], v[26:27]
	v_fma_f64 v[22:23], v[22:23], v[64:65], -v[24:25]
	s_waitcnt vmcnt(54) lgkmcnt(1)
	v_mul_f64 v[160:161], v[150:151], v[94:95]
	v_mul_f64 v[20:21], v[20:21], v[48:49]
	s_waitcnt vmcnt(52)
	v_fmac_f64_e32 v[160:161], v[152:153], v[96:97]
	v_add_f64 v[162:163], v[158:159], v[160:161]
	ds_read_b128 v[158:161], v1 offset:1520
	s_waitcnt lgkmcnt(1)
	v_mul_f64 v[164:165], v[154:155], v[90:91]
	v_fmac_f64_e32 v[164:165], v[156:157], v[92:93]
	v_add_f64 v[22:23], v[26:27], v[22:23]
	v_fma_f64 v[18:19], v[18:19], v[62:63], -v[20:21]
	v_mul_f64 v[12:13], v[12:13], v[56:57]
	v_add_f64 v[166:167], v[162:163], v[164:165]
	ds_read_b128 v[162:165], v1 offset:1536
	v_add_f64 v[18:19], v[22:23], v[18:19]
	v_fma_f64 v[10:11], v[10:11], v[58:59], -v[12:13]
	v_mul_f64 v[8:9], v[8:9], v[54:55]
	v_add_f64 v[10:11], v[18:19], v[10:11]
	v_fma_f64 v[6:7], v[6:7], v[60:61], -v[8:9]
	v_mul_f64 v[4:5], v[4:5], v[50:51]
	;; [unrolled: 3-line block ×3, first 2 shown]
	s_waitcnt vmcnt(46) lgkmcnt(1)
	v_mul_f64 v[168:169], v[158:159], v[102:103]
	v_add_f64 v[2:3], v[6:7], v[2:3]
	v_fma_f64 v[4:5], v[14:15], v[72:73], -v[4:5]
	s_waitcnt vmcnt(44)
	v_fmac_f64_e32 v[168:169], v[160:161], v[104:105]
	v_add_f64 v[2:3], v[2:3], v[4:5]
	v_mul_f64 v[4:5], v[124:125], v[66:67]
	v_add_f64 v[170:171], v[166:167], v[168:169]
	ds_read_b128 v[166:169], v1 offset:1552
	s_waitcnt lgkmcnt(1)
	v_mul_f64 v[172:173], v[162:163], v[98:99]
	v_fma_f64 v[4:5], v[122:123], v[68:69], -v[4:5]
	v_fmac_f64_e32 v[172:173], v[164:165], v[100:101]
	v_add_f64 v[2:3], v[2:3], v[4:5]
	v_mul_f64 v[4:5], v[136:137], v[78:79]
	v_add_f64 v[174:175], v[170:171], v[172:173]
	ds_read_b128 v[170:173], v1 offset:1568
	v_fma_f64 v[4:5], v[134:135], v[80:81], -v[4:5]
	v_add_f64 v[2:3], v[2:3], v[4:5]
	v_mul_f64 v[4:5], v[140:141], v[74:75]
	v_fma_f64 v[4:5], v[138:139], v[76:77], -v[4:5]
	s_waitcnt vmcnt(38) lgkmcnt(1)
	v_mul_f64 v[176:177], v[166:167], v[110:111]
	v_add_f64 v[2:3], v[2:3], v[4:5]
	v_mul_f64 v[4:5], v[144:145], v[86:87]
	s_waitcnt vmcnt(36)
	v_fmac_f64_e32 v[176:177], v[168:169], v[112:113]
	v_fma_f64 v[4:5], v[142:143], v[88:89], -v[4:5]
	v_add_f64 v[178:179], v[174:175], v[176:177]
	ds_read_b128 v[174:177], v1 offset:1584
	s_waitcnt lgkmcnt(1)
	v_mul_f64 v[180:181], v[170:171], v[106:107]
	v_add_f64 v[2:3], v[2:3], v[4:5]
	v_mul_f64 v[4:5], v[148:149], v[82:83]
	v_fmac_f64_e32 v[180:181], v[172:173], v[108:109]
	v_fma_f64 v[4:5], v[146:147], v[84:85], -v[4:5]
	v_add_f64 v[182:183], v[178:179], v[180:181]
	ds_read_b128 v[178:181], v1 offset:1600
	v_add_f64 v[2:3], v[2:3], v[4:5]
	v_mul_f64 v[4:5], v[152:153], v[94:95]
	v_fma_f64 v[4:5], v[150:151], v[96:97], -v[4:5]
	v_add_f64 v[2:3], v[2:3], v[4:5]
	v_mul_f64 v[4:5], v[156:157], v[90:91]
	s_waitcnt vmcnt(30) lgkmcnt(1)
	v_mul_f64 v[184:185], v[174:175], v[118:119]
	v_fma_f64 v[4:5], v[154:155], v[92:93], -v[4:5]
	s_waitcnt vmcnt(28)
	v_fmac_f64_e32 v[184:185], v[176:177], v[120:121]
	v_add_f64 v[2:3], v[2:3], v[4:5]
	v_mul_f64 v[4:5], v[160:161], v[102:103]
	v_add_f64 v[186:187], v[182:183], v[184:185]
	ds_read_b128 v[182:185], v1 offset:1616
	s_waitcnt lgkmcnt(1)
	v_mul_f64 v[188:189], v[178:179], v[114:115]
	v_fma_f64 v[4:5], v[158:159], v[104:105], -v[4:5]
	v_fmac_f64_e32 v[188:189], v[180:181], v[116:117]
	v_add_f64 v[2:3], v[2:3], v[4:5]
	v_mul_f64 v[4:5], v[164:165], v[98:99]
	v_add_f64 v[190:191], v[186:187], v[188:189]
	ds_read_b128 v[186:189], v1 offset:1632
	v_fma_f64 v[4:5], v[162:163], v[100:101], -v[4:5]
	v_add_f64 v[2:3], v[2:3], v[4:5]
	v_mul_f64 v[4:5], v[168:169], v[110:111]
	v_fma_f64 v[4:5], v[166:167], v[112:113], -v[4:5]
	s_waitcnt vmcnt(22) lgkmcnt(1)
	v_mul_f64 v[192:193], v[182:183], v[130:131]
	v_add_f64 v[2:3], v[2:3], v[4:5]
	v_mul_f64 v[4:5], v[172:173], v[106:107]
	s_waitcnt vmcnt(20)
	v_fmac_f64_e32 v[192:193], v[184:185], v[132:133]
	v_fma_f64 v[4:5], v[170:171], v[108:109], -v[4:5]
	v_add_f64 v[194:195], v[190:191], v[192:193]
	ds_read_b128 v[190:193], v1 offset:1648
	s_waitcnt lgkmcnt(1)
	v_mul_f64 v[196:197], v[186:187], v[126:127]
	v_add_f64 v[2:3], v[2:3], v[4:5]
	v_mul_f64 v[4:5], v[176:177], v[118:119]
	v_fmac_f64_e32 v[196:197], v[188:189], v[128:129]
	v_fma_f64 v[4:5], v[174:175], v[120:121], -v[4:5]
	v_add_f64 v[198:199], v[194:195], v[196:197]
	ds_read_b128 v[194:197], v1 offset:1664
	v_add_f64 v[2:3], v[2:3], v[4:5]
	v_mul_f64 v[4:5], v[180:181], v[114:115]
	v_fma_f64 v[4:5], v[178:179], v[116:117], -v[4:5]
	v_add_f64 v[2:3], v[2:3], v[4:5]
	v_mul_f64 v[4:5], v[184:185], v[130:131]
	s_waitcnt vmcnt(14) lgkmcnt(1)
	v_mul_f64 v[200:201], v[190:191], v[214:215]
	v_fma_f64 v[4:5], v[182:183], v[132:133], -v[4:5]
	s_waitcnt vmcnt(12)
	v_fmac_f64_e32 v[200:201], v[192:193], v[216:217]
	v_add_f64 v[2:3], v[2:3], v[4:5]
	v_mul_f64 v[4:5], v[188:189], v[126:127]
	v_add_f64 v[202:203], v[198:199], v[200:201]
	ds_read_b128 v[198:201], v1 offset:1680
	s_waitcnt lgkmcnt(1)
	v_mul_f64 v[204:205], v[194:195], v[210:211]
	v_fma_f64 v[4:5], v[186:187], v[128:129], -v[4:5]
	v_fmac_f64_e32 v[204:205], v[196:197], v[212:213]
	v_add_f64 v[2:3], v[2:3], v[4:5]
	v_mul_f64 v[4:5], v[192:193], v[214:215]
	v_add_f64 v[230:231], v[202:203], v[204:205]
	ds_read_b128 v[202:205], v1 offset:1696
	v_fma_f64 v[4:5], v[190:191], v[216:217], -v[4:5]
	v_add_f64 v[2:3], v[2:3], v[4:5]
	v_mul_f64 v[4:5], v[196:197], v[210:211]
	ds_read_b128 v[206:209], v1 offset:1712
	v_fma_f64 v[4:5], v[194:195], v[212:213], -v[4:5]
	v_add_f64 v[2:3], v[2:3], v[4:5]
	s_waitcnt vmcnt(6) lgkmcnt(2)
	v_mul_f64 v[4:5], v[200:201], v[222:223]
	v_mul_f64 v[232:233], v[198:199], v[222:223]
	s_waitcnt vmcnt(4)
	v_fma_f64 v[4:5], v[198:199], v[224:225], -v[4:5]
	v_fmac_f64_e32 v[232:233], v[200:201], v[224:225]
	v_add_f64 v[2:3], v[2:3], v[4:5]
	s_waitcnt lgkmcnt(1)
	v_mul_f64 v[4:5], v[204:205], v[218:219]
	v_add_f64 v[230:231], v[230:231], v[232:233]
	v_mul_f64 v[232:233], v[202:203], v[218:219]
	v_fma_f64 v[4:5], v[202:203], v[220:221], -v[4:5]
	v_fmac_f64_e32 v[232:233], v[204:205], v[220:221]
	v_add_f64 v[2:3], v[2:3], v[4:5]
	s_waitcnt vmcnt(2) lgkmcnt(0)
	v_mul_f64 v[4:5], v[208:209], v[226:227]
	v_add_f64 v[230:231], v[230:231], v[232:233]
	v_mul_f64 v[232:233], v[206:207], v[226:227]
	s_waitcnt vmcnt(0)
	v_fma_f64 v[4:5], v[206:207], v[228:229], -v[4:5]
	v_fmac_f64_e32 v[232:233], v[208:209], v[228:229]
	v_add_f64 v[2:3], v[2:3], v[4:5]
	v_add_f64 v[230:231], v[230:231], v[232:233]
	v_add_f64 v[2:3], v[46:47], -v[2:3]
	v_add_f64 v[4:5], v[44:45], -v[230:231]
	buffer_store_dword v3, off, s[0:3], 0 offset:420
	buffer_store_dword v2, off, s[0:3], 0 offset:416
	;; [unrolled: 1-line block ×4, first 2 shown]
	s_and_saveexec_b64 s[4:5], vcc
	s_cbranch_execz .LBB117_289
; %bb.288:
	v_accvgpr_read_b32 v1, a137
	buffer_load_dword v2, v1, s[0:3], 0 offen
	buffer_load_dword v3, v1, s[0:3], 0 offen offset:4
	buffer_load_dword v4, v1, s[0:3], 0 offen offset:8
	;; [unrolled: 1-line block ×3, first 2 shown]
	v_mov_b32_e32 v1, 0
	v_accvgpr_read_b32 v6, a161
	buffer_store_dword v1, off, s[0:3], 0 offset:400
	buffer_store_dword v1, off, s[0:3], 0 offset:404
	;; [unrolled: 1-line block ×4, first 2 shown]
	s_waitcnt vmcnt(4)
	ds_write_b128 v6, v[2:5]
.LBB117_289:
	s_or_b64 exec, exec, s[4:5]
	s_waitcnt lgkmcnt(0)
	; wave barrier
	s_waitcnt lgkmcnt(0)
	buffer_load_dword v38, off, s[0:3], 0 offset:416
	buffer_load_dword v39, off, s[0:3], 0 offset:420
	;; [unrolled: 1-line block ×48, first 2 shown]
	v_mov_b32_e32 v1, 0
	ds_read_b128 v[34:37], v1 offset:1264
	ds_read_b128 v[30:33], v1 offset:1280
	;; [unrolled: 1-line block ×9, first 2 shown]
	v_cmp_lt_u32_e32 vcc, 23, v0
	s_waitcnt vmcnt(44) lgkmcnt(8)
	v_mul_f64 v[86:87], v[34:35], v[42:43]
	v_fmac_f64_e32 v[86:87], v[36:37], v[38:39]
	v_add_f64 v[86:87], v[86:87], 0
	v_mul_f64 v[36:37], v[36:37], v[42:43]
	s_waitcnt vmcnt(40) lgkmcnt(7)
	v_mul_f64 v[88:89], v[30:31], v[44:45]
	v_fmac_f64_e32 v[88:89], v[32:33], v[40:41]
	s_waitcnt vmcnt(38) lgkmcnt(6)
	v_mul_f64 v[90:91], v[26:27], v[46:47]
	v_add_f64 v[86:87], v[86:87], v[88:89]
	s_waitcnt vmcnt(36) lgkmcnt(4)
	v_mul_f64 v[94:95], v[18:19], v[48:49]
	v_fma_f64 v[34:35], v[34:35], v[38:39], -v[36:37]
	s_waitcnt vmcnt(34)
	v_fmac_f64_e32 v[94:95], v[20:21], v[50:51]
	v_mul_f64 v[32:33], v[32:33], v[44:45]
	s_waitcnt vmcnt(32)
	v_mul_f64 v[92:93], v[22:23], v[52:53]
	v_add_f64 v[34:35], v[34:35], 0
	s_waitcnt vmcnt(30) lgkmcnt(2)
	v_mul_f64 v[98:99], v[10:11], v[54:55]
	v_fma_f64 v[30:31], v[30:31], v[40:41], -v[32:33]
	s_waitcnt vmcnt(28)
	v_fmac_f64_e32 v[98:99], v[12:13], v[56:57]
	v_add_f64 v[30:31], v[34:35], v[30:31]
	s_waitcnt vmcnt(26)
	v_mul_f64 v[96:97], v[14:15], v[58:59]
	v_mul_f64 v[20:21], v[20:21], v[48:49]
	v_fma_f64 v[18:19], v[18:19], v[50:51], -v[20:21]
	v_mul_f64 v[12:13], v[12:13], v[54:55]
	s_waitcnt vmcnt(22) lgkmcnt(1)
	v_mul_f64 v[110:111], v[6:7], v[68:69]
	v_fma_f64 v[10:11], v[10:11], v[56:57], -v[12:13]
	s_waitcnt vmcnt(20)
	v_fmac_f64_e32 v[90:91], v[28:29], v[76:77]
	v_add_f64 v[86:87], v[86:87], v[90:91]
	s_waitcnt vmcnt(18)
	v_fmac_f64_e32 v[92:93], v[24:25], v[74:75]
	v_add_f64 v[86:87], v[86:87], v[92:93]
	;; [unrolled: 3-line block ×3, first 2 shown]
	v_add_f64 v[86:87], v[86:87], v[96:97]
	v_add_f64 v[112:113], v[86:87], v[98:99]
	buffer_load_dword v87, off, s[0:3], 0 offset:620
	buffer_load_dword v86, off, s[0:3], 0 offset:616
	;; [unrolled: 1-line block ×72, first 2 shown]
	s_waitcnt vmcnt(62)
	v_fmac_f64_e32 v[110:111], v[8:9], v[70:71]
	v_add_f64 v[142:143], v[112:113], v[110:111]
	ds_read_b128 v[110:113], v1 offset:1408
	s_waitcnt lgkmcnt(1)
	v_mul_f64 v[144:145], v[2:3], v[64:65]
	v_fmac_f64_e32 v[144:145], v[4:5], v[66:67]
	v_add_f64 v[146:147], v[142:143], v[144:145]
	ds_read_b128 v[142:145], v1 offset:1424
	s_waitcnt lgkmcnt(1)
	v_mul_f64 v[148:149], v[110:111], v[82:83]
	v_fmac_f64_e32 v[148:149], v[112:113], v[84:85]
	v_add_f64 v[150:151], v[146:147], v[148:149]
	ds_read_b128 v[146:149], v1 offset:1440
	s_waitcnt lgkmcnt(1)
	v_mul_f64 v[152:153], v[142:143], v[78:79]
	v_fmac_f64_e32 v[152:153], v[144:145], v[80:81]
	v_add_f64 v[154:155], v[150:151], v[152:153]
	ds_read_b128 v[150:153], v1 offset:1456
	s_waitcnt lgkmcnt(1)
	v_mul_f64 v[156:157], v[146:147], v[90:91]
	v_fmac_f64_e32 v[156:157], v[148:149], v[92:93]
	v_add_f64 v[158:159], v[154:155], v[156:157]
	ds_read_b128 v[154:157], v1 offset:1472
	s_waitcnt lgkmcnt(1)
	v_mul_f64 v[160:161], v[150:151], v[86:87]
	v_fmac_f64_e32 v[160:161], v[152:153], v[88:89]
	v_add_f64 v[162:163], v[158:159], v[160:161]
	ds_read_b128 v[158:161], v1 offset:1488
	s_waitcnt vmcnt(58) lgkmcnt(1)
	v_mul_f64 v[164:165], v[154:155], v[98:99]
	s_waitcnt vmcnt(56)
	v_fmac_f64_e32 v[164:165], v[156:157], v[100:101]
	v_add_f64 v[166:167], v[162:163], v[164:165]
	ds_read_b128 v[162:165], v1 offset:1504
	s_waitcnt lgkmcnt(1)
	v_mul_f64 v[168:169], v[158:159], v[94:95]
	v_fmac_f64_e32 v[168:169], v[160:161], v[96:97]
	v_mul_f64 v[28:29], v[28:29], v[46:47]
	v_add_f64 v[170:171], v[166:167], v[168:169]
	ds_read_b128 v[166:169], v1 offset:1520
	s_waitcnt vmcnt(50) lgkmcnt(1)
	v_mul_f64 v[172:173], v[162:163], v[106:107]
	v_fma_f64 v[26:27], v[26:27], v[76:77], -v[28:29]
	v_mul_f64 v[24:25], v[24:25], v[52:53]
	s_waitcnt vmcnt(48)
	v_fmac_f64_e32 v[172:173], v[164:165], v[108:109]
	v_add_f64 v[26:27], v[30:31], v[26:27]
	v_fma_f64 v[22:23], v[22:23], v[74:75], -v[24:25]
	v_add_f64 v[174:175], v[170:171], v[172:173]
	ds_read_b128 v[170:173], v1 offset:1536
	v_add_f64 v[22:23], v[26:27], v[22:23]
	v_mul_f64 v[16:17], v[16:17], v[58:59]
	v_add_f64 v[18:19], v[22:23], v[18:19]
	v_fma_f64 v[14:15], v[14:15], v[72:73], -v[16:17]
	v_add_f64 v[14:15], v[18:19], v[14:15]
	v_mul_f64 v[8:9], v[8:9], v[68:69]
	s_waitcnt lgkmcnt(1)
	v_mul_f64 v[176:177], v[166:167], v[102:103]
	v_add_f64 v[10:11], v[14:15], v[10:11]
	v_fma_f64 v[6:7], v[6:7], v[70:71], -v[8:9]
	v_mul_f64 v[4:5], v[4:5], v[64:65]
	v_fmac_f64_e32 v[176:177], v[168:169], v[104:105]
	v_add_f64 v[6:7], v[10:11], v[6:7]
	v_fma_f64 v[2:3], v[2:3], v[66:67], -v[4:5]
	v_mul_f64 v[4:5], v[112:113], v[82:83]
	v_add_f64 v[178:179], v[174:175], v[176:177]
	ds_read_b128 v[174:177], v1 offset:1552
	s_waitcnt vmcnt(42) lgkmcnt(1)
	v_mul_f64 v[180:181], v[170:171], v[118:119]
	v_add_f64 v[2:3], v[6:7], v[2:3]
	v_fma_f64 v[4:5], v[110:111], v[84:85], -v[4:5]
	s_waitcnt vmcnt(40)
	v_fmac_f64_e32 v[180:181], v[172:173], v[120:121]
	v_add_f64 v[2:3], v[2:3], v[4:5]
	v_mul_f64 v[4:5], v[144:145], v[78:79]
	v_add_f64 v[182:183], v[178:179], v[180:181]
	ds_read_b128 v[178:181], v1 offset:1568
	v_fma_f64 v[4:5], v[142:143], v[80:81], -v[4:5]
	v_add_f64 v[2:3], v[2:3], v[4:5]
	v_mul_f64 v[4:5], v[148:149], v[90:91]
	v_fma_f64 v[4:5], v[146:147], v[92:93], -v[4:5]
	s_waitcnt lgkmcnt(1)
	v_mul_f64 v[184:185], v[174:175], v[114:115]
	v_add_f64 v[2:3], v[2:3], v[4:5]
	v_mul_f64 v[4:5], v[152:153], v[86:87]
	v_fmac_f64_e32 v[184:185], v[176:177], v[116:117]
	v_fma_f64 v[4:5], v[150:151], v[88:89], -v[4:5]
	v_add_f64 v[186:187], v[182:183], v[184:185]
	ds_read_b128 v[182:185], v1 offset:1584
	s_waitcnt vmcnt(34) lgkmcnt(1)
	v_mul_f64 v[188:189], v[178:179], v[126:127]
	v_add_f64 v[2:3], v[2:3], v[4:5]
	v_mul_f64 v[4:5], v[156:157], v[98:99]
	s_waitcnt vmcnt(32)
	v_fmac_f64_e32 v[188:189], v[180:181], v[128:129]
	v_fma_f64 v[4:5], v[154:155], v[100:101], -v[4:5]
	v_add_f64 v[190:191], v[186:187], v[188:189]
	ds_read_b128 v[186:189], v1 offset:1600
	v_add_f64 v[2:3], v[2:3], v[4:5]
	v_mul_f64 v[4:5], v[160:161], v[94:95]
	v_fma_f64 v[4:5], v[158:159], v[96:97], -v[4:5]
	v_add_f64 v[2:3], v[2:3], v[4:5]
	v_mul_f64 v[4:5], v[164:165], v[106:107]
	s_waitcnt lgkmcnt(1)
	v_mul_f64 v[192:193], v[182:183], v[122:123]
	v_fma_f64 v[4:5], v[162:163], v[108:109], -v[4:5]
	v_fmac_f64_e32 v[192:193], v[184:185], v[124:125]
	v_add_f64 v[2:3], v[2:3], v[4:5]
	v_mul_f64 v[4:5], v[168:169], v[102:103]
	v_add_f64 v[194:195], v[190:191], v[192:193]
	ds_read_b128 v[190:193], v1 offset:1616
	s_waitcnt vmcnt(26) lgkmcnt(1)
	v_mul_f64 v[196:197], v[186:187], v[134:135]
	v_fma_f64 v[4:5], v[166:167], v[104:105], -v[4:5]
	s_waitcnt vmcnt(24)
	v_fmac_f64_e32 v[196:197], v[188:189], v[136:137]
	v_add_f64 v[2:3], v[2:3], v[4:5]
	v_mul_f64 v[4:5], v[172:173], v[118:119]
	v_add_f64 v[198:199], v[194:195], v[196:197]
	ds_read_b128 v[194:197], v1 offset:1632
	v_fma_f64 v[4:5], v[170:171], v[120:121], -v[4:5]
	v_add_f64 v[2:3], v[2:3], v[4:5]
	v_mul_f64 v[4:5], v[176:177], v[114:115]
	v_fma_f64 v[4:5], v[174:175], v[116:117], -v[4:5]
	s_waitcnt lgkmcnt(1)
	v_mul_f64 v[200:201], v[190:191], v[130:131]
	v_add_f64 v[2:3], v[2:3], v[4:5]
	v_mul_f64 v[4:5], v[180:181], v[126:127]
	v_fmac_f64_e32 v[200:201], v[192:193], v[132:133]
	v_fma_f64 v[4:5], v[178:179], v[128:129], -v[4:5]
	v_add_f64 v[202:203], v[198:199], v[200:201]
	ds_read_b128 v[198:201], v1 offset:1648
	s_waitcnt vmcnt(18) lgkmcnt(1)
	v_mul_f64 v[204:205], v[194:195], v[214:215]
	v_add_f64 v[2:3], v[2:3], v[4:5]
	v_mul_f64 v[4:5], v[184:185], v[122:123]
	s_waitcnt vmcnt(16)
	v_fmac_f64_e32 v[204:205], v[196:197], v[216:217]
	v_fma_f64 v[4:5], v[182:183], v[124:125], -v[4:5]
	v_add_f64 v[206:207], v[202:203], v[204:205]
	ds_read_b128 v[202:205], v1 offset:1664
	v_add_f64 v[2:3], v[2:3], v[4:5]
	v_mul_f64 v[4:5], v[188:189], v[134:135]
	v_fma_f64 v[4:5], v[186:187], v[136:137], -v[4:5]
	v_add_f64 v[2:3], v[2:3], v[4:5]
	v_mul_f64 v[4:5], v[192:193], v[130:131]
	s_waitcnt lgkmcnt(1)
	v_mul_f64 v[208:209], v[198:199], v[138:139]
	v_fma_f64 v[4:5], v[190:191], v[132:133], -v[4:5]
	v_fmac_f64_e32 v[208:209], v[200:201], v[140:141]
	v_add_f64 v[2:3], v[2:3], v[4:5]
	v_mul_f64 v[4:5], v[196:197], v[214:215]
	v_add_f64 v[210:211], v[206:207], v[208:209]
	ds_read_b128 v[206:209], v1 offset:1680
	s_waitcnt vmcnt(10) lgkmcnt(1)
	v_mul_f64 v[212:213], v[202:203], v[222:223]
	v_fma_f64 v[4:5], v[194:195], v[216:217], -v[4:5]
	s_waitcnt vmcnt(8)
	v_fmac_f64_e32 v[212:213], v[204:205], v[224:225]
	v_add_f64 v[2:3], v[2:3], v[4:5]
	v_mul_f64 v[4:5], v[200:201], v[138:139]
	v_add_f64 v[238:239], v[210:211], v[212:213]
	ds_read_b128 v[210:213], v1 offset:1696
	ds_read_b128 v[226:229], v1 offset:1712
	v_fma_f64 v[4:5], v[198:199], v[140:141], -v[4:5]
	v_add_f64 v[2:3], v[2:3], v[4:5]
	v_mul_f64 v[4:5], v[204:205], v[222:223]
	v_fma_f64 v[4:5], v[202:203], v[224:225], -v[4:5]
	v_add_f64 v[2:3], v[2:3], v[4:5]
	s_waitcnt lgkmcnt(2)
	v_mul_f64 v[4:5], v[208:209], v[218:219]
	v_mul_f64 v[240:241], v[206:207], v[218:219]
	v_fma_f64 v[4:5], v[206:207], v[220:221], -v[4:5]
	v_fmac_f64_e32 v[240:241], v[208:209], v[220:221]
	v_add_f64 v[2:3], v[2:3], v[4:5]
	s_waitcnt vmcnt(2) lgkmcnt(1)
	v_mul_f64 v[4:5], v[212:213], v[234:235]
	v_add_f64 v[238:239], v[238:239], v[240:241]
	v_mul_f64 v[240:241], v[210:211], v[234:235]
	s_waitcnt vmcnt(0)
	v_fma_f64 v[4:5], v[210:211], v[236:237], -v[4:5]
	v_fmac_f64_e32 v[240:241], v[212:213], v[236:237]
	v_add_f64 v[2:3], v[2:3], v[4:5]
	s_waitcnt lgkmcnt(0)
	v_mul_f64 v[4:5], v[228:229], v[230:231]
	v_add_f64 v[238:239], v[238:239], v[240:241]
	v_mul_f64 v[240:241], v[226:227], v[230:231]
	v_fma_f64 v[4:5], v[226:227], v[232:233], -v[4:5]
	v_fmac_f64_e32 v[240:241], v[228:229], v[232:233]
	v_add_f64 v[2:3], v[2:3], v[4:5]
	v_add_f64 v[238:239], v[238:239], v[240:241]
	v_add_f64 v[2:3], v[62:63], -v[2:3]
	v_add_f64 v[4:5], v[60:61], -v[238:239]
	buffer_store_dword v3, off, s[0:3], 0 offset:404
	buffer_store_dword v2, off, s[0:3], 0 offset:400
	;; [unrolled: 1-line block ×4, first 2 shown]
	s_and_saveexec_b64 s[4:5], vcc
	s_cbranch_execz .LBB117_291
; %bb.290:
	v_accvgpr_read_b32 v5, a138
	buffer_load_dword v2, v5, s[0:3], 0 offen
	buffer_load_dword v3, v5, s[0:3], 0 offen offset:4
	buffer_load_dword v4, v5, s[0:3], 0 offen offset:8
	s_nop 0
	buffer_load_dword v5, v5, s[0:3], 0 offen offset:12
	v_accvgpr_read_b32 v6, a161
	buffer_store_dword v1, off, s[0:3], 0 offset:384
	buffer_store_dword v1, off, s[0:3], 0 offset:388
	;; [unrolled: 1-line block ×4, first 2 shown]
	s_waitcnt vmcnt(4)
	ds_write_b128 v6, v[2:5]
.LBB117_291:
	s_or_b64 exec, exec, s[4:5]
	s_waitcnt lgkmcnt(0)
	; wave barrier
	s_waitcnt lgkmcnt(0)
	buffer_load_dword v48, off, s[0:3], 0 offset:400
	buffer_load_dword v49, off, s[0:3], 0 offset:404
	buffer_load_dword v50, off, s[0:3], 0 offset:408
	buffer_load_dword v51, off, s[0:3], 0 offset:412
	buffer_load_dword v42, off, s[0:3], 0 offset:416
	buffer_load_dword v43, off, s[0:3], 0 offset:420
	buffer_load_dword v44, off, s[0:3], 0 offset:424
	buffer_load_dword v45, off, s[0:3], 0 offset:428
	buffer_load_dword v46, off, s[0:3], 0 offset:440
	buffer_load_dword v47, off, s[0:3], 0 offset:444
	buffer_load_dword v53, off, s[0:3], 0 offset:476
	buffer_load_dword v52, off, s[0:3], 0 offset:472
	buffer_load_dword v55, off, s[0:3], 0 offset:468
	buffer_load_dword v54, off, s[0:3], 0 offset:464
	buffer_load_dword v57, off, s[0:3], 0 offset:460
	buffer_load_dword v56, off, s[0:3], 0 offset:456
	buffer_load_dword v63, off, s[0:3], 0 offset:492
	buffer_load_dword v62, off, s[0:3], 0 offset:488
	buffer_load_dword v65, off, s[0:3], 0 offset:540
	buffer_load_dword v64, off, s[0:3], 0 offset:536
	buffer_load_dword v67, off, s[0:3], 0 offset:532
	buffer_load_dword v69, off, s[0:3], 0 offset:524
	buffer_load_dword v68, off, s[0:3], 0 offset:520
	buffer_load_dword v71, off, s[0:3], 0 offset:508
	buffer_load_dword v70, off, s[0:3], 0 offset:504
	buffer_load_dword v73, off, s[0:3], 0 offset:500
	buffer_load_dword v72, off, s[0:3], 0 offset:496
	buffer_load_dword v80, off, s[0:3], 0 offset:432
	buffer_load_dword v81, off, s[0:3], 0 offset:436
	buffer_load_dword v79, off, s[0:3], 0 offset:452
	buffer_load_dword v78, off, s[0:3], 0 offset:448
	buffer_load_dword v77, off, s[0:3], 0 offset:484
	buffer_load_dword v76, off, s[0:3], 0 offset:480
	buffer_load_dword v75, off, s[0:3], 0 offset:516
	buffer_load_dword v74, off, s[0:3], 0 offset:512
	buffer_load_dword v66, off, s[0:3], 0 offset:528
	buffer_load_dword v60, off, s[0:3], 0 offset:384
	buffer_load_dword v61, off, s[0:3], 0 offset:388
	buffer_load_dword v58, off, s[0:3], 0 offset:392
	buffer_load_dword v59, off, s[0:3], 0 offset:396
	ds_read_b128 v[38:41], v1 offset:1248
	ds_read_b128 v[34:37], v1 offset:1264
	;; [unrolled: 1-line block ×10, first 2 shown]
	buffer_load_dword v83, off, s[0:3], 0 offset:572
	buffer_load_dword v82, off, s[0:3], 0 offset:568
	;; [unrolled: 1-line block ×8, first 2 shown]
	v_cmp_lt_u32_e32 vcc, 22, v0
	s_waitcnt vmcnt(44) lgkmcnt(9)
	v_mul_f64 v[90:91], v[38:39], v[50:51]
	v_fmac_f64_e32 v[90:91], v[40:41], v[48:49]
	v_add_f64 v[90:91], v[90:91], 0
	v_mul_f64 v[40:41], v[40:41], v[50:51]
	s_waitcnt vmcnt(40) lgkmcnt(8)
	v_mul_f64 v[92:93], v[34:35], v[44:45]
	v_fmac_f64_e32 v[92:93], v[36:37], v[42:43]
	s_waitcnt vmcnt(38) lgkmcnt(7)
	v_mul_f64 v[94:95], v[30:31], v[46:47]
	v_add_f64 v[90:91], v[90:91], v[92:93]
	s_waitcnt vmcnt(36) lgkmcnt(5)
	v_mul_f64 v[98:99], v[22:23], v[52:53]
	v_mul_f64 v[36:37], v[36:37], v[44:45]
	s_waitcnt vmcnt(34)
	v_fmac_f64_e32 v[98:99], v[24:25], v[54:55]
	v_fma_f64 v[34:35], v[34:35], v[42:43], -v[36:37]
	s_waitcnt vmcnt(32)
	v_mul_f64 v[96:97], v[26:27], v[56:57]
	v_mul_f64 v[24:25], v[24:25], v[52:53]
	s_waitcnt vmcnt(30) lgkmcnt(4)
	v_mul_f64 v[100:101], v[18:19], v[62:63]
	v_fma_f64 v[22:23], v[22:23], v[54:55], -v[24:25]
	s_waitcnt vmcnt(28) lgkmcnt(1)
	v_mul_f64 v[122:123], v[2:3], v[64:65]
	s_waitcnt vmcnt(25)
	v_mul_f64 v[104:105], v[6:7], v[68:69]
	s_waitcnt vmcnt(23)
	;; [unrolled: 2-line block ×3, first 2 shown]
	v_fmac_f64_e32 v[102:103], v[12:13], v[72:73]
	v_mul_f64 v[12:13], v[12:13], v[70:71]
	s_waitcnt vmcnt(19)
	v_fmac_f64_e32 v[94:95], v[32:33], v[80:81]
	v_add_f64 v[90:91], v[90:91], v[94:95]
	s_waitcnt vmcnt(17)
	v_fmac_f64_e32 v[96:97], v[28:29], v[78:79]
	v_add_f64 v[90:91], v[90:91], v[96:97]
	;; [unrolled: 3-line block ×3, first 2 shown]
	v_add_f64 v[90:91], v[90:91], v[100:101]
	s_waitcnt vmcnt(13)
	v_fmac_f64_e32 v[104:105], v[8:9], v[74:75]
	v_add_f64 v[90:91], v[90:91], v[102:103]
	v_add_f64 v[124:125], v[90:91], v[104:105]
	buffer_load_dword v91, off, s[0:3], 0 offset:604
	buffer_load_dword v90, off, s[0:3], 0 offset:600
	;; [unrolled: 1-line block ×72, first 2 shown]
	s_waitcnt vmcnt(62)
	v_fmac_f64_e32 v[122:123], v[4:5], v[66:67]
	v_add_f64 v[150:151], v[124:125], v[122:123]
	ds_read_b128 v[122:125], v1 offset:1408
	s_waitcnt lgkmcnt(1)
	v_mul_f64 v[152:153], v[14:15], v[86:87]
	v_fmac_f64_e32 v[152:153], v[16:17], v[88:89]
	buffer_load_dword v235, off, s[0:3], 0 offset:876
	buffer_load_dword v234, off, s[0:3], 0 offset:872
	;; [unrolled: 1-line block ×4, first 2 shown]
	v_add_f64 v[154:155], v[150:151], v[152:153]
	s_waitcnt lgkmcnt(0)
	v_mul_f64 v[156:157], v[122:123], v[82:83]
	ds_read_b128 v[150:153], v1 offset:1424
	v_fmac_f64_e32 v[156:157], v[124:125], v[84:85]
	v_add_f64 v[158:159], v[154:155], v[156:157]
	ds_read_b128 v[154:157], v1 offset:1440
	v_mul_f64 v[32:33], v[32:33], v[46:47]
	s_waitcnt lgkmcnt(1)
	v_mul_f64 v[160:161], v[150:151], v[94:95]
	v_fma_f64 v[30:31], v[30:31], v[80:81], -v[32:33]
	v_fmac_f64_e32 v[160:161], v[152:153], v[96:97]
	s_waitcnt lgkmcnt(0)
	v_mul_f64 v[164:165], v[154:155], v[90:91]
	v_add_f64 v[162:163], v[158:159], v[160:161]
	ds_read_b128 v[158:161], v1 offset:1456
	v_fmac_f64_e32 v[164:165], v[156:157], v[92:93]
	v_add_f64 v[166:167], v[162:163], v[164:165]
	ds_read_b128 v[162:165], v1 offset:1472
	v_mul_f64 v[28:29], v[28:29], v[56:57]
	s_waitcnt vmcnt(62) lgkmcnt(1)
	v_mul_f64 v[168:169], v[158:159], v[102:103]
	s_waitcnt vmcnt(60)
	v_fmac_f64_e32 v[168:169], v[160:161], v[104:105]
	v_add_f64 v[170:171], v[166:167], v[168:169]
	s_waitcnt lgkmcnt(0)
	v_mul_f64 v[172:173], v[162:163], v[98:99]
	ds_read_b128 v[166:169], v1 offset:1488
	v_fmac_f64_e32 v[172:173], v[164:165], v[100:101]
	v_add_f64 v[174:175], v[170:171], v[172:173]
	ds_read_b128 v[170:173], v1 offset:1504
	v_fma_f64 v[26:27], v[26:27], v[78:79], -v[28:29]
	s_waitcnt vmcnt(54) lgkmcnt(1)
	v_mul_f64 v[176:177], v[166:167], v[110:111]
	s_waitcnt vmcnt(52)
	v_fmac_f64_e32 v[176:177], v[168:169], v[112:113]
	v_add_f64 v[178:179], v[174:175], v[176:177]
	s_waitcnt lgkmcnt(0)
	v_mul_f64 v[180:181], v[170:171], v[106:107]
	ds_read_b128 v[174:177], v1 offset:1520
	v_fmac_f64_e32 v[180:181], v[172:173], v[108:109]
	v_add_f64 v[182:183], v[178:179], v[180:181]
	ds_read_b128 v[178:181], v1 offset:1536
	v_mul_f64 v[20:21], v[20:21], v[62:63]
	s_waitcnt vmcnt(46) lgkmcnt(1)
	v_mul_f64 v[184:185], v[174:175], v[118:119]
	s_waitcnt vmcnt(44)
	v_fmac_f64_e32 v[184:185], v[176:177], v[120:121]
	v_add_f64 v[186:187], v[182:183], v[184:185]
	s_waitcnt lgkmcnt(0)
	v_mul_f64 v[188:189], v[178:179], v[114:115]
	ds_read_b128 v[182:185], v1 offset:1552
	v_fmac_f64_e32 v[188:189], v[180:181], v[116:117]
	v_add_f64 v[190:191], v[186:187], v[188:189]
	ds_read_b128 v[186:189], v1 offset:1568
	v_fma_f64 v[18:19], v[18:19], v[76:77], -v[20:21]
	s_waitcnt vmcnt(38) lgkmcnt(1)
	v_mul_f64 v[192:193], v[182:183], v[130:131]
	s_waitcnt vmcnt(36)
	v_fmac_f64_e32 v[192:193], v[184:185], v[132:133]
	v_add_f64 v[194:195], v[190:191], v[192:193]
	s_waitcnt lgkmcnt(0)
	v_mul_f64 v[196:197], v[186:187], v[126:127]
	ds_read_b128 v[190:193], v1 offset:1584
	v_fmac_f64_e32 v[196:197], v[188:189], v[128:129]
	v_add_f64 v[198:199], v[194:195], v[196:197]
	ds_read_b128 v[194:197], v1 offset:1600
	v_fma_f64 v[10:11], v[10:11], v[72:73], -v[12:13]
	s_waitcnt vmcnt(30) lgkmcnt(1)
	v_mul_f64 v[200:201], v[190:191], v[138:139]
	s_waitcnt vmcnt(28)
	v_fmac_f64_e32 v[200:201], v[192:193], v[140:141]
	v_add_f64 v[202:203], v[198:199], v[200:201]
	s_waitcnt lgkmcnt(0)
	v_mul_f64 v[204:205], v[194:195], v[134:135]
	ds_read_b128 v[198:201], v1 offset:1616
	v_fmac_f64_e32 v[204:205], v[196:197], v[136:137]
	v_add_f64 v[206:207], v[202:203], v[204:205]
	ds_read_b128 v[202:205], v1 offset:1632
	v_mul_f64 v[8:9], v[8:9], v[68:69]
	s_waitcnt vmcnt(22) lgkmcnt(1)
	v_mul_f64 v[208:209], v[198:199], v[146:147]
	s_waitcnt vmcnt(20)
	v_fmac_f64_e32 v[208:209], v[200:201], v[148:149]
	v_add_f64 v[210:211], v[206:207], v[208:209]
	s_waitcnt lgkmcnt(0)
	v_mul_f64 v[212:213], v[202:203], v[142:143]
	ds_read_b128 v[206:209], v1 offset:1648
	v_fmac_f64_e32 v[212:213], v[204:205], v[144:145]
	v_add_f64 v[226:227], v[210:211], v[212:213]
	ds_read_b128 v[210:213], v1 offset:1664
	v_fma_f64 v[6:7], v[6:7], v[74:75], -v[8:9]
	s_waitcnt vmcnt(14) lgkmcnt(1)
	v_mul_f64 v[228:229], v[206:207], v[218:219]
	s_waitcnt vmcnt(12)
	v_fmac_f64_e32 v[228:229], v[208:209], v[220:221]
	v_add_f64 v[238:239], v[226:227], v[228:229]
	s_waitcnt lgkmcnt(0)
	v_mul_f64 v[240:241], v[210:211], v[214:215]
	v_fmac_f64_e32 v[240:241], v[212:213], v[216:217]
	v_add_f64 v[238:239], v[238:239], v[240:241]
	v_fma_f64 v[240:241], v[38:39], v[48:49], -v[40:41]
	v_add_f64 v[240:241], v[240:241], 0
	v_add_f64 v[34:35], v[240:241], v[34:35]
	v_add_f64 v[30:31], v[34:35], v[30:31]
	v_add_f64 v[26:27], v[30:31], v[26:27]
	v_add_f64 v[22:23], v[26:27], v[22:23]
	v_add_f64 v[18:19], v[22:23], v[18:19]
	v_add_f64 v[10:11], v[18:19], v[10:11]
	v_mul_f64 v[4:5], v[4:5], v[64:65]
	v_add_f64 v[6:7], v[10:11], v[6:7]
	v_fma_f64 v[2:3], v[2:3], v[66:67], -v[4:5]
	v_mul_f64 v[4:5], v[16:17], v[86:87]
	v_add_f64 v[2:3], v[6:7], v[2:3]
	v_fma_f64 v[4:5], v[14:15], v[88:89], -v[4:5]
	v_add_f64 v[2:3], v[2:3], v[4:5]
	v_mul_f64 v[4:5], v[124:125], v[82:83]
	v_fma_f64 v[4:5], v[122:123], v[84:85], -v[4:5]
	v_add_f64 v[2:3], v[2:3], v[4:5]
	v_mul_f64 v[4:5], v[152:153], v[94:95]
	;; [unrolled: 3-line block ×15, first 2 shown]
	ds_read_b128 v[226:229], v1 offset:1680
	ds_read_b128 v[38:41], v1 offset:1696
	v_fma_f64 v[4:5], v[202:203], v[144:145], -v[4:5]
	v_add_f64 v[2:3], v[2:3], v[4:5]
	v_mul_f64 v[4:5], v[208:209], v[218:219]
	v_fma_f64 v[4:5], v[206:207], v[220:221], -v[4:5]
	v_add_f64 v[2:3], v[2:3], v[4:5]
	v_mul_f64 v[4:5], v[212:213], v[214:215]
	ds_read_b128 v[48:51], v1 offset:1712
	v_fma_f64 v[4:5], v[210:211], v[216:217], -v[4:5]
	v_add_f64 v[2:3], v[2:3], v[4:5]
	s_waitcnt vmcnt(6) lgkmcnt(2)
	v_mul_f64 v[4:5], v[228:229], v[230:231]
	v_mul_f64 v[242:243], v[226:227], v[230:231]
	s_waitcnt vmcnt(4)
	v_fma_f64 v[4:5], v[226:227], v[232:233], -v[4:5]
	v_fmac_f64_e32 v[242:243], v[228:229], v[232:233]
	v_add_f64 v[2:3], v[2:3], v[4:5]
	s_waitcnt lgkmcnt(1)
	v_mul_f64 v[4:5], v[40:41], v[222:223]
	v_add_f64 v[238:239], v[238:239], v[242:243]
	v_mul_f64 v[242:243], v[38:39], v[222:223]
	v_fma_f64 v[4:5], v[38:39], v[224:225], -v[4:5]
	v_fmac_f64_e32 v[242:243], v[40:41], v[224:225]
	v_add_f64 v[2:3], v[2:3], v[4:5]
	s_waitcnt vmcnt(2) lgkmcnt(0)
	v_mul_f64 v[4:5], v[50:51], v[234:235]
	v_add_f64 v[238:239], v[238:239], v[242:243]
	v_mul_f64 v[242:243], v[48:49], v[234:235]
	s_waitcnt vmcnt(0)
	v_fma_f64 v[4:5], v[48:49], v[236:237], -v[4:5]
	v_fmac_f64_e32 v[242:243], v[50:51], v[236:237]
	v_add_f64 v[2:3], v[2:3], v[4:5]
	v_add_f64 v[238:239], v[238:239], v[242:243]
	v_add_f64 v[2:3], v[60:61], -v[2:3]
	v_add_f64 v[4:5], v[58:59], -v[238:239]
	buffer_store_dword v3, off, s[0:3], 0 offset:388
	buffer_store_dword v2, off, s[0:3], 0 offset:384
	;; [unrolled: 1-line block ×4, first 2 shown]
	s_and_saveexec_b64 s[4:5], vcc
	s_cbranch_execz .LBB117_293
; %bb.292:
	v_accvgpr_read_b32 v1, a139
	buffer_load_dword v2, v1, s[0:3], 0 offen
	buffer_load_dword v3, v1, s[0:3], 0 offen offset:4
	buffer_load_dword v4, v1, s[0:3], 0 offen offset:8
	;; [unrolled: 1-line block ×3, first 2 shown]
	v_mov_b32_e32 v1, 0
	v_accvgpr_read_b32 v6, a161
	buffer_store_dword v1, off, s[0:3], 0 offset:368
	buffer_store_dword v1, off, s[0:3], 0 offset:372
	;; [unrolled: 1-line block ×4, first 2 shown]
	s_waitcnt vmcnt(4)
	ds_write_b128 v6, v[2:5]
.LBB117_293:
	s_or_b64 exec, exec, s[4:5]
	s_waitcnt lgkmcnt(0)
	; wave barrier
	s_waitcnt lgkmcnt(0)
	buffer_load_dword v106, off, s[0:3], 0 offset:384
	buffer_load_dword v107, off, s[0:3], 0 offset:388
	;; [unrolled: 1-line block ×49, first 2 shown]
	v_mov_b32_e32 v1, 0
	ds_read_b128 v[110:113], v1 offset:1232
	ds_read_b128 v[250:253], v1 offset:1248
	;; [unrolled: 1-line block ×10, first 2 shown]
	buffer_load_dword v158, off, s[0:3], 0 offset:576
	buffer_load_dword v173, off, s[0:3], 0 offset:572
	;; [unrolled: 1-line block ×69, first 2 shown]
	v_cmp_lt_u32_e32 vcc, 21, v0
	s_waitcnt vmcnt(62) lgkmcnt(9)
	v_mul_f64 v[34:35], v[110:111], v[108:109]
	v_fmac_f64_e32 v[34:35], v[112:113], v[106:107]
	v_add_f64 v[34:35], v[34:35], 0
	v_mul_f64 v[108:109], v[112:113], v[108:109]
	s_waitcnt lgkmcnt(8)
	v_mul_f64 v[36:37], v[250:251], v[116:117]
	v_fmac_f64_e32 v[36:37], v[252:253], v[114:115]
	s_waitcnt lgkmcnt(7)
	v_mul_f64 v[38:39], v[30:31], v[118:119]
	v_add_f64 v[34:35], v[34:35], v[36:37]
	s_waitcnt lgkmcnt(5)
	v_mul_f64 v[42:43], v[22:23], v[120:121]
	v_mul_f64 v[116:117], v[252:253], v[116:117]
	v_fmac_f64_e32 v[42:43], v[24:25], v[122:123]
	v_fma_f64 v[248:249], v[110:111], v[106:107], -v[108:109]
	v_mul_f64 v[40:41], v[26:27], v[124:125]
	v_fma_f64 v[250:251], v[250:251], v[114:115], -v[116:117]
	s_waitcnt lgkmcnt(3)
	v_mul_f64 v[46:47], v[14:15], v[126:127]
	v_mul_f64 v[24:25], v[24:25], v[120:121]
	v_fmac_f64_e32 v[46:47], v[16:17], v[128:129]
	v_fma_f64 v[22:23], v[22:23], v[122:123], -v[24:25]
	v_mul_f64 v[44:45], v[18:19], v[130:131]
	v_mul_f64 v[16:17], v[16:17], v[126:127]
	s_waitcnt lgkmcnt(1)
	v_mul_f64 v[50:51], v[6:7], v[132:133]
	v_fma_f64 v[14:15], v[14:15], v[128:129], -v[16:17]
	v_fmac_f64_e32 v[50:51], v[8:9], v[134:135]
	v_mul_f64 v[8:9], v[8:9], v[132:133]
	v_mul_f64 v[48:49], v[10:11], v[140:141]
	v_fma_f64 v[6:7], v[6:7], v[134:135], -v[8:9]
	s_waitcnt lgkmcnt(0)
	v_mul_f64 v[52:53], v[2:3], v[136:137]
	v_fmac_f64_e32 v[38:39], v[32:33], v[152:153]
	v_add_f64 v[34:35], v[34:35], v[38:39]
	v_fmac_f64_e32 v[40:41], v[28:29], v[150:151]
	v_add_f64 v[34:35], v[34:35], v[40:41]
	;; [unrolled: 2-line block ×3, first 2 shown]
	v_add_f64 v[34:35], v[34:35], v[44:45]
	v_fmac_f64_e32 v[48:49], v[12:13], v[146:147]
	v_add_f64 v[34:35], v[34:35], v[46:47]
	v_add_f64 v[34:35], v[34:35], v[48:49]
	v_fmac_f64_e32 v[52:53], v[4:5], v[144:145]
	v_add_f64 v[34:35], v[34:35], v[50:51]
	v_add_f64 v[42:43], v[34:35], v[52:53]
	ds_read_b128 v[38:41], v1 offset:1392
	ds_read_b128 v[34:37], v1 offset:1408
	buffer_load_dword v231, off, s[0:3], 0 offset:876
	buffer_load_dword v230, off, s[0:3], 0 offset:872
	;; [unrolled: 1-line block ×8, first 2 shown]
	ds_read_b128 v[110:113], v1 offset:1680
	ds_read_b128 v[106:109], v1 offset:1696
	s_waitcnt lgkmcnt(3)
	v_mul_f64 v[44:45], v[38:39], v[142:143]
	v_fmac_f64_e32 v[44:45], v[40:41], v[154:155]
	v_add_f64 v[46:47], v[42:43], v[44:45]
	ds_read_b128 v[42:45], v1 offset:1424
	s_waitcnt lgkmcnt(3)
	v_mul_f64 v[48:49], v[34:35], v[172:173]
	v_fmac_f64_e32 v[48:49], v[36:37], v[176:177]
	v_add_f64 v[50:51], v[46:47], v[48:49]
	;; [unrolled: 5-line block ×3, first 2 shown]
	ds_read_b128 v[50:53], v1 offset:1456
	s_waitcnt vmcnt(62) lgkmcnt(1)
	v_mul_f64 v[56:57], v[46:47], v[180:181]
	v_fmac_f64_e32 v[56:57], v[48:49], v[184:185]
	v_add_f64 v[58:59], v[54:55], v[56:57]
	ds_read_b128 v[54:57], v1 offset:1472
	s_waitcnt lgkmcnt(1)
	v_mul_f64 v[60:61], v[50:51], v[160:161]
	v_fmac_f64_e32 v[60:61], v[52:53], v[162:163]
	v_add_f64 v[62:63], v[58:59], v[60:61]
	ds_read_b128 v[58:61], v1 offset:1488
	s_waitcnt vmcnt(58) lgkmcnt(1)
	v_mul_f64 v[64:65], v[54:55], v[188:189]
	s_waitcnt vmcnt(56)
	v_fmac_f64_e32 v[64:65], v[56:57], v[192:193]
	v_add_f64 v[66:67], v[62:63], v[64:65]
	ds_read_b128 v[62:65], v1 offset:1504
	s_waitcnt lgkmcnt(1)
	v_mul_f64 v[68:69], v[58:59], v[164:165]
	v_fmac_f64_e32 v[68:69], v[60:61], v[166:167]
	v_add_f64 v[70:71], v[66:67], v[68:69]
	ds_read_b128 v[66:69], v1 offset:1520
	s_waitcnt vmcnt(50) lgkmcnt(1)
	v_mul_f64 v[72:73], v[62:63], v[196:197]
	s_waitcnt vmcnt(48)
	;; [unrolled: 11-line block ×5, first 2 shown]
	v_fmac_f64_e32 v[96:97], v[88:89], v[228:229]
	v_add_f64 v[98:99], v[94:95], v[96:97]
	ds_read_b128 v[94:97], v1 offset:1632
	s_waitcnt lgkmcnt(1)
	v_mul_f64 v[100:101], v[90:91], v[190:191]
	v_fmac_f64_e32 v[100:101], v[92:93], v[194:195]
	v_add_f64 v[216:217], v[98:99], v[100:101]
	ds_read_b128 v[98:101], v1 offset:1648
	ds_read_b128 v[102:105], v1 offset:1664
	;; [unrolled: 1-line block ×3, first 2 shown]
	buffer_load_dword v252, off, s[0:3], 0 offset:376
	buffer_load_dword v253, off, s[0:3], 0 offset:380
	s_waitcnt vmcnt(20) lgkmcnt(3)
	v_mul_f64 v[218:219], v[94:95], v[232:233]
	s_waitcnt vmcnt(18)
	v_fmac_f64_e32 v[218:219], v[96:97], v[236:237]
	v_add_f64 v[216:217], v[216:217], v[218:219]
	s_waitcnt lgkmcnt(2)
	v_mul_f64 v[218:219], v[98:99], v[198:199]
	v_fmac_f64_e32 v[218:219], v[100:101], v[202:203]
	v_add_f64 v[216:217], v[216:217], v[218:219]
	s_waitcnt vmcnt(12) lgkmcnt(1)
	v_mul_f64 v[218:219], v[102:103], v[238:239]
	s_waitcnt vmcnt(10)
	v_fmac_f64_e32 v[218:219], v[104:105], v[240:241]
	v_add_f64 v[216:217], v[216:217], v[218:219]
	v_mul_f64 v[218:219], v[110:111], v[206:207]
	v_fmac_f64_e32 v[218:219], v[112:113], v[210:211]
	v_add_f64 v[216:217], v[216:217], v[218:219]
	s_waitcnt vmcnt(4)
	v_mul_f64 v[218:219], v[106:107], v[242:243]
	v_mul_f64 v[32:33], v[32:33], v[118:119]
	s_waitcnt vmcnt(2)
	v_fmac_f64_e32 v[218:219], v[108:109], v[244:245]
	v_add_f64 v[216:217], v[216:217], v[218:219]
	s_waitcnt lgkmcnt(0)
	v_mul_f64 v[218:219], v[114:115], v[230:231]
	v_fmac_f64_e32 v[218:219], v[116:117], v[234:235]
	v_add_f64 v[246:247], v[216:217], v[218:219]
	v_add_f64 v[216:217], v[248:249], 0
	;; [unrolled: 1-line block ×3, first 2 shown]
	v_fma_f64 v[30:31], v[30:31], v[152:153], -v[32:33]
	v_mul_f64 v[28:29], v[28:29], v[124:125]
	v_add_f64 v[30:31], v[216:217], v[30:31]
	v_fma_f64 v[26:27], v[26:27], v[150:151], -v[28:29]
	v_add_f64 v[26:27], v[30:31], v[26:27]
	v_mul_f64 v[20:21], v[20:21], v[130:131]
	v_add_f64 v[22:23], v[26:27], v[22:23]
	v_fma_f64 v[18:19], v[18:19], v[148:149], -v[20:21]
	v_add_f64 v[18:19], v[22:23], v[18:19]
	;; [unrolled: 4-line block ×3, first 2 shown]
	v_mul_f64 v[4:5], v[4:5], v[136:137]
	v_add_f64 v[6:7], v[10:11], v[6:7]
	v_fma_f64 v[2:3], v[2:3], v[144:145], -v[4:5]
	v_mul_f64 v[4:5], v[40:41], v[142:143]
	v_add_f64 v[2:3], v[6:7], v[2:3]
	v_fma_f64 v[4:5], v[38:39], v[154:155], -v[4:5]
	v_add_f64 v[2:3], v[2:3], v[4:5]
	v_mul_f64 v[4:5], v[36:37], v[172:173]
	v_fma_f64 v[4:5], v[34:35], v[176:177], -v[4:5]
	v_add_f64 v[2:3], v[2:3], v[4:5]
	v_mul_f64 v[4:5], v[44:45], v[156:157]
	;; [unrolled: 3-line block ×20, first 2 shown]
	v_fma_f64 v[4:5], v[114:115], v[234:235], -v[4:5]
	v_add_f64 v[2:3], v[2:3], v[4:5]
	v_add_f64 v[2:3], v[138:139], -v[2:3]
	s_waitcnt vmcnt(0)
	v_add_f64 v[4:5], v[252:253], -v[246:247]
	buffer_store_dword v3, off, s[0:3], 0 offset:372
	buffer_store_dword v2, off, s[0:3], 0 offset:368
	;; [unrolled: 1-line block ×4, first 2 shown]
	s_and_saveexec_b64 s[4:5], vcc
	s_cbranch_execz .LBB117_295
; %bb.294:
	v_accvgpr_read_b32 v5, a140
	buffer_load_dword v2, v5, s[0:3], 0 offen
	buffer_load_dword v3, v5, s[0:3], 0 offen offset:4
	buffer_load_dword v4, v5, s[0:3], 0 offen offset:8
	s_nop 0
	buffer_load_dword v5, v5, s[0:3], 0 offen offset:12
	v_accvgpr_read_b32 v6, a161
	buffer_store_dword v1, off, s[0:3], 0 offset:352
	buffer_store_dword v1, off, s[0:3], 0 offset:356
	;; [unrolled: 1-line block ×4, first 2 shown]
	s_waitcnt vmcnt(4)
	ds_write_b128 v6, v[2:5]
.LBB117_295:
	s_or_b64 exec, exec, s[4:5]
	s_waitcnt lgkmcnt(0)
	; wave barrier
	s_waitcnt lgkmcnt(0)
	buffer_load_dword v112, off, s[0:3], 0 offset:368
	buffer_load_dword v113, off, s[0:3], 0 offset:372
	;; [unrolled: 1-line block ×36, first 2 shown]
	ds_read_b128 v[102:105], v1 offset:1216
	ds_read_b128 v[106:109], v1 offset:1232
	;; [unrolled: 1-line block ×9, first 2 shown]
	buffer_load_dword v143, off, s[0:3], 0 offset:540
	buffer_load_dword v142, off, s[0:3], 0 offset:536
	;; [unrolled: 1-line block ×78, first 2 shown]
	v_cmp_lt_u32_e32 vcc, 20, v0
	s_waitcnt vmcnt(62) lgkmcnt(8)
	v_mul_f64 v[26:27], v[102:103], v[246:247]
	v_fmac_f64_e32 v[26:27], v[104:105], v[112:113]
	v_add_f64 v[26:27], v[26:27], 0
	v_mul_f64 v[104:105], v[104:105], v[246:247]
	s_waitcnt lgkmcnt(7)
	v_mul_f64 v[28:29], v[106:107], v[248:249]
	v_fmac_f64_e32 v[28:29], v[108:109], v[110:111]
	s_waitcnt lgkmcnt(6)
	v_mul_f64 v[30:31], v[114:115], v[244:245]
	v_add_f64 v[26:27], v[26:27], v[28:29]
	s_waitcnt lgkmcnt(4)
	v_mul_f64 v[34:35], v[18:19], v[118:119]
	v_fma_f64 v[246:247], v[102:103], v[112:113], -v[104:105]
	v_fmac_f64_e32 v[34:35], v[20:21], v[120:121]
	v_mul_f64 v[108:109], v[108:109], v[248:249]
	v_mul_f64 v[32:33], v[22:23], v[122:123]
	v_fma_f64 v[248:249], v[106:107], v[110:111], -v[108:109]
	s_waitcnt lgkmcnt(2)
	v_mul_f64 v[38:39], v[10:11], v[124:125]
	v_mul_f64 v[20:21], v[20:21], v[118:119]
	v_fmac_f64_e32 v[38:39], v[12:13], v[126:127]
	v_fma_f64 v[18:19], v[18:19], v[120:121], -v[20:21]
	v_mul_f64 v[36:37], v[14:15], v[130:131]
	v_mul_f64 v[12:13], v[12:13], v[124:125]
	s_waitcnt lgkmcnt(1)
	v_mul_f64 v[40:41], v[6:7], v[128:129]
	v_fma_f64 v[10:11], v[10:11], v[126:127], -v[12:13]
	v_fmac_f64_e32 v[30:31], v[116:117], v[250:251]
	v_add_f64 v[26:27], v[26:27], v[30:31]
	v_fmac_f64_e32 v[32:33], v[24:25], v[138:139]
	v_add_f64 v[26:27], v[26:27], v[32:33]
	;; [unrolled: 2-line block ×3, first 2 shown]
	v_add_f64 v[26:27], v[26:27], v[36:37]
	v_fmac_f64_e32 v[40:41], v[8:9], v[134:135]
	v_add_f64 v[30:31], v[26:27], v[38:39]
	v_add_f64 v[30:31], v[30:31], v[40:41]
	s_waitcnt lgkmcnt(0)
	v_mul_f64 v[32:33], v[2:3], v[132:133]
	v_fmac_f64_e32 v[32:33], v[4:5], v[140:141]
	ds_read_b128 v[26:29], v1 offset:1360
	v_add_f64 v[34:35], v[30:31], v[32:33]
	ds_read_b128 v[30:33], v1 offset:1376
	buffer_load_dword v231, off, s[0:3], 0 offset:804
	buffer_load_dword v230, off, s[0:3], 0 offset:800
	v_mul_f64 v[116:117], v[116:117], v[244:245]
	s_waitcnt lgkmcnt(1)
	v_mul_f64 v[36:37], v[26:27], v[146:147]
	v_fmac_f64_e32 v[36:37], v[28:29], v[148:149]
	v_add_f64 v[38:39], v[34:35], v[36:37]
	ds_read_b128 v[34:37], v1 offset:1392
	s_waitcnt lgkmcnt(1)
	v_mul_f64 v[40:41], v[30:31], v[142:143]
	v_fmac_f64_e32 v[40:41], v[32:33], v[144:145]
	v_add_f64 v[42:43], v[38:39], v[40:41]
	ds_read_b128 v[38:41], v1 offset:1408
	;; [unrolled: 5-line block ×4, first 2 shown]
	buffer_load_dword v233, off, s[0:3], 0 offset:860
	buffer_load_dword v235, off, s[0:3], 0 offset:844
	;; [unrolled: 1-line block ×12, first 2 shown]
	s_waitcnt vmcnt(62) lgkmcnt(1)
	v_mul_f64 v[52:53], v[42:43], v[174:175]
	v_fmac_f64_e32 v[52:53], v[44:45], v[178:179]
	v_add_f64 v[54:55], v[50:51], v[52:53]
	ds_read_b128 v[50:53], v1 offset:1456
	s_waitcnt lgkmcnt(1)
	v_mul_f64 v[56:57], v[46:47], v[154:155]
	v_fmac_f64_e32 v[56:57], v[48:49], v[156:157]
	v_add_f64 v[58:59], v[54:55], v[56:57]
	ds_read_b128 v[54:57], v1 offset:1472
	s_waitcnt lgkmcnt(1)
	v_mul_f64 v[60:61], v[50:51], v[182:183]
	s_waitcnt vmcnt(60)
	v_fmac_f64_e32 v[60:61], v[52:53], v[186:187]
	v_add_f64 v[62:63], v[58:59], v[60:61]
	ds_read_b128 v[58:61], v1 offset:1488
	s_waitcnt lgkmcnt(1)
	v_mul_f64 v[64:65], v[54:55], v[162:163]
	v_fmac_f64_e32 v[64:65], v[56:57], v[164:165]
	v_add_f64 v[66:67], v[62:63], v[64:65]
	ds_read_b128 v[62:65], v1 offset:1504
	s_waitcnt vmcnt(54) lgkmcnt(1)
	v_mul_f64 v[68:69], v[58:59], v[190:191]
	s_waitcnt vmcnt(52)
	v_fmac_f64_e32 v[68:69], v[60:61], v[194:195]
	v_add_f64 v[70:71], v[66:67], v[68:69]
	ds_read_b128 v[66:69], v1 offset:1520
	s_waitcnt lgkmcnt(1)
	v_mul_f64 v[72:73], v[62:63], v[166:167]
	v_fmac_f64_e32 v[72:73], v[64:65], v[168:169]
	v_add_f64 v[74:75], v[70:71], v[72:73]
	ds_read_b128 v[70:73], v1 offset:1536
	s_waitcnt vmcnt(46) lgkmcnt(1)
	;; [unrolled: 11-line block ×4, first 2 shown]
	v_mul_f64 v[92:93], v[82:83], v[210:211]
	s_waitcnt vmcnt(28)
	v_fmac_f64_e32 v[92:93], v[84:85], v[212:213]
	v_add_f64 v[98:99], v[90:91], v[92:93]
	ds_read_b128 v[90:93], v1 offset:1616
	ds_read_b128 v[94:97], v1 offset:1632
	s_waitcnt lgkmcnt(2)
	v_mul_f64 v[100:101], v[86:87], v[184:185]
	v_fmac_f64_e32 v[100:101], v[88:89], v[188:189]
	v_add_f64 v[98:99], v[98:99], v[100:101]
	s_waitcnt vmcnt(22) lgkmcnt(1)
	v_mul_f64 v[100:101], v[90:91], v[214:215]
	s_waitcnt vmcnt(20)
	v_fmac_f64_e32 v[100:101], v[92:93], v[226:227]
	v_add_f64 v[98:99], v[98:99], v[100:101]
	s_waitcnt lgkmcnt(0)
	v_mul_f64 v[100:101], v[94:95], v[192:193]
	v_fmac_f64_e32 v[100:101], v[96:97], v[196:197]
	v_add_f64 v[216:217], v[98:99], v[100:101]
	ds_read_b128 v[98:101], v1 offset:1648
	ds_read_b128 v[102:105], v1 offset:1664
	;; [unrolled: 1-line block ×3, first 2 shown]
	v_fma_f64 v[250:251], v[114:115], v[250:251], -v[116:117]
	ds_read_b128 v[114:117], v1 offset:1712
	s_waitcnt vmcnt(14) lgkmcnt(3)
	v_mul_f64 v[112:113], v[98:99], v[228:229]
	s_waitcnt lgkmcnt(2)
	v_mul_f64 v[110:111], v[102:103], v[200:201]
	s_waitcnt vmcnt(12)
	v_fmac_f64_e32 v[112:113], v[100:101], v[230:231]
	v_add_f64 v[112:113], v[216:217], v[112:113]
	v_fmac_f64_e32 v[110:111], v[104:105], v[204:205]
	v_add_f64 v[216:217], v[112:113], v[110:111]
	ds_read_b128 v[110:113], v1 offset:1696
	buffer_load_dword v254, off, s[0:3], 0 offset:352
	buffer_load_dword v255, off, s[0:3], 0 offset:356
	;; [unrolled: 1-line block ×4, first 2 shown]
	v_mul_f64 v[24:25], v[24:25], v[122:123]
	v_fma_f64 v[22:23], v[22:23], v[138:139], -v[24:25]
	v_mul_f64 v[16:17], v[16:17], v[130:131]
	s_waitcnt vmcnt(13) lgkmcnt(2)
	v_mul_f64 v[218:219], v[106:107], v[234:235]
	v_fma_f64 v[14:15], v[14:15], v[136:137], -v[16:17]
	s_waitcnt vmcnt(11)
	v_fmac_f64_e32 v[218:219], v[108:109], v[240:241]
	v_add_f64 v[216:217], v[216:217], v[218:219]
	s_waitcnt vmcnt(10) lgkmcnt(0)
	v_mul_f64 v[218:219], v[110:111], v[232:233]
	s_waitcnt vmcnt(8)
	v_fmac_f64_e32 v[218:219], v[112:113], v[238:239]
	v_add_f64 v[216:217], v[216:217], v[218:219]
	s_waitcnt vmcnt(6)
	v_mul_f64 v[218:219], v[114:115], v[236:237]
	v_mul_f64 v[8:9], v[8:9], v[128:129]
	s_waitcnt vmcnt(4)
	v_fmac_f64_e32 v[218:219], v[116:117], v[242:243]
	v_add_f64 v[244:245], v[216:217], v[218:219]
	v_add_f64 v[216:217], v[246:247], 0
	;; [unrolled: 1-line block ×8, first 2 shown]
	v_fma_f64 v[6:7], v[6:7], v[134:135], -v[8:9]
	v_mul_f64 v[4:5], v[4:5], v[132:133]
	v_add_f64 v[6:7], v[10:11], v[6:7]
	v_fma_f64 v[2:3], v[2:3], v[140:141], -v[4:5]
	v_mul_f64 v[4:5], v[28:29], v[146:147]
	v_add_f64 v[2:3], v[6:7], v[2:3]
	v_fma_f64 v[4:5], v[26:27], v[148:149], -v[4:5]
	v_add_f64 v[2:3], v[2:3], v[4:5]
	v_mul_f64 v[4:5], v[32:33], v[142:143]
	v_fma_f64 v[4:5], v[30:31], v[144:145], -v[4:5]
	v_add_f64 v[2:3], v[2:3], v[4:5]
	v_mul_f64 v[4:5], v[36:37], v[158:159]
	;; [unrolled: 3-line block ×22, first 2 shown]
	v_fma_f64 v[4:5], v[114:115], v[242:243], -v[4:5]
	v_add_f64 v[2:3], v[2:3], v[4:5]
	s_waitcnt vmcnt(2)
	v_add_f64 v[2:3], v[254:255], -v[2:3]
	s_waitcnt vmcnt(0)
	v_add_f64 v[4:5], v[252:253], -v[244:245]
	buffer_store_dword v3, off, s[0:3], 0 offset:356
	buffer_store_dword v2, off, s[0:3], 0 offset:352
	;; [unrolled: 1-line block ×4, first 2 shown]
	s_and_saveexec_b64 s[4:5], vcc
	s_cbranch_execz .LBB117_297
; %bb.296:
	v_accvgpr_read_b32 v1, a141
	buffer_load_dword v2, v1, s[0:3], 0 offen
	buffer_load_dword v3, v1, s[0:3], 0 offen offset:4
	buffer_load_dword v4, v1, s[0:3], 0 offen offset:8
	buffer_load_dword v5, v1, s[0:3], 0 offen offset:12
	v_mov_b32_e32 v1, 0
	v_accvgpr_read_b32 v6, a161
	buffer_store_dword v1, off, s[0:3], 0 offset:336
	buffer_store_dword v1, off, s[0:3], 0 offset:340
	;; [unrolled: 1-line block ×4, first 2 shown]
	s_waitcnt vmcnt(4)
	ds_write_b128 v6, v[2:5]
.LBB117_297:
	s_or_b64 exec, exec, s[4:5]
	s_waitcnt lgkmcnt(0)
	; wave barrier
	s_waitcnt lgkmcnt(0)
	buffer_load_dword v94, off, s[0:3], 0 offset:352
	buffer_load_dword v95, off, s[0:3], 0 offset:356
	;; [unrolled: 1-line block ×52, first 2 shown]
	v_mov_b32_e32 v1, 0
	ds_read_b128 v[102:105], v1 offset:1200
	ds_read_b128 v[114:117], v1 offset:1216
	;; [unrolled: 1-line block ×10, first 2 shown]
	v_cmp_lt_u32_e32 vcc, 19, v0
	s_waitcnt vmcnt(48) lgkmcnt(9)
	v_mul_f64 v[26:27], v[102:103], v[96:97]
	v_fmac_f64_e32 v[26:27], v[104:105], v[94:95]
	v_add_f64 v[26:27], v[26:27], 0
	v_mul_f64 v[96:97], v[104:105], v[96:97]
	s_waitcnt vmcnt(44) lgkmcnt(8)
	v_mul_f64 v[28:29], v[114:115], v[100:101]
	v_fmac_f64_e32 v[28:29], v[116:117], v[98:99]
	s_waitcnt vmcnt(42) lgkmcnt(7)
	v_mul_f64 v[30:31], v[244:245], v[106:107]
	v_add_f64 v[26:27], v[26:27], v[28:29]
	s_waitcnt vmcnt(40) lgkmcnt(5)
	v_mul_f64 v[34:35], v[22:23], v[120:121]
	v_fma_f64 v[218:219], v[102:103], v[94:95], -v[96:97]
	s_waitcnt vmcnt(38)
	v_fmac_f64_e32 v[34:35], v[24:25], v[124:125]
	v_mul_f64 v[100:101], v[116:117], v[100:101]
	s_waitcnt vmcnt(36)
	v_mul_f64 v[32:33], v[250:251], v[110:111]
	v_fma_f64 v[220:221], v[114:115], v[98:99], -v[100:101]
	s_waitcnt vmcnt(34) lgkmcnt(3)
	v_mul_f64 v[38:39], v[14:15], v[118:119]
	v_mul_f64 v[106:107], v[246:247], v[106:107]
	s_waitcnt vmcnt(32)
	v_fmac_f64_e32 v[38:39], v[16:17], v[122:123]
	v_mul_f64 v[110:111], v[252:253], v[110:111]
	s_waitcnt vmcnt(30)
	v_mul_f64 v[36:37], v[18:19], v[130:131]
	v_mul_f64 v[24:25], v[24:25], v[120:121]
	v_fma_f64 v[22:23], v[22:23], v[124:125], -v[24:25]
	s_waitcnt vmcnt(27) lgkmcnt(2)
	v_mul_f64 v[40:41], v[10:11], v[128:129]
	s_waitcnt vmcnt(26) lgkmcnt(1)
	v_mul_f64 v[42:43], v[6:7], v[126:127]
	v_mul_f64 v[16:17], v[16:17], v[118:119]
	s_waitcnt vmcnt(24)
	v_fmac_f64_e32 v[30:31], v[246:247], v[108:109]
	v_add_f64 v[26:27], v[26:27], v[30:31]
	s_waitcnt vmcnt(22)
	v_fmac_f64_e32 v[32:33], v[252:253], v[112:113]
	v_add_f64 v[26:27], v[26:27], v[32:33]
	;; [unrolled: 3-line block ×3, first 2 shown]
	v_add_f64 v[26:27], v[26:27], v[36:37]
	s_waitcnt vmcnt(18)
	v_fmac_f64_e32 v[40:41], v[12:13], v[132:133]
	v_add_f64 v[26:27], v[26:27], v[38:39]
	v_add_f64 v[26:27], v[26:27], v[40:41]
	s_waitcnt vmcnt(16)
	v_fmac_f64_e32 v[42:43], v[8:9], v[138:139]
	v_add_f64 v[34:35], v[26:27], v[42:43]
	ds_read_b128 v[26:29], v1 offset:1360
	ds_read_b128 v[30:33], v1 offset:1376
	buffer_load_dword v155, off, s[0:3], 0 offset:588
	buffer_load_dword v154, off, s[0:3], 0 offset:584
	;; [unrolled: 1-line block ×56, first 2 shown]
	s_waitcnt vmcnt(62) lgkmcnt(2)
	v_mul_f64 v[36:37], v[2:3], v[142:143]
	v_fmac_f64_e32 v[36:37], v[4:5], v[144:145]
	v_add_f64 v[34:35], v[34:35], v[36:37]
	s_waitcnt lgkmcnt(1)
	v_mul_f64 v[36:37], v[26:27], v[136:137]
	v_fmac_f64_e32 v[36:37], v[28:29], v[140:141]
	v_add_f64 v[34:35], v[34:35], v[36:37]
	s_waitcnt lgkmcnt(0)
	v_mul_f64 v[36:37], v[30:31], v[146:147]
	s_waitcnt vmcnt(60)
	v_fmac_f64_e32 v[36:37], v[32:33], v[150:151]
	v_add_f64 v[42:43], v[34:35], v[36:37]
	ds_read_b128 v[34:37], v1 offset:1392
	buffer_load_dword v199, off, s[0:3], 0 offset:812
	buffer_load_dword v198, off, s[0:3], 0 offset:808
	;; [unrolled: 1-line block ×16, first 2 shown]
	ds_read_b128 v[38:41], v1 offset:1408
	buffer_load_dword v231, off, s[0:3], 0 offset:876
	buffer_load_dword v230, off, s[0:3], 0 offset:872
	;; [unrolled: 1-line block ×8, first 2 shown]
	ds_read_b128 v[98:101], v1 offset:1648
	s_waitcnt vmcnt(62) lgkmcnt(2)
	v_mul_f64 v[44:45], v[34:35], v[148:149]
	v_fmac_f64_e32 v[44:45], v[36:37], v[152:153]
	v_add_f64 v[46:47], v[42:43], v[44:45]
	ds_read_b128 v[42:45], v1 offset:1424
	v_fma_f64 v[248:249], v[244:245], v[108:109], -v[106:107]
	ds_read_b128 v[106:109], v1 offset:1680
	v_fma_f64 v[246:247], v[250:251], v[112:113], -v[110:111]
	v_mul_f64 v[20:21], v[20:21], v[130:131]
	v_fma_f64 v[18:19], v[18:19], v[134:135], -v[20:21]
	v_fma_f64 v[14:15], v[14:15], v[122:123], -v[16:17]
	v_mul_f64 v[12:13], v[12:13], v[128:129]
	v_fma_f64 v[10:11], v[10:11], v[132:133], -v[12:13]
	v_mul_f64 v[8:9], v[8:9], v[126:127]
	;; [unrolled: 2-line block ×3, first 2 shown]
	s_waitcnt lgkmcnt(3)
	v_mul_f64 v[48:49], v[38:39], v[170:171]
	v_fma_f64 v[2:3], v[2:3], v[144:145], -v[4:5]
	v_fmac_f64_e32 v[48:49], v[40:41], v[174:175]
	v_add_f64 v[50:51], v[46:47], v[48:49]
	ds_read_b128 v[46:49], v1 offset:1440
	s_waitcnt lgkmcnt(2)
	v_mul_f64 v[52:53], v[42:43], v[154:155]
	v_fmac_f64_e32 v[52:53], v[44:45], v[156:157]
	v_add_f64 v[54:55], v[50:51], v[52:53]
	ds_read_b128 v[50:53], v1 offset:1456
	s_waitcnt lgkmcnt(1)
	v_mul_f64 v[56:57], v[46:47], v[178:179]
	;; [unrolled: 5-line block ×3, first 2 shown]
	v_fmac_f64_e32 v[60:61], v[52:53], v[160:161]
	v_add_f64 v[62:63], v[58:59], v[60:61]
	ds_read_b128 v[58:61], v1 offset:1488
	s_waitcnt vmcnt(58) lgkmcnt(1)
	v_mul_f64 v[64:65], v[54:55], v[186:187]
	s_waitcnt vmcnt(56)
	v_fmac_f64_e32 v[64:65], v[56:57], v[190:191]
	v_add_f64 v[66:67], v[62:63], v[64:65]
	ds_read_b128 v[62:65], v1 offset:1504
	s_waitcnt lgkmcnt(1)
	v_mul_f64 v[68:69], v[58:59], v[162:163]
	v_fmac_f64_e32 v[68:69], v[60:61], v[164:165]
	v_add_f64 v[70:71], v[66:67], v[68:69]
	ds_read_b128 v[66:69], v1 offset:1520
	s_waitcnt vmcnt(50) lgkmcnt(1)
	v_mul_f64 v[72:73], v[62:63], v[194:195]
	s_waitcnt vmcnt(48)
	v_fmac_f64_e32 v[72:73], v[64:65], v[196:197]
	v_add_f64 v[74:75], v[70:71], v[72:73]
	ds_read_b128 v[70:73], v1 offset:1536
	s_waitcnt lgkmcnt(1)
	v_mul_f64 v[76:77], v[66:67], v[166:167]
	;; [unrolled: 11-line block ×3, first 2 shown]
	v_fmac_f64_e32 v[84:85], v[76:77], v[176:177]
	v_add_f64 v[90:91], v[82:83], v[84:85]
	ds_read_b128 v[82:85], v1 offset:1584
	ds_read_b128 v[86:89], v1 offset:1600
	s_waitcnt vmcnt(34) lgkmcnt(2)
	v_mul_f64 v[92:93], v[78:79], v[208:209]
	s_waitcnt vmcnt(32)
	v_fmac_f64_e32 v[92:93], v[80:81], v[214:215]
	v_add_f64 v[90:91], v[90:91], v[92:93]
	s_waitcnt lgkmcnt(1)
	v_mul_f64 v[92:93], v[82:83], v[180:181]
	v_fmac_f64_e32 v[92:93], v[84:85], v[184:185]
	v_add_f64 v[90:91], v[90:91], v[92:93]
	s_waitcnt vmcnt(27) lgkmcnt(0)
	v_mul_f64 v[92:93], v[86:87], v[212:213]
	s_waitcnt vmcnt(25)
	v_fmac_f64_e32 v[92:93], v[88:89], v[226:227]
	v_add_f64 v[216:217], v[90:91], v[92:93]
	ds_read_b128 v[90:93], v1 offset:1616
	ds_read_b128 v[94:97], v1 offset:1632
	;; [unrolled: 1-line block ×3, first 2 shown]
	v_mul_f64 v[4:5], v[28:29], v[136:137]
	v_fma_f64 v[4:5], v[26:27], v[140:141], -v[4:5]
	s_waitcnt lgkmcnt(2)
	v_mul_f64 v[102:103], v[90:91], v[188:189]
	s_waitcnt vmcnt(24)
	v_fmac_f64_e32 v[102:103], v[92:93], v[192:193]
	s_waitcnt vmcnt(18) lgkmcnt(1)
	v_mul_f64 v[104:105], v[94:95], v[228:229]
	v_add_f64 v[102:103], v[216:217], v[102:103]
	s_waitcnt vmcnt(16)
	v_fmac_f64_e32 v[104:105], v[96:97], v[232:233]
	v_add_f64 v[102:103], v[102:103], v[104:105]
	v_mul_f64 v[104:105], v[98:99], v[198:199]
	v_fmac_f64_e32 v[104:105], v[100:101], v[202:203]
	v_add_f64 v[114:115], v[102:103], v[104:105]
	ds_read_b128 v[102:105], v1 offset:1664
	s_waitcnt vmcnt(10) lgkmcnt(0)
	v_mul_f64 v[116:117], v[102:103], v[236:237]
	s_waitcnt vmcnt(8)
	v_fmac_f64_e32 v[116:117], v[104:105], v[238:239]
	v_add_f64 v[114:115], v[114:115], v[116:117]
	v_mul_f64 v[116:117], v[106:107], v[206:207]
	v_fmac_f64_e32 v[116:117], v[108:109], v[210:211]
	v_add_f64 v[114:115], v[114:115], v[116:117]
	s_waitcnt vmcnt(2)
	v_mul_f64 v[116:117], v[110:111], v[240:241]
	s_waitcnt vmcnt(0)
	v_fmac_f64_e32 v[116:117], v[112:113], v[242:243]
	v_add_f64 v[216:217], v[114:115], v[116:117]
	ds_read_b128 v[114:117], v1 offset:1712
	buffer_load_dword v252, off, s[0:3], 0 offset:336
	buffer_load_dword v253, off, s[0:3], 0 offset:340
	s_waitcnt lgkmcnt(0)
	v_mul_f64 v[222:223], v[114:115], v[230:231]
	v_fmac_f64_e32 v[222:223], v[116:117], v[234:235]
	v_add_f64 v[244:245], v[216:217], v[222:223]
	v_add_f64 v[216:217], v[218:219], 0
	;; [unrolled: 1-line block ×4, first 2 shown]
	buffer_load_dword v248, off, s[0:3], 0 offset:344
	buffer_load_dword v249, off, s[0:3], 0 offset:348
	v_add_f64 v[216:217], v[216:217], v[246:247]
	v_add_f64 v[22:23], v[216:217], v[22:23]
	;; [unrolled: 1-line block ×8, first 2 shown]
	v_mul_f64 v[4:5], v[32:33], v[146:147]
	v_fma_f64 v[4:5], v[30:31], v[150:151], -v[4:5]
	v_add_f64 v[2:3], v[2:3], v[4:5]
	v_mul_f64 v[4:5], v[36:37], v[148:149]
	v_fma_f64 v[4:5], v[34:35], v[152:153], -v[4:5]
	v_add_f64 v[2:3], v[2:3], v[4:5]
	;; [unrolled: 3-line block ×22, first 2 shown]
	s_waitcnt vmcnt(2)
	v_add_f64 v[2:3], v[252:253], -v[2:3]
	s_waitcnt vmcnt(0)
	v_add_f64 v[4:5], v[248:249], -v[244:245]
	buffer_store_dword v3, off, s[0:3], 0 offset:340
	buffer_store_dword v2, off, s[0:3], 0 offset:336
	;; [unrolled: 1-line block ×4, first 2 shown]
	s_and_saveexec_b64 s[4:5], vcc
	s_cbranch_execz .LBB117_299
; %bb.298:
	v_accvgpr_read_b32 v5, a142
	buffer_load_dword v2, v5, s[0:3], 0 offen
	buffer_load_dword v3, v5, s[0:3], 0 offen offset:4
	buffer_load_dword v4, v5, s[0:3], 0 offen offset:8
	s_nop 0
	buffer_load_dword v5, v5, s[0:3], 0 offen offset:12
	v_accvgpr_read_b32 v6, a161
	buffer_store_dword v1, off, s[0:3], 0 offset:320
	buffer_store_dword v1, off, s[0:3], 0 offset:324
	;; [unrolled: 1-line block ×4, first 2 shown]
	s_waitcnt vmcnt(4)
	ds_write_b128 v6, v[2:5]
.LBB117_299:
	s_or_b64 exec, exec, s[4:5]
	s_waitcnt lgkmcnt(0)
	; wave barrier
	s_waitcnt lgkmcnt(0)
	buffer_load_dword v86, off, s[0:3], 0 offset:336
	buffer_load_dword v87, off, s[0:3], 0 offset:340
	;; [unrolled: 1-line block ×42, first 2 shown]
	ds_read_b128 v[94:97], v1 offset:1184
	ds_read_b128 v[106:109], v1 offset:1200
	;; [unrolled: 1-line block ×10, first 2 shown]
	buffer_load_dword v145, off, s[0:3], 0 offset:484
	buffer_load_dword v144, off, s[0:3], 0 offset:480
	ds_read_b128 v[6:9], v1 offset:1344
	buffer_load_dword v141, off, s[0:3], 0 offset:540
	buffer_load_dword v140, off, s[0:3], 0 offset:536
	;; [unrolled: 1-line block ×80, first 2 shown]
	v_cmp_lt_u32_e32 vcc, 18, v0
	s_waitcnt vmcnt(62) lgkmcnt(10)
	v_mul_f64 v[26:27], v[94:95], v[88:89]
	v_fmac_f64_e32 v[26:27], v[96:97], v[86:87]
	v_add_f64 v[26:27], v[26:27], 0
	v_mul_f64 v[88:89], v[96:97], v[88:89]
	s_waitcnt lgkmcnt(9)
	v_mul_f64 v[28:29], v[106:107], v[92:93]
	v_fmac_f64_e32 v[28:29], v[108:109], v[90:91]
	s_waitcnt lgkmcnt(8)
	v_mul_f64 v[30:31], v[114:115], v[98:99]
	v_add_f64 v[26:27], v[26:27], v[28:29]
	s_waitcnt lgkmcnt(6)
	v_mul_f64 v[34:35], v[248:249], v[110:111]
	v_fma_f64 v[218:219], v[94:95], v[86:87], -v[88:89]
	v_fmac_f64_e32 v[34:35], v[250:251], v[112:113]
	v_mul_f64 v[92:93], v[108:109], v[92:93]
	v_mul_f64 v[32:33], v[244:245], v[102:103]
	;; [unrolled: 1-line block ×3, first 2 shown]
	s_waitcnt lgkmcnt(4)
	v_mul_f64 v[38:39], v[18:19], v[118:119]
	v_mul_f64 v[102:103], v[246:247], v[102:103]
	v_fmac_f64_e32 v[38:39], v[20:21], v[120:121]
	v_mul_f64 v[110:111], v[250:251], v[110:111]
	v_mul_f64 v[36:37], v[22:23], v[122:123]
	v_fma_f64 v[248:249], v[248:249], v[112:113], -v[110:111]
	s_waitcnt lgkmcnt(2)
	v_mul_f64 v[42:43], v[10:11], v[124:125]
	v_add_f64 v[218:219], v[218:219], 0
	v_mul_f64 v[20:21], v[20:21], v[118:119]
	v_mul_f64 v[40:41], v[14:15], v[130:131]
	v_fma_f64 v[18:19], v[18:19], v[120:121], -v[20:21]
	s_waitcnt lgkmcnt(1)
	v_mul_f64 v[44:45], v[2:3], v[128:129]
	v_fmac_f64_e32 v[30:31], v[116:117], v[100:101]
	v_add_f64 v[26:27], v[26:27], v[30:31]
	v_fmac_f64_e32 v[32:33], v[246:247], v[104:105]
	v_add_f64 v[26:27], v[26:27], v[32:33]
	;; [unrolled: 2-line block ×3, first 2 shown]
	v_add_f64 v[26:27], v[26:27], v[36:37]
	v_fmac_f64_e32 v[40:41], v[16:17], v[132:133]
	v_add_f64 v[26:27], v[26:27], v[38:39]
	v_fmac_f64_e32 v[42:43], v[12:13], v[126:127]
	v_add_f64 v[26:27], v[26:27], v[40:41]
	v_add_f64 v[26:27], v[26:27], v[42:43]
	s_waitcnt lgkmcnt(0)
	v_mul_f64 v[32:33], v[6:7], v[136:137]
	v_fmac_f64_e32 v[44:45], v[4:5], v[144:145]
	v_add_f64 v[30:31], v[26:27], v[44:45]
	ds_read_b128 v[26:29], v1 offset:1360
	v_fmac_f64_e32 v[32:33], v[8:9], v[138:139]
	v_add_f64 v[34:35], v[30:31], v[32:33]
	ds_read_b128 v[30:33], v1 offset:1376
	v_fma_f64 v[220:221], v[114:115], v[100:101], -v[98:99]
	s_waitcnt lgkmcnt(1)
	v_mul_f64 v[36:37], v[26:27], v[146:147]
	v_fmac_f64_e32 v[36:37], v[28:29], v[162:163]
	v_add_f64 v[38:39], v[34:35], v[36:37]
	ds_read_b128 v[34:37], v1 offset:1392
	s_waitcnt lgkmcnt(1)
	v_mul_f64 v[40:41], v[30:31], v[140:141]
	v_fmac_f64_e32 v[40:41], v[32:33], v[142:143]
	v_add_f64 v[42:43], v[38:39], v[40:41]
	ds_read_b128 v[38:41], v1 offset:1408
	;; [unrolled: 5-line block ×4, first 2 shown]
	s_waitcnt vmcnt(58) lgkmcnt(1)
	v_mul_f64 v[52:53], v[42:43], v[174:175]
	s_waitcnt vmcnt(56)
	v_fmac_f64_e32 v[52:53], v[44:45], v[178:179]
	v_add_f64 v[54:55], v[50:51], v[52:53]
	ds_read_b128 v[50:53], v1 offset:1456
	buffer_load_dword v232, off, s[0:3], 0 offset:856
	buffer_load_dword v237, off, s[0:3], 0 offset:844
	;; [unrolled: 1-line block ×8, first 2 shown]
	s_waitcnt lgkmcnt(1)
	v_mul_f64 v[56:57], v[46:47], v[152:153]
	v_fmac_f64_e32 v[56:57], v[48:49], v[154:155]
	v_add_f64 v[58:59], v[54:55], v[56:57]
	ds_read_b128 v[54:57], v1 offset:1472
	s_waitcnt vmcnt(58) lgkmcnt(1)
	v_mul_f64 v[60:61], v[50:51], v[182:183]
	s_waitcnt vmcnt(56)
	v_fmac_f64_e32 v[60:61], v[52:53], v[186:187]
	buffer_load_dword v241, off, s[0:3], 0 offset:876
	buffer_load_dword v240, off, s[0:3], 0 offset:872
	;; [unrolled: 1-line block ×4, first 2 shown]
	v_add_f64 v[62:63], v[58:59], v[60:61]
	ds_read_b128 v[58:61], v1 offset:1488
	s_waitcnt lgkmcnt(1)
	v_mul_f64 v[64:65], v[54:55], v[156:157]
	v_fmac_f64_e32 v[64:65], v[56:57], v[158:159]
	v_add_f64 v[66:67], v[62:63], v[64:65]
	ds_read_b128 v[62:65], v1 offset:1504
	s_waitcnt vmcnt(54) lgkmcnt(1)
	v_mul_f64 v[68:69], v[58:59], v[190:191]
	s_waitcnt vmcnt(52)
	v_fmac_f64_e32 v[68:69], v[60:61], v[194:195]
	v_add_f64 v[70:71], v[66:67], v[68:69]
	ds_read_b128 v[66:69], v1 offset:1520
	s_waitcnt lgkmcnt(1)
	v_mul_f64 v[72:73], v[62:63], v[160:161]
	v_fmac_f64_e32 v[72:73], v[64:65], v[164:165]
	v_add_f64 v[74:75], v[70:71], v[72:73]
	ds_read_b128 v[70:73], v1 offset:1536
	s_waitcnt vmcnt(46) lgkmcnt(1)
	v_mul_f64 v[76:77], v[66:67], v[198:199]
	s_waitcnt vmcnt(44)
	v_fmac_f64_e32 v[76:77], v[68:69], v[202:203]
	v_add_f64 v[82:83], v[74:75], v[76:77]
	ds_read_b128 v[74:77], v1 offset:1552
	ds_read_b128 v[78:81], v1 offset:1568
	s_waitcnt lgkmcnt(2)
	v_mul_f64 v[84:85], v[70:71], v[168:169]
	v_fmac_f64_e32 v[84:85], v[72:73], v[172:173]
	v_add_f64 v[82:83], v[82:83], v[84:85]
	s_waitcnt vmcnt(38) lgkmcnt(1)
	v_mul_f64 v[84:85], v[74:75], v[206:207]
	s_waitcnt vmcnt(36)
	v_fmac_f64_e32 v[84:85], v[76:77], v[208:209]
	v_add_f64 v[82:83], v[82:83], v[84:85]
	s_waitcnt lgkmcnt(0)
	v_mul_f64 v[84:85], v[78:79], v[176:177]
	v_fmac_f64_e32 v[84:85], v[80:81], v[180:181]
	v_add_f64 v[216:217], v[82:83], v[84:85]
	ds_read_b128 v[82:85], v1 offset:1584
	ds_read_b128 v[86:89], v1 offset:1600
	;; [unrolled: 1-line block ×3, first 2 shown]
	v_fma_f64 v[246:247], v[244:245], v[104:105], -v[102:103]
	ds_read_b128 v[102:105], v1 offset:1680
	ds_read_b128 v[110:113], v1 offset:1696
	s_waitcnt vmcnt(30) lgkmcnt(4)
	v_mul_f64 v[94:95], v[82:83], v[210:211]
	s_waitcnt vmcnt(28)
	v_fmac_f64_e32 v[94:95], v[84:85], v[212:213]
	v_add_f64 v[94:95], v[216:217], v[94:95]
	v_fma_f64 v[216:217], v[106:107], v[90:91], -v[92:93]
	ds_read_b128 v[90:93], v1 offset:1616
	s_waitcnt lgkmcnt(4)
	v_mul_f64 v[96:97], v[86:87], v[184:185]
	v_fmac_f64_e32 v[96:97], v[88:89], v[188:189]
	v_add_f64 v[106:107], v[94:95], v[96:97]
	ds_read_b128 v[94:97], v1 offset:1632
	s_waitcnt vmcnt(22) lgkmcnt(1)
	v_mul_f64 v[108:109], v[90:91], v[214:215]
	s_waitcnt vmcnt(20)
	v_fmac_f64_e32 v[108:109], v[92:93], v[226:227]
	v_add_f64 v[106:107], v[106:107], v[108:109]
	v_add_f64 v[216:217], v[218:219], v[216:217]
	s_waitcnt lgkmcnt(0)
	v_mul_f64 v[108:109], v[94:95], v[192:193]
	v_fmac_f64_e32 v[108:109], v[96:97], v[196:197]
	v_add_f64 v[114:115], v[106:107], v[108:109]
	ds_read_b128 v[106:109], v1 offset:1664
	s_waitcnt vmcnt(14)
	v_mul_f64 v[116:117], v[98:99], v[228:229]
	s_waitcnt vmcnt(12)
	v_fmac_f64_e32 v[116:117], v[100:101], v[230:231]
	v_add_f64 v[114:115], v[114:115], v[116:117]
	v_add_f64 v[250:251], v[216:217], v[220:221]
	s_waitcnt lgkmcnt(0)
	v_mul_f64 v[116:117], v[106:107], v[200:201]
	v_fmac_f64_e32 v[116:117], v[108:109], v[204:205]
	v_add_f64 v[114:115], v[114:115], v[116:117]
	v_add_f64 v[216:217], v[250:251], v[246:247]
	v_mul_f64 v[24:25], v[24:25], v[122:123]
	v_add_f64 v[216:217], v[216:217], v[248:249]
	v_fma_f64 v[22:23], v[22:23], v[134:135], -v[24:25]
	v_add_f64 v[22:23], v[216:217], v[22:23]
	v_mul_f64 v[16:17], v[16:17], v[130:131]
	v_add_f64 v[18:19], v[22:23], v[18:19]
	v_fma_f64 v[14:15], v[14:15], v[132:133], -v[16:17]
	v_mul_f64 v[12:13], v[12:13], v[124:125]
	s_waitcnt vmcnt(9)
	v_mul_f64 v[116:117], v[102:103], v[236:237]
	v_add_f64 v[14:15], v[18:19], v[14:15]
	s_waitcnt vmcnt(7)
	v_fmac_f64_e32 v[116:117], v[104:105], v[238:239]
	v_add_f64 v[114:115], v[114:115], v[116:117]
	s_waitcnt vmcnt(5)
	v_mul_f64 v[116:117], v[110:111], v[232:233]
	s_waitcnt vmcnt(4)
	v_fmac_f64_e32 v[116:117], v[112:113], v[234:235]
	v_add_f64 v[222:223], v[114:115], v[116:117]
	ds_read_b128 v[114:117], v1 offset:1712
	buffer_load_dword v254, off, s[0:3], 0 offset:320
	buffer_load_dword v255, off, s[0:3], 0 offset:324
	;; [unrolled: 1-line block ×4, first 2 shown]
	v_fma_f64 v[10:11], v[10:11], v[126:127], -v[12:13]
	v_mul_f64 v[4:5], v[4:5], v[128:129]
	v_add_f64 v[10:11], v[14:15], v[10:11]
	v_fma_f64 v[2:3], v[2:3], v[144:145], -v[4:5]
	v_mul_f64 v[4:5], v[8:9], v[136:137]
	v_add_f64 v[2:3], v[10:11], v[2:3]
	v_fma_f64 v[4:5], v[6:7], v[138:139], -v[4:5]
	v_add_f64 v[2:3], v[2:3], v[4:5]
	v_mul_f64 v[4:5], v[28:29], v[146:147]
	v_fma_f64 v[4:5], v[26:27], v[162:163], -v[4:5]
	v_add_f64 v[2:3], v[2:3], v[4:5]
	v_mul_f64 v[4:5], v[32:33], v[140:141]
	;; [unrolled: 3-line block ×22, first 2 shown]
	v_fma_f64 v[4:5], v[110:111], v[234:235], -v[4:5]
	v_add_f64 v[2:3], v[2:3], v[4:5]
	s_waitcnt vmcnt(6) lgkmcnt(0)
	v_mul_f64 v[4:5], v[116:117], v[240:241]
	v_mul_f64 v[224:225], v[114:115], v[240:241]
	s_waitcnt vmcnt(4)
	v_fma_f64 v[4:5], v[114:115], v[242:243], -v[4:5]
	v_fmac_f64_e32 v[224:225], v[116:117], v[242:243]
	v_add_f64 v[2:3], v[2:3], v[4:5]
	v_add_f64 v[244:245], v[222:223], v[224:225]
	s_waitcnt vmcnt(2)
	v_add_f64 v[2:3], v[254:255], -v[2:3]
	s_waitcnt vmcnt(0)
	v_add_f64 v[4:5], v[252:253], -v[244:245]
	buffer_store_dword v3, off, s[0:3], 0 offset:324
	buffer_store_dword v2, off, s[0:3], 0 offset:320
	buffer_store_dword v5, off, s[0:3], 0 offset:332
	buffer_store_dword v4, off, s[0:3], 0 offset:328
	s_and_saveexec_b64 s[4:5], vcc
	s_cbranch_execz .LBB117_301
; %bb.300:
	v_accvgpr_read_b32 v1, a143
	buffer_load_dword v2, v1, s[0:3], 0 offen
	buffer_load_dword v3, v1, s[0:3], 0 offen offset:4
	buffer_load_dword v4, v1, s[0:3], 0 offen offset:8
	;; [unrolled: 1-line block ×3, first 2 shown]
	v_mov_b32_e32 v1, 0
	v_accvgpr_read_b32 v6, a161
	buffer_store_dword v1, off, s[0:3], 0 offset:304
	buffer_store_dword v1, off, s[0:3], 0 offset:308
	;; [unrolled: 1-line block ×4, first 2 shown]
	s_waitcnt vmcnt(4)
	ds_write_b128 v6, v[2:5]
.LBB117_301:
	s_or_b64 exec, exec, s[4:5]
	s_waitcnt lgkmcnt(0)
	; wave barrier
	s_waitcnt lgkmcnt(0)
	buffer_load_dword v82, off, s[0:3], 0 offset:320
	buffer_load_dword v83, off, s[0:3], 0 offset:324
	;; [unrolled: 1-line block ×54, first 2 shown]
	v_mov_b32_e32 v1, 0
	ds_read_b128 v[90:93], v1 offset:1168
	ds_read_b128 v[106:109], v1 offset:1184
	;; [unrolled: 1-line block ×9, first 2 shown]
	buffer_load_dword v149, off, s[0:3], 0 offset:548
	buffer_load_dword v148, off, s[0:3], 0 offset:544
	;; [unrolled: 1-line block ×62, first 2 shown]
	v_cmp_lt_u32_e32 vcc, 17, v0
	s_waitcnt vmcnt(62) lgkmcnt(8)
	v_mul_f64 v[14:15], v[90:91], v[84:85]
	v_fmac_f64_e32 v[14:15], v[92:93], v[82:83]
	v_add_f64 v[14:15], v[14:15], 0
	v_mul_f64 v[84:85], v[92:93], v[84:85]
	s_waitcnt lgkmcnt(7)
	v_mul_f64 v[16:17], v[106:107], v[88:89]
	v_fmac_f64_e32 v[16:17], v[108:109], v[86:87]
	s_waitcnt lgkmcnt(6)
	v_mul_f64 v[18:19], v[114:115], v[94:95]
	v_add_f64 v[14:15], v[14:15], v[16:17]
	s_waitcnt lgkmcnt(4)
	v_mul_f64 v[22:23], v[246:247], v[102:103]
	v_fma_f64 v[218:219], v[90:91], v[82:83], -v[84:85]
	v_fmac_f64_e32 v[22:23], v[248:249], v[104:105]
	v_mul_f64 v[88:89], v[108:109], v[88:89]
	v_mul_f64 v[20:21], v[242:243], v[98:99]
	v_fma_f64 v[220:221], v[106:107], v[86:87], -v[88:89]
	s_waitcnt lgkmcnt(2)
	v_mul_f64 v[26:27], v[10:11], v[118:119]
	v_mul_f64 v[94:95], v[116:117], v[94:95]
	v_fmac_f64_e32 v[26:27], v[12:13], v[120:121]
	v_mul_f64 v[98:99], v[244:245], v[98:99]
	v_mul_f64 v[24:25], v[250:251], v[110:111]
	;; [unrolled: 1-line block ×3, first 2 shown]
	s_waitcnt lgkmcnt(1)
	v_mul_f64 v[28:29], v[6:7], v[122:123]
	v_mul_f64 v[110:111], v[252:253], v[110:111]
	v_fmac_f64_e32 v[18:19], v[116:117], v[96:97]
	v_add_f64 v[14:15], v[14:15], v[18:19]
	v_fmac_f64_e32 v[20:21], v[244:245], v[100:101]
	v_add_f64 v[14:15], v[14:15], v[20:21]
	;; [unrolled: 2-line block ×3, first 2 shown]
	v_add_f64 v[14:15], v[14:15], v[24:25]
	v_fmac_f64_e32 v[28:29], v[8:9], v[126:127]
	v_add_f64 v[14:15], v[14:15], v[26:27]
	v_add_f64 v[18:19], v[14:15], v[28:29]
	ds_read_b128 v[14:17], v1 offset:1312
	s_waitcnt lgkmcnt(1)
	v_mul_f64 v[20:21], v[2:3], v[124:125]
	v_fmac_f64_e32 v[20:21], v[4:5], v[128:129]
	v_add_f64 v[22:23], v[18:19], v[20:21]
	ds_read_b128 v[18:21], v1 offset:1328
	s_waitcnt lgkmcnt(1)
	v_mul_f64 v[24:25], v[14:15], v[134:135]
	v_fmac_f64_e32 v[24:25], v[16:17], v[136:137]
	;; [unrolled: 5-line block ×5, first 2 shown]
	v_add_f64 v[38:39], v[34:35], v[36:37]
	ds_read_b128 v[34:37], v1 offset:1392
	s_waitcnt vmcnt(58) lgkmcnt(1)
	v_mul_f64 v[40:41], v[30:31], v[162:163]
	s_waitcnt vmcnt(56)
	v_fmac_f64_e32 v[40:41], v[32:33], v[166:167]
	v_add_f64 v[42:43], v[38:39], v[40:41]
	ds_read_b128 v[38:41], v1 offset:1408
	s_waitcnt lgkmcnt(1)
	v_mul_f64 v[44:45], v[34:35], v[142:143]
	v_fmac_f64_e32 v[44:45], v[36:37], v[148:149]
	v_add_f64 v[46:47], v[42:43], v[44:45]
	ds_read_b128 v[42:45], v1 offset:1424
	s_waitcnt vmcnt(50) lgkmcnt(1)
	v_mul_f64 v[48:49], v[38:39], v[170:171]
	s_waitcnt vmcnt(48)
	v_fmac_f64_e32 v[48:49], v[40:41], v[174:175]
	v_add_f64 v[50:51], v[46:47], v[48:49]
	ds_read_b128 v[46:49], v1 offset:1440
	buffer_load_dword v211, off, s[0:3], 0 offset:796
	buffer_load_dword v210, off, s[0:3], 0 offset:792
	;; [unrolled: 1-line block ×8, first 2 shown]
	s_waitcnt lgkmcnt(1)
	v_mul_f64 v[52:53], v[42:43], v[150:151]
	v_fmac_f64_e32 v[52:53], v[44:45], v[152:153]
	v_add_f64 v[54:55], v[50:51], v[52:53]
	ds_read_b128 v[50:53], v1 offset:1456
	s_waitcnt vmcnt(50) lgkmcnt(1)
	v_mul_f64 v[56:57], v[46:47], v[178:179]
	s_waitcnt vmcnt(48)
	v_fmac_f64_e32 v[56:57], v[48:49], v[182:183]
	buffer_load_dword v215, off, s[0:3], 0 offset:844
	buffer_load_dword v231, off, s[0:3], 0 offset:828
	;; [unrolled: 1-line block ×12, first 2 shown]
	v_add_f64 v[58:59], v[54:55], v[56:57]
	ds_read_b128 v[54:57], v1 offset:1472
	s_waitcnt lgkmcnt(1)
	v_mul_f64 v[60:61], v[50:51], v[154:155]
	v_fmac_f64_e32 v[60:61], v[52:53], v[156:157]
	v_add_f64 v[62:63], v[58:59], v[60:61]
	ds_read_b128 v[58:61], v1 offset:1488
	s_waitcnt vmcnt(54) lgkmcnt(1)
	v_mul_f64 v[64:65], v[54:55], v[186:187]
	s_waitcnt vmcnt(52)
	v_fmac_f64_e32 v[64:65], v[56:57], v[190:191]
	v_add_f64 v[66:67], v[62:63], v[64:65]
	ds_read_b128 v[62:65], v1 offset:1504
	s_waitcnt lgkmcnt(1)
	v_mul_f64 v[68:69], v[58:59], v[158:159]
	v_fmac_f64_e32 v[68:69], v[60:61], v[160:161]
	v_add_f64 v[70:71], v[66:67], v[68:69]
	ds_read_b128 v[66:69], v1 offset:1520
	s_waitcnt vmcnt(46) lgkmcnt(1)
	v_mul_f64 v[72:73], v[62:63], v[194:195]
	s_waitcnt vmcnt(44)
	v_fmac_f64_e32 v[72:73], v[64:65], v[196:197]
	v_add_f64 v[78:79], v[70:71], v[72:73]
	ds_read_b128 v[70:73], v1 offset:1536
	ds_read_b128 v[74:77], v1 offset:1552
	s_waitcnt lgkmcnt(2)
	v_mul_f64 v[80:81], v[66:67], v[164:165]
	v_fmac_f64_e32 v[80:81], v[68:69], v[168:169]
	v_add_f64 v[78:79], v[78:79], v[80:81]
	s_waitcnt vmcnt(38) lgkmcnt(1)
	v_mul_f64 v[80:81], v[70:71], v[198:199]
	s_waitcnt vmcnt(36)
	v_fmac_f64_e32 v[80:81], v[72:73], v[200:201]
	v_add_f64 v[78:79], v[78:79], v[80:81]
	s_waitcnt lgkmcnt(0)
	v_mul_f64 v[80:81], v[74:75], v[172:173]
	v_fmac_f64_e32 v[80:81], v[76:77], v[176:177]
	v_add_f64 v[216:217], v[78:79], v[80:81]
	ds_read_b128 v[78:81], v1 offset:1568
	ds_read_b128 v[82:85], v1 offset:1584
	;; [unrolled: 1-line block ×3, first 2 shown]
	v_fma_f64 v[222:223], v[242:243], v[100:101], -v[98:99]
	ds_read_b128 v[98:101], v1 offset:1648
	s_waitcnt vmcnt(30) lgkmcnt(3)
	v_mul_f64 v[90:91], v[78:79], v[202:203]
	s_waitcnt vmcnt(28)
	v_fmac_f64_e32 v[90:91], v[80:81], v[204:205]
	s_waitcnt lgkmcnt(2)
	v_mul_f64 v[92:93], v[82:83], v[180:181]
	v_add_f64 v[90:91], v[216:217], v[90:91]
	v_fmac_f64_e32 v[92:93], v[84:85], v[184:185]
	v_add_f64 v[90:91], v[90:91], v[92:93]
	v_fma_f64 v[216:217], v[114:115], v[96:97], -v[94:95]
	ds_read_b128 v[94:97], v1 offset:1632
	s_waitcnt vmcnt(22) lgkmcnt(2)
	v_mul_f64 v[92:93], v[86:87], v[206:207]
	s_waitcnt vmcnt(20)
	v_fmac_f64_e32 v[92:93], v[88:89], v[208:209]
	v_add_f64 v[106:107], v[90:91], v[92:93]
	ds_read_b128 v[90:93], v1 offset:1616
	buffer_load_dword v240, off, s[0:3], 0 offset:872
	v_fma_f64 v[224:225], v[246:247], v[104:105], -v[102:103]
	ds_read_b128 v[102:105], v1 offset:1664
	v_fma_f64 v[250:251], v[250:251], v[112:113], -v[110:111]
	s_waitcnt lgkmcnt(1)
	v_mul_f64 v[108:109], v[90:91], v[188:189]
	v_fmac_f64_e32 v[108:109], v[92:93], v[192:193]
	v_add_f64 v[106:107], v[106:107], v[108:109]
	ds_read_b128 v[110:113], v1 offset:1696
	v_add_f64 v[218:219], v[218:219], 0
	v_add_f64 v[218:219], v[218:219], v[220:221]
	;; [unrolled: 1-line block ×5, first 2 shown]
	v_mul_f64 v[12:13], v[12:13], v[118:119]
	v_add_f64 v[216:217], v[252:253], v[250:251]
	v_fma_f64 v[10:11], v[10:11], v[120:121], -v[12:13]
	v_mul_f64 v[8:9], v[8:9], v[122:123]
	v_add_f64 v[10:11], v[216:217], v[10:11]
	v_fma_f64 v[6:7], v[6:7], v[126:127], -v[8:9]
	;; [unrolled: 3-line block ×3, first 2 shown]
	v_mul_f64 v[4:5], v[16:17], v[134:135]
	v_add_f64 v[2:3], v[6:7], v[2:3]
	s_waitcnt vmcnt(19)
	v_mul_f64 v[108:109], v[94:95], v[210:211]
	v_fma_f64 v[4:5], v[14:15], v[136:137], -v[4:5]
	s_waitcnt vmcnt(17)
	v_fmac_f64_e32 v[108:109], v[96:97], v[212:213]
	v_add_f64 v[106:107], v[106:107], v[108:109]
	s_waitcnt vmcnt(15)
	v_mul_f64 v[108:109], v[98:99], v[226:227]
	s_waitcnt vmcnt(13)
	v_fmac_f64_e32 v[108:109], v[100:101], v[228:229]
	v_add_f64 v[114:115], v[106:107], v[108:109]
	ds_read_b128 v[106:109], v1 offset:1680
	buffer_load_dword v244, off, s[0:3], 0 offset:864
	buffer_load_dword v241, off, s[0:3], 0 offset:876
	;; [unrolled: 1-line block ×3, first 2 shown]
	s_waitcnt vmcnt(13) lgkmcnt(2)
	v_mul_f64 v[116:117], v[102:103], v[230:231]
	s_waitcnt vmcnt(11)
	v_fmac_f64_e32 v[116:117], v[104:105], v[236:237]
	v_add_f64 v[114:115], v[114:115], v[116:117]
	s_waitcnt vmcnt(10) lgkmcnt(0)
	v_mul_f64 v[116:117], v[106:107], v[214:215]
	s_waitcnt vmcnt(8)
	v_fmac_f64_e32 v[116:117], v[108:109], v[234:235]
	v_add_f64 v[114:115], v[114:115], v[116:117]
	s_waitcnt vmcnt(6)
	v_mul_f64 v[116:117], v[110:111], v[232:233]
	s_waitcnt vmcnt(4)
	v_fmac_f64_e32 v[116:117], v[112:113], v[238:239]
	v_add_f64 v[242:243], v[114:115], v[116:117]
	ds_read_b128 v[114:117], v1 offset:1712
	buffer_load_dword v248, off, s[0:3], 0 offset:304
	buffer_load_dword v249, off, s[0:3], 0 offset:308
	v_add_f64 v[2:3], v[2:3], v[4:5]
	v_mul_f64 v[4:5], v[20:21], v[130:131]
	v_fma_f64 v[4:5], v[18:19], v[132:133], -v[4:5]
	v_add_f64 v[2:3], v[2:3], v[4:5]
	v_mul_f64 v[4:5], v[24:25], v[144:145]
	v_fma_f64 v[4:5], v[22:23], v[146:147], -v[4:5]
	;; [unrolled: 3-line block ×22, first 2 shown]
	v_add_f64 v[2:3], v[2:3], v[4:5]
	s_waitcnt vmcnt(3) lgkmcnt(0)
	v_mul_f64 v[246:247], v[114:115], v[240:241]
	s_waitcnt vmcnt(2)
	v_fmac_f64_e32 v[246:247], v[116:117], v[244:245]
	v_add_f64 v[242:243], v[242:243], v[246:247]
	buffer_load_dword v246, off, s[0:3], 0 offset:312
	buffer_load_dword v247, off, s[0:3], 0 offset:316
	v_mul_f64 v[4:5], v[108:109], v[214:215]
	v_fma_f64 v[4:5], v[106:107], v[234:235], -v[4:5]
	v_add_f64 v[2:3], v[2:3], v[4:5]
	v_mul_f64 v[4:5], v[112:113], v[232:233]
	v_fma_f64 v[4:5], v[110:111], v[238:239], -v[4:5]
	v_add_f64 v[2:3], v[2:3], v[4:5]
	;; [unrolled: 3-line block ×3, first 2 shown]
	s_waitcnt vmcnt(2)
	v_add_f64 v[2:3], v[248:249], -v[2:3]
	s_waitcnt vmcnt(0)
	v_add_f64 v[4:5], v[246:247], -v[242:243]
	buffer_store_dword v3, off, s[0:3], 0 offset:308
	buffer_store_dword v2, off, s[0:3], 0 offset:304
	;; [unrolled: 1-line block ×4, first 2 shown]
	s_and_saveexec_b64 s[4:5], vcc
	s_cbranch_execz .LBB117_303
; %bb.302:
	v_accvgpr_read_b32 v5, a144
	buffer_load_dword v2, v5, s[0:3], 0 offen
	buffer_load_dword v3, v5, s[0:3], 0 offen offset:4
	buffer_load_dword v4, v5, s[0:3], 0 offen offset:8
	s_nop 0
	buffer_load_dword v5, v5, s[0:3], 0 offen offset:12
	v_accvgpr_read_b32 v6, a161
	buffer_store_dword v1, off, s[0:3], 0 offset:288
	buffer_store_dword v1, off, s[0:3], 0 offset:292
	;; [unrolled: 1-line block ×4, first 2 shown]
	s_waitcnt vmcnt(4)
	ds_write_b128 v6, v[2:5]
.LBB117_303:
	s_or_b64 exec, exec, s[4:5]
	s_waitcnt lgkmcnt(0)
	; wave barrier
	s_waitcnt lgkmcnt(0)
	buffer_load_dword v84, off, s[0:3], 0 offset:304
	buffer_load_dword v85, off, s[0:3], 0 offset:308
	;; [unrolled: 1-line block ×34, first 2 shown]
	ds_read_b128 v[74:77], v1 offset:1152
	ds_read_b128 v[78:81], v1 offset:1168
	;; [unrolled: 1-line block ×8, first 2 shown]
	buffer_load_dword v125, off, s[0:3], 0 offset:420
	buffer_load_dword v124, off, s[0:3], 0 offset:416
	ds_read_b128 v[6:9], v1 offset:1280
	buffer_load_dword v127, off, s[0:3], 0 offset:476
	buffer_load_dword v126, off, s[0:3], 0 offset:472
	;; [unrolled: 1-line block ×80, first 2 shown]
	v_cmp_lt_u32_e32 vcc, 16, v0
	s_waitcnt vmcnt(62) lgkmcnt(8)
	v_mul_f64 v[10:11], v[74:75], v[106:107]
	v_fmac_f64_e32 v[10:11], v[76:77], v[84:85]
	v_add_f64 v[10:11], v[10:11], 0
	v_mul_f64 v[76:77], v[76:77], v[106:107]
	s_waitcnt lgkmcnt(7)
	v_mul_f64 v[12:13], v[78:79], v[96:97]
	v_fmac_f64_e32 v[12:13], v[80:81], v[82:83]
	s_waitcnt lgkmcnt(6)
	v_mul_f64 v[14:15], v[86:87], v[94:95]
	v_add_f64 v[10:11], v[10:11], v[12:13]
	s_waitcnt lgkmcnt(4)
	v_mul_f64 v[18:19], v[98:99], v[108:109]
	v_fma_f64 v[218:219], v[74:75], v[84:85], -v[76:77]
	v_fmac_f64_e32 v[18:19], v[100:101], v[114:115]
	v_mul_f64 v[80:81], v[80:81], v[96:97]
	v_mul_f64 v[16:17], v[90:91], v[116:117]
	v_fma_f64 v[220:221], v[78:79], v[82:83], -v[80:81]
	s_waitcnt lgkmcnt(2)
	v_mul_f64 v[22:23], v[110:111], v[240:241]
	v_mul_f64 v[100:101], v[100:101], v[108:109]
	v_fma_f64 v[224:225], v[98:99], v[114:115], -v[100:101]
	v_mul_f64 v[20:21], v[102:103], v[244:245]
	v_add_f64 v[218:219], v[218:219], 0
	s_waitcnt lgkmcnt(1)
	v_mul_f64 v[24:25], v[2:3], v[118:119]
	v_add_f64 v[218:219], v[218:219], v[220:221]
	v_fmac_f64_e32 v[14:15], v[88:89], v[250:251]
	v_add_f64 v[10:11], v[10:11], v[14:15]
	v_fmac_f64_e32 v[16:17], v[92:93], v[248:249]
	;; [unrolled: 2-line block ×4, first 2 shown]
	v_add_f64 v[10:11], v[10:11], v[20:21]
	v_add_f64 v[10:11], v[10:11], v[22:23]
	s_waitcnt lgkmcnt(0)
	v_mul_f64 v[16:17], v[6:7], v[120:121]
	v_fmac_f64_e32 v[16:17], v[8:9], v[122:123]
	v_fmac_f64_e32 v[24:25], v[4:5], v[124:125]
	v_add_f64 v[14:15], v[10:11], v[24:25]
	ds_read_b128 v[10:13], v1 offset:1296
	v_add_f64 v[18:19], v[14:15], v[16:17]
	ds_read_b128 v[14:17], v1 offset:1312
	v_mul_f64 v[88:89], v[88:89], v[94:95]
	v_mul_f64 v[92:93], v[92:93], v[116:117]
	s_waitcnt lgkmcnt(1)
	v_mul_f64 v[20:21], v[10:11], v[130:131]
	v_fmac_f64_e32 v[20:21], v[12:13], v[132:133]
	s_waitcnt lgkmcnt(0)
	v_mul_f64 v[24:25], v[14:15], v[126:127]
	v_add_f64 v[22:23], v[18:19], v[20:21]
	ds_read_b128 v[18:21], v1 offset:1328
	v_fmac_f64_e32 v[24:25], v[16:17], v[128:129]
	v_add_f64 v[26:27], v[22:23], v[24:25]
	ds_read_b128 v[22:25], v1 offset:1344
	v_fma_f64 v[222:223], v[90:91], v[248:249], -v[92:93]
	s_waitcnt lgkmcnt(1)
	v_mul_f64 v[28:29], v[18:19], v[142:143]
	v_fmac_f64_e32 v[28:29], v[20:21], v[144:145]
	v_add_f64 v[30:31], v[26:27], v[28:29]
	s_waitcnt lgkmcnt(0)
	v_mul_f64 v[32:33], v[22:23], v[134:135]
	ds_read_b128 v[26:29], v1 offset:1360
	v_fmac_f64_e32 v[32:33], v[24:25], v[136:137]
	v_add_f64 v[34:35], v[30:31], v[32:33]
	ds_read_b128 v[30:33], v1 offset:1376
	v_mul_f64 v[104:105], v[104:105], v[244:245]
	s_waitcnt vmcnt(58) lgkmcnt(1)
	v_mul_f64 v[36:37], v[26:27], v[158:159]
	s_waitcnt vmcnt(56)
	v_fmac_f64_e32 v[36:37], v[28:29], v[162:163]
	v_add_f64 v[38:39], v[34:35], v[36:37]
	s_waitcnt lgkmcnt(0)
	v_mul_f64 v[40:41], v[30:31], v[138:139]
	ds_read_b128 v[34:37], v1 offset:1392
	v_fmac_f64_e32 v[40:41], v[32:33], v[140:141]
	v_add_f64 v[42:43], v[38:39], v[40:41]
	ds_read_b128 v[38:41], v1 offset:1408
	v_mul_f64 v[112:113], v[112:113], v[240:241]
	s_waitcnt vmcnt(50) lgkmcnt(1)
	v_mul_f64 v[44:45], v[34:35], v[166:167]
	s_waitcnt vmcnt(48)
	v_fmac_f64_e32 v[44:45], v[36:37], v[170:171]
	v_add_f64 v[46:47], v[42:43], v[44:45]
	s_waitcnt lgkmcnt(0)
	v_mul_f64 v[48:49], v[38:39], v[146:147]
	v_fmac_f64_e32 v[48:49], v[40:41], v[148:149]
	ds_read_b128 v[42:45], v1 offset:1424
	v_add_f64 v[50:51], v[46:47], v[48:49]
	ds_read_b128 v[46:49], v1 offset:1440
	buffer_load_dword v207, off, s[0:3], 0 offset:796
	buffer_load_dword v209, off, s[0:3], 0 offset:780
	;; [unrolled: 1-line block ×12, first 2 shown]
	v_fma_f64 v[252:253], v[110:111], v[242:243], -v[112:113]
	s_waitcnt vmcnt(54) lgkmcnt(1)
	v_mul_f64 v[52:53], v[42:43], v[174:175]
	s_waitcnt vmcnt(52)
	v_fmac_f64_e32 v[52:53], v[44:45], v[178:179]
	v_add_f64 v[54:55], v[50:51], v[52:53]
	ds_read_b128 v[50:53], v1 offset:1456
	s_waitcnt lgkmcnt(1)
	v_mul_f64 v[56:57], v[46:47], v[150:151]
	v_fmac_f64_e32 v[56:57], v[48:49], v[152:153]
	buffer_load_dword v231, off, s[0:3], 0 offset:828
	buffer_load_dword v230, off, s[0:3], 0 offset:824
	;; [unrolled: 1-line block ×12, first 2 shown]
	v_add_f64 v[58:59], v[54:55], v[56:57]
	ds_read_b128 v[54:57], v1 offset:1472
	s_waitcnt vmcnt(58) lgkmcnt(1)
	v_mul_f64 v[60:61], v[50:51], v[182:183]
	s_waitcnt vmcnt(56)
	v_fmac_f64_e32 v[60:61], v[52:53], v[186:187]
	v_add_f64 v[62:63], v[58:59], v[60:61]
	ds_read_b128 v[58:61], v1 offset:1488
	s_waitcnt lgkmcnt(1)
	v_mul_f64 v[64:65], v[54:55], v[154:155]
	v_fmac_f64_e32 v[64:65], v[56:57], v[156:157]
	v_add_f64 v[70:71], v[62:63], v[64:65]
	ds_read_b128 v[62:65], v1 offset:1504
	ds_read_b128 v[66:69], v1 offset:1520
	s_waitcnt vmcnt(50) lgkmcnt(2)
	v_mul_f64 v[72:73], v[58:59], v[190:191]
	s_waitcnt vmcnt(48)
	v_fmac_f64_e32 v[72:73], v[60:61], v[192:193]
	v_add_f64 v[70:71], v[70:71], v[72:73]
	s_waitcnt lgkmcnt(1)
	v_mul_f64 v[72:73], v[62:63], v[160:161]
	v_fmac_f64_e32 v[72:73], v[64:65], v[164:165]
	v_add_f64 v[70:71], v[70:71], v[72:73]
	s_waitcnt vmcnt(42) lgkmcnt(0)
	v_mul_f64 v[72:73], v[66:67], v[194:195]
	s_waitcnt vmcnt(40)
	v_fmac_f64_e32 v[72:73], v[68:69], v[196:197]
	v_add_f64 v[216:217], v[70:71], v[72:73]
	ds_read_b128 v[70:73], v1 offset:1536
	ds_read_b128 v[74:77], v1 offset:1552
	;; [unrolled: 1-line block ×5, first 2 shown]
	s_waitcnt lgkmcnt(4)
	v_mul_f64 v[84:85], v[70:71], v[168:169]
	v_fmac_f64_e32 v[84:85], v[72:73], v[172:173]
	v_add_f64 v[82:83], v[216:217], v[84:85]
	s_waitcnt vmcnt(34) lgkmcnt(3)
	v_mul_f64 v[84:85], v[74:75], v[198:199]
	s_waitcnt vmcnt(32)
	v_fmac_f64_e32 v[84:85], v[76:77], v[200:201]
	v_add_f64 v[82:83], v[82:83], v[84:85]
	v_fma_f64 v[216:217], v[86:87], v[250:251], -v[88:89]
	ds_read_b128 v[86:89], v1 offset:1600
	s_waitcnt lgkmcnt(3)
	v_mul_f64 v[84:85], v[78:79], v[176:177]
	v_fmac_f64_e32 v[84:85], v[80:81], v[180:181]
	v_add_f64 v[96:97], v[82:83], v[84:85]
	ds_read_b128 v[82:85], v1 offset:1584
	v_fma_f64 v[250:251], v[102:103], v[246:247], -v[104:105]
	ds_read_b128 v[110:113], v1 offset:1696
	v_add_f64 v[216:217], v[218:219], v[216:217]
	v_add_f64 v[216:217], v[216:217], v[222:223]
	s_waitcnt vmcnt(26) lgkmcnt(1)
	v_mul_f64 v[94:95], v[82:83], v[202:203]
	s_waitcnt vmcnt(24)
	v_fmac_f64_e32 v[94:95], v[84:85], v[204:205]
	v_add_f64 v[94:95], v[96:97], v[94:95]
	v_mul_f64 v[96:97], v[86:87], v[184:185]
	v_fmac_f64_e32 v[96:97], v[88:89], v[188:189]
	v_add_f64 v[106:107], v[94:95], v[96:97]
	ds_read_b128 v[94:97], v1 offset:1632
	v_add_f64 v[254:255], v[216:217], v[224:225]
	v_add_f64 v[216:217], v[254:255], v[250:251]
	v_mul_f64 v[4:5], v[4:5], v[118:119]
	v_add_f64 v[216:217], v[216:217], v[252:253]
	ds_read_b128 v[102:105], v1 offset:1680
	v_fma_f64 v[2:3], v[2:3], v[124:125], -v[4:5]
	v_mul_f64 v[4:5], v[8:9], v[120:121]
	v_add_f64 v[2:3], v[216:217], v[2:3]
	v_fma_f64 v[4:5], v[6:7], v[122:123], -v[4:5]
	v_add_f64 v[2:3], v[2:3], v[4:5]
	v_mul_f64 v[4:5], v[12:13], v[130:131]
	v_fma_f64 v[4:5], v[10:11], v[132:133], -v[4:5]
	v_add_f64 v[2:3], v[2:3], v[4:5]
	v_mul_f64 v[4:5], v[16:17], v[126:127]
	s_waitcnt vmcnt(21)
	v_mul_f64 v[108:109], v[90:91], v[208:209]
	v_fma_f64 v[4:5], v[14:15], v[128:129], -v[4:5]
	s_waitcnt vmcnt(19)
	v_fmac_f64_e32 v[108:109], v[92:93], v[214:215]
	v_add_f64 v[106:107], v[106:107], v[108:109]
	s_waitcnt vmcnt(18) lgkmcnt(1)
	v_mul_f64 v[108:109], v[94:95], v[206:207]
	s_waitcnt vmcnt(16)
	v_fmac_f64_e32 v[108:109], v[96:97], v[212:213]
	v_add_f64 v[114:115], v[106:107], v[108:109]
	ds_read_b128 v[106:109], v1 offset:1664
	buffer_load_dword v243, off, s[0:3], 0 offset:876
	buffer_load_dword v242, off, s[0:3], 0 offset:872
	;; [unrolled: 1-line block ×4, first 2 shown]
	s_waitcnt vmcnt(18)
	v_mul_f64 v[116:117], v[98:99], v[210:211]
	s_waitcnt vmcnt(16)
	v_fmac_f64_e32 v[116:117], v[100:101], v[226:227]
	v_add_f64 v[114:115], v[114:115], v[116:117]
	s_waitcnt vmcnt(14) lgkmcnt(0)
	v_mul_f64 v[116:117], v[106:107], v[230:231]
	s_waitcnt vmcnt(12)
	v_fmac_f64_e32 v[116:117], v[108:109], v[232:233]
	v_add_f64 v[114:115], v[114:115], v[116:117]
	s_waitcnt vmcnt(9)
	v_mul_f64 v[116:117], v[102:103], v[236:237]
	s_waitcnt vmcnt(7)
	v_fmac_f64_e32 v[116:117], v[104:105], v[238:239]
	v_add_f64 v[114:115], v[114:115], v[116:117]
	s_waitcnt vmcnt(5)
	v_mul_f64 v[116:117], v[110:111], v[228:229]
	s_waitcnt vmcnt(4)
	v_fmac_f64_e32 v[116:117], v[112:113], v[234:235]
	v_add_f64 v[240:241], v[114:115], v[116:117]
	ds_read_b128 v[114:117], v1 offset:1712
	v_add_f64 v[2:3], v[2:3], v[4:5]
	v_mul_f64 v[4:5], v[20:21], v[142:143]
	v_fma_f64 v[4:5], v[18:19], v[144:145], -v[4:5]
	v_add_f64 v[2:3], v[2:3], v[4:5]
	v_mul_f64 v[4:5], v[24:25], v[134:135]
	v_fma_f64 v[4:5], v[22:23], v[136:137], -v[4:5]
	;; [unrolled: 3-line block ×21, first 2 shown]
	v_add_f64 v[2:3], v[2:3], v[4:5]
	s_waitcnt vmcnt(2) lgkmcnt(0)
	v_mul_f64 v[246:247], v[114:115], v[242:243]
	v_mul_f64 v[4:5], v[108:109], v[230:231]
	s_waitcnt vmcnt(0)
	v_fmac_f64_e32 v[246:247], v[116:117], v[244:245]
	v_add_f64 v[240:241], v[240:241], v[246:247]
	buffer_load_dword v248, off, s[0:3], 0 offset:288
	buffer_load_dword v249, off, s[0:3], 0 offset:292
	;; [unrolled: 1-line block ×4, first 2 shown]
	v_fma_f64 v[4:5], v[106:107], v[232:233], -v[4:5]
	v_add_f64 v[2:3], v[2:3], v[4:5]
	v_mul_f64 v[4:5], v[104:105], v[236:237]
	v_fma_f64 v[4:5], v[102:103], v[238:239], -v[4:5]
	v_add_f64 v[2:3], v[2:3], v[4:5]
	v_mul_f64 v[4:5], v[112:113], v[228:229]
	;; [unrolled: 3-line block ×3, first 2 shown]
	v_fma_f64 v[4:5], v[114:115], v[244:245], -v[4:5]
	v_add_f64 v[2:3], v[2:3], v[4:5]
	s_waitcnt vmcnt(2)
	v_add_f64 v[2:3], v[248:249], -v[2:3]
	s_waitcnt vmcnt(0)
	v_add_f64 v[4:5], v[246:247], -v[240:241]
	buffer_store_dword v3, off, s[0:3], 0 offset:292
	buffer_store_dword v2, off, s[0:3], 0 offset:288
	;; [unrolled: 1-line block ×4, first 2 shown]
	s_and_saveexec_b64 s[4:5], vcc
	s_cbranch_execz .LBB117_305
; %bb.304:
	v_accvgpr_read_b32 v1, a145
	buffer_load_dword v2, v1, s[0:3], 0 offen
	buffer_load_dword v3, v1, s[0:3], 0 offen offset:4
	buffer_load_dword v4, v1, s[0:3], 0 offen offset:8
	;; [unrolled: 1-line block ×3, first 2 shown]
	v_mov_b32_e32 v1, 0
	v_accvgpr_read_b32 v6, a161
	buffer_store_dword v1, off, s[0:3], 0 offset:272
	buffer_store_dword v1, off, s[0:3], 0 offset:276
	;; [unrolled: 1-line block ×4, first 2 shown]
	s_waitcnt vmcnt(4)
	ds_write_b128 v6, v[2:5]
.LBB117_305:
	s_or_b64 exec, exec, s[4:5]
	s_waitcnt lgkmcnt(0)
	; wave barrier
	s_waitcnt lgkmcnt(0)
	buffer_load_dword v66, off, s[0:3], 0 offset:288
	buffer_load_dword v67, off, s[0:3], 0 offset:292
	;; [unrolled: 1-line block ×55, first 2 shown]
	v_mov_b32_e32 v1, 0
	ds_read_b128 v[74:77], v1 offset:1136
	ds_read_b128 v[86:89], v1 offset:1152
	ds_read_b128 v[98:101], v1 offset:1168
	ds_read_b128 v[110:113], v1 offset:1184
	ds_read_b128 v[114:117], v1 offset:1200
	ds_read_b128 v[240:243], v1 offset:1216
	ds_read_b128 v[244:247], v1 offset:1232
	ds_read_b128 v[248:251], v1 offset:1248
	ds_read_b128 v[2:5], v1 offset:1264
	buffer_load_dword v136, off, s[0:3], 0 offset:512
	buffer_load_dword v155, off, s[0:3], 0 offset:508
	;; [unrolled: 1-line block ×61, first 2 shown]
	v_cmp_lt_u32_e32 vcc, 15, v0
	s_waitcnt vmcnt(62) lgkmcnt(8)
	v_mul_f64 v[6:7], v[74:75], v[68:69]
	v_fmac_f64_e32 v[6:7], v[76:77], v[66:67]
	v_add_f64 v[6:7], v[6:7], 0
	v_mul_f64 v[68:69], v[76:77], v[68:69]
	s_waitcnt lgkmcnt(7)
	v_mul_f64 v[8:9], v[86:87], v[72:73]
	v_fmac_f64_e32 v[8:9], v[88:89], v[70:71]
	s_waitcnt lgkmcnt(6)
	v_mul_f64 v[10:11], v[98:99], v[78:79]
	v_add_f64 v[6:7], v[6:7], v[8:9]
	s_waitcnt lgkmcnt(4)
	v_mul_f64 v[14:15], v[114:115], v[90:91]
	v_fma_f64 v[218:219], v[74:75], v[66:67], -v[68:69]
	v_fmac_f64_e32 v[14:15], v[116:117], v[92:93]
	v_mul_f64 v[72:73], v[88:89], v[72:73]
	v_mul_f64 v[12:13], v[110:111], v[82:83]
	;; [unrolled: 1-line block ×3, first 2 shown]
	s_waitcnt lgkmcnt(2)
	v_mul_f64 v[18:19], v[244:245], v[102:103]
	v_mul_f64 v[82:83], v[112:113], v[82:83]
	;; [unrolled: 1-line block ×4, first 2 shown]
	v_fma_f64 v[224:225], v[114:115], v[92:93], -v[90:91]
	s_waitcnt lgkmcnt(1)
	v_mul_f64 v[20:21], v[248:249], v[106:107]
	v_fmac_f64_e32 v[20:21], v[250:251], v[108:109]
	v_fmac_f64_e32 v[10:11], v[100:101], v[80:81]
	v_add_f64 v[6:7], v[6:7], v[10:11]
	v_fmac_f64_e32 v[12:13], v[112:113], v[84:85]
	v_add_f64 v[6:7], v[6:7], v[12:13]
	;; [unrolled: 2-line block ×4, first 2 shown]
	v_add_f64 v[6:7], v[6:7], v[18:19]
	v_add_f64 v[10:11], v[6:7], v[20:21]
	ds_read_b128 v[6:9], v1 offset:1280
	s_waitcnt lgkmcnt(1)
	v_mul_f64 v[12:13], v[2:3], v[118:119]
	v_fmac_f64_e32 v[12:13], v[4:5], v[120:121]
	v_add_f64 v[14:15], v[10:11], v[12:13]
	ds_read_b128 v[10:13], v1 offset:1296
	s_waitcnt lgkmcnt(1)
	v_mul_f64 v[16:17], v[6:7], v[126:127]
	v_fmac_f64_e32 v[16:17], v[8:9], v[128:129]
	;; [unrolled: 5-line block ×5, first 2 shown]
	v_add_f64 v[30:31], v[26:27], v[28:29]
	ds_read_b128 v[26:29], v1 offset:1360
	s_waitcnt vmcnt(58) lgkmcnt(1)
	v_mul_f64 v[32:33], v[22:23], v[154:155]
	s_waitcnt vmcnt(56)
	v_fmac_f64_e32 v[32:33], v[24:25], v[158:159]
	v_add_f64 v[34:35], v[30:31], v[32:33]
	ds_read_b128 v[30:33], v1 offset:1376
	s_waitcnt lgkmcnt(1)
	v_mul_f64 v[36:37], v[26:27], v[134:135]
	v_fmac_f64_e32 v[36:37], v[28:29], v[136:137]
	v_add_f64 v[38:39], v[34:35], v[36:37]
	ds_read_b128 v[34:37], v1 offset:1392
	s_waitcnt vmcnt(50) lgkmcnt(1)
	v_mul_f64 v[40:41], v[30:31], v[162:163]
	s_waitcnt vmcnt(48)
	v_fmac_f64_e32 v[40:41], v[32:33], v[166:167]
	v_add_f64 v[42:43], v[38:39], v[40:41]
	ds_read_b128 v[38:41], v1 offset:1408
	s_waitcnt lgkmcnt(1)
	v_mul_f64 v[44:45], v[34:35], v[142:143]
	v_fmac_f64_e32 v[44:45], v[36:37], v[144:145]
	v_add_f64 v[46:47], v[42:43], v[44:45]
	ds_read_b128 v[42:45], v1 offset:1424
	s_waitcnt vmcnt(42) lgkmcnt(1)
	v_mul_f64 v[48:49], v[38:39], v[170:171]
	s_waitcnt vmcnt(40)
	v_fmac_f64_e32 v[48:49], v[40:41], v[174:175]
	v_add_f64 v[50:51], v[46:47], v[48:49]
	ds_read_b128 v[46:49], v1 offset:1440
	buffer_load_dword v203, off, s[0:3], 0 offset:764
	buffer_load_dword v202, off, s[0:3], 0 offset:760
	;; [unrolled: 1-line block ×4, first 2 shown]
	s_waitcnt lgkmcnt(1)
	v_mul_f64 v[52:53], v[42:43], v[146:147]
	v_fmac_f64_e32 v[52:53], v[44:45], v[148:149]
	v_add_f64 v[54:55], v[50:51], v[52:53]
	ds_read_b128 v[50:53], v1 offset:1456
	buffer_load_dword v207, off, s[0:3], 0 offset:780
	buffer_load_dword v206, off, s[0:3], 0 offset:776
	;; [unrolled: 1-line block ×8, first 2 shown]
	s_waitcnt vmcnt(46) lgkmcnt(1)
	v_mul_f64 v[56:57], v[46:47], v[178:179]
	s_waitcnt vmcnt(44)
	v_fmac_f64_e32 v[56:57], v[48:49], v[182:183]
	v_add_f64 v[58:59], v[54:55], v[56:57]
	ds_read_b128 v[54:57], v1 offset:1472
	buffer_load_dword v227, off, s[0:3], 0 offset:812
	buffer_load_dword v226, off, s[0:3], 0 offset:808
	buffer_load_dword v229, off, s[0:3], 0 offset:804
	buffer_load_dword v228, off, s[0:3], 0 offset:800
	buffer_load_dword v214, off, s[0:3], 0 offset:840
	buffer_load_dword v233, off, s[0:3], 0 offset:828
	buffer_load_dword v232, off, s[0:3], 0 offset:824
	buffer_load_dword v235, off, s[0:3], 0 offset:820
	buffer_load_dword v234, off, s[0:3], 0 offset:816
	buffer_load_dword v230, off, s[0:3], 0 offset:832
	buffer_load_dword v215, off, s[0:3], 0 offset:844
	buffer_load_dword v231, off, s[0:3], 0 offset:836
	s_waitcnt lgkmcnt(1)
	v_mul_f64 v[60:61], v[50:51], v[150:151]
	v_fmac_f64_e32 v[60:61], v[52:53], v[152:153]
	v_add_f64 v[62:63], v[58:59], v[60:61]
	ds_read_b128 v[58:61], v1 offset:1488
	s_waitcnt vmcnt(50) lgkmcnt(1)
	v_mul_f64 v[64:65], v[54:55], v[186:187]
	s_waitcnt vmcnt(48)
	v_fmac_f64_e32 v[64:65], v[56:57], v[188:189]
	v_add_f64 v[62:63], v[62:63], v[64:65]
	buffer_load_dword v237, off, s[0:3], 0 offset:860
	buffer_load_dword v236, off, s[0:3], 0 offset:856
	;; [unrolled: 1-line block ×4, first 2 shown]
	s_waitcnt lgkmcnt(0)
	v_mul_f64 v[64:65], v[58:59], v[156:157]
	v_fmac_f64_e32 v[64:65], v[60:61], v[160:161]
	v_add_f64 v[216:217], v[62:63], v[64:65]
	ds_read_b128 v[62:65], v1 offset:1504
	ds_read_b128 v[66:69], v1 offset:1520
	v_fma_f64 v[220:221], v[98:99], v[80:81], -v[78:79]
	ds_read_b128 v[78:81], v1 offset:1568
	v_fma_f64 v[222:223], v[110:111], v[84:85], -v[82:83]
	ds_read_b128 v[82:85], v1 offset:1584
	s_waitcnt vmcnt(46) lgkmcnt(3)
	v_mul_f64 v[74:75], v[62:63], v[190:191]
	s_waitcnt vmcnt(44)
	v_fmac_f64_e32 v[74:75], v[64:65], v[192:193]
	v_add_f64 v[74:75], v[216:217], v[74:75]
	v_fma_f64 v[216:217], v[86:87], v[70:71], -v[72:73]
	ds_read_b128 v[70:73], v1 offset:1536
	s_waitcnt lgkmcnt(3)
	v_mul_f64 v[76:77], v[66:67], v[164:165]
	v_fmac_f64_e32 v[76:77], v[68:69], v[168:169]
	v_add_f64 v[86:87], v[74:75], v[76:77]
	ds_read_b128 v[74:77], v1 offset:1552
	s_waitcnt vmcnt(38) lgkmcnt(1)
	v_mul_f64 v[88:89], v[70:71], v[194:195]
	s_waitcnt vmcnt(36)
	v_fmac_f64_e32 v[88:89], v[72:73], v[196:197]
	v_add_f64 v[86:87], v[86:87], v[88:89]
	ds_read_b128 v[90:93], v1 offset:1616
	s_waitcnt lgkmcnt(1)
	v_mul_f64 v[88:89], v[74:75], v[172:173]
	v_fmac_f64_e32 v[88:89], v[76:77], v[176:177]
	v_add_f64 v[86:87], v[86:87], v[88:89]
	s_waitcnt vmcnt(30)
	v_mul_f64 v[88:89], v[78:79], v[198:199]
	s_waitcnt vmcnt(28)
	v_fmac_f64_e32 v[88:89], v[80:81], v[200:201]
	v_add_f64 v[86:87], v[86:87], v[88:89]
	v_mul_f64 v[88:89], v[82:83], v[180:181]
	v_fmac_f64_e32 v[88:89], v[84:85], v[184:185]
	v_add_f64 v[98:99], v[86:87], v[88:89]
	ds_read_b128 v[86:89], v1 offset:1600
	v_mul_f64 v[94:95], v[242:243], v[94:95]
	v_fma_f64 v[252:253], v[240:241], v[96:97], -v[94:95]
	ds_read_b128 v[94:97], v1 offset:1632
	v_mul_f64 v[102:103], v[246:247], v[102:103]
	v_fma_f64 v[246:247], v[244:245], v[104:105], -v[102:103]
	;; [unrolled: 3-line block ×3, first 2 shown]
	v_add_f64 v[218:219], v[218:219], 0
	v_add_f64 v[216:217], v[218:219], v[216:217]
	;; [unrolled: 1-line block ×7, first 2 shown]
	v_mul_f64 v[4:5], v[4:5], v[118:119]
	v_add_f64 v[216:217], v[252:253], v[250:251]
	v_fma_f64 v[2:3], v[2:3], v[120:121], -v[4:5]
	v_mul_f64 v[4:5], v[8:9], v[126:127]
	v_add_f64 v[2:3], v[216:217], v[2:3]
	v_fma_f64 v[4:5], v[6:7], v[128:129], -v[4:5]
	v_add_f64 v[2:3], v[2:3], v[4:5]
	ds_read_b128 v[106:109], v1 offset:1680
	v_mul_f64 v[4:5], v[12:13], v[122:123]
	v_fma_f64 v[4:5], v[10:11], v[124:125], -v[4:5]
	v_add_f64 v[2:3], v[2:3], v[4:5]
	s_waitcnt vmcnt(26) lgkmcnt(3)
	v_mul_f64 v[100:101], v[86:87], v[202:203]
	v_mul_f64 v[4:5], v[16:17], v[138:139]
	s_waitcnt vmcnt(24)
	v_fmac_f64_e32 v[100:101], v[88:89], v[204:205]
	v_add_f64 v[98:99], v[98:99], v[100:101]
	s_waitcnt vmcnt(22)
	v_mul_f64 v[100:101], v[90:91], v[206:207]
	s_waitcnt vmcnt(20)
	v_fmac_f64_e32 v[100:101], v[92:93], v[210:211]
	v_add_f64 v[98:99], v[98:99], v[100:101]
	s_waitcnt vmcnt(18) lgkmcnt(2)
	v_mul_f64 v[100:101], v[94:95], v[208:209]
	s_waitcnt vmcnt(16)
	v_fmac_f64_e32 v[100:101], v[96:97], v[212:213]
	v_add_f64 v[110:111], v[98:99], v[100:101]
	ds_read_b128 v[98:101], v1 offset:1648
	v_fma_f64 v[4:5], v[14:15], v[140:141], -v[4:5]
	v_add_f64 v[2:3], v[2:3], v[4:5]
	v_mul_f64 v[4:5], v[20:21], v[130:131]
	v_fma_f64 v[4:5], v[18:19], v[132:133], -v[4:5]
	s_waitcnt vmcnt(14) lgkmcnt(0)
	v_mul_f64 v[112:113], v[98:99], v[226:227]
	s_waitcnt vmcnt(12)
	v_fmac_f64_e32 v[112:113], v[100:101], v[228:229]
	v_add_f64 v[110:111], v[110:111], v[112:113]
	s_waitcnt vmcnt(9)
	v_mul_f64 v[112:113], v[102:103], v[232:233]
	s_waitcnt vmcnt(7)
	v_fmac_f64_e32 v[112:113], v[104:105], v[234:235]
	v_add_f64 v[110:111], v[110:111], v[112:113]
	s_waitcnt vmcnt(5)
	v_mul_f64 v[112:113], v[106:107], v[214:215]
	s_waitcnt vmcnt(4)
	v_fmac_f64_e32 v[112:113], v[108:109], v[230:231]
	v_add_f64 v[114:115], v[110:111], v[112:113]
	ds_read_b128 v[110:113], v1 offset:1696
	buffer_load_dword v242, off, s[0:3], 0 offset:872
	buffer_load_dword v243, off, s[0:3], 0 offset:876
	buffer_load_dword v244, off, s[0:3], 0 offset:864
	buffer_load_dword v245, off, s[0:3], 0 offset:868
	v_add_f64 v[2:3], v[2:3], v[4:5]
	v_mul_f64 v[4:5], v[24:25], v[154:155]
	v_fma_f64 v[4:5], v[22:23], v[158:159], -v[4:5]
	s_waitcnt vmcnt(6) lgkmcnt(0)
	v_mul_f64 v[116:117], v[110:111], v[236:237]
	s_waitcnt vmcnt(4)
	v_fmac_f64_e32 v[116:117], v[112:113], v[238:239]
	v_add_f64 v[240:241], v[114:115], v[116:117]
	ds_read_b128 v[114:117], v1 offset:1712
	v_add_f64 v[2:3], v[2:3], v[4:5]
	v_mul_f64 v[4:5], v[28:29], v[134:135]
	v_fma_f64 v[4:5], v[26:27], v[136:137], -v[4:5]
	v_add_f64 v[2:3], v[2:3], v[4:5]
	v_mul_f64 v[4:5], v[32:33], v[162:163]
	v_fma_f64 v[4:5], v[30:31], v[166:167], -v[4:5]
	;; [unrolled: 3-line block ×22, first 2 shown]
	v_add_f64 v[2:3], v[2:3], v[4:5]
	s_waitcnt vmcnt(2) lgkmcnt(0)
	v_mul_f64 v[248:249], v[114:115], v[242:243]
	v_mul_f64 v[4:5], v[116:117], v[242:243]
	s_waitcnt vmcnt(0)
	v_fmac_f64_e32 v[248:249], v[116:117], v[244:245]
	v_add_f64 v[240:241], v[240:241], v[248:249]
	buffer_load_dword v248, off, s[0:3], 0 offset:272
	buffer_load_dword v249, off, s[0:3], 0 offset:276
	;; [unrolled: 1-line block ×4, first 2 shown]
	v_fma_f64 v[4:5], v[114:115], v[244:245], -v[4:5]
	v_add_f64 v[2:3], v[2:3], v[4:5]
	s_waitcnt vmcnt(2)
	v_add_f64 v[2:3], v[248:249], -v[2:3]
	s_waitcnt vmcnt(0)
	v_add_f64 v[4:5], v[246:247], -v[240:241]
	buffer_store_dword v3, off, s[0:3], 0 offset:276
	buffer_store_dword v2, off, s[0:3], 0 offset:272
	;; [unrolled: 1-line block ×4, first 2 shown]
	s_and_saveexec_b64 s[4:5], vcc
	s_cbranch_execz .LBB117_307
; %bb.306:
	v_accvgpr_read_b32 v5, a146
	buffer_load_dword v2, v5, s[0:3], 0 offen
	buffer_load_dword v3, v5, s[0:3], 0 offen offset:4
	buffer_load_dword v4, v5, s[0:3], 0 offen offset:8
	s_nop 0
	buffer_load_dword v5, v5, s[0:3], 0 offen offset:12
	v_accvgpr_read_b32 v6, a161
	buffer_store_dword v1, off, s[0:3], 0 offset:256
	buffer_store_dword v1, off, s[0:3], 0 offset:260
	;; [unrolled: 1-line block ×4, first 2 shown]
	s_waitcnt vmcnt(4)
	ds_write_b128 v6, v[2:5]
.LBB117_307:
	s_or_b64 exec, exec, s[4:5]
	s_waitcnt lgkmcnt(0)
	; wave barrier
	s_waitcnt lgkmcnt(0)
	buffer_load_dword v66, off, s[0:3], 0 offset:272
	buffer_load_dword v67, off, s[0:3], 0 offset:276
	;; [unrolled: 1-line block ×42, first 2 shown]
	ds_read_b128 v[78:81], v1 offset:1120
	ds_read_b128 v[90:93], v1 offset:1136
	;; [unrolled: 1-line block ×10, first 2 shown]
	buffer_load_dword v129, off, s[0:3], 0 offset:420
	buffer_load_dword v128, off, s[0:3], 0 offset:416
	ds_read_b128 v[6:9], v1 offset:1280
	buffer_load_dword v125, off, s[0:3], 0 offset:476
	buffer_load_dword v124, off, s[0:3], 0 offset:472
	buffer_load_dword v127, off, s[0:3], 0 offset:468
	buffer_load_dword v126, off, s[0:3], 0 offset:464
	buffer_load_dword v131, off, s[0:3], 0 offset:460
	buffer_load_dword v130, off, s[0:3], 0 offset:456
	buffer_load_dword v147, off, s[0:3], 0 offset:452
	buffer_load_dword v146, off, s[0:3], 0 offset:448
	buffer_load_dword v133, off, s[0:3], 0 offset:508
	buffer_load_dword v132, off, s[0:3], 0 offset:504
	buffer_load_dword v135, off, s[0:3], 0 offset:500
	buffer_load_dword v134, off, s[0:3], 0 offset:496
	buffer_load_dword v151, off, s[0:3], 0 offset:492
	buffer_load_dword v150, off, s[0:3], 0 offset:488
	buffer_load_dword v155, off, s[0:3], 0 offset:484
	buffer_load_dword v154, off, s[0:3], 0 offset:480
	buffer_load_dword v137, off, s[0:3], 0 offset:540
	buffer_load_dword v136, off, s[0:3], 0 offset:536
	buffer_load_dword v139, off, s[0:3], 0 offset:532
	buffer_load_dword v138, off, s[0:3], 0 offset:528
	buffer_load_dword v159, off, s[0:3], 0 offset:524
	buffer_load_dword v158, off, s[0:3], 0 offset:520
	buffer_load_dword v163, off, s[0:3], 0 offset:516
	buffer_load_dword v162, off, s[0:3], 0 offset:512
	buffer_load_dword v141, off, s[0:3], 0 offset:572
	buffer_load_dword v140, off, s[0:3], 0 offset:568
	buffer_load_dword v143, off, s[0:3], 0 offset:564
	buffer_load_dword v142, off, s[0:3], 0 offset:560
	buffer_load_dword v167, off, s[0:3], 0 offset:556
	buffer_load_dword v166, off, s[0:3], 0 offset:552
	buffer_load_dword v171, off, s[0:3], 0 offset:548
	buffer_load_dword v170, off, s[0:3], 0 offset:544
	buffer_load_dword v145, off, s[0:3], 0 offset:604
	buffer_load_dword v144, off, s[0:3], 0 offset:600
	buffer_load_dword v149, off, s[0:3], 0 offset:596
	buffer_load_dword v148, off, s[0:3], 0 offset:592
	buffer_load_dword v175, off, s[0:3], 0 offset:588
	buffer_load_dword v174, off, s[0:3], 0 offset:584
	buffer_load_dword v179, off, s[0:3], 0 offset:580
	buffer_load_dword v178, off, s[0:3], 0 offset:576
	buffer_load_dword v153, off, s[0:3], 0 offset:636
	buffer_load_dword v152, off, s[0:3], 0 offset:632
	buffer_load_dword v157, off, s[0:3], 0 offset:628
	buffer_load_dword v156, off, s[0:3], 0 offset:624
	buffer_load_dword v183, off, s[0:3], 0 offset:620
	buffer_load_dword v182, off, s[0:3], 0 offset:616
	buffer_load_dword v187, off, s[0:3], 0 offset:612
	buffer_load_dword v186, off, s[0:3], 0 offset:608
	buffer_load_dword v161, off, s[0:3], 0 offset:668
	buffer_load_dword v160, off, s[0:3], 0 offset:664
	buffer_load_dword v165, off, s[0:3], 0 offset:660
	buffer_load_dword v164, off, s[0:3], 0 offset:656
	buffer_load_dword v191, off, s[0:3], 0 offset:652
	buffer_load_dword v190, off, s[0:3], 0 offset:648
	buffer_load_dword v193, off, s[0:3], 0 offset:644
	buffer_load_dword v192, off, s[0:3], 0 offset:640
	buffer_load_dword v169, off, s[0:3], 0 offset:700
	buffer_load_dword v168, off, s[0:3], 0 offset:696
	buffer_load_dword v173, off, s[0:3], 0 offset:692
	buffer_load_dword v172, off, s[0:3], 0 offset:688
	buffer_load_dword v195, off, s[0:3], 0 offset:684
	buffer_load_dword v194, off, s[0:3], 0 offset:680
	buffer_load_dword v197, off, s[0:3], 0 offset:676
	buffer_load_dword v196, off, s[0:3], 0 offset:672
	buffer_load_dword v177, off, s[0:3], 0 offset:732
	buffer_load_dword v176, off, s[0:3], 0 offset:728
	buffer_load_dword v181, off, s[0:3], 0 offset:724
	buffer_load_dword v180, off, s[0:3], 0 offset:720
	buffer_load_dword v199, off, s[0:3], 0 offset:716
	buffer_load_dword v198, off, s[0:3], 0 offset:712
	buffer_load_dword v201, off, s[0:3], 0 offset:708
	buffer_load_dword v200, off, s[0:3], 0 offset:704
	buffer_load_dword v185, off, s[0:3], 0 offset:764
	buffer_load_dword v184, off, s[0:3], 0 offset:760
	buffer_load_dword v189, off, s[0:3], 0 offset:756
	buffer_load_dword v188, off, s[0:3], 0 offset:752
	buffer_load_dword v203, off, s[0:3], 0 offset:748
	buffer_load_dword v202, off, s[0:3], 0 offset:744
	buffer_load_dword v205, off, s[0:3], 0 offset:740
	buffer_load_dword v204, off, s[0:3], 0 offset:736
	v_cmp_lt_u32_e32 vcc, 14, v0
	s_waitcnt vmcnt(62) lgkmcnt(10)
	v_mul_f64 v[10:11], v[78:79], v[68:69]
	v_fmac_f64_e32 v[10:11], v[80:81], v[66:67]
	v_add_f64 v[10:11], v[10:11], 0
	v_mul_f64 v[68:69], v[80:81], v[68:69]
	s_waitcnt lgkmcnt(9)
	v_mul_f64 v[12:13], v[90:91], v[64:65]
	v_fmac_f64_e32 v[12:13], v[92:93], v[62:63]
	s_waitcnt lgkmcnt(8)
	v_mul_f64 v[14:15], v[102:103], v[70:71]
	v_add_f64 v[10:11], v[10:11], v[12:13]
	s_waitcnt lgkmcnt(6)
	v_mul_f64 v[18:19], v[114:115], v[82:83]
	v_mul_f64 v[64:65], v[92:93], v[64:65]
	v_fmac_f64_e32 v[18:19], v[116:117], v[84:85]
	v_fma_f64 v[220:221], v[90:91], v[62:63], -v[64:65]
	v_mul_f64 v[16:17], v[110:111], v[74:75]
	v_fma_f64 v[218:219], v[78:79], v[66:67], -v[68:69]
	s_waitcnt lgkmcnt(4)
	v_mul_f64 v[22:23], v[244:245], v[94:95]
	v_mul_f64 v[70:71], v[104:105], v[70:71]
	v_fmac_f64_e32 v[22:23], v[246:247], v[96:97]
	v_mul_f64 v[74:75], v[112:113], v[74:75]
	v_mul_f64 v[20:21], v[240:241], v[86:87]
	;; [unrolled: 1-line block ×3, first 2 shown]
	s_waitcnt lgkmcnt(2)
	v_mul_f64 v[26:27], v[252:253], v[106:107]
	v_fma_f64 v[224:225], v[114:115], v[84:85], -v[82:83]
	v_mul_f64 v[86:87], v[242:243], v[86:87]
	v_mul_f64 v[24:25], v[248:249], v[98:99]
	;; [unrolled: 1-line block ×3, first 2 shown]
	s_waitcnt lgkmcnt(1)
	v_mul_f64 v[28:29], v[118:119], v[4:5]
	v_fma_f64 v[246:247], v[244:245], v[96:97], -v[94:95]
	v_fmac_f64_e32 v[14:15], v[104:105], v[72:73]
	v_add_f64 v[10:11], v[10:11], v[14:15]
	v_fmac_f64_e32 v[16:17], v[112:113], v[76:77]
	v_add_f64 v[10:11], v[10:11], v[16:17]
	v_fmac_f64_e32 v[20:21], v[242:243], v[88:89]
	v_add_f64 v[10:11], v[10:11], v[18:19]
	v_add_f64 v[10:11], v[10:11], v[20:21]
	v_fmac_f64_e32 v[24:25], v[250:251], v[100:101]
	v_add_f64 v[10:11], v[10:11], v[22:23]
	v_fmac_f64_e32 v[26:27], v[254:255], v[108:109]
	v_add_f64 v[10:11], v[10:11], v[24:25]
	v_add_f64 v[10:11], v[10:11], v[26:27]
	s_waitcnt lgkmcnt(0)
	v_mul_f64 v[16:17], v[6:7], v[2:3]
	v_fmac_f64_e32 v[28:29], v[120:121], v[128:129]
	v_add_f64 v[14:15], v[10:11], v[28:29]
	ds_read_b128 v[10:13], v1 offset:1296
	v_fmac_f64_e32 v[16:17], v[8:9], v[122:123]
	v_add_f64 v[18:19], v[14:15], v[16:17]
	ds_read_b128 v[14:17], v1 offset:1312
	v_fma_f64 v[222:223], v[110:111], v[76:77], -v[74:75]
	s_waitcnt lgkmcnt(1)
	v_mul_f64 v[20:21], v[10:11], v[130:131]
	v_fmac_f64_e32 v[20:21], v[12:13], v[146:147]
	v_add_f64 v[22:23], v[18:19], v[20:21]
	ds_read_b128 v[18:21], v1 offset:1328
	s_waitcnt lgkmcnt(1)
	v_mul_f64 v[24:25], v[14:15], v[124:125]
	v_fmac_f64_e32 v[24:25], v[16:17], v[126:127]
	v_add_f64 v[26:27], v[22:23], v[24:25]
	ds_read_b128 v[22:25], v1 offset:1344
	;; [unrolled: 5-line block ×4, first 2 shown]
	s_waitcnt vmcnt(58) lgkmcnt(1)
	v_mul_f64 v[36:37], v[26:27], v[158:159]
	s_waitcnt vmcnt(56)
	v_fmac_f64_e32 v[36:37], v[28:29], v[162:163]
	v_add_f64 v[38:39], v[34:35], v[36:37]
	ds_read_b128 v[34:37], v1 offset:1392
	s_waitcnt lgkmcnt(1)
	v_mul_f64 v[40:41], v[30:31], v[136:137]
	v_fmac_f64_e32 v[40:41], v[32:33], v[138:139]
	v_add_f64 v[42:43], v[38:39], v[40:41]
	ds_read_b128 v[38:41], v1 offset:1408
	s_waitcnt vmcnt(50) lgkmcnt(1)
	v_mul_f64 v[44:45], v[34:35], v[166:167]
	s_waitcnt vmcnt(48)
	v_fmac_f64_e32 v[44:45], v[36:37], v[170:171]
	v_add_f64 v[46:47], v[42:43], v[44:45]
	ds_read_b128 v[42:45], v1 offset:1424
	s_waitcnt lgkmcnt(1)
	v_mul_f64 v[48:49], v[38:39], v[140:141]
	v_fmac_f64_e32 v[48:49], v[40:41], v[142:143]
	v_add_f64 v[50:51], v[46:47], v[48:49]
	ds_read_b128 v[46:49], v1 offset:1440
	s_waitcnt vmcnt(42) lgkmcnt(1)
	v_mul_f64 v[52:53], v[42:43], v[174:175]
	s_waitcnt vmcnt(40)
	v_fmac_f64_e32 v[52:53], v[44:45], v[178:179]
	v_add_f64 v[54:55], v[50:51], v[52:53]
	ds_read_b128 v[50:53], v1 offset:1456
	s_waitcnt lgkmcnt(1)
	v_mul_f64 v[56:57], v[46:47], v[144:145]
	buffer_load_dword v207, off, s[0:3], 0 offset:780
	buffer_load_dword v206, off, s[0:3], 0 offset:776
	;; [unrolled: 1-line block ×4, first 2 shown]
	v_fmac_f64_e32 v[56:57], v[48:49], v[148:149]
	v_add_f64 v[58:59], v[54:55], v[56:57]
	ds_read_b128 v[54:57], v1 offset:1472
	buffer_load_dword v212, off, s[0:3], 0 offset:792
	buffer_load_dword v214, off, s[0:3], 0 offset:784
	;; [unrolled: 1-line block ×16, first 2 shown]
	s_waitcnt vmcnt(54) lgkmcnt(1)
	v_mul_f64 v[60:61], v[50:51], v[182:183]
	s_waitcnt vmcnt(52)
	v_fmac_f64_e32 v[60:61], v[52:53], v[186:187]
	v_add_f64 v[216:217], v[58:59], v[60:61]
	ds_read_b128 v[58:61], v1 offset:1488
	buffer_load_dword v236, off, s[0:3], 0 offset:856
	buffer_load_dword v238, off, s[0:3], 0 offset:848
	;; [unrolled: 1-line block ×4, first 2 shown]
	ds_read_b128 v[62:65], v1 offset:1504
	s_waitcnt lgkmcnt(2)
	v_mul_f64 v[66:67], v[54:55], v[152:153]
	v_fmac_f64_e32 v[66:67], v[56:57], v[156:157]
	s_waitcnt vmcnt(50) lgkmcnt(1)
	v_mul_f64 v[68:69], v[58:59], v[190:191]
	v_add_f64 v[66:67], v[216:217], v[66:67]
	s_waitcnt vmcnt(48)
	v_fmac_f64_e32 v[68:69], v[60:61], v[192:193]
	v_add_f64 v[66:67], v[66:67], v[68:69]
	v_fma_f64 v[216:217], v[102:103], v[72:73], -v[70:71]
	ds_read_b128 v[70:73], v1 offset:1536
	s_waitcnt lgkmcnt(1)
	v_mul_f64 v[68:69], v[62:63], v[160:161]
	v_fmac_f64_e32 v[68:69], v[64:65], v[164:165]
	v_add_f64 v[78:79], v[66:67], v[68:69]
	ds_read_b128 v[66:69], v1 offset:1520
	ds_read_b128 v[74:77], v1 offset:1552
	;; [unrolled: 1-line block ×3, first 2 shown]
	v_accvgpr_write_b32 a163, v3
	v_accvgpr_write_b32 a162, v2
	s_waitcnt vmcnt(42) lgkmcnt(2)
	v_mul_f64 v[80:81], v[66:67], v[194:195]
	s_waitcnt vmcnt(40)
	v_fmac_f64_e32 v[80:81], v[68:69], v[196:197]
	v_add_f64 v[78:79], v[78:79], v[80:81]
	v_mul_f64 v[80:81], v[70:71], v[168:169]
	v_fmac_f64_e32 v[80:81], v[72:73], v[172:173]
	v_add_f64 v[90:91], v[78:79], v[80:81]
	ds_read_b128 v[78:81], v1 offset:1568
	s_waitcnt vmcnt(34) lgkmcnt(2)
	v_mul_f64 v[92:93], v[74:75], v[198:199]
	s_waitcnt vmcnt(32)
	v_fmac_f64_e32 v[92:93], v[76:77], v[200:201]
	v_fma_f64 v[2:3], v[240:241], v[88:89], -v[86:87]
	ds_read_b128 v[86:89], v1 offset:1600
	ds_read_b128 v[94:97], v1 offset:1632
	v_add_f64 v[90:91], v[90:91], v[92:93]
	s_waitcnt lgkmcnt(2)
	v_mul_f64 v[92:93], v[78:79], v[176:177]
	v_fmac_f64_e32 v[92:93], v[80:81], v[180:181]
	v_add_f64 v[90:91], v[90:91], v[92:93]
	s_waitcnt vmcnt(26)
	v_mul_f64 v[92:93], v[82:83], v[202:203]
	s_waitcnt vmcnt(24)
	v_fmac_f64_e32 v[92:93], v[84:85], v[204:205]
	v_add_f64 v[90:91], v[90:91], v[92:93]
	s_waitcnt lgkmcnt(1)
	v_mul_f64 v[92:93], v[86:87], v[184:185]
	v_fmac_f64_e32 v[92:93], v[88:89], v[188:189]
	v_add_f64 v[102:103], v[90:91], v[92:93]
	ds_read_b128 v[90:93], v1 offset:1616
	v_mul_f64 v[98:99], v[250:251], v[98:99]
	v_fma_f64 v[250:251], v[248:249], v[100:101], -v[98:99]
	ds_read_b128 v[98:101], v1 offset:1648
	v_mul_f64 v[106:107], v[254:255], v[106:107]
	v_fma_f64 v[252:253], v[252:253], v[108:109], -v[106:107]
	v_add_f64 v[218:219], v[218:219], 0
	v_add_f64 v[218:219], v[218:219], v[220:221]
	;; [unrolled: 1-line block ×8, first 2 shown]
	v_mul_f64 v[4:5], v[120:121], v[4:5]
	v_add_f64 v[2:3], v[2:3], v[252:253]
	v_fma_f64 v[4:5], v[118:119], v[128:129], -v[4:5]
	v_add_f64 v[2:3], v[2:3], v[4:5]
	v_accvgpr_read_b32 v4, a162
	v_accvgpr_read_b32 v5, a163
	v_mul_f64 v[4:5], v[8:9], v[4:5]
	ds_read_b128 v[106:109], v1 offset:1680
	v_fma_f64 v[4:5], v[6:7], v[122:123], -v[4:5]
	v_add_f64 v[2:3], v[2:3], v[4:5]
	v_mul_f64 v[4:5], v[12:13], v[130:131]
	v_fma_f64 v[4:5], v[10:11], v[146:147], -v[4:5]
	s_waitcnt vmcnt(13) lgkmcnt(1)
	v_mul_f64 v[112:113], v[98:99], v[226:227]
	v_add_f64 v[2:3], v[2:3], v[4:5]
	v_mul_f64 v[104:105], v[90:91], v[206:207]
	s_waitcnt vmcnt(11)
	v_fmac_f64_e32 v[112:113], v[100:101], v[232:233]
	v_fmac_f64_e32 v[104:105], v[92:93], v[208:209]
	v_add_f64 v[102:103], v[102:103], v[104:105]
	v_mul_f64 v[4:5], v[16:17], v[124:125]
	v_mul_f64 v[104:105], v[94:95], v[212:213]
	v_fmac_f64_e32 v[104:105], v[96:97], v[214:215]
	v_add_f64 v[110:111], v[102:103], v[104:105]
	ds_read_b128 v[102:105], v1 offset:1664
	v_add_f64 v[110:111], v[110:111], v[112:113]
	v_fma_f64 v[4:5], v[14:15], v[126:127], -v[4:5]
	v_add_f64 v[2:3], v[2:3], v[4:5]
	v_mul_f64 v[4:5], v[20:21], v[150:151]
	s_waitcnt vmcnt(10) lgkmcnt(0)
	v_mul_f64 v[112:113], v[102:103], v[210:211]
	s_waitcnt vmcnt(8)
	v_fmac_f64_e32 v[112:113], v[104:105], v[230:231]
	v_add_f64 v[110:111], v[110:111], v[112:113]
	s_waitcnt vmcnt(6)
	v_mul_f64 v[112:113], v[106:107], v[228:229]
	s_waitcnt vmcnt(4)
	v_fmac_f64_e32 v[112:113], v[108:109], v[234:235]
	v_add_f64 v[114:115], v[110:111], v[112:113]
	ds_read_b128 v[110:113], v1 offset:1696
	buffer_load_dword v243, off, s[0:3], 0 offset:876
	buffer_load_dword v242, off, s[0:3], 0 offset:872
	;; [unrolled: 1-line block ×4, first 2 shown]
	v_fma_f64 v[4:5], v[18:19], v[154:155], -v[4:5]
	v_add_f64 v[2:3], v[2:3], v[4:5]
	v_mul_f64 v[4:5], v[24:25], v[132:133]
	s_waitcnt vmcnt(5) lgkmcnt(0)
	v_mul_f64 v[116:117], v[110:111], v[236:237]
	s_waitcnt vmcnt(4)
	v_fmac_f64_e32 v[116:117], v[112:113], v[238:239]
	v_add_f64 v[240:241], v[114:115], v[116:117]
	ds_read_b128 v[114:117], v1 offset:1712
	v_fma_f64 v[4:5], v[22:23], v[134:135], -v[4:5]
	v_add_f64 v[2:3], v[2:3], v[4:5]
	v_mul_f64 v[4:5], v[28:29], v[158:159]
	v_fma_f64 v[4:5], v[26:27], v[162:163], -v[4:5]
	v_add_f64 v[2:3], v[2:3], v[4:5]
	v_mul_f64 v[4:5], v[32:33], v[136:137]
	;; [unrolled: 3-line block ×22, first 2 shown]
	v_fma_f64 v[4:5], v[110:111], v[238:239], -v[4:5]
	v_add_f64 v[2:3], v[2:3], v[4:5]
	s_waitcnt vmcnt(2) lgkmcnt(0)
	v_mul_f64 v[248:249], v[114:115], v[242:243]
	v_mul_f64 v[4:5], v[116:117], v[242:243]
	s_waitcnt vmcnt(0)
	v_fmac_f64_e32 v[248:249], v[116:117], v[244:245]
	v_add_f64 v[240:241], v[240:241], v[248:249]
	buffer_load_dword v248, off, s[0:3], 0 offset:256
	buffer_load_dword v249, off, s[0:3], 0 offset:260
	;; [unrolled: 1-line block ×4, first 2 shown]
	v_fma_f64 v[4:5], v[114:115], v[244:245], -v[4:5]
	v_add_f64 v[2:3], v[2:3], v[4:5]
	s_waitcnt vmcnt(2)
	v_add_f64 v[2:3], v[248:249], -v[2:3]
	s_waitcnt vmcnt(0)
	v_add_f64 v[4:5], v[246:247], -v[240:241]
	buffer_store_dword v3, off, s[0:3], 0 offset:260
	buffer_store_dword v2, off, s[0:3], 0 offset:256
	;; [unrolled: 1-line block ×4, first 2 shown]
	s_and_saveexec_b64 s[4:5], vcc
	s_cbranch_execz .LBB117_309
; %bb.308:
	v_accvgpr_read_b32 v1, a147
	buffer_load_dword v2, v1, s[0:3], 0 offen
	buffer_load_dword v3, v1, s[0:3], 0 offen offset:4
	buffer_load_dword v4, v1, s[0:3], 0 offen offset:8
	;; [unrolled: 1-line block ×3, first 2 shown]
	v_mov_b32_e32 v1, 0
	v_accvgpr_read_b32 v6, a161
	buffer_store_dword v1, off, s[0:3], 0 offset:240
	buffer_store_dword v1, off, s[0:3], 0 offset:244
	;; [unrolled: 1-line block ×4, first 2 shown]
	s_waitcnt vmcnt(4)
	ds_write_b128 v6, v[2:5]
.LBB117_309:
	s_or_b64 exec, exec, s[4:5]
	s_waitcnt lgkmcnt(0)
	; wave barrier
	s_waitcnt lgkmcnt(0)
	buffer_load_dword v54, off, s[0:3], 0 offset:256
	buffer_load_dword v55, off, s[0:3], 0 offset:260
	;; [unrolled: 1-line block ×49, first 2 shown]
	v_mov_b32_e32 v1, 0
	ds_read_b128 v[62:65], v1 offset:1104
	ds_read_b128 v[74:77], v1 offset:1120
	;; [unrolled: 1-line block ×11, first 2 shown]
	buffer_load_dword v126, off, s[0:3], 0 offset:440
	buffer_load_dword v143, off, s[0:3], 0 offset:436
	;; [unrolled: 1-line block ×75, first 2 shown]
	v_cmp_lt_u32_e32 vcc, 13, v0
	s_waitcnt vmcnt(62) lgkmcnt(10)
	v_mul_f64 v[6:7], v[62:63], v[56:57]
	v_fmac_f64_e32 v[6:7], v[64:65], v[54:55]
	v_add_f64 v[6:7], v[6:7], 0
	v_mul_f64 v[56:57], v[64:65], v[56:57]
	s_waitcnt lgkmcnt(9)
	v_mul_f64 v[8:9], v[74:75], v[60:61]
	v_fmac_f64_e32 v[8:9], v[76:77], v[58:59]
	s_waitcnt lgkmcnt(8)
	v_mul_f64 v[10:11], v[86:87], v[66:67]
	v_add_f64 v[6:7], v[6:7], v[8:9]
	s_waitcnt lgkmcnt(6)
	v_mul_f64 v[14:15], v[110:111], v[78:79]
	v_fma_f64 v[218:219], v[62:63], v[54:55], -v[56:57]
	v_fmac_f64_e32 v[14:15], v[112:113], v[80:81]
	v_mul_f64 v[60:61], v[76:77], v[60:61]
	v_mul_f64 v[12:13], v[98:99], v[70:71]
	v_fma_f64 v[220:221], v[74:75], v[58:59], -v[60:61]
	s_waitcnt lgkmcnt(4)
	v_mul_f64 v[18:19], v[236:237], v[90:91]
	v_mul_f64 v[66:67], v[88:89], v[66:67]
	v_fmac_f64_e32 v[18:19], v[238:239], v[92:93]
	v_mul_f64 v[70:71], v[100:101], v[70:71]
	v_mul_f64 v[16:17], v[114:115], v[82:83]
	;; [unrolled: 1-line block ×3, first 2 shown]
	s_waitcnt lgkmcnt(2)
	v_mul_f64 v[22:23], v[244:245], v[102:103]
	v_fma_f64 v[224:225], v[110:111], v[80:81], -v[78:79]
	v_mul_f64 v[82:83], v[116:117], v[82:83]
	v_mul_f64 v[20:21], v[240:241], v[94:95]
	;; [unrolled: 1-line block ×3, first 2 shown]
	s_waitcnt lgkmcnt(1)
	v_mul_f64 v[24:25], v[248:249], v[106:107]
	v_fma_f64 v[254:255], v[236:237], v[92:93], -v[90:91]
	v_fmac_f64_e32 v[10:11], v[88:89], v[68:69]
	v_add_f64 v[6:7], v[6:7], v[10:11]
	v_fmac_f64_e32 v[12:13], v[100:101], v[72:73]
	v_add_f64 v[6:7], v[6:7], v[12:13]
	;; [unrolled: 2-line block ×3, first 2 shown]
	v_add_f64 v[6:7], v[6:7], v[16:17]
	v_fmac_f64_e32 v[20:21], v[242:243], v[96:97]
	v_add_f64 v[6:7], v[6:7], v[18:19]
	v_fmac_f64_e32 v[22:23], v[246:247], v[104:105]
	v_add_f64 v[6:7], v[6:7], v[20:21]
	v_add_f64 v[6:7], v[6:7], v[22:23]
	v_fmac_f64_e32 v[24:25], v[250:251], v[108:109]
	v_add_f64 v[10:11], v[6:7], v[24:25]
	ds_read_b128 v[6:9], v1 offset:1280
	s_waitcnt lgkmcnt(1)
	v_mul_f64 v[12:13], v[118:119], v[4:5]
	v_fmac_f64_e32 v[12:13], v[120:121], v[2:3]
	v_add_f64 v[14:15], v[10:11], v[12:13]
	ds_read_b128 v[10:13], v1 offset:1296
	s_waitcnt lgkmcnt(1)
	v_mul_f64 v[16:17], v[6:7], v[126:127]
	;; [unrolled: 5-line block ×5, first 2 shown]
	v_fmac_f64_e32 v[28:29], v[20:21], v[130:131]
	v_add_f64 v[30:31], v[26:27], v[28:29]
	ds_read_b128 v[26:29], v1 offset:1360
	s_waitcnt vmcnt(58) lgkmcnt(1)
	v_mul_f64 v[32:33], v[22:23], v[154:155]
	s_waitcnt vmcnt(56)
	v_fmac_f64_e32 v[32:33], v[24:25], v[158:159]
	v_add_f64 v[34:35], v[30:31], v[32:33]
	ds_read_b128 v[30:33], v1 offset:1376
	s_waitcnt lgkmcnt(1)
	v_mul_f64 v[36:37], v[26:27], v[132:133]
	v_fmac_f64_e32 v[36:37], v[28:29], v[134:135]
	v_add_f64 v[38:39], v[34:35], v[36:37]
	ds_read_b128 v[34:37], v1 offset:1392
	s_waitcnt vmcnt(50) lgkmcnt(1)
	v_mul_f64 v[40:41], v[30:31], v[162:163]
	s_waitcnt vmcnt(48)
	v_fmac_f64_e32 v[40:41], v[32:33], v[166:167]
	v_add_f64 v[42:43], v[38:39], v[40:41]
	ds_read_b128 v[38:41], v1 offset:1408
	s_waitcnt lgkmcnt(1)
	v_mul_f64 v[44:45], v[34:35], v[136:137]
	;; [unrolled: 11-line block ×3, first 2 shown]
	buffer_load_dword v203, off, s[0:3], 0 offset:764
	buffer_load_dword v202, off, s[0:3], 0 offset:760
	;; [unrolled: 1-line block ×4, first 2 shown]
	v_fmac_f64_e32 v[52:53], v[44:45], v[144:145]
	v_add_f64 v[210:211], v[50:51], v[52:53]
	ds_read_b128 v[50:53], v1 offset:1456
	buffer_load_dword v206, off, s[0:3], 0 offset:776
	buffer_load_dword v208, off, s[0:3], 0 offset:768
	;; [unrolled: 1-line block ×4, first 2 shown]
	s_waitcnt vmcnt(42) lgkmcnt(1)
	v_mul_f64 v[212:213], v[46:47], v[178:179]
	s_waitcnt vmcnt(40)
	v_fmac_f64_e32 v[212:213], v[48:49], v[182:183]
	v_add_f64 v[216:217], v[210:211], v[212:213]
	buffer_load_dword v213, off, s[0:3], 0 offset:796
	buffer_load_dword v212, off, s[0:3], 0 offset:792
	;; [unrolled: 1-line block ×16, first 2 shown]
	ds_read_b128 v[54:57], v1 offset:1472
	ds_read_b128 v[58:61], v1 offset:1488
	s_waitcnt lgkmcnt(2)
	v_mul_f64 v[62:63], v[50:51], v[148:149]
	v_fmac_f64_e32 v[62:63], v[52:53], v[152:153]
	v_add_f64 v[62:63], v[216:217], v[62:63]
	s_waitcnt vmcnt(50) lgkmcnt(1)
	v_mul_f64 v[64:65], v[54:55], v[186:187]
	s_waitcnt vmcnt(48)
	v_fmac_f64_e32 v[64:65], v[56:57], v[188:189]
	v_add_f64 v[62:63], v[62:63], v[64:65]
	s_waitcnt lgkmcnt(0)
	v_mul_f64 v[64:65], v[58:59], v[156:157]
	v_fmac_f64_e32 v[64:65], v[60:61], v[160:161]
	v_add_f64 v[74:75], v[62:63], v[64:65]
	ds_read_b128 v[62:65], v1 offset:1504
	v_fma_f64 v[216:217], v[86:87], v[68:69], -v[66:67]
	ds_read_b128 v[66:69], v1 offset:1520
	v_fma_f64 v[222:223], v[98:99], v[72:73], -v[70:71]
	ds_read_b128 v[70:73], v1 offset:1536
	s_waitcnt vmcnt(42) lgkmcnt(2)
	v_mul_f64 v[76:77], v[62:63], v[190:191]
	s_waitcnt vmcnt(40)
	v_fmac_f64_e32 v[76:77], v[64:65], v[192:193]
	v_add_f64 v[74:75], v[74:75], v[76:77]
	s_waitcnt lgkmcnt(1)
	v_mul_f64 v[76:77], v[66:67], v[164:165]
	v_fmac_f64_e32 v[76:77], v[68:69], v[168:169]
	v_add_f64 v[86:87], v[74:75], v[76:77]
	ds_read_b128 v[74:77], v1 offset:1552
	ds_read_b128 v[78:81], v1 offset:1568
	s_waitcnt vmcnt(34) lgkmcnt(2)
	v_mul_f64 v[88:89], v[70:71], v[194:195]
	s_waitcnt vmcnt(32)
	v_fmac_f64_e32 v[88:89], v[72:73], v[196:197]
	v_fma_f64 v[252:253], v[114:115], v[84:85], -v[82:83]
	ds_read_b128 v[82:85], v1 offset:1584
	v_add_f64 v[86:87], v[86:87], v[88:89]
	s_waitcnt lgkmcnt(2)
	v_mul_f64 v[88:89], v[74:75], v[172:173]
	v_fmac_f64_e32 v[88:89], v[76:77], v[176:177]
	v_add_f64 v[86:87], v[86:87], v[88:89]
	s_waitcnt vmcnt(26) lgkmcnt(1)
	v_mul_f64 v[88:89], v[78:79], v[198:199]
	s_waitcnt vmcnt(24)
	v_fmac_f64_e32 v[88:89], v[80:81], v[200:201]
	v_add_f64 v[86:87], v[86:87], v[88:89]
	s_waitcnt lgkmcnt(0)
	v_mul_f64 v[88:89], v[82:83], v[180:181]
	v_fmac_f64_e32 v[88:89], v[84:85], v[184:185]
	v_add_f64 v[98:99], v[86:87], v[88:89]
	ds_read_b128 v[86:89], v1 offset:1600
	ds_read_b128 v[90:93], v1 offset:1616
	v_accvgpr_write_b32 a163, v3
	v_mul_f64 v[94:95], v[242:243], v[94:95]
	v_accvgpr_write_b32 a162, v2
	v_fma_f64 v[2:3], v[240:241], v[96:97], -v[94:95]
	ds_read_b128 v[94:97], v1 offset:1632
	v_mul_f64 v[102:103], v[246:247], v[102:103]
	v_fma_f64 v[246:247], v[244:245], v[104:105], -v[102:103]
	ds_read_b128 v[102:105], v1 offset:1664
	v_mul_f64 v[106:107], v[250:251], v[106:107]
	v_fma_f64 v[250:251], v[248:249], v[108:109], -v[106:107]
	ds_read_b128 v[106:109], v1 offset:1680
	v_add_f64 v[218:219], v[218:219], 0
	v_add_f64 v[218:219], v[218:219], v[220:221]
	;; [unrolled: 1-line block ×9, first 2 shown]
	v_mul_f64 v[4:5], v[120:121], v[4:5]
	v_accvgpr_read_b32 v120, a162
	v_accvgpr_read_b32 v121, a163
	v_add_f64 v[2:3], v[252:253], v[250:251]
	v_fma_f64 v[4:5], v[118:119], v[120:121], -v[4:5]
	v_add_f64 v[2:3], v[2:3], v[4:5]
	v_mul_f64 v[4:5], v[8:9], v[126:127]
	v_fma_f64 v[4:5], v[6:7], v[142:143], -v[4:5]
	s_waitcnt vmcnt(22) lgkmcnt(4)
	v_mul_f64 v[100:101], v[86:87], v[202:203]
	v_add_f64 v[2:3], v[2:3], v[4:5]
	s_waitcnt vmcnt(20)
	v_fmac_f64_e32 v[100:101], v[88:89], v[204:205]
	v_add_f64 v[98:99], v[98:99], v[100:101]
	v_mul_f64 v[4:5], v[12:13], v[122:123]
	s_waitcnt vmcnt(17) lgkmcnt(3)
	v_mul_f64 v[100:101], v[90:91], v[206:207]
	s_waitcnt vmcnt(16)
	v_fmac_f64_e32 v[100:101], v[92:93], v[208:209]
	v_add_f64 v[110:111], v[98:99], v[100:101]
	ds_read_b128 v[98:101], v1 offset:1648
	s_waitcnt vmcnt(14) lgkmcnt(3)
	v_mul_f64 v[112:113], v[94:95], v[212:213]
	s_waitcnt vmcnt(12)
	v_fmac_f64_e32 v[112:113], v[96:97], v[226:227]
	buffer_load_dword v237, off, s[0:3], 0 offset:860
	buffer_load_dword v236, off, s[0:3], 0 offset:856
	;; [unrolled: 1-line block ×4, first 2 shown]
	v_add_f64 v[110:111], v[110:111], v[112:113]
	s_waitcnt vmcnt(14) lgkmcnt(0)
	v_mul_f64 v[112:113], v[98:99], v[214:215]
	s_waitcnt vmcnt(12)
	v_fmac_f64_e32 v[112:113], v[100:101], v[228:229]
	v_add_f64 v[110:111], v[110:111], v[112:113]
	s_waitcnt vmcnt(9)
	v_mul_f64 v[112:113], v[102:103], v[232:233]
	s_waitcnt vmcnt(7)
	v_fmac_f64_e32 v[112:113], v[104:105], v[234:235]
	v_add_f64 v[110:111], v[110:111], v[112:113]
	s_waitcnt vmcnt(5)
	v_mul_f64 v[112:113], v[106:107], v[210:211]
	s_waitcnt vmcnt(4)
	v_fmac_f64_e32 v[112:113], v[108:109], v[230:231]
	v_add_f64 v[114:115], v[110:111], v[112:113]
	ds_read_b128 v[110:113], v1 offset:1696
	buffer_load_dword v242, off, s[0:3], 0 offset:872
	buffer_load_dword v243, off, s[0:3], 0 offset:876
	;; [unrolled: 1-line block ×4, first 2 shown]
	v_fma_f64 v[4:5], v[10:11], v[124:125], -v[4:5]
	v_add_f64 v[2:3], v[2:3], v[4:5]
	v_mul_f64 v[4:5], v[16:17], v[146:147]
	v_fma_f64 v[4:5], v[14:15], v[150:151], -v[4:5]
	v_add_f64 v[2:3], v[2:3], v[4:5]
	v_mul_f64 v[4:5], v[20:21], v[128:129]
	;; [unrolled: 3-line block ×21, first 2 shown]
	v_fma_f64 v[4:5], v[94:95], v[226:227], -v[4:5]
	v_add_f64 v[2:3], v[2:3], v[4:5]
	s_waitcnt vmcnt(6) lgkmcnt(0)
	v_mul_f64 v[116:117], v[110:111], v[236:237]
	v_mul_f64 v[4:5], v[100:101], v[214:215]
	s_waitcnt vmcnt(4)
	v_fmac_f64_e32 v[116:117], v[112:113], v[238:239]
	v_add_f64 v[240:241], v[114:115], v[116:117]
	ds_read_b128 v[114:117], v1 offset:1712
	v_fma_f64 v[4:5], v[98:99], v[228:229], -v[4:5]
	v_add_f64 v[2:3], v[2:3], v[4:5]
	v_mul_f64 v[4:5], v[104:105], v[232:233]
	v_fma_f64 v[4:5], v[102:103], v[234:235], -v[4:5]
	v_add_f64 v[2:3], v[2:3], v[4:5]
	v_mul_f64 v[4:5], v[108:109], v[210:211]
	v_fma_f64 v[4:5], v[106:107], v[230:231], -v[4:5]
	s_waitcnt vmcnt(2) lgkmcnt(0)
	v_mul_f64 v[248:249], v[114:115], v[242:243]
	v_add_f64 v[2:3], v[2:3], v[4:5]
	s_waitcnt vmcnt(0)
	v_fmac_f64_e32 v[248:249], v[116:117], v[244:245]
	v_add_f64 v[240:241], v[240:241], v[248:249]
	buffer_load_dword v248, off, s[0:3], 0 offset:240
	buffer_load_dword v249, off, s[0:3], 0 offset:244
	;; [unrolled: 1-line block ×4, first 2 shown]
	v_mul_f64 v[4:5], v[112:113], v[236:237]
	v_fma_f64 v[4:5], v[110:111], v[238:239], -v[4:5]
	v_add_f64 v[2:3], v[2:3], v[4:5]
	v_mul_f64 v[4:5], v[116:117], v[242:243]
	v_fma_f64 v[4:5], v[114:115], v[244:245], -v[4:5]
	v_add_f64 v[2:3], v[2:3], v[4:5]
	s_waitcnt vmcnt(2)
	v_add_f64 v[2:3], v[248:249], -v[2:3]
	s_waitcnt vmcnt(0)
	v_add_f64 v[4:5], v[246:247], -v[240:241]
	buffer_store_dword v3, off, s[0:3], 0 offset:244
	buffer_store_dword v2, off, s[0:3], 0 offset:240
	;; [unrolled: 1-line block ×4, first 2 shown]
	s_and_saveexec_b64 s[4:5], vcc
	s_cbranch_execz .LBB117_311
; %bb.310:
	v_accvgpr_read_b32 v5, a148
	buffer_load_dword v2, v5, s[0:3], 0 offen
	buffer_load_dword v3, v5, s[0:3], 0 offen offset:4
	buffer_load_dword v4, v5, s[0:3], 0 offen offset:8
	s_nop 0
	buffer_load_dword v5, v5, s[0:3], 0 offen offset:12
	v_accvgpr_read_b32 v6, a161
	buffer_store_dword v1, off, s[0:3], 0 offset:224
	buffer_store_dword v1, off, s[0:3], 0 offset:228
	;; [unrolled: 1-line block ×4, first 2 shown]
	s_waitcnt vmcnt(4)
	ds_write_b128 v6, v[2:5]
.LBB117_311:
	s_or_b64 exec, exec, s[4:5]
	s_waitcnt lgkmcnt(0)
	; wave barrier
	s_waitcnt lgkmcnt(0)
	buffer_load_dword v56, off, s[0:3], 0 offset:240
	buffer_load_dword v57, off, s[0:3], 0 offset:244
	;; [unrolled: 1-line block ×42, first 2 shown]
	ds_read_b128 v[78:81], v1 offset:1088
	ds_read_b128 v[90:93], v1 offset:1104
	;; [unrolled: 1-line block ×10, first 2 shown]
	buffer_load_dword v105, off, s[0:3], 0 offset:388
	buffer_load_dword v104, off, s[0:3], 0 offset:384
	ds_read_b128 v[106:109], v1 offset:1248
	buffer_load_dword v3, off, s[0:3], 0 offset:444
	buffer_load_dword v2, off, s[0:3], 0 offset:440
	v_cmp_lt_u32_e32 vcc, 12, v0
	s_waitcnt vmcnt(38) lgkmcnt(9)
	v_mul_f64 v[4:5], v[90:91], v[62:63]
	v_fmac_f64_e32 v[4:5], v[92:93], v[54:55]
	s_waitcnt vmcnt(36) lgkmcnt(8)
	v_mul_f64 v[6:7], v[114:115], v[58:59]
	v_mul_f64 v[58:59], v[116:117], v[58:59]
	s_waitcnt vmcnt(34) lgkmcnt(6)
	v_mul_f64 v[10:11], v[240:241], v[70:71]
	v_mul_f64 v[70:71], v[242:243], v[70:71]
	s_waitcnt vmcnt(32)
	v_fmac_f64_e32 v[10:11], v[242:243], v[72:73]
	v_fma_f64 v[240:241], v[240:241], v[72:73], -v[70:71]
	s_waitcnt vmcnt(30)
	v_mul_f64 v[8:9], v[236:237], v[64:65]
	s_waitcnt vmcnt(28) lgkmcnt(4)
	v_mul_f64 v[14:15], v[248:249], v[82:83]
	v_mul_f64 v[82:83], v[250:251], v[82:83]
	s_waitcnt vmcnt(26)
	v_fmac_f64_e32 v[14:15], v[250:251], v[84:85]
	v_fma_f64 v[248:249], v[248:249], v[84:85], -v[82:83]
	s_waitcnt vmcnt(24)
	v_mul_f64 v[12:13], v[244:245], v[74:75]
	v_mul_f64 v[74:75], v[246:247], v[74:75]
	s_waitcnt vmcnt(22) lgkmcnt(2)
	v_mul_f64 v[18:19], v[220:221], v[94:95]
	v_mul_f64 v[94:95], v[222:223], v[94:95]
	s_waitcnt vmcnt(19)
	v_mul_f64 v[16:17], v[252:253], v[86:87]
	v_mul_f64 v[86:87], v[254:255], v[86:87]
	s_waitcnt vmcnt(17) lgkmcnt(1)
	v_mul_f64 v[20:21], v[98:99], v[102:103]
	s_waitcnt vmcnt(15)
	v_fmac_f64_e32 v[6:7], v[116:117], v[68:69]
	s_waitcnt vmcnt(13)
	v_fmac_f64_e32 v[8:9], v[238:239], v[66:67]
	;; [unrolled: 2-line block ×3, first 2 shown]
	v_fma_f64 v[246:247], v[244:245], v[76:77], -v[74:75]
	s_waitcnt vmcnt(9)
	v_fmac_f64_e32 v[16:17], v[254:255], v[88:89]
	s_waitcnt vmcnt(8)
	v_fmac_f64_e32 v[18:19], v[222:223], v[96:97]
	v_fma_f64 v[254:255], v[252:253], v[88:89], -v[86:87]
	v_fma_f64 v[220:221], v[220:221], v[96:97], -v[94:95]
	s_waitcnt vmcnt(2)
	v_fmac_f64_e32 v[20:21], v[100:101], v[104:105]
	v_mul_f64 v[100:101], v[100:101], v[102:103]
	s_waitcnt vmcnt(0)
	v_pk_mov_b32 v[22:23], v[2:3], v[2:3] op_sel:[0,1]
	buffer_load_dword v3, off, s[0:3], 0 offset:436
	buffer_load_dword v2, off, s[0:3], 0 offset:432
	buffer_load_dword v123, off, s[0:3], 0 offset:428
	buffer_load_dword v122, off, s[0:3], 0 offset:424
	buffer_load_dword v139, off, s[0:3], 0 offset:420
	buffer_load_dword v138, off, s[0:3], 0 offset:416
	buffer_load_dword v125, off, s[0:3], 0 offset:476
	buffer_load_dword v124, off, s[0:3], 0 offset:472
	buffer_load_dword v127, off, s[0:3], 0 offset:468
	buffer_load_dword v126, off, s[0:3], 0 offset:464
	buffer_load_dword v143, off, s[0:3], 0 offset:460
	buffer_load_dword v142, off, s[0:3], 0 offset:456
	buffer_load_dword v147, off, s[0:3], 0 offset:452
	buffer_load_dword v146, off, s[0:3], 0 offset:448
	buffer_load_dword v129, off, s[0:3], 0 offset:508
	buffer_load_dword v128, off, s[0:3], 0 offset:504
	buffer_load_dword v131, off, s[0:3], 0 offset:500
	buffer_load_dword v130, off, s[0:3], 0 offset:496
	buffer_load_dword v151, off, s[0:3], 0 offset:492
	buffer_load_dword v150, off, s[0:3], 0 offset:488
	buffer_load_dword v155, off, s[0:3], 0 offset:484
	buffer_load_dword v154, off, s[0:3], 0 offset:480
	buffer_load_dword v133, off, s[0:3], 0 offset:540
	buffer_load_dword v132, off, s[0:3], 0 offset:536
	buffer_load_dword v135, off, s[0:3], 0 offset:532
	buffer_load_dword v134, off, s[0:3], 0 offset:528
	buffer_load_dword v159, off, s[0:3], 0 offset:524
	buffer_load_dword v158, off, s[0:3], 0 offset:520
	buffer_load_dword v163, off, s[0:3], 0 offset:516
	buffer_load_dword v162, off, s[0:3], 0 offset:512
	buffer_load_dword v137, off, s[0:3], 0 offset:572
	buffer_load_dword v136, off, s[0:3], 0 offset:568
	buffer_load_dword v141, off, s[0:3], 0 offset:564
	buffer_load_dword v140, off, s[0:3], 0 offset:560
	buffer_load_dword v167, off, s[0:3], 0 offset:556
	buffer_load_dword v166, off, s[0:3], 0 offset:552
	buffer_load_dword v171, off, s[0:3], 0 offset:548
	buffer_load_dword v170, off, s[0:3], 0 offset:544
	buffer_load_dword v145, off, s[0:3], 0 offset:604
	buffer_load_dword v144, off, s[0:3], 0 offset:600
	buffer_load_dword v149, off, s[0:3], 0 offset:596
	buffer_load_dword v148, off, s[0:3], 0 offset:592
	buffer_load_dword v175, off, s[0:3], 0 offset:588
	buffer_load_dword v174, off, s[0:3], 0 offset:584
	buffer_load_dword v179, off, s[0:3], 0 offset:580
	buffer_load_dword v178, off, s[0:3], 0 offset:576
	buffer_load_dword v153, off, s[0:3], 0 offset:636
	buffer_load_dword v152, off, s[0:3], 0 offset:632
	buffer_load_dword v157, off, s[0:3], 0 offset:628
	buffer_load_dword v156, off, s[0:3], 0 offset:624
	buffer_load_dword v183, off, s[0:3], 0 offset:620
	buffer_load_dword v182, off, s[0:3], 0 offset:616
	buffer_load_dword v185, off, s[0:3], 0 offset:612
	buffer_load_dword v184, off, s[0:3], 0 offset:608
	buffer_load_dword v161, off, s[0:3], 0 offset:668
	buffer_load_dword v160, off, s[0:3], 0 offset:664
	buffer_load_dword v165, off, s[0:3], 0 offset:660
	buffer_load_dword v164, off, s[0:3], 0 offset:656
	buffer_load_dword v187, off, s[0:3], 0 offset:652
	buffer_load_dword v186, off, s[0:3], 0 offset:648
	buffer_load_dword v189, off, s[0:3], 0 offset:644
	buffer_load_dword v188, off, s[0:3], 0 offset:640
	buffer_load_dword v169, off, s[0:3], 0 offset:700
	buffer_load_dword v168, off, s[0:3], 0 offset:696
	buffer_load_dword v173, off, s[0:3], 0 offset:692
	buffer_load_dword v172, off, s[0:3], 0 offset:688
	buffer_load_dword v191, off, s[0:3], 0 offset:684
	buffer_load_dword v190, off, s[0:3], 0 offset:680
	buffer_load_dword v193, off, s[0:3], 0 offset:676
	buffer_load_dword v192, off, s[0:3], 0 offset:672
	buffer_load_dword v177, off, s[0:3], 0 offset:732
	buffer_load_dword v176, off, s[0:3], 0 offset:728
	buffer_load_dword v181, off, s[0:3], 0 offset:724
	buffer_load_dword v180, off, s[0:3], 0 offset:720
	buffer_load_dword v195, off, s[0:3], 0 offset:716
	buffer_load_dword v194, off, s[0:3], 0 offset:712
	buffer_load_dword v197, off, s[0:3], 0 offset:708
	buffer_load_dword v196, off, s[0:3], 0 offset:704
	ds_read_b128 v[118:121], v1 offset:1264
	v_accvgpr_write_b32 a163, v23
	v_accvgpr_write_b32 a162, v22
	v_fma_f64 v[250:251], v[98:99], v[104:105], -v[100:101]
	s_waitcnt vmcnt(62)
	v_pk_mov_b32 v[24:25], v[2:3], v[2:3] op_sel:[0,1]
	v_mul_f64 v[2:3], v[78:79], v[60:61]
	v_fmac_f64_e32 v[2:3], v[80:81], v[56:57]
	v_add_f64 v[2:3], v[2:3], 0
	v_add_f64 v[2:3], v[2:3], v[4:5]
	;; [unrolled: 1-line block ×9, first 2 shown]
	s_waitcnt lgkmcnt(1)
	v_mul_f64 v[8:9], v[106:107], v[110:111]
	v_add_f64 v[6:7], v[2:3], v[20:21]
	v_fmac_f64_e32 v[8:9], v[108:109], v[112:113]
	v_add_f64 v[10:11], v[6:7], v[8:9]
	ds_read_b128 v[6:9], v1 offset:1280
	s_waitcnt lgkmcnt(1)
	v_mul_f64 v[12:13], v[118:119], v[122:123]
	v_fmac_f64_e32 v[12:13], v[120:121], v[138:139]
	v_add_f64 v[14:15], v[10:11], v[12:13]
	ds_read_b128 v[10:13], v1 offset:1296
	s_waitcnt lgkmcnt(1)
	v_mul_f64 v[16:17], v[6:7], v[22:23]
	;; [unrolled: 5-line block ×3, first 2 shown]
	v_fmac_f64_e32 v[20:21], v[12:13], v[146:147]
	v_add_f64 v[22:23], v[18:19], v[20:21]
	ds_read_b128 v[18:21], v1 offset:1328
	v_accvgpr_write_b32 a165, v25
	v_accvgpr_write_b32 a164, v24
	s_waitcnt lgkmcnt(1)
	v_mul_f64 v[24:25], v[14:15], v[124:125]
	v_fmac_f64_e32 v[24:25], v[16:17], v[126:127]
	v_add_f64 v[26:27], v[22:23], v[24:25]
	ds_read_b128 v[22:25], v1 offset:1344
	s_waitcnt vmcnt(58) lgkmcnt(1)
	v_mul_f64 v[28:29], v[18:19], v[150:151]
	s_waitcnt vmcnt(56)
	v_fmac_f64_e32 v[28:29], v[20:21], v[154:155]
	v_add_f64 v[30:31], v[26:27], v[28:29]
	ds_read_b128 v[26:29], v1 offset:1360
	s_waitcnt lgkmcnt(1)
	v_mul_f64 v[32:33], v[22:23], v[128:129]
	v_fmac_f64_e32 v[32:33], v[24:25], v[130:131]
	v_add_f64 v[34:35], v[30:31], v[32:33]
	ds_read_b128 v[30:33], v1 offset:1376
	s_waitcnt vmcnt(50) lgkmcnt(1)
	v_mul_f64 v[36:37], v[26:27], v[158:159]
	s_waitcnt vmcnt(48)
	v_fmac_f64_e32 v[36:37], v[28:29], v[162:163]
	v_add_f64 v[38:39], v[34:35], v[36:37]
	ds_read_b128 v[34:37], v1 offset:1392
	;; [unrolled: 11-line block ×4, first 2 shown]
	buffer_load_dword v198, off, s[0:3], 0 offset:760
	buffer_load_dword v203, off, s[0:3], 0 offset:748
	;; [unrolled: 1-line block ×8, first 2 shown]
	s_waitcnt lgkmcnt(1)
	v_mul_f64 v[208:209], v[46:47], v[144:145]
	v_fmac_f64_e32 v[208:209], v[48:49], v[148:149]
	v_add_f64 v[216:217], v[206:207], v[208:209]
	buffer_load_dword v207, off, s[0:3], 0 offset:780
	buffer_load_dword v206, off, s[0:3], 0 offset:776
	buffer_load_dword v209, off, s[0:3], 0 offset:772
	buffer_load_dword v208, off, s[0:3], 0 offset:768
	buffer_load_dword v213, off, s[0:3], 0 offset:796
	buffer_load_dword v212, off, s[0:3], 0 offset:792
	buffer_load_dword v215, off, s[0:3], 0 offset:788
	buffer_load_dword v214, off, s[0:3], 0 offset:784
	buffer_load_dword v210, off, s[0:3], 0 offset:824
	buffer_load_dword v229, off, s[0:3], 0 offset:812
	buffer_load_dword v228, off, s[0:3], 0 offset:808
	buffer_load_dword v233, off, s[0:3], 0 offset:804
	buffer_load_dword v232, off, s[0:3], 0 offset:800
	buffer_load_dword v226, off, s[0:3], 0 offset:816
	buffer_load_dword v211, off, s[0:3], 0 offset:828
	buffer_load_dword v227, off, s[0:3], 0 offset:820
	buffer_load_dword v231, off, s[0:3], 0 offset:844
	buffer_load_dword v230, off, s[0:3], 0 offset:840
	buffer_load_dword v235, off, s[0:3], 0 offset:836
	buffer_load_dword v234, off, s[0:3], 0 offset:832
	v_mul_f64 v[60:61], v[80:81], v[60:61]
	s_waitcnt vmcnt(54) lgkmcnt(0)
	v_mul_f64 v[218:219], v[50:51], v[182:183]
	v_fma_f64 v[224:225], v[78:79], v[56:57], -v[60:61]
	v_mul_f64 v[56:57], v[92:93], v[62:63]
	v_fma_f64 v[2:3], v[90:91], v[54:55], -v[56:57]
	s_waitcnt vmcnt(52)
	v_fmac_f64_e32 v[218:219], v[52:53], v[184:185]
	ds_read_b128 v[54:57], v1 offset:1472
	v_add_f64 v[4:5], v[216:217], v[218:219]
	v_fma_f64 v[216:217], v[114:115], v[68:69], -v[58:59]
	ds_read_b128 v[58:61], v1 offset:1488
	v_mul_f64 v[62:63], v[238:239], v[64:65]
	v_fma_f64 v[218:219], v[236:237], v[66:67], -v[62:63]
	ds_read_b128 v[62:65], v1 offset:1504
	ds_read_b128 v[70:73], v1 offset:1536
	s_waitcnt lgkmcnt(3)
	v_mul_f64 v[68:69], v[54:55], v[152:153]
	v_fmac_f64_e32 v[68:69], v[56:57], v[156:157]
	s_waitcnt vmcnt(46) lgkmcnt(2)
	v_mul_f64 v[66:67], v[58:59], v[186:187]
	v_add_f64 v[4:5], v[4:5], v[68:69]
	s_waitcnt vmcnt(44)
	v_fmac_f64_e32 v[66:67], v[60:61], v[188:189]
	v_add_f64 v[4:5], v[4:5], v[66:67]
	s_waitcnt lgkmcnt(1)
	v_mul_f64 v[66:67], v[62:63], v[160:161]
	v_fmac_f64_e32 v[66:67], v[64:65], v[164:165]
	v_add_f64 v[4:5], v[4:5], v[66:67]
	ds_read_b128 v[66:69], v1 offset:1520
	ds_read_b128 v[74:77], v1 offset:1552
	;; [unrolled: 1-line block ×5, first 2 shown]
	s_waitcnt vmcnt(38) lgkmcnt(4)
	v_mul_f64 v[78:79], v[66:67], v[190:191]
	s_waitcnt vmcnt(36)
	v_fmac_f64_e32 v[78:79], v[68:69], v[192:193]
	v_add_f64 v[4:5], v[4:5], v[78:79]
	v_mul_f64 v[78:79], v[70:71], v[168:169]
	v_fmac_f64_e32 v[78:79], v[72:73], v[172:173]
	v_add_f64 v[4:5], v[4:5], v[78:79]
	s_waitcnt vmcnt(30) lgkmcnt(3)
	v_mul_f64 v[78:79], v[74:75], v[194:195]
	s_waitcnt vmcnt(28)
	v_fmac_f64_e32 v[78:79], v[76:77], v[196:197]
	v_add_f64 v[4:5], v[4:5], v[78:79]
	ds_read_b128 v[78:81], v1 offset:1568
	v_mul_f64 v[108:109], v[108:109], v[110:111]
	v_fma_f64 v[252:253], v[106:107], v[112:113], -v[108:109]
	v_mul_f64 v[120:121], v[120:121], v[122:123]
	v_fma_f64 v[118:119], v[118:119], v[138:139], -v[120:121]
	s_waitcnt lgkmcnt(0)
	v_mul_f64 v[90:91], v[78:79], v[176:177]
	v_fmac_f64_e32 v[90:91], v[80:81], v[180:181]
	v_add_f64 v[4:5], v[4:5], v[90:91]
	ds_read_b128 v[98:101], v1 offset:1648
	ds_read_b128 v[106:109], v1 offset:1680
	s_waitcnt vmcnt(25)
	v_mul_f64 v[90:91], v[82:83], v[202:203]
	s_waitcnt vmcnt(23)
	v_fmac_f64_e32 v[90:91], v[84:85], v[204:205]
	v_add_f64 v[4:5], v[4:5], v[90:91]
	s_waitcnt vmcnt(21)
	v_mul_f64 v[90:91], v[86:87], v[198:199]
	s_waitcnt vmcnt(20)
	v_fmac_f64_e32 v[90:91], v[88:89], v[200:201]
	v_add_f64 v[4:5], v[4:5], v[90:91]
	ds_read_b128 v[90:93], v1 offset:1616
	s_waitcnt vmcnt(14)
	v_mul_f64 v[102:103], v[94:95], v[212:213]
	s_waitcnt vmcnt(9) lgkmcnt(2)
	v_mul_f64 v[110:111], v[98:99], v[228:229]
	v_fmac_f64_e32 v[102:103], v[96:97], v[214:215]
	s_waitcnt vmcnt(7)
	v_fmac_f64_e32 v[110:111], v[100:101], v[232:233]
	s_waitcnt lgkmcnt(0)
	v_mul_f64 v[114:115], v[90:91], v[206:207]
	v_fmac_f64_e32 v[114:115], v[92:93], v[208:209]
	v_add_f64 v[4:5], v[4:5], v[114:115]
	v_add_f64 v[4:5], v[4:5], v[102:103]
	ds_read_b128 v[102:105], v1 offset:1664
	buffer_load_dword v236, off, s[0:3], 0 offset:856
	buffer_load_dword v237, off, s[0:3], 0 offset:860
	;; [unrolled: 1-line block ×4, first 2 shown]
	v_add_f64 v[4:5], v[4:5], v[110:111]
	s_waitcnt vmcnt(9) lgkmcnt(0)
	v_mul_f64 v[110:111], v[102:103], v[210:211]
	s_waitcnt vmcnt(8)
	v_fmac_f64_e32 v[110:111], v[104:105], v[226:227]
	v_add_f64 v[4:5], v[4:5], v[110:111]
	s_waitcnt vmcnt(6)
	v_mul_f64 v[110:111], v[106:107], v[230:231]
	s_waitcnt vmcnt(4)
	v_fmac_f64_e32 v[110:111], v[108:109], v[234:235]
	v_add_f64 v[4:5], v[4:5], v[110:111]
	ds_read_b128 v[110:113], v1 offset:1696
	buffer_load_dword v243, off, s[0:3], 0 offset:876
	buffer_load_dword v242, off, s[0:3], 0 offset:872
	;; [unrolled: 1-line block ×4, first 2 shown]
	s_waitcnt vmcnt(6) lgkmcnt(0)
	v_mul_f64 v[114:115], v[110:111], v[236:237]
	s_waitcnt vmcnt(4)
	v_fmac_f64_e32 v[114:115], v[112:113], v[238:239]
	v_add_f64 v[4:5], v[4:5], v[114:115]
	ds_read_b128 v[114:117], v1 offset:1712
	s_waitcnt vmcnt(2) lgkmcnt(0)
	v_mul_f64 v[222:223], v[114:115], v[242:243]
	s_waitcnt vmcnt(0)
	v_fmac_f64_e32 v[222:223], v[116:117], v[244:245]
	v_add_f64 v[4:5], v[4:5], v[222:223]
	v_add_f64 v[222:223], v[224:225], 0
	;; [unrolled: 1-line block ×8, first 2 shown]
	buffer_load_dword v248, off, s[0:3], 0 offset:224
	buffer_load_dword v249, off, s[0:3], 0 offset:228
	;; [unrolled: 1-line block ×4, first 2 shown]
	v_add_f64 v[2:3], v[2:3], v[254:255]
	v_add_f64 v[254:255], v[2:3], v[220:221]
	;; [unrolled: 1-line block ×5, first 2 shown]
	v_accvgpr_read_b32 v118, a162
	v_accvgpr_read_b32 v119, a163
	v_mul_f64 v[8:9], v[8:9], v[118:119]
	v_accvgpr_read_b32 v118, a164
	v_accvgpr_read_b32 v119, a165
	v_fma_f64 v[6:7], v[6:7], v[118:119], -v[8:9]
	v_add_f64 v[2:3], v[2:3], v[6:7]
	v_mul_f64 v[6:7], v[12:13], v[142:143]
	v_fma_f64 v[6:7], v[10:11], v[146:147], -v[6:7]
	v_add_f64 v[2:3], v[2:3], v[6:7]
	v_mul_f64 v[6:7], v[16:17], v[124:125]
	;; [unrolled: 3-line block ×27, first 2 shown]
	v_fma_f64 v[6:7], v[114:115], v[244:245], -v[6:7]
	v_add_f64 v[2:3], v[2:3], v[6:7]
	s_waitcnt vmcnt(2)
	v_add_f64 v[2:3], v[248:249], -v[2:3]
	s_waitcnt vmcnt(0)
	v_add_f64 v[4:5], v[246:247], -v[4:5]
	buffer_store_dword v3, off, s[0:3], 0 offset:228
	buffer_store_dword v2, off, s[0:3], 0 offset:224
	;; [unrolled: 1-line block ×4, first 2 shown]
	s_and_saveexec_b64 s[4:5], vcc
	s_cbranch_execz .LBB117_313
; %bb.312:
	v_accvgpr_read_b32 v1, a149
	buffer_load_dword v2, v1, s[0:3], 0 offen
	buffer_load_dword v3, v1, s[0:3], 0 offen offset:4
	buffer_load_dword v4, v1, s[0:3], 0 offen offset:8
	;; [unrolled: 1-line block ×3, first 2 shown]
	v_mov_b32_e32 v1, 0
	v_accvgpr_read_b32 v6, a161
	buffer_store_dword v1, off, s[0:3], 0 offset:208
	buffer_store_dword v1, off, s[0:3], 0 offset:212
	;; [unrolled: 1-line block ×4, first 2 shown]
	s_waitcnt vmcnt(4)
	ds_write_b128 v6, v[2:5]
.LBB117_313:
	s_or_b64 exec, exec, s[4:5]
	s_waitcnt lgkmcnt(0)
	; wave barrier
	s_waitcnt lgkmcnt(0)
	buffer_load_dword v54, off, s[0:3], 0 offset:224
	buffer_load_dword v55, off, s[0:3], 0 offset:228
	;; [unrolled: 1-line block ×46, first 2 shown]
	v_mov_b32_e32 v1, 0
	v_cmp_lt_u32_e32 vcc, 11, v0
	s_waitcnt vmcnt(0)
	v_pk_mov_b32 v[22:23], v[2:3], v[2:3] op_sel:[0,1]
	buffer_load_dword v3, off, s[0:3], 0 offset:420
	buffer_load_dword v2, off, s[0:3], 0 offset:416
	;; [unrolled: 1-line block ×3, first 2 shown]
	ds_read_b128 v[94:97], v1 offset:1072
	ds_read_b128 v[108:111], v1 offset:1088
	;; [unrolled: 1-line block ×11, first 2 shown]
	buffer_load_dword v106, off, s[0:3], 0 offset:408
	buffer_load_dword v117, off, s[0:3], 0 offset:404
	;; [unrolled: 1-line block ×75, first 2 shown]
	s_waitcnt lgkmcnt(9)
	v_mul_f64 v[4:5], v[108:109], v[62:63]
	s_waitcnt lgkmcnt(8)
	v_mul_f64 v[6:7], v[112:113], v[60:61]
	v_fmac_f64_e32 v[4:5], v[110:111], v[58:59]
	s_waitcnt lgkmcnt(7)
	v_mul_f64 v[8:9], v[220:221], v[68:69]
	v_fmac_f64_e32 v[6:7], v[114:115], v[84:85]
	;; [unrolled: 3-line block ×5, first 2 shown]
	ds_read_b128 v[232:235], v1 offset:1248
	ds_read_b128 v[118:121], v1 offset:1264
	s_waitcnt lgkmcnt(5)
	v_mul_f64 v[16:17], v[248:249], v[78:79]
	v_fmac_f64_e32 v[14:15], v[246:247], v[76:77]
	s_waitcnt lgkmcnt(4)
	v_mul_f64 v[18:19], v[252:253], v[86:87]
	v_fmac_f64_e32 v[16:17], v[250:251], v[80:81]
	;; [unrolled: 3-line block ×3, first 2 shown]
	v_fmac_f64_e32 v[20:21], v[218:219], v[92:93]
	v_accvgpr_write_b32 a163, v23
	v_accvgpr_write_b32 a162, v22
	v_mul_f64 v[62:63], v[110:111], v[62:63]
	v_mul_f64 v[74:75], v[246:247], v[74:75]
	v_fma_f64 v[246:247], v[244:245], v[76:77], -v[74:75]
	v_mul_f64 v[78:79], v[250:251], v[78:79]
	v_fma_f64 v[248:249], v[248:249], v[80:81], -v[78:79]
	v_mul_f64 v[86:87], v[254:255], v[86:87]
	v_mul_f64 v[90:91], v[218:219], v[90:91]
	v_fma_f64 v[252:253], v[252:253], v[88:89], -v[86:87]
	v_fma_f64 v[254:255], v[216:217], v[92:93], -v[90:91]
	s_waitcnt vmcnt(62)
	v_pk_mov_b32 v[24:25], v[2:3], v[2:3] op_sel:[0,1]
	v_mul_f64 v[2:3], v[94:95], v[56:57]
	v_fmac_f64_e32 v[2:3], v[96:97], v[54:55]
	v_add_f64 v[2:3], v[2:3], 0
	v_add_f64 v[2:3], v[2:3], v[4:5]
	;; [unrolled: 1-line block ×9, first 2 shown]
	s_waitcnt lgkmcnt(2)
	v_mul_f64 v[4:5], v[98:99], v[102:103]
	v_add_f64 v[2:3], v[2:3], v[20:21]
	v_fmac_f64_e32 v[4:5], v[100:101], v[104:105]
	s_waitcnt lgkmcnt(1)
	v_mul_f64 v[8:9], v[232:233], v[106:107]
	v_add_f64 v[6:7], v[2:3], v[4:5]
	v_fmac_f64_e32 v[8:9], v[234:235], v[116:117]
	s_waitcnt lgkmcnt(0)
	v_mul_f64 v[12:13], v[118:119], v[22:23]
	v_add_f64 v[10:11], v[6:7], v[8:9]
	ds_read_b128 v[6:9], v1 offset:1280
	v_fmac_f64_e32 v[12:13], v[120:121], v[24:25]
	v_add_f64 v[14:15], v[10:11], v[12:13]
	ds_read_b128 v[10:13], v1 offset:1296
	v_accvgpr_write_b32 a165, v25
	s_waitcnt lgkmcnt(1)
	v_mul_f64 v[16:17], v[6:7], v[138:139]
	v_fmac_f64_e32 v[16:17], v[8:9], v[142:143]
	v_add_f64 v[18:19], v[14:15], v[16:17]
	s_waitcnt lgkmcnt(0)
	v_mul_f64 v[20:21], v[10:11], v[122:123]
	ds_read_b128 v[14:17], v1 offset:1312
	v_fmac_f64_e32 v[20:21], v[12:13], v[124:125]
	v_add_f64 v[22:23], v[18:19], v[20:21]
	ds_read_b128 v[18:21], v1 offset:1328
	v_accvgpr_write_b32 a164, v24
	s_waitcnt vmcnt(58) lgkmcnt(1)
	v_mul_f64 v[24:25], v[14:15], v[146:147]
	s_waitcnt vmcnt(56)
	v_fmac_f64_e32 v[24:25], v[16:17], v[150:151]
	v_add_f64 v[26:27], v[22:23], v[24:25]
	s_waitcnt lgkmcnt(0)
	v_mul_f64 v[28:29], v[18:19], v[126:127]
	ds_read_b128 v[22:25], v1 offset:1344
	v_fmac_f64_e32 v[28:29], v[20:21], v[128:129]
	v_add_f64 v[30:31], v[26:27], v[28:29]
	ds_read_b128 v[26:29], v1 offset:1360
	v_mul_f64 v[56:57], v[96:97], v[56:57]
	s_waitcnt vmcnt(50) lgkmcnt(1)
	v_mul_f64 v[32:33], v[22:23], v[154:155]
	s_waitcnt vmcnt(48)
	v_fmac_f64_e32 v[32:33], v[24:25], v[158:159]
	v_add_f64 v[34:35], v[30:31], v[32:33]
	s_waitcnt lgkmcnt(0)
	v_mul_f64 v[36:37], v[26:27], v[130:131]
	ds_read_b128 v[30:33], v1 offset:1376
	v_fmac_f64_e32 v[36:37], v[28:29], v[132:133]
	v_add_f64 v[38:39], v[34:35], v[36:37]
	ds_read_b128 v[34:37], v1 offset:1392
	v_fma_f64 v[2:3], v[94:95], v[54:55], -v[56:57]
	s_waitcnt vmcnt(42) lgkmcnt(1)
	v_mul_f64 v[40:41], v[30:31], v[162:163]
	s_waitcnt vmcnt(40)
	v_fmac_f64_e32 v[40:41], v[32:33], v[166:167]
	v_add_f64 v[42:43], v[38:39], v[40:41]
	s_waitcnt lgkmcnt(0)
	v_mul_f64 v[44:45], v[34:35], v[134:135]
	ds_read_b128 v[38:41], v1 offset:1408
	v_fmac_f64_e32 v[44:45], v[36:37], v[136:137]
	v_add_f64 v[46:47], v[42:43], v[44:45]
	ds_read_b128 v[42:45], v1 offset:1424
	v_fma_f64 v[94:95], v[108:109], v[58:59], -v[62:63]
	s_waitcnt vmcnt(34) lgkmcnt(1)
	v_mul_f64 v[48:49], v[38:39], v[170:171]
	s_waitcnt vmcnt(32)
	v_fmac_f64_e32 v[48:49], v[40:41], v[174:175]
	v_add_f64 v[50:51], v[46:47], v[48:49]
	s_waitcnt lgkmcnt(0)
	v_mul_f64 v[52:53], v[42:43], v[140:141]
	v_fmac_f64_e32 v[52:53], v[44:45], v[144:145]
	ds_read_b128 v[46:49], v1 offset:1440
	v_add_f64 v[198:199], v[50:51], v[52:53]
	ds_read_b128 v[50:53], v1 offset:1456
	buffer_load_dword v195, off, s[0:3], 0 offset:732
	buffer_load_dword v194, off, s[0:3], 0 offset:728
	;; [unrolled: 1-line block ×4, first 2 shown]
	v_mul_f64 v[58:59], v[114:115], v[60:61]
	s_waitcnt vmcnt(30) lgkmcnt(1)
	v_mul_f64 v[200:201], v[46:47], v[178:179]
	s_waitcnt vmcnt(28)
	v_fmac_f64_e32 v[200:201], v[48:49], v[180:181]
	v_add_f64 v[224:225], v[198:199], v[200:201]
	buffer_load_dword v200, off, s[0:3], 0 offset:744
	buffer_load_dword v202, off, s[0:3], 0 offset:736
	;; [unrolled: 1-line block ×12, first 2 shown]
	ds_read_b128 v[54:57], v1 offset:1472
	s_waitcnt lgkmcnt(1)
	v_mul_f64 v[4:5], v[50:51], v[148:149]
	v_fma_f64 v[96:97], v[112:113], v[84:85], -v[58:59]
	v_fmac_f64_e32 v[4:5], v[52:53], v[152:153]
	v_mul_f64 v[58:59], v[222:223], v[68:69]
	v_add_f64 v[4:5], v[224:225], v[4:5]
	v_fma_f64 v[224:225], v[220:221], v[82:83], -v[58:59]
	s_waitcnt vmcnt(34) lgkmcnt(0)
	v_mul_f64 v[58:59], v[54:55], v[182:183]
	s_waitcnt vmcnt(32)
	v_fmac_f64_e32 v[58:59], v[56:57], v[184:185]
	buffer_load_dword v211, off, s[0:3], 0 offset:796
	buffer_load_dword v210, off, s[0:3], 0 offset:792
	;; [unrolled: 1-line block ×16, first 2 shown]
	v_add_f64 v[4:5], v[4:5], v[58:59]
	ds_read_b128 v[58:61], v1 offset:1488
	v_mul_f64 v[62:63], v[238:239], v[64:65]
	v_fma_f64 v[108:109], v[236:237], v[66:67], -v[62:63]
	ds_read_b128 v[62:65], v1 offset:1504
	v_mul_f64 v[66:67], v[242:243], v[70:71]
	v_fma_f64 v[240:241], v[240:241], v[72:73], -v[66:67]
	ds_read_b128 v[66:69], v1 offset:1520
	ds_read_b128 v[74:77], v1 offset:1552
	s_waitcnt lgkmcnt(3)
	v_mul_f64 v[82:83], v[58:59], v[156:157]
	v_fmac_f64_e32 v[82:83], v[60:61], v[160:161]
	s_waitcnt vmcnt(42) lgkmcnt(2)
	v_mul_f64 v[70:71], v[62:63], v[186:187]
	v_add_f64 v[4:5], v[4:5], v[82:83]
	s_waitcnt vmcnt(40)
	v_fmac_f64_e32 v[70:71], v[64:65], v[188:189]
	v_add_f64 v[4:5], v[4:5], v[70:71]
	s_waitcnt lgkmcnt(1)
	v_mul_f64 v[70:71], v[66:67], v[164:165]
	v_fmac_f64_e32 v[70:71], v[68:69], v[168:169]
	v_add_f64 v[4:5], v[4:5], v[70:71]
	ds_read_b128 v[70:73], v1 offset:1536
	ds_read_b128 v[78:81], v1 offset:1568
	v_mul_f64 v[100:101], v[100:101], v[102:103]
	v_mul_f64 v[102:103], v[234:235], v[106:107]
	v_fma_f64 v[102:103], v[232:233], v[116:117], -v[102:103]
	s_waitcnt vmcnt(34) lgkmcnt(1)
	v_mul_f64 v[82:83], v[70:71], v[190:191]
	s_waitcnt vmcnt(32)
	v_fmac_f64_e32 v[82:83], v[72:73], v[192:193]
	v_add_f64 v[4:5], v[4:5], v[82:83]
	v_mul_f64 v[82:83], v[74:75], v[172:173]
	v_fmac_f64_e32 v[82:83], v[76:77], v[176:177]
	v_add_f64 v[4:5], v[4:5], v[82:83]
	v_accvgpr_write_b32 a167, v103
	ds_read_b128 v[90:93], v1 offset:1616
	ds_read_b128 v[216:219], v1 offset:1632
	v_fma_f64 v[250:251], v[98:99], v[104:105], -v[100:101]
	ds_read_b128 v[98:101], v1 offset:1648
	v_accvgpr_write_b32 a166, v102
	ds_read_b128 v[102:105], v1 offset:1664
	ds_read_b128 v[232:235], v1 offset:1680
	v_add_f64 v[2:3], v[2:3], 0
	ds_read_b128 v[86:89], v1 offset:1600
	v_add_f64 v[2:3], v[2:3], v[94:95]
	v_add_f64 v[2:3], v[2:3], v[96:97]
	;; [unrolled: 1-line block ×9, first 2 shown]
	v_accvgpr_read_b32 v94, a162
	v_add_f64 v[252:253], v[2:3], v[250:251]
	v_accvgpr_read_b32 v2, a166
	v_accvgpr_read_b32 v95, a163
	;; [unrolled: 1-line block ×4, first 2 shown]
	v_mul_f64 v[94:95], v[120:121], v[94:95]
	v_accvgpr_read_b32 v97, a165
	v_add_f64 v[2:3], v[252:253], v[2:3]
	v_fma_f64 v[94:95], v[118:119], v[96:97], -v[94:95]
	v_mul_f64 v[8:9], v[8:9], v[138:139]
	s_waitcnt vmcnt(30) lgkmcnt(6)
	v_mul_f64 v[82:83], v[78:79], v[194:195]
	v_add_f64 v[2:3], v[2:3], v[94:95]
	s_waitcnt vmcnt(28)
	v_fmac_f64_e32 v[82:83], v[80:81], v[196:197]
	v_add_f64 v[4:5], v[4:5], v[82:83]
	ds_read_b128 v[82:85], v1 offset:1584
	buffer_load_dword v237, off, s[0:3], 0 offset:860
	buffer_load_dword v236, off, s[0:3], 0 offset:856
	;; [unrolled: 1-line block ×4, first 2 shown]
	v_fma_f64 v[6:7], v[6:7], v[142:143], -v[8:9]
	v_add_f64 v[2:3], v[2:3], v[6:7]
	v_mul_f64 v[6:7], v[12:13], v[122:123]
	s_waitcnt vmcnt(29) lgkmcnt(0)
	v_mul_f64 v[110:111], v[82:83], v[200:201]
	s_waitcnt vmcnt(28)
	v_fmac_f64_e32 v[110:111], v[84:85], v[202:203]
	v_add_f64 v[4:5], v[4:5], v[110:111]
	s_waitcnt vmcnt(25)
	v_mul_f64 v[110:111], v[86:87], v[204:205]
	s_waitcnt vmcnt(23)
	v_fmac_f64_e32 v[110:111], v[88:89], v[208:209]
	v_add_f64 v[4:5], v[4:5], v[110:111]
	s_waitcnt vmcnt(22)
	;; [unrolled: 5-line block ×6, first 2 shown]
	v_mul_f64 v[110:111], v[232:233], v[220:221]
	s_waitcnt vmcnt(4)
	v_fmac_f64_e32 v[110:111], v[234:235], v[222:223]
	v_add_f64 v[4:5], v[4:5], v[110:111]
	ds_read_b128 v[110:113], v1 offset:1696
	buffer_load_dword v242, off, s[0:3], 0 offset:872
	buffer_load_dword v243, off, s[0:3], 0 offset:876
	;; [unrolled: 1-line block ×4, first 2 shown]
	v_fma_f64 v[6:7], v[10:11], v[124:125], -v[6:7]
	v_add_f64 v[2:3], v[2:3], v[6:7]
	v_mul_f64 v[6:7], v[16:17], v[146:147]
	v_fma_f64 v[6:7], v[14:15], v[150:151], -v[6:7]
	v_add_f64 v[2:3], v[2:3], v[6:7]
	v_mul_f64 v[6:7], v[20:21], v[126:127]
	;; [unrolled: 3-line block ×17, first 2 shown]
	s_waitcnt vmcnt(6) lgkmcnt(0)
	v_mul_f64 v[114:115], v[110:111], v[236:237]
	v_fma_f64 v[6:7], v[78:79], v[196:197], -v[6:7]
	s_waitcnt vmcnt(4)
	v_fmac_f64_e32 v[114:115], v[112:113], v[238:239]
	v_add_f64 v[4:5], v[4:5], v[114:115]
	ds_read_b128 v[114:117], v1 offset:1712
	buffer_load_dword v248, off, s[0:3], 0 offset:208
	buffer_load_dword v249, off, s[0:3], 0 offset:212
	;; [unrolled: 1-line block ×4, first 2 shown]
	v_add_f64 v[2:3], v[2:3], v[6:7]
	v_mul_f64 v[6:7], v[84:85], v[200:201]
	v_fma_f64 v[6:7], v[82:83], v[202:203], -v[6:7]
	v_add_f64 v[2:3], v[2:3], v[6:7]
	v_mul_f64 v[6:7], v[88:89], v[204:205]
	v_fma_f64 v[6:7], v[86:87], v[208:209], -v[6:7]
	;; [unrolled: 3-line block ×8, first 2 shown]
	v_add_f64 v[2:3], v[2:3], v[6:7]
	s_waitcnt vmcnt(6) lgkmcnt(0)
	v_mul_f64 v[6:7], v[116:117], v[242:243]
	v_mul_f64 v[106:107], v[114:115], v[242:243]
	s_waitcnt vmcnt(4)
	v_fma_f64 v[6:7], v[114:115], v[244:245], -v[6:7]
	v_fmac_f64_e32 v[106:107], v[116:117], v[244:245]
	v_add_f64 v[2:3], v[2:3], v[6:7]
	v_add_f64 v[4:5], v[4:5], v[106:107]
	s_waitcnt vmcnt(2)
	v_add_f64 v[2:3], v[248:249], -v[2:3]
	s_waitcnt vmcnt(0)
	v_add_f64 v[4:5], v[246:247], -v[4:5]
	buffer_store_dword v3, off, s[0:3], 0 offset:212
	buffer_store_dword v2, off, s[0:3], 0 offset:208
	;; [unrolled: 1-line block ×4, first 2 shown]
	s_and_saveexec_b64 s[4:5], vcc
	s_cbranch_execz .LBB117_315
; %bb.314:
	v_accvgpr_read_b32 v5, a150
	buffer_load_dword v2, v5, s[0:3], 0 offen
	buffer_load_dword v3, v5, s[0:3], 0 offen offset:4
	buffer_load_dword v4, v5, s[0:3], 0 offen offset:8
	s_nop 0
	buffer_load_dword v5, v5, s[0:3], 0 offen offset:12
	v_accvgpr_read_b32 v6, a161
	buffer_store_dword v1, off, s[0:3], 0 offset:192
	buffer_store_dword v1, off, s[0:3], 0 offset:196
	;; [unrolled: 1-line block ×4, first 2 shown]
	s_waitcnt vmcnt(4)
	ds_write_b128 v6, v[2:5]
.LBB117_315:
	s_or_b64 exec, exec, s[4:5]
	s_waitcnt lgkmcnt(0)
	; wave barrier
	s_waitcnt lgkmcnt(0)
	buffer_load_dword v58, off, s[0:3], 0 offset:208
	buffer_load_dword v59, off, s[0:3], 0 offset:212
	;; [unrolled: 1-line block ×42, first 2 shown]
	ds_read_b128 v[110:113], v1 offset:1056
	ds_read_b128 v[114:117], v1 offset:1072
	;; [unrolled: 1-line block ×10, first 2 shown]
	buffer_load_dword v227, off, s[0:3], 0 offset:356
	buffer_load_dword v226, off, s[0:3], 0 offset:352
	ds_read_b128 v[90:93], v1 offset:1216
	buffer_load_dword v105, off, s[0:3], 0 offset:412
	buffer_load_dword v104, off, s[0:3], 0 offset:408
	;; [unrolled: 1-line block ×6, first 2 shown]
	v_cmp_lt_u32_e32 vcc, 10, v0
	s_waitcnt vmcnt(46) lgkmcnt(10)
	v_mul_f64 v[2:3], v[110:111], v[60:61]
	v_fmac_f64_e32 v[2:3], v[112:113], v[58:59]
	v_add_f64 v[2:3], v[2:3], 0
	v_mul_f64 v[60:61], v[112:113], v[60:61]
	s_waitcnt vmcnt(42) lgkmcnt(9)
	v_mul_f64 v[4:5], v[114:115], v[62:63]
	v_fmac_f64_e32 v[4:5], v[116:117], v[56:57]
	v_add_f64 v[2:3], v[2:3], v[4:5]
	buffer_load_dword v233, off, s[0:3], 0 offset:388
	buffer_load_dword v232, off, s[0:3], 0 offset:384
	;; [unrolled: 1-line block ×4, first 2 shown]
	s_waitcnt vmcnt(44) lgkmcnt(8)
	v_mul_f64 v[6:7], v[210:211], v[228:229]
	s_waitcnt vmcnt(42) lgkmcnt(6)
	v_mul_f64 v[10:11], v[218:219], v[64:65]
	s_waitcnt vmcnt(40)
	v_fmac_f64_e32 v[10:11], v[220:221], v[66:67]
	s_waitcnt vmcnt(38)
	v_mul_f64 v[8:9], v[214:215], v[68:69]
	s_waitcnt vmcnt(36) lgkmcnt(4)
	v_mul_f64 v[14:15], v[240:241], v[70:71]
	s_waitcnt vmcnt(34)
	v_fmac_f64_e32 v[14:15], v[242:243], v[72:73]
	s_waitcnt vmcnt(32)
	v_mul_f64 v[12:13], v[236:237], v[74:75]
	s_waitcnt vmcnt(30) lgkmcnt(2)
	v_mul_f64 v[18:19], v[248:249], v[78:79]
	v_mul_f64 v[78:79], v[250:251], v[78:79]
	s_waitcnt vmcnt(27)
	v_mul_f64 v[16:17], v[244:245], v[76:77]
	s_waitcnt vmcnt(25) lgkmcnt(1)
	v_mul_f64 v[20:21], v[82:83], v[86:87]
	s_waitcnt vmcnt(23)
	v_fmac_f64_e32 v[6:7], v[212:213], v[100:101]
	v_add_f64 v[2:3], v[2:3], v[6:7]
	s_waitcnt vmcnt(21)
	v_fmac_f64_e32 v[8:9], v[216:217], v[98:99]
	v_add_f64 v[2:3], v[2:3], v[8:9]
	s_waitcnt vmcnt(19)
	v_fmac_f64_e32 v[12:13], v[238:239], v[94:95]
	v_add_f64 v[2:3], v[2:3], v[10:11]
	v_add_f64 v[2:3], v[2:3], v[12:13]
	s_waitcnt vmcnt(17)
	v_fmac_f64_e32 v[16:17], v[246:247], v[88:89]
	v_add_f64 v[2:3], v[2:3], v[14:15]
	s_waitcnt vmcnt(16)
	v_fmac_f64_e32 v[18:19], v[250:251], v[80:81]
	v_add_f64 v[2:3], v[2:3], v[16:17]
	v_add_f64 v[2:3], v[2:3], v[18:19]
	v_fma_f64 v[248:249], v[248:249], v[80:81], -v[78:79]
	s_waitcnt vmcnt(10)
	v_fmac_f64_e32 v[20:21], v[84:85], v[226:227]
	v_add_f64 v[2:3], v[2:3], v[20:21]
	v_mul_f64 v[84:85], v[84:85], v[86:87]
	s_waitcnt vmcnt(0)
	v_pk_mov_b32 v[18:19], v[4:5], v[4:5] op_sel:[0,1]
	buffer_load_dword v5, off, s[0:3], 0 offset:436
	buffer_load_dword v4, off, s[0:3], 0 offset:432
	v_accvgpr_write_b32 a163, v19
	v_accvgpr_write_b32 a162, v18
	s_waitcnt vmcnt(0)
	v_pk_mov_b32 v[22:23], v[4:5], v[4:5] op_sel:[0,1]
	buffer_load_dword v135, off, s[0:3], 0 offset:428
	buffer_load_dword v134, off, s[0:3], 0 offset:424
	;; [unrolled: 1-line block ×6, first 2 shown]
	v_accvgpr_write_b32 a165, v23
	v_accvgpr_write_b32 a164, v22
	s_waitcnt vmcnt(0)
	v_pk_mov_b32 v[26:27], v[4:5], v[4:5] op_sel:[0,1]
	buffer_load_dword v5, off, s[0:3], 0 offset:468
	buffer_load_dword v4, off, s[0:3], 0 offset:464
	;; [unrolled: 1-line block ×62, first 2 shown]
	ds_read_b128 v[252:255], v1 offset:1232
	ds_read_b128 v[222:225], v1 offset:1248
	;; [unrolled: 1-line block ×4, first 2 shown]
	v_accvgpr_write_b32 a167, v27
	v_accvgpr_write_b32 a166, v26
	s_waitcnt lgkmcnt(2)
	v_mul_f64 v[8:9], v[222:223], v[104:105]
	v_fmac_f64_e32 v[8:9], v[224:225], v[106:107]
	s_waitcnt lgkmcnt(1)
	v_mul_f64 v[12:13], v[118:119], v[134:135]
	v_fmac_f64_e32 v[12:13], v[120:121], v[138:139]
	;; [unrolled: 3-line block ×3, first 2 shown]
	s_waitcnt vmcnt(60)
	v_pk_mov_b32 v[28:29], v[4:5], v[4:5] op_sel:[0,1]
	v_mul_f64 v[4:5], v[90:91], v[96:97]
	v_fmac_f64_e32 v[4:5], v[92:93], v[102:103]
	v_add_f64 v[2:3], v[2:3], v[4:5]
	v_mul_f64 v[4:5], v[252:253], v[108:109]
	v_fmac_f64_e32 v[4:5], v[254:255], v[232:233]
	v_add_f64 v[6:7], v[2:3], v[4:5]
	v_add_f64 v[10:11], v[6:7], v[8:9]
	;; [unrolled: 1-line block ×3, first 2 shown]
	ds_read_b128 v[10:13], v1 offset:1296
	v_add_f64 v[18:19], v[14:15], v[16:17]
	ds_read_b128 v[14:17], v1 offset:1312
	v_accvgpr_write_b32 a169, v29
	v_accvgpr_write_b32 a168, v28
	s_waitcnt vmcnt(58) lgkmcnt(1)
	v_mul_f64 v[20:21], v[10:11], v[142:143]
	s_waitcnt vmcnt(56)
	v_fmac_f64_e32 v[20:21], v[12:13], v[146:147]
	v_add_f64 v[22:23], v[18:19], v[20:21]
	ds_read_b128 v[18:21], v1 offset:1328
	s_waitcnt lgkmcnt(1)
	v_mul_f64 v[24:25], v[14:15], v[26:27]
	v_fmac_f64_e32 v[24:25], v[16:17], v[28:29]
	v_add_f64 v[26:27], v[22:23], v[24:25]
	ds_read_b128 v[22:25], v1 offset:1344
	s_waitcnt vmcnt(50) lgkmcnt(1)
	v_mul_f64 v[28:29], v[18:19], v[150:151]
	s_waitcnt vmcnt(48)
	v_fmac_f64_e32 v[28:29], v[20:21], v[154:155]
	v_add_f64 v[30:31], v[26:27], v[28:29]
	ds_read_b128 v[26:29], v1 offset:1360
	s_waitcnt lgkmcnt(1)
	v_mul_f64 v[32:33], v[22:23], v[126:127]
	v_fmac_f64_e32 v[32:33], v[24:25], v[128:129]
	v_add_f64 v[34:35], v[30:31], v[32:33]
	ds_read_b128 v[30:33], v1 offset:1376
	;; [unrolled: 11-line block ×4, first 2 shown]
	s_waitcnt vmcnt(26) lgkmcnt(1)
	v_mul_f64 v[52:53], v[42:43], v[174:175]
	s_waitcnt vmcnt(24)
	v_fmac_f64_e32 v[52:53], v[44:45], v[176:177]
	v_add_f64 v[234:235], v[50:51], v[52:53]
	ds_read_b128 v[50:53], v1 offset:1456
	buffer_load_dword v125, off, s[0:3], 0 offset:716
	buffer_load_dword v124, off, s[0:3], 0 offset:712
	;; [unrolled: 1-line block ×20, first 2 shown]
	v_mul_f64 v[4:5], v[116:117], v[62:63]
	v_fma_f64 v[6:7], v[114:115], v[56:57], -v[4:5]
	v_mul_f64 v[56:57], v[212:213], v[228:229]
	v_fma_f64 v[8:9], v[110:111], v[58:59], -v[60:61]
	v_fma_f64 v[110:111], v[210:211], v[100:101], -v[56:57]
	v_mul_f64 v[56:57], v[216:217], v[68:69]
	v_fma_f64 v[112:113], v[214:215], v[98:99], -v[56:57]
	buffer_load_dword v212, off, s[0:3], 0 offset:792
	buffer_load_dword v214, off, s[0:3], 0 offset:784
	;; [unrolled: 1-line block ×12, first 2 shown]
	s_waitcnt lgkmcnt(1)
	v_mul_f64 v[54:55], v[46:47], v[144:145]
	v_fmac_f64_e32 v[54:55], v[48:49], v[148:149]
	v_add_f64 v[58:59], v[234:235], v[54:55]
	v_mul_f64 v[54:55], v[220:221], v[64:65]
	s_waitcnt vmcnt(50) lgkmcnt(0)
	v_mul_f64 v[60:61], v[50:51], v[178:179]
	v_fma_f64 v[220:221], v[218:219], v[66:67], -v[54:55]
	buffer_load_dword v219, off, s[0:3], 0 offset:844
	buffer_load_dword v218, off, s[0:3], 0 offset:840
	;; [unrolled: 1-line block ×4, first 2 shown]
	ds_read_b128 v[54:57], v1 offset:1472
	s_waitcnt vmcnt(52)
	v_fmac_f64_e32 v[60:61], v[52:53], v[180:181]
	v_add_f64 v[62:63], v[58:59], v[60:61]
	v_mul_f64 v[58:59], v[238:239], v[74:75]
	v_fma_f64 v[236:237], v[236:237], v[94:95], -v[58:59]
	ds_read_b128 v[58:61], v1 offset:1488
	s_waitcnt lgkmcnt(1)
	v_mul_f64 v[64:65], v[54:55], v[152:153]
	v_fmac_f64_e32 v[64:65], v[56:57], v[156:157]
	v_add_f64 v[74:75], v[62:63], v[64:65]
	ds_read_b128 v[62:65], v1 offset:1504
	v_mul_f64 v[66:67], v[242:243], v[70:71]
	s_waitcnt vmcnt(46) lgkmcnt(1)
	v_mul_f64 v[70:71], v[58:59], v[182:183]
	v_fma_f64 v[240:241], v[240:241], v[72:73], -v[66:67]
	ds_read_b128 v[66:69], v1 offset:1520
	s_waitcnt vmcnt(44)
	v_fmac_f64_e32 v[70:71], v[60:61], v[184:185]
	v_add_f64 v[74:75], v[74:75], v[70:71]
	v_mul_f64 v[70:71], v[246:247], v[76:77]
	v_fma_f64 v[246:247], v[244:245], v[88:89], -v[70:71]
	ds_read_b128 v[70:73], v1 offset:1536
	ds_read_b128 v[78:81], v1 offset:1568
	s_waitcnt lgkmcnt(3)
	v_mul_f64 v[94:95], v[62:63], v[160:161]
	v_fmac_f64_e32 v[94:95], v[64:65], v[164:165]
	s_waitcnt vmcnt(38) lgkmcnt(2)
	v_mul_f64 v[76:77], v[66:67], v[186:187]
	v_add_f64 v[74:75], v[74:75], v[94:95]
	s_waitcnt vmcnt(36)
	v_fmac_f64_e32 v[76:77], v[68:69], v[188:189]
	v_add_f64 v[74:75], v[74:75], v[76:77]
	s_waitcnt lgkmcnt(1)
	v_mul_f64 v[76:77], v[70:71], v[168:169]
	v_fmac_f64_e32 v[76:77], v[72:73], v[172:173]
	v_add_f64 v[88:89], v[74:75], v[76:77]
	ds_read_b128 v[74:77], v1 offset:1552
	v_fma_f64 v[4:5], v[82:83], v[226:227], -v[84:85]
	ds_read_b128 v[82:85], v1 offset:1584
	v_mul_f64 v[92:93], v[92:93], v[96:97]
	v_fma_f64 v[2:3], v[90:91], v[102:103], -v[92:93]
	v_mul_f64 v[98:99], v[254:255], v[108:109]
	v_fma_f64 v[250:251], v[252:253], v[232:233], -v[98:99]
	ds_read_b128 v[98:101], v1 offset:1632
	v_mul_f64 v[102:103], v[224:225], v[104:105]
	v_fma_f64 v[252:253], v[222:223], v[106:107], -v[102:103]
	ds_read_b128 v[102:105], v1 offset:1664
	v_add_f64 v[8:9], v[8:9], 0
	v_add_f64 v[6:7], v[8:9], v[6:7]
	;; [unrolled: 1-line block ×8, first 2 shown]
	ds_read_b128 v[90:93], v1 offset:1616
	v_add_f64 v[6:7], v[6:7], v[248:249]
	v_add_f64 v[4:5], v[6:7], v[4:5]
	v_accvgpr_read_b32 v6, a164
	v_accvgpr_read_b32 v7, a165
	s_waitcnt vmcnt(25) lgkmcnt(3)
	v_mul_f64 v[96:97], v[82:83], v[200:201]
	s_waitcnt vmcnt(23)
	v_fmac_f64_e32 v[96:97], v[84:85], v[206:207]
	v_mul_f64 v[94:95], v[74:75], v[124:125]
	v_fmac_f64_e32 v[94:95], v[76:77], v[122:123]
	v_mul_f64 v[86:87], v[78:79], v[196:197]
	v_add_f64 v[88:89], v[88:89], v[94:95]
	v_fmac_f64_e32 v[86:87], v[80:81], v[198:199]
	v_add_f64 v[94:95], v[88:89], v[86:87]
	ds_read_b128 v[86:89], v1 offset:1600
	v_add_f64 v[94:95], v[94:95], v[96:97]
	s_waitcnt vmcnt(22) lgkmcnt(0)
	v_mul_f64 v[96:97], v[86:87], v[194:195]
	s_waitcnt vmcnt(20)
	v_fmac_f64_e32 v[96:97], v[88:89], v[204:205]
	v_add_f64 v[94:95], v[94:95], v[96:97]
	s_waitcnt vmcnt(18)
	v_mul_f64 v[96:97], v[90:91], v[202:203]
	s_waitcnt vmcnt(16)
	v_fmac_f64_e32 v[96:97], v[92:93], v[208:209]
	v_add_f64 v[108:109], v[94:95], v[96:97]
	ds_read_b128 v[94:97], v1 offset:1648
	s_waitcnt vmcnt(13)
	v_mul_f64 v[106:107], v[98:99], v[212:213]
	s_waitcnt vmcnt(12)
	v_fmac_f64_e32 v[106:107], v[100:101], v[214:215]
	v_add_f64 v[106:107], v[108:109], v[106:107]
	s_waitcnt vmcnt(9) lgkmcnt(0)
	v_mul_f64 v[108:109], v[94:95], v[228:229]
	s_waitcnt vmcnt(7)
	v_fmac_f64_e32 v[108:109], v[96:97], v[230:231]
	v_add_f64 v[106:107], v[106:107], v[108:109]
	s_waitcnt vmcnt(5)
	v_mul_f64 v[108:109], v[102:103], v[210:211]
	s_waitcnt vmcnt(4)
	v_fmac_f64_e32 v[108:109], v[104:105], v[216:217]
	v_add_f64 v[114:115], v[106:107], v[108:109]
	ds_read_b128 v[106:109], v1 offset:1680
	buffer_load_dword v226, off, s[0:3], 0 offset:856
	buffer_load_dword v227, off, s[0:3], 0 offset:860
	;; [unrolled: 1-line block ×4, first 2 shown]
	ds_read_b128 v[222:225], v1 offset:1696
	buffer_load_dword v243, off, s[0:3], 0 offset:876
	buffer_load_dword v242, off, s[0:3], 0 offset:872
	;; [unrolled: 1-line block ×4, first 2 shown]
	s_waitcnt vmcnt(10) lgkmcnt(1)
	v_mul_f64 v[116:117], v[106:107], v[218:219]
	s_waitcnt vmcnt(8)
	v_fmac_f64_e32 v[116:117], v[108:109], v[234:235]
	v_add_f64 v[114:115], v[114:115], v[116:117]
	s_waitcnt vmcnt(6) lgkmcnt(0)
	v_mul_f64 v[116:117], v[222:223], v[226:227]
	s_waitcnt vmcnt(4)
	v_fmac_f64_e32 v[116:117], v[224:225], v[238:239]
	v_add_f64 v[232:233], v[114:115], v[116:117]
	ds_read_b128 v[114:117], v1 offset:1712
	buffer_load_dword v248, off, s[0:3], 0 offset:192
	buffer_load_dword v249, off, s[0:3], 0 offset:196
	;; [unrolled: 1-line block ×4, first 2 shown]
	s_waitcnt vmcnt(6) lgkmcnt(0)
	v_mul_f64 v[254:255], v[114:115], v[242:243]
	s_waitcnt vmcnt(4)
	v_fmac_f64_e32 v[254:255], v[116:117], v[244:245]
	v_add_f64 v[232:233], v[232:233], v[254:255]
	v_add_f64 v[254:255], v[4:5], v[2:3]
	;; [unrolled: 1-line block ×3, first 2 shown]
	v_mul_f64 v[4:5], v[120:121], v[134:135]
	v_add_f64 v[2:3], v[2:3], v[252:253]
	v_fma_f64 v[4:5], v[118:119], v[138:139], -v[4:5]
	v_add_f64 v[2:3], v[2:3], v[4:5]
	v_accvgpr_read_b32 v4, a162
	v_accvgpr_read_b32 v5, a163
	v_mul_f64 v[4:5], v[192:193], v[4:5]
	v_fma_f64 v[4:5], v[190:191], v[6:7], -v[4:5]
	v_add_f64 v[2:3], v[2:3], v[4:5]
	v_mul_f64 v[4:5], v[12:13], v[142:143]
	v_fma_f64 v[4:5], v[10:11], v[146:147], -v[4:5]
	v_add_f64 v[2:3], v[2:3], v[4:5]
	v_accvgpr_read_b32 v4, a166
	v_accvgpr_read_b32 v5, a167
	;; [unrolled: 1-line block ×3, first 2 shown]
	v_mul_f64 v[4:5], v[16:17], v[4:5]
	v_accvgpr_read_b32 v7, a169
	v_fma_f64 v[4:5], v[14:15], v[6:7], -v[4:5]
	v_add_f64 v[2:3], v[2:3], v[4:5]
	v_mul_f64 v[4:5], v[20:21], v[150:151]
	v_fma_f64 v[4:5], v[18:19], v[154:155], -v[4:5]
	v_add_f64 v[2:3], v[2:3], v[4:5]
	v_mul_f64 v[4:5], v[24:25], v[126:127]
	;; [unrolled: 3-line block ×25, first 2 shown]
	v_fma_f64 v[4:5], v[114:115], v[244:245], -v[4:5]
	v_add_f64 v[2:3], v[2:3], v[4:5]
	s_waitcnt vmcnt(2)
	v_add_f64 v[2:3], v[248:249], -v[2:3]
	s_waitcnt vmcnt(0)
	v_add_f64 v[4:5], v[246:247], -v[232:233]
	buffer_store_dword v3, off, s[0:3], 0 offset:196
	buffer_store_dword v2, off, s[0:3], 0 offset:192
	;; [unrolled: 1-line block ×4, first 2 shown]
	s_and_saveexec_b64 s[4:5], vcc
	s_cbranch_execz .LBB117_317
; %bb.316:
	v_accvgpr_read_b32 v1, a151
	buffer_load_dword v2, v1, s[0:3], 0 offen
	buffer_load_dword v3, v1, s[0:3], 0 offen offset:4
	buffer_load_dword v4, v1, s[0:3], 0 offen offset:8
	;; [unrolled: 1-line block ×3, first 2 shown]
	v_mov_b32_e32 v1, 0
	v_accvgpr_read_b32 v6, a161
	buffer_store_dword v1, off, s[0:3], 0 offset:176
	buffer_store_dword v1, off, s[0:3], 0 offset:180
	;; [unrolled: 1-line block ×4, first 2 shown]
	s_waitcnt vmcnt(4)
	ds_write_b128 v6, v[2:5]
.LBB117_317:
	s_or_b64 exec, exec, s[4:5]
	s_waitcnt lgkmcnt(0)
	; wave barrier
	s_waitcnt lgkmcnt(0)
	buffer_load_dword v50, off, s[0:3], 0 offset:192
	buffer_load_dword v51, off, s[0:3], 0 offset:196
	;; [unrolled: 1-line block ×54, first 2 shown]
	v_mov_b32_e32 v1, 0
	ds_read_b128 v[102:105], v1 offset:1040
	ds_read_b128 v[106:109], v1 offset:1056
	;; [unrolled: 1-line block ×9, first 2 shown]
	v_cmp_lt_u32_e32 vcc, 9, v0
	s_waitcnt vmcnt(46) lgkmcnt(7)
	v_mul_f64 v[4:5], v[106:107], v[58:59]
	v_fmac_f64_e32 v[4:5], v[108:109], v[52:53]
	s_waitcnt vmcnt(44) lgkmcnt(6)
	v_mul_f64 v[6:7], v[110:111], v[202:203]
	s_waitcnt vmcnt(42) lgkmcnt(4)
	v_mul_f64 v[10:11], v[206:207], v[62:63]
	s_waitcnt vmcnt(40)
	v_fmac_f64_e32 v[10:11], v[208:209], v[60:61]
	s_waitcnt vmcnt(38)
	v_mul_f64 v[8:9], v[114:115], v[64:65]
	s_waitcnt vmcnt(36) lgkmcnt(2)
	v_mul_f64 v[14:15], v[220:221], v[66:67]
	s_waitcnt vmcnt(34)
	v_fmac_f64_e32 v[14:15], v[222:223], v[70:71]
	s_waitcnt vmcnt(32)
	;; [unrolled: 6-line block ×3, first 2 shown]
	v_fmac_f64_e32 v[8:9], v[116:117], v[80:81]
	s_waitcnt vmcnt(24)
	v_fmac_f64_e32 v[12:13], v[218:219], v[78:79]
	s_waitcnt vmcnt(22)
	;; [unrolled: 2-line block ×3, first 2 shown]
	v_pk_mov_b32 v[18:19], v[2:3], v[2:3] op_sel:[0,1]
	v_mul_f64 v[2:3], v[102:103], v[56:57]
	v_fmac_f64_e32 v[2:3], v[104:105], v[50:51]
	v_add_f64 v[2:3], v[2:3], 0
	v_add_f64 v[2:3], v[2:3], v[4:5]
	buffer_load_dword v5, off, s[0:3], 0 offset:420
	buffer_load_dword v4, off, s[0:3], 0 offset:416
	v_add_f64 v[2:3], v[2:3], v[6:7]
	v_add_f64 v[2:3], v[2:3], v[8:9]
	;; [unrolled: 1-line block ×6, first 2 shown]
	v_accvgpr_write_b32 a163, v19
	v_accvgpr_write_b32 a162, v18
	s_waitcnt vmcnt(0)
	v_pk_mov_b32 v[14:15], v[4:5], v[4:5] op_sel:[0,1]
	buffer_load_dword v55, off, s[0:3], 0 offset:412
	buffer_load_dword v54, off, s[0:3], 0 offset:408
	;; [unrolled: 1-line block ×6, first 2 shown]
	v_accvgpr_write_b32 a165, v15
	v_accvgpr_write_b32 a164, v14
	s_waitcnt vmcnt(0)
	v_pk_mov_b32 v[22:23], v[4:5], v[4:5] op_sel:[0,1]
	buffer_load_dword v5, off, s[0:3], 0 offset:452
	buffer_load_dword v4, off, s[0:3], 0 offset:448
	v_accvgpr_write_b32 a167, v23
	v_accvgpr_write_b32 a166, v22
	s_waitcnt vmcnt(0)
	v_pk_mov_b32 v[24:25], v[4:5], v[4:5] op_sel:[0,1]
	buffer_load_dword v139, off, s[0:3], 0 offset:444
	buffer_load_dword v138, off, s[0:3], 0 offset:440
	;; [unrolled: 1-line block ×52, first 2 shown]
	ds_read_b128 v[240:243], v1 offset:1184
	ds_read_b128 v[244:247], v1 offset:1200
	;; [unrolled: 1-line block ×7, first 2 shown]
	v_accvgpr_write_b32 a169, v25
	v_accvgpr_write_b32 a168, v24
	s_waitcnt lgkmcnt(2)
	v_mul_f64 v[8:9], v[118:119], v[54:55]
	v_fmac_f64_e32 v[8:9], v[120:121], v[198:199]
	s_waitcnt lgkmcnt(1)
	v_mul_f64 v[12:13], v[126:127], v[18:19]
	v_fmac_f64_e32 v[12:13], v[128:129], v[14:15]
	v_mul_f64 v[54:55], v[120:121], v[54:55]
	s_waitcnt vmcnt(44)
	v_pk_mov_b32 v[30:31], v[4:5], v[4:5] op_sel:[0,1]
	v_mul_f64 v[4:5], v[236:237], v[74:75]
	v_fmac_f64_e32 v[4:5], v[238:239], v[84:85]
	v_add_f64 v[2:3], v[2:3], v[4:5]
	v_mul_f64 v[4:5], v[240:241], v[90:91]
	v_fmac_f64_e32 v[4:5], v[242:243], v[92:93]
	v_add_f64 v[2:3], v[2:3], v[4:5]
	;; [unrolled: 3-line block ×5, first 2 shown]
	v_add_f64 v[10:11], v[6:7], v[8:9]
	v_add_f64 v[14:15], v[10:11], v[12:13]
	ds_read_b128 v[10:13], v1 offset:1296
	s_waitcnt lgkmcnt(1)
	v_mul_f64 v[16:17], v[122:123], v[138:139]
	v_fmac_f64_e32 v[16:17], v[124:125], v[142:143]
	v_add_f64 v[18:19], v[14:15], v[16:17]
	ds_read_b128 v[14:17], v1 offset:1312
	s_waitcnt lgkmcnt(1)
	v_mul_f64 v[20:21], v[10:11], v[22:23]
	v_fmac_f64_e32 v[20:21], v[12:13], v[24:25]
	v_add_f64 v[22:23], v[18:19], v[20:21]
	ds_read_b128 v[18:21], v1 offset:1328
	s_waitcnt vmcnt(42) lgkmcnt(1)
	v_mul_f64 v[24:25], v[14:15], v[146:147]
	s_waitcnt vmcnt(40)
	v_fmac_f64_e32 v[24:25], v[16:17], v[150:151]
	v_add_f64 v[26:27], v[22:23], v[24:25]
	ds_read_b128 v[22:25], v1 offset:1344
	s_waitcnt lgkmcnt(1)
	v_mul_f64 v[28:29], v[18:19], v[224:225]
	v_fmac_f64_e32 v[28:29], v[20:21], v[30:31]
	v_accvgpr_write_b32 a171, v31
	v_accvgpr_write_b32 a170, v30
	v_add_f64 v[30:31], v[26:27], v[28:29]
	ds_read_b128 v[26:29], v1 offset:1360
	s_waitcnt vmcnt(34) lgkmcnt(1)
	v_mul_f64 v[32:33], v[22:23], v[154:155]
	s_waitcnt vmcnt(32)
	v_fmac_f64_e32 v[32:33], v[24:25], v[158:159]
	v_add_f64 v[34:35], v[30:31], v[32:33]
	ds_read_b128 v[30:33], v1 offset:1376
	s_waitcnt lgkmcnt(1)
	v_mul_f64 v[36:37], v[26:27], v[130:131]
	v_fmac_f64_e32 v[36:37], v[28:29], v[132:133]
	v_add_f64 v[38:39], v[34:35], v[36:37]
	ds_read_b128 v[34:37], v1 offset:1392
	s_waitcnt vmcnt(26) lgkmcnt(1)
	v_mul_f64 v[40:41], v[30:31], v[162:163]
	s_waitcnt vmcnt(24)
	v_fmac_f64_e32 v[40:41], v[32:33], v[164:165]
	v_add_f64 v[42:43], v[38:39], v[40:41]
	ds_read_b128 v[38:41], v1 offset:1408
	s_waitcnt lgkmcnt(1)
	v_mul_f64 v[44:45], v[34:35], v[134:135]
	v_fmac_f64_e32 v[44:45], v[36:37], v[136:137]
	v_add_f64 v[46:47], v[42:43], v[44:45]
	ds_read_b128 v[42:45], v1 offset:1424
	buffer_load_dword v179, off, s[0:3], 0 offset:684
	buffer_load_dword v181, off, s[0:3], 0 offset:668
	;; [unrolled: 1-line block ×8, first 2 shown]
	s_waitcnt vmcnt(26) lgkmcnt(1)
	v_mul_f64 v[48:49], v[38:39], v[166:167]
	s_waitcnt vmcnt(24)
	v_fmac_f64_e32 v[48:49], v[40:41], v[168:169]
	v_add_f64 v[190:191], v[46:47], v[48:49]
	ds_read_b128 v[46:49], v1 offset:1440
	buffer_load_dword v187, off, s[0:3], 0 offset:700
	buffer_load_dword v186, off, s[0:3], 0 offset:696
	;; [unrolled: 1-line block ×4, first 2 shown]
	s_waitcnt lgkmcnt(1)
	v_mul_f64 v[192:193], v[42:43], v[140:141]
	v_fmac_f64_e32 v[192:193], v[44:45], v[144:145]
	v_add_f64 v[2:3], v[190:191], v[192:193]
	buffer_load_dword v191, off, s[0:3], 0 offset:716
	buffer_load_dword v190, off, s[0:3], 0 offset:712
	;; [unrolled: 1-line block ×8, first 2 shown]
	v_mul_f64 v[4:5], v[104:105], v[56:57]
	buffer_load_dword v56, off, s[0:3], 0 offset:744
	buffer_load_dword v200, off, s[0:3], 0 offset:736
	;; [unrolled: 1-line block ×4, first 2 shown]
	v_fma_f64 v[6:7], v[102:103], v[50:51], -v[4:5]
	v_mul_f64 v[50:51], v[108:109], v[58:59]
	v_fma_f64 v[102:103], v[106:107], v[52:53], -v[50:51]
	v_mul_f64 v[50:51], v[112:113], v[202:203]
	v_fma_f64 v[104:105], v[110:111], v[82:83], -v[50:51]
	buffer_load_dword v203, off, s[0:3], 0 offset:764
	buffer_load_dword v202, off, s[0:3], 0 offset:760
	;; [unrolled: 1-line block ×4, first 2 shown]
	v_mul_f64 v[50:51], v[116:117], v[64:65]
	v_fma_f64 v[64:65], v[114:115], v[80:81], -v[50:51]
	v_mul_f64 v[50:51], v[208:209], v[62:63]
	buffer_load_dword v209, off, s[0:3], 0 offset:780
	buffer_load_dword v208, off, s[0:3], 0 offset:776
	;; [unrolled: 1-line block ×4, first 2 shown]
	v_fma_f64 v[62:63], v[206:207], v[60:61], -v[50:51]
	buffer_load_dword v207, off, s[0:3], 0 offset:812
	buffer_load_dword v213, off, s[0:3], 0 offset:796
	;; [unrolled: 1-line block ×12, first 2 shown]
	ds_read_b128 v[50:53], v1 offset:1456
	v_mul_f64 v[60:61], v[218:219], v[76:77]
	v_fma_f64 v[4:5], v[216:217], v[78:79], -v[60:61]
	ds_read_b128 v[216:219], v1 offset:1472
	s_waitcnt vmcnt(54) lgkmcnt(2)
	v_mul_f64 v[58:59], v[46:47], v[170:171]
	s_waitcnt vmcnt(52)
	v_fmac_f64_e32 v[58:59], v[48:49], v[172:173]
	s_waitcnt lgkmcnt(1)
	v_mul_f64 v[8:9], v[50:51], v[148:149]
	v_add_f64 v[2:3], v[2:3], v[58:59]
	v_fmac_f64_e32 v[8:9], v[52:53], v[152:153]
	v_add_f64 v[2:3], v[2:3], v[8:9]
	s_waitcnt vmcnt(46) lgkmcnt(0)
	v_mul_f64 v[8:9], v[216:217], v[174:175]
	s_waitcnt vmcnt(44)
	v_fmac_f64_e32 v[8:9], v[218:219], v[176:177]
	ds_read_b128 v[58:61], v1 offset:1488
	v_add_f64 v[2:3], v[2:3], v[8:9]
	v_mul_f64 v[8:9], v[222:223], v[66:67]
	v_fma_f64 v[8:9], v[220:221], v[70:71], -v[8:9]
	ds_read_b128 v[220:223], v1 offset:1504
	v_mul_f64 v[66:67], v[234:235], v[68:69]
	v_fma_f64 v[232:233], v[232:233], v[72:73], -v[66:67]
	ds_read_b128 v[66:69], v1 offset:1520
	s_waitcnt lgkmcnt(2)
	v_mul_f64 v[70:71], v[58:59], v[156:157]
	v_fmac_f64_e32 v[70:71], v[60:61], v[160:161]
	v_add_f64 v[2:3], v[2:3], v[70:71]
	v_mul_f64 v[74:75], v[238:239], v[74:75]
	v_fma_f64 v[234:235], v[236:237], v[84:85], -v[74:75]
	ds_read_b128 v[74:77], v1 offset:1552
	v_mul_f64 v[78:79], v[242:243], v[90:91]
	v_fma_f64 v[240:241], v[240:241], v[92:93], -v[78:79]
	v_mul_f64 v[86:87], v[246:247], v[86:87]
	v_fma_f64 v[246:247], v[244:245], v[88:89], -v[86:87]
	;; [unrolled: 2-line block ×3, first 2 shown]
	v_add_f64 v[6:7], v[6:7], 0
	v_add_f64 v[6:7], v[6:7], v[102:103]
	;; [unrolled: 1-line block ×3, first 2 shown]
	ds_read_b128 v[78:81], v1 offset:1568
	v_add_f64 v[6:7], v[6:7], v[64:65]
	v_add_f64 v[6:7], v[6:7], v[62:63]
	;; [unrolled: 1-line block ×8, first 2 shown]
	v_accvgpr_read_b32 v6, a162
	v_accvgpr_read_b32 v7, a163
	ds_read_b128 v[86:89], v1 offset:1600
	v_accvgpr_read_b32 v8, a164
	v_mul_f64 v[6:7], v[128:129], v[6:7]
	v_accvgpr_read_b32 v9, a165
	s_waitcnt vmcnt(41) lgkmcnt(4)
	v_mul_f64 v[70:71], v[220:221], v[180:181]
	v_fma_f64 v[6:7], v[126:127], v[8:9], -v[6:7]
	s_waitcnt vmcnt(39)
	v_fmac_f64_e32 v[70:71], v[222:223], v[184:185]
	v_add_f64 v[2:3], v[2:3], v[70:71]
	s_waitcnt vmcnt(38) lgkmcnt(3)
	v_mul_f64 v[70:71], v[66:67], v[178:179]
	s_waitcnt vmcnt(36)
	v_fmac_f64_e32 v[70:71], v[68:69], v[182:183]
	v_add_f64 v[2:3], v[2:3], v[70:71]
	ds_read_b128 v[70:73], v1 offset:1536
	ds_read_b128 v[94:97], v1 offset:1632
	v_accvgpr_read_b32 v8, a168
	v_accvgpr_read_b32 v9, a169
	s_waitcnt vmcnt(34) lgkmcnt(1)
	v_mul_f64 v[82:83], v[70:71], v[186:187]
	s_waitcnt vmcnt(32)
	v_fmac_f64_e32 v[82:83], v[72:73], v[188:189]
	v_add_f64 v[2:3], v[2:3], v[82:83]
	s_waitcnt vmcnt(30)
	v_mul_f64 v[82:83], v[74:75], v[190:191]
	s_waitcnt vmcnt(28)
	v_fmac_f64_e32 v[82:83], v[76:77], v[194:195]
	v_add_f64 v[2:3], v[2:3], v[82:83]
	s_waitcnt vmcnt(26)
	v_mul_f64 v[82:83], v[78:79], v[192:193]
	s_waitcnt vmcnt(24)
	v_fmac_f64_e32 v[82:83], v[80:81], v[196:197]
	v_add_f64 v[2:3], v[2:3], v[82:83]
	ds_read_b128 v[82:85], v1 offset:1584
	s_waitcnt vmcnt(21) lgkmcnt(0)
	v_mul_f64 v[90:91], v[82:83], v[56:57]
	s_waitcnt vmcnt(20)
	v_fmac_f64_e32 v[90:91], v[84:85], v[200:201]
	v_add_f64 v[106:107], v[2:3], v[90:91]
	v_mul_f64 v[90:91], v[250:251], v[98:99]
	v_fma_f64 v[248:249], v[248:249], v[100:101], -v[90:91]
	ds_read_b128 v[90:93], v1 offset:1616
	s_waitcnt vmcnt(18)
	v_mul_f64 v[98:99], v[86:87], v[202:203]
	s_waitcnt vmcnt(16)
	v_fmac_f64_e32 v[98:99], v[88:89], v[204:205]
	v_add_f64 v[98:99], v[106:107], v[98:99]
	v_fma_f64 v[250:251], v[118:119], v[198:199], -v[54:55]
	s_waitcnt vmcnt(14) lgkmcnt(0)
	v_mul_f64 v[100:101], v[90:91], v[208:209]
	s_waitcnt vmcnt(12)
	v_fmac_f64_e32 v[100:101], v[92:93], v[210:211]
	v_add_f64 v[106:107], v[98:99], v[100:101]
	ds_read_b128 v[98:101], v1 offset:1648
	ds_read_b128 v[118:121], v1 offset:1664
	s_waitcnt vmcnt(9)
	v_mul_f64 v[54:55], v[94:95], v[212:213]
	s_waitcnt vmcnt(7)
	v_fmac_f64_e32 v[54:55], v[96:97], v[228:229]
	v_add_f64 v[54:55], v[106:107], v[54:55]
	s_waitcnt vmcnt(6) lgkmcnt(1)
	v_mul_f64 v[106:107], v[98:99], v[206:207]
	s_waitcnt vmcnt(4)
	v_fmac_f64_e32 v[106:107], v[100:101], v[226:227]
	v_add_f64 v[54:55], v[54:55], v[106:107]
	s_waitcnt vmcnt(2) lgkmcnt(0)
	v_mul_f64 v[106:107], v[118:119], v[214:215]
	buffer_load_dword v2, off, s[0:3], 0 offset:840
	s_waitcnt vmcnt(1)
	v_fmac_f64_e32 v[106:107], v[120:121], v[230:231]
	v_add_f64 v[110:111], v[54:55], v[106:107]
	buffer_load_dword v54, off, s[0:3], 0 offset:832
	buffer_load_dword v3, off, s[0:3], 0 offset:844
	;; [unrolled: 1-line block ×3, first 2 shown]
	ds_read_b128 v[106:109], v1 offset:1680
	buffer_load_dword v237, off, s[0:3], 0 offset:860
	buffer_load_dword v236, off, s[0:3], 0 offset:856
	;; [unrolled: 1-line block ×4, first 2 shown]
	v_add_f64 v[4:5], v[4:5], v[248:249]
	v_add_f64 v[252:253], v[4:5], v[252:253]
	;; [unrolled: 1-line block ×4, first 2 shown]
	v_mul_f64 v[6:7], v[124:125], v[138:139]
	v_fma_f64 v[6:7], v[122:123], v[142:143], -v[6:7]
	v_add_f64 v[4:5], v[4:5], v[6:7]
	v_accvgpr_read_b32 v6, a166
	v_accvgpr_read_b32 v7, a167
	v_mul_f64 v[6:7], v[12:13], v[6:7]
	v_fma_f64 v[6:7], v[10:11], v[8:9], -v[6:7]
	v_add_f64 v[4:5], v[4:5], v[6:7]
	v_mul_f64 v[6:7], v[16:17], v[146:147]
	v_fma_f64 v[6:7], v[14:15], v[150:151], -v[6:7]
	v_accvgpr_read_b32 v8, a170
	v_add_f64 v[4:5], v[4:5], v[6:7]
	v_mul_f64 v[6:7], v[20:21], v[224:225]
	v_accvgpr_read_b32 v9, a171
	v_fma_f64 v[6:7], v[18:19], v[8:9], -v[6:7]
	v_add_f64 v[4:5], v[4:5], v[6:7]
	v_mul_f64 v[6:7], v[24:25], v[154:155]
	v_fma_f64 v[6:7], v[22:23], v[158:159], -v[6:7]
	v_add_f64 v[4:5], v[4:5], v[6:7]
	v_mul_f64 v[6:7], v[28:29], v[130:131]
	;; [unrolled: 3-line block ×19, first 2 shown]
	v_fma_f64 v[6:7], v[94:95], v[228:229], -v[6:7]
	s_waitcnt vmcnt(5) lgkmcnt(0)
	v_mul_f64 v[112:113], v[106:107], v[2:3]
	s_waitcnt vmcnt(4)
	v_fmac_f64_e32 v[112:113], v[108:109], v[54:55]
	v_add_f64 v[114:115], v[110:111], v[112:113]
	ds_read_b128 v[110:113], v1 offset:1696
	buffer_load_dword v242, off, s[0:3], 0 offset:872
	buffer_load_dword v243, off, s[0:3], 0 offset:876
	;; [unrolled: 1-line block ×4, first 2 shown]
	v_add_f64 v[4:5], v[4:5], v[6:7]
	v_mul_f64 v[6:7], v[100:101], v[206:207]
	v_fma_f64 v[6:7], v[98:99], v[226:227], -v[6:7]
	s_waitcnt vmcnt(6) lgkmcnt(0)
	v_mul_f64 v[116:117], v[110:111], v[236:237]
	s_waitcnt vmcnt(4)
	v_fmac_f64_e32 v[116:117], v[112:113], v[238:239]
	v_add_f64 v[198:199], v[114:115], v[116:117]
	ds_read_b128 v[114:117], v1 offset:1712
	buffer_load_dword v248, off, s[0:3], 0 offset:176
	buffer_load_dword v249, off, s[0:3], 0 offset:180
	;; [unrolled: 1-line block ×4, first 2 shown]
	v_add_f64 v[4:5], v[4:5], v[6:7]
	v_mul_f64 v[6:7], v[120:121], v[214:215]
	v_fma_f64 v[6:7], v[118:119], v[230:231], -v[6:7]
	v_mul_f64 v[2:3], v[108:109], v[2:3]
	v_add_f64 v[4:5], v[4:5], v[6:7]
	v_fma_f64 v[2:3], v[106:107], v[54:55], -v[2:3]
	v_add_f64 v[2:3], v[4:5], v[2:3]
	v_mul_f64 v[4:5], v[112:113], v[236:237]
	v_fma_f64 v[4:5], v[110:111], v[238:239], -v[4:5]
	v_add_f64 v[2:3], v[2:3], v[4:5]
	s_waitcnt vmcnt(6) lgkmcnt(0)
	v_mul_f64 v[4:5], v[116:117], v[242:243]
	v_mul_f64 v[254:255], v[114:115], v[242:243]
	s_waitcnt vmcnt(4)
	v_fma_f64 v[4:5], v[114:115], v[244:245], -v[4:5]
	v_fmac_f64_e32 v[254:255], v[116:117], v[244:245]
	v_add_f64 v[2:3], v[2:3], v[4:5]
	v_add_f64 v[198:199], v[198:199], v[254:255]
	s_waitcnt vmcnt(2)
	v_add_f64 v[2:3], v[248:249], -v[2:3]
	s_waitcnt vmcnt(0)
	v_add_f64 v[4:5], v[246:247], -v[198:199]
	buffer_store_dword v3, off, s[0:3], 0 offset:180
	buffer_store_dword v2, off, s[0:3], 0 offset:176
	buffer_store_dword v5, off, s[0:3], 0 offset:188
	buffer_store_dword v4, off, s[0:3], 0 offset:184
	s_and_saveexec_b64 s[4:5], vcc
	s_cbranch_execz .LBB117_319
; %bb.318:
	v_accvgpr_read_b32 v5, a152
	buffer_load_dword v2, v5, s[0:3], 0 offen
	buffer_load_dword v3, v5, s[0:3], 0 offen offset:4
	buffer_load_dword v4, v5, s[0:3], 0 offen offset:8
	s_nop 0
	buffer_load_dword v5, v5, s[0:3], 0 offen offset:12
	v_accvgpr_read_b32 v6, a161
	buffer_store_dword v1, off, s[0:3], 0 offset:160
	buffer_store_dword v1, off, s[0:3], 0 offset:164
	;; [unrolled: 1-line block ×4, first 2 shown]
	s_waitcnt vmcnt(4)
	ds_write_b128 v6, v[2:5]
.LBB117_319:
	s_or_b64 exec, exec, s[4:5]
	s_waitcnt lgkmcnt(0)
	; wave barrier
	s_waitcnt lgkmcnt(0)
	buffer_load_dword v184, off, s[0:3], 0 offset:176
	buffer_load_dword v185, off, s[0:3], 0 offset:180
	;; [unrolled: 1-line block ×36, first 2 shown]
	ds_read_b128 v[82:85], v1 offset:1024
	ds_read_b128 v[78:81], v1 offset:1040
	;; [unrolled: 1-line block ×9, first 2 shown]
	buffer_load_dword v235, off, s[0:3], 0 offset:348
	buffer_load_dword v234, off, s[0:3], 0 offset:344
	;; [unrolled: 1-line block ×19, first 2 shown]
	v_cmp_lt_u32_e32 vcc, 8, v0
	s_waitcnt vmcnt(51) lgkmcnt(8)
	v_mul_f64 v[2:3], v[82:83], v[192:193]
	v_fmac_f64_e32 v[2:3], v[84:85], v[184:185]
	v_add_f64 v[2:3], v[2:3], 0
	s_waitcnt vmcnt(47) lgkmcnt(7)
	v_mul_f64 v[4:5], v[78:79], v[196:197]
	v_fmac_f64_e32 v[4:5], v[80:81], v[194:195]
	v_add_f64 v[2:3], v[2:3], v[4:5]
	buffer_load_dword v244, off, s[0:3], 0 offset:400
	buffer_load_dword v99, off, s[0:3], 0 offset:396
	;; [unrolled: 1-line block ×7, first 2 shown]
	s_waitcnt vmcnt(52) lgkmcnt(6)
	v_mul_f64 v[6:7], v[74:75], v[200:201]
	s_waitcnt vmcnt(50) lgkmcnt(4)
	v_mul_f64 v[10:11], v[62:63], v[210:211]
	s_waitcnt vmcnt(48)
	v_fmac_f64_e32 v[10:11], v[64:65], v[212:213]
	v_mul_f64 v[80:81], v[80:81], v[196:197]
	s_waitcnt vmcnt(46)
	v_mul_f64 v[8:9], v[70:71], v[202:203]
	v_fma_f64 v[78:79], v[78:79], v[194:195], -v[80:81]
	s_waitcnt vmcnt(44) lgkmcnt(2)
	v_mul_f64 v[14:15], v[54:55], v[104:105]
	v_mul_f64 v[64:65], v[64:65], v[210:211]
	s_waitcnt vmcnt(42)
	v_fmac_f64_e32 v[14:15], v[56:57], v[108:109]
	v_fma_f64 v[210:211], v[62:63], v[212:213], -v[64:65]
	s_waitcnt vmcnt(40)
	v_mul_f64 v[12:13], v[50:51], v[112:113]
	s_waitcnt vmcnt(38) lgkmcnt(1)
	v_mul_f64 v[16:17], v[58:59], v[106:107]
	s_waitcnt vmcnt(36)
	v_fmac_f64_e32 v[6:7], v[76:77], v[198:199]
	v_add_f64 v[2:3], v[2:3], v[6:7]
	s_waitcnt vmcnt(34)
	v_fmac_f64_e32 v[8:9], v[72:73], v[116:117]
	v_add_f64 v[2:3], v[2:3], v[8:9]
	;; [unrolled: 3-line block ×3, first 2 shown]
	v_add_f64 v[2:3], v[2:3], v[12:13]
	s_waitcnt vmcnt(30)
	v_fmac_f64_e32 v[16:17], v[60:61], v[110:111]
	v_add_f64 v[2:3], v[2:3], v[14:15]
	v_add_f64 v[2:3], v[2:3], v[16:17]
	v_mul_f64 v[76:77], v[76:77], v[200:201]
	v_fma_f64 v[80:81], v[74:75], v[198:199], -v[76:77]
	v_mul_f64 v[72:73], v[72:73], v[202:203]
	v_mul_f64 v[52:53], v[52:53], v[112:113]
	;; [unrolled: 1-line block ×3, first 2 shown]
	v_fma_f64 v[116:117], v[70:71], v[116:117], -v[72:73]
	s_waitcnt vmcnt(0)
	v_pk_mov_b32 v[18:19], v[4:5], v[4:5] op_sel:[0,1]
	buffer_load_dword v5, off, s[0:3], 0 offset:436
	buffer_load_dword v4, off, s[0:3], 0 offset:432
	v_accvgpr_write_b32 a163, v19
	v_accvgpr_write_b32 a162, v18
	s_waitcnt vmcnt(0)
	v_pk_mov_b32 v[20:21], v[4:5], v[4:5] op_sel:[0,1]
	buffer_load_dword v135, off, s[0:3], 0 offset:428
	buffer_load_dword v134, off, s[0:3], 0 offset:424
	;; [unrolled: 1-line block ×6, first 2 shown]
	v_accvgpr_write_b32 a165, v21
	v_accvgpr_write_b32 a164, v20
	s_waitcnt vmcnt(0)
	v_pk_mov_b32 v[26:27], v[4:5], v[4:5] op_sel:[0,1]
	buffer_load_dword v5, off, s[0:3], 0 offset:468
	buffer_load_dword v4, off, s[0:3], 0 offset:464
	v_accvgpr_write_b32 a167, v27
	v_accvgpr_write_b32 a166, v26
	s_waitcnt vmcnt(0)
	v_pk_mov_b32 v[28:29], v[4:5], v[4:5] op_sel:[0,1]
	buffer_load_dword v143, off, s[0:3], 0 offset:460
	buffer_load_dword v142, off, s[0:3], 0 offset:456
	;; [unrolled: 1-line block ×6, first 2 shown]
	v_accvgpr_write_b32 a169, v29
	v_accvgpr_write_b32 a168, v28
	s_waitcnt vmcnt(0)
	v_pk_mov_b32 v[34:35], v[4:5], v[4:5] op_sel:[0,1]
	buffer_load_dword v5, off, s[0:3], 0 offset:500
	buffer_load_dword v4, off, s[0:3], 0 offset:496
	;; [unrolled: 1-line block ×38, first 2 shown]
	ds_read_b128 v[216:219], v1 offset:1168
	ds_read_b128 v[220:223], v1 offset:1184
	;; [unrolled: 1-line block ×9, first 2 shown]
	v_accvgpr_write_b32 a171, v35
	s_waitcnt lgkmcnt(3)
	v_mul_f64 v[8:9], v[94:95], v[242:243]
	v_fmac_f64_e32 v[8:9], v[96:97], v[244:245]
	s_waitcnt lgkmcnt(2)
	v_mul_f64 v[12:13], v[130:131], v[134:135]
	v_fmac_f64_e32 v[12:13], v[132:133], v[138:139]
	;; [unrolled: 3-line block ×3, first 2 shown]
	v_accvgpr_write_b32 a170, v34
	v_mul_f64 v[70:71], v[218:219], v[238:239]
	v_mul_f64 v[96:97], v[96:97], v[242:243]
	s_waitcnt vmcnt(36)
	v_pk_mov_b32 v[36:37], v[4:5], v[4:5] op_sel:[0,1]
	v_mul_f64 v[4:5], v[66:67], v[102:103]
	v_fmac_f64_e32 v[4:5], v[68:69], v[232:233]
	v_add_f64 v[2:3], v[2:3], v[4:5]
	v_mul_f64 v[4:5], v[216:217], v[238:239]
	v_fmac_f64_e32 v[4:5], v[218:219], v[240:241]
	v_add_f64 v[2:3], v[2:3], v[4:5]
	;; [unrolled: 3-line block ×6, first 2 shown]
	v_add_f64 v[10:11], v[6:7], v[8:9]
	v_add_f64 v[14:15], v[10:11], v[12:13]
	;; [unrolled: 1-line block ×3, first 2 shown]
	ds_read_b128 v[14:17], v1 offset:1312
	s_waitcnt lgkmcnt(1)
	v_mul_f64 v[20:21], v[122:123], v[142:143]
	v_fmac_f64_e32 v[20:21], v[124:125], v[146:147]
	v_add_f64 v[22:23], v[18:19], v[20:21]
	ds_read_b128 v[18:21], v1 offset:1328
	s_waitcnt lgkmcnt(1)
	v_mul_f64 v[24:25], v[14:15], v[26:27]
	v_fmac_f64_e32 v[24:25], v[16:17], v[28:29]
	v_add_f64 v[26:27], v[22:23], v[24:25]
	ds_read_b128 v[22:25], v1 offset:1344
	s_waitcnt vmcnt(34) lgkmcnt(1)
	v_mul_f64 v[28:29], v[18:19], v[150:151]
	s_waitcnt vmcnt(32)
	v_fmac_f64_e32 v[28:29], v[20:21], v[154:155]
	v_add_f64 v[30:31], v[26:27], v[28:29]
	ds_read_b128 v[26:29], v1 offset:1360
	s_waitcnt lgkmcnt(1)
	v_mul_f64 v[32:33], v[22:23], v[34:35]
	v_fmac_f64_e32 v[32:33], v[24:25], v[36:37]
	v_accvgpr_write_b32 a173, v37
	v_accvgpr_write_b32 a172, v36
	v_add_f64 v[34:35], v[30:31], v[32:33]
	ds_read_b128 v[30:33], v1 offset:1376
	s_waitcnt vmcnt(26) lgkmcnt(1)
	v_mul_f64 v[36:37], v[26:27], v[158:159]
	s_waitcnt vmcnt(24)
	v_fmac_f64_e32 v[36:37], v[28:29], v[160:161]
	v_add_f64 v[38:39], v[34:35], v[36:37]
	ds_read_b128 v[34:37], v1 offset:1392
	s_waitcnt lgkmcnt(1)
	v_mul_f64 v[40:41], v[30:31], v[224:225]
	v_fmac_f64_e32 v[40:41], v[32:33], v[254:255]
	v_add_f64 v[42:43], v[38:39], v[40:41]
	ds_read_b128 v[38:41], v1 offset:1408
	s_waitcnt vmcnt(18) lgkmcnt(1)
	v_mul_f64 v[44:45], v[34:35], v[162:163]
	s_waitcnt vmcnt(16)
	v_fmac_f64_e32 v[44:45], v[36:37], v[164:165]
	v_add_f64 v[46:47], v[42:43], v[44:45]
	ds_read_b128 v[42:45], v1 offset:1424
	buffer_load_dword v175, off, s[0:3], 0 offset:652
	buffer_load_dword v174, off, s[0:3], 0 offset:648
	;; [unrolled: 1-line block ×4, first 2 shown]
	s_waitcnt lgkmcnt(1)
	v_mul_f64 v[48:49], v[38:39], v[136:137]
	v_fmac_f64_e32 v[48:49], v[40:41], v[140:141]
	v_add_f64 v[178:179], v[46:47], v[48:49]
	ds_read_b128 v[46:49], v1 offset:1440
	buffer_load_dword v181, off, s[0:3], 0 offset:668
	buffer_load_dword v180, off, s[0:3], 0 offset:664
	;; [unrolled: 1-line block ×4, first 2 shown]
	s_waitcnt vmcnt(18) lgkmcnt(1)
	v_mul_f64 v[186:187], v[42:43], v[166:167]
	s_waitcnt vmcnt(16)
	v_fmac_f64_e32 v[186:187], v[44:45], v[168:169]
	v_add_f64 v[2:3], v[178:179], v[186:187]
	buffer_load_dword v179, off, s[0:3], 0 offset:700
	buffer_load_dword v187, off, s[0:3], 0 offset:684
	;; [unrolled: 1-line block ×8, first 2 shown]
	v_mul_f64 v[4:5], v[84:85], v[192:193]
	v_fma_f64 v[10:11], v[82:83], v[184:185], -v[4:5]
	buffer_load_dword v184, off, s[0:3], 0 offset:728
	buffer_load_dword v193, off, s[0:3], 0 offset:716
	;; [unrolled: 1-line block ×20, first 2 shown]
	s_waitcnt lgkmcnt(0)
	v_mul_f64 v[8:9], v[46:47], v[144:145]
	v_fmac_f64_e32 v[8:9], v[48:49], v[148:149]
	v_fma_f64 v[6:7], v[50:51], v[114:115], -v[52:53]
	buffer_load_dword v213, off, s[0:3], 0 offset:796
	buffer_load_dword v212, off, s[0:3], 0 offset:792
	;; [unrolled: 1-line block ×12, first 2 shown]
	v_add_f64 v[2:3], v[2:3], v[8:9]
	ds_read_b128 v[50:53], v1 offset:1456
	v_mul_f64 v[8:9], v[56:57], v[104:105]
	v_fma_f64 v[8:9], v[54:55], v[108:109], -v[8:9]
	ds_read_b128 v[54:57], v1 offset:1472
	v_fma_f64 v[4:5], v[58:59], v[110:111], -v[60:61]
	ds_read_b128 v[58:61], v1 offset:1488
	s_waitcnt vmcnt(50) lgkmcnt(2)
	v_mul_f64 v[62:63], v[50:51], v[170:171]
	s_waitcnt vmcnt(48)
	v_fmac_f64_e32 v[62:63], v[52:53], v[172:173]
	s_waitcnt lgkmcnt(1)
	v_mul_f64 v[12:13], v[54:55], v[152:153]
	v_add_f64 v[2:3], v[2:3], v[62:63]
	ds_read_b128 v[62:65], v1 offset:1504
	v_fmac_f64_e32 v[12:13], v[56:57], v[156:157]
	v_add_f64 v[2:3], v[2:3], v[12:13]
	v_fma_f64 v[240:241], v[216:217], v[240:241], -v[70:71]
	v_mul_f64 v[82:83], v[222:223], v[234:235]
	v_mul_f64 v[88:89], v[88:89], v[246:247]
	v_fma_f64 v[246:247], v[86:87], v[248:249], -v[88:89]
	ds_read_b128 v[86:89], v1 offset:1616
	v_mul_f64 v[92:93], v[92:93], v[98:99]
	v_add_f64 v[10:11], v[10:11], 0
	v_add_f64 v[10:11], v[10:11], v[78:79]
	;; [unrolled: 1-line block ×8, first 2 shown]
	v_mul_f64 v[6:7], v[132:133], v[134:135]
	v_fma_f64 v[6:7], v[130:131], v[138:139], -v[6:7]
	v_accvgpr_read_b32 v8, a164
	v_accvgpr_read_b32 v9, a165
	ds_read_b128 v[70:73], v1 offset:1536
	ds_read_b128 v[216:219], v1 offset:1600
	s_waitcnt vmcnt(46) lgkmcnt(4)
	v_mul_f64 v[12:13], v[58:59], v[174:175]
	s_waitcnt vmcnt(44)
	v_fmac_f64_e32 v[12:13], v[60:61], v[176:177]
	v_add_f64 v[2:3], v[2:3], v[12:13]
	v_mul_f64 v[12:13], v[68:69], v[102:103]
	v_fma_f64 v[12:13], v[66:67], v[232:233], -v[12:13]
	ds_read_b128 v[66:69], v1 offset:1520
	s_waitcnt vmcnt(42) lgkmcnt(4)
	v_mul_f64 v[74:75], v[62:63], v[180:181]
	s_waitcnt vmcnt(40)
	v_fmac_f64_e32 v[74:75], v[64:65], v[182:183]
	v_add_f64 v[2:3], v[2:3], v[74:75]
	v_fma_f64 v[232:233], v[220:221], v[236:237], -v[82:83]
	s_waitcnt vmcnt(37) lgkmcnt(0)
	v_mul_f64 v[74:75], v[66:67], v[186:187]
	s_waitcnt vmcnt(35)
	v_fmac_f64_e32 v[74:75], v[68:69], v[190:191]
	v_add_f64 v[2:3], v[2:3], v[74:75]
	s_waitcnt vmcnt(34)
	v_mul_f64 v[74:75], v[70:71], v[178:179]
	s_waitcnt vmcnt(32)
	v_fmac_f64_e32 v[74:75], v[72:73], v[188:189]
	v_add_f64 v[2:3], v[2:3], v[74:75]
	ds_read_b128 v[74:77], v1 offset:1552
	ds_read_b128 v[220:223], v1 offset:1568
	v_add_f64 v[4:5], v[4:5], v[12:13]
	v_add_f64 v[4:5], v[4:5], v[240:241]
	;; [unrolled: 1-line block ×3, first 2 shown]
	s_waitcnt vmcnt(29) lgkmcnt(1)
	v_mul_f64 v[82:83], v[74:75], v[192:193]
	s_waitcnt vmcnt(27)
	v_fmac_f64_e32 v[82:83], v[76:77], v[196:197]
	v_add_f64 v[2:3], v[2:3], v[82:83]
	v_mul_f64 v[82:83], v[120:121], v[250:251]
	v_fma_f64 v[118:119], v[118:119], v[252:253], -v[82:83]
	ds_read_b128 v[82:85], v1 offset:1584
	s_waitcnt vmcnt(25) lgkmcnt(1)
	v_mul_f64 v[102:103], v[220:221], v[184:185]
	s_waitcnt vmcnt(24)
	v_fmac_f64_e32 v[102:103], v[222:223], v[194:195]
	v_add_f64 v[2:3], v[2:3], v[102:103]
	v_fma_f64 v[250:251], v[90:91], v[100:101], -v[92:93]
	s_waitcnt vmcnt(21) lgkmcnt(0)
	v_mul_f64 v[102:103], v[82:83], v[200:201]
	s_waitcnt vmcnt(19)
	v_fmac_f64_e32 v[102:103], v[84:85], v[206:207]
	v_add_f64 v[2:3], v[2:3], v[102:103]
	s_waitcnt vmcnt(18)
	v_mul_f64 v[102:103], v[216:217], v[198:199]
	s_waitcnt vmcnt(16)
	v_fmac_f64_e32 v[102:103], v[218:219], v[204:205]
	v_add_f64 v[2:3], v[2:3], v[102:103]
	ds_read_b128 v[98:101], v1 offset:1632
	s_waitcnt vmcnt(14)
	v_mul_f64 v[102:103], v[86:87], v[202:203]
	s_waitcnt vmcnt(12)
	v_fmac_f64_e32 v[102:103], v[88:89], v[208:209]
	v_add_f64 v[2:3], v[2:3], v[102:103]
	ds_read_b128 v[90:93], v1 offset:1648
	ds_read_b128 v[102:105], v1 offset:1664
	buffer_load_dword v121, off, s[0:3], 0 offset:844
	buffer_load_dword v120, off, s[0:3], 0 offset:840
	;; [unrolled: 1-line block ×4, first 2 shown]
	ds_read_b128 v[106:109], v1 offset:1680
	buffer_load_dword v236, off, s[0:3], 0 offset:856
	buffer_load_dword v237, off, s[0:3], 0 offset:860
	buffer_load_dword v238, off, s[0:3], 0 offset:848
	buffer_load_dword v239, off, s[0:3], 0 offset:852
	v_fma_f64 v[252:253], v[94:95], v[244:245], -v[96:97]
	ds_read_b128 v[110:113], v1 offset:1696
	buffer_load_dword v243, off, s[0:3], 0 offset:876
	buffer_load_dword v242, off, s[0:3], 0 offset:872
	;; [unrolled: 1-line block ×4, first 2 shown]
	s_waitcnt vmcnt(22) lgkmcnt(4)
	v_mul_f64 v[94:95], v[98:99], v[212:213]
	s_waitcnt vmcnt(20)
	v_fmac_f64_e32 v[94:95], v[100:101], v[214:215]
	v_add_f64 v[2:3], v[2:3], v[94:95]
	s_waitcnt vmcnt(17) lgkmcnt(3)
	v_mul_f64 v[94:95], v[90:91], v[228:229]
	s_waitcnt vmcnt(15)
	v_fmac_f64_e32 v[94:95], v[92:93], v[230:231]
	v_add_f64 v[2:3], v[2:3], v[94:95]
	;; [unrolled: 5-line block ×3, first 2 shown]
	v_add_f64 v[4:5], v[4:5], v[118:119]
	v_add_f64 v[118:119], v[4:5], v[246:247]
	;; [unrolled: 1-line block ×5, first 2 shown]
	v_accvgpr_read_b32 v6, a162
	v_accvgpr_read_b32 v7, a163
	v_mul_f64 v[6:7], v[128:129], v[6:7]
	v_fma_f64 v[6:7], v[126:127], v[8:9], -v[6:7]
	v_add_f64 v[4:5], v[4:5], v[6:7]
	v_mul_f64 v[6:7], v[124:125], v[142:143]
	v_fma_f64 v[6:7], v[122:123], v[146:147], -v[6:7]
	v_add_f64 v[4:5], v[4:5], v[6:7]
	v_accvgpr_read_b32 v6, a166
	v_accvgpr_read_b32 v7, a167
	;; [unrolled: 1-line block ×3, first 2 shown]
	v_mul_f64 v[6:7], v[16:17], v[6:7]
	v_accvgpr_read_b32 v9, a169
	v_fma_f64 v[6:7], v[14:15], v[8:9], -v[6:7]
	v_add_f64 v[4:5], v[4:5], v[6:7]
	v_mul_f64 v[6:7], v[20:21], v[150:151]
	v_fma_f64 v[6:7], v[18:19], v[154:155], -v[6:7]
	v_add_f64 v[4:5], v[4:5], v[6:7]
	v_accvgpr_read_b32 v6, a170
	v_accvgpr_read_b32 v7, a171
	;; [unrolled: 1-line block ×3, first 2 shown]
	v_mul_f64 v[6:7], v[24:25], v[6:7]
	v_accvgpr_read_b32 v9, a173
	v_fma_f64 v[6:7], v[22:23], v[8:9], -v[6:7]
	v_add_f64 v[4:5], v[4:5], v[6:7]
	v_mul_f64 v[6:7], v[28:29], v[158:159]
	v_fma_f64 v[6:7], v[26:27], v[160:161], -v[6:7]
	v_add_f64 v[4:5], v[4:5], v[6:7]
	v_mul_f64 v[6:7], v[32:33], v[224:225]
	;; [unrolled: 3-line block ×11, first 2 shown]
	v_fma_f64 v[6:7], v[66:67], v[190:191], -v[6:7]
	v_add_f64 v[4:5], v[4:5], v[6:7]
	s_waitcnt vmcnt(10) lgkmcnt(1)
	v_mul_f64 v[94:95], v[106:107], v[120:121]
	v_mul_f64 v[6:7], v[72:73], v[178:179]
	s_waitcnt vmcnt(8)
	v_fmac_f64_e32 v[94:95], v[108:109], v[234:235]
	v_add_f64 v[2:3], v[2:3], v[94:95]
	s_waitcnt vmcnt(6) lgkmcnt(0)
	v_mul_f64 v[94:95], v[110:111], v[236:237]
	s_waitcnt vmcnt(4)
	v_fmac_f64_e32 v[94:95], v[112:113], v[238:239]
	v_add_f64 v[2:3], v[2:3], v[94:95]
	ds_read_b128 v[94:97], v1 offset:1712
	v_fma_f64 v[6:7], v[70:71], v[188:189], -v[6:7]
	v_add_f64 v[4:5], v[4:5], v[6:7]
	v_mul_f64 v[6:7], v[76:77], v[192:193]
	v_fma_f64 v[6:7], v[74:75], v[196:197], -v[6:7]
	s_waitcnt vmcnt(2) lgkmcnt(0)
	v_mul_f64 v[248:249], v[94:95], v[242:243]
	s_waitcnt vmcnt(0)
	v_fmac_f64_e32 v[248:249], v[96:97], v[244:245]
	v_add_f64 v[2:3], v[2:3], v[248:249]
	buffer_load_dword v248, off, s[0:3], 0 offset:160
	buffer_load_dword v249, off, s[0:3], 0 offset:164
	buffer_load_dword v246, off, s[0:3], 0 offset:168
	buffer_load_dword v247, off, s[0:3], 0 offset:172
	v_add_f64 v[4:5], v[4:5], v[6:7]
	v_mul_f64 v[6:7], v[222:223], v[184:185]
	v_fma_f64 v[6:7], v[220:221], v[194:195], -v[6:7]
	v_add_f64 v[4:5], v[4:5], v[6:7]
	v_mul_f64 v[6:7], v[84:85], v[200:201]
	v_fma_f64 v[6:7], v[82:83], v[206:207], -v[6:7]
	;; [unrolled: 3-line block ×10, first 2 shown]
	v_add_f64 v[4:5], v[4:5], v[6:7]
	s_waitcnt vmcnt(2)
	v_add_f64 v[4:5], v[248:249], -v[4:5]
	s_waitcnt vmcnt(0)
	v_add_f64 v[2:3], v[246:247], -v[2:3]
	buffer_store_dword v5, off, s[0:3], 0 offset:164
	buffer_store_dword v4, off, s[0:3], 0 offset:160
	;; [unrolled: 1-line block ×4, first 2 shown]
	s_and_saveexec_b64 s[4:5], vcc
	s_cbranch_execz .LBB117_321
; %bb.320:
	v_accvgpr_read_b32 v1, a153
	buffer_load_dword v2, v1, s[0:3], 0 offen
	buffer_load_dword v3, v1, s[0:3], 0 offen offset:4
	buffer_load_dword v4, v1, s[0:3], 0 offen offset:8
	;; [unrolled: 1-line block ×3, first 2 shown]
	v_mov_b32_e32 v1, 0
	v_accvgpr_read_b32 v6, a161
	buffer_store_dword v1, off, s[0:3], 0 offset:144
	buffer_store_dword v1, off, s[0:3], 0 offset:148
	;; [unrolled: 1-line block ×4, first 2 shown]
	s_waitcnt vmcnt(4)
	ds_write_b128 v6, v[2:5]
.LBB117_321:
	s_or_b64 exec, exec, s[4:5]
	s_waitcnt lgkmcnt(0)
	; wave barrier
	s_waitcnt lgkmcnt(0)
	buffer_load_dword v56, off, s[0:3], 0 offset:160
	buffer_load_dword v57, off, s[0:3], 0 offset:164
	;; [unrolled: 1-line block ×36, first 2 shown]
	v_mov_b32_e32 v1, 0
	buffer_load_dword v87, off, s[0:3], 0 offset:332
	buffer_load_dword v86, off, s[0:3], 0 offset:328
	;; [unrolled: 1-line block ×18, first 2 shown]
	ds_read_b128 v[110:113], v1 offset:1008
	ds_read_b128 v[114:117], v1 offset:1024
	ds_read_b128 v[194:197], v1 offset:1040
	ds_read_b128 v[198:201], v1 offset:1056
	ds_read_b128 v[202:205], v1 offset:1072
	ds_read_b128 v[206:209], v1 offset:1088
	ds_read_b128 v[212:215], v1 offset:1104
	ds_read_b128 v[216:219], v1 offset:1120
	ds_read_b128 v[220:223], v1 offset:1136
	v_cmp_lt_u32_e32 vcc, 7, v0
	s_waitcnt vmcnt(50) lgkmcnt(8)
	v_mul_f64 v[2:3], v[110:111], v[58:59]
	v_fmac_f64_e32 v[2:3], v[112:113], v[56:57]
	v_add_f64 v[2:3], v[2:3], 0
	s_waitcnt vmcnt(46) lgkmcnt(7)
	v_mul_f64 v[4:5], v[114:115], v[54:55]
	v_fmac_f64_e32 v[4:5], v[116:117], v[52:53]
	v_add_f64 v[2:3], v[2:3], v[4:5]
	buffer_load_dword v105, off, s[0:3], 0 offset:388
	buffer_load_dword v104, off, s[0:3], 0 offset:384
	;; [unrolled: 1-line block ×8, first 2 shown]
	s_waitcnt vmcnt(52) lgkmcnt(6)
	v_mul_f64 v[6:7], v[194:195], v[50:51]
	s_waitcnt vmcnt(50) lgkmcnt(4)
	v_mul_f64 v[10:11], v[202:203], v[60:61]
	s_waitcnt vmcnt(48)
	v_fmac_f64_e32 v[10:11], v[204:205], v[62:63]
	v_mul_f64 v[50:51], v[196:197], v[50:51]
	s_waitcnt vmcnt(46)
	v_mul_f64 v[8:9], v[198:199], v[64:65]
	v_mul_f64 v[54:55], v[116:117], v[54:55]
	s_waitcnt vmcnt(44) lgkmcnt(2)
	v_mul_f64 v[14:15], v[212:213], v[74:75]
	s_waitcnt vmcnt(42)
	v_fmac_f64_e32 v[14:15], v[214:215], v[72:73]
	s_waitcnt vmcnt(40)
	v_mul_f64 v[12:13], v[206:207], v[76:77]
	s_waitcnt vmcnt(38) lgkmcnt(1)
	v_mul_f64 v[16:17], v[216:217], v[68:69]
	s_waitcnt vmcnt(36)
	v_fmac_f64_e32 v[6:7], v[196:197], v[82:83]
	v_add_f64 v[2:3], v[2:3], v[6:7]
	s_waitcnt vmcnt(34)
	v_fmac_f64_e32 v[8:9], v[200:201], v[80:81]
	v_add_f64 v[2:3], v[2:3], v[8:9]
	;; [unrolled: 3-line block ×3, first 2 shown]
	v_add_f64 v[2:3], v[2:3], v[12:13]
	v_add_f64 v[2:3], v[2:3], v[14:15]
	s_waitcnt vmcnt(30)
	v_fmac_f64_e32 v[16:17], v[218:219], v[70:71]
	v_add_f64 v[2:3], v[2:3], v[16:17]
	v_fma_f64 v[210:211], v[194:195], v[82:83], -v[50:51]
	v_mul_f64 v[50:51], v[200:201], v[64:65]
	s_waitcnt vmcnt(0)
	v_pk_mov_b32 v[14:15], v[4:5], v[4:5] op_sel:[0,1]
	buffer_load_dword v5, off, s[0:3], 0 offset:420
	buffer_load_dword v4, off, s[0:3], 0 offset:416
	v_accvgpr_write_b32 a163, v15
	v_accvgpr_write_b32 a162, v14
	s_waitcnt vmcnt(0)
	v_pk_mov_b32 v[18:19], v[4:5], v[4:5] op_sel:[0,1]
	buffer_load_dword v107, off, s[0:3], 0 offset:412
	buffer_load_dword v106, off, s[0:3], 0 offset:408
	;; [unrolled: 1-line block ×6, first 2 shown]
	v_accvgpr_write_b32 a165, v19
	v_accvgpr_write_b32 a164, v18
	s_waitcnt vmcnt(0)
	v_pk_mov_b32 v[22:23], v[4:5], v[4:5] op_sel:[0,1]
	buffer_load_dword v5, off, s[0:3], 0 offset:452
	buffer_load_dword v4, off, s[0:3], 0 offset:448
	v_accvgpr_write_b32 a167, v23
	v_accvgpr_write_b32 a166, v22
	s_waitcnt vmcnt(0)
	v_pk_mov_b32 v[24:25], v[4:5], v[4:5] op_sel:[0,1]
	buffer_load_dword v139, off, s[0:3], 0 offset:444
	buffer_load_dword v138, off, s[0:3], 0 offset:440
	buffer_load_dword v143, off, s[0:3], 0 offset:436
	buffer_load_dword v142, off, s[0:3], 0 offset:432
	buffer_load_dword v5, off, s[0:3], 0 offset:492
	buffer_load_dword v4, off, s[0:3], 0 offset:488
	v_accvgpr_write_b32 a169, v25
	v_accvgpr_write_b32 a168, v24
	s_waitcnt vmcnt(0)
	v_pk_mov_b32 v[30:31], v[4:5], v[4:5] op_sel:[0,1]
	buffer_load_dword v5, off, s[0:3], 0 offset:484
	buffer_load_dword v4, off, s[0:3], 0 offset:480
	v_accvgpr_write_b32 a171, v31
	v_accvgpr_write_b32 a170, v30
	s_waitcnt vmcnt(0)
	v_pk_mov_b32 v[32:33], v[4:5], v[4:5] op_sel:[0,1]
	buffer_load_dword v147, off, s[0:3], 0 offset:476
	buffer_load_dword v146, off, s[0:3], 0 offset:472
	;; [unrolled: 1-line block ×36, first 2 shown]
	ds_read_b128 v[232:235], v1 offset:1152
	ds_read_b128 v[236:239], v1 offset:1168
	;; [unrolled: 1-line block ×10, first 2 shown]
	v_accvgpr_write_b32 a173, v33
	s_waitcnt lgkmcnt(3)
	v_mul_f64 v[8:9], v[118:119], v[106:107]
	v_fmac_f64_e32 v[8:9], v[120:121], v[108:109]
	s_waitcnt lgkmcnt(2)
	v_mul_f64 v[12:13], v[130:131], v[14:15]
	v_fmac_f64_e32 v[12:13], v[132:133], v[18:19]
	;; [unrolled: 3-line block ×4, first 2 shown]
	v_accvgpr_write_b32 a172, v32
	s_waitcnt vmcnt(28)
	v_pk_mov_b32 v[38:39], v[4:5], v[4:5] op_sel:[0,1]
	v_mul_f64 v[4:5], v[220:221], v[66:67]
	v_fmac_f64_e32 v[4:5], v[222:223], v[84:85]
	v_add_f64 v[2:3], v[2:3], v[4:5]
	v_mul_f64 v[4:5], v[232:233], v[90:91]
	v_fmac_f64_e32 v[4:5], v[234:235], v[92:93]
	v_add_f64 v[2:3], v[2:3], v[4:5]
	;; [unrolled: 3-line block ×7, first 2 shown]
	v_add_f64 v[10:11], v[6:7], v[8:9]
	v_add_f64 v[14:15], v[10:11], v[12:13]
	;; [unrolled: 1-line block ×3, first 2 shown]
	ds_read_b128 v[14:17], v1 offset:1312
	v_add_f64 v[22:23], v[18:19], v[20:21]
	ds_read_b128 v[18:21], v1 offset:1328
	v_accvgpr_write_b32 a175, v39
	v_accvgpr_write_b32 a174, v38
	s_waitcnt lgkmcnt(1)
	v_mul_f64 v[24:25], v[14:15], v[146:147]
	v_fmac_f64_e32 v[24:25], v[16:17], v[150:151]
	v_add_f64 v[26:27], v[22:23], v[24:25]
	ds_read_b128 v[22:25], v1 offset:1344
	s_waitcnt lgkmcnt(1)
	v_mul_f64 v[28:29], v[18:19], v[30:31]
	v_fmac_f64_e32 v[28:29], v[20:21], v[32:33]
	v_add_f64 v[30:31], v[26:27], v[28:29]
	ds_read_b128 v[26:29], v1 offset:1360
	s_waitcnt vmcnt(26) lgkmcnt(1)
	v_mul_f64 v[32:33], v[22:23], v[154:155]
	s_waitcnt vmcnt(24)
	v_fmac_f64_e32 v[32:33], v[24:25], v[156:157]
	v_add_f64 v[34:35], v[30:31], v[32:33]
	ds_read_b128 v[30:33], v1 offset:1376
	s_waitcnt lgkmcnt(1)
	v_mul_f64 v[36:37], v[26:27], v[224:225]
	v_fmac_f64_e32 v[36:37], v[28:29], v[38:39]
	v_add_f64 v[38:39], v[34:35], v[36:37]
	ds_read_b128 v[34:37], v1 offset:1392
	s_waitcnt vmcnt(18) lgkmcnt(1)
	v_mul_f64 v[40:41], v[30:31], v[158:159]
	s_waitcnt vmcnt(16)
	;; [unrolled: 11-line block ×3, first 2 shown]
	v_fmac_f64_e32 v[48:49], v[40:41], v[164:165]
	v_add_f64 v[172:173], v[46:47], v[48:49]
	ds_read_b128 v[46:49], v1 offset:1440
	buffer_load_dword v171, off, s[0:3], 0 offset:636
	buffer_load_dword v170, off, s[0:3], 0 offset:632
	;; [unrolled: 1-line block ×4, first 2 shown]
	s_waitcnt lgkmcnt(1)
	v_mul_f64 v[176:177], v[42:43], v[140:141]
	v_fmac_f64_e32 v[176:177], v[44:45], v[144:145]
	v_add_f64 v[2:3], v[172:173], v[176:177]
	buffer_load_dword v177, off, s[0:3], 0 offset:652
	buffer_load_dword v176, off, s[0:3], 0 offset:648
	;; [unrolled: 1-line block ×24, first 2 shown]
	v_mul_f64 v[4:5], v[112:113], v[58:59]
	v_fma_f64 v[10:11], v[110:111], v[56:57], -v[4:5]
	v_fma_f64 v[110:111], v[198:199], v[80:81], -v[50:51]
	v_mul_f64 v[50:51], v[204:205], v[60:61]
	v_fma_f64 v[112:113], v[202:203], v[62:63], -v[50:51]
	buffer_load_dword v199, off, s[0:3], 0 offset:748
	buffer_load_dword v198, off, s[0:3], 0 offset:744
	;; [unrolled: 1-line block ×8, first 2 shown]
	v_fma_f64 v[58:59], v[114:115], v[52:53], -v[54:55]
	ds_read_b128 v[50:53], v1 offset:1456
	v_mul_f64 v[54:55], v[208:209], v[76:77]
	buffer_load_dword v209, off, s[0:3], 0 offset:780
	buffer_load_dword v208, off, s[0:3], 0 offset:776
	;; [unrolled: 1-line block ×4, first 2 shown]
	v_fma_f64 v[114:115], v[206:207], v[78:79], -v[54:55]
	v_mul_f64 v[54:55], v[214:215], v[74:75]
	v_fma_f64 v[116:117], v[212:213], v[72:73], -v[54:55]
	buffer_load_dword v206, off, s[0:3], 0 offset:808
	buffer_load_dword v215, off, s[0:3], 0 offset:796
	;; [unrolled: 1-line block ×8, first 2 shown]
	v_mul_f64 v[56:57], v[218:219], v[68:69]
	v_fma_f64 v[6:7], v[216:217], v[70:71], -v[56:57]
	buffer_load_dword v217, off, s[0:3], 0 offset:828
	buffer_load_dword v216, off, s[0:3], 0 offset:824
	;; [unrolled: 1-line block ×4, first 2 shown]
	s_waitcnt vmcnt(54) lgkmcnt(1)
	v_mul_f64 v[54:55], v[46:47], v[166:167]
	s_waitcnt vmcnt(52)
	v_fmac_f64_e32 v[54:55], v[48:49], v[168:169]
	v_add_f64 v[2:3], v[2:3], v[54:55]
	ds_read_b128 v[54:57], v1 offset:1472
	s_waitcnt lgkmcnt(1)
	v_mul_f64 v[8:9], v[50:51], v[148:149]
	v_fmac_f64_e32 v[8:9], v[52:53], v[152:153]
	v_add_f64 v[2:3], v[2:3], v[8:9]
	v_mul_f64 v[8:9], v[222:223], v[66:67]
	v_fma_f64 v[8:9], v[220:221], v[84:85], -v[8:9]
	ds_read_b128 v[220:223], v1 offset:1488
	v_mul_f64 v[70:71], v[238:239], v[86:87]
	v_mul_f64 v[86:87], v[250:251], v[228:229]
	;; [unrolled: 1-line block ×3, first 2 shown]
	v_fma_f64 v[252:253], v[252:253], v[104:105], -v[94:95]
	v_add_f64 v[10:11], v[10:11], 0
	v_add_f64 v[10:11], v[10:11], v[58:59]
	;; [unrolled: 1-line block ×9, first 2 shown]
	v_accvgpr_read_b32 v8, a164
	v_accvgpr_read_b32 v9, a165
	ds_read_b128 v[82:85], v1 offset:1584
	s_waitcnt vmcnt(50) lgkmcnt(2)
	v_mul_f64 v[62:63], v[54:55], v[170:171]
	s_waitcnt vmcnt(48)
	v_fmac_f64_e32 v[62:63], v[56:57], v[174:175]
	v_add_f64 v[2:3], v[2:3], v[62:63]
	v_mul_f64 v[62:63], v[234:235], v[90:91]
	v_fma_f64 v[232:233], v[232:233], v[92:93], -v[62:63]
	ds_read_b128 v[62:65], v1 offset:1504
	s_waitcnt vmcnt(46) lgkmcnt(2)
	v_mul_f64 v[66:67], v[220:221], v[176:177]
	s_waitcnt vmcnt(44)
	v_fmac_f64_e32 v[66:67], v[222:223], v[178:179]
	v_add_f64 v[2:3], v[2:3], v[66:67]
	ds_read_b128 v[66:69], v1 offset:1520
	s_waitcnt vmcnt(41) lgkmcnt(1)
	v_mul_f64 v[74:75], v[62:63], v[182:183]
	v_fma_f64 v[234:235], v[236:237], v[88:89], -v[70:71]
	s_waitcnt vmcnt(39)
	v_fmac_f64_e32 v[74:75], v[64:65], v[186:187]
	ds_read_b128 v[70:73], v1 offset:1536
	v_add_f64 v[2:3], v[2:3], v[74:75]
	v_mul_f64 v[74:75], v[242:243], v[100:101]
	v_fma_f64 v[4:5], v[240:241], v[102:103], -v[74:75]
	ds_read_b128 v[74:77], v1 offset:1552
	s_waitcnt vmcnt(38) lgkmcnt(2)
	v_mul_f64 v[78:79], v[66:67], v[172:173]
	s_waitcnt vmcnt(36)
	v_fmac_f64_e32 v[78:79], v[68:69], v[184:185]
	v_add_f64 v[2:3], v[2:3], v[78:79]
	s_waitcnt vmcnt(33) lgkmcnt(1)
	v_mul_f64 v[12:13], v[70:71], v[190:191]
	ds_read_b128 v[78:81], v1 offset:1568
	s_waitcnt vmcnt(31)
	v_fmac_f64_e32 v[12:13], v[72:73], v[192:193]
	v_add_f64 v[2:3], v[2:3], v[12:13]
	s_waitcnt vmcnt(29) lgkmcnt(1)
	v_mul_f64 v[12:13], v[74:75], v[180:181]
	s_waitcnt vmcnt(28)
	v_fmac_f64_e32 v[12:13], v[76:77], v[188:189]
	v_add_f64 v[2:3], v[2:3], v[12:13]
	v_mul_f64 v[12:13], v[246:247], v[96:97]
	v_fma_f64 v[246:247], v[248:249], v[230:231], -v[86:87]
	ds_read_b128 v[86:89], v1 offset:1600
	ds_read_b128 v[94:97], v1 offset:1632
	s_waitcnt vmcnt(26) lgkmcnt(2)
	v_mul_f64 v[90:91], v[78:79], v[194:195]
	s_waitcnt vmcnt(24)
	v_fmac_f64_e32 v[90:91], v[80:81], v[196:197]
	v_add_f64 v[2:3], v[2:3], v[90:91]
	s_waitcnt vmcnt(22)
	v_mul_f64 v[90:91], v[82:83], v[198:199]
	s_waitcnt vmcnt(20)
	v_fmac_f64_e32 v[90:91], v[84:85], v[202:203]
	v_add_f64 v[2:3], v[2:3], v[90:91]
	s_waitcnt vmcnt(18) lgkmcnt(1)
	v_mul_f64 v[90:91], v[86:87], v[200:201]
	s_waitcnt vmcnt(16)
	v_fmac_f64_e32 v[90:91], v[88:89], v[204:205]
	v_add_f64 v[2:3], v[2:3], v[90:91]
	ds_read_b128 v[90:93], v1 offset:1616
	v_fma_f64 v[12:13], v[244:245], v[98:99], -v[12:13]
	v_mul_f64 v[98:99], v[120:121], v[106:107]
	v_fma_f64 v[250:251], v[118:119], v[108:109], -v[98:99]
	ds_read_b128 v[98:101], v1 offset:1648
	s_waitcnt vmcnt(14) lgkmcnt(1)
	v_mul_f64 v[102:103], v[90:91], v[208:209]
	s_waitcnt vmcnt(12)
	v_fmac_f64_e32 v[102:103], v[92:93], v[60:61]
	v_add_f64 v[2:3], v[2:3], v[102:103]
	s_waitcnt vmcnt(9)
	v_mul_f64 v[102:103], v[94:95], v[214:215]
	s_waitcnt vmcnt(7)
	v_fmac_f64_e32 v[102:103], v[96:97], v[226:227]
	v_add_f64 v[2:3], v[2:3], v[102:103]
	s_waitcnt vmcnt(5) lgkmcnt(0)
	v_mul_f64 v[102:103], v[98:99], v[206:207]
	s_waitcnt vmcnt(4)
	v_fmac_f64_e32 v[102:103], v[100:101], v[212:213]
	v_add_f64 v[2:3], v[2:3], v[102:103]
	ds_read_b128 v[102:105], v1 offset:1664
	v_add_f64 v[6:7], v[6:7], v[232:233]
	v_add_f64 v[6:7], v[6:7], v[234:235]
	;; [unrolled: 1-line block ×4, first 2 shown]
	s_waitcnt vmcnt(2) lgkmcnt(0)
	v_mul_f64 v[106:107], v[102:103], v[216:217]
	s_waitcnt vmcnt(0)
	v_fmac_f64_e32 v[106:107], v[104:105], v[218:219]
	v_add_f64 v[118:119], v[2:3], v[106:107]
	buffer_load_dword v2, off, s[0:3], 0 offset:840
	buffer_load_dword v3, off, s[0:3], 0 offset:844
	;; [unrolled: 1-line block ×4, first 2 shown]
	ds_read_b128 v[106:109], v1 offset:1680
	buffer_load_dword v237, off, s[0:3], 0 offset:860
	buffer_load_dword v236, off, s[0:3], 0 offset:856
	;; [unrolled: 1-line block ×4, first 2 shown]
	v_add_f64 v[4:5], v[4:5], v[246:247]
	v_accvgpr_read_b32 v6, a162
	v_accvgpr_read_b32 v7, a163
	v_add_f64 v[252:253], v[4:5], v[252:253]
	v_mul_f64 v[6:7], v[132:133], v[6:7]
	v_add_f64 v[4:5], v[252:253], v[250:251]
	v_fma_f64 v[6:7], v[130:131], v[8:9], -v[6:7]
	v_add_f64 v[4:5], v[4:5], v[6:7]
	v_mul_f64 v[6:7], v[128:129], v[138:139]
	v_fma_f64 v[6:7], v[126:127], v[142:143], -v[6:7]
	v_add_f64 v[4:5], v[4:5], v[6:7]
	v_accvgpr_read_b32 v6, a166
	v_accvgpr_read_b32 v7, a167
	;; [unrolled: 1-line block ×3, first 2 shown]
	v_mul_f64 v[6:7], v[124:125], v[6:7]
	v_accvgpr_read_b32 v9, a169
	v_fma_f64 v[6:7], v[122:123], v[8:9], -v[6:7]
	v_add_f64 v[4:5], v[4:5], v[6:7]
	v_mul_f64 v[6:7], v[16:17], v[146:147]
	v_fma_f64 v[6:7], v[14:15], v[150:151], -v[6:7]
	v_add_f64 v[4:5], v[4:5], v[6:7]
	v_accvgpr_read_b32 v6, a170
	v_accvgpr_read_b32 v7, a171
	v_accvgpr_read_b32 v8, a172
	v_mul_f64 v[6:7], v[20:21], v[6:7]
	v_accvgpr_read_b32 v9, a173
	v_fma_f64 v[6:7], v[18:19], v[8:9], -v[6:7]
	v_add_f64 v[4:5], v[4:5], v[6:7]
	v_mul_f64 v[6:7], v[24:25], v[154:155]
	v_fma_f64 v[6:7], v[22:23], v[156:157], -v[6:7]
	v_accvgpr_read_b32 v8, a174
	v_add_f64 v[4:5], v[4:5], v[6:7]
	v_mul_f64 v[6:7], v[28:29], v[224:225]
	v_accvgpr_read_b32 v9, a175
	v_fma_f64 v[6:7], v[26:27], v[8:9], -v[6:7]
	v_add_f64 v[4:5], v[4:5], v[6:7]
	v_mul_f64 v[6:7], v[32:33], v[158:159]
	v_fma_f64 v[6:7], v[30:31], v[160:161], -v[6:7]
	v_add_f64 v[4:5], v[4:5], v[6:7]
	v_mul_f64 v[6:7], v[36:37], v[134:135]
	;; [unrolled: 3-line block ×13, first 2 shown]
	v_fma_f64 v[6:7], v[78:79], v[196:197], -v[6:7]
	v_add_f64 v[4:5], v[4:5], v[6:7]
	s_waitcnt vmcnt(6) lgkmcnt(0)
	v_mul_f64 v[120:121], v[106:107], v[2:3]
	v_mul_f64 v[6:7], v[84:85], v[198:199]
	s_waitcnt vmcnt(4)
	v_fmac_f64_e32 v[120:121], v[108:109], v[254:255]
	v_add_f64 v[228:229], v[118:119], v[120:121]
	ds_read_b128 v[118:121], v1 offset:1696
	buffer_load_dword v242, off, s[0:3], 0 offset:872
	buffer_load_dword v243, off, s[0:3], 0 offset:876
	;; [unrolled: 1-line block ×4, first 2 shown]
	v_fma_f64 v[6:7], v[82:83], v[202:203], -v[6:7]
	v_add_f64 v[4:5], v[4:5], v[6:7]
	v_mul_f64 v[6:7], v[88:89], v[200:201]
	s_waitcnt vmcnt(6) lgkmcnt(0)
	v_mul_f64 v[230:231], v[118:119], v[236:237]
	s_waitcnt vmcnt(4)
	v_fmac_f64_e32 v[230:231], v[120:121], v[238:239]
	v_add_f64 v[240:241], v[228:229], v[230:231]
	ds_read_b128 v[228:231], v1 offset:1712
	v_fma_f64 v[6:7], v[86:87], v[204:205], -v[6:7]
	v_add_f64 v[4:5], v[4:5], v[6:7]
	v_mul_f64 v[6:7], v[92:93], v[208:209]
	v_fma_f64 v[6:7], v[90:91], v[60:61], -v[6:7]
	v_add_f64 v[4:5], v[4:5], v[6:7]
	v_mul_f64 v[6:7], v[96:97], v[214:215]
	;; [unrolled: 3-line block ×4, first 2 shown]
	v_fma_f64 v[6:7], v[102:103], v[218:219], -v[6:7]
	v_mul_f64 v[2:3], v[108:109], v[2:3]
	v_add_f64 v[4:5], v[4:5], v[6:7]
	v_fma_f64 v[2:3], v[106:107], v[254:255], -v[2:3]
	v_add_f64 v[2:3], v[4:5], v[2:3]
	v_mul_f64 v[4:5], v[120:121], v[236:237]
	v_fma_f64 v[4:5], v[118:119], v[238:239], -v[4:5]
	v_add_f64 v[2:3], v[2:3], v[4:5]
	s_waitcnt vmcnt(2) lgkmcnt(0)
	v_mul_f64 v[248:249], v[228:229], v[242:243]
	v_mul_f64 v[4:5], v[230:231], v[242:243]
	s_waitcnt vmcnt(0)
	v_fmac_f64_e32 v[248:249], v[230:231], v[244:245]
	v_add_f64 v[240:241], v[240:241], v[248:249]
	buffer_load_dword v248, off, s[0:3], 0 offset:144
	buffer_load_dword v249, off, s[0:3], 0 offset:148
	;; [unrolled: 1-line block ×4, first 2 shown]
	v_fma_f64 v[4:5], v[228:229], v[244:245], -v[4:5]
	v_add_f64 v[2:3], v[2:3], v[4:5]
	s_waitcnt vmcnt(2)
	v_add_f64 v[2:3], v[248:249], -v[2:3]
	s_waitcnt vmcnt(0)
	v_add_f64 v[4:5], v[246:247], -v[240:241]
	buffer_store_dword v3, off, s[0:3], 0 offset:148
	buffer_store_dword v2, off, s[0:3], 0 offset:144
	;; [unrolled: 1-line block ×4, first 2 shown]
	s_and_saveexec_b64 s[4:5], vcc
	s_cbranch_execz .LBB117_323
; %bb.322:
	v_accvgpr_read_b32 v5, a154
	buffer_load_dword v2, v5, s[0:3], 0 offen
	buffer_load_dword v3, v5, s[0:3], 0 offen offset:4
	buffer_load_dword v4, v5, s[0:3], 0 offen offset:8
	s_nop 0
	buffer_load_dword v5, v5, s[0:3], 0 offen offset:12
	v_accvgpr_read_b32 v6, a161
	buffer_store_dword v1, off, s[0:3], 0 offset:128
	buffer_store_dword v1, off, s[0:3], 0 offset:132
	;; [unrolled: 1-line block ×4, first 2 shown]
	s_waitcnt vmcnt(4)
	ds_write_b128 v6, v[2:5]
.LBB117_323:
	s_or_b64 exec, exec, s[4:5]
	s_waitcnt lgkmcnt(0)
	; wave barrier
	s_waitcnt lgkmcnt(0)
	buffer_load_dword v60, off, s[0:3], 0 offset:144
	buffer_load_dword v61, off, s[0:3], 0 offset:148
	;; [unrolled: 1-line block ×42, first 2 shown]
	ds_read_b128 v[114:117], v1 offset:992
	ds_read_b128 v[180:183], v1 offset:1008
	;; [unrolled: 1-line block ×10, first 2 shown]
	buffer_load_dword v225, off, s[0:3], 0 offset:292
	buffer_load_dword v224, off, s[0:3], 0 offset:288
	ds_read_b128 v[62:65], v1 offset:1152
	buffer_load_dword v101, off, s[0:3], 0 offset:348
	buffer_load_dword v100, off, s[0:3], 0 offset:344
	;; [unrolled: 1-line block ×6, first 2 shown]
	v_cmp_lt_u32_e32 vcc, 6, v0
	s_waitcnt vmcnt(46) lgkmcnt(10)
	v_mul_f64 v[2:3], v[114:115], v[174:175]
	v_fmac_f64_e32 v[2:3], v[116:117], v[60:61]
	v_add_f64 v[2:3], v[2:3], 0
	s_waitcnt vmcnt(42) lgkmcnt(9)
	v_mul_f64 v[4:5], v[180:181], v[58:59]
	v_fmac_f64_e32 v[4:5], v[182:183], v[50:51]
	v_add_f64 v[2:3], v[2:3], v[4:5]
	buffer_load_dword v249, off, s[0:3], 0 offset:324
	buffer_load_dword v248, off, s[0:3], 0 offset:320
	;; [unrolled: 1-line block ×20, first 2 shown]
	s_waitcnt vmcnt(60) lgkmcnt(8)
	v_mul_f64 v[6:7], v[184:185], v[52:53]
	s_waitcnt vmcnt(58) lgkmcnt(6)
	v_mul_f64 v[10:11], v[198:199], v[68:69]
	s_waitcnt vmcnt(56)
	v_fmac_f64_e32 v[10:11], v[200:201], v[70:71]
	v_mul_f64 v[58:59], v[182:183], v[58:59]
	s_waitcnt vmcnt(54)
	v_mul_f64 v[8:9], v[192:193], v[72:73]
	v_fma_f64 v[214:215], v[180:181], v[50:51], -v[58:59]
	s_waitcnt vmcnt(52) lgkmcnt(4)
	v_mul_f64 v[14:15], v[206:207], v[74:75]
	v_mul_f64 v[50:51], v[186:187], v[52:53]
	s_waitcnt vmcnt(50)
	v_fmac_f64_e32 v[14:15], v[208:209], v[76:77]
	s_waitcnt vmcnt(48)
	v_mul_f64 v[12:13], v[202:203], v[78:79]
	s_waitcnt vmcnt(46) lgkmcnt(2)
	v_mul_f64 v[18:19], v[216:217], v[82:83]
	s_waitcnt vmcnt(43)
	v_mul_f64 v[16:17], v[210:211], v[86:87]
	s_waitcnt vmcnt(41) lgkmcnt(1)
	v_mul_f64 v[20:21], v[54:55], v[80:81]
	s_waitcnt vmcnt(39)
	v_fmac_f64_e32 v[6:7], v[186:187], v[96:97]
	v_add_f64 v[2:3], v[2:3], v[6:7]
	s_waitcnt vmcnt(37)
	v_fmac_f64_e32 v[8:9], v[194:195], v[92:93]
	v_add_f64 v[2:3], v[2:3], v[8:9]
	;; [unrolled: 3-line block ×3, first 2 shown]
	v_add_f64 v[2:3], v[2:3], v[12:13]
	s_waitcnt vmcnt(33)
	v_fmac_f64_e32 v[16:17], v[212:213], v[88:89]
	v_add_f64 v[2:3], v[2:3], v[14:15]
	s_waitcnt vmcnt(32)
	v_fmac_f64_e32 v[18:19], v[218:219], v[84:85]
	v_add_f64 v[2:3], v[2:3], v[16:17]
	v_add_f64 v[2:3], v[2:3], v[18:19]
	v_fma_f64 v[96:97], v[184:185], v[96:97], -v[50:51]
	s_waitcnt vmcnt(26)
	v_fmac_f64_e32 v[20:21], v[56:57], v[224:225]
	v_add_f64 v[2:3], v[2:3], v[20:21]
	v_mul_f64 v[50:51], v[194:195], v[72:73]
	v_mul_f64 v[56:57], v[56:57], v[80:81]
	v_fma_f64 v[224:225], v[54:55], v[224:225], -v[56:57]
	s_waitcnt vmcnt(0)
	v_pk_mov_b32 v[18:19], v[4:5], v[4:5] op_sel:[0,1]
	buffer_load_dword v5, off, s[0:3], 0 offset:436
	buffer_load_dword v4, off, s[0:3], 0 offset:432
	v_accvgpr_write_b32 a165, v19
	v_accvgpr_write_b32 a164, v18
	s_waitcnt vmcnt(0)
	v_pk_mov_b32 v[22:23], v[4:5], v[4:5] op_sel:[0,1]
	buffer_load_dword v5, off, s[0:3], 0 offset:428
	buffer_load_dword v4, off, s[0:3], 0 offset:424
	v_accvgpr_write_b32 a167, v23
	v_accvgpr_write_b32 a166, v22
	s_waitcnt vmcnt(0)
	v_pk_mov_b32 v[14:15], v[4:5], v[4:5] op_sel:[0,1]
	buffer_load_dword v139, off, s[0:3], 0 offset:420
	buffer_load_dword v138, off, s[0:3], 0 offset:416
	buffer_load_dword v5, off, s[0:3], 0 offset:476
	buffer_load_dword v4, off, s[0:3], 0 offset:472
	v_accvgpr_write_b32 a163, v15
	v_accvgpr_write_b32 a162, v14
	s_waitcnt vmcnt(0)
	v_pk_mov_b32 v[26:27], v[4:5], v[4:5] op_sel:[0,1]
	buffer_load_dword v5, off, s[0:3], 0 offset:468
	buffer_load_dword v4, off, s[0:3], 0 offset:464
	v_accvgpr_write_b32 a169, v27
	v_accvgpr_write_b32 a168, v26
	s_waitcnt vmcnt(0)
	v_pk_mov_b32 v[28:29], v[4:5], v[4:5] op_sel:[0,1]
	buffer_load_dword v143, off, s[0:3], 0 offset:460
	buffer_load_dword v142, off, s[0:3], 0 offset:456
	buffer_load_dword v147, off, s[0:3], 0 offset:452
	buffer_load_dword v146, off, s[0:3], 0 offset:448
	buffer_load_dword v5, off, s[0:3], 0 offset:508
	buffer_load_dword v4, off, s[0:3], 0 offset:504
	v_accvgpr_write_b32 a171, v29
	v_accvgpr_write_b32 a170, v28
	s_waitcnt vmcnt(0)
	v_pk_mov_b32 v[34:35], v[4:5], v[4:5] op_sel:[0,1]
	buffer_load_dword v5, off, s[0:3], 0 offset:500
	buffer_load_dword v4, off, s[0:3], 0 offset:496
	v_accvgpr_write_b32 a173, v35
	v_accvgpr_write_b32 a172, v34
	s_waitcnt vmcnt(0)
	v_pk_mov_b32 v[36:37], v[4:5], v[4:5] op_sel:[0,1]
	buffer_load_dword v151, off, s[0:3], 0 offset:492
	buffer_load_dword v150, off, s[0:3], 0 offset:488
	buffer_load_dword v155, off, s[0:3], 0 offset:484
	buffer_load_dword v154, off, s[0:3], 0 offset:480
	buffer_load_dword v5, off, s[0:3], 0 offset:540
	buffer_load_dword v4, off, s[0:3], 0 offset:536
	v_accvgpr_write_b32 a175, v37
	v_accvgpr_write_b32 a174, v36
	s_waitcnt vmcnt(0)
	v_pk_mov_b32 v[42:43], v[4:5], v[4:5] op_sel:[0,1]
	buffer_load_dword v5, off, s[0:3], 0 offset:532
	buffer_load_dword v4, off, s[0:3], 0 offset:528
	v_accvgpr_write_b32 a177, v43
	v_accvgpr_write_b32 a176, v42
	s_waitcnt vmcnt(0)
	v_pk_mov_b32 v[44:45], v[4:5], v[4:5] op_sel:[0,1]
	buffer_load_dword v159, off, s[0:3], 0 offset:524
	buffer_load_dword v158, off, s[0:3], 0 offset:520
	buffer_load_dword v161, off, s[0:3], 0 offset:516
	buffer_load_dword v160, off, s[0:3], 0 offset:512
	;; [unrolled: 1-line block ×26, first 2 shown]
	ds_read_b128 v[220:223], v1 offset:1168
	ds_read_b128 v[232:235], v1 offset:1184
	;; [unrolled: 1-line block ×10, first 2 shown]
	s_waitcnt lgkmcnt(4)
	v_mul_f64 v[8:9], v[252:253], v[106:107]
	v_fmac_f64_e32 v[8:9], v[254:255], v[108:109]
	s_waitcnt lgkmcnt(3)
	v_mul_f64 v[12:13], v[134:135], v[14:15]
	v_fmac_f64_e32 v[12:13], v[136:137], v[138:139]
	;; [unrolled: 3-line block ×4, first 2 shown]
	ds_read_b128 v[118:121], v1 offset:1328
	s_waitcnt lgkmcnt(1)
	v_mul_f64 v[24:25], v[122:123], v[26:27]
	v_fmac_f64_e32 v[24:25], v[124:125], v[28:29]
	v_accvgpr_write_b32 a179, v45
	v_accvgpr_write_b32 a178, v44
	s_waitcnt vmcnt(22)
	v_pk_mov_b32 v[176:177], v[4:5], v[4:5] op_sel:[0,1]
	v_mul_f64 v[4:5], v[62:63], v[94:95]
	v_fmac_f64_e32 v[4:5], v[64:65], v[98:99]
	v_add_f64 v[2:3], v[2:3], v[4:5]
	v_mul_f64 v[4:5], v[220:221], v[104:105]
	v_fmac_f64_e32 v[4:5], v[222:223], v[248:249]
	v_add_f64 v[2:3], v[2:3], v[4:5]
	;; [unrolled: 3-line block ×6, first 2 shown]
	v_add_f64 v[10:11], v[6:7], v[8:9]
	v_add_f64 v[14:15], v[10:11], v[12:13]
	;; [unrolled: 1-line block ×5, first 2 shown]
	ds_read_b128 v[22:25], v1 offset:1344
	s_waitcnt lgkmcnt(1)
	v_mul_f64 v[28:29], v[118:119], v[150:151]
	v_fmac_f64_e32 v[28:29], v[120:121], v[154:155]
	v_add_f64 v[30:31], v[26:27], v[28:29]
	ds_read_b128 v[26:29], v1 offset:1360
	s_waitcnt lgkmcnt(1)
	v_mul_f64 v[32:33], v[22:23], v[34:35]
	v_fmac_f64_e32 v[32:33], v[24:25], v[36:37]
	v_add_f64 v[34:35], v[30:31], v[32:33]
	;; [unrolled: 5-line block ×4, first 2 shown]
	ds_read_b128 v[38:41], v1 offset:1408
	ds_read_b128 v[42:45], v1 offset:1424
	s_waitcnt vmcnt(18) lgkmcnt(2)
	v_mul_f64 v[48:49], v[34:35], v[162:163]
	s_waitcnt vmcnt(16)
	v_fmac_f64_e32 v[48:49], v[36:37], v[164:165]
	v_add_f64 v[46:47], v[46:47], v[48:49]
	s_waitcnt lgkmcnt(1)
	v_mul_f64 v[48:49], v[38:39], v[176:177]
	v_fmac_f64_e32 v[48:49], v[40:41], v[140:141]
	v_add_f64 v[46:47], v[46:47], v[48:49]
	s_waitcnt vmcnt(10) lgkmcnt(0)
	v_mul_f64 v[48:49], v[42:43], v[166:167]
	v_accvgpr_write_b32 a181, v177
	s_waitcnt vmcnt(8)
	v_fmac_f64_e32 v[48:49], v[44:45], v[168:169]
	v_accvgpr_write_b32 a180, v176
	v_add_f64 v[2:3], v[46:47], v[48:49]
	ds_read_b128 v[46:49], v1 offset:1440
	v_mul_f64 v[4:5], v[116:117], v[174:175]
	buffer_load_dword v175, off, s[0:3], 0 offset:652
	buffer_load_dword v174, off, s[0:3], 0 offset:648
	;; [unrolled: 1-line block ×16, first 2 shown]
	v_fma_f64 v[14:15], v[192:193], v[92:93], -v[50:51]
	buffer_load_dword v182, off, s[0:3], 0 offset:728
	buffer_load_dword v195, off, s[0:3], 0 offset:716
	;; [unrolled: 1-line block ×8, first 2 shown]
	v_mul_f64 v[8:9], v[200:201], v[68:69]
	v_fma_f64 v[10:11], v[198:199], v[70:71], -v[8:9]
	buffer_load_dword v199, off, s[0:3], 0 offset:748
	buffer_load_dword v198, off, s[0:3], 0 offset:744
	;; [unrolled: 1-line block ×4, first 2 shown]
	v_mul_f64 v[12:13], v[208:209], v[74:75]
	v_mul_f64 v[50:51], v[204:205], v[78:79]
	v_fma_f64 v[12:13], v[206:207], v[76:77], -v[12:13]
	buffer_load_dword v204, off, s[0:3], 0 offset:760
	buffer_load_dword v206, off, s[0:3], 0 offset:752
	;; [unrolled: 1-line block ×4, first 2 shown]
	v_fma_f64 v[8:9], v[202:203], v[90:91], -v[50:51]
	v_mul_f64 v[50:51], v[212:213], v[86:87]
	v_fma_f64 v[6:7], v[210:211], v[88:89], -v[50:51]
	buffer_load_dword v203, off, s[0:3], 0 offset:796
	buffer_load_dword v209, off, s[0:3], 0 offset:780
	;; [unrolled: 1-line block ×12, first 2 shown]
	v_mul_f64 v[16:17], v[218:219], v[82:83]
	ds_read_b128 v[50:53], v1 offset:1456
	v_fma_f64 v[16:17], v[216:217], v[84:85], -v[16:17]
	buffer_load_dword v216, off, s[0:3], 0 offset:824
	buffer_load_dword v218, off, s[0:3], 0 offset:816
	;; [unrolled: 1-line block ×4, first 2 shown]
	ds_read_b128 v[54:57], v1 offset:1472
	s_waitcnt lgkmcnt(2)
	v_mul_f64 v[58:59], v[46:47], v[144:145]
	v_fmac_f64_e32 v[58:59], v[48:49], v[148:149]
	v_add_f64 v[2:3], v[2:3], v[58:59]
	s_waitcnt vmcnt(50) lgkmcnt(1)
	v_mul_f64 v[58:59], v[50:51], v[170:171]
	s_waitcnt vmcnt(48)
	v_fmac_f64_e32 v[58:59], v[52:53], v[172:173]
	v_mul_f64 v[64:65], v[64:65], v[94:95]
	v_add_f64 v[2:3], v[2:3], v[58:59]
	v_fma_f64 v[94:95], v[62:63], v[98:99], -v[64:65]
	ds_read_b128 v[62:65], v1 offset:1504
	s_waitcnt lgkmcnt(1)
	v_mul_f64 v[58:59], v[54:55], v[152:153]
	v_fmac_f64_e32 v[58:59], v[56:57], v[156:157]
	v_fma_f64 v[18:19], v[114:115], v[60:61], -v[4:5]
	v_add_f64 v[2:3], v[2:3], v[58:59]
	ds_read_b128 v[58:61], v1 offset:1488
	v_mul_f64 v[74:75], v[234:235], v[100:101]
	v_fma_f64 v[232:233], v[232:233], v[102:103], -v[74:75]
	ds_read_b128 v[74:77], v1 offset:1552
	v_mul_f64 v[86:87], v[242:243], v[110:111]
	v_fma_f64 v[4:5], v[240:241], v[112:113], -v[86:87]
	v_add_f64 v[18:19], v[18:19], 0
	v_add_f64 v[18:19], v[18:19], v[214:215]
	;; [unrolled: 1-line block ×11, first 2 shown]
	v_accvgpr_read_b32 v8, a166
	v_accvgpr_read_b32 v9, a167
	ds_read_b128 v[86:89], v1 offset:1600
	ds_read_b128 v[90:93], v1 offset:1616
	;; [unrolled: 1-line block ×3, first 2 shown]
	s_waitcnt vmcnt(46) lgkmcnt(4)
	v_mul_f64 v[70:71], v[58:59], v[174:175]
	s_waitcnt vmcnt(44)
	v_fmac_f64_e32 v[70:71], v[60:61], v[178:179]
	v_add_f64 v[2:3], v[2:3], v[70:71]
	v_mul_f64 v[70:71], v[222:223], v[104:105]
	v_fma_f64 v[248:249], v[220:221], v[248:249], -v[70:71]
	ds_read_b128 v[220:223], v1 offset:1520
	s_waitcnt vmcnt(41)
	v_mul_f64 v[70:71], v[62:63], v[176:177]
	s_waitcnt vmcnt(40)
	v_fmac_f64_e32 v[70:71], v[64:65], v[180:181]
	v_add_f64 v[2:3], v[2:3], v[70:71]
	ds_read_b128 v[70:73], v1 offset:1536
	s_waitcnt vmcnt(38) lgkmcnt(1)
	v_mul_f64 v[78:79], v[220:221], v[184:185]
	s_waitcnt vmcnt(36)
	v_fmac_f64_e32 v[78:79], v[222:223], v[188:189]
	v_add_f64 v[2:3], v[2:3], v[78:79]
	v_mul_f64 v[78:79], v[238:239], v[250:251]
	v_fma_f64 v[250:251], v[236:237], v[228:229], -v[78:79]
	ds_read_b128 v[78:81], v1 offset:1568
	s_waitcnt vmcnt(34) lgkmcnt(1)
	v_mul_f64 v[82:83], v[70:71], v[186:187]
	s_waitcnt vmcnt(32)
	v_fmac_f64_e32 v[82:83], v[72:73], v[190:191]
	v_add_f64 v[2:3], v[2:3], v[82:83]
	s_waitcnt vmcnt(29)
	v_mul_f64 v[82:83], v[74:75], v[194:195]
	s_waitcnt vmcnt(27)
	v_fmac_f64_e32 v[82:83], v[76:77], v[196:197]
	v_add_f64 v[2:3], v[2:3], v[82:83]
	s_waitcnt vmcnt(25) lgkmcnt(0)
	v_mul_f64 v[82:83], v[78:79], v[182:183]
	s_waitcnt vmcnt(24)
	v_fmac_f64_e32 v[82:83], v[80:81], v[192:193]
	v_add_f64 v[2:3], v[2:3], v[82:83]
	ds_read_b128 v[82:85], v1 offset:1584
	ds_read_b128 v[102:105], v1 offset:1664
	v_add_f64 v[6:7], v[6:7], v[248:249]
	v_add_f64 v[6:7], v[6:7], v[232:233]
	;; [unrolled: 1-line block ×3, first 2 shown]
	s_waitcnt vmcnt(22) lgkmcnt(1)
	v_mul_f64 v[20:21], v[82:83], v[198:199]
	s_waitcnt vmcnt(20)
	v_fmac_f64_e32 v[20:21], v[84:85], v[200:201]
	v_add_f64 v[2:3], v[2:3], v[20:21]
	v_mul_f64 v[20:21], v[246:247], v[230:231]
	v_fma_f64 v[66:67], v[244:245], v[66:67], -v[20:21]
	s_waitcnt vmcnt(17)
	v_mul_f64 v[20:21], v[86:87], v[204:205]
	ds_read_b128 v[228:231], v1 offset:1632
	s_waitcnt vmcnt(16)
	v_fmac_f64_e32 v[20:21], v[88:89], v[206:207]
	v_add_f64 v[2:3], v[2:3], v[20:21]
	v_mul_f64 v[20:21], v[254:255], v[106:107]
	v_fma_f64 v[252:253], v[252:253], v[108:109], -v[20:21]
	s_waitcnt vmcnt(13)
	v_mul_f64 v[20:21], v[90:91], v[208:209]
	s_waitcnt vmcnt(11)
	v_fmac_f64_e32 v[20:21], v[92:93], v[68:69]
	v_add_f64 v[2:3], v[2:3], v[20:21]
	s_waitcnt vmcnt(10) lgkmcnt(0)
	v_mul_f64 v[20:21], v[228:229], v[202:203]
	s_waitcnt vmcnt(8)
	v_fmac_f64_e32 v[20:21], v[230:231], v[212:213]
	v_add_f64 v[2:3], v[2:3], v[20:21]
	s_waitcnt vmcnt(6)
	v_mul_f64 v[20:21], v[98:99], v[210:211]
	s_waitcnt vmcnt(4)
	v_fmac_f64_e32 v[20:21], v[100:101], v[226:227]
	v_add_f64 v[2:3], v[2:3], v[20:21]
	s_waitcnt vmcnt(1)
	v_mul_f64 v[20:21], v[102:103], v[216:217]
	s_waitcnt vmcnt(0)
	v_fmac_f64_e32 v[20:21], v[104:105], v[218:219]
	v_add_f64 v[20:21], v[2:3], v[20:21]
	buffer_load_dword v3, off, s[0:3], 0 offset:844
	buffer_load_dword v2, off, s[0:3], 0 offset:840
	;; [unrolled: 1-line block ×4, first 2 shown]
	ds_read_b128 v[106:109], v1 offset:1680
	buffer_load_dword v236, off, s[0:3], 0 offset:856
	buffer_load_dword v237, off, s[0:3], 0 offset:860
	;; [unrolled: 1-line block ×4, first 2 shown]
	v_add_f64 v[254:255], v[6:7], v[4:5]
	v_accvgpr_read_b32 v6, a162
	v_accvgpr_read_b32 v7, a163
	v_add_f64 v[4:5], v[254:255], v[66:67]
	v_mul_f64 v[6:7], v[136:137], v[6:7]
	v_add_f64 v[4:5], v[4:5], v[252:253]
	v_fma_f64 v[6:7], v[134:135], v[138:139], -v[6:7]
	v_add_f64 v[4:5], v[4:5], v[6:7]
	v_accvgpr_read_b32 v6, a164
	v_accvgpr_read_b32 v7, a165
	v_mul_f64 v[6:7], v[132:133], v[6:7]
	v_fma_f64 v[6:7], v[130:131], v[8:9], -v[6:7]
	v_add_f64 v[4:5], v[4:5], v[6:7]
	v_mul_f64 v[6:7], v[128:129], v[142:143]
	v_fma_f64 v[6:7], v[126:127], v[146:147], -v[6:7]
	v_add_f64 v[4:5], v[4:5], v[6:7]
	v_accvgpr_read_b32 v6, a168
	v_accvgpr_read_b32 v7, a169
	v_accvgpr_read_b32 v8, a170
	v_mul_f64 v[6:7], v[124:125], v[6:7]
	v_accvgpr_read_b32 v9, a171
	v_fma_f64 v[6:7], v[122:123], v[8:9], -v[6:7]
	v_add_f64 v[4:5], v[4:5], v[6:7]
	v_mul_f64 v[6:7], v[120:121], v[150:151]
	v_fma_f64 v[6:7], v[118:119], v[154:155], -v[6:7]
	v_add_f64 v[4:5], v[4:5], v[6:7]
	v_accvgpr_read_b32 v6, a172
	v_accvgpr_read_b32 v7, a173
	v_accvgpr_read_b32 v8, a174
	v_mul_f64 v[6:7], v[24:25], v[6:7]
	v_accvgpr_read_b32 v9, a175
	;; [unrolled: 10-line block ×3, first 2 shown]
	v_fma_f64 v[6:7], v[30:31], v[8:9], -v[6:7]
	v_add_f64 v[4:5], v[4:5], v[6:7]
	v_mul_f64 v[6:7], v[36:37], v[162:163]
	v_fma_f64 v[6:7], v[34:35], v[164:165], -v[6:7]
	v_add_f64 v[4:5], v[4:5], v[6:7]
	v_accvgpr_read_b32 v6, a180
	v_accvgpr_read_b32 v7, a181
	v_mul_f64 v[6:7], v[40:41], v[6:7]
	v_fma_f64 v[6:7], v[38:39], v[140:141], -v[6:7]
	v_add_f64 v[4:5], v[4:5], v[6:7]
	v_mul_f64 v[6:7], v[44:45], v[166:167]
	v_fma_f64 v[6:7], v[42:43], v[168:169], -v[6:7]
	v_add_f64 v[4:5], v[4:5], v[6:7]
	;; [unrolled: 3-line block ×9, first 2 shown]
	s_waitcnt vmcnt(6) lgkmcnt(0)
	v_mul_f64 v[110:111], v[106:107], v[2:3]
	v_mul_f64 v[6:7], v[76:77], v[194:195]
	s_waitcnt vmcnt(4)
	v_fmac_f64_e32 v[110:111], v[108:109], v[234:235]
	v_add_f64 v[20:21], v[20:21], v[110:111]
	ds_read_b128 v[110:113], v1 offset:1696
	buffer_load_dword v243, off, s[0:3], 0 offset:876
	buffer_load_dword v242, off, s[0:3], 0 offset:872
	buffer_load_dword v245, off, s[0:3], 0 offset:868
	buffer_load_dword v244, off, s[0:3], 0 offset:864
	v_fma_f64 v[6:7], v[74:75], v[196:197], -v[6:7]
	v_add_f64 v[4:5], v[4:5], v[6:7]
	v_mul_f64 v[6:7], v[80:81], v[182:183]
	s_waitcnt vmcnt(6) lgkmcnt(0)
	v_mul_f64 v[114:115], v[110:111], v[236:237]
	s_waitcnt vmcnt(4)
	v_fmac_f64_e32 v[114:115], v[112:113], v[238:239]
	v_add_f64 v[20:21], v[20:21], v[114:115]
	ds_read_b128 v[114:117], v1 offset:1712
	buffer_load_dword v248, off, s[0:3], 0 offset:128
	buffer_load_dword v249, off, s[0:3], 0 offset:132
	;; [unrolled: 1-line block ×4, first 2 shown]
	v_fma_f64 v[6:7], v[78:79], v[192:193], -v[6:7]
	v_add_f64 v[4:5], v[4:5], v[6:7]
	v_mul_f64 v[6:7], v[84:85], v[198:199]
	v_fma_f64 v[6:7], v[82:83], v[200:201], -v[6:7]
	v_add_f64 v[4:5], v[4:5], v[6:7]
	v_mul_f64 v[6:7], v[88:89], v[204:205]
	;; [unrolled: 3-line block ×6, first 2 shown]
	v_fma_f64 v[6:7], v[102:103], v[218:219], -v[6:7]
	v_mul_f64 v[2:3], v[108:109], v[2:3]
	v_add_f64 v[4:5], v[4:5], v[6:7]
	v_fma_f64 v[2:3], v[106:107], v[234:235], -v[2:3]
	v_add_f64 v[2:3], v[4:5], v[2:3]
	v_mul_f64 v[4:5], v[112:113], v[236:237]
	v_fma_f64 v[4:5], v[110:111], v[238:239], -v[4:5]
	v_add_f64 v[2:3], v[2:3], v[4:5]
	s_waitcnt vmcnt(6) lgkmcnt(0)
	v_mul_f64 v[4:5], v[116:117], v[242:243]
	v_mul_f64 v[240:241], v[114:115], v[242:243]
	s_waitcnt vmcnt(4)
	v_fma_f64 v[4:5], v[114:115], v[244:245], -v[4:5]
	v_fmac_f64_e32 v[240:241], v[116:117], v[244:245]
	v_add_f64 v[2:3], v[2:3], v[4:5]
	v_add_f64 v[240:241], v[20:21], v[240:241]
	s_waitcnt vmcnt(2)
	v_add_f64 v[2:3], v[248:249], -v[2:3]
	s_waitcnt vmcnt(0)
	v_add_f64 v[4:5], v[246:247], -v[240:241]
	buffer_store_dword v3, off, s[0:3], 0 offset:132
	buffer_store_dword v2, off, s[0:3], 0 offset:128
	;; [unrolled: 1-line block ×4, first 2 shown]
	s_and_saveexec_b64 s[4:5], vcc
	s_cbranch_execz .LBB117_325
; %bb.324:
	v_accvgpr_read_b32 v1, a155
	buffer_load_dword v2, v1, s[0:3], 0 offen
	buffer_load_dword v3, v1, s[0:3], 0 offen offset:4
	buffer_load_dword v4, v1, s[0:3], 0 offen offset:8
	buffer_load_dword v5, v1, s[0:3], 0 offen offset:12
	v_mov_b32_e32 v1, 0
	v_accvgpr_read_b32 v6, a161
	buffer_store_dword v1, off, s[0:3], 0 offset:112
	buffer_store_dword v1, off, s[0:3], 0 offset:116
	;; [unrolled: 1-line block ×4, first 2 shown]
	s_waitcnt vmcnt(4)
	ds_write_b128 v6, v[2:5]
.LBB117_325:
	s_or_b64 exec, exec, s[4:5]
	s_waitcnt lgkmcnt(0)
	; wave barrier
	s_waitcnt lgkmcnt(0)
	buffer_load_dword v48, off, s[0:3], 0 offset:128
	buffer_load_dword v49, off, s[0:3], 0 offset:132
	buffer_load_dword v52, off, s[0:3], 0 offset:136
	buffer_load_dword v53, off, s[0:3], 0 offset:140
	buffer_load_dword v174, off, s[0:3], 0 offset:144
	buffer_load_dword v175, off, s[0:3], 0 offset:148
	buffer_load_dword v54, off, s[0:3], 0 offset:152
	buffer_load_dword v55, off, s[0:3], 0 offset:156
	buffer_load_dword v46, off, s[0:3], 0 offset:168
	buffer_load_dword v47, off, s[0:3], 0 offset:172
	buffer_load_dword v63, off, s[0:3], 0 offset:204
	buffer_load_dword v62, off, s[0:3], 0 offset:200
	buffer_load_dword v193, off, s[0:3], 0 offset:196
	buffer_load_dword v192, off, s[0:3], 0 offset:192
	buffer_load_dword v65, off, s[0:3], 0 offset:188
	buffer_load_dword v64, off, s[0:3], 0 offset:184
	buffer_load_dword v67, off, s[0:3], 0 offset:236
	buffer_load_dword v66, off, s[0:3], 0 offset:232
	buffer_load_dword v69, off, s[0:3], 0 offset:228
	buffer_load_dword v68, off, s[0:3], 0 offset:224
	buffer_load_dword v71, off, s[0:3], 0 offset:220
	buffer_load_dword v70, off, s[0:3], 0 offset:216
	buffer_load_dword v77, off, s[0:3], 0 offset:268
	buffer_load_dword v76, off, s[0:3], 0 offset:264
	buffer_load_dword v74, off, s[0:3], 0 offset:256
	buffer_load_dword v79, off, s[0:3], 0 offset:252
	buffer_load_dword v78, off, s[0:3], 0 offset:248
	buffer_load_dword v73, off, s[0:3], 0 offset:284
	buffer_load_dword v72, off, s[0:3], 0 offset:280
	buffer_load_dword v90, off, s[0:3], 0 offset:160
	buffer_load_dword v91, off, s[0:3], 0 offset:164
	buffer_load_dword v89, off, s[0:3], 0 offset:180
	buffer_load_dword v88, off, s[0:3], 0 offset:176
	buffer_load_dword v83, off, s[0:3], 0 offset:212
	buffer_load_dword v82, off, s[0:3], 0 offset:208
	buffer_load_dword v81, off, s[0:3], 0 offset:244
	buffer_load_dword v80, off, s[0:3], 0 offset:240
	buffer_load_dword v75, off, s[0:3], 0 offset:260
	buffer_load_dword v84, off, s[0:3], 0 offset:296
	buffer_load_dword v86, off, s[0:3], 0 offset:288
	buffer_load_dword v87, off, s[0:3], 0 offset:292
	buffer_load_dword v85, off, s[0:3], 0 offset:300
	v_mov_b32_e32 v1, 0
	buffer_load_dword v99, off, s[0:3], 0 offset:276
	buffer_load_dword v98, off, s[0:3], 0 offset:272
	;; [unrolled: 1-line block ×7, first 2 shown]
	ds_read_b128 v[112:115], v1 offset:976
	ds_read_b128 v[170:173], v1 offset:992
	;; [unrolled: 1-line block ×11, first 2 shown]
	v_cmp_lt_u32_e32 vcc, 5, v0
	s_waitcnt vmcnt(45) lgkmcnt(10)
	v_mul_f64 v[2:3], v[112:113], v[52:53]
	v_fmac_f64_e32 v[2:3], v[114:115], v[48:49]
	v_add_f64 v[2:3], v[2:3], 0
	s_waitcnt vmcnt(41) lgkmcnt(9)
	v_mul_f64 v[4:5], v[170:171], v[54:55]
	v_fmac_f64_e32 v[4:5], v[172:173], v[174:175]
	v_add_f64 v[2:3], v[2:3], v[4:5]
	buffer_load_dword v96, off, s[0:3], 0 offset:312
	buffer_load_dword v117, off, s[0:3], 0 offset:308
	;; [unrolled: 1-line block ×21, first 2 shown]
	s_waitcnt vmcnt(60) lgkmcnt(8)
	v_mul_f64 v[6:7], v[178:179], v[46:47]
	s_waitcnt vmcnt(58) lgkmcnt(6)
	v_mul_f64 v[10:11], v[188:189], v[62:63]
	s_waitcnt vmcnt(56)
	v_fmac_f64_e32 v[10:11], v[190:191], v[192:193]
	v_mul_f64 v[46:47], v[180:181], v[46:47]
	s_waitcnt vmcnt(54)
	v_mul_f64 v[8:9], v[182:183], v[64:65]
	s_waitcnt vmcnt(52) lgkmcnt(4)
	v_mul_f64 v[14:15], v[198:199], v[66:67]
	s_waitcnt vmcnt(50)
	v_fmac_f64_e32 v[14:15], v[200:201], v[68:69]
	s_waitcnt vmcnt(48)
	v_mul_f64 v[12:13], v[194:195], v[70:71]
	s_waitcnt vmcnt(46) lgkmcnt(2)
	v_mul_f64 v[18:19], v[212:213], v[76:77]
	s_waitcnt vmcnt(43)
	v_mul_f64 v[16:17], v[202:203], v[78:79]
	s_waitcnt vmcnt(41) lgkmcnt(1)
	v_mul_f64 v[20:21], v[216:217], v[72:73]
	s_waitcnt vmcnt(39)
	v_fmac_f64_e32 v[6:7], v[180:181], v[90:91]
	v_add_f64 v[2:3], v[2:3], v[6:7]
	s_waitcnt vmcnt(37)
	v_fmac_f64_e32 v[8:9], v[184:185], v[88:89]
	v_add_f64 v[2:3], v[2:3], v[8:9]
	;; [unrolled: 3-line block ×3, first 2 shown]
	v_add_f64 v[2:3], v[2:3], v[12:13]
	v_add_f64 v[2:3], v[2:3], v[14:15]
	s_waitcnt vmcnt(33)
	v_fmac_f64_e32 v[16:17], v[204:205], v[80:81]
	v_add_f64 v[2:3], v[2:3], v[16:17]
	s_waitcnt vmcnt(32)
	v_fmac_f64_e32 v[18:19], v[214:215], v[74:75]
	;; [unrolled: 3-line block ×3, first 2 shown]
	v_add_f64 v[2:3], v[2:3], v[20:21]
	v_fma_f64 v[90:91], v[178:179], v[90:91], -v[46:47]
	v_mul_f64 v[46:47], v[184:185], v[64:65]
	s_waitcnt vmcnt(0)
	v_pk_mov_b32 v[14:15], v[4:5], v[4:5] op_sel:[0,1]
	buffer_load_dword v5, off, s[0:3], 0 offset:420
	buffer_load_dword v4, off, s[0:3], 0 offset:416
	v_accvgpr_write_b32 a163, v15
	v_accvgpr_write_b32 a162, v14
	s_waitcnt vmcnt(0)
	v_pk_mov_b32 v[16:17], v[4:5], v[4:5] op_sel:[0,1]
	buffer_load_dword v105, off, s[0:3], 0 offset:412
	buffer_load_dword v104, off, s[0:3], 0 offset:408
	;; [unrolled: 1-line block ×6, first 2 shown]
	v_accvgpr_write_b32 a165, v17
	v_accvgpr_write_b32 a164, v16
	s_waitcnt vmcnt(0)
	v_pk_mov_b32 v[22:23], v[4:5], v[4:5] op_sel:[0,1]
	buffer_load_dword v5, off, s[0:3], 0 offset:452
	buffer_load_dword v4, off, s[0:3], 0 offset:448
	v_accvgpr_write_b32 a169, v23
	v_accvgpr_write_b32 a168, v22
	s_waitcnt vmcnt(0)
	v_pk_mov_b32 v[24:25], v[4:5], v[4:5] op_sel:[0,1]
	buffer_load_dword v5, off, s[0:3], 0 offset:444
	buffer_load_dword v4, off, s[0:3], 0 offset:440
	;; [unrolled: 6-line block ×3, first 2 shown]
	buffer_load_dword v5, off, s[0:3], 0 offset:492
	buffer_load_dword v4, off, s[0:3], 0 offset:488
	v_accvgpr_write_b32 a167, v19
	v_accvgpr_write_b32 a166, v18
	s_waitcnt vmcnt(0)
	v_pk_mov_b32 v[30:31], v[4:5], v[4:5] op_sel:[0,1]
	buffer_load_dword v5, off, s[0:3], 0 offset:484
	buffer_load_dword v4, off, s[0:3], 0 offset:480
	v_accvgpr_write_b32 a173, v31
	v_accvgpr_write_b32 a172, v30
	s_waitcnt vmcnt(0)
	v_pk_mov_b32 v[32:33], v[4:5], v[4:5] op_sel:[0,1]
	buffer_load_dword v147, off, s[0:3], 0 offset:476
	buffer_load_dword v146, off, s[0:3], 0 offset:472
	;; [unrolled: 1-line block ×6, first 2 shown]
	v_accvgpr_write_b32 a175, v33
	v_accvgpr_write_b32 a174, v32
	s_waitcnt vmcnt(0)
	v_pk_mov_b32 v[38:39], v[4:5], v[4:5] op_sel:[0,1]
	buffer_load_dword v5, off, s[0:3], 0 offset:516
	buffer_load_dword v4, off, s[0:3], 0 offset:512
	v_accvgpr_write_b32 a177, v39
	v_accvgpr_write_b32 a176, v38
	s_waitcnt vmcnt(0)
	v_pk_mov_b32 v[40:41], v[4:5], v[4:5] op_sel:[0,1]
	buffer_load_dword v155, off, s[0:3], 0 offset:508
	buffer_load_dword v154, off, s[0:3], 0 offset:504
	;; [unrolled: 1-line block ×6, first 2 shown]
	v_accvgpr_write_b32 a179, v41
	v_accvgpr_write_b32 a178, v40
	s_waitcnt vmcnt(0)
	v_pk_mov_b32 v[176:177], v[4:5], v[4:5] op_sel:[0,1]
	buffer_load_dword v5, off, s[0:3], 0 offset:548
	buffer_load_dword v4, off, s[0:3], 0 offset:544
	;; [unrolled: 1-line block ×22, first 2 shown]
	ds_read_b128 v[220:223], v1 offset:1152
	ds_read_b128 v[228:231], v1 offset:1168
	ds_read_b128 v[232:235], v1 offset:1184
	ds_read_b128 v[236:239], v1 offset:1200
	ds_read_b128 v[240:243], v1 offset:1216
	ds_read_b128 v[244:247], v1 offset:1232
	ds_read_b128 v[248:251], v1 offset:1248
	ds_read_b128 v[138:141], v1 offset:1264
	ds_read_b128 v[134:137], v1 offset:1280
	ds_read_b128 v[130:133], v1 offset:1296
	ds_read_b128 v[126:129], v1 offset:1312
	ds_read_b128 v[122:125], v1 offset:1328
	s_waitcnt lgkmcnt(5)
	v_mul_f64 v[8:9], v[248:249], v[104:105]
	v_fmac_f64_e32 v[8:9], v[250:251], v[106:107]
	s_waitcnt lgkmcnt(4)
	v_mul_f64 v[12:13], v[138:139], v[14:15]
	v_fmac_f64_e32 v[12:13], v[140:141], v[16:17]
	;; [unrolled: 3-line block ×5, first 2 shown]
	s_waitcnt lgkmcnt(0)
	v_mul_f64 v[28:29], v[122:123], v[30:31]
	ds_read_b128 v[118:121], v1 offset:1344
	v_fmac_f64_e32 v[28:29], v[124:125], v[32:33]
	v_accvgpr_write_b32 a181, v177
	v_accvgpr_write_b32 a180, v176
	s_waitcnt vmcnt(14)
	v_accvgpr_write_b32 a185, v57
	v_accvgpr_write_b32 a184, v56
	v_pk_mov_b32 v[186:187], v[4:5], v[4:5] op_sel:[0,1]
	v_mul_f64 v[4:5], v[58:59], v[84:85]
	v_fmac_f64_e32 v[4:5], v[60:61], v[86:87]
	v_add_f64 v[2:3], v[2:3], v[4:5]
	v_mul_f64 v[4:5], v[220:221], v[96:97]
	v_fmac_f64_e32 v[4:5], v[222:223], v[116:117]
	v_add_f64 v[2:3], v[2:3], v[4:5]
	;; [unrolled: 3-line block ×7, first 2 shown]
	v_add_f64 v[10:11], v[6:7], v[8:9]
	v_add_f64 v[14:15], v[10:11], v[12:13]
	;; [unrolled: 1-line block ×6, first 2 shown]
	ds_read_b128 v[26:29], v1 offset:1360
	s_waitcnt lgkmcnt(1)
	v_mul_f64 v[32:33], v[118:119], v[154:155]
	v_fmac_f64_e32 v[32:33], v[120:121], v[156:157]
	v_add_f64 v[34:35], v[30:31], v[32:33]
	ds_read_b128 v[30:33], v1 offset:1376
	s_waitcnt lgkmcnt(1)
	v_mul_f64 v[36:37], v[26:27], v[38:39]
	v_fmac_f64_e32 v[36:37], v[28:29], v[40:41]
	v_add_f64 v[38:39], v[34:35], v[36:37]
	ds_read_b128 v[34:37], v1 offset:1392
	s_waitcnt lgkmcnt(1)
	v_mul_f64 v[40:41], v[30:31], v[158:159]
	v_fmac_f64_e32 v[40:41], v[32:33], v[160:161]
	v_mul_f64 v[4:5], v[114:115], v[52:53]
	v_add_f64 v[42:43], v[38:39], v[40:41]
	s_waitcnt lgkmcnt(0)
	v_mul_f64 v[44:45], v[34:35], v[176:177]
	v_fmac_f64_e32 v[44:45], v[36:37], v[186:187]
	v_fma_f64 v[22:23], v[112:113], v[48:49], -v[4:5]
	v_mul_f64 v[48:49], v[172:173], v[54:55]
	ds_read_b128 v[38:41], v1 offset:1408
	v_add_f64 v[2:3], v[42:43], v[44:45]
	ds_read_b128 v[42:45], v1 offset:1424
	v_fma_f64 v[112:113], v[170:171], v[174:175], -v[48:49]
	buffer_load_dword v171, off, s[0:3], 0 offset:636
	buffer_load_dword v170, off, s[0:3], 0 offset:632
	;; [unrolled: 1-line block ×8, first 2 shown]
	v_accvgpr_write_b32 a182, v186
	v_fma_f64 v[18:19], v[182:183], v[88:89], -v[46:47]
	buffer_load_dword v179, off, s[0:3], 0 offset:684
	buffer_load_dword v183, off, s[0:3], 0 offset:668
	;; [unrolled: 1-line block ×6, first 2 shown]
	v_accvgpr_write_b32 a183, v187
	buffer_load_dword v187, off, s[0:3], 0 offset:676
	buffer_load_dword v186, off, s[0:3], 0 offset:672
	v_mul_f64 v[8:9], v[190:191], v[62:63]
	v_fma_f64 v[14:15], v[188:189], v[192:193], -v[8:9]
	buffer_load_dword v180, off, s[0:3], 0 offset:712
	buffer_load_dword v191, off, s[0:3], 0 offset:700
	;; [unrolled: 1-line block ×8, first 2 shown]
	v_mul_f64 v[54:55], v[196:197], v[70:71]
	ds_read_b128 v[46:49], v1 offset:1440
	v_fma_f64 v[10:11], v[194:195], v[82:83], -v[54:55]
	buffer_load_dword v195, off, s[0:3], 0 offset:732
	buffer_load_dword v194, off, s[0:3], 0 offset:728
	;; [unrolled: 1-line block ×4, first 2 shown]
	v_mul_f64 v[12:13], v[200:201], v[66:67]
	v_fma_f64 v[12:13], v[198:199], v[68:69], -v[12:13]
	buffer_load_dword v198, off, s[0:3], 0 offset:744
	buffer_load_dword v200, off, s[0:3], 0 offset:736
	;; [unrolled: 1-line block ×4, first 2 shown]
	v_mul_f64 v[54:55], v[204:205], v[78:79]
	v_fma_f64 v[8:9], v[202:203], v[80:81], -v[54:55]
	v_mul_f64 v[16:17], v[214:215], v[76:77]
	v_mul_f64 v[54:55], v[218:219], v[72:73]
	s_waitcnt vmcnt(42) lgkmcnt(2)
	v_mul_f64 v[52:53], v[38:39], v[162:163]
	buffer_load_dword v205, off, s[0:3], 0 offset:764
	buffer_load_dword v204, off, s[0:3], 0 offset:760
	;; [unrolled: 1-line block ×8, first 2 shown]
	v_fma_f64 v[16:17], v[212:213], v[74:75], -v[16:17]
	buffer_load_dword v202, off, s[0:3], 0 offset:808
	buffer_load_dword v215, off, s[0:3], 0 offset:796
	;; [unrolled: 1-line block ×8, first 2 shown]
	v_fma_f64 v[6:7], v[216:217], v[98:99], -v[54:55]
	ds_read_b128 v[216:219], v1 offset:1456
	s_waitcnt vmcnt(56)
	v_fmac_f64_e32 v[52:53], v[40:41], v[164:165]
	v_add_f64 v[2:3], v[2:3], v[52:53]
	s_waitcnt lgkmcnt(2)
	v_mul_f64 v[52:53], v[42:43], v[56:57]
	ds_read_b128 v[54:57], v1 offset:1472
	v_fmac_f64_e32 v[52:53], v[44:45], v[144:145]
	s_waitcnt vmcnt(50) lgkmcnt(2)
	v_mul_f64 v[20:21], v[46:47], v[166:167]
	v_add_f64 v[2:3], v[2:3], v[52:53]
	s_waitcnt vmcnt(48)
	v_fmac_f64_e32 v[20:21], v[48:49], v[168:169]
	v_add_f64 v[2:3], v[2:3], v[20:21]
	s_waitcnt lgkmcnt(1)
	v_mul_f64 v[20:21], v[216:217], v[148:149]
	v_fmac_f64_e32 v[20:21], v[218:219], v[152:153]
	v_add_f64 v[2:3], v[2:3], v[20:21]
	v_mul_f64 v[20:21], v[60:61], v[84:85]
	v_fma_f64 v[20:21], v[58:59], v[86:87], -v[20:21]
	ds_read_b128 v[58:61], v1 offset:1488
	ds_read_b128 v[62:65], v1 offset:1504
	ds_read_b128 v[66:69], v1 offset:1520
	ds_read_b128 v[70:73], v1 offset:1536
	v_mul_f64 v[74:75], v[234:235], v[224:225]
	ds_read_b128 v[82:85], v1 offset:1584
	ds_read_b128 v[86:89], v1 offset:1600
	;; [unrolled: 1-line block ×3, first 2 shown]
	s_waitcnt vmcnt(46) lgkmcnt(7)
	v_mul_f64 v[52:53], v[54:55], v[170:171]
	s_waitcnt vmcnt(44)
	v_fmac_f64_e32 v[52:53], v[56:57], v[176:177]
	v_add_f64 v[2:3], v[2:3], v[52:53]
	v_mul_f64 v[52:53], v[222:223], v[96:97]
	s_waitcnt vmcnt(41) lgkmcnt(6)
	v_mul_f64 v[24:25], v[58:59], v[172:173]
	v_fma_f64 v[4:5], v[220:221], v[116:117], -v[52:53]
	s_waitcnt vmcnt(40)
	v_fmac_f64_e32 v[24:25], v[60:61], v[174:175]
	s_waitcnt vmcnt(37) lgkmcnt(5)
	v_mul_f64 v[52:53], v[62:63], v[182:183]
	v_add_f64 v[2:3], v[2:3], v[24:25]
	v_mul_f64 v[24:25], v[230:231], v[92:93]
	s_waitcnt vmcnt(35)
	v_fmac_f64_e32 v[52:53], v[64:65], v[184:185]
	v_fma_f64 v[92:93], v[232:233], v[252:253], -v[74:75]
	ds_read_b128 v[74:77], v1 offset:1552
	v_add_f64 v[2:3], v[2:3], v[52:53]
	s_waitcnt vmcnt(34) lgkmcnt(5)
	v_mul_f64 v[52:53], v[66:67], v[178:179]
	s_waitcnt vmcnt(32)
	v_fmac_f64_e32 v[52:53], v[68:69], v[186:187]
	v_add_f64 v[2:3], v[2:3], v[52:53]
	s_waitcnt vmcnt(29) lgkmcnt(4)
	v_mul_f64 v[52:53], v[70:71], v[190:191]
	s_waitcnt vmcnt(27)
	v_fmac_f64_e32 v[52:53], v[72:73], v[192:193]
	;; [unrolled: 5-line block ×3, first 2 shown]
	v_add_f64 v[2:3], v[2:3], v[52:53]
	v_mul_f64 v[52:53], v[238:239], v[108:109]
	v_fma_f64 v[110:111], v[236:237], v[110:111], -v[52:53]
	s_waitcnt vmcnt(22)
	v_mul_f64 v[52:53], v[78:79], v[194:195]
	s_waitcnt vmcnt(20)
	v_fmac_f64_e32 v[52:53], v[80:81], v[196:197]
	v_add_f64 v[2:3], v[2:3], v[52:53]
	v_mul_f64 v[52:53], v[242:243], v[254:255]
	v_fma_f64 v[224:225], v[240:241], v[50:51], -v[52:53]
	s_waitcnt vmcnt(17)
	v_mul_f64 v[50:51], v[82:83], v[198:199]
	s_waitcnt vmcnt(16)
	v_fmac_f64_e32 v[50:51], v[84:85], v[200:201]
	v_fma_f64 v[24:25], v[228:229], v[94:95], -v[24:25]
	v_add_f64 v[2:3], v[2:3], v[50:51]
	ds_read_b128 v[220:223], v1 offset:1616
	ds_read_b128 v[94:97], v1 offset:1632
	v_mul_f64 v[50:51], v[246:247], v[100:101]
	ds_read_b128 v[98:101], v1 offset:1648
	buffer_load_dword v229, off, s[0:3], 0 offset:828
	buffer_load_dword v228, off, s[0:3], 0 offset:824
	;; [unrolled: 1-line block ×4, first 2 shown]
	v_fma_f64 v[246:247], v[244:245], v[102:103], -v[50:51]
	v_mul_f64 v[52:53], v[250:251], v[104:105]
	ds_read_b128 v[102:105], v1 offset:1664
	buffer_load_dword v232, off, s[0:3], 0 offset:840
	buffer_load_dword v233, off, s[0:3], 0 offset:844
	;; [unrolled: 1-line block ×4, first 2 shown]
	s_waitcnt vmcnt(22)
	v_mul_f64 v[50:51], v[86:87], v[204:205]
	s_waitcnt vmcnt(20)
	v_fmac_f64_e32 v[50:51], v[88:89], v[208:209]
	v_add_f64 v[2:3], v[2:3], v[50:51]
	s_waitcnt vmcnt(18) lgkmcnt(3)
	v_mul_f64 v[50:51], v[220:221], v[206:207]
	s_waitcnt vmcnt(16)
	v_fmac_f64_e32 v[50:51], v[222:223], v[210:211]
	v_add_f64 v[2:3], v[2:3], v[50:51]
	s_waitcnt vmcnt(13) lgkmcnt(2)
	v_mul_f64 v[50:51], v[94:95], v[214:215]
	v_fma_f64 v[250:251], v[248:249], v[106:107], -v[52:53]
	s_waitcnt vmcnt(11)
	v_fmac_f64_e32 v[50:51], v[96:97], v[226:227]
	ds_read_b128 v[106:109], v1 offset:1680
	buffer_load_dword v237, off, s[0:3], 0 offset:860
	buffer_load_dword v236, off, s[0:3], 0 offset:856
	;; [unrolled: 1-line block ×4, first 2 shown]
	v_add_f64 v[2:3], v[2:3], v[50:51]
	s_waitcnt vmcnt(13) lgkmcnt(2)
	v_mul_f64 v[50:51], v[98:99], v[202:203]
	s_waitcnt vmcnt(12)
	v_fmac_f64_e32 v[50:51], v[100:101], v[212:213]
	v_add_f64 v[2:3], v[2:3], v[50:51]
	s_waitcnt vmcnt(10) lgkmcnt(1)
	v_mul_f64 v[50:51], v[102:103], v[228:229]
	s_waitcnt vmcnt(8)
	v_fmac_f64_e32 v[50:51], v[104:105], v[230:231]
	;; [unrolled: 5-line block ×3, first 2 shown]
	v_add_f64 v[2:3], v[2:3], v[50:51]
	ds_read_b128 v[50:53], v1 offset:1696
	buffer_load_dword v242, off, s[0:3], 0 offset:872
	buffer_load_dword v243, off, s[0:3], 0 offset:876
	;; [unrolled: 1-line block ×4, first 2 shown]
	s_waitcnt vmcnt(6) lgkmcnt(0)
	v_mul_f64 v[114:115], v[50:51], v[236:237]
	s_waitcnt vmcnt(4)
	v_fmac_f64_e32 v[114:115], v[52:53], v[238:239]
	v_add_f64 v[2:3], v[2:3], v[114:115]
	ds_read_b128 v[114:117], v1 offset:1712
	buffer_load_dword v248, off, s[0:3], 0 offset:112
	buffer_load_dword v249, off, s[0:3], 0 offset:116
	s_waitcnt vmcnt(4) lgkmcnt(0)
	v_mul_f64 v[240:241], v[114:115], v[242:243]
	s_waitcnt vmcnt(2)
	v_fmac_f64_e32 v[240:241], v[116:117], v[244:245]
	v_add_f64 v[240:241], v[2:3], v[240:241]
	v_add_f64 v[2:3], v[22:23], 0
	;; [unrolled: 1-line block ×18, first 2 shown]
	buffer_load_dword v246, off, s[0:3], 0 offset:120
	buffer_load_dword v247, off, s[0:3], 0 offset:124
	v_accvgpr_read_b32 v4, a162
	v_accvgpr_read_b32 v5, a163
	;; [unrolled: 1-line block ×3, first 2 shown]
	v_mul_f64 v[4:5], v[140:141], v[4:5]
	v_accvgpr_read_b32 v7, a165
	v_add_f64 v[2:3], v[252:253], v[250:251]
	v_fma_f64 v[4:5], v[138:139], v[6:7], -v[4:5]
	v_add_f64 v[2:3], v[2:3], v[4:5]
	v_accvgpr_read_b32 v4, a166
	v_accvgpr_read_b32 v5, a167
	v_mul_f64 v[4:5], v[136:137], v[4:5]
	v_fma_f64 v[4:5], v[134:135], v[142:143], -v[4:5]
	v_add_f64 v[2:3], v[2:3], v[4:5]
	v_accvgpr_read_b32 v4, a168
	v_accvgpr_read_b32 v5, a169
	v_accvgpr_read_b32 v6, a170
	v_mul_f64 v[4:5], v[132:133], v[4:5]
	v_accvgpr_read_b32 v7, a171
	v_fma_f64 v[4:5], v[130:131], v[6:7], -v[4:5]
	v_add_f64 v[2:3], v[2:3], v[4:5]
	v_mul_f64 v[4:5], v[128:129], v[146:147]
	v_fma_f64 v[4:5], v[126:127], v[150:151], -v[4:5]
	v_add_f64 v[2:3], v[2:3], v[4:5]
	v_accvgpr_read_b32 v4, a172
	v_accvgpr_read_b32 v5, a173
	v_accvgpr_read_b32 v6, a174
	v_mul_f64 v[4:5], v[124:125], v[4:5]
	v_accvgpr_read_b32 v7, a175
	v_fma_f64 v[4:5], v[122:123], v[6:7], -v[4:5]
	v_add_f64 v[2:3], v[2:3], v[4:5]
	;; [unrolled: 10-line block ×4, first 2 shown]
	v_mul_f64 v[4:5], v[40:41], v[162:163]
	v_fma_f64 v[4:5], v[38:39], v[164:165], -v[4:5]
	v_add_f64 v[2:3], v[2:3], v[4:5]
	v_accvgpr_read_b32 v4, a184
	v_accvgpr_read_b32 v5, a185
	v_mul_f64 v[4:5], v[44:45], v[4:5]
	v_fma_f64 v[4:5], v[42:43], v[144:145], -v[4:5]
	v_add_f64 v[2:3], v[2:3], v[4:5]
	v_mul_f64 v[4:5], v[48:49], v[166:167]
	v_fma_f64 v[4:5], v[46:47], v[168:169], -v[4:5]
	v_add_f64 v[2:3], v[2:3], v[4:5]
	;; [unrolled: 3-line block ×19, first 2 shown]
	s_waitcnt vmcnt(2)
	v_add_f64 v[2:3], v[248:249], -v[2:3]
	s_waitcnt vmcnt(0)
	v_add_f64 v[4:5], v[246:247], -v[240:241]
	buffer_store_dword v3, off, s[0:3], 0 offset:116
	buffer_store_dword v2, off, s[0:3], 0 offset:112
	;; [unrolled: 1-line block ×4, first 2 shown]
	s_and_saveexec_b64 s[4:5], vcc
	s_cbranch_execz .LBB117_327
; %bb.326:
	v_accvgpr_read_b32 v5, a156
	buffer_load_dword v2, v5, s[0:3], 0 offen
	buffer_load_dword v3, v5, s[0:3], 0 offen offset:4
	buffer_load_dword v4, v5, s[0:3], 0 offen offset:8
	s_nop 0
	buffer_load_dword v5, v5, s[0:3], 0 offen offset:12
	v_accvgpr_read_b32 v6, a161
	buffer_store_dword v1, off, s[0:3], 0 offset:96
	buffer_store_dword v1, off, s[0:3], 0 offset:100
	;; [unrolled: 1-line block ×4, first 2 shown]
	s_waitcnt vmcnt(4)
	ds_write_b128 v6, v[2:5]
.LBB117_327:
	s_or_b64 exec, exec, s[4:5]
	s_waitcnt lgkmcnt(0)
	; wave barrier
	s_waitcnt lgkmcnt(0)
	buffer_load_dword v42, off, s[0:3], 0 offset:112
	buffer_load_dword v43, off, s[0:3], 0 offset:116
	;; [unrolled: 1-line block ×42, first 2 shown]
	ds_read_b128 v[110:113], v1 offset:960
	ds_read_b128 v[114:117], v1 offset:976
	ds_read_b128 v[174:177], v1 offset:992
	ds_read_b128 v[178:181], v1 offset:1008
	ds_read_b128 v[186:189], v1 offset:1024
	ds_read_b128 v[190:193], v1 offset:1040
	ds_read_b128 v[194:197], v1 offset:1056
	ds_read_b128 v[198:201], v1 offset:1072
	ds_read_b128 v[202:205], v1 offset:1088
	ds_read_b128 v[208:211], v1 offset:1104
	buffer_load_dword v213, off, s[0:3], 0 offset:260
	buffer_load_dword v212, off, s[0:3], 0 offset:256
	ds_read_b128 v[50:53], v1 offset:1120
	buffer_load_dword v89, off, s[0:3], 0 offset:316
	buffer_load_dword v88, off, s[0:3], 0 offset:312
	;; [unrolled: 1-line block ×8, first 2 shown]
	v_cmp_lt_u32_e32 vcc, 4, v0
	s_waitcnt vmcnt(48) lgkmcnt(10)
	v_mul_f64 v[2:3], v[110:111], v[48:49]
	v_fmac_f64_e32 v[2:3], v[112:113], v[42:43]
	v_add_f64 v[2:3], v[2:3], 0
	s_waitcnt vmcnt(44) lgkmcnt(9)
	v_mul_f64 v[4:5], v[114:115], v[168:169]
	v_fmac_f64_e32 v[4:5], v[116:117], v[44:45]
	v_add_f64 v[2:3], v[2:3], v[4:5]
	buffer_load_dword v107, off, s[0:3], 0 offset:348
	buffer_load_dword v106, off, s[0:3], 0 offset:344
	;; [unrolled: 1-line block ×26, first 2 shown]
	s_waitcnt vmcnt(62) lgkmcnt(8)
	v_mul_f64 v[6:7], v[174:175], v[46:47]
	s_waitcnt lgkmcnt(6)
	v_mul_f64 v[10:11], v[186:187], v[58:59]
	v_fmac_f64_e32 v[10:11], v[188:189], v[56:57]
	v_mul_f64 v[46:47], v[176:177], v[46:47]
	v_mul_f64 v[8:9], v[178:179], v[60:61]
	s_waitcnt vmcnt(60) lgkmcnt(4)
	v_mul_f64 v[14:15], v[194:195], v[62:63]
	s_waitcnt vmcnt(58)
	v_fmac_f64_e32 v[14:15], v[196:197], v[64:65]
	s_waitcnt vmcnt(56)
	v_mul_f64 v[12:13], v[190:191], v[66:67]
	s_waitcnt vmcnt(54) lgkmcnt(2)
	v_mul_f64 v[18:19], v[202:203], v[68:69]
	s_waitcnt vmcnt(51)
	v_mul_f64 v[16:17], v[198:199], v[74:75]
	s_waitcnt vmcnt(49) lgkmcnt(1)
	v_mul_f64 v[20:21], v[208:209], v[72:73]
	s_waitcnt vmcnt(47)
	v_fmac_f64_e32 v[6:7], v[176:177], v[82:83]
	v_add_f64 v[2:3], v[2:3], v[6:7]
	s_waitcnt vmcnt(45)
	v_fmac_f64_e32 v[8:9], v[180:181], v[80:81]
	v_add_f64 v[2:3], v[2:3], v[8:9]
	;; [unrolled: 3-line block ×3, first 2 shown]
	v_add_f64 v[2:3], v[2:3], v[12:13]
	s_waitcnt vmcnt(41)
	v_fmac_f64_e32 v[16:17], v[200:201], v[76:77]
	v_add_f64 v[2:3], v[2:3], v[14:15]
	s_waitcnt vmcnt(40)
	v_fmac_f64_e32 v[18:19], v[204:205], v[70:71]
	v_add_f64 v[2:3], v[2:3], v[16:17]
	v_add_f64 v[2:3], v[2:3], v[18:19]
	s_waitcnt vmcnt(34)
	v_fmac_f64_e32 v[20:21], v[210:211], v[212:213]
	v_add_f64 v[2:3], v[2:3], v[20:21]
	s_waitcnt vmcnt(0)
	v_pk_mov_b32 v[18:19], v[4:5], v[4:5] op_sel:[0,1]
	buffer_load_dword v5, off, s[0:3], 0 offset:436
	buffer_load_dword v7, off, s[0:3], 0 offset:428
	;; [unrolled: 1-line block ×3, first 2 shown]
	v_accvgpr_write_b32 a167, v19
	v_accvgpr_write_b32 a166, v18
	s_waitcnt vmcnt(0)
	v_pk_mov_b32 v[14:15], v[6:7], v[6:7] op_sel:[0,1]
	buffer_load_dword v7, off, s[0:3], 0 offset:420
	buffer_load_dword v6, off, s[0:3], 0 offset:416
	buffer_load_dword v4, off, s[0:3], 0 offset:432
	v_accvgpr_write_b32 a163, v15
	v_accvgpr_write_b32 a162, v14
	s_waitcnt vmcnt(1)
	v_pk_mov_b32 v[16:17], v[6:7], v[6:7] op_sel:[0,1]
	s_waitcnt vmcnt(0)
	v_pk_mov_b32 v[22:23], v[4:5], v[4:5] op_sel:[0,1]
	buffer_load_dword v5, off, s[0:3], 0 offset:476
	buffer_load_dword v4, off, s[0:3], 0 offset:472
	v_accvgpr_write_b32 a165, v17
	v_accvgpr_write_b32 a164, v16
	;; [unrolled: 1-line block ×4, first 2 shown]
	s_waitcnt vmcnt(0)
	v_pk_mov_b32 v[26:27], v[4:5], v[4:5] op_sel:[0,1]
	buffer_load_dword v5, off, s[0:3], 0 offset:468
	buffer_load_dword v7, off, s[0:3], 0 offset:460
	;; [unrolled: 1-line block ×6, first 2 shown]
	v_accvgpr_write_b32 a173, v27
	v_accvgpr_write_b32 a172, v26
	s_waitcnt vmcnt(3)
	v_pk_mov_b32 v[24:25], v[6:7], v[6:7] op_sel:[0,1]
	s_waitcnt vmcnt(0)
	v_pk_mov_b32 v[28:29], v[4:5], v[4:5] op_sel:[0,1]
	buffer_load_dword v5, off, s[0:3], 0 offset:508
	buffer_load_dword v4, off, s[0:3], 0 offset:504
	v_accvgpr_write_b32 a171, v25
	v_accvgpr_write_b32 a170, v24
	;; [unrolled: 1-line block ×4, first 2 shown]
	s_waitcnt vmcnt(0)
	v_pk_mov_b32 v[34:35], v[4:5], v[4:5] op_sel:[0,1]
	buffer_load_dword v5, off, s[0:3], 0 offset:500
	buffer_load_dword v149, off, s[0:3], 0 offset:492
	;; [unrolled: 1-line block ×6, first 2 shown]
	v_accvgpr_write_b32 a177, v35
	v_accvgpr_write_b32 a176, v34
	s_waitcnt vmcnt(0)
	v_pk_mov_b32 v[36:37], v[4:5], v[4:5] op_sel:[0,1]
	buffer_load_dword v5, off, s[0:3], 0 offset:540
	buffer_load_dword v4, off, s[0:3], 0 offset:536
	v_accvgpr_write_b32 a179, v37
	v_accvgpr_write_b32 a178, v36
	s_waitcnt vmcnt(0)
	v_pk_mov_b32 v[38:39], v[4:5], v[4:5] op_sel:[0,1]
	buffer_load_dword v5, off, s[0:3], 0 offset:532
	buffer_load_dword v153, off, s[0:3], 0 offset:524
	;; [unrolled: 1-line block ×6, first 2 shown]
	v_accvgpr_write_b32 a181, v39
	v_accvgpr_write_b32 a180, v38
	s_waitcnt vmcnt(0)
	v_pk_mov_b32 v[40:41], v[4:5], v[4:5] op_sel:[0,1]
	buffer_load_dword v5, off, s[0:3], 0 offset:572
	buffer_load_dword v4, off, s[0:3], 0 offset:568
	;; [unrolled: 1-line block ×14, first 2 shown]
	ds_read_b128 v[216:219], v1 offset:1136
	ds_read_b128 v[220:223], v1 offset:1152
	;; [unrolled: 1-line block ×12, first 2 shown]
	s_waitcnt lgkmcnt(4)
	v_mul_f64 v[8:9], v[252:253], v[98:99]
	ds_read_b128 v[122:125], v1 offset:1328
	ds_read_b128 v[118:121], v1 offset:1344
	v_fmac_f64_e32 v[8:9], v[254:255], v[100:101]
	s_waitcnt lgkmcnt(5)
	v_mul_f64 v[12:13], v[138:139], v[14:15]
	v_fmac_f64_e32 v[12:13], v[140:141], v[16:17]
	s_waitcnt lgkmcnt(4)
	v_mul_f64 v[16:17], v[134:135], v[18:19]
	;; [unrolled: 3-line block ×6, first 2 shown]
	v_fmac_f64_e32 v[32:33], v[120:121], v[36:37]
	v_accvgpr_write_b32 a183, v41
	v_accvgpr_write_b32 a182, v40
	v_mul_f64 v[98:99], v[254:255], v[98:99]
	v_fma_f64 v[252:253], v[252:253], v[100:101], -v[98:99]
	s_waitcnt vmcnt(12)
	v_pk_mov_b32 v[170:171], v[4:5], v[4:5] op_sel:[0,1]
	v_mul_f64 v[4:5], v[50:51], v[84:85]
	v_fmac_f64_e32 v[4:5], v[52:53], v[86:87]
	v_add_f64 v[2:3], v[2:3], v[4:5]
	v_mul_f64 v[4:5], v[216:217], v[96:97]
	v_fmac_f64_e32 v[4:5], v[218:219], v[224:225]
	v_add_f64 v[2:3], v[2:3], v[4:5]
	;; [unrolled: 3-line block ×8, first 2 shown]
	v_add_f64 v[10:11], v[6:7], v[8:9]
	v_add_f64 v[14:15], v[10:11], v[12:13]
	;; [unrolled: 1-line block ×6, first 2 shown]
	ds_read_b128 v[26:29], v1 offset:1360
	v_add_f64 v[34:35], v[30:31], v[32:33]
	ds_read_b128 v[30:33], v1 offset:1376
	v_accvgpr_write_b32 a185, v171
	v_mul_f64 v[4:5], v[112:113], v[48:49]
	s_waitcnt lgkmcnt(1)
	v_mul_f64 v[36:37], v[26:27], v[152:153]
	v_fmac_f64_e32 v[36:37], v[28:29], v[154:155]
	v_add_f64 v[164:165], v[34:35], v[36:37]
	ds_read_b128 v[34:37], v1 offset:1392
	s_waitcnt lgkmcnt(1)
	v_mul_f64 v[166:167], v[30:31], v[38:39]
	v_fmac_f64_e32 v[166:167], v[32:33], v[40:41]
	ds_read_b128 v[38:41], v1 offset:1408
	v_add_f64 v[164:165], v[164:165], v[166:167]
	s_waitcnt vmcnt(9) lgkmcnt(1)
	v_mul_f64 v[166:167], v[34:35], v[156:157]
	s_waitcnt vmcnt(7)
	v_fmac_f64_e32 v[166:167], v[36:37], v[160:161]
	v_add_f64 v[164:165], v[164:165], v[166:167]
	s_waitcnt lgkmcnt(0)
	v_mul_f64 v[166:167], v[38:39], v[170:171]
	s_waitcnt vmcnt(6)
	v_fmac_f64_e32 v[166:167], v[40:41], v[142:143]
	v_add_f64 v[2:3], v[164:165], v[166:167]
	buffer_load_dword v167, off, s[0:3], 0 offset:596
	buffer_load_dword v166, off, s[0:3], 0 offset:592
	;; [unrolled: 1-line block ×3, first 2 shown]
	v_accvgpr_write_b32 a184, v170
	v_fma_f64 v[22:23], v[110:111], v[42:43], -v[4:5]
	v_mul_f64 v[42:43], v[116:117], v[168:169]
	buffer_load_dword v171, off, s[0:3], 0 offset:620
	buffer_load_dword v170, off, s[0:3], 0 offset:616
	;; [unrolled: 1-line block ×7, first 2 shown]
	v_fma_f64 v[110:111], v[114:115], v[44:45], -v[42:43]
	ds_read_b128 v[42:45], v1 offset:1424
	v_fma_f64 v[112:113], v[174:175], v[82:83], -v[46:47]
	v_mul_f64 v[46:47], v[180:181], v[60:61]
	buffer_load_dword v175, off, s[0:3], 0 offset:652
	buffer_load_dword v174, off, s[0:3], 0 offset:648
	;; [unrolled: 1-line block ×4, first 2 shown]
	v_fma_f64 v[18:19], v[178:179], v[80:81], -v[46:47]
	buffer_load_dword v179, off, s[0:3], 0 offset:668
	buffer_load_dword v178, off, s[0:3], 0 offset:664
	v_mul_f64 v[8:9], v[188:189], v[58:59]
	buffer_load_dword v183, off, s[0:3], 0 offset:660
	buffer_load_dword v182, off, s[0:3], 0 offset:656
	;; [unrolled: 1-line block ×6, first 2 shown]
	v_fma_f64 v[14:15], v[186:187], v[56:57], -v[8:9]
	buffer_load_dword v186, off, s[0:3], 0 offset:696
	v_mul_f64 v[46:47], v[192:193], v[66:67]
	v_fma_f64 v[10:11], v[190:191], v[78:79], -v[46:47]
	buffer_load_dword v190, off, s[0:3], 0 offset:688
	buffer_load_dword v187, off, s[0:3], 0 offset:700
	;; [unrolled: 1-line block ×3, first 2 shown]
	v_mul_f64 v[12:13], v[196:197], v[62:63]
	v_fma_f64 v[12:13], v[194:195], v[64:65], -v[12:13]
	buffer_load_dword v188, off, s[0:3], 0 offset:728
	buffer_load_dword v195, off, s[0:3], 0 offset:716
	;; [unrolled: 1-line block ×8, first 2 shown]
	v_mul_f64 v[48:49], v[200:201], v[74:75]
	v_fma_f64 v[8:9], v[198:199], v[76:77], -v[48:49]
	buffer_load_dword v199, off, s[0:3], 0 offset:748
	buffer_load_dword v198, off, s[0:3], 0 offset:744
	;; [unrolled: 1-line block ×4, first 2 shown]
	v_mul_f64 v[16:17], v[204:205], v[68:69]
	buffer_load_dword v205, off, s[0:3], 0 offset:764
	buffer_load_dword v204, off, s[0:3], 0 offset:760
	;; [unrolled: 1-line block ×4, first 2 shown]
	s_waitcnt vmcnt(44) lgkmcnt(0)
	v_mul_f64 v[46:47], v[42:43], v[158:159]
	s_waitcnt vmcnt(42)
	v_fmac_f64_e32 v[46:47], v[44:45], v[162:163]
	v_mul_f64 v[48:49], v[210:211], v[72:73]
	v_fma_f64 v[16:17], v[202:203], v[70:71], -v[16:17]
	v_fma_f64 v[6:7], v[208:209], v[212:213], -v[48:49]
	buffer_load_dword v202, off, s[0:3], 0 offset:792
	buffer_load_dword v211, off, s[0:3], 0 offset:780
	;; [unrolled: 1-line block ×12, first 2 shown]
	v_add_f64 v[2:3], v[2:3], v[46:47]
	ds_read_b128 v[46:49], v1 offset:1440
	v_mul_f64 v[20:21], v[52:53], v[84:85]
	v_fma_f64 v[20:21], v[50:51], v[86:87], -v[20:21]
	ds_read_b128 v[50:53], v1 offset:1456
	v_mul_f64 v[60:61], v[218:219], v[96:97]
	v_fma_f64 v[224:225], v[216:217], v[224:225], -v[60:61]
	ds_read_b128 v[216:219], v1 offset:1472
	s_waitcnt lgkmcnt(2)
	v_mul_f64 v[58:59], v[46:47], v[146:147]
	v_mul_f64 v[62:63], v[222:223], v[88:89]
	v_fma_f64 v[4:5], v[220:221], v[90:91], -v[62:63]
	ds_read_b128 v[62:65], v1 offset:1504
	v_mul_f64 v[66:67], v[230:231], v[248:249]
	v_fma_f64 v[248:249], v[228:229], v[250:251], -v[66:67]
	ds_read_b128 v[70:73], v1 offset:1536
	ds_read_b128 v[74:77], v1 offset:1552
	;; [unrolled: 1-line block ×3, first 2 shown]
	v_mul_f64 v[54:55], v[238:239], v[54:55]
	v_mul_f64 v[86:87], v[242:243], v[92:93]
	v_fma_f64 v[54:55], v[236:237], v[206:207], -v[54:55]
	v_fma_f64 v[206:207], v[240:241], v[94:95], -v[86:87]
	ds_read_b128 v[86:89], v1 offset:1600
	v_mul_f64 v[90:91], v[246:247], v[102:103]
	v_fma_f64 v[250:251], v[244:245], v[104:105], -v[90:91]
	ds_read_b128 v[66:69], v1 offset:1520
	ds_read_b128 v[90:93], v1 offset:1616
	;; [unrolled: 1-line block ×3, first 2 shown]
	s_waitcnt vmcnt(52)
	v_fmac_f64_e32 v[58:59], v[48:49], v[166:167]
	v_add_f64 v[2:3], v[2:3], v[58:59]
	s_waitcnt vmcnt(49) lgkmcnt(9)
	v_mul_f64 v[58:59], v[50:51], v[170:171]
	s_waitcnt vmcnt(47)
	v_fmac_f64_e32 v[58:59], v[52:53], v[172:173]
	v_add_f64 v[2:3], v[2:3], v[58:59]
	s_waitcnt vmcnt(45) lgkmcnt(8)
	v_mul_f64 v[58:59], v[216:217], v[164:165]
	s_waitcnt vmcnt(44)
	v_fmac_f64_e32 v[58:59], v[218:219], v[168:169]
	v_add_f64 v[2:3], v[2:3], v[58:59]
	ds_read_b128 v[58:61], v1 offset:1488
	s_waitcnt vmcnt(42) lgkmcnt(0)
	v_mul_f64 v[24:25], v[58:59], v[174:175]
	s_waitcnt vmcnt(40)
	v_fmac_f64_e32 v[24:25], v[60:61], v[176:177]
	v_add_f64 v[2:3], v[2:3], v[24:25]
	s_waitcnt vmcnt(38)
	v_mul_f64 v[24:25], v[62:63], v[178:179]
	s_waitcnt vmcnt(36)
	v_fmac_f64_e32 v[24:25], v[64:65], v[182:183]
	v_add_f64 v[2:3], v[2:3], v[24:25]
	s_waitcnt vmcnt(34)
	v_mul_f64 v[24:25], v[66:67], v[180:181]
	s_waitcnt vmcnt(32)
	v_fmac_f64_e32 v[24:25], v[68:69], v[184:185]
	s_waitcnt vmcnt(29)
	v_mul_f64 v[82:83], v[70:71], v[186:187]
	v_add_f64 v[2:3], v[2:3], v[24:25]
	s_waitcnt vmcnt(28)
	v_fmac_f64_e32 v[82:83], v[72:73], v[190:191]
	v_add_f64 v[2:3], v[2:3], v[82:83]
	s_waitcnt vmcnt(25)
	v_mul_f64 v[82:83], v[74:75], v[194:195]
	s_waitcnt vmcnt(23)
	v_fmac_f64_e32 v[82:83], v[76:77], v[196:197]
	v_add_f64 v[2:3], v[2:3], v[82:83]
	s_waitcnt vmcnt(21)
	v_mul_f64 v[82:83], v[78:79], v[188:189]
	s_waitcnt vmcnt(20)
	v_fmac_f64_e32 v[82:83], v[80:81], v[192:193]
	v_add_f64 v[2:3], v[2:3], v[82:83]
	ds_read_b128 v[82:85], v1 offset:1584
	s_waitcnt vmcnt(9)
	v_mul_f64 v[102:103], v[90:91], v[210:211]
	s_waitcnt vmcnt(7)
	v_fmac_f64_e32 v[102:103], v[92:93], v[214:215]
	v_mul_f64 v[24:25], v[234:235], v[106:107]
	v_fma_f64 v[24:25], v[232:233], v[108:109], -v[24:25]
	s_waitcnt lgkmcnt(0)
	v_mul_f64 v[94:95], v[82:83], v[198:199]
	v_fmac_f64_e32 v[94:95], v[84:85], v[200:201]
	v_add_f64 v[2:3], v[2:3], v[94:95]
	v_mul_f64 v[94:95], v[86:87], v[204:205]
	v_fmac_f64_e32 v[94:95], v[88:89], v[56:57]
	v_add_f64 v[2:3], v[2:3], v[94:95]
	ds_read_b128 v[94:97], v1 offset:1632
	buffer_load_dword v228, off, s[0:3], 0 offset:824
	buffer_load_dword v229, off, s[0:3], 0 offset:828
	;; [unrolled: 1-line block ×4, first 2 shown]
	v_add_f64 v[2:3], v[2:3], v[102:103]
	s_waitcnt vmcnt(9) lgkmcnt(0)
	v_mul_f64 v[102:103], v[94:95], v[202:203]
	s_waitcnt vmcnt(8)
	v_fmac_f64_e32 v[102:103], v[96:97], v[208:209]
	v_add_f64 v[2:3], v[2:3], v[102:103]
	s_waitcnt vmcnt(6)
	v_mul_f64 v[102:103], v[98:99], v[212:213]
	s_waitcnt vmcnt(4)
	v_fmac_f64_e32 v[102:103], v[100:101], v[226:227]
	v_add_f64 v[2:3], v[2:3], v[102:103]
	ds_read_b128 v[102:105], v1 offset:1664
	buffer_load_dword v233, off, s[0:3], 0 offset:844
	buffer_load_dword v232, off, s[0:3], 0 offset:840
	buffer_load_dword v235, off, s[0:3], 0 offset:836
	buffer_load_dword v234, off, s[0:3], 0 offset:832
	s_waitcnt vmcnt(6) lgkmcnt(0)
	v_mul_f64 v[106:107], v[102:103], v[228:229]
	s_waitcnt vmcnt(4)
	v_fmac_f64_e32 v[106:107], v[104:105], v[230:231]
	v_add_f64 v[2:3], v[2:3], v[106:107]
	ds_read_b128 v[106:109], v1 offset:1680
	buffer_load_dword v236, off, s[0:3], 0 offset:856
	buffer_load_dword v237, off, s[0:3], 0 offset:860
	;; [unrolled: 1-line block ×4, first 2 shown]
	ds_read_b128 v[220:223], v1 offset:1696
	buffer_load_dword v243, off, s[0:3], 0 offset:876
	buffer_load_dword v242, off, s[0:3], 0 offset:872
	buffer_load_dword v245, off, s[0:3], 0 offset:868
	buffer_load_dword v244, off, s[0:3], 0 offset:864
	s_waitcnt vmcnt(10) lgkmcnt(1)
	v_mul_f64 v[114:115], v[106:107], v[232:233]
	s_waitcnt vmcnt(8)
	v_fmac_f64_e32 v[114:115], v[108:109], v[234:235]
	v_add_f64 v[2:3], v[2:3], v[114:115]
	s_waitcnt vmcnt(6) lgkmcnt(0)
	v_mul_f64 v[114:115], v[220:221], v[236:237]
	s_waitcnt vmcnt(4)
	v_fmac_f64_e32 v[114:115], v[222:223], v[238:239]
	v_add_f64 v[2:3], v[2:3], v[114:115]
	ds_read_b128 v[114:117], v1 offset:1712
	s_waitcnt vmcnt(2) lgkmcnt(0)
	v_mul_f64 v[240:241], v[114:115], v[242:243]
	s_waitcnt vmcnt(0)
	v_fmac_f64_e32 v[240:241], v[116:117], v[244:245]
	v_add_f64 v[240:241], v[2:3], v[240:241]
	v_add_f64 v[2:3], v[22:23], 0
	;; [unrolled: 1-line block ×15, first 2 shown]
	buffer_load_dword v248, off, s[0:3], 0 offset:96
	buffer_load_dword v249, off, s[0:3], 0 offset:100
	;; [unrolled: 1-line block ×4, first 2 shown]
	v_add_f64 v[2:3], v[2:3], v[24:25]
	v_add_f64 v[2:3], v[2:3], v[54:55]
	v_accvgpr_read_b32 v4, a162
	v_add_f64 v[254:255], v[2:3], v[206:207]
	v_accvgpr_read_b32 v5, a163
	v_accvgpr_read_b32 v6, a164
	v_add_f64 v[2:3], v[254:255], v[250:251]
	v_mul_f64 v[4:5], v[140:141], v[4:5]
	v_accvgpr_read_b32 v7, a165
	v_add_f64 v[2:3], v[2:3], v[252:253]
	v_fma_f64 v[4:5], v[138:139], v[6:7], -v[4:5]
	v_add_f64 v[2:3], v[2:3], v[4:5]
	v_accvgpr_read_b32 v4, a166
	v_accvgpr_read_b32 v5, a167
	;; [unrolled: 1-line block ×3, first 2 shown]
	v_mul_f64 v[4:5], v[136:137], v[4:5]
	v_accvgpr_read_b32 v7, a169
	v_fma_f64 v[4:5], v[134:135], v[6:7], -v[4:5]
	v_add_f64 v[2:3], v[2:3], v[4:5]
	v_accvgpr_read_b32 v4, a170
	v_accvgpr_read_b32 v5, a171
	v_mul_f64 v[4:5], v[132:133], v[4:5]
	v_fma_f64 v[4:5], v[130:131], v[144:145], -v[4:5]
	v_add_f64 v[2:3], v[2:3], v[4:5]
	v_accvgpr_read_b32 v4, a172
	v_accvgpr_read_b32 v5, a173
	v_accvgpr_read_b32 v6, a174
	v_mul_f64 v[4:5], v[128:129], v[4:5]
	v_accvgpr_read_b32 v7, a175
	v_fma_f64 v[4:5], v[126:127], v[6:7], -v[4:5]
	v_add_f64 v[2:3], v[2:3], v[4:5]
	v_mul_f64 v[4:5], v[124:125], v[148:149]
	v_fma_f64 v[4:5], v[122:123], v[150:151], -v[4:5]
	v_add_f64 v[2:3], v[2:3], v[4:5]
	v_accvgpr_read_b32 v4, a176
	v_accvgpr_read_b32 v5, a177
	v_accvgpr_read_b32 v6, a178
	v_mul_f64 v[4:5], v[120:121], v[4:5]
	v_accvgpr_read_b32 v7, a179
	v_fma_f64 v[4:5], v[118:119], v[6:7], -v[4:5]
	v_add_f64 v[2:3], v[2:3], v[4:5]
	;; [unrolled: 10-line block ×3, first 2 shown]
	v_mul_f64 v[4:5], v[36:37], v[156:157]
	v_fma_f64 v[4:5], v[34:35], v[160:161], -v[4:5]
	v_add_f64 v[2:3], v[2:3], v[4:5]
	v_accvgpr_read_b32 v4, a184
	v_accvgpr_read_b32 v5, a185
	v_mul_f64 v[4:5], v[40:41], v[4:5]
	v_fma_f64 v[4:5], v[38:39], v[142:143], -v[4:5]
	v_add_f64 v[2:3], v[2:3], v[4:5]
	v_mul_f64 v[4:5], v[44:45], v[158:159]
	v_fma_f64 v[4:5], v[42:43], v[162:163], -v[4:5]
	v_add_f64 v[2:3], v[2:3], v[4:5]
	;; [unrolled: 3-line block ×20, first 2 shown]
	s_waitcnt vmcnt(2)
	v_add_f64 v[2:3], v[248:249], -v[2:3]
	s_waitcnt vmcnt(0)
	v_add_f64 v[4:5], v[246:247], -v[240:241]
	buffer_store_dword v3, off, s[0:3], 0 offset:100
	buffer_store_dword v2, off, s[0:3], 0 offset:96
	;; [unrolled: 1-line block ×4, first 2 shown]
	s_and_saveexec_b64 s[4:5], vcc
	s_cbranch_execz .LBB117_329
; %bb.328:
	v_accvgpr_read_b32 v1, a157
	buffer_load_dword v2, v1, s[0:3], 0 offen
	buffer_load_dword v3, v1, s[0:3], 0 offen offset:4
	buffer_load_dword v4, v1, s[0:3], 0 offen offset:8
	buffer_load_dword v5, v1, s[0:3], 0 offen offset:12
	v_mov_b32_e32 v1, 0
	v_accvgpr_read_b32 v6, a161
	buffer_store_dword v1, off, s[0:3], 0 offset:80
	buffer_store_dword v1, off, s[0:3], 0 offset:84
	;; [unrolled: 1-line block ×4, first 2 shown]
	s_waitcnt vmcnt(4)
	ds_write_b128 v6, v[2:5]
.LBB117_329:
	s_or_b64 exec, exec, s[4:5]
	s_waitcnt lgkmcnt(0)
	; wave barrier
	s_waitcnt lgkmcnt(0)
	buffer_load_dword v38, off, s[0:3], 0 offset:96
	buffer_load_dword v39, off, s[0:3], 0 offset:100
	;; [unrolled: 1-line block ×42, first 2 shown]
	v_mov_b32_e32 v1, 0
	buffer_load_dword v99, off, s[0:3], 0 offset:244
	buffer_load_dword v98, off, s[0:3], 0 offset:240
	;; [unrolled: 1-line block ×7, first 2 shown]
	ds_read_b128 v[108:111], v1 offset:944
	ds_read_b128 v[112:115], v1 offset:960
	;; [unrolled: 1-line block ×11, first 2 shown]
	v_cmp_lt_u32_e32 vcc, 3, v0
	s_waitcnt vmcnt(45) lgkmcnt(10)
	v_mul_f64 v[2:3], v[108:109], v[40:41]
	v_fmac_f64_e32 v[2:3], v[110:111], v[38:39]
	v_add_f64 v[2:3], v[2:3], 0
	v_mul_f64 v[40:41], v[110:111], v[40:41]
	s_waitcnt vmcnt(41) lgkmcnt(9)
	v_mul_f64 v[4:5], v[112:113], v[46:47]
	v_fmac_f64_e32 v[4:5], v[114:115], v[44:45]
	v_add_f64 v[2:3], v[2:3], v[4:5]
	buffer_load_dword v84, off, s[0:3], 0 offset:280
	buffer_load_dword v117, off, s[0:3], 0 offset:276
	;; [unrolled: 1-line block ×29, first 2 shown]
	s_waitcnt vmcnt(62) lgkmcnt(8)
	v_mul_f64 v[6:7], v[170:171], v[42:43]
	s_waitcnt lgkmcnt(6)
	v_mul_f64 v[10:11], v[180:181], v[48:49]
	v_fmac_f64_e32 v[10:11], v[182:183], v[50:51]
	v_mul_f64 v[42:43], v[172:173], v[42:43]
	v_mul_f64 v[8:9], v[174:175], v[52:53]
	;; [unrolled: 1-line block ×3, first 2 shown]
	s_waitcnt vmcnt(60) lgkmcnt(4)
	v_mul_f64 v[14:15], v[190:191], v[56:57]
	s_waitcnt vmcnt(58)
	v_fmac_f64_e32 v[14:15], v[192:193], v[210:211]
	s_waitcnt vmcnt(56)
	v_mul_f64 v[12:13], v[184:185], v[226:227]
	s_waitcnt vmcnt(54) lgkmcnt(2)
	v_mul_f64 v[18:19], v[198:199], v[64:65]
	s_waitcnt vmcnt(51)
	v_mul_f64 v[16:17], v[194:195], v[66:67]
	s_waitcnt vmcnt(49) lgkmcnt(1)
	v_mul_f64 v[20:21], v[202:203], v[60:61]
	s_waitcnt vmcnt(47)
	v_fmac_f64_e32 v[6:7], v[172:173], v[74:75]
	v_add_f64 v[2:3], v[2:3], v[6:7]
	s_waitcnt vmcnt(45)
	v_fmac_f64_e32 v[8:9], v[176:177], v[72:73]
	v_add_f64 v[2:3], v[2:3], v[8:9]
	;; [unrolled: 3-line block ×3, first 2 shown]
	v_add_f64 v[2:3], v[2:3], v[12:13]
	v_add_f64 v[2:3], v[2:3], v[14:15]
	s_waitcnt vmcnt(41)
	v_fmac_f64_e32 v[16:17], v[196:197], v[68:69]
	v_add_f64 v[2:3], v[2:3], v[16:17]
	s_waitcnt vmcnt(40)
	v_fmac_f64_e32 v[18:19], v[200:201], v[62:63]
	;; [unrolled: 3-line block ×3, first 2 shown]
	v_add_f64 v[2:3], v[2:3], v[20:21]
	v_fma_f64 v[228:229], v[170:171], v[74:75], -v[42:43]
	v_mul_f64 v[42:43], v[176:177], v[52:53]
	v_mul_f64 v[52:53], v[204:205], v[60:61]
	s_waitcnt vmcnt(0)
	v_pk_mov_b32 v[14:15], v[4:5], v[4:5] op_sel:[0,1]
	buffer_load_dword v5, off, s[0:3], 0 offset:420
	buffer_load_dword v4, off, s[0:3], 0 offset:416
	v_accvgpr_write_b32 a163, v15
	v_accvgpr_write_b32 a162, v14
	s_waitcnt vmcnt(0)
	v_pk_mov_b32 v[16:17], v[4:5], v[4:5] op_sel:[0,1]
	buffer_load_dword v95, off, s[0:3], 0 offset:412
	buffer_load_dword v94, off, s[0:3], 0 offset:408
	;; [unrolled: 1-line block ×6, first 2 shown]
	v_accvgpr_write_b32 a165, v17
	v_accvgpr_write_b32 a164, v16
	s_waitcnt vmcnt(0)
	v_pk_mov_b32 v[22:23], v[4:5], v[4:5] op_sel:[0,1]
	buffer_load_dword v5, off, s[0:3], 0 offset:452
	buffer_load_dword v4, off, s[0:3], 0 offset:448
	v_accvgpr_write_b32 a169, v23
	v_accvgpr_write_b32 a168, v22
	s_waitcnt vmcnt(0)
	v_pk_mov_b32 v[24:25], v[4:5], v[4:5] op_sel:[0,1]
	buffer_load_dword v5, off, s[0:3], 0 offset:444
	buffer_load_dword v4, off, s[0:3], 0 offset:440
	;; [unrolled: 6-line block ×3, first 2 shown]
	buffer_load_dword v5, off, s[0:3], 0 offset:492
	buffer_load_dword v4, off, s[0:3], 0 offset:488
	v_accvgpr_write_b32 a167, v19
	v_accvgpr_write_b32 a166, v18
	s_waitcnt vmcnt(0)
	v_pk_mov_b32 v[30:31], v[4:5], v[4:5] op_sel:[0,1]
	buffer_load_dword v5, off, s[0:3], 0 offset:484
	buffer_load_dword v4, off, s[0:3], 0 offset:480
	v_accvgpr_write_b32 a173, v31
	v_accvgpr_write_b32 a172, v30
	s_waitcnt vmcnt(0)
	v_pk_mov_b32 v[32:33], v[4:5], v[4:5] op_sel:[0,1]
	buffer_load_dword v147, off, s[0:3], 0 offset:476
	buffer_load_dword v146, off, s[0:3], 0 offset:472
	buffer_load_dword v149, off, s[0:3], 0 offset:468
	buffer_load_dword v148, off, s[0:3], 0 offset:464
	buffer_load_dword v5, off, s[0:3], 0 offset:524
	buffer_load_dword v4, off, s[0:3], 0 offset:520
	v_accvgpr_write_b32 a175, v33
	v_accvgpr_write_b32 a174, v32
	s_waitcnt vmcnt(0)
	v_pk_mov_b32 v[162:163], v[4:5], v[4:5] op_sel:[0,1]
	buffer_load_dword v5, off, s[0:3], 0 offset:516
	buffer_load_dword v4, off, s[0:3], 0 offset:512
	v_accvgpr_write_b32 a177, v163
	v_accvgpr_write_b32 a176, v162
	s_waitcnt vmcnt(0)
	v_pk_mov_b32 v[164:165], v[4:5], v[4:5] op_sel:[0,1]
	buffer_load_dword v151, off, s[0:3], 0 offset:508
	buffer_load_dword v150, off, s[0:3], 0 offset:504
	buffer_load_dword v153, off, s[0:3], 0 offset:500
	buffer_load_dword v152, off, s[0:3], 0 offset:496
	;; [unrolled: 16-line block ×3, first 2 shown]
	buffer_load_dword v5, off, s[0:3], 0 offset:588
	buffer_load_dword v4, off, s[0:3], 0 offset:584
	;; [unrolled: 1-line block ×8, first 2 shown]
	ds_read_b128 v[212:215], v1 offset:1120
	ds_read_b128 v[216:219], v1 offset:1136
	;; [unrolled: 1-line block ×14, first 2 shown]
	s_waitcnt lgkmcnt(5)
	v_mul_f64 v[8:9], v[252:253], v[94:95]
	v_fmac_f64_e32 v[8:9], v[254:255], v[96:97]
	s_waitcnt lgkmcnt(4)
	v_mul_f64 v[12:13], v[138:139], v[14:15]
	v_fmac_f64_e32 v[12:13], v[140:141], v[16:17]
	s_waitcnt lgkmcnt(3)
	v_mul_f64 v[16:17], v[134:135], v[18:19]
	ds_read_b128 v[118:121], v1 offset:1344
	v_fmac_f64_e32 v[16:17], v[136:137], v[142:143]
	s_waitcnt lgkmcnt(3)
	v_mul_f64 v[20:21], v[130:131], v[22:23]
	v_fmac_f64_e32 v[20:21], v[132:133], v[24:25]
	s_waitcnt lgkmcnt(2)
	v_mul_f64 v[24:25], v[126:127], v[146:147]
	v_fmac_f64_e32 v[24:25], v[128:129], v[148:149]
	s_waitcnt lgkmcnt(1)
	v_mul_f64 v[28:29], v[122:123], v[30:31]
	v_fmac_f64_e32 v[28:29], v[124:125], v[32:33]
	v_accvgpr_write_b32 a183, v169
	v_accvgpr_write_b32 a182, v168
	s_waitcnt vmcnt(6)
	v_pk_mov_b32 v[230:231], v[4:5], v[4:5] op_sel:[0,1]
	v_mul_f64 v[4:5], v[206:207], v[76:77]
	v_fmac_f64_e32 v[4:5], v[208:209], v[82:83]
	v_add_f64 v[2:3], v[2:3], v[4:5]
	v_mul_f64 v[4:5], v[212:213], v[84:85]
	v_fmac_f64_e32 v[4:5], v[214:215], v[116:117]
	v_add_f64 v[2:3], v[2:3], v[4:5]
	;; [unrolled: 3-line block ×9, first 2 shown]
	v_add_f64 v[10:11], v[6:7], v[8:9]
	v_add_f64 v[14:15], v[10:11], v[12:13]
	;; [unrolled: 1-line block ×6, first 2 shown]
	ds_read_b128 v[26:29], v1 offset:1360
	s_waitcnt lgkmcnt(1)
	v_mul_f64 v[32:33], v[118:119], v[150:151]
	v_fmac_f64_e32 v[32:33], v[120:121], v[152:153]
	v_add_f64 v[34:35], v[30:31], v[32:33]
	ds_read_b128 v[30:33], v1 offset:1376
	s_waitcnt lgkmcnt(1)
	v_mul_f64 v[36:37], v[26:27], v[162:163]
	v_fmac_f64_e32 v[36:37], v[28:29], v[164:165]
	v_add_f64 v[162:163], v[34:35], v[36:37]
	ds_read_b128 v[34:37], v1 offset:1392
	s_waitcnt lgkmcnt(1)
	v_mul_f64 v[4:5], v[30:31], v[154:155]
	v_fmac_f64_e32 v[4:5], v[32:33], v[156:157]
	v_fma_f64 v[18:19], v[108:109], v[38:39], -v[40:41]
	ds_read_b128 v[38:41], v1 offset:1408
	v_add_f64 v[4:5], v[162:163], v[4:5]
	buffer_load_dword v163, off, s[0:3], 0 offset:604
	buffer_load_dword v162, off, s[0:3], 0 offset:600
	buffer_load_dword v165, off, s[0:3], 0 offset:596
	buffer_load_dword v164, off, s[0:3], 0 offset:592
	s_waitcnt lgkmcnt(1)
	v_mul_f64 v[108:109], v[34:35], v[166:167]
	v_fmac_f64_e32 v[108:109], v[36:37], v[168:169]
	buffer_load_dword v22, off, s[0:3], 0 offset:616
	buffer_load_dword v168, off, s[0:3], 0 offset:608
	;; [unrolled: 1-line block ×12, first 2 shown]
	v_mul_f64 v[8:9], v[182:183], v[48:49]
	v_fma_f64 v[166:167], v[112:113], v[44:45], -v[46:47]
	v_fma_f64 v[14:15], v[174:175], v[72:73], -v[42:43]
	ds_read_b128 v[42:45], v1 offset:1424
	v_fma_f64 v[10:11], v[180:181], v[50:51], -v[8:9]
	buffer_load_dword v174, off, s[0:3], 0 offset:680
	buffer_load_dword v181, off, s[0:3], 0 offset:668
	;; [unrolled: 1-line block ×5, first 2 shown]
	v_mul_f64 v[46:47], v[186:187], v[226:227]
	v_fma_f64 v[8:9], v[184:185], v[70:71], -v[46:47]
	buffer_load_dword v184, off, s[0:3], 0 offset:672
	buffer_load_dword v175, off, s[0:3], 0 offset:684
	;; [unrolled: 1-line block ×3, first 2 shown]
	v_mul_f64 v[12:13], v[192:193], v[56:57]
	buffer_load_dword v187, off, s[0:3], 0 offset:700
	buffer_load_dword v186, off, s[0:3], 0 offset:696
	;; [unrolled: 1-line block ×4, first 2 shown]
	v_mul_f64 v[46:47], v[196:197], v[66:67]
	v_fma_f64 v[6:7], v[194:195], v[68:69], -v[46:47]
	buffer_load_dword v192, off, s[0:3], 0 offset:712
	buffer_load_dword v194, off, s[0:3], 0 offset:704
	;; [unrolled: 1-line block ×4, first 2 shown]
	v_mul_f64 v[16:17], v[200:201], v[64:65]
	v_fma_f64 v[12:13], v[190:191], v[210:211], -v[12:13]
	v_fma_f64 v[16:17], v[198:199], v[62:63], -v[16:17]
	buffer_load_dword v191, off, s[0:3], 0 offset:748
	buffer_load_dword v197, off, s[0:3], 0 offset:732
	;; [unrolled: 1-line block ×8, first 2 shown]
	v_add_f64 v[4:5], v[4:5], v[108:109]
	s_waitcnt vmcnt(42) lgkmcnt(1)
	v_mul_f64 v[108:109], v[38:39], v[158:159]
	s_waitcnt vmcnt(40)
	v_fmac_f64_e32 v[108:109], v[40:41], v[160:161]
	v_add_f64 v[108:109], v[4:5], v[108:109]
	ds_read_b128 v[46:49], v1 offset:1440
	v_fma_f64 v[4:5], v[202:203], v[98:99], -v[52:53]
	buffer_load_dword v203, off, s[0:3], 0 offset:764
	buffer_load_dword v202, off, s[0:3], 0 offset:760
	;; [unrolled: 1-line block ×4, first 2 shown]
	v_mul_f64 v[20:21], v[208:209], v[76:77]
	v_fma_f64 v[20:21], v[206:207], v[82:83], -v[20:21]
	buffer_load_dword v206, off, s[0:3], 0 offset:776
	buffer_load_dword v208, off, s[0:3], 0 offset:768
	;; [unrolled: 1-line block ×8, first 2 shown]
	v_accvgpr_write_b32 a184, v230
	s_waitcnt lgkmcnt(1)
	v_mul_f64 v[50:51], v[42:43], v[230:231]
	v_accvgpr_write_b32 a185, v231
	buffer_load_dword v60, off, s[0:3], 0 offset:808
	buffer_load_dword v230, off, s[0:3], 0 offset:800
	;; [unrolled: 1-line block ×4, first 2 shown]
	v_mul_f64 v[52:53], v[214:215], v[84:85]
	v_fmac_f64_e32 v[50:51], v[44:45], v[144:145]
	v_fma_f64 v[214:215], v[212:213], v[116:117], -v[52:53]
	v_add_f64 v[50:51], v[108:109], v[50:51]
	v_mul_f64 v[64:65], v[218:219], v[78:79]
	v_fma_f64 v[212:213], v[216:217], v[80:81], -v[64:65]
	v_mul_f64 v[66:67], v[222:223], v[224:225]
	v_fma_f64 v[224:225], v[220:221], v[54:55], -v[66:67]
	ds_read_b128 v[220:223], v1 offset:1488
	v_mul_f64 v[66:67], v[234:235], v[104:105]
	v_fma_f64 v[232:233], v[232:233], v[106:107], -v[66:67]
	ds_read_b128 v[66:69], v1 offset:1520
	v_mul_f64 v[70:71], v[238:239], v[188:189]
	v_fma_f64 v[188:189], v[236:237], v[58:59], -v[70:71]
	v_mul_f64 v[82:83], v[246:247], v[100:101]
	ds_read_b128 v[216:219], v1 offset:1472
	v_fma_f64 v[2:3], v[244:245], v[102:103], -v[82:83]
	ds_read_b128 v[82:85], v1 offset:1584
	ds_read_b128 v[98:101], v1 offset:1648
	v_add_f64 v[18:19], v[18:19], 0
	v_add_f64 v[18:19], v[18:19], v[166:167]
	;; [unrolled: 1-line block ×7, first 2 shown]
	ds_read_b128 v[70:73], v1 offset:1536
	v_add_f64 v[6:7], v[8:9], v[6:7]
	v_add_f64 v[6:7], v[6:7], v[16:17]
	;; [unrolled: 1-line block ×6, first 2 shown]
	ds_read_b128 v[78:81], v1 offset:1568
	v_add_f64 v[4:5], v[4:5], v[224:225]
	v_add_f64 v[4:5], v[4:5], v[232:233]
	;; [unrolled: 1-line block ×3, first 2 shown]
	v_accvgpr_read_b32 v6, a162
	v_accvgpr_read_b32 v7, a163
	;; [unrolled: 1-line block ×3, first 2 shown]
	v_mul_f64 v[6:7], v[140:141], v[6:7]
	s_waitcnt vmcnt(54) lgkmcnt(7)
	v_mul_f64 v[52:53], v[46:47], v[162:163]
	v_accvgpr_read_b32 v9, a165
	s_waitcnt vmcnt(52)
	v_fmac_f64_e32 v[52:53], v[48:49], v[164:165]
	v_add_f64 v[62:63], v[50:51], v[52:53]
	ds_read_b128 v[50:53], v1 offset:1456
	v_fma_f64 v[6:7], v[138:139], v[8:9], -v[6:7]
	v_accvgpr_read_b32 v8, a170
	v_accvgpr_read_b32 v9, a171
	s_waitcnt vmcnt(49) lgkmcnt(0)
	v_mul_f64 v[64:65], v[50:51], v[22:23]
	s_waitcnt vmcnt(48)
	v_fmac_f64_e32 v[64:65], v[52:53], v[168:169]
	v_add_f64 v[54:55], v[62:63], v[64:65]
	s_waitcnt vmcnt(45)
	v_mul_f64 v[62:63], v[216:217], v[172:173]
	s_waitcnt vmcnt(43)
	v_fmac_f64_e32 v[62:63], v[218:219], v[178:179]
	v_add_f64 v[54:55], v[54:55], v[62:63]
	s_waitcnt vmcnt(42)
	v_mul_f64 v[62:63], v[220:221], v[170:171]
	s_waitcnt vmcnt(40)
	v_fmac_f64_e32 v[62:63], v[222:223], v[176:177]
	v_add_f64 v[54:55], v[54:55], v[62:63]
	ds_read_b128 v[62:65], v1 offset:1504
	s_waitcnt vmcnt(33)
	v_mul_f64 v[58:59], v[66:67], v[174:175]
	s_waitcnt vmcnt(32)
	v_fmac_f64_e32 v[58:59], v[68:69], v[184:185]
	s_waitcnt lgkmcnt(0)
	v_mul_f64 v[74:75], v[62:63], v[180:181]
	v_fmac_f64_e32 v[74:75], v[64:65], v[182:183]
	v_add_f64 v[54:55], v[54:55], v[74:75]
	ds_read_b128 v[74:77], v1 offset:1552
	v_add_f64 v[54:55], v[54:55], v[58:59]
	s_waitcnt vmcnt(30)
	v_mul_f64 v[58:59], v[70:71], v[186:187]
	s_waitcnt vmcnt(28)
	v_fmac_f64_e32 v[58:59], v[72:73], v[56:57]
	v_add_f64 v[54:55], v[54:55], v[58:59]
	v_mul_f64 v[58:59], v[242:243], v[86:87]
	v_fma_f64 v[242:243], v[240:241], v[88:89], -v[58:59]
	s_waitcnt vmcnt(25) lgkmcnt(0)
	v_mul_f64 v[58:59], v[74:75], v[192:193]
	s_waitcnt vmcnt(24)
	v_fmac_f64_e32 v[58:59], v[76:77], v[194:195]
	v_add_f64 v[24:25], v[54:55], v[58:59]
	s_waitcnt vmcnt(21)
	v_mul_f64 v[54:55], v[78:79], v[196:197]
	s_waitcnt vmcnt(19)
	v_fmac_f64_e32 v[54:55], v[80:81], v[200:201]
	v_add_f64 v[24:25], v[24:25], v[54:55]
	ds_read_b128 v[86:89], v1 offset:1600
	s_waitcnt vmcnt(18)
	v_mul_f64 v[54:55], v[82:83], v[190:191]
	s_waitcnt vmcnt(16)
	v_fmac_f64_e32 v[54:55], v[84:85], v[198:199]
	v_add_f64 v[24:25], v[24:25], v[54:55]
	v_mul_f64 v[54:55], v[250:251], v[90:91]
	v_fma_f64 v[248:249], v[248:249], v[92:93], -v[54:55]
	ds_read_b128 v[90:93], v1 offset:1616
	v_mul_f64 v[58:59], v[254:255], v[94:95]
	v_fma_f64 v[250:251], v[252:253], v[96:97], -v[58:59]
	ds_read_b128 v[94:97], v1 offset:1632
	s_waitcnt vmcnt(14) lgkmcnt(2)
	v_mul_f64 v[54:55], v[86:87], v[202:203]
	s_waitcnt vmcnt(12)
	v_fmac_f64_e32 v[54:55], v[88:89], v[204:205]
	v_add_f64 v[24:25], v[24:25], v[54:55]
	s_waitcnt vmcnt(9) lgkmcnt(1)
	v_mul_f64 v[54:55], v[90:91], v[206:207]
	s_waitcnt vmcnt(8)
	v_fmac_f64_e32 v[54:55], v[92:93], v[208:209]
	v_add_f64 v[24:25], v[24:25], v[54:55]
	;; [unrolled: 5-line block ×3, first 2 shown]
	s_waitcnt vmcnt(1)
	v_mul_f64 v[54:55], v[98:99], v[60:61]
	s_waitcnt vmcnt(0)
	v_fmac_f64_e32 v[54:55], v[100:101], v[230:231]
	v_add_f64 v[24:25], v[24:25], v[54:55]
	buffer_load_dword v55, off, s[0:3], 0 offset:828
	buffer_load_dword v54, off, s[0:3], 0 offset:824
	;; [unrolled: 1-line block ×4, first 2 shown]
	ds_read_b128 v[102:105], v1 offset:1664
	buffer_load_dword v234, off, s[0:3], 0 offset:840
	buffer_load_dword v235, off, s[0:3], 0 offset:844
	;; [unrolled: 1-line block ×4, first 2 shown]
	v_add_f64 v[4:5], v[4:5], v[242:243]
	v_add_f64 v[4:5], v[4:5], v[2:3]
	s_waitcnt vmcnt(6) lgkmcnt(0)
	v_mul_f64 v[106:107], v[102:103], v[54:55]
	s_waitcnt vmcnt(4)
	v_fmac_f64_e32 v[106:107], v[104:105], v[58:59]
	v_add_f64 v[24:25], v[24:25], v[106:107]
	ds_read_b128 v[106:109], v1 offset:1680
	buffer_load_dword v239, off, s[0:3], 0 offset:860
	buffer_load_dword v238, off, s[0:3], 0 offset:856
	buffer_load_dword v241, off, s[0:3], 0 offset:852
	buffer_load_dword v240, off, s[0:3], 0 offset:848
	s_waitcnt vmcnt(6) lgkmcnt(0)
	v_mul_f64 v[110:111], v[106:107], v[234:235]
	s_waitcnt vmcnt(4)
	v_fmac_f64_e32 v[110:111], v[108:109], v[236:237]
	v_add_f64 v[24:25], v[24:25], v[110:111]
	ds_read_b128 v[110:113], v1 offset:1696
	buffer_load_dword v244, off, s[0:3], 0 offset:872
	buffer_load_dword v245, off, s[0:3], 0 offset:876
	buffer_load_dword v246, off, s[0:3], 0 offset:864
	buffer_load_dword v247, off, s[0:3], 0 offset:868
	;; [unrolled: 10-line block ×3, first 2 shown]
	s_waitcnt vmcnt(6) lgkmcnt(0)
	v_mul_f64 v[252:253], v[114:115], v[244:245]
	s_waitcnt vmcnt(4)
	v_fmac_f64_e32 v[252:253], v[116:117], v[246:247]
	v_add_f64 v[254:255], v[24:25], v[252:253]
	v_add_f64 v[252:253], v[4:5], v[248:249]
	;; [unrolled: 1-line block ×4, first 2 shown]
	v_accvgpr_read_b32 v6, a166
	v_accvgpr_read_b32 v7, a167
	v_mul_f64 v[6:7], v[136:137], v[6:7]
	v_fma_f64 v[6:7], v[134:135], v[142:143], -v[6:7]
	v_add_f64 v[4:5], v[4:5], v[6:7]
	v_accvgpr_read_b32 v6, a168
	v_accvgpr_read_b32 v7, a169
	v_mul_f64 v[6:7], v[132:133], v[6:7]
	v_fma_f64 v[6:7], v[130:131], v[8:9], -v[6:7]
	v_add_f64 v[4:5], v[4:5], v[6:7]
	v_mul_f64 v[6:7], v[128:129], v[146:147]
	v_fma_f64 v[6:7], v[126:127], v[148:149], -v[6:7]
	v_add_f64 v[4:5], v[4:5], v[6:7]
	v_accvgpr_read_b32 v6, a172
	v_accvgpr_read_b32 v7, a173
	v_accvgpr_read_b32 v8, a174
	v_mul_f64 v[6:7], v[124:125], v[6:7]
	v_accvgpr_read_b32 v9, a175
	v_fma_f64 v[6:7], v[122:123], v[8:9], -v[6:7]
	v_add_f64 v[4:5], v[4:5], v[6:7]
	v_mul_f64 v[6:7], v[120:121], v[150:151]
	v_fma_f64 v[6:7], v[118:119], v[152:153], -v[6:7]
	v_add_f64 v[4:5], v[4:5], v[6:7]
	v_accvgpr_read_b32 v6, a176
	v_accvgpr_read_b32 v7, a177
	v_accvgpr_read_b32 v8, a178
	v_mul_f64 v[6:7], v[28:29], v[6:7]
	v_accvgpr_read_b32 v9, a179
	;; [unrolled: 10-line block ×3, first 2 shown]
	v_fma_f64 v[6:7], v[34:35], v[8:9], -v[6:7]
	v_add_f64 v[4:5], v[4:5], v[6:7]
	v_mul_f64 v[6:7], v[40:41], v[158:159]
	v_fma_f64 v[6:7], v[38:39], v[160:161], -v[6:7]
	v_add_f64 v[4:5], v[4:5], v[6:7]
	v_accvgpr_read_b32 v6, a184
	v_accvgpr_read_b32 v7, a185
	v_mul_f64 v[6:7], v[44:45], v[6:7]
	v_fma_f64 v[6:7], v[42:43], v[144:145], -v[6:7]
	v_add_f64 v[4:5], v[4:5], v[6:7]
	v_mul_f64 v[6:7], v[48:49], v[162:163]
	v_fma_f64 v[6:7], v[46:47], v[164:165], -v[6:7]
	v_add_f64 v[4:5], v[4:5], v[6:7]
	;; [unrolled: 3-line block ×19, first 2 shown]
	s_waitcnt vmcnt(2)
	v_add_f64 v[2:3], v[2:3], -v[4:5]
	s_waitcnt vmcnt(0)
	v_add_f64 v[4:5], v[214:215], -v[254:255]
	buffer_store_dword v3, off, s[0:3], 0 offset:84
	buffer_store_dword v2, off, s[0:3], 0 offset:80
	;; [unrolled: 1-line block ×4, first 2 shown]
	s_and_saveexec_b64 s[4:5], vcc
	s_cbranch_execz .LBB117_331
; %bb.330:
	v_accvgpr_read_b32 v5, a158
	buffer_load_dword v2, v5, s[0:3], 0 offen
	buffer_load_dword v3, v5, s[0:3], 0 offen offset:4
	buffer_load_dword v4, v5, s[0:3], 0 offen offset:8
	s_nop 0
	buffer_load_dword v5, v5, s[0:3], 0 offen offset:12
	v_accvgpr_read_b32 v6, a161
	buffer_store_dword v1, off, s[0:3], 0 offset:64
	buffer_store_dword v1, off, s[0:3], 0 offset:68
	;; [unrolled: 1-line block ×4, first 2 shown]
	s_waitcnt vmcnt(4)
	ds_write_b128 v6, v[2:5]
.LBB117_331:
	s_or_b64 exec, exec, s[4:5]
	s_waitcnt lgkmcnt(0)
	; wave barrier
	s_waitcnt lgkmcnt(0)
	buffer_load_dword v228, off, s[0:3], 0 offset:80
	buffer_load_dword v229, off, s[0:3], 0 offset:84
	;; [unrolled: 1-line block ×42, first 2 shown]
	ds_read_b128 v[42:45], v1 offset:928
	ds_read_b128 v[108:111], v1 offset:944
	;; [unrolled: 1-line block ×10, first 2 shown]
	buffer_load_dword v117, off, s[0:3], 0 offset:228
	buffer_load_dword v116, off, s[0:3], 0 offset:224
	ds_read_b128 v[46:49], v1 offset:1088
	buffer_load_dword v85, off, s[0:3], 0 offset:284
	buffer_load_dword v84, off, s[0:3], 0 offset:280
	;; [unrolled: 1-line block ×6, first 2 shown]
	v_cmp_lt_u32_e32 vcc, 2, v0
	s_waitcnt vmcnt(46) lgkmcnt(10)
	v_mul_f64 v[2:3], v[42:43], v[36:37]
	v_fmac_f64_e32 v[2:3], v[44:45], v[228:229]
	v_add_f64 v[2:3], v[2:3], 0
	v_mul_f64 v[36:37], v[44:45], v[36:37]
	s_waitcnt vmcnt(42) lgkmcnt(9)
	v_mul_f64 v[4:5], v[108:109], v[40:41]
	v_fmac_f64_e32 v[4:5], v[110:111], v[38:39]
	v_add_f64 v[2:3], v[2:3], v[4:5]
	buffer_load_dword v209, off, s[0:3], 0 offset:260
	buffer_load_dword v208, off, s[0:3], 0 offset:256
	;; [unrolled: 1-line block ×36, first 2 shown]
	s_waitcnt vmcnt(62) lgkmcnt(8)
	v_mul_f64 v[6:7], v[112:113], v[158:159]
	s_waitcnt lgkmcnt(6)
	v_mul_f64 v[10:11], v[170:171], v[52:53]
	v_fmac_f64_e32 v[10:11], v[172:173], v[176:177]
	v_mul_f64 v[40:41], v[110:111], v[40:41]
	v_mul_f64 v[8:9], v[166:167], v[56:57]
	;; [unrolled: 1-line block ×3, first 2 shown]
	s_waitcnt lgkmcnt(4)
	v_mul_f64 v[14:15], v[182:183], v[198:199]
	v_fmac_f64_e32 v[14:15], v[184:185], v[60:61]
	v_mul_f64 v[12:13], v[178:179], v[62:63]
	s_waitcnt lgkmcnt(2)
	v_mul_f64 v[18:19], v[190:191], v[64:65]
	s_waitcnt vmcnt(59)
	v_mul_f64 v[16:17], v[186:187], v[70:71]
	s_waitcnt vmcnt(57) lgkmcnt(1)
	v_mul_f64 v[20:21], v[194:195], v[68:69]
	s_waitcnt vmcnt(55)
	v_fmac_f64_e32 v[6:7], v[114:115], v[78:79]
	v_add_f64 v[2:3], v[2:3], v[6:7]
	s_waitcnt vmcnt(53)
	v_fmac_f64_e32 v[8:9], v[168:169], v[76:77]
	v_add_f64 v[2:3], v[2:3], v[8:9]
	;; [unrolled: 3-line block ×3, first 2 shown]
	v_add_f64 v[2:3], v[2:3], v[12:13]
	s_waitcnt vmcnt(49)
	v_fmac_f64_e32 v[16:17], v[188:189], v[72:73]
	v_add_f64 v[2:3], v[2:3], v[14:15]
	s_waitcnt vmcnt(48)
	v_fmac_f64_e32 v[18:19], v[192:193], v[66:67]
	v_add_f64 v[2:3], v[2:3], v[16:17]
	v_add_f64 v[2:3], v[2:3], v[18:19]
	s_waitcnt vmcnt(42)
	v_fmac_f64_e32 v[20:21], v[196:197], v[116:117]
	v_add_f64 v[2:3], v[2:3], v[20:21]
	s_waitcnt vmcnt(0)
	v_pk_mov_b32 v[18:19], v[4:5], v[4:5] op_sel:[0,1]
	buffer_load_dword v5, off, s[0:3], 0 offset:436
	buffer_load_dword v4, off, s[0:3], 0 offset:432
	v_accvgpr_write_b32 a167, v19
	v_accvgpr_write_b32 a166, v18
	s_waitcnt vmcnt(0)
	v_pk_mov_b32 v[22:23], v[4:5], v[4:5] op_sel:[0,1]
	buffer_load_dword v5, off, s[0:3], 0 offset:428
	buffer_load_dword v4, off, s[0:3], 0 offset:424
	v_accvgpr_write_b32 a169, v23
	v_accvgpr_write_b32 a168, v22
	;; [unrolled: 6-line block ×12, first 2 shown]
	s_waitcnt vmcnt(0)
	v_pk_mov_b32 v[164:165], v[4:5], v[4:5] op_sel:[0,1]
	buffer_load_dword v5, off, s[0:3], 0 offset:532
	buffer_load_dword v4, off, s[0:3], 0 offset:528
	s_waitcnt vmcnt(0)
	v_pk_mov_b32 v[210:211], v[4:5], v[4:5] op_sel:[0,1]
	buffer_load_dword v151, off, s[0:3], 0 offset:524
	buffer_load_dword v150, off, s[0:3], 0 offset:520
	;; [unrolled: 1-line block ×12, first 2 shown]
	ds_read_b128 v[202:205], v1 offset:1104
	ds_read_b128 v[212:215], v1 offset:1120
	ds_read_b128 v[216:219], v1 offset:1136
	ds_read_b128 v[220:223], v1 offset:1152
	ds_read_b128 v[232:235], v1 offset:1168
	ds_read_b128 v[236:239], v1 offset:1184
	ds_read_b128 v[240:243], v1 offset:1200
	ds_read_b128 v[244:247], v1 offset:1216
	ds_read_b128 v[248:251], v1 offset:1232
	ds_read_b128 v[252:255], v1 offset:1248
	ds_read_b128 v[146:149], v1 offset:1264
	ds_read_b128 v[142:145], v1 offset:1280
	ds_read_b128 v[138:141], v1 offset:1296
	ds_read_b128 v[134:137], v1 offset:1312
	s_waitcnt lgkmcnt(4)
	v_mul_f64 v[8:9], v[252:253], v[94:95]
	ds_read_b128 v[130:133], v1 offset:1328
	ds_read_b128 v[126:129], v1 offset:1344
	v_fmac_f64_e32 v[8:9], v[254:255], v[96:97]
	s_waitcnt lgkmcnt(5)
	v_mul_f64 v[12:13], v[146:147], v[14:15]
	v_fmac_f64_e32 v[12:13], v[148:149], v[16:17]
	s_waitcnt lgkmcnt(4)
	v_mul_f64 v[16:17], v[142:143], v[18:19]
	;; [unrolled: 3-line block ×5, first 2 shown]
	ds_read_b128 v[122:125], v1 offset:1360
	v_fmac_f64_e32 v[28:29], v[132:133], v[118:119]
	ds_read_b128 v[118:121], v1 offset:1376
	s_waitcnt lgkmcnt(2)
	v_mul_f64 v[32:33], v[126:127], v[160:161]
	v_fmac_f64_e32 v[32:33], v[128:129], v[162:163]
	v_accvgpr_write_b32 a186, v210
	v_accvgpr_write_b32 a187, v211
	s_waitcnt vmcnt(6)
	v_pk_mov_b32 v[226:227], v[4:5], v[4:5] op_sel:[0,1]
	v_mul_f64 v[4:5], v[46:47], v[80:81]
	v_fmac_f64_e32 v[4:5], v[48:49], v[82:83]
	v_add_f64 v[2:3], v[2:3], v[4:5]
	v_mul_f64 v[4:5], v[202:203], v[206:207]
	v_fmac_f64_e32 v[4:5], v[204:205], v[208:209]
	v_add_f64 v[2:3], v[2:3], v[4:5]
	;; [unrolled: 3-line block ×10, first 2 shown]
	v_add_f64 v[10:11], v[6:7], v[8:9]
	v_add_f64 v[14:15], v[10:11], v[12:13]
	v_add_f64 v[18:19], v[14:15], v[16:17]
	v_add_f64 v[22:23], v[18:19], v[20:21]
	v_add_f64 v[26:27], v[22:23], v[24:25]
	v_add_f64 v[30:31], v[26:27], v[28:29]
	v_add_f64 v[160:161], v[30:31], v[32:33]
	ds_read_b128 v[30:33], v1 offset:1392
	s_waitcnt lgkmcnt(2)
	v_mul_f64 v[4:5], v[122:123], v[150:151]
	v_fma_f64 v[26:27], v[42:43], v[228:229], -v[36:37]
	v_fmac_f64_e32 v[4:5], v[124:125], v[152:153]
	s_waitcnt lgkmcnt(1)
	v_mul_f64 v[42:43], v[118:119], v[164:165]
	v_add_f64 v[4:5], v[160:161], v[4:5]
	v_fmac_f64_e32 v[42:43], v[120:121], v[210:211]
	v_add_f64 v[4:5], v[4:5], v[42:43]
	s_waitcnt vmcnt(2) lgkmcnt(0)
	v_mul_f64 v[42:43], v[30:31], v[154:155]
	s_waitcnt vmcnt(0)
	v_fmac_f64_e32 v[42:43], v[32:33], v[156:157]
	v_pk_mov_b32 v[36:37], v[164:165], v[164:165] op_sel:[0,1]
	v_add_f64 v[4:5], v[4:5], v[42:43]
	v_fma_f64 v[228:229], v[108:109], v[38:39], -v[40:41]
	ds_read_b128 v[42:45], v1 offset:1408
	ds_read_b128 v[38:41], v1 offset:1424
	v_mul_f64 v[108:109], v[114:115], v[158:159]
	buffer_load_dword v158, off, s[0:3], 0 offset:600
	buffer_load_dword v163, off, s[0:3], 0 offset:588
	;; [unrolled: 1-line block ×5, first 2 shown]
	v_mul_f64 v[8:9], v[168:169], v[56:57]
	v_fma_f64 v[18:19], v[166:167], v[76:77], -v[8:9]
	buffer_load_dword v166, off, s[0:3], 0 offset:592
	buffer_load_dword v159, off, s[0:3], 0 offset:604
	;; [unrolled: 1-line block ×5, first 2 shown]
	v_fma_f64 v[14:15], v[170:171], v[176:177], -v[52:53]
	buffer_load_dword v53, off, s[0:3], 0 offset:620
	buffer_load_dword v52, off, s[0:3], 0 offset:616
	;; [unrolled: 1-line block ×7, first 2 shown]
	v_mul_f64 v[12:13], v[180:181], v[62:63]
	v_fma_f64 v[12:13], v[178:179], v[74:75], -v[12:13]
	buffer_load_dword v170, off, s[0:3], 0 offset:656
	buffer_load_dword v179, off, s[0:3], 0 offset:652
	;; [unrolled: 1-line block ×7, first 2 shown]
	v_mul_f64 v[56:57], v[184:185], v[198:199]
	v_fma_f64 v[10:11], v[182:183], v[60:61], -v[56:57]
	buffer_load_dword v183, off, s[0:3], 0 offset:684
	buffer_load_dword v182, off, s[0:3], 0 offset:680
	;; [unrolled: 1-line block ×4, first 2 shown]
	v_mul_f64 v[56:57], v[188:189], v[70:71]
	v_fma_f64 v[230:231], v[186:187], v[72:73], -v[56:57]
	v_mul_f64 v[56:57], v[192:193], v[64:65]
	buffer_load_dword v188, off, s[0:3], 0 offset:696
	v_fma_f64 v[8:9], v[190:191], v[66:67], -v[56:57]
	buffer_load_dword v190, off, s[0:3], 0 offset:688
	buffer_load_dword v189, off, s[0:3], 0 offset:700
	;; [unrolled: 1-line block ×3, first 2 shown]
	v_mul_f64 v[20:21], v[196:197], v[68:69]
	v_fma_f64 v[20:21], v[194:195], v[116:117], -v[20:21]
	buffer_load_dword v187, off, s[0:3], 0 offset:732
	buffer_load_dword v193, off, s[0:3], 0 offset:716
	;; [unrolled: 1-line block ×12, first 2 shown]
	s_waitcnt lgkmcnt(1)
	v_mul_f64 v[16:17], v[42:43], v[226:227]
	v_accvgpr_write_b32 a188, v226
	v_mul_f64 v[24:25], v[204:205], v[206:207]
	v_accvgpr_write_b32 a189, v227
	v_fma_f64 v[24:25], v[202:203], v[208:209], -v[24:25]
	buffer_load_dword v204, off, s[0:3], 0 offset:760
	buffer_load_dword v206, off, s[0:3], 0 offset:752
	;; [unrolled: 1-line block ×12, first 2 shown]
	v_fmac_f64_e32 v[16:17], v[44:45], v[34:35]
	v_add_f64 v[56:57], v[4:5], v[16:17]
	v_mul_f64 v[4:5], v[214:215], v[84:85]
	v_fma_f64 v[212:213], v[212:213], v[86:87], -v[4:5]
	buffer_load_dword v5, off, s[0:3], 0 offset:812
	buffer_load_dword v4, off, s[0:3], 0 offset:808
	;; [unrolled: 1-line block ×4, first 2 shown]
	v_mul_f64 v[48:49], v[48:49], v[80:81]
	v_fma_f64 v[6:7], v[46:47], v[82:83], -v[48:49]
	ds_read_b128 v[46:49], v1 offset:1440
	v_mul_f64 v[64:65], v[222:223], v[224:225]
	v_fma_f64 v[224:225], v[220:221], v[50:51], -v[64:65]
	v_mul_f64 v[58:59], v[234:235], v[58:59]
	v_mul_f64 v[70:71], v[238:239], v[100:101]
	v_fma_f64 v[58:59], v[232:233], v[200:201], -v[58:59]
	v_fma_f64 v[200:201], v[236:237], v[102:103], -v[70:71]
	;; [unrolled: 1-line block ×3, first 2 shown]
	v_mul_f64 v[86:87], v[250:251], v[90:91]
	v_fma_f64 v[250:251], v[248:249], v[98:99], -v[86:87]
	v_add_f64 v[26:27], v[26:27], 0
	v_add_f64 v[26:27], v[26:27], v[228:229]
	;; [unrolled: 1-line block ×4, first 2 shown]
	ds_read_b128 v[220:223], v1 offset:1488
	v_add_f64 v[14:15], v[18:19], v[14:15]
	v_add_f64 v[12:13], v[14:15], v[12:13]
	;; [unrolled: 1-line block ×4, first 2 shown]
	ds_read_b128 v[70:73], v1 offset:1536
	v_add_f64 v[8:9], v[10:11], v[8:9]
	v_add_f64 v[8:9], v[8:9], v[20:21]
	;; [unrolled: 1-line block ×5, first 2 shown]
	v_accvgpr_read_b32 v8, a164
	ds_read_b128 v[78:81], v1 offset:1568
	v_accvgpr_read_b32 v9, a165
	ds_read_b128 v[82:85], v1 offset:1584
	ds_read_b128 v[98:101], v1 offset:1648
	s_waitcnt vmcnt(57) lgkmcnt(6)
	v_mul_f64 v[62:63], v[38:39], v[162:163]
	s_waitcnt vmcnt(55)
	v_fmac_f64_e32 v[62:63], v[40:41], v[164:165]
	v_add_f64 v[56:57], v[56:57], v[62:63]
	v_mul_f64 v[62:63], v[218:219], v[174:175]
	v_fma_f64 v[174:175], v[216:217], v[54:55], -v[62:63]
	ds_read_b128 v[216:219], v1 offset:1456
	s_waitcnt vmcnt(53) lgkmcnt(6)
	v_mul_f64 v[54:55], v[46:47], v[158:159]
	s_waitcnt vmcnt(52)
	v_fmac_f64_e32 v[54:55], v[48:49], v[166:167]
	v_add_f64 v[62:63], v[56:57], v[54:55]
	ds_read_b128 v[54:57], v1 offset:1472
	s_waitcnt vmcnt(48) lgkmcnt(1)
	v_mul_f64 v[50:51], v[216:217], v[52:53]
	s_waitcnt vmcnt(46)
	v_fmac_f64_e32 v[50:51], v[218:219], v[176:177]
	v_add_f64 v[50:51], v[62:63], v[50:51]
	ds_read_b128 v[62:65], v1 offset:1504
	s_waitcnt lgkmcnt(1)
	v_mul_f64 v[66:67], v[54:55], v[160:161]
	s_waitcnt vmcnt(44)
	v_fmac_f64_e32 v[66:67], v[56:57], v[172:173]
	v_add_f64 v[50:51], v[50:51], v[66:67]
	s_waitcnt vmcnt(40)
	v_mul_f64 v[66:67], v[220:221], v[178:179]
	s_waitcnt vmcnt(38)
	v_fmac_f64_e32 v[66:67], v[222:223], v[180:181]
	v_add_f64 v[50:51], v[50:51], v[66:67]
	s_waitcnt vmcnt(37) lgkmcnt(0)
	v_mul_f64 v[66:67], v[62:63], v[168:169]
	s_waitcnt vmcnt(36)
	v_fmac_f64_e32 v[66:67], v[64:65], v[170:171]
	v_add_f64 v[50:51], v[50:51], v[66:67]
	ds_read_b128 v[66:69], v1 offset:1520
	s_waitcnt vmcnt(29)
	v_mul_f64 v[28:29], v[70:71], v[188:189]
	s_waitcnt vmcnt(28)
	v_fmac_f64_e32 v[28:29], v[72:73], v[190:191]
	v_add_f64 v[6:7], v[6:7], v[174:175]
	v_add_f64 v[6:7], v[6:7], v[224:225]
	s_waitcnt lgkmcnt(0)
	v_mul_f64 v[74:75], v[66:67], v[182:183]
	v_fmac_f64_e32 v[74:75], v[68:69], v[184:185]
	v_add_f64 v[50:51], v[50:51], v[74:75]
	v_mul_f64 v[74:75], v[242:243], v[104:105]
	v_fma_f64 v[2:3], v[240:241], v[106:107], -v[74:75]
	ds_read_b128 v[74:77], v1 offset:1552
	v_add_f64 v[28:29], v[50:51], v[28:29]
	v_mul_f64 v[50:51], v[246:247], v[88:89]
	v_fma_f64 v[246:247], v[244:245], v[92:93], -v[50:51]
	ds_read_b128 v[90:93], v1 offset:1600
	ds_read_b128 v[86:89], v1 offset:1616
	s_waitcnt vmcnt(25) lgkmcnt(2)
	v_mul_f64 v[50:51], v[74:75], v[192:193]
	s_waitcnt vmcnt(23)
	v_fmac_f64_e32 v[50:51], v[76:77], v[198:199]
	v_add_f64 v[28:29], v[28:29], v[50:51]
	s_waitcnt vmcnt(22)
	v_mul_f64 v[50:51], v[78:79], v[186:187]
	s_waitcnt vmcnt(20)
	v_fmac_f64_e32 v[50:51], v[80:81], v[196:197]
	v_add_f64 v[28:29], v[28:29], v[50:51]
	s_waitcnt vmcnt(18)
	v_mul_f64 v[50:51], v[82:83], v[194:195]
	s_waitcnt vmcnt(16)
	v_fmac_f64_e32 v[50:51], v[84:85], v[60:61]
	v_add_f64 v[28:29], v[28:29], v[50:51]
	v_mul_f64 v[50:51], v[254:255], v[94:95]
	v_fma_f64 v[252:253], v[252:253], v[96:97], -v[50:51]
	ds_read_b128 v[94:97], v1 offset:1632
	s_waitcnt vmcnt(13) lgkmcnt(2)
	v_mul_f64 v[50:51], v[90:91], v[204:205]
	s_waitcnt vmcnt(12)
	v_fmac_f64_e32 v[50:51], v[92:93], v[206:207]
	v_add_f64 v[28:29], v[28:29], v[50:51]
	s_waitcnt vmcnt(9) lgkmcnt(1)
	v_mul_f64 v[50:51], v[86:87], v[210:211]
	s_waitcnt vmcnt(7)
	v_fmac_f64_e32 v[50:51], v[88:89], v[226:227]
	v_add_f64 v[28:29], v[28:29], v[50:51]
	;; [unrolled: 5-line block ×3, first 2 shown]
	s_waitcnt vmcnt(2)
	v_mul_f64 v[50:51], v[98:99], v[4:5]
	s_waitcnt vmcnt(0)
	v_fmac_f64_e32 v[50:51], v[100:101], v[16:17]
	v_add_f64 v[28:29], v[28:29], v[50:51]
	buffer_load_dword v50, off, s[0:3], 0 offset:824
	buffer_load_dword v51, off, s[0:3], 0 offset:828
	;; [unrolled: 1-line block ×4, first 2 shown]
	ds_read_b128 v[102:105], v1 offset:1664
	buffer_load_dword v215, off, s[0:3], 0 offset:844
	buffer_load_dword v214, off, s[0:3], 0 offset:840
	;; [unrolled: 1-line block ×4, first 2 shown]
	v_add_f64 v[6:7], v[6:7], v[58:59]
	v_add_f64 v[6:7], v[6:7], v[200:201]
	;; [unrolled: 1-line block ×4, first 2 shown]
	v_accvgpr_read_b32 v6, a162
	v_accvgpr_read_b32 v7, a163
	v_add_f64 v[2:3], v[254:255], v[250:251]
	v_mul_f64 v[6:7], v[148:149], v[6:7]
	v_add_f64 v[2:3], v[2:3], v[252:253]
	v_fma_f64 v[6:7], v[146:147], v[8:9], -v[6:7]
	v_add_f64 v[2:3], v[2:3], v[6:7]
	v_accvgpr_read_b32 v6, a166
	v_accvgpr_read_b32 v7, a167
	v_accvgpr_read_b32 v8, a168
	v_mul_f64 v[6:7], v[144:145], v[6:7]
	v_accvgpr_read_b32 v9, a169
	v_fma_f64 v[6:7], v[142:143], v[8:9], -v[6:7]
	v_add_f64 v[2:3], v[2:3], v[6:7]
	v_accvgpr_read_b32 v6, a170
	v_accvgpr_read_b32 v7, a171
	v_accvgpr_read_b32 v8, a172
	v_mul_f64 v[6:7], v[140:141], v[6:7]
	v_accvgpr_read_b32 v9, a173
	;; [unrolled: 7-line block ×5, first 2 shown]
	v_fma_f64 v[6:7], v[126:127], v[8:9], -v[6:7]
	v_add_f64 v[2:3], v[2:3], v[6:7]
	v_mul_f64 v[6:7], v[124:125], v[150:151]
	v_fma_f64 v[6:7], v[122:123], v[152:153], -v[6:7]
	v_accvgpr_read_b32 v8, a186
	v_add_f64 v[2:3], v[2:3], v[6:7]
	v_mul_f64 v[6:7], v[120:121], v[36:37]
	v_accvgpr_read_b32 v9, a187
	v_fma_f64 v[6:7], v[118:119], v[8:9], -v[6:7]
	v_add_f64 v[2:3], v[2:3], v[6:7]
	v_mul_f64 v[6:7], v[32:33], v[154:155]
	v_fma_f64 v[6:7], v[30:31], v[156:157], -v[6:7]
	v_add_f64 v[2:3], v[2:3], v[6:7]
	v_accvgpr_read_b32 v6, a188
	v_accvgpr_read_b32 v7, a189
	v_mul_f64 v[6:7], v[44:45], v[6:7]
	v_fma_f64 v[6:7], v[42:43], v[34:35], -v[6:7]
	v_add_f64 v[2:3], v[2:3], v[6:7]
	v_mul_f64 v[6:7], v[40:41], v[162:163]
	v_fma_f64 v[6:7], v[38:39], v[164:165], -v[6:7]
	v_add_f64 v[2:3], v[2:3], v[6:7]
	;; [unrolled: 3-line block ×5, first 2 shown]
	v_mul_f64 v[6:7], v[222:223], v[178:179]
	s_waitcnt vmcnt(6) lgkmcnt(0)
	v_mul_f64 v[106:107], v[102:103], v[50:51]
	v_fma_f64 v[6:7], v[220:221], v[180:181], -v[6:7]
	s_waitcnt vmcnt(4)
	v_fmac_f64_e32 v[106:107], v[104:105], v[232:233]
	v_add_f64 v[28:29], v[28:29], v[106:107]
	ds_read_b128 v[106:109], v1 offset:1680
	buffer_load_dword v236, off, s[0:3], 0 offset:856
	buffer_load_dword v237, off, s[0:3], 0 offset:860
	;; [unrolled: 1-line block ×4, first 2 shown]
	v_add_f64 v[2:3], v[2:3], v[6:7]
	v_mul_f64 v[6:7], v[64:65], v[168:169]
	v_fma_f64 v[6:7], v[62:63], v[170:171], -v[6:7]
	s_waitcnt vmcnt(6) lgkmcnt(0)
	v_mul_f64 v[110:111], v[106:107], v[214:215]
	s_waitcnt vmcnt(4)
	v_fmac_f64_e32 v[110:111], v[108:109], v[234:235]
	v_add_f64 v[28:29], v[28:29], v[110:111]
	ds_read_b128 v[110:113], v1 offset:1696
	buffer_load_dword v243, off, s[0:3], 0 offset:876
	buffer_load_dword v242, off, s[0:3], 0 offset:872
	;; [unrolled: 1-line block ×4, first 2 shown]
	v_add_f64 v[2:3], v[2:3], v[6:7]
	v_mul_f64 v[6:7], v[68:69], v[182:183]
	v_fma_f64 v[6:7], v[66:67], v[184:185], -v[6:7]
	v_add_f64 v[2:3], v[2:3], v[6:7]
	v_mul_f64 v[6:7], v[72:73], v[188:189]
	v_fma_f64 v[6:7], v[70:71], v[190:191], -v[6:7]
	;; [unrolled: 3-line block ×8, first 2 shown]
	v_mul_f64 v[4:5], v[100:101], v[4:5]
	v_add_f64 v[2:3], v[2:3], v[6:7]
	v_fma_f64 v[4:5], v[98:99], v[16:17], -v[4:5]
	v_add_f64 v[2:3], v[2:3], v[4:5]
	v_mul_f64 v[4:5], v[104:105], v[50:51]
	v_fma_f64 v[4:5], v[102:103], v[232:233], -v[4:5]
	v_add_f64 v[2:3], v[2:3], v[4:5]
	v_mul_f64 v[4:5], v[108:109], v[214:215]
	v_fma_f64 v[4:5], v[106:107], v[234:235], -v[4:5]
	v_add_f64 v[2:3], v[2:3], v[4:5]
	v_accvgpr_write_b32 a162, v0
	s_waitcnt vmcnt(6) lgkmcnt(0)
	v_mul_f64 v[114:115], v[110:111], v[236:237]
	v_mul_f64 v[4:5], v[112:113], v[236:237]
	s_waitcnt vmcnt(4)
	v_fmac_f64_e32 v[114:115], v[112:113], v[238:239]
	v_add_f64 v[28:29], v[28:29], v[114:115]
	ds_read_b128 v[114:117], v1 offset:1712
	buffer_load_dword v248, off, s[0:3], 0 offset:64
	buffer_load_dword v249, off, s[0:3], 0 offset:68
	buffer_load_dword v246, off, s[0:3], 0 offset:72
	buffer_load_dword v247, off, s[0:3], 0 offset:76
	v_fma_f64 v[4:5], v[110:111], v[238:239], -v[4:5]
	v_add_f64 v[2:3], v[2:3], v[4:5]
	s_waitcnt vmcnt(6) lgkmcnt(0)
	v_mul_f64 v[4:5], v[116:117], v[242:243]
	v_mul_f64 v[240:241], v[114:115], v[242:243]
	s_waitcnt vmcnt(4)
	v_fma_f64 v[4:5], v[114:115], v[244:245], -v[4:5]
	v_fmac_f64_e32 v[240:241], v[116:117], v[244:245]
	v_add_f64 v[2:3], v[2:3], v[4:5]
	v_add_f64 v[240:241], v[28:29], v[240:241]
	s_waitcnt vmcnt(2)
	v_add_f64 v[2:3], v[248:249], -v[2:3]
	s_waitcnt vmcnt(0)
	v_add_f64 v[4:5], v[246:247], -v[240:241]
	buffer_store_dword v3, off, s[0:3], 0 offset:68
	buffer_store_dword v2, off, s[0:3], 0 offset:64
	;; [unrolled: 1-line block ×4, first 2 shown]
	s_and_saveexec_b64 s[4:5], vcc
	s_cbranch_execz .LBB117_333
; %bb.332:
	v_accvgpr_read_b32 v1, a159
	buffer_load_dword v2, v1, s[0:3], 0 offen
	buffer_load_dword v3, v1, s[0:3], 0 offen offset:4
	buffer_load_dword v4, v1, s[0:3], 0 offen offset:8
	;; [unrolled: 1-line block ×3, first 2 shown]
	v_mov_b32_e32 v1, 0
	v_accvgpr_read_b32 v6, a161
	buffer_store_dword v1, off, s[0:3], 0 offset:48
	buffer_store_dword v1, off, s[0:3], 0 offset:52
	;; [unrolled: 1-line block ×4, first 2 shown]
	s_waitcnt vmcnt(4)
	ds_write_b128 v6, v[2:5]
.LBB117_333:
	s_or_b64 exec, exec, s[4:5]
	v_mov_b32_e32 v226, 0
	s_waitcnt lgkmcnt(0)
	; wave barrier
	s_waitcnt lgkmcnt(0)
	buffer_load_dword v30, off, s[0:3], 0 offset:64
	buffer_load_dword v31, off, s[0:3], 0 offset:68
	;; [unrolled: 1-line block ×54, first 2 shown]
	ds_read_b128 v[114:117], v226 offset:912
	ds_read_b128 v[140:143], v226 offset:928
	;; [unrolled: 1-line block ×9, first 2 shown]
	buffer_load_dword v109, off, s[0:3], 0 offset:292
	buffer_load_dword v108, off, s[0:3], 0 offset:288
	;; [unrolled: 1-line block ×32, first 2 shown]
	s_waitcnt vmcnt(62) lgkmcnt(8)
	v_mul_f64 v[2:3], v[114:115], v[32:33]
	v_fmac_f64_e32 v[2:3], v[116:117], v[30:31]
	v_add_f64 v[2:3], v[2:3], 0
	v_mul_f64 v[32:33], v[116:117], v[32:33]
	s_waitcnt lgkmcnt(7)
	v_mul_f64 v[4:5], v[140:141], v[38:39]
	v_fmac_f64_e32 v[4:5], v[142:143], v[36:37]
	s_waitcnt lgkmcnt(6)
	v_mul_f64 v[6:7], v[150:151], v[34:35]
	v_add_f64 v[2:3], v[2:3], v[4:5]
	s_waitcnt lgkmcnt(4)
	v_mul_f64 v[10:11], v[158:159], v[40:41]
	v_fma_f64 v[254:255], v[114:115], v[30:31], -v[32:33]
	v_fmac_f64_e32 v[10:11], v[160:161], v[42:43]
	v_mul_f64 v[38:39], v[142:143], v[38:39]
	v_mul_f64 v[8:9], v[154:155], v[44:45]
	s_waitcnt lgkmcnt(2)
	v_mul_f64 v[14:15], v[166:167], v[48:49]
	v_fmac_f64_e32 v[14:15], v[168:169], v[50:51]
	v_mul_f64 v[12:13], v[162:163], v[56:57]
	s_waitcnt lgkmcnt(1)
	v_mul_f64 v[16:17], v[170:171], v[52:53]
	s_waitcnt vmcnt(60)
	v_fmac_f64_e32 v[6:7], v[152:153], v[62:63]
	v_add_f64 v[2:3], v[2:3], v[6:7]
	s_waitcnt vmcnt(58)
	v_fmac_f64_e32 v[8:9], v[156:157], v[60:61]
	v_add_f64 v[2:3], v[2:3], v[8:9]
	s_waitcnt vmcnt(56)
	v_fmac_f64_e32 v[12:13], v[164:165], v[58:59]
	v_add_f64 v[2:3], v[2:3], v[10:11]
	v_add_f64 v[2:3], v[2:3], v[12:13]
	v_add_f64 v[2:3], v[2:3], v[14:15]
	s_waitcnt vmcnt(54)
	v_fmac_f64_e32 v[16:17], v[172:173], v[54:55]
	v_add_f64 v[2:3], v[2:3], v[16:17]
	s_waitcnt vmcnt(50) lgkmcnt(0)
	v_mul_f64 v[4:5], v[174:175], v[46:47]
	v_fmac_f64_e32 v[4:5], v[176:177], v[64:65]
	v_add_f64 v[2:3], v[2:3], v[4:5]
	s_waitcnt vmcnt(0)
	v_pk_mov_b32 v[14:15], v[0:1], v[0:1] op_sel:[0,1]
	buffer_load_dword v1, off, s[0:3], 0 offset:420
	buffer_load_dword v0, off, s[0:3], 0 offset:416
	v_accvgpr_write_b32 a165, v15
	v_accvgpr_write_b32 a164, v14
	s_waitcnt vmcnt(0)
	v_pk_mov_b32 v[18:19], v[0:1], v[0:1] op_sel:[0,1]
	buffer_load_dword v95, off, s[0:3], 0 offset:412
	buffer_load_dword v94, off, s[0:3], 0 offset:408
	;; [unrolled: 1-line block ×6, first 2 shown]
	v_accvgpr_write_b32 a167, v19
	v_accvgpr_write_b32 a166, v18
	s_waitcnt vmcnt(0)
	v_pk_mov_b32 v[22:23], v[0:1], v[0:1] op_sel:[0,1]
	buffer_load_dword v1, off, s[0:3], 0 offset:452
	buffer_load_dword v0, off, s[0:3], 0 offset:448
	v_accvgpr_write_b32 a173, v23
	v_accvgpr_write_b32 a172, v22
	s_waitcnt vmcnt(0)
	v_pk_mov_b32 v[24:25], v[0:1], v[0:1] op_sel:[0,1]
	buffer_load_dword v1, off, s[0:3], 0 offset:444
	buffer_load_dword v0, off, s[0:3], 0 offset:440
	;; [unrolled: 6-line block ×10, first 2 shown]
	buffer_load_dword v229, off, s[0:3], 0 offset:500
	buffer_load_dword v228, off, s[0:3], 0 offset:496
	ds_read_b128 v[178:181], v226 offset:1056
	ds_read_b128 v[182:185], v226 offset:1072
	;; [unrolled: 1-line block ×6, first 2 shown]
	s_waitcnt lgkmcnt(5)
	v_mul_f64 v[4:5], v[178:179], v[70:71]
	v_fmac_f64_e32 v[4:5], v[180:181], v[72:73]
	v_add_f64 v[2:3], v[2:3], v[4:5]
	s_waitcnt lgkmcnt(4)
	v_mul_f64 v[4:5], v[182:183], v[66:67]
	v_fmac_f64_e32 v[4:5], v[184:185], v[68:69]
	v_add_f64 v[2:3], v[2:3], v[4:5]
	;; [unrolled: 4-line block ×3, first 2 shown]
	s_waitcnt lgkmcnt(2)
	v_mul_f64 v[4:5], v[190:191], v[92:93]
	v_fmac_f64_e32 v[4:5], v[192:193], v[76:77]
	ds_read_b128 v[206:209], v226 offset:1152
	ds_read_b128 v[210:213], v226 offset:1168
	v_add_f64 v[2:3], v[2:3], v[4:5]
	s_waitcnt lgkmcnt(3)
	v_mul_f64 v[4:5], v[198:199], v[250:251]
	v_fmac_f64_e32 v[4:5], v[200:201], v[252:253]
	v_add_f64 v[2:3], v[2:3], v[4:5]
	s_waitcnt lgkmcnt(2)
	v_mul_f64 v[4:5], v[202:203], v[74:75]
	v_fmac_f64_e32 v[4:5], v[204:205], v[108:109]
	;; [unrolled: 4-line block ×3, first 2 shown]
	v_add_f64 v[2:3], v[2:3], v[4:5]
	v_accvgpr_write_b32 a189, v147
	v_accvgpr_write_b32 a188, v146
	s_waitcnt vmcnt(2)
	v_pk_mov_b32 v[194:195], v[0:1], v[0:1] op_sel:[0,1]
	buffer_load_dword v1, off, s[0:3], 0 offset:556
	buffer_load_dword v5, off, s[0:3], 0 offset:540
	buffer_load_dword v4, off, s[0:3], 0 offset:536
	buffer_load_dword v241, off, s[0:3], 0 offset:532
	buffer_load_dword v240, off, s[0:3], 0 offset:528
	buffer_load_dword v0, off, s[0:3], 0 offset:552
	buffer_load_dword v231, off, s[0:3], 0 offset:548
	buffer_load_dword v230, off, s[0:3], 0 offset:544
	ds_read_b128 v[214:217], v226 offset:1184
	ds_read_b128 v[218:221], v226 offset:1200
	;; [unrolled: 1-line block ×10, first 2 shown]
	s_waitcnt lgkmcnt(5)
	v_mul_f64 v[8:9], v[246:247], v[94:95]
	v_fmac_f64_e32 v[8:9], v[248:249], v[96:97]
	s_waitcnt lgkmcnt(4)
	v_mul_f64 v[12:13], v[232:233], v[14:15]
	v_fmac_f64_e32 v[12:13], v[234:235], v[18:19]
	;; [unrolled: 3-line block ×5, first 2 shown]
	ds_read_b128 v[236:239], v226 offset:1344
	ds_read_b128 v[30:33], v226 offset:1376
	v_accvgpr_write_b32 a184, v194
	v_accvgpr_write_b32 a185, v195
	s_waitcnt vmcnt(5)
	v_pk_mov_b32 v[196:197], v[4:5], v[4:5] op_sel:[0,1]
	v_mul_f64 v[4:5], v[210:211], v[90:91]
	v_fmac_f64_e32 v[4:5], v[212:213], v[98:99]
	v_add_f64 v[2:3], v[2:3], v[4:5]
	v_mul_f64 v[4:5], v[214:215], v[102:103]
	v_fmac_f64_e32 v[4:5], v[216:217], v[106:107]
	v_add_f64 v[2:3], v[2:3], v[4:5]
	;; [unrolled: 3-line block ×5, first 2 shown]
	v_add_f64 v[10:11], v[6:7], v[8:9]
	v_add_f64 v[14:15], v[10:11], v[12:13]
	;; [unrolled: 1-line block ×5, first 2 shown]
	s_waitcnt lgkmcnt(2)
	v_mul_f64 v[28:29], v[122:123], v[118:119]
	v_fmac_f64_e32 v[28:29], v[124:125], v[120:121]
	ds_read_b128 v[118:121], v226 offset:1360
	v_add_f64 v[26:27], v[26:27], v[28:29]
	s_waitcnt lgkmcnt(2)
	v_mul_f64 v[28:29], v[236:237], v[194:195]
	v_fmac_f64_e32 v[28:29], v[238:239], v[228:229]
	v_add_f64 v[138:139], v[26:27], v[28:29]
	s_waitcnt lgkmcnt(0)
	v_mul_f64 v[114:115], v[118:119], v[144:145]
	v_fmac_f64_e32 v[114:115], v[120:121], v[146:147]
	v_add_f64 v[114:115], v[138:139], v[114:115]
	buffer_load_dword v139, off, s[0:3], 0 offset:588
	buffer_load_dword v138, off, s[0:3], 0 offset:584
	v_fma_f64 v[26:27], v[140:141], v[36:37], -v[38:39]
	buffer_load_dword v141, off, s[0:3], 0 offset:580
	buffer_load_dword v140, off, s[0:3], 0 offset:576
	;; [unrolled: 1-line block ×6, first 2 shown]
	v_mul_f64 v[4:5], v[152:153], v[34:35]
	v_fma_f64 v[24:25], v[150:151], v[62:63], -v[4:5]
	buffer_load_dword v142, off, s[0:3], 0 offset:616
	buffer_load_dword v147, off, s[0:3], 0 offset:604
	;; [unrolled: 1-line block ×5, first 2 shown]
	v_mul_f64 v[34:35], v[156:157], v[44:45]
	v_fma_f64 v[116:117], v[154:155], v[60:61], -v[34:35]
	ds_read_b128 v[34:37], v226 offset:1392
	v_mul_f64 v[38:39], v[30:31], v[196:197]
	buffer_load_dword v152, off, s[0:3], 0 offset:608
	buffer_load_dword v143, off, s[0:3], 0 offset:620
	;; [unrolled: 1-line block ×3, first 2 shown]
	s_waitcnt vmcnt(19)
	v_fmac_f64_e32 v[38:39], v[32:33], v[240:241]
	v_add_f64 v[38:39], v[114:115], v[38:39]
	s_waitcnt vmcnt(18) lgkmcnt(0)
	v_mul_f64 v[44:45], v[34:35], v[0:1]
	s_waitcnt vmcnt(16)
	v_fmac_f64_e32 v[44:45], v[36:37], v[230:231]
	v_add_f64 v[60:61], v[38:39], v[44:45]
	v_mul_f64 v[38:39], v[160:161], v[40:41]
	v_fma_f64 v[114:115], v[158:159], v[42:43], -v[38:39]
	buffer_load_dword v155, off, s[0:3], 0 offset:652
	buffer_load_dword v157, off, s[0:3], 0 offset:636
	;; [unrolled: 1-line block ×8, first 2 shown]
	v_mul_f64 v[38:39], v[164:165], v[56:57]
	v_fma_f64 v[22:23], v[162:163], v[58:59], -v[38:39]
	ds_read_b128 v[38:41], v226 offset:1408
	buffer_load_dword v163, off, s[0:3], 0 offset:668
	buffer_load_dword v162, off, s[0:3], 0 offset:664
	;; [unrolled: 1-line block ×4, first 2 shown]
	v_mul_f64 v[8:9], v[168:169], v[48:49]
	v_mul_f64 v[42:43], v[172:173], v[52:53]
	v_fma_f64 v[18:19], v[166:167], v[50:51], -v[8:9]
	v_fma_f64 v[14:15], v[170:171], v[54:55], -v[42:43]
	buffer_load_dword v167, off, s[0:3], 0 offset:684
	buffer_load_dword v166, off, s[0:3], 0 offset:680
	;; [unrolled: 1-line block ×8, first 2 shown]
	v_mul_f64 v[12:13], v[176:177], v[46:47]
	v_fma_f64 v[12:13], v[174:175], v[64:65], -v[12:13]
	buffer_load_dword v174, off, s[0:3], 0 offset:712
	buffer_load_dword v176, off, s[0:3], 0 offset:704
	;; [unrolled: 1-line block ×4, first 2 shown]
	v_mul_f64 v[42:43], v[180:181], v[70:71]
	v_fma_f64 v[10:11], v[178:179], v[72:73], -v[42:43]
	buffer_load_dword v179, off, s[0:3], 0 offset:732
	buffer_load_dword v178, off, s[0:3], 0 offset:728
	buffer_load_dword v181, off, s[0:3], 0 offset:724
	buffer_load_dword v180, off, s[0:3], 0 offset:720
	v_mul_f64 v[42:43], v[188:189], v[100:101]
	v_mul_f64 v[16:17], v[184:185], v[66:67]
	v_fma_f64 v[100:101], v[186:187], v[104:105], -v[42:43]
	buffer_load_dword v185, off, s[0:3], 0 offset:748
	buffer_load_dword v184, off, s[0:3], 0 offset:744
	;; [unrolled: 1-line block ×4, first 2 shown]
	v_accvgpr_write_b32 a190, v196
	v_mul_f64 v[42:43], v[192:193], v[92:93]
	v_accvgpr_write_b32 a191, v197
	v_fma_f64 v[16:17], v[182:183], v[68:69], -v[16:17]
	v_fma_f64 v[8:9], v[190:191], v[76:77], -v[42:43]
	buffer_load_dword v183, off, s[0:3], 0 offset:780
	buffer_load_dword v189, off, s[0:3], 0 offset:764
	;; [unrolled: 1-line block ×12, first 2 shown]
	ds_read_b128 v[42:45], v226 offset:1424
	v_mul_f64 v[46:47], v[200:201], v[250:251]
	v_fma_f64 v[250:251], v[198:199], v[252:253], -v[46:47]
	ds_read_b128 v[46:49], v226 offset:1440
	v_mul_f64 v[54:55], v[204:205], v[74:75]
	v_fma_f64 v[252:253], v[202:203], v[108:109], -v[54:55]
	v_mul_f64 v[58:59], v[208:209], v[110:111]
	v_fma_f64 v[198:199], v[206:207], v[112:113], -v[58:59]
	;; [unrolled: 2-line block ×3, first 2 shown]
	ds_read_b128 v[66:69], v226 offset:1520
	v_mul_f64 v[70:71], v[216:217], v[102:103]
	ds_read_b128 v[54:57], v226 offset:1472
	v_fma_f64 v[214:215], v[214:215], v[106:107], -v[70:71]
	v_mul_f64 v[78:79], v[220:221], v[78:79]
	v_fma_f64 v[6:7], v[218:219], v[80:81], -v[78:79]
	v_mul_f64 v[82:83], v[224:225], v[82:83]
	v_fma_f64 v[4:5], v[222:223], v[84:85], -v[82:83]
	ds_read_b128 v[82:85], v226 offset:1584
	v_mul_f64 v[86:87], v[244:245], v[86:87]
	v_fma_f64 v[2:3], v[242:243], v[88:89], -v[86:87]
	ds_read_b128 v[86:89], v226 offset:1600
	buffer_load_dword v98, off, s[0:3], 0 offset:808
	ds_read_b128 v[70:73], v226 offset:1536
	ds_read_b128 v[78:81], v226 offset:1568
	s_waitcnt vmcnt(55) lgkmcnt(8)
	v_mul_f64 v[20:21], v[38:39], v[144:145]
	s_waitcnt lgkmcnt(7)
	v_mul_f64 v[50:51], v[42:43], v[138:139]
	s_waitcnt vmcnt(53)
	v_fmac_f64_e32 v[20:21], v[40:41], v[148:149]
	v_add_f64 v[20:21], v[60:61], v[20:21]
	v_fmac_f64_e32 v[50:51], v[44:45], v[140:141]
	v_add_f64 v[20:21], v[20:21], v[50:51]
	s_waitcnt vmcnt(50) lgkmcnt(6)
	v_mul_f64 v[50:51], v[46:47], v[146:147]
	s_waitcnt vmcnt(48)
	v_fmac_f64_e32 v[50:51], v[48:49], v[150:151]
	v_add_f64 v[20:21], v[20:21], v[50:51]
	ds_read_b128 v[50:53], v226 offset:1456
	ds_read_b128 v[58:61], v226 offset:1488
	s_waitcnt vmcnt(46) lgkmcnt(1)
	v_mul_f64 v[62:63], v[50:51], v[142:143]
	s_waitcnt vmcnt(45)
	v_fmac_f64_e32 v[62:63], v[52:53], v[152:153]
	v_add_f64 v[20:21], v[20:21], v[62:63]
	s_waitcnt vmcnt(42)
	v_mul_f64 v[62:63], v[54:55], v[156:157]
	s_waitcnt vmcnt(40)
	v_fmac_f64_e32 v[62:63], v[56:57], v[160:161]
	v_add_f64 v[20:21], v[20:21], v[62:63]
	s_waitcnt vmcnt(39) lgkmcnt(0)
	v_mul_f64 v[62:63], v[58:59], v[154:155]
	s_waitcnt vmcnt(37)
	v_fmac_f64_e32 v[62:63], v[60:61], v[158:159]
	v_add_f64 v[20:21], v[20:21], v[62:63]
	ds_read_b128 v[62:65], v226 offset:1504
	s_waitcnt vmcnt(35) lgkmcnt(0)
	v_mul_f64 v[74:75], v[62:63], v[162:163]
	s_waitcnt vmcnt(33)
	v_fmac_f64_e32 v[74:75], v[64:65], v[164:165]
	v_add_f64 v[20:21], v[20:21], v[74:75]
	s_waitcnt vmcnt(31)
	v_mul_f64 v[74:75], v[66:67], v[166:167]
	s_waitcnt vmcnt(29)
	v_fmac_f64_e32 v[74:75], v[68:69], v[170:171]
	v_add_f64 v[20:21], v[20:21], v[74:75]
	s_waitcnt vmcnt(27)
	v_mul_f64 v[74:75], v[70:71], v[168:169]
	s_waitcnt vmcnt(25)
	v_fmac_f64_e32 v[74:75], v[72:73], v[172:173]
	v_add_f64 v[20:21], v[20:21], v[74:75]
	ds_read_b128 v[74:77], v226 offset:1552
	s_waitcnt vmcnt(15)
	v_mul_f64 v[28:29], v[82:83], v[184:185]
	s_waitcnt vmcnt(13)
	v_fmac_f64_e32 v[28:29], v[84:85], v[186:187]
	s_waitcnt vmcnt(10)
	v_mul_f64 v[102:103], v[86:87], v[188:189]
	s_waitcnt vmcnt(8)
	v_fmac_f64_e32 v[102:103], v[88:89], v[194:195]
	s_waitcnt lgkmcnt(0)
	v_mul_f64 v[90:91], v[74:75], v[174:175]
	v_fmac_f64_e32 v[90:91], v[76:77], v[176:177]
	v_add_f64 v[20:21], v[20:21], v[90:91]
	v_mul_f64 v[90:91], v[78:79], v[178:179]
	v_fmac_f64_e32 v[90:91], v[80:81], v[180:181]
	v_add_f64 v[20:21], v[20:21], v[90:91]
	v_add_f64 v[28:29], v[20:21], v[28:29]
	v_mul_f64 v[20:21], v[248:249], v[94:95]
	ds_read_b128 v[90:93], v226 offset:1616
	v_fma_f64 v[20:21], v[246:247], v[96:97], -v[20:21]
	ds_read_b128 v[94:97], v226 offset:1632
	buffer_load_dword v224, off, s[0:3], 0 offset:800
	buffer_load_dword v99, off, s[0:3], 0 offset:812
	;; [unrolled: 1-line block ×3, first 2 shown]
	ds_read_b128 v[220:223], v226 offset:1648
	buffer_load_dword v203, off, s[0:3], 0 offset:828
	buffer_load_dword v202, off, s[0:3], 0 offset:824
	;; [unrolled: 1-line block ×4, first 2 shown]
	v_add_f64 v[28:29], v[28:29], v[102:103]
	s_waitcnt vmcnt(14) lgkmcnt(2)
	v_mul_f64 v[102:103], v[90:91], v[182:183]
	s_waitcnt vmcnt(12)
	v_fmac_f64_e32 v[102:103], v[92:93], v[192:193]
	v_add_f64 v[28:29], v[28:29], v[102:103]
	s_waitcnt vmcnt(10) lgkmcnt(1)
	v_mul_f64 v[102:103], v[94:95], v[190:191]
	s_waitcnt vmcnt(8)
	v_fmac_f64_e32 v[102:103], v[96:97], v[196:197]
	v_add_f64 v[28:29], v[28:29], v[102:103]
	s_waitcnt vmcnt(5) lgkmcnt(0)
	v_mul_f64 v[102:103], v[220:221], v[98:99]
	s_waitcnt vmcnt(4)
	v_fmac_f64_e32 v[102:103], v[222:223], v[224:225]
	v_add_f64 v[28:29], v[28:29], v[102:103]
	ds_read_b128 v[102:105], v226 offset:1664
	buffer_load_dword v206, off, s[0:3], 0 offset:840
	buffer_load_dword v207, off, s[0:3], 0 offset:844
	buffer_load_dword v208, off, s[0:3], 0 offset:832
	buffer_load_dword v209, off, s[0:3], 0 offset:836
	s_waitcnt vmcnt(6) lgkmcnt(0)
	v_mul_f64 v[106:107], v[102:103], v[202:203]
	s_waitcnt vmcnt(4)
	v_fmac_f64_e32 v[106:107], v[104:105], v[204:205]
	v_add_f64 v[28:29], v[28:29], v[106:107]
	ds_read_b128 v[106:109], v226 offset:1680
	buffer_load_dword v211, off, s[0:3], 0 offset:860
	buffer_load_dword v210, off, s[0:3], 0 offset:856
	buffer_load_dword v213, off, s[0:3], 0 offset:852
	buffer_load_dword v212, off, s[0:3], 0 offset:848
	s_waitcnt vmcnt(6) lgkmcnt(0)
	v_mul_f64 v[110:111], v[106:107], v[206:207]
	s_waitcnt vmcnt(4)
	v_fmac_f64_e32 v[110:111], v[108:109], v[208:209]
	;; [unrolled: 10-line block ×3, first 2 shown]
	v_add_f64 v[28:29], v[28:29], v[216:217]
	ds_read_b128 v[216:219], v226 offset:1712
	s_waitcnt vmcnt(2) lgkmcnt(0)
	v_mul_f64 v[242:243], v[216:217], v[244:245]
	s_waitcnt vmcnt(0)
	v_fmac_f64_e32 v[242:243], v[218:219], v[246:247]
	v_add_f64 v[242:243], v[28:29], v[242:243]
	v_add_f64 v[28:29], v[254:255], 0
	;; [unrolled: 1-line block ×17, first 2 shown]
	buffer_load_dword v250, off, s[0:3], 0 offset:48
	buffer_load_dword v251, off, s[0:3], 0 offset:52
	v_add_f64 v[8:9], v[8:9], v[200:201]
	buffer_load_dword v248, off, s[0:3], 0 offset:56
	buffer_load_dword v249, off, s[0:3], 0 offset:60
	v_add_f64 v[8:9], v[8:9], v[214:215]
	v_add_f64 v[6:7], v[8:9], v[6:7]
	;; [unrolled: 1-line block ×4, first 2 shown]
	v_accvgpr_read_b32 v4, a164
	v_accvgpr_read_b32 v5, a165
	;; [unrolled: 1-line block ×3, first 2 shown]
	v_mul_f64 v[4:5], v[234:235], v[4:5]
	v_accvgpr_read_b32 v7, a167
	v_add_f64 v[2:3], v[214:215], v[20:21]
	v_fma_f64 v[4:5], v[232:233], v[6:7], -v[4:5]
	v_add_f64 v[2:3], v[2:3], v[4:5]
	v_accvgpr_read_b32 v4, a168
	v_accvgpr_read_b32 v5, a169
	v_accvgpr_read_b32 v6, a170
	v_mul_f64 v[4:5], v[136:137], v[4:5]
	v_accvgpr_read_b32 v7, a171
	v_fma_f64 v[4:5], v[134:135], v[6:7], -v[4:5]
	v_add_f64 v[2:3], v[2:3], v[4:5]
	v_accvgpr_read_b32 v4, a172
	v_accvgpr_read_b32 v5, a173
	v_accvgpr_read_b32 v6, a174
	v_mul_f64 v[4:5], v[132:133], v[4:5]
	v_accvgpr_read_b32 v7, a175
	;; [unrolled: 7-line block ×4, first 2 shown]
	v_fma_f64 v[4:5], v[122:123], v[6:7], -v[4:5]
	v_add_f64 v[2:3], v[2:3], v[4:5]
	v_accvgpr_read_b32 v4, a184
	v_accvgpr_read_b32 v5, a185
	v_mul_f64 v[4:5], v[238:239], v[4:5]
	v_fma_f64 v[4:5], v[236:237], v[228:229], -v[4:5]
	v_add_f64 v[2:3], v[2:3], v[4:5]
	v_accvgpr_read_b32 v4, a186
	v_accvgpr_read_b32 v5, a187
	;; [unrolled: 1-line block ×3, first 2 shown]
	v_mul_f64 v[4:5], v[120:121], v[4:5]
	v_accvgpr_read_b32 v7, a189
	v_fma_f64 v[4:5], v[118:119], v[6:7], -v[4:5]
	v_add_f64 v[2:3], v[2:3], v[4:5]
	v_accvgpr_read_b32 v4, a190
	v_accvgpr_read_b32 v5, a191
	v_mul_f64 v[4:5], v[32:33], v[4:5]
	v_fma_f64 v[4:5], v[30:31], v[240:241], -v[4:5]
	v_add_f64 v[2:3], v[2:3], v[4:5]
	v_mul_f64 v[4:5], v[36:37], v[0:1]
	v_fma_f64 v[4:5], v[34:35], v[230:231], -v[4:5]
	v_add_f64 v[2:3], v[2:3], v[4:5]
	;; [unrolled: 3-line block ×22, first 2 shown]
	v_accvgpr_read_b32 v0, a162
	s_waitcnt vmcnt(2)
	v_add_f64 v[2:3], v[250:251], -v[2:3]
	v_cmp_lt_u32_e32 vcc, 1, v0
	s_waitcnt vmcnt(0)
	v_add_f64 v[4:5], v[248:249], -v[242:243]
	buffer_store_dword v3, off, s[0:3], 0 offset:52
	buffer_store_dword v2, off, s[0:3], 0 offset:48
	;; [unrolled: 1-line block ×4, first 2 shown]
	s_and_saveexec_b64 s[4:5], vcc
	s_cbranch_execz .LBB117_335
; %bb.334:
	v_accvgpr_read_b32 v5, a160
	buffer_load_dword v2, v5, s[0:3], 0 offen
	buffer_load_dword v3, v5, s[0:3], 0 offen offset:4
	buffer_load_dword v4, v5, s[0:3], 0 offen offset:8
	s_nop 0
	buffer_load_dword v5, v5, s[0:3], 0 offen offset:12
	v_accvgpr_read_b32 v6, a161
	buffer_store_dword v226, off, s[0:3], 0 offset:32
	buffer_store_dword v226, off, s[0:3], 0 offset:36
	buffer_store_dword v226, off, s[0:3], 0 offset:40
	buffer_store_dword v226, off, s[0:3], 0 offset:44
	s_waitcnt vmcnt(4)
	ds_write_b128 v6, v[2:5]
.LBB117_335:
	s_or_b64 exec, exec, s[4:5]
	s_waitcnt lgkmcnt(0)
	; wave barrier
	s_waitcnt lgkmcnt(0)
	buffer_load_dword v22, off, s[0:3], 0 offset:48
	buffer_load_dword v23, off, s[0:3], 0 offset:52
	;; [unrolled: 1-line block ×36, first 2 shown]
	ds_read_b128 v[18:21], v226 offset:896
	ds_read_b128 v[26:29], v226 offset:912
	;; [unrolled: 1-line block ×9, first 2 shown]
	buffer_load_dword v91, off, s[0:3], 0 offset:220
	buffer_load_dword v90, off, s[0:3], 0 offset:216
	;; [unrolled: 1-line block ×19, first 2 shown]
	s_waitcnt vmcnt(51) lgkmcnt(8)
	v_mul_f64 v[2:3], v[18:19], v[24:25]
	v_fmac_f64_e32 v[2:3], v[20:21], v[22:23]
	v_add_f64 v[2:3], v[2:3], 0
	v_mul_f64 v[20:21], v[20:21], v[24:25]
	s_waitcnt vmcnt(47) lgkmcnt(7)
	v_mul_f64 v[4:5], v[26:27], v[130:131]
	v_fmac_f64_e32 v[4:5], v[28:29], v[60:61]
	v_add_f64 v[2:3], v[2:3], v[4:5]
	buffer_load_dword v104, off, s[0:3], 0 offset:272
	buffer_load_dword v253, off, s[0:3], 0 offset:268
	;; [unrolled: 1-line block ×39, first 2 shown]
	s_waitcnt vmcnt(62) lgkmcnt(6)
	v_mul_f64 v[6:7], v[54:55], v[58:59]
	s_waitcnt lgkmcnt(4)
	v_mul_f64 v[10:11], v[34:35], v[140:141]
	v_fmac_f64_e32 v[10:11], v[36:37], v[66:67]
	v_fma_f64 v[24:25], v[18:19], v[22:23], -v[20:21]
	v_mul_f64 v[8:9], v[30:31], v[68:69]
	v_mul_f64 v[28:29], v[28:29], v[130:131]
	s_waitcnt lgkmcnt(2)
	v_mul_f64 v[14:15], v[50:51], v[146:147]
	v_fma_f64 v[130:131], v[26:27], v[60:61], -v[28:29]
	v_fmac_f64_e32 v[14:15], v[52:53], v[148:149]
	v_mul_f64 v[36:37], v[36:37], v[140:141]
	v_mul_f64 v[12:13], v[38:39], v[80:81]
	v_fma_f64 v[20:21], v[34:35], v[66:67], -v[36:37]
	s_waitcnt lgkmcnt(1)
	v_mul_f64 v[16:17], v[46:47], v[144:145]
	v_mul_f64 v[52:53], v[52:53], v[146:147]
	v_fmac_f64_e32 v[6:7], v[56:57], v[86:87]
	v_add_f64 v[2:3], v[2:3], v[6:7]
	v_fmac_f64_e32 v[8:9], v[32:33], v[84:85]
	v_add_f64 v[2:3], v[2:3], v[8:9]
	;; [unrolled: 2-line block ×3, first 2 shown]
	v_add_f64 v[2:3], v[2:3], v[12:13]
	v_add_f64 v[2:3], v[2:3], v[14:15]
	v_fmac_f64_e32 v[16:17], v[48:49], v[78:79]
	v_add_f64 v[2:3], v[2:3], v[16:17]
	v_mul_f64 v[32:33], v[32:33], v[68:69]
	v_mul_f64 v[40:41], v[40:41], v[80:81]
	v_fma_f64 v[18:19], v[38:39], v[82:83], -v[40:41]
	v_add_f64 v[24:25], v[24:25], 0
	v_add_f64 v[24:25], v[24:25], v[130:131]
	s_waitcnt vmcnt(0)
	v_pk_mov_b32 v[122:123], v[4:5], v[4:5] op_sel:[0,1]
	buffer_load_dword v5, off, s[0:3], 0 offset:436
	buffer_load_dword v4, off, s[0:3], 0 offset:432
	v_accvgpr_write_b32 a171, v123
	v_accvgpr_write_b32 a170, v122
	s_waitcnt vmcnt(0)
	v_pk_mov_b32 v[124:125], v[4:5], v[4:5] op_sel:[0,1]
	buffer_load_dword v5, off, s[0:3], 0 offset:428
	buffer_load_dword v4, off, s[0:3], 0 offset:424
	v_accvgpr_write_b32 a173, v125
	v_accvgpr_write_b32 a172, v124
	s_waitcnt vmcnt(0)
	v_pk_mov_b32 v[14:15], v[4:5], v[4:5] op_sel:[0,1]
	buffer_load_dword v5, off, s[0:3], 0 offset:420
	buffer_load_dword v4, off, s[0:3], 0 offset:416
	v_pk_mov_b32 v[224:225], v[14:15], v[14:15] op_sel:[0,1]
	s_waitcnt vmcnt(0)
	v_pk_mov_b32 v[126:127], v[4:5], v[4:5] op_sel:[0,1]
	buffer_load_dword v5, off, s[0:3], 0 offset:476
	buffer_load_dword v4, off, s[0:3], 0 offset:472
	v_accvgpr_write_b32 a169, v127
	v_accvgpr_write_b32 a168, v126
	s_waitcnt vmcnt(0)
	v_pk_mov_b32 v[136:137], v[4:5], v[4:5] op_sel:[0,1]
	buffer_load_dword v5, off, s[0:3], 0 offset:468
	buffer_load_dword v4, off, s[0:3], 0 offset:464
	v_accvgpr_write_b32 a179, v137
	v_accvgpr_write_b32 a178, v136
	;; [unrolled: 6-line block ×7, first 2 shown]
	s_waitcnt vmcnt(0)
	v_pk_mov_b32 v[154:155], v[4:5], v[4:5] op_sel:[0,1]
	buffer_load_dword v5, off, s[0:3], 0 offset:484
	buffer_load_dword v4, off, s[0:3], 0 offset:480
	ds_read_b128 v[156:159], v226 offset:1040
	ds_read_b128 v[168:171], v226 offset:1056
	;; [unrolled: 1-line block ×9, first 2 shown]
	buffer_load_dword v1, off, s[0:3], 0 offset:524
	buffer_load_dword v0, off, s[0:3], 0 offset:520
	;; [unrolled: 1-line block ×4, first 2 shown]
	ds_read_b128 v[220:223], v226 offset:1184
	buffer_load_dword v231, off, s[0:3], 0 offset:540
	buffer_load_dword v230, off, s[0:3], 0 offset:536
	;; [unrolled: 1-line block ×8, first 2 shown]
	ds_read_b128 v[118:121], v226 offset:1200
	ds_read_b128 v[62:65], v226 offset:1216
	;; [unrolled: 1-line block ×4, first 2 shown]
	v_accvgpr_write_b32 a183, v155
	v_accvgpr_write_b32 a182, v154
	s_waitcnt lgkmcnt(5)
	v_mul_f64 v[68:69], v[218:219], v[192:193]
	ds_read_b128 v[248:251], v226 offset:1280
	s_waitcnt lgkmcnt(1)
	v_mul_f64 v[8:9], v[74:75], v[96:97]
	v_fmac_f64_e32 v[8:9], v[76:77], v[100:101]
	s_waitcnt lgkmcnt(0)
	v_mul_f64 v[16:17], v[248:249], v[122:123]
	v_fmac_f64_e32 v[16:17], v[250:251], v[124:125]
	s_waitcnt vmcnt(12)
	v_pk_mov_b32 v[162:163], v[4:5], v[4:5] op_sel:[0,1]
	v_mul_f64 v[4:5], v[42:43], v[160:161]
	v_fmac_f64_e32 v[4:5], v[44:45], v[88:89]
	v_add_f64 v[2:3], v[2:3], v[4:5]
	v_mul_f64 v[4:5], v[156:157], v[94:95]
	v_fmac_f64_e32 v[4:5], v[158:159], v[98:99]
	v_add_f64 v[2:3], v[2:3], v[4:5]
	;; [unrolled: 3-line block ×14, first 2 shown]
	ds_read_b128 v[2:5], v226 offset:1264
	buffer_load_dword v229, off, s[0:3], 0 offset:572
	buffer_load_dword v228, off, s[0:3], 0 offset:568
	ds_read_b128 v[244:247], v226 offset:1296
	ds_read_b128 v[236:239], v226 offset:1312
	v_add_f64 v[10:11], v[6:7], v[8:9]
	s_waitcnt lgkmcnt(2)
	v_mul_f64 v[12:13], v[2:3], v[14:15]
	v_fmac_f64_e32 v[12:13], v[4:5], v[126:127]
	s_waitcnt lgkmcnt(1)
	v_mul_f64 v[134:135], v[244:245], v[128:129]
	ds_read_b128 v[126:129], v226 offset:1328
	ds_read_b128 v[122:125], v226 offset:1344
	v_add_f64 v[14:15], v[10:11], v[12:13]
	v_accvgpr_write_b32 a167, v5
	v_add_f64 v[132:133], v[14:15], v[16:17]
	v_fmac_f64_e32 v[134:135], v[246:247], v[152:153]
	s_waitcnt lgkmcnt(2)
	v_mul_f64 v[22:23], v[236:237], v[136:137]
	v_accvgpr_write_b32 a166, v4
	v_accvgpr_write_b32 a165, v3
	;; [unrolled: 1-line block ×3, first 2 shown]
	v_add_f64 v[4:5], v[132:133], v[134:135]
	v_fmac_f64_e32 v[22:23], v[238:239], v[138:139]
	v_add_f64 v[4:5], v[4:5], v[22:23]
	s_waitcnt lgkmcnt(1)
	v_mul_f64 v[22:23], v[126:127], v[154:155]
	ds_read_b128 v[26:29], v226 offset:1360
	v_fmac_f64_e32 v[22:23], v[128:129], v[162:163]
	buffer_load_dword v135, off, s[0:3], 0 offset:564
	buffer_load_dword v134, off, s[0:3], 0 offset:560
	v_add_f64 v[4:5], v[4:5], v[22:23]
	buffer_load_dword v22, off, s[0:3], 0 offset:600
	buffer_load_dword v132, off, s[0:3], 0 offset:592
	;; [unrolled: 1-line block ×4, first 2 shown]
	v_accvgpr_write_b32 a185, v163
	s_waitcnt lgkmcnt(1)
	v_mul_f64 v[60:61], v[122:123], v[142:143]
	buffer_load_dword v139, off, s[0:3], 0 offset:580
	buffer_load_dword v138, off, s[0:3], 0 offset:576
	;; [unrolled: 1-line block ×3, first 2 shown]
	v_accvgpr_write_b32 a184, v162
	v_fmac_f64_e32 v[60:61], v[124:125], v[150:151]
	v_fma_f64 v[162:163], v[30:31], v[84:85], -v[32:33]
	s_waitcnt vmcnt(21) lgkmcnt(0)
	v_mul_f64 v[30:31], v[26:27], v[0:1]
	buffer_load_dword v133, off, s[0:3], 0 offset:596
	v_add_f64 v[60:61], v[4:5], v[60:61]
	v_mul_f64 v[4:5], v[56:57], v[58:59]
	s_waitcnt vmcnt(20)
	v_fmac_f64_e32 v[30:31], v[28:29], v[232:233]
	v_fma_f64 v[86:87], v[54:55], v[86:87], -v[4:5]
	v_add_f64 v[54:55], v[60:61], v[30:31]
	ds_read_b128 v[30:33], v226 offset:1376
	ds_read_b128 v[34:37], v226 offset:1392
	;; [unrolled: 1-line block ×3, first 2 shown]
	buffer_load_dword v141, off, s[0:3], 0 offset:620
	buffer_load_dword v140, off, s[0:3], 0 offset:616
	;; [unrolled: 1-line block ×4, first 2 shown]
	v_fma_f64 v[14:15], v[50:51], v[148:149], -v[52:53]
	buffer_load_dword v147, off, s[0:3], 0 offset:636
	buffer_load_dword v146, off, s[0:3], 0 offset:632
	buffer_load_dword v149, off, s[0:3], 0 offset:628
	buffer_load_dword v148, off, s[0:3], 0 offset:624
	v_mul_f64 v[12:13], v[48:49], v[144:145]
	buffer_load_dword v145, off, s[0:3], 0 offset:668
	buffer_load_dword v144, off, s[0:3], 0 offset:664
	;; [unrolled: 1-line block ×8, first 2 shown]
	v_mul_f64 v[44:45], v[44:45], v[160:161]
	v_fma_f64 v[10:11], v[42:43], v[88:89], -v[44:45]
	v_mul_f64 v[42:43], v[158:159], v[94:95]
	v_fma_f64 v[94:95], v[156:157], v[98:99], -v[42:43]
	buffer_load_dword v157, off, s[0:3], 0 offset:684
	buffer_load_dword v156, off, s[0:3], 0 offset:680
	;; [unrolled: 1-line block ×8, first 2 shown]
	v_mul_f64 v[42:43], v[170:171], v[90:91]
	v_fma_f64 v[98:99], v[168:169], v[92:93], -v[42:43]
	v_mul_f64 v[42:43], v[174:175], v[164:165]
	v_fma_f64 v[8:9], v[172:173], v[166:167], -v[42:43]
	buffer_load_dword v165, off, s[0:3], 0 offset:732
	buffer_load_dword v167, off, s[0:3], 0 offset:716
	;; [unrolled: 1-line block ×12, first 2 shown]
	v_mul_f64 v[42:43], v[182:183], v[176:177]
	v_fma_f64 v[6:7], v[180:181], v[178:179], -v[42:43]
	v_mul_f64 v[42:43], v[202:203], v[252:253]
	s_waitcnt vmcnt(54) lgkmcnt(2)
	v_mul_f64 v[56:57], v[30:31], v[230:231]
	v_fma_f64 v[200:201], v[200:201], v[254:255], -v[42:43]
	buffer_load_dword v179, off, s[0:3], 0 offset:764
	buffer_load_dword v178, off, s[0:3], 0 offset:760
	;; [unrolled: 1-line block ×12, first 2 shown]
	ds_read_b128 v[42:45], v226 offset:1424
	s_waitcnt vmcnt(62)
	v_fmac_f64_e32 v[56:57], v[32:33], v[240:241]
	v_fma_f64 v[12:13], v[46:47], v[78:79], -v[12:13]
	v_mul_f64 v[46:47], v[206:207], v[102:103]
	v_add_f64 v[54:55], v[54:55], v[56:57]
	s_waitcnt lgkmcnt(2)
	v_mul_f64 v[56:57], v[34:35], v[234:235]
	v_fma_f64 v[206:207], v[204:205], v[104:105], -v[46:47]
	ds_read_b128 v[46:49], v226 offset:1440
	s_waitcnt vmcnt(60)
	v_fmac_f64_e32 v[56:57], v[36:37], v[242:243]
	v_mul_f64 v[50:51], v[210:211], v[196:197]
	v_add_f64 v[54:55], v[54:55], v[56:57]
	v_fma_f64 v[208:209], v[208:209], v[198:199], -v[50:51]
	ds_read_b128 v[50:53], v226 offset:1456
	v_mul_f64 v[58:59], v[214:215], v[188:189]
	v_fma_f64 v[214:215], v[212:213], v[190:191], -v[58:59]
	ds_read_b128 v[58:61], v226 offset:1488
	v_fma_f64 v[212:213], v[216:217], v[194:195], -v[68:69]
	s_waitcnt vmcnt(58) lgkmcnt(4)
	v_mul_f64 v[16:17], v[38:39], v[228:229]
	ds_read_b128 v[216:219], v226 offset:1504
	v_mul_f64 v[78:79], v[222:223], v[114:115]
	v_fma_f64 v[188:189], v[220:221], v[116:117], -v[78:79]
	ds_read_b128 v[220:223], v226 offset:1536
	v_mul_f64 v[64:65], v[64:65], v[106:107]
	ds_read_b128 v[82:85], v226 offset:1584
	ds_read_b128 v[90:93], v226 offset:1600
	v_fma_f64 v[2:3], v[62:63], v[110:111], -v[64:65]
	v_mul_f64 v[64:65], v[72:73], v[108:109]
	v_fma_f64 v[64:65], v[70:71], v[112:113], -v[64:65]
	v_accvgpr_write_b32 a191, v65
	v_mul_f64 v[70:71], v[76:77], v[96:97]
	v_accvgpr_write_b32 a190, v64
	v_fma_f64 v[96:97], v[74:75], v[100:101], -v[70:71]
	v_add_f64 v[24:25], v[24:25], v[86:87]
	v_add_f64 v[24:25], v[24:25], v[162:163]
	;; [unrolled: 1-line block ×4, first 2 shown]
	ds_read_b128 v[70:73], v226 offset:1632
	v_add_f64 v[14:15], v[18:19], v[14:15]
	v_add_f64 v[12:13], v[14:15], v[12:13]
	;; [unrolled: 1-line block ×3, first 2 shown]
	s_waitcnt vmcnt(56)
	v_fmac_f64_e32 v[16:17], v[40:41], v[134:135]
	v_add_f64 v[16:17], v[54:55], v[16:17]
	s_waitcnt vmcnt(52) lgkmcnt(8)
	v_mul_f64 v[54:55], v[42:43], v[136:137]
	v_add_f64 v[10:11], v[10:11], v[94:95]
	s_waitcnt vmcnt(50)
	v_fmac_f64_e32 v[54:55], v[44:45], v[138:139]
	v_add_f64 v[16:17], v[16:17], v[54:55]
	s_waitcnt vmcnt(49) lgkmcnt(7)
	v_mul_f64 v[54:55], v[46:47], v[22:23]
	v_add_f64 v[10:11], v[10:11], v[98:99]
	v_add_f64 v[8:9], v[10:11], v[8:9]
	;; [unrolled: 1-line block ×3, first 2 shown]
	s_waitcnt vmcnt(48)
	v_fmac_f64_e32 v[54:55], v[48:49], v[132:133]
	v_add_f64 v[16:17], v[16:17], v[54:55]
	v_add_f64 v[6:7], v[6:7], v[200:201]
	;; [unrolled: 1-line block ×6, first 2 shown]
	s_waitcnt vmcnt(46) lgkmcnt(6)
	v_mul_f64 v[54:55], v[50:51], v[140:141]
	v_add_f64 v[6:7], v[6:7], v[188:189]
	s_waitcnt vmcnt(44)
	v_fmac_f64_e32 v[54:55], v[52:53], v[142:143]
	v_add_f64 v[16:17], v[16:17], v[54:55]
	ds_read_b128 v[54:57], v226 offset:1472
	s_waitcnt vmcnt(42) lgkmcnt(0)
	v_mul_f64 v[66:67], v[54:55], v[146:147]
	s_waitcnt vmcnt(40)
	v_fmac_f64_e32 v[66:67], v[56:57], v[148:149]
	v_add_f64 v[16:17], v[16:17], v[66:67]
	s_waitcnt vmcnt(36)
	v_mul_f64 v[66:67], v[58:59], v[152:153]
	s_waitcnt vmcnt(34)
	v_fmac_f64_e32 v[66:67], v[60:61], v[154:155]
	v_add_f64 v[16:17], v[16:17], v[66:67]
	v_mul_f64 v[66:67], v[216:217], v[144:145]
	s_waitcnt vmcnt(32)
	v_fmac_f64_e32 v[66:67], v[218:219], v[150:151]
	v_add_f64 v[16:17], v[16:17], v[66:67]
	ds_read_b128 v[66:69], v226 offset:1520
	s_waitcnt vmcnt(10)
	v_mul_f64 v[74:75], v[90:91], v[178:179]
	s_waitcnt vmcnt(8)
	v_fmac_f64_e32 v[74:75], v[92:93], v[180:181]
	s_waitcnt lgkmcnt(0)
	v_mul_f64 v[78:79], v[66:67], v[156:157]
	v_fmac_f64_e32 v[78:79], v[68:69], v[88:89]
	v_add_f64 v[16:17], v[16:17], v[78:79]
	v_mul_f64 v[78:79], v[120:121], v[184:185]
	v_fma_f64 v[4:5], v[118:119], v[186:187], -v[78:79]
	ds_read_b128 v[118:121], v226 offset:1552
	v_mul_f64 v[78:79], v[220:221], v[158:159]
	v_fmac_f64_e32 v[78:79], v[222:223], v[160:161]
	v_add_f64 v[16:17], v[16:17], v[78:79]
	ds_read_b128 v[78:81], v226 offset:1568
	s_waitcnt lgkmcnt(1)
	v_mul_f64 v[62:63], v[118:119], v[166:167]
	v_fmac_f64_e32 v[62:63], v[120:121], v[172:173]
	v_add_f64 v[16:17], v[16:17], v[62:63]
	v_add_f64 v[4:5], v[6:7], v[4:5]
	s_waitcnt lgkmcnt(0)
	v_mul_f64 v[62:63], v[78:79], v[164:165]
	v_fmac_f64_e32 v[62:63], v[80:81], v[170:171]
	v_add_f64 v[16:17], v[16:17], v[62:63]
	v_mul_f64 v[62:63], v[82:83], v[168:169]
	v_fmac_f64_e32 v[62:63], v[84:85], v[174:175]
	v_add_f64 v[16:17], v[16:17], v[62:63]
	ds_read_b128 v[62:65], v226 offset:1616
	buffer_load_dword v185, off, s[0:3], 0 offset:812
	buffer_load_dword v184, off, s[0:3], 0 offset:808
	;; [unrolled: 1-line block ×4, first 2 shown]
	v_add_f64 v[16:17], v[16:17], v[74:75]
	v_accvgpr_read_b32 v6, a164
	v_add_f64 v[214:215], v[4:5], v[2:3]
	s_waitcnt vmcnt(9) lgkmcnt(0)
	v_mul_f64 v[74:75], v[62:63], v[254:255]
	s_waitcnt vmcnt(7)
	v_fmac_f64_e32 v[74:75], v[64:65], v[182:183]
	v_add_f64 v[16:17], v[16:17], v[74:75]
	s_waitcnt vmcnt(5)
	v_mul_f64 v[74:75], v[70:71], v[176:177]
	s_waitcnt vmcnt(4)
	v_fmac_f64_e32 v[74:75], v[72:73], v[252:253]
	v_add_f64 v[16:17], v[16:17], v[74:75]
	ds_read_b128 v[74:77], v226 offset:1648
	v_accvgpr_read_b32 v2, a190
	v_accvgpr_read_b32 v8, a166
	;; [unrolled: 1-line block ×4, first 2 shown]
	v_mul_f64 v[4:5], v[8:9], v[224:225]
	v_accvgpr_read_b32 v8, a168
	v_add_f64 v[2:3], v[214:215], v[2:3]
	v_accvgpr_read_b32 v7, a165
	v_accvgpr_read_b32 v9, a169
	v_add_f64 v[2:3], v[2:3], v[96:97]
	v_fma_f64 v[4:5], v[6:7], v[8:9], -v[4:5]
	v_add_f64 v[2:3], v[2:3], v[4:5]
	v_accvgpr_read_b32 v4, a170
	v_accvgpr_read_b32 v5, a171
	v_accvgpr_read_b32 v6, a172
	v_mul_f64 v[4:5], v[250:251], v[4:5]
	v_accvgpr_read_b32 v7, a173
	v_fma_f64 v[4:5], v[248:249], v[6:7], -v[4:5]
	v_add_f64 v[2:3], v[2:3], v[4:5]
	v_accvgpr_read_b32 v4, a174
	v_accvgpr_read_b32 v5, a175
	v_accvgpr_read_b32 v6, a176
	v_mul_f64 v[4:5], v[246:247], v[4:5]
	v_accvgpr_read_b32 v7, a177
	;; [unrolled: 7-line block ×5, first 2 shown]
	v_fma_f64 v[4:5], v[122:123], v[6:7], -v[4:5]
	v_add_f64 v[2:3], v[2:3], v[4:5]
	v_mul_f64 v[4:5], v[28:29], v[0:1]
	v_fma_f64 v[4:5], v[26:27], v[232:233], -v[4:5]
	v_add_f64 v[2:3], v[2:3], v[4:5]
	v_mul_f64 v[4:5], v[32:33], v[230:231]
	;; [unrolled: 3-line block ×7, first 2 shown]
	v_fma_f64 v[4:5], v[50:51], v[142:143], -v[4:5]
	s_waitcnt vmcnt(2) lgkmcnt(0)
	v_mul_f64 v[100:101], v[74:75], v[184:185]
	v_add_f64 v[2:3], v[2:3], v[4:5]
	s_waitcnt vmcnt(0)
	v_fmac_f64_e32 v[100:101], v[76:77], v[186:187]
	v_add_f64 v[16:17], v[16:17], v[100:101]
	buffer_load_dword v100, off, s[0:3], 0 offset:824
	buffer_load_dword v101, off, s[0:3], 0 offset:828
	;; [unrolled: 1-line block ×4, first 2 shown]
	ds_read_b128 v[102:105], v226 offset:1664
	buffer_load_dword v193, off, s[0:3], 0 offset:844
	buffer_load_dword v192, off, s[0:3], 0 offset:840
	;; [unrolled: 1-line block ×4, first 2 shown]
	v_mul_f64 v[4:5], v[56:57], v[146:147]
	v_fma_f64 v[4:5], v[54:55], v[148:149], -v[4:5]
	v_add_f64 v[2:3], v[2:3], v[4:5]
	v_mul_f64 v[4:5], v[60:61], v[152:153]
	v_fma_f64 v[4:5], v[58:59], v[154:155], -v[4:5]
	v_add_f64 v[2:3], v[2:3], v[4:5]
	;; [unrolled: 3-line block ×12, first 2 shown]
	v_accvgpr_read_b32 v233, a162
	v_cmp_ne_u32_e32 vcc, 0, v233
	s_waitcnt vmcnt(6) lgkmcnt(0)
	v_mul_f64 v[106:107], v[102:103], v[100:101]
	v_mul_f64 v[4:5], v[104:105], v[100:101]
	s_waitcnt vmcnt(4)
	v_fmac_f64_e32 v[106:107], v[104:105], v[190:191]
	v_add_f64 v[16:17], v[16:17], v[106:107]
	ds_read_b128 v[106:109], v226 offset:1680
	buffer_load_dword v196, off, s[0:3], 0 offset:856
	buffer_load_dword v197, off, s[0:3], 0 offset:860
	;; [unrolled: 1-line block ×4, first 2 shown]
	v_fma_f64 v[4:5], v[102:103], v[190:191], -v[4:5]
	v_add_f64 v[2:3], v[2:3], v[4:5]
	s_waitcnt vmcnt(6) lgkmcnt(0)
	v_mul_f64 v[110:111], v[106:107], v[192:193]
	s_waitcnt vmcnt(4)
	v_fmac_f64_e32 v[110:111], v[108:109], v[194:195]
	v_add_f64 v[16:17], v[16:17], v[110:111]
	ds_read_b128 v[110:113], v226 offset:1696
	buffer_load_dword v203, off, s[0:3], 0 offset:876
	buffer_load_dword v202, off, s[0:3], 0 offset:872
	;; [unrolled: 1-line block ×4, first 2 shown]
	v_mul_f64 v[4:5], v[108:109], v[192:193]
	v_fma_f64 v[4:5], v[106:107], v[194:195], -v[4:5]
	v_add_f64 v[2:3], v[2:3], v[4:5]
	s_waitcnt vmcnt(6) lgkmcnt(0)
	v_mul_f64 v[114:115], v[110:111], v[196:197]
	v_mul_f64 v[4:5], v[112:113], v[196:197]
	s_waitcnt vmcnt(4)
	v_fmac_f64_e32 v[114:115], v[112:113], v[198:199]
	v_add_f64 v[16:17], v[16:17], v[114:115]
	ds_read_b128 v[114:117], v226 offset:1712
	buffer_load_dword v208, off, s[0:3], 0 offset:32
	buffer_load_dword v209, off, s[0:3], 0 offset:36
	;; [unrolled: 1-line block ×4, first 2 shown]
	v_fma_f64 v[4:5], v[110:111], v[198:199], -v[4:5]
	v_add_f64 v[2:3], v[2:3], v[4:5]
	s_waitcnt vmcnt(6) lgkmcnt(0)
	v_mul_f64 v[4:5], v[116:117], v[202:203]
	v_mul_f64 v[210:211], v[114:115], v[202:203]
	s_waitcnt vmcnt(4)
	v_fma_f64 v[4:5], v[114:115], v[204:205], -v[4:5]
	v_fmac_f64_e32 v[210:211], v[116:117], v[204:205]
	v_add_f64 v[2:3], v[2:3], v[4:5]
	v_add_f64 v[16:17], v[16:17], v[210:211]
	s_waitcnt vmcnt(2)
	v_add_f64 v[2:3], v[208:209], -v[2:3]
	s_waitcnt vmcnt(0)
	v_add_f64 v[4:5], v[206:207], -v[16:17]
	buffer_store_dword v3, off, s[0:3], 0 offset:36
	buffer_store_dword v2, off, s[0:3], 0 offset:32
	;; [unrolled: 1-line block ×4, first 2 shown]
	s_and_saveexec_b64 s[4:5], vcc
	s_cbranch_execz .LBB117_337
; %bb.336:
	buffer_load_dword v0, off, s[0:3], 0 offset:16
	buffer_load_dword v1, off, s[0:3], 0 offset:20
	;; [unrolled: 1-line block ×4, first 2 shown]
	v_mov_b32_e32 v4, 0
	v_accvgpr_read_b32 v5, a161
	buffer_store_dword v4, off, s[0:3], 0 offset:16
	buffer_store_dword v4, off, s[0:3], 0 offset:20
	;; [unrolled: 1-line block ×4, first 2 shown]
	s_waitcnt vmcnt(4)
	ds_write_b128 v5, v[0:3]
.LBB117_337:
	s_or_b64 exec, exec, s[4:5]
	s_waitcnt lgkmcnt(0)
	; wave barrier
	s_waitcnt lgkmcnt(0)
	buffer_load_dword v16, off, s[0:3], 0 offset:32
	buffer_load_dword v17, off, s[0:3], 0 offset:36
	buffer_load_dword v14, off, s[0:3], 0 offset:40
	buffer_load_dword v15, off, s[0:3], 0 offset:44
	buffer_load_dword v20, off, s[0:3], 0 offset:48
	buffer_load_dword v21, off, s[0:3], 0 offset:52
	buffer_load_dword v22, off, s[0:3], 0 offset:56
	buffer_load_dword v23, off, s[0:3], 0 offset:60
	buffer_load_dword v234, off, s[0:3], 0 offset:72
	buffer_load_dword v235, off, s[0:3], 0 offset:76
	buffer_load_dword v231, off, s[0:3], 0 offset:108
	buffer_load_dword v230, off, s[0:3], 0 offset:104
	buffer_load_dword v227, off, s[0:3], 0 offset:100
	buffer_load_dword v226, off, s[0:3], 0 offset:96
	buffer_load_dword v27, off, s[0:3], 0 offset:92
	buffer_load_dword v26, off, s[0:3], 0 offset:88
	buffer_load_dword v37, off, s[0:3], 0 offset:140
	buffer_load_dword v36, off, s[0:3], 0 offset:136
	buffer_load_dword v39, off, s[0:3], 0 offset:132
	buffer_load_dword v38, off, s[0:3], 0 offset:128
	buffer_load_dword v47, off, s[0:3], 0 offset:124
	buffer_load_dword v46, off, s[0:3], 0 offset:120
	buffer_load_dword v41, off, s[0:3], 0 offset:156
	buffer_load_dword v40, off, s[0:3], 0 offset:152
	buffer_load_dword v240, off, s[0:3], 0 offset:64
	buffer_load_dword v241, off, s[0:3], 0 offset:68
	buffer_load_dword v33, off, s[0:3], 0 offset:84
	buffer_load_dword v32, off, s[0:3], 0 offset:80
	buffer_load_dword v49, off, s[0:3], 0 offset:116
	buffer_load_dword v48, off, s[0:3], 0 offset:112
	buffer_load_dword v45, off, s[0:3], 0 offset:148
	buffer_load_dword v44, off, s[0:3], 0 offset:144
	buffer_load_dword v42, off, s[0:3], 0 offset:168
	buffer_load_dword v50, off, s[0:3], 0 offset:160
	buffer_load_dword v51, off, s[0:3], 0 offset:164
	buffer_load_dword v43, off, s[0:3], 0 offset:172
	v_mov_b32_e32 v112, 0
	buffer_load_dword v53, off, s[0:3], 0 offset:204
	buffer_load_dword v52, off, s[0:3], 0 offset:200
	;; [unrolled: 1-line block ×18, first 2 shown]
	ds_read_b128 v[236:239], v112 offset:880
	ds_read_b128 v[108:111], v112 offset:896
	;; [unrolled: 1-line block ×9, first 2 shown]
	s_and_b64 vcc, exec, s[16:17]
	s_waitcnt vmcnt(50) lgkmcnt(8)
	v_mul_f64 v[0:1], v[236:237], v[14:15]
	v_fmac_f64_e32 v[0:1], v[238:239], v[16:17]
	v_add_f64 v[0:1], v[0:1], 0
	v_mul_f64 v[14:15], v[238:239], v[14:15]
	s_waitcnt vmcnt(46) lgkmcnt(7)
	v_mul_f64 v[2:3], v[108:109], v[22:23]
	v_fmac_f64_e32 v[2:3], v[110:111], v[20:21]
	s_waitcnt vmcnt(44) lgkmcnt(6)
	v_mul_f64 v[4:5], v[124:125], v[234:235]
	v_add_f64 v[0:1], v[0:1], v[2:3]
	s_waitcnt vmcnt(42) lgkmcnt(4)
	v_mul_f64 v[8:9], v[132:133], v[230:231]
	v_mul_f64 v[22:23], v[110:111], v[22:23]
	s_waitcnt vmcnt(40)
	v_fmac_f64_e32 v[8:9], v[134:135], v[226:227]
	s_waitcnt vmcnt(38)
	v_mul_f64 v[6:7], v[128:129], v[26:27]
	v_mul_f64 v[26:27], v[130:131], v[26:27]
	s_waitcnt vmcnt(36) lgkmcnt(2)
	v_mul_f64 v[66:67], v[140:141], v[36:37]
	v_mul_f64 v[36:37], v[142:143], v[36:37]
	s_waitcnt vmcnt(34)
	v_fmac_f64_e32 v[66:67], v[142:143], v[38:39]
	v_fma_f64 v[110:111], v[140:141], v[38:39], -v[36:37]
	s_waitcnt vmcnt(32)
	v_mul_f64 v[10:11], v[136:137], v[46:47]
	v_mul_f64 v[46:47], v[138:139], v[46:47]
	s_waitcnt vmcnt(30) lgkmcnt(1)
	v_mul_f64 v[114:115], v[144:145], v[40:41]
	v_mul_f64 v[40:41], v[146:147], v[40:41]
	s_waitcnt vmcnt(28)
	v_fmac_f64_e32 v[4:5], v[126:127], v[240:241]
	v_add_f64 v[0:1], v[0:1], v[4:5]
	s_waitcnt vmcnt(26)
	v_fmac_f64_e32 v[6:7], v[130:131], v[32:33]
	v_add_f64 v[0:1], v[0:1], v[6:7]
	;; [unrolled: 3-line block ×3, first 2 shown]
	v_add_f64 v[0:1], v[0:1], v[10:11]
	v_add_f64 v[0:1], v[0:1], v[66:67]
	buffer_load_dword v107, off, s[0:3], 0 offset:260
	buffer_load_dword v106, off, s[0:3], 0 offset:256
	;; [unrolled: 1-line block ×40, first 2 shown]
	s_waitcnt vmcnt(62)
	v_fmac_f64_e32 v[114:115], v[146:147], v[44:45]
	v_add_f64 v[0:1], v[0:1], v[114:115]
	s_waitcnt vmcnt(0)
	v_pk_mov_b32 v[122:123], v[2:3], v[2:3] op_sel:[0,1]
	buffer_load_dword v3, off, s[0:3], 0 offset:420
	buffer_load_dword v2, off, s[0:3], 0 offset:416
	v_accvgpr_write_b32 a167, v123
	v_accvgpr_write_b32 a166, v122
	s_waitcnt vmcnt(0)
	v_pk_mov_b32 v[118:119], v[2:3], v[2:3] op_sel:[0,1]
	buffer_load_dword v93, off, s[0:3], 0 offset:412
	buffer_load_dword v92, off, s[0:3], 0 offset:408
	;; [unrolled: 1-line block ×6, first 2 shown]
	v_accvgpr_write_b32 a169, v119
	v_accvgpr_write_b32 a168, v118
	s_waitcnt vmcnt(0)
	v_pk_mov_b32 v[120:121], v[2:3], v[2:3] op_sel:[0,1]
	buffer_load_dword v3, off, s[0:3], 0 offset:452
	buffer_load_dword v2, off, s[0:3], 0 offset:448
	v_accvgpr_write_b32 a175, v121
	v_accvgpr_write_b32 a174, v120
	s_waitcnt vmcnt(0)
	v_pk_mov_b32 v[228:229], v[2:3], v[2:3] op_sel:[0,1]
	buffer_load_dword v3, off, s[0:3], 0 offset:444
	buffer_load_dword v2, off, s[0:3], 0 offset:440
	s_waitcnt vmcnt(0)
	v_pk_mov_b32 v[218:219], v[2:3], v[2:3] op_sel:[0,1]
	buffer_load_dword v3, off, s[0:3], 0 offset:436
	buffer_load_dword v2, off, s[0:3], 0 offset:432
	v_accvgpr_write_b32 a170, v218
	v_accvgpr_write_b32 a171, v219
	s_waitcnt vmcnt(0)
	v_pk_mov_b32 v[220:221], v[2:3], v[2:3] op_sel:[0,1]
	buffer_load_dword v3, off, s[0:3], 0 offset:492
	buffer_load_dword v2, off, s[0:3], 0 offset:488
	v_accvgpr_write_b32 a172, v220
	v_accvgpr_write_b32 a173, v221
	;; [unrolled: 6-line block ×3, first 2 shown]
	s_waitcnt vmcnt(0)
	v_pk_mov_b32 v[224:225], v[2:3], v[2:3] op_sel:[0,1]
	buffer_load_dword v3, off, s[0:3], 0 offset:476
	buffer_load_dword v2, off, s[0:3], 0 offset:472
	;; [unrolled: 1-line block ×4, first 2 shown]
	ds_read_b128 v[152:155], v112 offset:1024
	ds_read_b128 v[156:159], v112 offset:1040
	;; [unrolled: 1-line block ×8, first 2 shown]
	buffer_load_dword v161, off, s[0:3], 0 offset:508
	buffer_load_dword v160, off, s[0:3], 0 offset:504
	buffer_load_dword v117, off, s[0:3], 0 offset:500
	buffer_load_dword v116, off, s[0:3], 0 offset:496
	ds_read_b128 v[190:193], v112 offset:1152
	buffer_load_dword v35, off, s[0:3], 0 offset:524
	buffer_load_dword v34, off, s[0:3], 0 offset:520
	;; [unrolled: 1-line block ×12, first 2 shown]
	ds_read_b128 v[194:197], v112 offset:1168
	ds_read_b128 v[198:201], v112 offset:1184
	;; [unrolled: 1-line block ×8, first 2 shown]
	v_accvgpr_write_b32 a182, v224
	v_accvgpr_write_b32 a183, v225
	s_waitcnt lgkmcnt(2)
	v_mul_f64 v[6:7], v[214:215], v[92:93]
	v_fmac_f64_e32 v[6:7], v[216:217], v[94:95]
	v_mul_f64 v[92:93], v[216:217], v[92:93]
	ds_read_b128 v[248:251], v112 offset:1280
	s_waitcnt vmcnt(18)
	v_pk_mov_b32 v[246:247], v[2:3], v[2:3] op_sel:[0,1]
	v_mul_f64 v[2:3], v[148:149], v[42:43]
	v_fmac_f64_e32 v[2:3], v[150:151], v[50:51]
	v_add_f64 v[0:1], v[0:1], v[2:3]
	v_mul_f64 v[2:3], v[152:153], v[56:57]
	v_fmac_f64_e32 v[2:3], v[154:155], v[58:59]
	v_add_f64 v[0:1], v[0:1], v[2:3]
	;; [unrolled: 3-line block ×15, first 2 shown]
	ds_read_b128 v[0:3], v112 offset:1264
	v_add_f64 v[8:9], v[4:5], v[6:7]
	v_accvgpr_write_b32 a176, v246
	v_accvgpr_write_b32 a177, v247
	s_waitcnt vmcnt(16)
	v_accvgpr_write_b32 a179, v25
	s_waitcnt lgkmcnt(0)
	v_mul_f64 v[10:11], v[0:1], v[122:123]
	v_fmac_f64_e32 v[10:11], v[2:3], v[118:119]
	v_mul_f64 v[122:123], v[248:249], v[218:219]
	v_fma_f64 v[218:219], v[236:237], v[16:17], -v[14:15]
	ds_read_b128 v[236:239], v112 offset:1328
	v_add_f64 v[114:115], v[8:9], v[10:11]
	v_fmac_f64_e32 v[122:123], v[250:251], v[220:221]
	v_add_f64 v[114:115], v[114:115], v[122:123]
	v_mul_f64 v[16:17], v[252:253], v[120:121]
	v_fma_f64 v[220:221], v[108:109], v[20:21], -v[22:23]
	v_mul_f64 v[20:21], v[242:243], v[246:247]
	buffer_load_dword v247, off, s[0:3], 0 offset:572
	buffer_load_dword v246, off, s[0:3], 0 offset:568
	ds_read_b128 v[120:123], v112 offset:1344
	v_fmac_f64_e32 v[20:21], v[244:245], v[24:25]
	v_accvgpr_write_b32 a178, v24
	v_mul_f64 v[24:25], v[126:127], v[234:235]
	s_waitcnt lgkmcnt(1)
	v_mul_f64 v[22:23], v[236:237], v[222:223]
	v_fma_f64 v[222:223], v[124:125], v[240:241], -v[24:25]
	buffer_load_dword v240, off, s[0:3], 0 offset:584
	buffer_load_dword v235, off, s[0:3], 0 offset:564
	;; [unrolled: 1-line block ×3, first 2 shown]
	ds_read_b128 v[124:127], v112 offset:1360
	v_fmac_f64_e32 v[16:17], v[254:255], v[228:229]
	v_add_f64 v[114:115], v[114:115], v[16:17]
	s_waitcnt vmcnt(19) lgkmcnt(1)
	v_mul_f64 v[24:25], v[120:121], v[160:161]
	s_waitcnt vmcnt(17)
	v_accvgpr_write_b32 a187, v117
	v_add_f64 v[20:21], v[114:115], v[20:21]
	v_fmac_f64_e32 v[22:23], v[238:239], v[224:225]
	v_fmac_f64_e32 v[24:25], v[122:123], v[116:117]
	v_accvgpr_write_b32 a186, v116
	ds_read_b128 v[116:119], v112 offset:1376
	v_accvgpr_write_b32 a165, v3
	v_add_f64 v[108:109], v[20:21], v[22:23]
	v_fma_f64 v[224:225], v[128:129], v[32:33], -v[26:27]
	v_mul_f64 v[32:33], v[134:135], v[230:231]
	v_accvgpr_write_b32 a164, v2
	v_accvgpr_write_b32 a163, v1
	;; [unrolled: 1-line block ×3, first 2 shown]
	v_add_f64 v[108:109], v[108:109], v[24:25]
	v_fma_f64 v[24:25], v[132:133], v[226:227], -v[32:33]
	s_waitcnt vmcnt(15) lgkmcnt(1)
	v_mul_f64 v[2:3], v[124:125], v[34:35]
	v_pk_mov_b32 v[230:231], v[34:35], v[34:35] op_sel:[0,1]
	ds_read_b128 v[32:35], v112 offset:1392
	s_waitcnt vmcnt(13)
	v_fmac_f64_e32 v[2:3], v[126:127], v[30:31]
	v_add_f64 v[2:3], v[108:109], v[2:3]
	s_waitcnt vmcnt(10) lgkmcnt(1)
	v_mul_f64 v[108:109], v[116:117], v[18:19]
	buffer_load_dword v128, off, s[0:3], 0 offset:576
	buffer_load_dword v241, off, s[0:3], 0 offset:588
	;; [unrolled: 1-line block ×3, first 2 shown]
	s_waitcnt vmcnt(11)
	v_fmac_f64_e32 v[108:109], v[118:119], v[12:13]
	v_add_f64 v[2:3], v[2:3], v[108:109]
	s_waitcnt vmcnt(10) lgkmcnt(0)
	v_mul_f64 v[108:109], v[32:33], v[28:29]
	s_waitcnt vmcnt(8)
	v_fmac_f64_e32 v[108:109], v[34:35], v[232:233]
	v_add_f64 v[2:3], v[2:3], v[108:109]
	v_fma_f64 v[108:109], v[136:137], v[48:49], -v[46:47]
	buffer_load_dword v131, off, s[0:3], 0 offset:620
	buffer_load_dword v133, off, s[0:3], 0 offset:604
	;; [unrolled: 1-line block ×8, first 2 shown]
	ds_read_b128 v[36:39], v112 offset:1408
	buffer_load_dword v135, off, s[0:3], 0 offset:652
	buffer_load_dword v141, off, s[0:3], 0 offset:636
	;; [unrolled: 1-line block ×6, first 2 shown]
	v_mul_f64 v[6:7], v[150:151], v[42:43]
	v_pk_mov_b32 v[226:227], v[18:19], v[18:19] op_sel:[0,1]
	v_fma_f64 v[20:21], v[144:145], v[44:45], -v[40:41]
	v_fma_f64 v[18:19], v[148:149], v[50:51], -v[6:7]
	buffer_load_dword v147, off, s[0:3], 0 offset:644
	buffer_load_dword v146, off, s[0:3], 0 offset:640
	buffer_load_dword v145, off, s[0:3], 0 offset:668
	buffer_load_dword v144, off, s[0:3], 0 offset:664
	buffer_load_dword v149, off, s[0:3], 0 offset:660
	buffer_load_dword v148, off, s[0:3], 0 offset:656
	v_mul_f64 v[40:41], v[154:155], v[56:57]
	v_fma_f64 v[16:17], v[152:153], v[58:59], -v[40:41]
	buffer_load_dword v150, off, s[0:3], 0 offset:680
	buffer_load_dword v152, off, s[0:3], 0 offset:672
	;; [unrolled: 1-line block ×4, first 2 shown]
	v_accvgpr_write_b32 a185, v161
	v_accvgpr_write_b32 a189, v31
	v_mul_f64 v[10:11], v[158:159], v[52:53]
	v_accvgpr_write_b32 a184, v160
	v_accvgpr_write_b32 a188, v30
	v_pk_mov_b32 v[30:31], v[12:13], v[12:13] op_sel:[0,1]
	v_fma_f64 v[12:13], v[156:157], v[54:55], -v[10:11]
	buffer_load_dword v155, off, s[0:3], 0 offset:716
	buffer_load_dword v157, off, s[0:3], 0 offset:700
	;; [unrolled: 1-line block ×8, first 2 shown]
	v_mul_f64 v[40:41], v[164:165], v[98:99]
	v_fma_f64 v[10:11], v[162:163], v[78:79], -v[40:41]
	v_mul_f64 v[40:41], v[168:169], v[62:63]
	buffer_load_dword v163, off, s[0:3], 0 offset:732
	buffer_load_dword v162, off, s[0:3], 0 offset:728
	;; [unrolled: 1-line block ×4, first 2 shown]
	v_fma_f64 v[8:9], v[166:167], v[64:65], -v[40:41]
	v_mul_f64 v[40:41], v[172:173], v[178:179]
	v_fma_f64 v[6:7], v[170:171], v[180:181], -v[40:41]
	buffer_load_dword v169, off, s[0:3], 0 offset:748
	buffer_load_dword v168, off, s[0:3], 0 offset:744
	;; [unrolled: 1-line block ×4, first 2 shown]
	v_mul_f64 v[40:41], v[176:177], v[60:61]
	v_fma_f64 v[4:5], v[174:175], v[106:107], -v[40:41]
	buffer_load_dword v166, off, s[0:3], 0 offset:776
	buffer_load_dword v175, off, s[0:3], 0 offset:764
	;; [unrolled: 1-line block ×12, first 2 shown]
	ds_read_b128 v[40:43], v112 offset:1424
	ds_read_b128 v[44:47], v112 offset:1440
	v_mul_f64 v[48:49], v[188:189], v[88:89]
	ds_read_b128 v[52:55], v112 offset:1472
	ds_read_b128 v[56:59], v112 offset:1488
	v_mul_f64 v[60:61], v[196:197], v[66:67]
	v_fma_f64 v[0:1], v[194:195], v[70:71], -v[60:61]
	ds_read_b128 v[60:63], v112 offset:1504
	v_mul_f64 v[72:73], v[204:205], v[72:73]
	v_fma_f64 v[204:205], v[202:203], v[74:75], -v[72:73]
	s_waitcnt vmcnt(58) lgkmcnt(5)
	v_mul_f64 v[14:15], v[36:37], v[246:247]
	ds_read_b128 v[72:75], v112 offset:1552
	v_mul_f64 v[80:81], v[208:209], v[80:81]
	v_fma_f64 v[206:207], v[206:207], v[82:83], -v[80:81]
	ds_read_b128 v[80:83], v112 offset:1584
	v_mul_f64 v[84:85], v[212:213], v[84:85]
	v_fma_f64 v[208:209], v[210:211], v[86:87], -v[84:85]
	s_waitcnt vmcnt(55)
	v_fmac_f64_e32 v[14:15], v[38:39], v[234:235]
	v_add_f64 v[2:3], v[2:3], v[14:15]
	v_mul_f64 v[14:15], v[184:185], v[102:103]
	v_fma_f64 v[14:15], v[182:183], v[104:105], -v[14:15]
	v_fma_f64 v[182:183], v[186:187], v[96:97], -v[48:49]
	ds_read_b128 v[48:51], v112 offset:1456
	ds_read_b128 v[84:87], v112 offset:1600
	v_fma_f64 v[210:211], v[214:215], v[94:95], -v[92:93]
	ds_read_b128 v[92:95], v112 offset:1632
	s_waitcnt vmcnt(53) lgkmcnt(9)
	v_mul_f64 v[22:23], v[40:41], v[240:241]
	s_waitcnt vmcnt(52)
	v_fmac_f64_e32 v[22:23], v[42:43], v[128:129]
	v_add_f64 v[2:3], v[2:3], v[22:23]
	s_waitcnt vmcnt(49) lgkmcnt(8)
	v_mul_f64 v[22:23], v[44:45], v[132:133]
	s_waitcnt vmcnt(47)
	v_fmac_f64_e32 v[22:23], v[46:47], v[138:139]
	v_add_f64 v[2:3], v[2:3], v[22:23]
	s_waitcnt vmcnt(46) lgkmcnt(2)
	v_mul_f64 v[22:23], v[48:49], v[130:131]
	s_waitcnt vmcnt(44)
	v_fmac_f64_e32 v[22:23], v[50:51], v[136:137]
	s_waitcnt vmcnt(41)
	v_mul_f64 v[64:65], v[52:53], v[140:141]
	v_add_f64 v[2:3], v[2:3], v[22:23]
	s_waitcnt vmcnt(39)
	v_fmac_f64_e32 v[64:65], v[54:55], v[142:143]
	s_waitcnt vmcnt(38)
	v_mul_f64 v[26:27], v[56:57], v[134:135]
	v_add_f64 v[2:3], v[2:3], v[64:65]
	s_waitcnt vmcnt(36)
	v_fmac_f64_e32 v[26:27], v[58:59], v[146:147]
	v_add_f64 v[2:3], v[2:3], v[26:27]
	s_waitcnt vmcnt(34)
	v_mul_f64 v[26:27], v[60:61], v[144:145]
	ds_read_b128 v[64:67], v112 offset:1520
	s_waitcnt vmcnt(32)
	v_fmac_f64_e32 v[26:27], v[62:63], v[148:149]
	v_add_f64 v[2:3], v[2:3], v[26:27]
	v_mul_f64 v[26:27], v[200:201], v[68:69]
	ds_read_b128 v[68:71], v112 offset:1536
	v_fma_f64 v[26:27], v[198:199], v[76:77], -v[26:27]
	s_waitcnt vmcnt(29) lgkmcnt(1)
	v_mul_f64 v[76:77], v[64:65], v[150:151]
	s_waitcnt vmcnt(28)
	v_fmac_f64_e32 v[76:77], v[66:67], v[152:153]
	v_add_f64 v[2:3], v[2:3], v[76:77]
	s_waitcnt vmcnt(25) lgkmcnt(0)
	v_mul_f64 v[76:77], v[68:69], v[156:157]
	s_waitcnt vmcnt(23)
	v_fmac_f64_e32 v[76:77], v[70:71], v[160:161]
	v_add_f64 v[2:3], v[2:3], v[76:77]
	s_waitcnt vmcnt(22)
	v_mul_f64 v[76:77], v[72:73], v[154:155]
	s_waitcnt vmcnt(20)
	v_fmac_f64_e32 v[76:77], v[74:75], v[158:159]
	v_add_f64 v[2:3], v[2:3], v[76:77]
	ds_read_b128 v[76:79], v112 offset:1568
	v_mul_f64 v[22:23], v[192:193], v[90:91]
	s_waitcnt vmcnt(9)
	v_mul_f64 v[96:97], v[84:85], v[174:175]
	s_waitcnt vmcnt(7)
	v_fmac_f64_e32 v[96:97], v[86:87], v[178:179]
	v_fma_f64 v[22:23], v[190:191], v[100:101], -v[22:23]
	s_waitcnt lgkmcnt(0)
	v_mul_f64 v[88:89], v[76:77], v[162:163]
	v_fmac_f64_e32 v[88:89], v[78:79], v[164:165]
	v_add_f64 v[2:3], v[2:3], v[88:89]
	v_mul_f64 v[88:89], v[80:81], v[168:169]
	v_fmac_f64_e32 v[88:89], v[82:83], v[170:171]
	v_add_f64 v[2:3], v[2:3], v[88:89]
	ds_read_b128 v[88:91], v112 offset:1616
	v_add_f64 v[2:3], v[2:3], v[96:97]
	s_waitcnt vmcnt(5) lgkmcnt(0)
	v_mul_f64 v[96:97], v[88:89], v[166:167]
	s_waitcnt vmcnt(4)
	v_fmac_f64_e32 v[96:97], v[90:91], v[172:173]
	v_add_f64 v[2:3], v[2:3], v[96:97]
	s_waitcnt vmcnt(2)
	v_mul_f64 v[96:97], v[92:93], v[176:177]
	s_waitcnt vmcnt(0)
	v_fmac_f64_e32 v[96:97], v[94:95], v[180:181]
	v_add_f64 v[100:101], v[2:3], v[96:97]
	buffer_load_dword v2, off, s[0:3], 0 offset:808
	buffer_load_dword v3, off, s[0:3], 0 offset:812
	;; [unrolled: 1-line block ×4, first 2 shown]
	ds_read_b128 v[96:99], v112 offset:1648
	buffer_load_dword v187, off, s[0:3], 0 offset:828
	buffer_load_dword v186, off, s[0:3], 0 offset:824
	;; [unrolled: 1-line block ×4, first 2 shown]
	s_waitcnt vmcnt(6) lgkmcnt(0)
	v_mul_f64 v[102:103], v[96:97], v[2:3]
	v_mul_f64 v[2:3], v[98:99], v[2:3]
	s_waitcnt vmcnt(4)
	v_fmac_f64_e32 v[102:103], v[98:99], v[184:185]
	v_add_f64 v[104:105], v[100:101], v[102:103]
	ds_read_b128 v[100:103], v112 offset:1664
	buffer_load_dword v190, off, s[0:3], 0 offset:840
	buffer_load_dword v191, off, s[0:3], 0 offset:844
	;; [unrolled: 1-line block ×4, first 2 shown]
	v_fma_f64 v[2:3], v[96:97], v[184:185], -v[2:3]
	s_waitcnt vmcnt(6) lgkmcnt(0)
	v_mul_f64 v[106:107], v[100:101], v[186:187]
	s_waitcnt vmcnt(4)
	v_fmac_f64_e32 v[106:107], v[102:103], v[188:189]
	v_add_f64 v[114:115], v[104:105], v[106:107]
	ds_read_b128 v[104:107], v112 offset:1680
	s_waitcnt vmcnt(2) lgkmcnt(0)
	v_mul_f64 v[194:195], v[104:105], v[190:191]
	s_waitcnt vmcnt(0)
	v_fmac_f64_e32 v[194:195], v[106:107], v[192:193]
	v_add_f64 v[114:115], v[114:115], v[194:195]
	buffer_load_dword v195, off, s[0:3], 0 offset:860
	buffer_load_dword v194, off, s[0:3], 0 offset:856
	;; [unrolled: 1-line block ×4, first 2 shown]
	ds_read_b128 v[214:217], v112 offset:1696
	buffer_load_dword v200, off, s[0:3], 0 offset:872
	buffer_load_dword v201, off, s[0:3], 0 offset:876
	;; [unrolled: 1-line block ×4, first 2 shown]
	s_waitcnt vmcnt(6) lgkmcnt(0)
	v_mul_f64 v[198:199], v[214:215], v[194:195]
	s_waitcnt vmcnt(4)
	v_fmac_f64_e32 v[198:199], v[216:217], v[196:197]
	v_add_f64 v[198:199], v[114:115], v[198:199]
	ds_read_b128 v[112:115], v112 offset:1712
	s_waitcnt vmcnt(2) lgkmcnt(0)
	v_mul_f64 v[212:213], v[112:113], v[200:201]
	s_waitcnt vmcnt(0)
	v_fmac_f64_e32 v[212:213], v[114:115], v[202:203]
	v_add_f64 v[198:199], v[198:199], v[212:213]
	v_add_f64 v[212:213], v[218:219], 0
	;; [unrolled: 1-line block ×22, first 2 shown]
	buffer_load_dword v0, off, s[0:3], 0 offset:16
	buffer_load_dword v1, off, s[0:3], 0 offset:20
	;; [unrolled: 1-line block ×4, first 2 shown]
	v_accvgpr_read_b32 v8, a162
	v_accvgpr_read_b32 v6, a166
	;; [unrolled: 1-line block ×5, first 2 shown]
	v_add_f64 v[212:213], v[4:5], v[206:207]
	v_mul_f64 v[6:7], v[10:11], v[6:7]
	v_accvgpr_read_b32 v10, a168
	v_add_f64 v[4:5], v[212:213], v[208:209]
	v_accvgpr_read_b32 v9, a163
	v_accvgpr_read_b32 v11, a169
	v_add_f64 v[4:5], v[4:5], v[210:211]
	v_fma_f64 v[6:7], v[8:9], v[10:11], -v[6:7]
	v_add_f64 v[4:5], v[4:5], v[6:7]
	v_accvgpr_read_b32 v6, a170
	v_accvgpr_read_b32 v7, a171
	;; [unrolled: 1-line block ×3, first 2 shown]
	v_mul_f64 v[6:7], v[250:251], v[6:7]
	v_accvgpr_read_b32 v9, a173
	v_fma_f64 v[6:7], v[248:249], v[8:9], -v[6:7]
	v_add_f64 v[4:5], v[4:5], v[6:7]
	v_accvgpr_read_b32 v6, a174
	v_accvgpr_read_b32 v7, a175
	v_mul_f64 v[6:7], v[254:255], v[6:7]
	v_fma_f64 v[6:7], v[252:253], v[228:229], -v[6:7]
	v_add_f64 v[4:5], v[4:5], v[6:7]
	v_accvgpr_read_b32 v6, a176
	v_accvgpr_read_b32 v7, a177
	v_accvgpr_read_b32 v8, a178
	v_mul_f64 v[6:7], v[244:245], v[6:7]
	v_accvgpr_read_b32 v9, a179
	v_fma_f64 v[6:7], v[242:243], v[8:9], -v[6:7]
	v_add_f64 v[4:5], v[4:5], v[6:7]
	v_accvgpr_read_b32 v6, a180
	v_accvgpr_read_b32 v7, a181
	v_accvgpr_read_b32 v8, a182
	v_mul_f64 v[6:7], v[238:239], v[6:7]
	v_accvgpr_read_b32 v9, a183
	;; [unrolled: 7-line block ×3, first 2 shown]
	v_fma_f64 v[6:7], v[120:121], v[8:9], -v[6:7]
	v_accvgpr_read_b32 v8, a188
	v_add_f64 v[4:5], v[4:5], v[6:7]
	v_mul_f64 v[6:7], v[126:127], v[230:231]
	v_accvgpr_read_b32 v9, a189
	v_fma_f64 v[6:7], v[124:125], v[8:9], -v[6:7]
	v_add_f64 v[4:5], v[4:5], v[6:7]
	v_mul_f64 v[6:7], v[118:119], v[226:227]
	v_fma_f64 v[6:7], v[116:117], v[30:31], -v[6:7]
	v_add_f64 v[4:5], v[4:5], v[6:7]
	v_mul_f64 v[6:7], v[34:35], v[28:29]
	;; [unrolled: 3-line block ×17, first 2 shown]
	v_fma_f64 v[6:7], v[92:93], v[180:181], -v[6:7]
	v_add_f64 v[4:5], v[4:5], v[6:7]
	v_add_f64 v[2:3], v[4:5], v[2:3]
	v_mul_f64 v[4:5], v[102:103], v[186:187]
	v_fma_f64 v[4:5], v[100:101], v[188:189], -v[4:5]
	v_add_f64 v[2:3], v[2:3], v[4:5]
	v_mul_f64 v[4:5], v[106:107], v[190:191]
	v_fma_f64 v[4:5], v[104:105], v[192:193], -v[4:5]
	;; [unrolled: 3-line block ×4, first 2 shown]
	v_add_f64 v[2:3], v[2:3], v[4:5]
	s_waitcnt vmcnt(2)
	v_add_f64 v[0:1], v[0:1], -v[2:3]
	s_waitcnt vmcnt(0)
	v_add_f64 v[2:3], v[204:205], -v[198:199]
	buffer_store_dword v1, off, s[0:3], 0 offset:20
	buffer_store_dword v0, off, s[0:3], 0 offset:16
	;; [unrolled: 1-line block ×4, first 2 shown]
	s_cbranch_vccz .LBB117_445
; %bb.338:
	v_pk_mov_b32 v[0:1], s[10:11], s[10:11] op_sel:[0,1]
	flat_load_dword v0, v[0:1] offset:208
	s_waitcnt vmcnt(0) lgkmcnt(0)
	v_add_u32_e32 v0, -1, v0
	v_cmp_ne_u32_e32 vcc, 52, v0
	s_and_saveexec_b64 s[4:5], vcc
	s_cbranch_execz .LBB117_340
; %bb.339:
	v_mov_b32_e32 v1, 16
	v_accvgpr_read_b32 v9, a109
	v_lshl_add_u32 v0, v0, 4, v1
	buffer_load_dword v1, v9, s[0:3], 0 offen offset:4
	buffer_load_dword v2, v9, s[0:3], 0 offen offset:8
	buffer_load_dword v3, v9, s[0:3], 0 offen offset:12
	buffer_load_dword v4, v0, s[0:3], 0 offen
	buffer_load_dword v5, v0, s[0:3], 0 offen offset:4
	buffer_load_dword v6, v0, s[0:3], 0 offen offset:8
	buffer_load_dword v7, v0, s[0:3], 0 offen offset:12
	buffer_load_dword v8, v9, s[0:3], 0 offen
	s_waitcnt vmcnt(4)
	buffer_store_dword v4, v9, s[0:3], 0 offen
	s_waitcnt vmcnt(4)
	buffer_store_dword v5, v9, s[0:3], 0 offen offset:4
	s_waitcnt vmcnt(4)
	buffer_store_dword v6, v9, s[0:3], 0 offen offset:8
	s_waitcnt vmcnt(4)
	buffer_store_dword v7, v9, s[0:3], 0 offen offset:12
	buffer_store_dword v3, v0, s[0:3], 0 offen offset:12
	buffer_store_dword v2, v0, s[0:3], 0 offen offset:8
	buffer_store_dword v1, v0, s[0:3], 0 offen offset:4
	s_waitcnt vmcnt(7)
	buffer_store_dword v8, v0, s[0:3], 0 offen
.LBB117_340:
	s_or_b64 exec, exec, s[4:5]
	v_pk_mov_b32 v[0:1], s[10:11], s[10:11] op_sel:[0,1]
	flat_load_dword v0, v[0:1] offset:204
	s_waitcnt vmcnt(0) lgkmcnt(0)
	v_add_u32_e32 v0, -1, v0
	v_cmp_ne_u32_e32 vcc, 51, v0
	s_and_saveexec_b64 s[4:5], vcc
	s_cbranch_execz .LBB117_342
; %bb.341:
	v_mov_b32_e32 v1, 16
	v_accvgpr_read_b32 v9, a110
	v_lshl_add_u32 v0, v0, 4, v1
	buffer_load_dword v1, v9, s[0:3], 0 offen offset:4
	buffer_load_dword v2, v9, s[0:3], 0 offen offset:8
	buffer_load_dword v3, v9, s[0:3], 0 offen offset:12
	buffer_load_dword v4, v0, s[0:3], 0 offen
	buffer_load_dword v5, v0, s[0:3], 0 offen offset:4
	buffer_load_dword v6, v0, s[0:3], 0 offen offset:8
	buffer_load_dword v7, v0, s[0:3], 0 offen offset:12
	buffer_load_dword v8, v9, s[0:3], 0 offen
	s_waitcnt vmcnt(4)
	buffer_store_dword v4, v9, s[0:3], 0 offen
	s_waitcnt vmcnt(4)
	buffer_store_dword v5, v9, s[0:3], 0 offen offset:4
	s_waitcnt vmcnt(4)
	buffer_store_dword v6, v9, s[0:3], 0 offen offset:8
	s_waitcnt vmcnt(4)
	buffer_store_dword v7, v9, s[0:3], 0 offen offset:12
	buffer_store_dword v3, v0, s[0:3], 0 offen offset:12
	buffer_store_dword v2, v0, s[0:3], 0 offen offset:8
	buffer_store_dword v1, v0, s[0:3], 0 offen offset:4
	s_waitcnt vmcnt(7)
	buffer_store_dword v8, v0, s[0:3], 0 offen
.LBB117_342:
	s_or_b64 exec, exec, s[4:5]
	;; [unrolled: 34-line block ×52, first 2 shown]
	v_pk_mov_b32 v[0:1], s[10:11], s[10:11] op_sel:[0,1]
	flat_load_dword v0, v[0:1]
	s_waitcnt vmcnt(0) lgkmcnt(0)
	v_add_u32_e32 v0, -1, v0
	v_cmp_ne_u32_e32 vcc, 0, v0
	s_and_saveexec_b64 s[4:5], vcc
	s_cbranch_execz .LBB117_444
; %bb.443:
	v_mov_b32_e32 v1, 16
	v_lshl_add_u32 v0, v0, 4, v1
	buffer_load_dword v1, v0, s[0:3], 0 offen
	buffer_load_dword v2, v0, s[0:3], 0 offen offset:4
	buffer_load_dword v3, v0, s[0:3], 0 offen offset:8
	;; [unrolled: 1-line block ×3, first 2 shown]
	buffer_load_dword v5, off, s[0:3], 0 offset:28
	buffer_load_dword v6, off, s[0:3], 0 offset:24
	buffer_load_dword v7, off, s[0:3], 0 offset:20
	buffer_load_dword v8, off, s[0:3], 0 offset:16
	s_waitcnt vmcnt(7)
	buffer_store_dword v1, off, s[0:3], 0 offset:16
	s_waitcnt vmcnt(7)
	buffer_store_dword v2, off, s[0:3], 0 offset:20
	;; [unrolled: 2-line block ×4, first 2 shown]
	s_waitcnt vmcnt(7)
	buffer_store_dword v5, v0, s[0:3], 0 offen offset:12
	s_waitcnt vmcnt(7)
	buffer_store_dword v6, v0, s[0:3], 0 offen offset:8
	;; [unrolled: 2-line block ×3, first 2 shown]
	s_waitcnt vmcnt(7)
	buffer_store_dword v8, v0, s[0:3], 0 offen
.LBB117_444:
	s_or_b64 exec, exec, s[4:5]
.LBB117_445:
	buffer_load_dword v0, off, s[0:3], 0 offset:16
	buffer_load_dword v1, off, s[0:3], 0 offset:20
	;; [unrolled: 1-line block ×4, first 2 shown]
	v_accvgpr_read_b32 v4, a100
	v_accvgpr_read_b32 v5, a101
	s_waitcnt vmcnt(0)
	global_store_dwordx4 v[4:5], v[0:3], off
	s_nop 0
	v_accvgpr_read_b32 v3, a160
	buffer_load_dword v0, v3, s[0:3], 0 offen
	buffer_load_dword v1, v3, s[0:3], 0 offen offset:4
	buffer_load_dword v2, v3, s[0:3], 0 offen offset:8
	s_nop 0
	buffer_load_dword v3, v3, s[0:3], 0 offen offset:12
	v_accvgpr_read_b32 v4, a94
	v_accvgpr_read_b32 v5, a95
	s_waitcnt vmcnt(0)
	global_store_dwordx4 v[4:5], v[0:3], off
	s_nop 0
	v_accvgpr_read_b32 v3, a159
	buffer_load_dword v0, v3, s[0:3], 0 offen
	buffer_load_dword v1, v3, s[0:3], 0 offen offset:4
	buffer_load_dword v2, v3, s[0:3], 0 offen offset:8
	s_nop 0
	buffer_load_dword v3, v3, s[0:3], 0 offen offset:12
	;; [unrolled: 11-line block ×12, first 2 shown]
	v_accvgpr_read_b32 v4, a34
	v_accvgpr_read_b32 v5, a35
	s_waitcnt vmcnt(0)
	global_store_dwordx4 v[4:5], v[0:3], off
	v_accvgpr_read_b32 v4, a148
	buffer_load_dword v0, v4, s[0:3], 0 offen
	buffer_load_dword v1, v4, s[0:3], 0 offen offset:4
	buffer_load_dword v2, v4, s[0:3], 0 offen offset:8
	buffer_load_dword v3, v4, s[0:3], 0 offen offset:12
	v_accvgpr_read_b32 v4, a106
	v_accvgpr_read_b32 v5, a107
	s_waitcnt vmcnt(0)
	global_store_dwordx4 v[4:5], v[0:3], off
	v_accvgpr_read_b32 v4, a147
	buffer_load_dword v0, v4, s[0:3], 0 offen
	buffer_load_dword v1, v4, s[0:3], 0 offen offset:4
	buffer_load_dword v2, v4, s[0:3], 0 offen offset:8
	buffer_load_dword v3, v4, s[0:3], 0 offen offset:12
	;; [unrolled: 9-line block ×41, first 2 shown]
	v_accvgpr_read_b32 v5, a1
	v_accvgpr_read_b32 v4, a0
	s_waitcnt vmcnt(0)
	global_store_dwordx4 v[4:5], v[0:3], off
	s_endpgm
	.section	.rodata,"a",@progbits
	.p2align	6, 0x0
	.amdhsa_kernel _ZN9rocsolver6v33100L18getri_kernel_smallILi54E19rocblas_complex_numIdEPKPS3_EEvT1_iilPiilS8_bb
		.amdhsa_group_segment_fixed_size 1736
		.amdhsa_private_segment_fixed_size 896
		.amdhsa_kernarg_size 60
		.amdhsa_user_sgpr_count 8
		.amdhsa_user_sgpr_private_segment_buffer 1
		.amdhsa_user_sgpr_dispatch_ptr 0
		.amdhsa_user_sgpr_queue_ptr 0
		.amdhsa_user_sgpr_kernarg_segment_ptr 1
		.amdhsa_user_sgpr_dispatch_id 0
		.amdhsa_user_sgpr_flat_scratch_init 1
		.amdhsa_user_sgpr_kernarg_preload_length 0
		.amdhsa_user_sgpr_kernarg_preload_offset 0
		.amdhsa_user_sgpr_private_segment_size 0
		.amdhsa_uses_dynamic_stack 0
		.amdhsa_system_sgpr_private_segment_wavefront_offset 1
		.amdhsa_system_sgpr_workgroup_id_x 1
		.amdhsa_system_sgpr_workgroup_id_y 0
		.amdhsa_system_sgpr_workgroup_id_z 0
		.amdhsa_system_sgpr_workgroup_info 0
		.amdhsa_system_vgpr_workitem_id 0
		.amdhsa_next_free_vgpr 448
		.amdhsa_next_free_sgpr 22
		.amdhsa_accum_offset 256
		.amdhsa_reserve_vcc 1
		.amdhsa_reserve_flat_scratch 1
		.amdhsa_float_round_mode_32 0
		.amdhsa_float_round_mode_16_64 0
		.amdhsa_float_denorm_mode_32 3
		.amdhsa_float_denorm_mode_16_64 3
		.amdhsa_dx10_clamp 1
		.amdhsa_ieee_mode 1
		.amdhsa_fp16_overflow 0
		.amdhsa_tg_split 0
		.amdhsa_exception_fp_ieee_invalid_op 0
		.amdhsa_exception_fp_denorm_src 0
		.amdhsa_exception_fp_ieee_div_zero 0
		.amdhsa_exception_fp_ieee_overflow 0
		.amdhsa_exception_fp_ieee_underflow 0
		.amdhsa_exception_fp_ieee_inexact 0
		.amdhsa_exception_int_div_zero 0
	.end_amdhsa_kernel
	.section	.text._ZN9rocsolver6v33100L18getri_kernel_smallILi54E19rocblas_complex_numIdEPKPS3_EEvT1_iilPiilS8_bb,"axG",@progbits,_ZN9rocsolver6v33100L18getri_kernel_smallILi54E19rocblas_complex_numIdEPKPS3_EEvT1_iilPiilS8_bb,comdat
.Lfunc_end117:
	.size	_ZN9rocsolver6v33100L18getri_kernel_smallILi54E19rocblas_complex_numIdEPKPS3_EEvT1_iilPiilS8_bb, .Lfunc_end117-_ZN9rocsolver6v33100L18getri_kernel_smallILi54E19rocblas_complex_numIdEPKPS3_EEvT1_iilPiilS8_bb
                                        ; -- End function
	.section	.AMDGPU.csdata,"",@progbits
; Kernel info:
; codeLenInByte = 183044
; NumSgprs: 28
; NumVgprs: 256
; NumAgprs: 192
; TotalNumVgprs: 448
; ScratchSize: 896
; MemoryBound: 0
; FloatMode: 240
; IeeeMode: 1
; LDSByteSize: 1736 bytes/workgroup (compile time only)
; SGPRBlocks: 3
; VGPRBlocks: 55
; NumSGPRsForWavesPerEU: 28
; NumVGPRsForWavesPerEU: 448
; AccumOffset: 256
; Occupancy: 1
; WaveLimiterHint : 1
; COMPUTE_PGM_RSRC2:SCRATCH_EN: 1
; COMPUTE_PGM_RSRC2:USER_SGPR: 8
; COMPUTE_PGM_RSRC2:TRAP_HANDLER: 0
; COMPUTE_PGM_RSRC2:TGID_X_EN: 1
; COMPUTE_PGM_RSRC2:TGID_Y_EN: 0
; COMPUTE_PGM_RSRC2:TGID_Z_EN: 0
; COMPUTE_PGM_RSRC2:TIDIG_COMP_CNT: 0
; COMPUTE_PGM_RSRC3_GFX90A:ACCUM_OFFSET: 63
; COMPUTE_PGM_RSRC3_GFX90A:TG_SPLIT: 0
	.section	.text._ZN9rocsolver6v33100L18getri_kernel_smallILi55E19rocblas_complex_numIdEPKPS3_EEvT1_iilPiilS8_bb,"axG",@progbits,_ZN9rocsolver6v33100L18getri_kernel_smallILi55E19rocblas_complex_numIdEPKPS3_EEvT1_iilPiilS8_bb,comdat
	.globl	_ZN9rocsolver6v33100L18getri_kernel_smallILi55E19rocblas_complex_numIdEPKPS3_EEvT1_iilPiilS8_bb ; -- Begin function _ZN9rocsolver6v33100L18getri_kernel_smallILi55E19rocblas_complex_numIdEPKPS3_EEvT1_iilPiilS8_bb
	.p2align	8
	.type	_ZN9rocsolver6v33100L18getri_kernel_smallILi55E19rocblas_complex_numIdEPKPS3_EEvT1_iilPiilS8_bb,@function
_ZN9rocsolver6v33100L18getri_kernel_smallILi55E19rocblas_complex_numIdEPKPS3_EEvT1_iilPiilS8_bb: ; @_ZN9rocsolver6v33100L18getri_kernel_smallILi55E19rocblas_complex_numIdEPKPS3_EEvT1_iilPiilS8_bb
; %bb.0:
	s_add_u32 flat_scratch_lo, s6, s9
	s_addc_u32 flat_scratch_hi, s7, 0
	s_add_u32 s0, s0, s9
	v_mov_b32_e32 v254, v0
	s_addc_u32 s1, s1, 0
	v_cmp_gt_u32_e32 vcc, 55, v254
	s_and_saveexec_b64 s[6:7], vcc
	s_cbranch_execz .LBB118_234
; %bb.1:
	s_load_dword s18, s[4:5], 0x38
	s_load_dwordx2 s[6:7], s[4:5], 0x0
	s_load_dwordx4 s[12:15], s[4:5], 0x28
	s_waitcnt lgkmcnt(0)
	s_bitcmp1_b32 s18, 8
	s_cselect_b64 s[16:17], -1, 0
	s_ashr_i32 s9, s8, 31
	s_lshl_b64 s[10:11], s[8:9], 3
	s_add_u32 s6, s6, s10
	s_addc_u32 s7, s7, s11
	s_load_dwordx2 s[6:7], s[6:7], 0x0
	s_bfe_u32 s10, s18, 0x10008
	s_cmp_eq_u32 s10, 0
                                        ; implicit-def: $sgpr10_sgpr11
	s_cbranch_scc1 .LBB118_3
; %bb.2:
	s_load_dword s10, s[4:5], 0x20
	s_load_dwordx2 s[20:21], s[4:5], 0x18
	s_mul_i32 s11, s8, s13
	s_mul_hi_u32 s13, s8, s12
	s_add_i32 s13, s13, s11
	s_mul_i32 s19, s9, s12
	s_add_i32 s13, s13, s19
	s_mul_i32 s12, s8, s12
	s_waitcnt lgkmcnt(0)
	s_ashr_i32 s11, s10, 31
	s_lshl_b64 s[12:13], s[12:13], 2
	s_add_u32 s12, s20, s12
	s_addc_u32 s13, s21, s13
	s_lshl_b64 s[10:11], s[10:11], 2
	s_add_u32 s10, s12, s10
	s_addc_u32 s11, s13, s11
.LBB118_3:
	s_load_dwordx2 s[4:5], s[4:5], 0x8
	v_lshlrev_b32_e32 v1, 4, v254
	s_waitcnt lgkmcnt(0)
	s_ashr_i32 s13, s4, 31
	s_mov_b32 s12, s4
	s_lshl_b64 s[12:13], s[12:13], 4
	s_add_u32 s6, s6, s12
	s_addc_u32 s7, s7, s13
	global_load_dwordx4 v[2:5], v1, s[6:7]
	v_mov_b32_e32 v0, s7
	v_add_co_u32_e32 v6, vcc, s6, v1
	s_ashr_i32 s13, s5, 31
	s_mov_b32 s12, s5
	v_addc_co_u32_e32 v7, vcc, 0, v0, vcc
	s_lshl_b64 s[12:13], s[12:13], 4
	v_accvgpr_write_b32 a0, v6
	s_add_i32 s4, s5, s5
	v_mov_b32_e32 v0, s13
	v_add_co_u32_e32 v10, vcc, s12, v6
	v_accvgpr_write_b32 a1, v7
	v_add_u32_e32 v6, s4, v254
	v_addc_co_u32_e32 v11, vcc, v7, v0, vcc
	v_ashrrev_i32_e32 v7, 31, v6
	v_lshlrev_b64 v[8:9], 4, v[6:7]
	v_mov_b32_e32 v0, s7
	v_add_co_u32_e32 v8, vcc, s6, v8
	v_add_u32_e32 v6, s5, v6
	v_addc_co_u32_e32 v9, vcc, v0, v9, vcc
	v_accvgpr_write_b32 a2, v10
	v_accvgpr_write_b32 a4, v8
	v_ashrrev_i32_e32 v7, 31, v6
	v_accvgpr_write_b32 a3, v11
	global_load_dwordx4 v[10:13], v[10:11], off
	v_accvgpr_write_b32 a5, v9
	global_load_dwordx4 v[14:17], v[8:9], off
	v_lshlrev_b64 v[8:9], 4, v[6:7]
	v_add_u32_e32 v6, s5, v6
	v_add_co_u32_e32 v18, vcc, s6, v8
	v_ashrrev_i32_e32 v7, 31, v6
	v_addc_co_u32_e32 v19, vcc, v0, v9, vcc
	v_add_u32_e32 v8, s5, v6
	v_lshlrev_b64 v[6:7], 4, v[6:7]
	v_ashrrev_i32_e32 v9, 31, v8
	v_add_co_u32_e32 v22, vcc, s6, v6
	v_add_u32_e32 v26, s5, v8
	v_addc_co_u32_e32 v23, vcc, v0, v7, vcc
	v_lshlrev_b64 v[6:7], 4, v[8:9]
	v_mov_b32_e32 v28, s7
	v_ashrrev_i32_e32 v27, 31, v26
	v_add_co_u32_e32 v30, vcc, s6, v6
	v_add_u32_e32 v8, s5, v26
	v_addc_co_u32_e32 v31, vcc, v28, v7, vcc
	v_lshlrev_b64 v[6:7], 4, v[26:27]
	v_mov_b32_e32 v29, s7
	;; [unrolled: 6-line block ×3, first 2 shown]
	v_ashrrev_i32_e32 v43, 31, v42
	v_add_co_u32_e32 v8, vcc, s6, v6
	v_addc_co_u32_e32 v9, vcc, v34, v7, vcc
	v_lshlrev_b64 v[6:7], 4, v[42:43]
	v_add_co_u32_e32 v6, vcc, s6, v6
	v_addc_co_u32_e32 v7, vcc, v0, v7, vcc
	v_accvgpr_write_b32 a15, v7
	v_accvgpr_write_b32 a14, v6
	global_load_dwordx4 v[38:41], v[6:7], off
	v_add_u32_e32 v6, s5, v42
	v_accvgpr_write_b32 a6, v18
	v_accvgpr_write_b32 a8, v8
	v_ashrrev_i32_e32 v7, 31, v6
	v_accvgpr_write_b32 a7, v19
	global_load_dwordx4 v[18:21], v[18:19], off
	v_accvgpr_write_b32 a9, v9
	global_load_dwordx4 v[34:37], v[8:9], off
	v_lshlrev_b64 v[8:9], 4, v[6:7]
	v_add_u32_e32 v6, s5, v6
	v_add_co_u32_e32 v42, vcc, s6, v8
	v_ashrrev_i32_e32 v7, 31, v6
	v_addc_co_u32_e32 v43, vcc, v0, v9, vcc
	v_lshlrev_b64 v[8:9], 4, v[6:7]
	v_add_co_u32_e32 v8, vcc, s6, v8
	v_addc_co_u32_e32 v9, vcc, v0, v9, vcc
	v_add_u32_e32 v6, s5, v6
	v_accvgpr_write_b32 a18, v22
	v_accvgpr_write_b32 a21, v9
	v_ashrrev_i32_e32 v7, 31, v6
	v_accvgpr_write_b32 a19, v23
	global_load_dwordx4 v[22:25], v[22:23], off
	v_accvgpr_write_b32 a20, v8
	global_load_dwordx4 v[46:49], v[8:9], off
	v_lshlrev_b64 v[8:9], 4, v[6:7]
	v_add_co_u32_e32 v8, vcc, s6, v8
	v_accvgpr_write_b32 a10, v30
	v_accvgpr_write_b32 a12, v32
	v_accvgpr_write_b32 a16, v42
	v_addc_co_u32_e32 v9, vcc, v0, v9, vcc
	v_accvgpr_write_b32 a11, v31
	global_load_dwordx4 v[26:29], v[30:31], off
	global_load_dwordx4 v[50:53], v[8:9], off
	v_accvgpr_write_b32 a13, v33
	global_load_dwordx4 v[30:33], v[32:33], off
	v_accvgpr_write_b32 a17, v43
	global_load_dwordx4 v[42:45], v[42:43], off
	s_waitcnt vmcnt(11)
	buffer_store_dword v5, off, s[0:3], 0 offset:28
	buffer_store_dword v4, off, s[0:3], 0 offset:24
	;; [unrolled: 1-line block ×3, first 2 shown]
	v_add_u32_e32 v4, s5, v6
	v_ashrrev_i32_e32 v5, 31, v4
	v_lshlrev_b64 v[6:7], 4, v[4:5]
	v_add_co_u32_e32 v6, vcc, s6, v6
	v_addc_co_u32_e32 v7, vcc, v0, v7, vcc
	v_add_u32_e32 v4, s5, v4
	v_accvgpr_write_b32 a25, v7
	v_ashrrev_i32_e32 v5, 31, v4
	v_accvgpr_write_b32 a23, v9
	v_accvgpr_write_b32 a24, v6
	global_load_dwordx4 v[54:57], v[6:7], off
	v_lshlrev_b64 v[6:7], 4, v[4:5]
	v_accvgpr_write_b32 a22, v8
	v_add_co_u32_e32 v8, vcc, s6, v6
	v_add_u32_e32 v4, s5, v4
	v_addc_co_u32_e32 v9, vcc, v0, v7, vcc
	v_ashrrev_i32_e32 v5, 31, v4
	v_lshlrev_b64 v[6:7], 4, v[4:5]
	global_load_dwordx4 v[58:61], v[8:9], off
	v_add_co_u32_e32 v6, vcc, s6, v6
	v_addc_co_u32_e32 v7, vcc, v0, v7, vcc
	v_accvgpr_write_b32 a27, v9
	v_accvgpr_write_b32 a29, v7
	v_accvgpr_write_b32 a26, v8
	v_accvgpr_write_b32 a28, v6
	global_load_dwordx4 v[6:9], v[6:7], off
	s_nop 0
	buffer_store_dword v2, off, s[0:3], 0 offset:16
	s_waitcnt vmcnt(17)
	buffer_store_dword v13, off, s[0:3], 0 offset:44
	buffer_store_dword v12, off, s[0:3], 0 offset:40
	buffer_store_dword v11, off, s[0:3], 0 offset:36
	buffer_store_dword v10, off, s[0:3], 0 offset:32
	s_waitcnt vmcnt(20)
	buffer_store_dword v17, off, s[0:3], 0 offset:60
	buffer_store_dword v16, off, s[0:3], 0 offset:56
	buffer_store_dword v15, off, s[0:3], 0 offset:52
	;; [unrolled: 5-line block ×6, first 2 shown]
	buffer_store_dword v30, off, s[0:3], 0 offset:112
	buffer_store_dword v37, off, s[0:3], 0 offset:140
	;; [unrolled: 1-line block ×9, first 2 shown]
	s_waitcnt vmcnt(39)
	buffer_store_dword v42, off, s[0:3], 0 offset:160
	buffer_store_dword v43, off, s[0:3], 0 offset:164
	buffer_store_dword v44, off, s[0:3], 0 offset:168
	buffer_store_dword v45, off, s[0:3], 0 offset:172
	buffer_store_dword v46, off, s[0:3], 0 offset:176
	buffer_store_dword v47, off, s[0:3], 0 offset:180
	buffer_store_dword v48, off, s[0:3], 0 offset:184
	buffer_store_dword v49, off, s[0:3], 0 offset:188
	buffer_store_dword v50, off, s[0:3], 0 offset:192
	buffer_store_dword v51, off, s[0:3], 0 offset:196
	buffer_store_dword v52, off, s[0:3], 0 offset:200
	buffer_store_dword v53, off, s[0:3], 0 offset:204
	v_add_u32_e32 v2, s5, v4
	v_ashrrev_i32_e32 v3, 31, v2
	v_lshlrev_b64 v[4:5], 4, v[2:3]
	v_add_co_u32_e32 v10, vcc, s6, v4
	v_addc_co_u32_e32 v11, vcc, v0, v5, vcc
	v_add_u32_e32 v2, s5, v2
	v_ashrrev_i32_e32 v3, 31, v2
	v_accvgpr_write_b32 a31, v11
	v_lshlrev_b64 v[4:5], 4, v[2:3]
	v_accvgpr_write_b32 a30, v10
	global_load_dwordx4 v[10:13], v[10:11], off
	v_add_co_u32_e32 v4, vcc, s6, v4
	v_addc_co_u32_e32 v5, vcc, v0, v5, vcc
	global_load_dwordx4 v[14:17], v[4:5], off
	v_add_u32_e32 v2, s5, v2
	v_accvgpr_write_b32 a33, v5
	v_ashrrev_i32_e32 v3, 31, v2
	v_accvgpr_write_b32 a32, v4
	v_lshlrev_b64 v[4:5], 4, v[2:3]
	v_add_co_u32_e32 v18, vcc, s6, v4
	v_addc_co_u32_e32 v19, vcc, v0, v5, vcc
	v_add_u32_e32 v2, s5, v2
	s_waitcnt vmcnt(49)
	buffer_store_dword v57, off, s[0:3], 0 offset:220
	buffer_store_dword v56, off, s[0:3], 0 offset:216
	;; [unrolled: 1-line block ×4, first 2 shown]
	s_waitcnt vmcnt(52)
	buffer_store_dword v61, off, s[0:3], 0 offset:236
	buffer_store_dword v60, off, s[0:3], 0 offset:232
	buffer_store_dword v59, off, s[0:3], 0 offset:228
	buffer_store_dword v58, off, s[0:3], 0 offset:224
	s_waitcnt vmcnt(55)
	buffer_store_dword v9, off, s[0:3], 0 offset:252
	v_ashrrev_i32_e32 v3, 31, v2
	v_accvgpr_write_b32 a35, v19
	v_lshlrev_b64 v[4:5], 4, v[2:3]
	v_accvgpr_write_b32 a34, v18
	global_load_dwordx4 v[18:21], v[18:19], off
	v_add_co_u32_e32 v4, vcc, s6, v4
	v_addc_co_u32_e32 v5, vcc, v0, v5, vcc
	v_add_u32_e32 v2, s5, v2
	v_accvgpr_write_b32 a37, v5
	v_ashrrev_i32_e32 v3, 31, v2
	v_accvgpr_write_b32 a36, v4
	global_load_dwordx4 v[22:25], v[4:5], off
	v_lshlrev_b64 v[4:5], 4, v[2:3]
	v_add_co_u32_e32 v26, vcc, s6, v4
	v_addc_co_u32_e32 v27, vcc, v0, v5, vcc
	v_add_u32_e32 v2, s5, v2
	v_ashrrev_i32_e32 v3, 31, v2
	v_accvgpr_write_b32 a39, v27
	v_lshlrev_b64 v[4:5], 4, v[2:3]
	v_accvgpr_write_b32 a38, v26
	global_load_dwordx4 v[26:29], v[26:27], off
	v_add_co_u32_e32 v4, vcc, s6, v4
	v_addc_co_u32_e32 v5, vcc, v0, v5, vcc
	global_load_dwordx4 v[30:33], v[4:5], off
	v_add_u32_e32 v2, s5, v2
	v_accvgpr_write_b32 a41, v5
	v_ashrrev_i32_e32 v3, 31, v2
	v_accvgpr_write_b32 a40, v4
	v_lshlrev_b64 v[4:5], 4, v[2:3]
	v_add_co_u32_e32 v34, vcc, s6, v4
	v_addc_co_u32_e32 v35, vcc, v0, v5, vcc
	v_add_u32_e32 v2, s5, v2
	v_ashrrev_i32_e32 v3, 31, v2
	v_accvgpr_write_b32 a43, v35
	v_lshlrev_b64 v[4:5], 4, v[2:3]
	v_accvgpr_write_b32 a42, v34
	global_load_dwordx4 v[34:37], v[34:35], off
	v_add_co_u32_e32 v4, vcc, s6, v4
	v_addc_co_u32_e32 v5, vcc, v0, v5, vcc
	global_load_dwordx4 v[38:41], v[4:5], off
	v_add_u32_e32 v2, s5, v2
	v_accvgpr_write_b32 a45, v5
	v_ashrrev_i32_e32 v3, 31, v2
	v_accvgpr_write_b32 a44, v4
	v_lshlrev_b64 v[4:5], 4, v[2:3]
	v_add_co_u32_e32 v42, vcc, s6, v4
	v_addc_co_u32_e32 v43, vcc, v0, v5, vcc
	v_add_u32_e32 v2, s5, v2
	v_accvgpr_write_b32 a47, v43
	v_ashrrev_i32_e32 v3, 31, v2
	v_accvgpr_write_b32 a46, v42
	global_load_dwordx4 v[42:45], v[42:43], off
	v_lshlrev_b64 v[4:5], 4, v[2:3]
	v_add_co_u32_e32 v4, vcc, s6, v4
	v_addc_co_u32_e32 v5, vcc, v0, v5, vcc
	global_load_dwordx4 v[46:49], v[4:5], off
	v_add_u32_e32 v2, s5, v2
	v_accvgpr_write_b32 a49, v5
	v_ashrrev_i32_e32 v3, 31, v2
	v_accvgpr_write_b32 a48, v4
	v_lshlrev_b64 v[4:5], 4, v[2:3]
	v_add_co_u32_e32 v50, vcc, s6, v4
	v_addc_co_u32_e32 v51, vcc, v0, v5, vcc
	v_add_u32_e32 v2, s5, v2
	v_accvgpr_write_b32 a50, v50
	v_ashrrev_i32_e32 v3, 31, v2
	v_accvgpr_write_b32 a51, v51
	global_load_dwordx4 v[50:53], v[50:51], off
	v_lshlrev_b64 v[4:5], 4, v[2:3]
	;; [unrolled: 16-line block ×5, first 2 shown]
	v_add_co_u32_e32 v4, vcc, s6, v4
	v_addc_co_u32_e32 v5, vcc, v0, v5, vcc
	global_load_dwordx4 v[78:81], v[4:5], off
	v_add_u32_e32 v2, s5, v2
	v_accvgpr_write_b32 a65, v5
	v_ashrrev_i32_e32 v3, 31, v2
	v_accvgpr_write_b32 a64, v4
	v_lshlrev_b64 v[4:5], 4, v[2:3]
	v_add_co_u32_e32 v4, vcc, s6, v4
	v_add_u32_e32 v86, s5, v2
	v_addc_co_u32_e32 v5, vcc, v0, v5, vcc
	v_ashrrev_i32_e32 v87, 31, v86
	v_lshlrev_b64 v[2:3], 4, v[86:87]
	global_load_dwordx4 v[82:85], v[4:5], off
	v_add_co_u32_e32 v2, vcc, s6, v2
	v_addc_co_u32_e32 v3, vcc, v0, v3, vcc
	v_accvgpr_write_b32 a67, v5
	v_accvgpr_write_b32 a69, v3
	v_accvgpr_write_b32 a66, v4
	v_accvgpr_write_b32 a68, v2
	global_load_dwordx4 v[2:5], v[2:3], off
	s_nop 0
	buffer_store_dword v8, off, s[0:3], 0 offset:248
	buffer_store_dword v7, off, s[0:3], 0 offset:244
	buffer_store_dword v6, off, s[0:3], 0 offset:240
	s_waitcnt vmcnt(31)
	buffer_store_dword v13, off, s[0:3], 0 offset:268
	buffer_store_dword v12, off, s[0:3], 0 offset:264
	buffer_store_dword v11, off, s[0:3], 0 offset:260
	buffer_store_dword v10, off, s[0:3], 0 offset:256
	s_waitcnt vmcnt(34)
	buffer_store_dword v17, off, s[0:3], 0 offset:284
	;; [unrolled: 5-line block ×15, first 2 shown]
	buffer_store_dword v68, off, s[0:3], 0 offset:488
	buffer_store_dword v67, off, s[0:3], 0 offset:484
	;; [unrolled: 1-line block ×11, first 2 shown]
	s_waitcnt vmcnt(62)
	buffer_store_dword v81, off, s[0:3], 0 offset:540
	buffer_store_dword v80, off, s[0:3], 0 offset:536
	;; [unrolled: 1-line block ×9, first 2 shown]
	v_add_u32_e32 v6, s5, v86
	v_ashrrev_i32_e32 v7, 31, v6
	v_lshlrev_b64 v[8:9], 4, v[6:7]
	v_add_u32_e32 v14, s5, v6
	v_add_co_u32_e32 v8, vcc, s6, v8
	v_ashrrev_i32_e32 v15, 31, v14
	v_addc_co_u32_e32 v9, vcc, v0, v9, vcc
	v_lshlrev_b64 v[6:7], 4, v[14:15]
	v_add_co_u32_e32 v10, vcc, s6, v6
	v_accvgpr_write_b32 a73, v9
	v_addc_co_u32_e32 v11, vcc, v0, v7, vcc
	v_accvgpr_write_b32 a72, v8
	global_load_dwordx4 v[6:9], v[8:9], off
	v_add_u32_e32 v14, s5, v14
	v_accvgpr_write_b32 a75, v11
	v_ashrrev_i32_e32 v15, 31, v14
	v_accvgpr_write_b32 a74, v10
	global_load_dwordx4 v[10:13], v[10:11], off
	v_lshlrev_b64 v[16:17], 4, v[14:15]
	v_add_u32_e32 v22, s5, v14
	v_add_co_u32_e32 v16, vcc, s6, v16
	v_ashrrev_i32_e32 v23, 31, v22
	v_addc_co_u32_e32 v17, vcc, v0, v17, vcc
	v_lshlrev_b64 v[14:15], 4, v[22:23]
	v_add_co_u32_e32 v18, vcc, s6, v14
	v_accvgpr_write_b32 a77, v17
	v_addc_co_u32_e32 v19, vcc, v0, v15, vcc
	v_accvgpr_write_b32 a76, v16
	global_load_dwordx4 v[14:17], v[16:17], off
	v_add_u32_e32 v22, s5, v22
	v_accvgpr_write_b32 a79, v19
	v_ashrrev_i32_e32 v23, 31, v22
	v_accvgpr_write_b32 a78, v18
	global_load_dwordx4 v[18:21], v[18:19], off
	;; [unrolled: 16-line block ×9, first 2 shown]
	v_lshlrev_b64 v[80:81], 4, v[78:79]
	v_add_co_u32_e32 v80, vcc, s6, v80
	v_addc_co_u32_e32 v81, vcc, v0, v81, vcc
	v_add_u32_e32 v78, s5, v78
	v_ashrrev_i32_e32 v79, 31, v78
	v_accvgpr_write_b32 a109, v81
	v_lshlrev_b64 v[82:83], 4, v[78:79]
	v_accvgpr_write_b32 a108, v80
	global_load_dwordx4 v[78:81], v[80:81], off
	v_add_co_u32_e32 v82, vcc, s6, v82
	v_addc_co_u32_e32 v83, vcc, v0, v83, vcc
	v_accvgpr_write_b32 a70, v82
	v_accvgpr_write_b32 a71, v83
	global_load_dwordx4 v[82:85], v[82:83], off
	v_mov_b32_e32 v0, 16
	buffer_store_dword v4, off, s[0:3], 0 offset:568
	buffer_store_dword v3, off, s[0:3], 0 offset:564
	buffer_store_dword v2, off, s[0:3], 0 offset:560
	s_waitcnt vmcnt(22)
	buffer_store_dword v9, off, s[0:3], 0 offset:588
	buffer_store_dword v8, off, s[0:3], 0 offset:584
	buffer_store_dword v7, off, s[0:3], 0 offset:580
	buffer_store_dword v6, off, s[0:3], 0 offset:576
	s_waitcnt vmcnt(25)
	buffer_store_dword v13, off, s[0:3], 0 offset:604
	;; [unrolled: 5-line block ×15, first 2 shown]
	buffer_store_dword v64, off, s[0:3], 0 offset:808
	buffer_store_dword v63, off, s[0:3], 0 offset:804
	;; [unrolled: 1-line block ×11, first 2 shown]
	s_waitcnt vmcnt(62)
	buffer_store_dword v77, off, s[0:3], 0 offset:860
	buffer_store_dword v76, off, s[0:3], 0 offset:856
	;; [unrolled: 1-line block ×12, first 2 shown]
	v_add_u32_e32 v2, 16, v0
	v_accvgpr_write_b32 a163, v2
	v_add_u32_e32 v2, 32, v0
	v_accvgpr_write_b32 a162, v2
	v_add_u32_e32 v2, 48, v0
	v_accvgpr_write_b32 a161, v2
	v_add_u32_e32 v2, 64, v0
	v_accvgpr_write_b32 a160, v2
	v_add_u32_e32 v2, 0x50, v0
	v_accvgpr_write_b32 a159, v2
	v_add_u32_e32 v2, 0x60, v0
	v_accvgpr_write_b32 a158, v2
	v_add_u32_e32 v2, 0x70, v0
	v_accvgpr_write_b32 a157, v2
	v_add_u32_e32 v2, 0x80, v0
	v_accvgpr_write_b32 a156, v2
	v_add_u32_e32 v2, 0x90, v0
	v_accvgpr_write_b32 a155, v2
	v_add_u32_e32 v2, 0xa0, v0
	v_accvgpr_write_b32 a154, v2
	v_add_u32_e32 v2, 0xb0, v0
	v_accvgpr_write_b32 a153, v2
	v_add_u32_e32 v2, 0xc0, v0
	v_accvgpr_write_b32 a152, v2
	v_add_u32_e32 v2, 0xd0, v0
	v_accvgpr_write_b32 a151, v2
	v_add_u32_e32 v2, 0xe0, v0
	v_accvgpr_write_b32 a150, v2
	v_add_u32_e32 v2, 0xf0, v0
	v_accvgpr_write_b32 a149, v2
	v_add_u32_e32 v2, 0x100, v0
	v_accvgpr_write_b32 a148, v2
	v_add_u32_e32 v2, 0x110, v0
	v_accvgpr_write_b32 a147, v2
	v_add_u32_e32 v2, 0x120, v0
	v_accvgpr_write_b32 a146, v2
	v_add_u32_e32 v2, 0x130, v0
	v_accvgpr_write_b32 a145, v2
	v_add_u32_e32 v2, 0x140, v0
	v_accvgpr_write_b32 a144, v2
	v_add_u32_e32 v2, 0x150, v0
	v_accvgpr_write_b32 a143, v2
	v_add_u32_e32 v2, 0x160, v0
	v_accvgpr_write_b32 a142, v2
	v_add_u32_e32 v2, 0x170, v0
	v_accvgpr_write_b32 a141, v2
	v_add_u32_e32 v2, 0x180, v0
	v_accvgpr_write_b32 a140, v2
	v_add_u32_e32 v2, 0x190, v0
	v_accvgpr_write_b32 a139, v2
	v_add_u32_e32 v2, 0x1a0, v0
	v_accvgpr_write_b32 a138, v2
	v_add_u32_e32 v2, 0x1b0, v0
	v_accvgpr_write_b32 a137, v2
	v_add_u32_e32 v2, 0x1c0, v0
	v_accvgpr_write_b32 a136, v2
	v_add_u32_e32 v2, 0x1d0, v0
	v_accvgpr_write_b32 a135, v2
	v_add_u32_e32 v2, 0x1e0, v0
	v_accvgpr_write_b32 a134, v2
	v_add_u32_e32 v2, 0x1f0, v0
	v_accvgpr_write_b32 a133, v2
	v_add_u32_e32 v2, 0x200, v0
	v_accvgpr_write_b32 a132, v2
	v_add_u32_e32 v2, 0x210, v0
	v_accvgpr_write_b32 a131, v2
	v_add_u32_e32 v2, 0x220, v0
	v_accvgpr_write_b32 a130, v2
	v_add_u32_e32 v2, 0x230, v0
	v_accvgpr_write_b32 a129, v2
	v_add_u32_e32 v2, 0x240, v0
	v_accvgpr_write_b32 a128, v2
	v_add_u32_e32 v2, 0x250, v0
	v_accvgpr_write_b32 a127, v2
	v_add_u32_e32 v2, 0x260, v0
	v_accvgpr_write_b32 a126, v2
	v_add_u32_e32 v2, 0x270, v0
	v_accvgpr_write_b32 a125, v2
	v_add_u32_e32 v2, 0x280, v0
	v_accvgpr_write_b32 a124, v2
	v_add_u32_e32 v2, 0x290, v0
	v_accvgpr_write_b32 a123, v2
	v_add_u32_e32 v2, 0x2a0, v0
	v_accvgpr_write_b32 a122, v2
	v_add_u32_e32 v2, 0x2b0, v0
	v_accvgpr_write_b32 a121, v2
	v_add_u32_e32 v2, 0x2c0, v0
	v_accvgpr_write_b32 a120, v2
	v_add_u32_e32 v2, 0x2d0, v0
	v_accvgpr_write_b32 a119, v2
	v_add_u32_e32 v2, 0x2e0, v0
	v_accvgpr_write_b32 a118, v2
	v_add_u32_e32 v2, 0x2f0, v0
	v_accvgpr_write_b32 a117, v2
	v_add_u32_e32 v2, 0x300, v0
	v_accvgpr_write_b32 a116, v2
	v_add_u32_e32 v2, 0x310, v0
	v_accvgpr_write_b32 a115, v2
	v_add_u32_e32 v2, 0x320, v0
	v_accvgpr_write_b32 a114, v2
	v_add_u32_e32 v2, 0x330, v0
	v_accvgpr_write_b32 a113, v2
	v_add_u32_e32 v2, 0x340, v0
	v_accvgpr_write_b32 a112, v2
	v_add_u32_e32 v2, 0x350, v0
	v_add_u32_e32 v0, 0x360, v0
	s_bitcmp0_b32 s18, 0
	v_accvgpr_write_b32 a111, v2
	v_accvgpr_write_b32 a110, v0
	s_mov_b64 s[6:7], -1
	s_cbranch_scc1 .LBB118_232
; %bb.4:
	v_cmp_eq_u32_e64 s[4:5], 0, v254
	s_and_saveexec_b64 s[6:7], s[4:5]
	s_cbranch_execz .LBB118_6
; %bb.5:
	v_mov_b32_e32 v0, 0
	ds_write_b32 v0, v0 offset:1760
.LBB118_6:
	s_or_b64 exec, exec, s[6:7]
	v_mov_b32_e32 v0, 16
	v_lshl_add_u32 v12, v254, 4, v0
	s_waitcnt lgkmcnt(0)
	; wave barrier
	s_waitcnt lgkmcnt(0)
	buffer_load_dword v2, v12, s[0:3], 0 offen
	buffer_load_dword v3, v12, s[0:3], 0 offen offset:4
	buffer_load_dword v4, v12, s[0:3], 0 offen offset:8
	;; [unrolled: 1-line block ×3, first 2 shown]
	s_waitcnt vmcnt(2)
	v_cmp_eq_f64_e32 vcc, 0, v[2:3]
	s_waitcnt vmcnt(0)
	v_cmp_eq_f64_e64 s[6:7], 0, v[4:5]
	s_and_b64 s[6:7], vcc, s[6:7]
	s_and_saveexec_b64 s[12:13], s[6:7]
	s_cbranch_execz .LBB118_10
; %bb.7:
	v_mov_b32_e32 v2, 0
	ds_read_b32 v0, v2 offset:1760
	v_add_u32_e32 v3, 1, v254
	s_waitcnt lgkmcnt(0)
	v_readfirstlane_b32 s6, v0
	s_cmp_eq_u32 s6, 0
	s_cselect_b64 s[18:19], -1, 0
	v_cmp_gt_i32_e32 vcc, s6, v3
	s_or_b64 s[18:19], s[18:19], vcc
	s_and_b64 exec, exec, s[18:19]
	s_cbranch_execz .LBB118_10
; %bb.8:
	s_mov_b64 s[18:19], 0
	v_mov_b32_e32 v4, s6
.LBB118_9:                              ; =>This Inner Loop Header: Depth=1
	ds_cmpst_rtn_b32 v4, v2, v4, v3 offset:1760
	s_waitcnt lgkmcnt(0)
	v_cmp_ne_u32_e32 vcc, 0, v4
	v_cmp_le_i32_e64 s[6:7], v4, v3
	s_and_b64 s[6:7], vcc, s[6:7]
	s_and_b64 s[6:7], exec, s[6:7]
	s_or_b64 s[18:19], s[6:7], s[18:19]
	s_andn2_b64 exec, exec, s[18:19]
	s_cbranch_execnz .LBB118_9
.LBB118_10:
	s_or_b64 exec, exec, s[12:13]
	v_mov_b32_e32 v3, 0
	s_waitcnt lgkmcnt(0)
	; wave barrier
	ds_read_b32 v2, v3 offset:1760
	s_and_saveexec_b64 s[6:7], s[4:5]
	s_cbranch_execz .LBB118_12
; %bb.11:
	s_lshl_b64 s[12:13], s[8:9], 2
	s_add_u32 s12, s14, s12
	s_addc_u32 s13, s15, s13
	s_waitcnt lgkmcnt(0)
	global_store_dword v3, v2, s[12:13]
.LBB118_12:
	s_or_b64 exec, exec, s[6:7]
	s_waitcnt lgkmcnt(0)
	v_cmp_ne_u32_e32 vcc, 0, v2
	s_mov_b64 s[6:7], 0
	s_cbranch_vccnz .LBB118_232
; %bb.13:
	buffer_load_dword v7, v12, s[0:3], 0 offen offset:4
	buffer_load_dword v6, v12, s[0:3], 0 offen
	buffer_load_dword v9, v12, s[0:3], 0 offen offset:12
	buffer_load_dword v8, v12, s[0:3], 0 offen offset:8
                                        ; implicit-def: $vgpr10_vgpr11
	s_waitcnt vmcnt(3)
	v_xor_b32_e32 v0, 0x80000000, v7
	s_waitcnt vmcnt(2)
	v_cmp_gt_f64_e32 vcc, 0, v[6:7]
	s_waitcnt vmcnt(1)
	v_xor_b32_e32 v4, 0x80000000, v9
	v_cndmask_b32_e32 v3, v7, v0, vcc
	s_waitcnt vmcnt(0)
	v_cmp_gt_f64_e32 vcc, 0, v[8:9]
	v_mov_b32_e32 v2, v6
	v_cndmask_b32_e32 v5, v9, v4, vcc
	v_mov_b32_e32 v4, v8
	v_cmp_ngt_f64_e32 vcc, v[2:3], v[4:5]
                                        ; implicit-def: $vgpr4_vgpr5
	s_and_saveexec_b64 s[6:7], vcc
	s_xor_b64 s[6:7], exec, s[6:7]
	s_cbranch_execz .LBB118_15
; %bb.14:
	v_div_scale_f64 v[2:3], s[12:13], v[8:9], v[8:9], v[6:7]
	v_rcp_f64_e32 v[4:5], v[2:3]
	v_div_scale_f64 v[10:11], vcc, v[6:7], v[8:9], v[6:7]
	v_fma_f64 v[14:15], -v[2:3], v[4:5], 1.0
	v_fmac_f64_e32 v[4:5], v[4:5], v[14:15]
	v_fma_f64 v[14:15], -v[2:3], v[4:5], 1.0
	v_fmac_f64_e32 v[4:5], v[4:5], v[14:15]
	v_mul_f64 v[14:15], v[10:11], v[4:5]
	v_fma_f64 v[2:3], -v[2:3], v[14:15], v[10:11]
	v_div_fmas_f64 v[2:3], v[2:3], v[4:5], v[14:15]
	v_div_fixup_f64 v[2:3], v[2:3], v[8:9], v[6:7]
	v_fmac_f64_e32 v[8:9], v[6:7], v[2:3]
	v_div_scale_f64 v[4:5], s[12:13], v[8:9], v[8:9], 1.0
	v_rcp_f64_e32 v[6:7], v[4:5]
	v_fma_f64 v[10:11], -v[4:5], v[6:7], 1.0
	v_fmac_f64_e32 v[6:7], v[6:7], v[10:11]
	v_fma_f64 v[10:11], -v[4:5], v[6:7], 1.0
	v_fmac_f64_e32 v[6:7], v[6:7], v[10:11]
	v_div_scale_f64 v[10:11], vcc, 1.0, v[8:9], 1.0
	v_mul_f64 v[14:15], v[10:11], v[6:7]
	v_fma_f64 v[4:5], -v[4:5], v[14:15], v[10:11]
	s_nop 1
	v_div_fmas_f64 v[4:5], v[4:5], v[6:7], v[14:15]
	v_div_fixup_f64 v[4:5], v[4:5], v[8:9], 1.0
	v_mul_f64 v[10:11], v[2:3], v[4:5]
	v_xor_b32_e32 v5, 0x80000000, v5
	v_xor_b32_e32 v3, 0x80000000, v11
	v_mov_b32_e32 v2, v10
                                        ; implicit-def: $vgpr6_vgpr7
                                        ; implicit-def: $vgpr8_vgpr9
.LBB118_15:
	s_andn2_saveexec_b64 s[6:7], s[6:7]
	s_cbranch_execz .LBB118_17
; %bb.16:
	v_div_scale_f64 v[2:3], s[12:13], v[6:7], v[6:7], v[8:9]
	v_rcp_f64_e32 v[4:5], v[2:3]
	v_div_scale_f64 v[10:11], vcc, v[8:9], v[6:7], v[8:9]
	v_fma_f64 v[14:15], -v[2:3], v[4:5], 1.0
	v_fmac_f64_e32 v[4:5], v[4:5], v[14:15]
	v_fma_f64 v[14:15], -v[2:3], v[4:5], 1.0
	v_fmac_f64_e32 v[4:5], v[4:5], v[14:15]
	v_mul_f64 v[14:15], v[10:11], v[4:5]
	v_fma_f64 v[2:3], -v[2:3], v[14:15], v[10:11]
	v_div_fmas_f64 v[2:3], v[2:3], v[4:5], v[14:15]
	v_div_fixup_f64 v[4:5], v[2:3], v[6:7], v[8:9]
	v_fmac_f64_e32 v[6:7], v[8:9], v[4:5]
	v_div_scale_f64 v[2:3], s[12:13], v[6:7], v[6:7], 1.0
	v_rcp_f64_e32 v[8:9], v[2:3]
	v_fma_f64 v[10:11], -v[2:3], v[8:9], 1.0
	v_fmac_f64_e32 v[8:9], v[8:9], v[10:11]
	v_fma_f64 v[10:11], -v[2:3], v[8:9], 1.0
	v_fmac_f64_e32 v[8:9], v[8:9], v[10:11]
	v_div_scale_f64 v[10:11], vcc, 1.0, v[6:7], 1.0
	v_mul_f64 v[14:15], v[10:11], v[8:9]
	v_fma_f64 v[2:3], -v[2:3], v[14:15], v[10:11]
	s_nop 1
	v_div_fmas_f64 v[2:3], v[2:3], v[8:9], v[14:15]
	v_div_fixup_f64 v[10:11], v[2:3], v[6:7], 1.0
	v_xor_b32_e32 v3, 0x80000000, v11
	v_mov_b32_e32 v2, v10
	v_mul_f64 v[4:5], v[4:5], -v[10:11]
.LBB118_17:
	s_or_b64 exec, exec, s[6:7]
	buffer_store_dword v11, v12, s[0:3], 0 offen offset:4
	buffer_store_dword v10, v12, s[0:3], 0 offen
	buffer_store_dword v5, v12, s[0:3], 0 offen offset:12
	buffer_store_dword v4, v12, s[0:3], 0 offen offset:8
	v_accvgpr_read_b32 v0, a163
	buffer_load_dword v11, v0, s[0:3], 0 offen offset:12
	buffer_load_dword v10, v0, s[0:3], 0 offen offset:8
	;; [unrolled: 1-line block ×3, first 2 shown]
	buffer_load_dword v8, v0, s[0:3], 0 offen
	v_xor_b32_e32 v5, 0x80000000, v5
	v_add_u32_e32 v6, 0x370, v1
	ds_write_b128 v1, v[2:5]
	s_waitcnt vmcnt(0)
	ds_write_b128 v1, v[8:11] offset:880
	s_waitcnt lgkmcnt(0)
	; wave barrier
	s_waitcnt lgkmcnt(0)
	s_and_saveexec_b64 s[6:7], s[4:5]
	s_cbranch_execz .LBB118_19
; %bb.18:
	buffer_load_dword v14, v12, s[0:3], 0 offen offset:8
	buffer_load_dword v15, v12, s[0:3], 0 offen offset:12
	buffer_load_dword v16, v12, s[0:3], 0 offen
	buffer_load_dword v17, v12, s[0:3], 0 offen offset:4
	ds_read_b128 v[2:5], v6
	v_mov_b32_e32 v0, 0
	ds_read_b128 v[8:11], v0 offset:16
	s_waitcnt vmcnt(2) lgkmcnt(1)
	v_mul_f64 v[18:19], v[4:5], v[14:15]
	v_mul_f64 v[14:15], v[2:3], v[14:15]
	s_waitcnt vmcnt(0)
	v_fmac_f64_e32 v[14:15], v[4:5], v[16:17]
	v_fma_f64 v[2:3], v[2:3], v[16:17], -v[18:19]
	v_add_f64 v[4:5], v[14:15], 0
	v_add_f64 v[2:3], v[2:3], 0
	s_waitcnt lgkmcnt(0)
	v_mul_f64 v[14:15], v[4:5], v[10:11]
	v_mul_f64 v[10:11], v[2:3], v[10:11]
	v_fma_f64 v[2:3], v[2:3], v[8:9], -v[14:15]
	v_fmac_f64_e32 v[10:11], v[4:5], v[8:9]
	buffer_store_dword v2, off, s[0:3], 0 offset:32
	buffer_store_dword v3, off, s[0:3], 0 offset:36
	buffer_store_dword v10, off, s[0:3], 0 offset:40
	buffer_store_dword v11, off, s[0:3], 0 offset:44
.LBB118_19:
	s_or_b64 exec, exec, s[6:7]
	v_accvgpr_read_b32 v0, a162
	s_waitcnt lgkmcnt(0)
	; wave barrier
	buffer_load_dword v2, v0, s[0:3], 0 offen
	buffer_load_dword v3, v0, s[0:3], 0 offen offset:4
	buffer_load_dword v4, v0, s[0:3], 0 offen offset:8
	buffer_load_dword v5, v0, s[0:3], 0 offen offset:12
	v_cmp_gt_u32_e32 vcc, 2, v254
	s_waitcnt vmcnt(0)
	ds_write_b128 v6, v[2:5]
	s_waitcnt lgkmcnt(0)
	; wave barrier
	s_waitcnt lgkmcnt(0)
	s_and_saveexec_b64 s[6:7], vcc
	s_cbranch_execz .LBB118_23
; %bb.20:
	buffer_load_dword v8, v12, s[0:3], 0 offen offset:8
	buffer_load_dword v9, v12, s[0:3], 0 offen offset:12
	buffer_load_dword v10, v12, s[0:3], 0 offen
	buffer_load_dword v11, v12, s[0:3], 0 offen offset:4
	ds_read_b128 v[2:5], v6
	s_waitcnt vmcnt(2) lgkmcnt(0)
	v_mul_f64 v[12:13], v[4:5], v[8:9]
	v_mul_f64 v[8:9], v[2:3], v[8:9]
	s_waitcnt vmcnt(0)
	v_fma_f64 v[2:3], v[2:3], v[10:11], -v[12:13]
	v_fmac_f64_e32 v[8:9], v[4:5], v[10:11]
	v_add_f64 v[4:5], v[2:3], 0
	v_add_f64 v[2:3], v[8:9], 0
	s_and_saveexec_b64 s[12:13], s[4:5]
	s_cbranch_execz .LBB118_22
; %bb.21:
	buffer_load_dword v12, off, s[0:3], 0 offset:40
	buffer_load_dword v13, off, s[0:3], 0 offset:44
	;; [unrolled: 1-line block ×4, first 2 shown]
	v_mov_b32_e32 v0, 0
	ds_read_b128 v[8:11], v0 offset:896
	s_waitcnt vmcnt(2) lgkmcnt(0)
	v_mul_f64 v[16:17], v[8:9], v[12:13]
	v_mul_f64 v[12:13], v[10:11], v[12:13]
	s_waitcnt vmcnt(0)
	v_fmac_f64_e32 v[16:17], v[10:11], v[14:15]
	v_fma_f64 v[8:9], v[8:9], v[14:15], -v[12:13]
	v_add_f64 v[2:3], v[2:3], v[16:17]
	v_add_f64 v[4:5], v[4:5], v[8:9]
.LBB118_22:
	s_or_b64 exec, exec, s[12:13]
	v_mov_b32_e32 v0, 0
	ds_read_b128 v[8:11], v0 offset:32
	s_waitcnt lgkmcnt(0)
	v_mul_f64 v[12:13], v[2:3], v[10:11]
	v_mul_f64 v[10:11], v[4:5], v[10:11]
	v_fma_f64 v[4:5], v[4:5], v[8:9], -v[12:13]
	v_fmac_f64_e32 v[10:11], v[2:3], v[8:9]
	buffer_store_dword v5, off, s[0:3], 0 offset:52
	buffer_store_dword v4, off, s[0:3], 0 offset:48
	;; [unrolled: 1-line block ×4, first 2 shown]
.LBB118_23:
	s_or_b64 exec, exec, s[6:7]
	v_accvgpr_read_b32 v0, a161
	s_waitcnt lgkmcnt(0)
	; wave barrier
	buffer_load_dword v2, v0, s[0:3], 0 offen
	buffer_load_dword v3, v0, s[0:3], 0 offen offset:4
	buffer_load_dword v4, v0, s[0:3], 0 offen offset:8
	;; [unrolled: 1-line block ×3, first 2 shown]
	v_cmp_gt_u32_e32 vcc, 3, v254
	v_add_u32_e32 v7, -1, v254
	s_waitcnt vmcnt(0)
	ds_write_b128 v6, v[2:5]
	s_waitcnt lgkmcnt(0)
	; wave barrier
	s_waitcnt lgkmcnt(0)
	s_and_saveexec_b64 s[4:5], vcc
	s_cbranch_execz .LBB118_27
; %bb.24:
	v_pk_mov_b32 v[2:3], 0, 0
	v_add_u32_e32 v8, -1, v254
	v_add_u32_e32 v9, 0x370, v1
	v_add_u32_e32 v10, 16, v1
	s_mov_b64 s[6:7], 0
	v_pk_mov_b32 v[4:5], v[2:3], v[2:3] op_sel:[0,1]
.LBB118_25:                             ; =>This Inner Loop Header: Depth=1
	buffer_load_dword v16, v10, s[0:3], 0 offen offset:8
	buffer_load_dword v17, v10, s[0:3], 0 offen offset:12
	buffer_load_dword v18, v10, s[0:3], 0 offen
	buffer_load_dword v19, v10, s[0:3], 0 offen offset:4
	ds_read_b128 v[12:15], v9
	v_add_u32_e32 v8, 1, v8
	v_cmp_lt_u32_e32 vcc, 1, v8
	v_add_u32_e32 v9, 16, v9
	v_add_u32_e32 v10, 16, v10
	s_or_b64 s[6:7], vcc, s[6:7]
	s_waitcnt vmcnt(2) lgkmcnt(0)
	v_mul_f64 v[20:21], v[14:15], v[16:17]
	v_mul_f64 v[16:17], v[12:13], v[16:17]
	s_waitcnt vmcnt(0)
	v_fma_f64 v[12:13], v[12:13], v[18:19], -v[20:21]
	v_fmac_f64_e32 v[16:17], v[14:15], v[18:19]
	v_add_f64 v[4:5], v[4:5], v[12:13]
	v_add_f64 v[2:3], v[2:3], v[16:17]
	s_andn2_b64 exec, exec, s[6:7]
	s_cbranch_execnz .LBB118_25
; %bb.26:
	s_or_b64 exec, exec, s[6:7]
	v_mov_b32_e32 v0, 0
	ds_read_b128 v[8:11], v0 offset:48
	s_waitcnt lgkmcnt(0)
	v_mul_f64 v[12:13], v[2:3], v[10:11]
	v_mul_f64 v[10:11], v[4:5], v[10:11]
	v_fma_f64 v[4:5], v[4:5], v[8:9], -v[12:13]
	v_fmac_f64_e32 v[10:11], v[2:3], v[8:9]
	buffer_store_dword v5, off, s[0:3], 0 offset:68
	buffer_store_dword v4, off, s[0:3], 0 offset:64
	buffer_store_dword v11, off, s[0:3], 0 offset:76
	buffer_store_dword v10, off, s[0:3], 0 offset:72
.LBB118_27:
	s_or_b64 exec, exec, s[4:5]
	v_accvgpr_read_b32 v0, a160
	s_waitcnt lgkmcnt(0)
	; wave barrier
	buffer_load_dword v2, v0, s[0:3], 0 offen
	buffer_load_dword v3, v0, s[0:3], 0 offen offset:4
	buffer_load_dword v4, v0, s[0:3], 0 offen offset:8
	buffer_load_dword v5, v0, s[0:3], 0 offen offset:12
	v_cmp_gt_u32_e32 vcc, 4, v254
	s_waitcnt vmcnt(0)
	ds_write_b128 v6, v[2:5]
	s_waitcnt lgkmcnt(0)
	; wave barrier
	s_waitcnt lgkmcnt(0)
	s_and_saveexec_b64 s[4:5], vcc
	s_cbranch_execz .LBB118_31
; %bb.28:
	v_pk_mov_b32 v[2:3], 0, 0
	v_add_u32_e32 v8, -1, v254
	v_add_u32_e32 v9, 0x370, v1
	v_add_u32_e32 v10, 16, v1
	s_mov_b64 s[6:7], 0
	v_pk_mov_b32 v[4:5], v[2:3], v[2:3] op_sel:[0,1]
.LBB118_29:                             ; =>This Inner Loop Header: Depth=1
	buffer_load_dword v16, v10, s[0:3], 0 offen offset:8
	buffer_load_dword v17, v10, s[0:3], 0 offen offset:12
	buffer_load_dword v18, v10, s[0:3], 0 offen
	buffer_load_dword v19, v10, s[0:3], 0 offen offset:4
	ds_read_b128 v[12:15], v9
	v_add_u32_e32 v8, 1, v8
	v_cmp_lt_u32_e32 vcc, 2, v8
	v_add_u32_e32 v9, 16, v9
	v_add_u32_e32 v10, 16, v10
	s_or_b64 s[6:7], vcc, s[6:7]
	s_waitcnt vmcnt(2) lgkmcnt(0)
	v_mul_f64 v[20:21], v[14:15], v[16:17]
	v_mul_f64 v[16:17], v[12:13], v[16:17]
	s_waitcnt vmcnt(0)
	v_fma_f64 v[12:13], v[12:13], v[18:19], -v[20:21]
	v_fmac_f64_e32 v[16:17], v[14:15], v[18:19]
	v_add_f64 v[4:5], v[4:5], v[12:13]
	v_add_f64 v[2:3], v[2:3], v[16:17]
	s_andn2_b64 exec, exec, s[6:7]
	s_cbranch_execnz .LBB118_29
; %bb.30:
	s_or_b64 exec, exec, s[6:7]
	v_mov_b32_e32 v0, 0
	ds_read_b128 v[8:11], v0 offset:64
	s_waitcnt lgkmcnt(0)
	v_mul_f64 v[12:13], v[2:3], v[10:11]
	v_mul_f64 v[10:11], v[4:5], v[10:11]
	v_fma_f64 v[4:5], v[4:5], v[8:9], -v[12:13]
	v_fmac_f64_e32 v[10:11], v[2:3], v[8:9]
	buffer_store_dword v5, off, s[0:3], 0 offset:84
	buffer_store_dword v4, off, s[0:3], 0 offset:80
	buffer_store_dword v11, off, s[0:3], 0 offset:92
	buffer_store_dword v10, off, s[0:3], 0 offset:88
.LBB118_31:
	s_or_b64 exec, exec, s[4:5]
	v_accvgpr_read_b32 v0, a159
	s_waitcnt lgkmcnt(0)
	; wave barrier
	buffer_load_dword v2, v0, s[0:3], 0 offen
	buffer_load_dword v3, v0, s[0:3], 0 offen offset:4
	buffer_load_dword v4, v0, s[0:3], 0 offen offset:8
	buffer_load_dword v5, v0, s[0:3], 0 offen offset:12
	v_cmp_gt_u32_e32 vcc, 5, v254
	;; [unrolled: 58-line block ×19, first 2 shown]
	s_waitcnt vmcnt(0)
	ds_write_b128 v6, v[2:5]
	s_waitcnt lgkmcnt(0)
	; wave barrier
	s_waitcnt lgkmcnt(0)
	s_and_saveexec_b64 s[4:5], vcc
	s_cbranch_execz .LBB118_103
; %bb.100:
	v_pk_mov_b32 v[2:3], 0, 0
	v_add_u32_e32 v8, -1, v254
	v_add_u32_e32 v9, 0x370, v1
	v_add_u32_e32 v10, 16, v1
	s_mov_b64 s[6:7], 0
	v_pk_mov_b32 v[4:5], v[2:3], v[2:3] op_sel:[0,1]
.LBB118_101:                            ; =>This Inner Loop Header: Depth=1
	buffer_load_dword v16, v10, s[0:3], 0 offen offset:8
	buffer_load_dword v17, v10, s[0:3], 0 offen offset:12
	buffer_load_dword v18, v10, s[0:3], 0 offen
	buffer_load_dword v19, v10, s[0:3], 0 offen offset:4
	ds_read_b128 v[12:15], v9
	v_add_u32_e32 v8, 1, v8
	v_cmp_lt_u32_e32 vcc, 20, v8
	v_add_u32_e32 v9, 16, v9
	v_add_u32_e32 v10, 16, v10
	s_or_b64 s[6:7], vcc, s[6:7]
	s_waitcnt vmcnt(2) lgkmcnt(0)
	v_mul_f64 v[20:21], v[14:15], v[16:17]
	v_mul_f64 v[16:17], v[12:13], v[16:17]
	s_waitcnt vmcnt(0)
	v_fma_f64 v[12:13], v[12:13], v[18:19], -v[20:21]
	v_fmac_f64_e32 v[16:17], v[14:15], v[18:19]
	v_add_f64 v[4:5], v[4:5], v[12:13]
	v_add_f64 v[2:3], v[2:3], v[16:17]
	s_andn2_b64 exec, exec, s[6:7]
	s_cbranch_execnz .LBB118_101
; %bb.102:
	s_or_b64 exec, exec, s[6:7]
	v_mov_b32_e32 v0, 0
	ds_read_b128 v[8:11], v0 offset:352
	s_waitcnt lgkmcnt(0)
	v_mul_f64 v[12:13], v[2:3], v[10:11]
	v_mul_f64 v[10:11], v[4:5], v[10:11]
	v_fma_f64 v[4:5], v[4:5], v[8:9], -v[12:13]
	v_fmac_f64_e32 v[10:11], v[2:3], v[8:9]
	buffer_store_dword v5, off, s[0:3], 0 offset:372
	buffer_store_dword v4, off, s[0:3], 0 offset:368
	buffer_store_dword v11, off, s[0:3], 0 offset:380
	buffer_store_dword v10, off, s[0:3], 0 offset:376
.LBB118_103:
	s_or_b64 exec, exec, s[4:5]
	v_accvgpr_read_b32 v0, a141
	s_waitcnt lgkmcnt(0)
	; wave barrier
	buffer_load_dword v2, v0, s[0:3], 0 offen
	buffer_load_dword v3, v0, s[0:3], 0 offen offset:4
	buffer_load_dword v4, v0, s[0:3], 0 offen offset:8
	buffer_load_dword v5, v0, s[0:3], 0 offen offset:12
	v_cmp_gt_u32_e32 vcc, 23, v254
	s_waitcnt vmcnt(0)
	ds_write_b128 v6, v[2:5]
	s_waitcnt lgkmcnt(0)
	; wave barrier
	s_waitcnt lgkmcnt(0)
	s_and_saveexec_b64 s[4:5], vcc
	s_cbranch_execz .LBB118_107
; %bb.104:
	v_pk_mov_b32 v[2:3], 0, 0
	v_add_u32_e32 v8, -1, v254
	v_add_u32_e32 v9, 0x370, v1
	v_add_u32_e32 v10, 16, v1
	s_mov_b64 s[6:7], 0
	v_pk_mov_b32 v[4:5], v[2:3], v[2:3] op_sel:[0,1]
.LBB118_105:                            ; =>This Inner Loop Header: Depth=1
	buffer_load_dword v16, v10, s[0:3], 0 offen offset:8
	buffer_load_dword v17, v10, s[0:3], 0 offen offset:12
	buffer_load_dword v18, v10, s[0:3], 0 offen
	buffer_load_dword v19, v10, s[0:3], 0 offen offset:4
	ds_read_b128 v[12:15], v9
	v_add_u32_e32 v8, 1, v8
	v_cmp_lt_u32_e32 vcc, 21, v8
	v_add_u32_e32 v9, 16, v9
	v_add_u32_e32 v10, 16, v10
	s_or_b64 s[6:7], vcc, s[6:7]
	s_waitcnt vmcnt(2) lgkmcnt(0)
	v_mul_f64 v[20:21], v[14:15], v[16:17]
	v_mul_f64 v[16:17], v[12:13], v[16:17]
	s_waitcnt vmcnt(0)
	v_fma_f64 v[12:13], v[12:13], v[18:19], -v[20:21]
	v_fmac_f64_e32 v[16:17], v[14:15], v[18:19]
	v_add_f64 v[4:5], v[4:5], v[12:13]
	v_add_f64 v[2:3], v[2:3], v[16:17]
	s_andn2_b64 exec, exec, s[6:7]
	s_cbranch_execnz .LBB118_105
; %bb.106:
	s_or_b64 exec, exec, s[6:7]
	v_mov_b32_e32 v0, 0
	ds_read_b128 v[8:11], v0 offset:368
	s_waitcnt lgkmcnt(0)
	v_mul_f64 v[12:13], v[2:3], v[10:11]
	v_mul_f64 v[10:11], v[4:5], v[10:11]
	v_fma_f64 v[4:5], v[4:5], v[8:9], -v[12:13]
	v_fmac_f64_e32 v[10:11], v[2:3], v[8:9]
	buffer_store_dword v5, off, s[0:3], 0 offset:388
	buffer_store_dword v4, off, s[0:3], 0 offset:384
	buffer_store_dword v11, off, s[0:3], 0 offset:396
	buffer_store_dword v10, off, s[0:3], 0 offset:392
.LBB118_107:
	s_or_b64 exec, exec, s[4:5]
	v_accvgpr_read_b32 v0, a140
	s_waitcnt lgkmcnt(0)
	; wave barrier
	buffer_load_dword v2, v0, s[0:3], 0 offen
	buffer_load_dword v3, v0, s[0:3], 0 offen offset:4
	buffer_load_dword v4, v0, s[0:3], 0 offen offset:8
	buffer_load_dword v5, v0, s[0:3], 0 offen offset:12
	v_cmp_gt_u32_e32 vcc, 24, v254
	;; [unrolled: 58-line block ×31, first 2 shown]
	s_waitcnt vmcnt(0)
	ds_write_b128 v6, v[2:5]
	s_waitcnt lgkmcnt(0)
	; wave barrier
	s_waitcnt lgkmcnt(0)
	s_and_saveexec_b64 s[4:5], vcc
	s_cbranch_execz .LBB118_227
; %bb.224:
	v_pk_mov_b32 v[2:3], 0, 0
	v_add_u32_e32 v8, -1, v254
	v_add_u32_e32 v9, 0x370, v1
	v_add_u32_e32 v10, 16, v1
	s_mov_b64 s[6:7], 0
	v_pk_mov_b32 v[4:5], v[2:3], v[2:3] op_sel:[0,1]
.LBB118_225:                            ; =>This Inner Loop Header: Depth=1
	buffer_load_dword v16, v10, s[0:3], 0 offen offset:8
	buffer_load_dword v17, v10, s[0:3], 0 offen offset:12
	buffer_load_dword v18, v10, s[0:3], 0 offen
	buffer_load_dword v19, v10, s[0:3], 0 offen offset:4
	ds_read_b128 v[12:15], v9
	v_add_u32_e32 v8, 1, v8
	v_cmp_lt_u32_e32 vcc, 51, v8
	v_add_u32_e32 v9, 16, v9
	v_add_u32_e32 v10, 16, v10
	s_or_b64 s[6:7], vcc, s[6:7]
	s_waitcnt vmcnt(2) lgkmcnt(0)
	v_mul_f64 v[20:21], v[14:15], v[16:17]
	v_mul_f64 v[16:17], v[12:13], v[16:17]
	s_waitcnt vmcnt(0)
	v_fma_f64 v[12:13], v[12:13], v[18:19], -v[20:21]
	v_fmac_f64_e32 v[16:17], v[14:15], v[18:19]
	v_add_f64 v[4:5], v[4:5], v[12:13]
	v_add_f64 v[2:3], v[2:3], v[16:17]
	s_andn2_b64 exec, exec, s[6:7]
	s_cbranch_execnz .LBB118_225
; %bb.226:
	s_or_b64 exec, exec, s[6:7]
	v_mov_b32_e32 v0, 0
	ds_read_b128 v[8:11], v0 offset:848
	s_waitcnt lgkmcnt(0)
	v_mul_f64 v[12:13], v[2:3], v[10:11]
	v_mul_f64 v[10:11], v[4:5], v[10:11]
	v_fma_f64 v[4:5], v[4:5], v[8:9], -v[12:13]
	v_fmac_f64_e32 v[10:11], v[2:3], v[8:9]
	buffer_store_dword v5, off, s[0:3], 0 offset:868
	buffer_store_dword v4, off, s[0:3], 0 offset:864
	;; [unrolled: 1-line block ×4, first 2 shown]
.LBB118_227:
	s_or_b64 exec, exec, s[4:5]
	v_accvgpr_read_b32 v0, a110
	s_waitcnt lgkmcnt(0)
	; wave barrier
	buffer_load_dword v2, v0, s[0:3], 0 offen
	buffer_load_dword v3, v0, s[0:3], 0 offen offset:4
	buffer_load_dword v4, v0, s[0:3], 0 offen offset:8
	;; [unrolled: 1-line block ×3, first 2 shown]
	v_cmp_ne_u32_e32 vcc, 54, v254
	s_waitcnt vmcnt(0)
	ds_write_b128 v6, v[2:5]
	s_waitcnt lgkmcnt(0)
	; wave barrier
	s_waitcnt lgkmcnt(0)
	s_and_saveexec_b64 s[4:5], vcc
	s_cbranch_execz .LBB118_231
; %bb.228:
	v_pk_mov_b32 v[2:3], 0, 0
	v_add_u32_e32 v6, 0x370, v1
	v_add_u32_e32 v1, 16, v1
	s_mov_b64 s[6:7], 0
	v_pk_mov_b32 v[4:5], v[2:3], v[2:3] op_sel:[0,1]
.LBB118_229:                            ; =>This Inner Loop Header: Depth=1
	buffer_load_dword v12, v1, s[0:3], 0 offen offset:8
	buffer_load_dword v13, v1, s[0:3], 0 offen offset:12
	buffer_load_dword v14, v1, s[0:3], 0 offen
	buffer_load_dword v15, v1, s[0:3], 0 offen offset:4
	ds_read_b128 v[8:11], v6
	v_add_u32_e32 v7, 1, v7
	v_cmp_lt_u32_e32 vcc, 52, v7
	v_add_u32_e32 v6, 16, v6
	v_add_u32_e32 v1, 16, v1
	s_or_b64 s[6:7], vcc, s[6:7]
	s_waitcnt vmcnt(2) lgkmcnt(0)
	v_mul_f64 v[16:17], v[10:11], v[12:13]
	v_mul_f64 v[12:13], v[8:9], v[12:13]
	s_waitcnt vmcnt(0)
	v_fma_f64 v[8:9], v[8:9], v[14:15], -v[16:17]
	v_fmac_f64_e32 v[12:13], v[10:11], v[14:15]
	v_add_f64 v[4:5], v[4:5], v[8:9]
	v_add_f64 v[2:3], v[2:3], v[12:13]
	s_andn2_b64 exec, exec, s[6:7]
	s_cbranch_execnz .LBB118_229
; %bb.230:
	s_or_b64 exec, exec, s[6:7]
	v_mov_b32_e32 v0, 0
	ds_read_b128 v[6:9], v0 offset:864
	s_waitcnt lgkmcnt(0)
	v_mul_f64 v[10:11], v[2:3], v[8:9]
	v_mul_f64 v[8:9], v[4:5], v[8:9]
	v_fma_f64 v[4:5], v[4:5], v[6:7], -v[10:11]
	v_fmac_f64_e32 v[8:9], v[2:3], v[6:7]
	buffer_store_dword v5, off, s[0:3], 0 offset:884
	buffer_store_dword v4, off, s[0:3], 0 offset:880
	buffer_store_dword v9, off, s[0:3], 0 offset:892
	buffer_store_dword v8, off, s[0:3], 0 offset:888
.LBB118_231:
	s_or_b64 exec, exec, s[4:5]
	s_mov_b64 s[6:7], -1
	s_waitcnt lgkmcnt(0)
	; wave barrier
.LBB118_232:
	s_and_b64 vcc, exec, s[6:7]
	s_cbranch_vccz .LBB118_234
; %bb.233:
	s_lshl_b64 s[4:5], s[8:9], 2
	s_add_u32 s4, s14, s4
	s_addc_u32 s5, s15, s5
	v_mov_b32_e32 v0, 0
	global_load_dword v0, v0, s[4:5]
	s_waitcnt vmcnt(0)
	v_cmp_ne_u32_e32 vcc, 0, v0
	s_cbranch_vccz .LBB118_235
.LBB118_234:
	s_endpgm
.LBB118_235:
	v_mov_b32_e32 v0, 0x370
	v_lshl_add_u32 v0, v254, 4, v0
	v_accvgpr_write_b32 a165, v0
	v_cmp_eq_u32_e32 vcc, 54, v254
	s_and_saveexec_b64 s[4:5], vcc
	s_cbranch_execz .LBB118_237
; %bb.236:
	v_accvgpr_read_b32 v0, a111
	buffer_load_dword v2, v0, s[0:3], 0 offen
	buffer_load_dword v3, v0, s[0:3], 0 offen offset:4
	buffer_load_dword v4, v0, s[0:3], 0 offen offset:8
	;; [unrolled: 1-line block ×3, first 2 shown]
	v_mov_b32_e32 v0, 0
	v_accvgpr_read_b32 v1, a165
	buffer_store_dword v0, off, s[0:3], 0 offset:864
	buffer_store_dword v0, off, s[0:3], 0 offset:868
	;; [unrolled: 1-line block ×4, first 2 shown]
	s_waitcnt vmcnt(4)
	ds_write_b128 v1, v[2:5]
.LBB118_237:
	s_or_b64 exec, exec, s[4:5]
	s_waitcnt lgkmcnt(0)
	; wave barrier
	s_waitcnt lgkmcnt(0)
	buffer_load_dword v6, off, s[0:3], 0 offset:888
	buffer_load_dword v7, off, s[0:3], 0 offset:892
	;; [unrolled: 1-line block ×8, first 2 shown]
	v_mov_b32_e32 v1, 0
	ds_read_b128 v[2:5], v1 offset:1744
	v_cmp_lt_u32_e32 vcc, 52, v254
	s_waitcnt vmcnt(6) lgkmcnt(0)
	v_mul_f64 v[14:15], v[2:3], v[6:7]
	v_mul_f64 v[6:7], v[4:5], v[6:7]
	s_waitcnt vmcnt(4)
	v_fma_f64 v[2:3], v[2:3], v[8:9], -v[6:7]
	v_fmac_f64_e32 v[14:15], v[4:5], v[8:9]
	v_add_f64 v[2:3], v[2:3], 0
	v_add_f64 v[4:5], v[14:15], 0
	s_waitcnt vmcnt(2)
	v_add_f64 v[2:3], v[10:11], -v[2:3]
	s_waitcnt vmcnt(0)
	v_add_f64 v[4:5], v[12:13], -v[4:5]
	buffer_store_dword v2, off, s[0:3], 0 offset:864
	buffer_store_dword v3, off, s[0:3], 0 offset:868
	;; [unrolled: 1-line block ×4, first 2 shown]
	s_and_saveexec_b64 s[4:5], vcc
	s_cbranch_execz .LBB118_239
; %bb.238:
	v_accvgpr_read_b32 v0, a112
	buffer_load_dword v2, v0, s[0:3], 0 offen
	buffer_load_dword v3, v0, s[0:3], 0 offen offset:4
	buffer_load_dword v4, v0, s[0:3], 0 offen offset:8
	;; [unrolled: 1-line block ×3, first 2 shown]
	v_accvgpr_read_b32 v0, a165
	buffer_store_dword v1, off, s[0:3], 0 offset:848
	buffer_store_dword v1, off, s[0:3], 0 offset:852
	;; [unrolled: 1-line block ×4, first 2 shown]
	s_waitcnt vmcnt(4)
	ds_write_b128 v0, v[2:5]
.LBB118_239:
	s_or_b64 exec, exec, s[4:5]
	s_waitcnt lgkmcnt(0)
	; wave barrier
	s_waitcnt lgkmcnt(0)
	buffer_load_dword v10, off, s[0:3], 0 offset:872
	buffer_load_dword v11, off, s[0:3], 0 offset:876
	;; [unrolled: 1-line block ×12, first 2 shown]
	ds_read_b128 v[2:5], v1 offset:1728
	ds_read_b128 v[6:9], v1 offset:1744
	v_cmp_lt_u32_e32 vcc, 51, v254
	s_waitcnt vmcnt(10) lgkmcnt(1)
	v_mul_f64 v[22:23], v[2:3], v[10:11]
	v_mul_f64 v[10:11], v[4:5], v[10:11]
	s_waitcnt vmcnt(8) lgkmcnt(0)
	v_mul_f64 v[24:25], v[6:7], v[12:13]
	v_mul_f64 v[12:13], v[8:9], v[12:13]
	s_waitcnt vmcnt(6)
	v_fma_f64 v[2:3], v[2:3], v[14:15], -v[10:11]
	v_fmac_f64_e32 v[22:23], v[4:5], v[14:15]
	s_waitcnt vmcnt(4)
	v_fma_f64 v[4:5], v[6:7], v[16:17], -v[12:13]
	v_add_f64 v[2:3], v[2:3], 0
	v_fmac_f64_e32 v[24:25], v[8:9], v[16:17]
	v_add_f64 v[6:7], v[22:23], 0
	v_add_f64 v[2:3], v[2:3], v[4:5]
	;; [unrolled: 1-line block ×3, first 2 shown]
	s_waitcnt vmcnt(2)
	v_add_f64 v[2:3], v[18:19], -v[2:3]
	s_waitcnt vmcnt(0)
	v_add_f64 v[4:5], v[20:21], -v[6:7]
	buffer_store_dword v2, off, s[0:3], 0 offset:848
	buffer_store_dword v3, off, s[0:3], 0 offset:852
	;; [unrolled: 1-line block ×4, first 2 shown]
	s_and_saveexec_b64 s[4:5], vcc
	s_cbranch_execz .LBB118_241
; %bb.240:
	v_accvgpr_read_b32 v0, a113
	buffer_load_dword v2, v0, s[0:3], 0 offen
	buffer_load_dword v3, v0, s[0:3], 0 offen offset:4
	buffer_load_dword v4, v0, s[0:3], 0 offen offset:8
	;; [unrolled: 1-line block ×3, first 2 shown]
	v_mov_b32_e32 v0, 0
	v_accvgpr_read_b32 v1, a165
	buffer_store_dword v0, off, s[0:3], 0 offset:832
	buffer_store_dword v0, off, s[0:3], 0 offset:836
	;; [unrolled: 1-line block ×4, first 2 shown]
	s_waitcnt vmcnt(4)
	ds_write_b128 v1, v[2:5]
.LBB118_241:
	s_or_b64 exec, exec, s[4:5]
	s_waitcnt lgkmcnt(0)
	; wave barrier
	s_waitcnt lgkmcnt(0)
	buffer_load_dword v14, off, s[0:3], 0 offset:856
	buffer_load_dword v15, off, s[0:3], 0 offset:860
	;; [unrolled: 1-line block ×16, first 2 shown]
	v_mov_b32_e32 v1, 0
	ds_read_b128 v[2:5], v1 offset:1712
	ds_read_b128 v[6:9], v1 offset:1728
	;; [unrolled: 1-line block ×3, first 2 shown]
	v_cmp_lt_u32_e32 vcc, 50, v254
	s_waitcnt vmcnt(14) lgkmcnt(2)
	v_mul_f64 v[30:31], v[2:3], v[14:15]
	v_mul_f64 v[14:15], v[4:5], v[14:15]
	s_waitcnt vmcnt(12) lgkmcnt(1)
	v_mul_f64 v[32:33], v[6:7], v[16:17]
	v_mul_f64 v[16:17], v[8:9], v[16:17]
	;; [unrolled: 3-line block ×3, first 2 shown]
	s_waitcnt vmcnt(8)
	v_fma_f64 v[2:3], v[2:3], v[20:21], -v[14:15]
	v_fmac_f64_e32 v[30:31], v[4:5], v[20:21]
	s_waitcnt vmcnt(6)
	v_fma_f64 v[4:5], v[6:7], v[22:23], -v[16:17]
	v_add_f64 v[2:3], v[2:3], 0
	v_fmac_f64_e32 v[32:33], v[8:9], v[22:23]
	s_waitcnt vmcnt(4)
	v_fma_f64 v[6:7], v[10:11], v[24:25], -v[18:19]
	v_add_f64 v[8:9], v[30:31], 0
	v_add_f64 v[2:3], v[2:3], v[4:5]
	v_fmac_f64_e32 v[34:35], v[12:13], v[24:25]
	v_add_f64 v[8:9], v[8:9], v[32:33]
	v_add_f64 v[2:3], v[2:3], v[6:7]
	;; [unrolled: 1-line block ×3, first 2 shown]
	s_waitcnt vmcnt(2)
	v_add_f64 v[2:3], v[26:27], -v[2:3]
	s_waitcnt vmcnt(0)
	v_add_f64 v[4:5], v[28:29], -v[4:5]
	buffer_store_dword v2, off, s[0:3], 0 offset:832
	buffer_store_dword v3, off, s[0:3], 0 offset:836
	;; [unrolled: 1-line block ×4, first 2 shown]
	s_and_saveexec_b64 s[4:5], vcc
	s_cbranch_execz .LBB118_243
; %bb.242:
	v_accvgpr_read_b32 v0, a114
	buffer_load_dword v2, v0, s[0:3], 0 offen
	buffer_load_dword v3, v0, s[0:3], 0 offen offset:4
	buffer_load_dword v4, v0, s[0:3], 0 offen offset:8
	;; [unrolled: 1-line block ×3, first 2 shown]
	v_accvgpr_read_b32 v0, a165
	buffer_store_dword v1, off, s[0:3], 0 offset:816
	buffer_store_dword v1, off, s[0:3], 0 offset:820
	;; [unrolled: 1-line block ×4, first 2 shown]
	s_waitcnt vmcnt(4)
	ds_write_b128 v0, v[2:5]
.LBB118_243:
	s_or_b64 exec, exec, s[4:5]
	s_waitcnt lgkmcnt(0)
	; wave barrier
	s_waitcnt lgkmcnt(0)
	buffer_load_dword v18, off, s[0:3], 0 offset:840
	buffer_load_dword v19, off, s[0:3], 0 offset:844
	;; [unrolled: 1-line block ×20, first 2 shown]
	ds_read_b128 v[2:5], v1 offset:1696
	ds_read_b128 v[6:9], v1 offset:1712
	;; [unrolled: 1-line block ×4, first 2 shown]
	v_cmp_lt_u32_e32 vcc, 49, v254
	s_waitcnt vmcnt(18) lgkmcnt(3)
	v_mul_f64 v[38:39], v[2:3], v[18:19]
	v_mul_f64 v[18:19], v[4:5], v[18:19]
	s_waitcnt vmcnt(16) lgkmcnt(2)
	v_mul_f64 v[40:41], v[6:7], v[20:21]
	v_mul_f64 v[20:21], v[8:9], v[20:21]
	;; [unrolled: 3-line block ×4, first 2 shown]
	s_waitcnt vmcnt(10)
	v_fma_f64 v[2:3], v[2:3], v[26:27], -v[18:19]
	v_fmac_f64_e32 v[38:39], v[4:5], v[26:27]
	s_waitcnt vmcnt(8)
	v_fma_f64 v[4:5], v[6:7], v[28:29], -v[20:21]
	v_add_f64 v[2:3], v[2:3], 0
	v_fmac_f64_e32 v[40:41], v[8:9], v[28:29]
	s_waitcnt vmcnt(6)
	v_fma_f64 v[6:7], v[10:11], v[30:31], -v[22:23]
	v_add_f64 v[10:11], v[38:39], 0
	v_add_f64 v[2:3], v[2:3], v[4:5]
	v_fmac_f64_e32 v[42:43], v[12:13], v[30:31]
	s_waitcnt vmcnt(4)
	v_fma_f64 v[8:9], v[14:15], v[32:33], -v[24:25]
	v_add_f64 v[10:11], v[10:11], v[40:41]
	v_add_f64 v[2:3], v[2:3], v[6:7]
	v_fmac_f64_e32 v[44:45], v[16:17], v[32:33]
	v_add_f64 v[4:5], v[10:11], v[42:43]
	v_add_f64 v[2:3], v[2:3], v[8:9]
	;; [unrolled: 1-line block ×3, first 2 shown]
	s_waitcnt vmcnt(2)
	v_add_f64 v[2:3], v[34:35], -v[2:3]
	s_waitcnt vmcnt(0)
	v_add_f64 v[4:5], v[36:37], -v[4:5]
	buffer_store_dword v2, off, s[0:3], 0 offset:816
	buffer_store_dword v3, off, s[0:3], 0 offset:820
	;; [unrolled: 1-line block ×4, first 2 shown]
	s_and_saveexec_b64 s[4:5], vcc
	s_cbranch_execz .LBB118_245
; %bb.244:
	v_accvgpr_read_b32 v0, a115
	buffer_load_dword v2, v0, s[0:3], 0 offen
	buffer_load_dword v3, v0, s[0:3], 0 offen offset:4
	buffer_load_dword v4, v0, s[0:3], 0 offen offset:8
	;; [unrolled: 1-line block ×3, first 2 shown]
	v_mov_b32_e32 v0, 0
	v_accvgpr_read_b32 v1, a165
	buffer_store_dword v0, off, s[0:3], 0 offset:800
	buffer_store_dword v0, off, s[0:3], 0 offset:804
	;; [unrolled: 1-line block ×4, first 2 shown]
	s_waitcnt vmcnt(4)
	ds_write_b128 v1, v[2:5]
.LBB118_245:
	s_or_b64 exec, exec, s[4:5]
	s_waitcnt lgkmcnt(0)
	; wave barrier
	s_waitcnt lgkmcnt(0)
	buffer_load_dword v22, off, s[0:3], 0 offset:824
	buffer_load_dword v23, off, s[0:3], 0 offset:828
	;; [unrolled: 1-line block ×24, first 2 shown]
	v_mov_b32_e32 v1, 0
	ds_read_b128 v[2:5], v1 offset:1680
	ds_read_b128 v[6:9], v1 offset:1696
	;; [unrolled: 1-line block ×5, first 2 shown]
	v_cmp_lt_u32_e32 vcc, 48, v254
	s_waitcnt vmcnt(22) lgkmcnt(4)
	v_mul_f64 v[46:47], v[2:3], v[22:23]
	v_mul_f64 v[22:23], v[4:5], v[22:23]
	s_waitcnt vmcnt(20) lgkmcnt(3)
	v_mul_f64 v[48:49], v[6:7], v[24:25]
	v_mul_f64 v[24:25], v[8:9], v[24:25]
	;; [unrolled: 3-line block ×4, first 2 shown]
	s_waitcnt vmcnt(13) lgkmcnt(0)
	v_mul_f64 v[54:55], v[18:19], v[28:29]
	s_waitcnt vmcnt(11)
	v_fma_f64 v[2:3], v[2:3], v[34:35], -v[22:23]
	v_fmac_f64_e32 v[46:47], v[4:5], v[34:35]
	s_waitcnt vmcnt(9)
	v_fma_f64 v[4:5], v[6:7], v[36:37], -v[24:25]
	v_add_f64 v[2:3], v[2:3], 0
	v_fmac_f64_e32 v[48:49], v[8:9], v[36:37]
	s_waitcnt vmcnt(7)
	v_fmac_f64_e32 v[50:51], v[12:13], v[38:39]
	v_fma_f64 v[6:7], v[10:11], v[38:39], -v[26:27]
	v_add_f64 v[12:13], v[46:47], 0
	v_add_f64 v[2:3], v[2:3], v[4:5]
	v_mul_f64 v[28:29], v[20:21], v[28:29]
	s_waitcnt vmcnt(5)
	v_fma_f64 v[8:9], v[14:15], v[40:41], -v[32:33]
	v_add_f64 v[12:13], v[12:13], v[48:49]
	v_add_f64 v[2:3], v[2:3], v[6:7]
	v_fmac_f64_e32 v[52:53], v[16:17], v[40:41]
	s_waitcnt vmcnt(4)
	v_fma_f64 v[10:11], v[18:19], v[30:31], -v[28:29]
	v_add_f64 v[4:5], v[12:13], v[50:51]
	v_add_f64 v[2:3], v[2:3], v[8:9]
	v_fmac_f64_e32 v[54:55], v[20:21], v[30:31]
	v_add_f64 v[4:5], v[4:5], v[52:53]
	v_add_f64 v[2:3], v[2:3], v[10:11]
	;; [unrolled: 1-line block ×3, first 2 shown]
	s_waitcnt vmcnt(2)
	v_add_f64 v[2:3], v[42:43], -v[2:3]
	s_waitcnt vmcnt(0)
	v_add_f64 v[4:5], v[44:45], -v[4:5]
	buffer_store_dword v3, off, s[0:3], 0 offset:804
	buffer_store_dword v2, off, s[0:3], 0 offset:800
	;; [unrolled: 1-line block ×4, first 2 shown]
	s_and_saveexec_b64 s[4:5], vcc
	s_cbranch_execz .LBB118_247
; %bb.246:
	v_accvgpr_read_b32 v0, a116
	buffer_load_dword v2, v0, s[0:3], 0 offen
	buffer_load_dword v3, v0, s[0:3], 0 offen offset:4
	buffer_load_dword v4, v0, s[0:3], 0 offen offset:8
	;; [unrolled: 1-line block ×3, first 2 shown]
	v_accvgpr_read_b32 v0, a165
	buffer_store_dword v1, off, s[0:3], 0 offset:784
	buffer_store_dword v1, off, s[0:3], 0 offset:788
	;; [unrolled: 1-line block ×4, first 2 shown]
	s_waitcnt vmcnt(4)
	ds_write_b128 v0, v[2:5]
.LBB118_247:
	s_or_b64 exec, exec, s[4:5]
	s_waitcnt lgkmcnt(0)
	; wave barrier
	s_waitcnt lgkmcnt(0)
	buffer_load_dword v26, off, s[0:3], 0 offset:808
	buffer_load_dword v27, off, s[0:3], 0 offset:812
	buffer_load_dword v28, off, s[0:3], 0 offset:824
	buffer_load_dword v29, off, s[0:3], 0 offset:828
	buffer_load_dword v30, off, s[0:3], 0 offset:840
	buffer_load_dword v31, off, s[0:3], 0 offset:844
	buffer_load_dword v33, off, s[0:3], 0 offset:876
	buffer_load_dword v32, off, s[0:3], 0 offset:872
	buffer_load_dword v34, off, s[0:3], 0 offset:864
	buffer_load_dword v37, off, s[0:3], 0 offset:860
	buffer_load_dword v36, off, s[0:3], 0 offset:856
	buffer_load_dword v39, off, s[0:3], 0 offset:892
	buffer_load_dword v38, off, s[0:3], 0 offset:888
	buffer_load_dword v35, off, s[0:3], 0 offset:868
	buffer_load_dword v40, off, s[0:3], 0 offset:800
	buffer_load_dword v41, off, s[0:3], 0 offset:804
	buffer_load_dword v42, off, s[0:3], 0 offset:816
	buffer_load_dword v43, off, s[0:3], 0 offset:820
	buffer_load_dword v44, off, s[0:3], 0 offset:832
	buffer_load_dword v45, off, s[0:3], 0 offset:836
	buffer_load_dword v47, off, s[0:3], 0 offset:852
	buffer_load_dword v46, off, s[0:3], 0 offset:848
	buffer_load_dword v49, off, s[0:3], 0 offset:884
	buffer_load_dword v48, off, s[0:3], 0 offset:880
	buffer_load_dword v50, off, s[0:3], 0 offset:784
	buffer_load_dword v51, off, s[0:3], 0 offset:788
	buffer_load_dword v52, off, s[0:3], 0 offset:792
	buffer_load_dword v53, off, s[0:3], 0 offset:796
	ds_read_b128 v[2:5], v1 offset:1664
	ds_read_b128 v[6:9], v1 offset:1680
	;; [unrolled: 1-line block ×6, first 2 shown]
	v_cmp_lt_u32_e32 vcc, 47, v254
	s_waitcnt vmcnt(26) lgkmcnt(5)
	v_mul_f64 v[54:55], v[2:3], v[26:27]
	v_mul_f64 v[26:27], v[4:5], v[26:27]
	s_waitcnt vmcnt(24) lgkmcnt(4)
	v_mul_f64 v[56:57], v[6:7], v[28:29]
	v_mul_f64 v[28:29], v[8:9], v[28:29]
	;; [unrolled: 3-line block ×4, first 2 shown]
	s_waitcnt vmcnt(17)
	v_mul_f64 v[60:61], v[14:15], v[36:37]
	v_mul_f64 v[36:37], v[16:17], v[36:37]
	s_waitcnt vmcnt(15) lgkmcnt(0)
	v_mul_f64 v[64:65], v[22:23], v[38:39]
	v_mul_f64 v[38:39], v[24:25], v[38:39]
	s_waitcnt vmcnt(14)
	v_fmac_f64_e32 v[62:63], v[20:21], v[34:35]
	s_waitcnt vmcnt(12)
	v_fma_f64 v[2:3], v[2:3], v[40:41], -v[26:27]
	v_fmac_f64_e32 v[54:55], v[4:5], v[40:41]
	s_waitcnt vmcnt(10)
	v_fma_f64 v[4:5], v[6:7], v[42:43], -v[28:29]
	v_add_f64 v[2:3], v[2:3], 0
	v_fmac_f64_e32 v[56:57], v[8:9], v[42:43]
	s_waitcnt vmcnt(8)
	v_fma_f64 v[6:7], v[10:11], v[44:45], -v[30:31]
	s_waitcnt vmcnt(6)
	v_fma_f64 v[8:9], v[14:15], v[46:47], -v[36:37]
	v_add_f64 v[14:15], v[54:55], 0
	v_add_f64 v[2:3], v[2:3], v[4:5]
	v_fmac_f64_e32 v[58:59], v[12:13], v[44:45]
	v_add_f64 v[14:15], v[14:15], v[56:57]
	v_add_f64 v[2:3], v[2:3], v[6:7]
	v_fmac_f64_e32 v[60:61], v[16:17], v[46:47]
	v_fma_f64 v[10:11], v[18:19], v[34:35], -v[32:33]
	v_add_f64 v[4:5], v[14:15], v[58:59]
	v_add_f64 v[2:3], v[2:3], v[8:9]
	s_waitcnt vmcnt(4)
	v_fma_f64 v[12:13], v[22:23], v[48:49], -v[38:39]
	v_add_f64 v[4:5], v[4:5], v[60:61]
	v_add_f64 v[2:3], v[2:3], v[10:11]
	v_fmac_f64_e32 v[64:65], v[24:25], v[48:49]
	v_add_f64 v[4:5], v[4:5], v[62:63]
	v_add_f64 v[2:3], v[2:3], v[12:13]
	;; [unrolled: 1-line block ×3, first 2 shown]
	s_waitcnt vmcnt(2)
	v_add_f64 v[2:3], v[50:51], -v[2:3]
	s_waitcnt vmcnt(0)
	v_add_f64 v[4:5], v[52:53], -v[4:5]
	buffer_store_dword v3, off, s[0:3], 0 offset:788
	buffer_store_dword v2, off, s[0:3], 0 offset:784
	;; [unrolled: 1-line block ×4, first 2 shown]
	s_and_saveexec_b64 s[4:5], vcc
	s_cbranch_execz .LBB118_249
; %bb.248:
	v_accvgpr_read_b32 v0, a117
	buffer_load_dword v2, v0, s[0:3], 0 offen
	buffer_load_dword v3, v0, s[0:3], 0 offen offset:4
	buffer_load_dword v4, v0, s[0:3], 0 offen offset:8
	;; [unrolled: 1-line block ×3, first 2 shown]
	v_mov_b32_e32 v0, 0
	v_accvgpr_read_b32 v1, a165
	buffer_store_dword v0, off, s[0:3], 0 offset:768
	buffer_store_dword v0, off, s[0:3], 0 offset:772
	;; [unrolled: 1-line block ×4, first 2 shown]
	s_waitcnt vmcnt(4)
	ds_write_b128 v1, v[2:5]
.LBB118_249:
	s_or_b64 exec, exec, s[4:5]
	s_waitcnt lgkmcnt(0)
	; wave barrier
	s_waitcnt lgkmcnt(0)
	buffer_load_dword v30, off, s[0:3], 0 offset:792
	buffer_load_dword v31, off, s[0:3], 0 offset:796
	buffer_load_dword v32, off, s[0:3], 0 offset:808
	buffer_load_dword v33, off, s[0:3], 0 offset:812
	buffer_load_dword v34, off, s[0:3], 0 offset:824
	buffer_load_dword v35, off, s[0:3], 0 offset:828
	buffer_load_dword v37, off, s[0:3], 0 offset:860
	buffer_load_dword v36, off, s[0:3], 0 offset:856
	buffer_load_dword v38, off, s[0:3], 0 offset:848
	buffer_load_dword v41, off, s[0:3], 0 offset:844
	buffer_load_dword v40, off, s[0:3], 0 offset:840
	buffer_load_dword v42, off, s[0:3], 0 offset:888
	buffer_load_dword v44, off, s[0:3], 0 offset:880
	buffer_load_dword v47, off, s[0:3], 0 offset:876
	buffer_load_dword v46, off, s[0:3], 0 offset:872
	buffer_load_dword v43, off, s[0:3], 0 offset:892
	buffer_load_dword v39, off, s[0:3], 0 offset:852
	buffer_load_dword v48, off, s[0:3], 0 offset:784
	buffer_load_dword v49, off, s[0:3], 0 offset:788
	buffer_load_dword v50, off, s[0:3], 0 offset:800
	buffer_load_dword v51, off, s[0:3], 0 offset:804
	buffer_load_dword v52, off, s[0:3], 0 offset:816
	buffer_load_dword v53, off, s[0:3], 0 offset:820
	buffer_load_dword v55, off, s[0:3], 0 offset:836
	buffer_load_dword v54, off, s[0:3], 0 offset:832
	buffer_load_dword v57, off, s[0:3], 0 offset:868
	buffer_load_dword v56, off, s[0:3], 0 offset:864
	buffer_load_dword v45, off, s[0:3], 0 offset:884
	buffer_load_dword v58, off, s[0:3], 0 offset:768
	buffer_load_dword v59, off, s[0:3], 0 offset:772
	buffer_load_dword v60, off, s[0:3], 0 offset:776
	buffer_load_dword v61, off, s[0:3], 0 offset:780
	v_mov_b32_e32 v1, 0
	ds_read_b128 v[2:5], v1 offset:1648
	ds_read_b128 v[6:9], v1 offset:1664
	;; [unrolled: 1-line block ×7, first 2 shown]
	v_cmp_lt_u32_e32 vcc, 46, v254
	s_waitcnt vmcnt(30) lgkmcnt(6)
	v_mul_f64 v[62:63], v[2:3], v[30:31]
	v_mul_f64 v[30:31], v[4:5], v[30:31]
	s_waitcnt vmcnt(28) lgkmcnt(5)
	v_mul_f64 v[64:65], v[6:7], v[32:33]
	v_mul_f64 v[32:33], v[8:9], v[32:33]
	;; [unrolled: 3-line block ×4, first 2 shown]
	s_waitcnt vmcnt(21)
	v_mul_f64 v[68:69], v[14:15], v[40:41]
	v_mul_f64 v[40:41], v[16:17], v[40:41]
	s_waitcnt vmcnt(17) lgkmcnt(1)
	v_mul_f64 v[72:73], v[22:23], v[46:47]
	v_mul_f64 v[46:47], v[24:25], v[46:47]
	s_waitcnt vmcnt(16) lgkmcnt(0)
	v_mul_f64 v[74:75], v[26:27], v[42:43]
	v_mul_f64 v[42:43], v[28:29], v[42:43]
	s_waitcnt vmcnt(13)
	v_fma_f64 v[2:3], v[2:3], v[48:49], -v[30:31]
	v_fmac_f64_e32 v[62:63], v[4:5], v[48:49]
	s_waitcnt vmcnt(11)
	v_fma_f64 v[4:5], v[6:7], v[50:51], -v[32:33]
	v_add_f64 v[2:3], v[2:3], 0
	v_fmac_f64_e32 v[64:65], v[8:9], v[50:51]
	s_waitcnt vmcnt(9)
	v_fma_f64 v[6:7], v[10:11], v[52:53], -v[34:35]
	s_waitcnt vmcnt(7)
	v_fmac_f64_e32 v[68:69], v[16:17], v[54:55]
	v_add_f64 v[16:17], v[62:63], 0
	v_add_f64 v[2:3], v[2:3], v[4:5]
	v_fmac_f64_e32 v[66:67], v[12:13], v[52:53]
	v_fma_f64 v[8:9], v[14:15], v[54:55], -v[40:41]
	v_add_f64 v[16:17], v[16:17], v[64:65]
	v_add_f64 v[2:3], v[2:3], v[6:7]
	v_fma_f64 v[10:11], v[18:19], v[38:39], -v[36:37]
	v_add_f64 v[4:5], v[16:17], v[66:67]
	v_add_f64 v[2:3], v[2:3], v[8:9]
	v_fmac_f64_e32 v[70:71], v[20:21], v[38:39]
	s_waitcnt vmcnt(5)
	v_fma_f64 v[12:13], v[22:23], v[56:57], -v[46:47]
	v_add_f64 v[4:5], v[4:5], v[68:69]
	v_add_f64 v[2:3], v[2:3], v[10:11]
	v_fmac_f64_e32 v[72:73], v[24:25], v[56:57]
	s_waitcnt vmcnt(4)
	v_fma_f64 v[14:15], v[26:27], v[44:45], -v[42:43]
	v_add_f64 v[4:5], v[4:5], v[70:71]
	v_add_f64 v[2:3], v[2:3], v[12:13]
	v_fmac_f64_e32 v[74:75], v[28:29], v[44:45]
	v_add_f64 v[4:5], v[4:5], v[72:73]
	v_add_f64 v[2:3], v[2:3], v[14:15]
	v_add_f64 v[4:5], v[4:5], v[74:75]
	s_waitcnt vmcnt(2)
	v_add_f64 v[2:3], v[58:59], -v[2:3]
	s_waitcnt vmcnt(0)
	v_add_f64 v[4:5], v[60:61], -v[4:5]
	buffer_store_dword v3, off, s[0:3], 0 offset:772
	buffer_store_dword v2, off, s[0:3], 0 offset:768
	;; [unrolled: 1-line block ×4, first 2 shown]
	s_and_saveexec_b64 s[4:5], vcc
	s_cbranch_execz .LBB118_251
; %bb.250:
	v_accvgpr_read_b32 v0, a118
	buffer_load_dword v2, v0, s[0:3], 0 offen
	buffer_load_dword v3, v0, s[0:3], 0 offen offset:4
	buffer_load_dword v4, v0, s[0:3], 0 offen offset:8
	;; [unrolled: 1-line block ×3, first 2 shown]
	v_accvgpr_read_b32 v0, a165
	buffer_store_dword v1, off, s[0:3], 0 offset:752
	buffer_store_dword v1, off, s[0:3], 0 offset:756
	;; [unrolled: 1-line block ×4, first 2 shown]
	s_waitcnt vmcnt(4)
	ds_write_b128 v0, v[2:5]
.LBB118_251:
	s_or_b64 exec, exec, s[4:5]
	s_waitcnt lgkmcnt(0)
	; wave barrier
	s_waitcnt lgkmcnt(0)
	buffer_load_dword v34, off, s[0:3], 0 offset:776
	buffer_load_dword v35, off, s[0:3], 0 offset:780
	;; [unrolled: 1-line block ×36, first 2 shown]
	ds_read_b128 v[2:5], v1 offset:1632
	ds_read_b128 v[6:9], v1 offset:1648
	;; [unrolled: 1-line block ×8, first 2 shown]
	v_cmp_lt_u32_e32 vcc, 45, v254
	s_waitcnt vmcnt(34) lgkmcnt(7)
	v_mul_f64 v[70:71], v[2:3], v[34:35]
	v_mul_f64 v[34:35], v[4:5], v[34:35]
	s_waitcnt vmcnt(32) lgkmcnt(6)
	v_mul_f64 v[72:73], v[6:7], v[36:37]
	v_mul_f64 v[36:37], v[8:9], v[36:37]
	;; [unrolled: 3-line block ×4, first 2 shown]
	s_waitcnt vmcnt(25)
	v_mul_f64 v[76:77], v[14:15], v[44:45]
	v_mul_f64 v[44:45], v[16:17], v[44:45]
	s_waitcnt vmcnt(23) lgkmcnt(1)
	v_mul_f64 v[82:83], v[26:27], v[46:47]
	v_mul_f64 v[46:47], v[28:29], v[46:47]
	s_waitcnt vmcnt(20)
	v_mul_f64 v[80:81], v[22:23], v[50:51]
	v_mul_f64 v[50:51], v[24:25], v[50:51]
	s_waitcnt vmcnt(18) lgkmcnt(0)
	v_mul_f64 v[84:85], v[30:31], v[52:53]
	s_waitcnt vmcnt(17)
	v_fmac_f64_e32 v[78:79], v[20:21], v[42:43]
	s_waitcnt vmcnt(16)
	v_fmac_f64_e32 v[82:83], v[28:29], v[48:49]
	s_waitcnt vmcnt(14)
	v_fma_f64 v[2:3], v[2:3], v[54:55], -v[34:35]
	v_fmac_f64_e32 v[70:71], v[4:5], v[54:55]
	s_waitcnt vmcnt(12)
	v_fma_f64 v[4:5], v[6:7], v[56:57], -v[36:37]
	v_add_f64 v[2:3], v[2:3], 0
	v_fmac_f64_e32 v[72:73], v[8:9], v[56:57]
	s_waitcnt vmcnt(10)
	v_fma_f64 v[6:7], v[10:11], v[58:59], -v[38:39]
	s_waitcnt vmcnt(8)
	v_fmac_f64_e32 v[76:77], v[16:17], v[60:61]
	v_add_f64 v[16:17], v[70:71], 0
	v_add_f64 v[2:3], v[2:3], v[4:5]
	v_fmac_f64_e32 v[74:75], v[12:13], v[58:59]
	v_fma_f64 v[8:9], v[14:15], v[60:61], -v[44:45]
	v_add_f64 v[16:17], v[16:17], v[72:73]
	v_add_f64 v[2:3], v[2:3], v[6:7]
	v_fma_f64 v[10:11], v[18:19], v[42:43], -v[40:41]
	v_add_f64 v[4:5], v[16:17], v[74:75]
	v_add_f64 v[2:3], v[2:3], v[8:9]
	s_waitcnt vmcnt(6)
	v_fma_f64 v[12:13], v[22:23], v[62:63], -v[50:51]
	v_add_f64 v[4:5], v[4:5], v[76:77]
	v_add_f64 v[2:3], v[2:3], v[10:11]
	v_fmac_f64_e32 v[80:81], v[24:25], v[62:63]
	v_fma_f64 v[14:15], v[26:27], v[48:49], -v[46:47]
	v_add_f64 v[4:5], v[4:5], v[78:79]
	v_add_f64 v[2:3], v[2:3], v[12:13]
	v_mul_f64 v[6:7], v[32:33], v[52:53]
	v_add_f64 v[4:5], v[4:5], v[80:81]
	v_add_f64 v[2:3], v[2:3], v[14:15]
	s_waitcnt vmcnt(4)
	v_fma_f64 v[6:7], v[30:31], v[64:65], -v[6:7]
	v_fmac_f64_e32 v[84:85], v[32:33], v[64:65]
	v_add_f64 v[4:5], v[4:5], v[82:83]
	v_add_f64 v[2:3], v[2:3], v[6:7]
	v_add_f64 v[4:5], v[4:5], v[84:85]
	s_waitcnt vmcnt(2)
	v_add_f64 v[2:3], v[66:67], -v[2:3]
	s_waitcnt vmcnt(0)
	v_add_f64 v[4:5], v[68:69], -v[4:5]
	buffer_store_dword v3, off, s[0:3], 0 offset:756
	buffer_store_dword v2, off, s[0:3], 0 offset:752
	;; [unrolled: 1-line block ×4, first 2 shown]
	s_and_saveexec_b64 s[4:5], vcc
	s_cbranch_execz .LBB118_253
; %bb.252:
	v_accvgpr_read_b32 v0, a119
	buffer_load_dword v2, v0, s[0:3], 0 offen
	buffer_load_dword v3, v0, s[0:3], 0 offen offset:4
	buffer_load_dword v4, v0, s[0:3], 0 offen offset:8
	;; [unrolled: 1-line block ×3, first 2 shown]
	v_mov_b32_e32 v0, 0
	v_accvgpr_read_b32 v1, a165
	buffer_store_dword v0, off, s[0:3], 0 offset:736
	buffer_store_dword v0, off, s[0:3], 0 offset:740
	;; [unrolled: 1-line block ×4, first 2 shown]
	s_waitcnt vmcnt(4)
	ds_write_b128 v1, v[2:5]
.LBB118_253:
	s_or_b64 exec, exec, s[4:5]
	v_mov_b32_e32 v1, 0
	s_waitcnt lgkmcnt(0)
	; wave barrier
	s_waitcnt lgkmcnt(0)
	ds_read_b128 v[18:21], v1 offset:1616
	ds_read_b128 v[14:17], v1 offset:1632
	;; [unrolled: 1-line block ×4, first 2 shown]
	buffer_load_dword v40, off, s[0:3], 0 offset:736
	buffer_load_dword v41, off, s[0:3], 0 offset:740
	;; [unrolled: 1-line block ×20, first 2 shown]
	v_cmp_lt_u32_e32 vcc, 44, v254
	s_waitcnt vmcnt(12) lgkmcnt(3)
	v_mul_f64 v[6:7], v[18:19], v[56:57]
	v_fmac_f64_e32 v[6:7], v[20:21], v[44:45]
	v_add_f64 v[6:7], v[6:7], 0
	v_mul_f64 v[20:21], v[20:21], v[56:57]
	s_waitcnt vmcnt(8) lgkmcnt(2)
	v_mul_f64 v[8:9], v[14:15], v[54:55]
	v_fmac_f64_e32 v[8:9], v[16:17], v[50:51]
	v_add_f64 v[6:7], v[6:7], v[8:9]
	v_fma_f64 v[18:19], v[18:19], v[44:45], -v[20:21]
	s_waitcnt vmcnt(4) lgkmcnt(1)
	v_mul_f64 v[8:9], v[10:11], v[52:53]
	v_fmac_f64_e32 v[8:9], v[12:13], v[48:49]
	v_add_f64 v[6:7], v[6:7], v[8:9]
	s_waitcnt vmcnt(0) lgkmcnt(0)
	v_mul_f64 v[8:9], v[2:3], v[58:59]
	v_fmac_f64_e32 v[8:9], v[4:5], v[46:47]
	v_add_f64 v[22:23], v[6:7], v[8:9]
	ds_read_b128 v[6:9], v1 offset:1680
	buffer_load_dword v43, off, s[0:3], 0 offset:820
	buffer_load_dword v42, off, s[0:3], 0 offset:816
	;; [unrolled: 1-line block ×4, first 2 shown]
	v_mul_f64 v[16:17], v[16:17], v[54:55]
	v_add_f64 v[18:19], v[18:19], 0
	v_fma_f64 v[14:15], v[14:15], v[50:51], -v[16:17]
	v_mul_f64 v[12:13], v[12:13], v[52:53]
	v_add_f64 v[14:15], v[18:19], v[14:15]
	v_fma_f64 v[10:11], v[10:11], v[48:49], -v[12:13]
	v_mul_f64 v[4:5], v[4:5], v[58:59]
	v_add_f64 v[10:11], v[14:15], v[10:11]
	v_fma_f64 v[2:3], v[2:3], v[46:47], -v[4:5]
	v_add_f64 v[2:3], v[10:11], v[2:3]
	s_waitcnt vmcnt(0) lgkmcnt(0)
	v_mul_f64 v[24:25], v[6:7], v[60:61]
	v_fmac_f64_e32 v[24:25], v[8:9], v[42:43]
	v_add_f64 v[26:27], v[22:23], v[24:25]
	ds_read_b128 v[22:25], v1 offset:1696
	buffer_load_dword v63, off, s[0:3], 0 offset:836
	buffer_load_dword v62, off, s[0:3], 0 offset:832
	buffer_load_dword v65, off, s[0:3], 0 offset:844
	buffer_load_dword v64, off, s[0:3], 0 offset:840
	v_mul_f64 v[4:5], v[8:9], v[60:61]
	v_fma_f64 v[4:5], v[6:7], v[42:43], -v[4:5]
	v_add_f64 v[2:3], v[2:3], v[4:5]
	s_waitcnt vmcnt(0) lgkmcnt(0)
	v_mul_f64 v[28:29], v[22:23], v[64:65]
	v_fmac_f64_e32 v[28:29], v[24:25], v[62:63]
	v_add_f64 v[30:31], v[26:27], v[28:29]
	ds_read_b128 v[26:29], v1 offset:1712
	buffer_load_dword v67, off, s[0:3], 0 offset:852
	buffer_load_dword v66, off, s[0:3], 0 offset:848
	buffer_load_dword v69, off, s[0:3], 0 offset:860
	buffer_load_dword v68, off, s[0:3], 0 offset:856
	v_mul_f64 v[4:5], v[24:25], v[64:65]
	v_fma_f64 v[4:5], v[22:23], v[62:63], -v[4:5]
	;; [unrolled: 12-line block ×4, first 2 shown]
	v_add_f64 v[2:3], v[2:3], v[4:5]
	s_waitcnt vmcnt(0) lgkmcnt(0)
	v_mul_f64 v[4:5], v[36:37], v[76:77]
	v_mul_f64 v[80:81], v[34:35], v[76:77]
	v_fma_f64 v[4:5], v[34:35], v[74:75], -v[4:5]
	v_fmac_f64_e32 v[80:81], v[36:37], v[74:75]
	v_add_f64 v[2:3], v[2:3], v[4:5]
	v_add_f64 v[78:79], v[78:79], v[80:81]
	v_add_f64 v[2:3], v[40:41], -v[2:3]
	v_add_f64 v[4:5], v[38:39], -v[78:79]
	buffer_store_dword v3, off, s[0:3], 0 offset:740
	buffer_store_dword v2, off, s[0:3], 0 offset:736
	buffer_store_dword v5, off, s[0:3], 0 offset:748
	buffer_store_dword v4, off, s[0:3], 0 offset:744
	s_and_saveexec_b64 s[4:5], vcc
	s_cbranch_execz .LBB118_255
; %bb.254:
	v_accvgpr_read_b32 v0, a120
	buffer_load_dword v2, v0, s[0:3], 0 offen
	buffer_load_dword v3, v0, s[0:3], 0 offen offset:4
	buffer_load_dword v4, v0, s[0:3], 0 offen offset:8
	;; [unrolled: 1-line block ×3, first 2 shown]
	v_accvgpr_read_b32 v0, a165
	buffer_store_dword v1, off, s[0:3], 0 offset:720
	buffer_store_dword v1, off, s[0:3], 0 offset:724
	;; [unrolled: 1-line block ×4, first 2 shown]
	s_waitcnt vmcnt(4)
	ds_write_b128 v0, v[2:5]
.LBB118_255:
	s_or_b64 exec, exec, s[4:5]
	s_waitcnt lgkmcnt(0)
	; wave barrier
	s_waitcnt lgkmcnt(0)
	ds_read_b128 v[18:21], v1 offset:1600
	ds_read_b128 v[10:13], v1 offset:1616
	;; [unrolled: 1-line block ×4, first 2 shown]
	buffer_load_dword v44, off, s[0:3], 0 offset:720
	buffer_load_dword v45, off, s[0:3], 0 offset:724
	;; [unrolled: 1-line block ×20, first 2 shown]
	v_cmp_lt_u32_e32 vcc, 43, v254
	s_waitcnt vmcnt(12) lgkmcnt(3)
	v_mul_f64 v[14:15], v[18:19], v[62:63]
	v_fmac_f64_e32 v[14:15], v[20:21], v[58:59]
	v_add_f64 v[14:15], v[14:15], 0
	v_mul_f64 v[20:21], v[20:21], v[62:63]
	s_waitcnt vmcnt(8) lgkmcnt(2)
	v_mul_f64 v[16:17], v[10:11], v[60:61]
	v_fmac_f64_e32 v[16:17], v[12:13], v[56:57]
	v_add_f64 v[14:15], v[14:15], v[16:17]
	v_fma_f64 v[18:19], v[18:19], v[58:59], -v[20:21]
	s_waitcnt vmcnt(4) lgkmcnt(1)
	v_mul_f64 v[16:17], v[6:7], v[48:49]
	v_fmac_f64_e32 v[16:17], v[8:9], v[46:47]
	v_add_f64 v[14:15], v[14:15], v[16:17]
	s_waitcnt vmcnt(0) lgkmcnt(0)
	v_mul_f64 v[16:17], v[2:3], v[52:53]
	v_fmac_f64_e32 v[16:17], v[4:5], v[50:51]
	v_add_f64 v[22:23], v[14:15], v[16:17]
	ds_read_b128 v[14:17], v1 offset:1664
	buffer_load_dword v55, off, s[0:3], 0 offset:804
	buffer_load_dword v54, off, s[0:3], 0 offset:800
	;; [unrolled: 1-line block ×4, first 2 shown]
	v_mul_f64 v[12:13], v[12:13], v[60:61]
	v_add_f64 v[18:19], v[18:19], 0
	v_fma_f64 v[10:11], v[10:11], v[56:57], -v[12:13]
	v_mul_f64 v[8:9], v[8:9], v[48:49]
	v_add_f64 v[10:11], v[18:19], v[10:11]
	v_fma_f64 v[6:7], v[6:7], v[46:47], -v[8:9]
	;; [unrolled: 3-line block ×3, first 2 shown]
	v_add_f64 v[2:3], v[6:7], v[2:3]
	s_waitcnt vmcnt(0) lgkmcnt(0)
	v_mul_f64 v[24:25], v[14:15], v[64:65]
	v_fmac_f64_e32 v[24:25], v[16:17], v[54:55]
	v_add_f64 v[26:27], v[22:23], v[24:25]
	ds_read_b128 v[22:25], v1 offset:1680
	buffer_load_dword v67, off, s[0:3], 0 offset:820
	buffer_load_dword v66, off, s[0:3], 0 offset:816
	buffer_load_dword v69, off, s[0:3], 0 offset:828
	buffer_load_dword v68, off, s[0:3], 0 offset:824
	v_mul_f64 v[4:5], v[16:17], v[64:65]
	v_fma_f64 v[4:5], v[14:15], v[54:55], -v[4:5]
	v_add_f64 v[2:3], v[2:3], v[4:5]
	s_waitcnt vmcnt(0) lgkmcnt(0)
	v_mul_f64 v[28:29], v[22:23], v[68:69]
	v_fmac_f64_e32 v[28:29], v[24:25], v[66:67]
	v_add_f64 v[30:31], v[26:27], v[28:29]
	ds_read_b128 v[26:29], v1 offset:1696
	buffer_load_dword v71, off, s[0:3], 0 offset:836
	buffer_load_dword v70, off, s[0:3], 0 offset:832
	buffer_load_dword v73, off, s[0:3], 0 offset:844
	buffer_load_dword v72, off, s[0:3], 0 offset:840
	v_mul_f64 v[4:5], v[24:25], v[68:69]
	v_fma_f64 v[4:5], v[22:23], v[66:67], -v[4:5]
	;; [unrolled: 12-line block ×5, first 2 shown]
	v_add_f64 v[2:3], v[2:3], v[4:5]
	s_waitcnt vmcnt(0) lgkmcnt(0)
	v_mul_f64 v[4:5], v[40:41], v[86:87]
	v_mul_f64 v[88:89], v[38:39], v[86:87]
	v_fma_f64 v[4:5], v[38:39], v[82:83], -v[4:5]
	v_fmac_f64_e32 v[88:89], v[40:41], v[82:83]
	v_add_f64 v[2:3], v[2:3], v[4:5]
	v_add_f64 v[84:85], v[84:85], v[88:89]
	v_add_f64 v[2:3], v[44:45], -v[2:3]
	v_add_f64 v[4:5], v[42:43], -v[84:85]
	buffer_store_dword v3, off, s[0:3], 0 offset:724
	buffer_store_dword v2, off, s[0:3], 0 offset:720
	;; [unrolled: 1-line block ×4, first 2 shown]
	s_and_saveexec_b64 s[4:5], vcc
	s_cbranch_execz .LBB118_257
; %bb.256:
	v_accvgpr_read_b32 v0, a121
	buffer_load_dword v2, v0, s[0:3], 0 offen
	buffer_load_dword v3, v0, s[0:3], 0 offen offset:4
	buffer_load_dword v4, v0, s[0:3], 0 offen offset:8
	;; [unrolled: 1-line block ×3, first 2 shown]
	v_mov_b32_e32 v0, 0
	v_accvgpr_read_b32 v1, a165
	buffer_store_dword v0, off, s[0:3], 0 offset:704
	buffer_store_dword v0, off, s[0:3], 0 offset:708
	;; [unrolled: 1-line block ×4, first 2 shown]
	s_waitcnt vmcnt(4)
	ds_write_b128 v1, v[2:5]
.LBB118_257:
	s_or_b64 exec, exec, s[4:5]
	v_mov_b32_e32 v1, 0
	s_waitcnt lgkmcnt(0)
	; wave barrier
	s_waitcnt lgkmcnt(0)
	ds_read_b128 v[14:17], v1 offset:1584
	ds_read_b128 v[10:13], v1 offset:1600
	;; [unrolled: 1-line block ×4, first 2 shown]
	buffer_load_dword v48, off, s[0:3], 0 offset:704
	buffer_load_dword v49, off, s[0:3], 0 offset:708
	;; [unrolled: 1-line block ×20, first 2 shown]
	v_cmp_lt_u32_e32 vcc, 42, v254
	s_waitcnt vmcnt(12) lgkmcnt(3)
	v_mul_f64 v[18:19], v[14:15], v[56:57]
	v_fmac_f64_e32 v[18:19], v[16:17], v[50:51]
	v_add_f64 v[18:19], v[18:19], 0
	v_mul_f64 v[16:17], v[16:17], v[56:57]
	s_waitcnt vmcnt(8) lgkmcnt(2)
	v_mul_f64 v[20:21], v[10:11], v[58:59]
	v_fmac_f64_e32 v[20:21], v[12:13], v[52:53]
	v_add_f64 v[18:19], v[18:19], v[20:21]
	v_fma_f64 v[14:15], v[14:15], v[50:51], -v[16:17]
	s_waitcnt vmcnt(4) lgkmcnt(1)
	v_mul_f64 v[20:21], v[6:7], v[60:61]
	v_fmac_f64_e32 v[20:21], v[8:9], v[54:55]
	v_add_f64 v[18:19], v[18:19], v[20:21]
	s_waitcnt vmcnt(0) lgkmcnt(0)
	v_mul_f64 v[20:21], v[2:3], v[64:65]
	v_fmac_f64_e32 v[20:21], v[4:5], v[62:63]
	v_add_f64 v[22:23], v[18:19], v[20:21]
	ds_read_b128 v[18:21], v1 offset:1648
	buffer_load_dword v67, off, s[0:3], 0 offset:788
	buffer_load_dword v66, off, s[0:3], 0 offset:784
	;; [unrolled: 1-line block ×4, first 2 shown]
	v_mul_f64 v[12:13], v[12:13], v[58:59]
	v_add_f64 v[14:15], v[14:15], 0
	v_fma_f64 v[10:11], v[10:11], v[52:53], -v[12:13]
	v_mul_f64 v[8:9], v[8:9], v[60:61]
	v_add_f64 v[10:11], v[14:15], v[10:11]
	v_fma_f64 v[6:7], v[6:7], v[54:55], -v[8:9]
	;; [unrolled: 3-line block ×3, first 2 shown]
	v_add_f64 v[2:3], v[6:7], v[2:3]
	s_waitcnt vmcnt(0) lgkmcnt(0)
	v_mul_f64 v[24:25], v[18:19], v[68:69]
	v_fmac_f64_e32 v[24:25], v[20:21], v[66:67]
	v_add_f64 v[26:27], v[22:23], v[24:25]
	ds_read_b128 v[22:25], v1 offset:1664
	buffer_load_dword v71, off, s[0:3], 0 offset:804
	buffer_load_dword v70, off, s[0:3], 0 offset:800
	buffer_load_dword v73, off, s[0:3], 0 offset:812
	buffer_load_dword v72, off, s[0:3], 0 offset:808
	v_mul_f64 v[4:5], v[20:21], v[68:69]
	v_fma_f64 v[4:5], v[18:19], v[66:67], -v[4:5]
	v_add_f64 v[2:3], v[2:3], v[4:5]
	s_waitcnt vmcnt(0) lgkmcnt(0)
	v_mul_f64 v[28:29], v[22:23], v[72:73]
	v_fmac_f64_e32 v[28:29], v[24:25], v[70:71]
	v_add_f64 v[30:31], v[26:27], v[28:29]
	ds_read_b128 v[26:29], v1 offset:1680
	buffer_load_dword v75, off, s[0:3], 0 offset:820
	buffer_load_dword v74, off, s[0:3], 0 offset:816
	buffer_load_dword v77, off, s[0:3], 0 offset:828
	buffer_load_dword v76, off, s[0:3], 0 offset:824
	v_mul_f64 v[4:5], v[24:25], v[72:73]
	v_fma_f64 v[4:5], v[22:23], v[70:71], -v[4:5]
	;; [unrolled: 12-line block ×6, first 2 shown]
	v_add_f64 v[2:3], v[2:3], v[4:5]
	s_waitcnt vmcnt(0) lgkmcnt(0)
	v_mul_f64 v[4:5], v[44:45], v[92:93]
	v_mul_f64 v[96:97], v[42:43], v[92:93]
	v_fma_f64 v[4:5], v[42:43], v[90:91], -v[4:5]
	v_fmac_f64_e32 v[96:97], v[44:45], v[90:91]
	v_add_f64 v[2:3], v[2:3], v[4:5]
	v_add_f64 v[94:95], v[94:95], v[96:97]
	v_add_f64 v[2:3], v[48:49], -v[2:3]
	v_add_f64 v[4:5], v[46:47], -v[94:95]
	buffer_store_dword v3, off, s[0:3], 0 offset:708
	buffer_store_dword v2, off, s[0:3], 0 offset:704
	;; [unrolled: 1-line block ×4, first 2 shown]
	s_and_saveexec_b64 s[4:5], vcc
	s_cbranch_execz .LBB118_259
; %bb.258:
	v_accvgpr_read_b32 v0, a122
	buffer_load_dword v2, v0, s[0:3], 0 offen
	buffer_load_dword v3, v0, s[0:3], 0 offen offset:4
	buffer_load_dword v4, v0, s[0:3], 0 offen offset:8
	;; [unrolled: 1-line block ×3, first 2 shown]
	v_accvgpr_read_b32 v0, a165
	buffer_store_dword v1, off, s[0:3], 0 offset:688
	buffer_store_dword v1, off, s[0:3], 0 offset:692
	;; [unrolled: 1-line block ×4, first 2 shown]
	s_waitcnt vmcnt(4)
	ds_write_b128 v0, v[2:5]
.LBB118_259:
	s_or_b64 exec, exec, s[4:5]
	s_waitcnt lgkmcnt(0)
	; wave barrier
	s_waitcnt lgkmcnt(0)
	ds_read_b128 v[14:17], v1 offset:1568
	ds_read_b128 v[10:13], v1 offset:1584
	;; [unrolled: 1-line block ×4, first 2 shown]
	buffer_load_dword v48, off, s[0:3], 0 offset:688
	buffer_load_dword v49, off, s[0:3], 0 offset:692
	;; [unrolled: 1-line block ×20, first 2 shown]
	v_cmp_lt_u32_e32 vcc, 41, v254
	s_waitcnt vmcnt(12) lgkmcnt(3)
	v_mul_f64 v[18:19], v[14:15], v[56:57]
	v_fmac_f64_e32 v[18:19], v[16:17], v[50:51]
	v_add_f64 v[18:19], v[18:19], 0
	v_mul_f64 v[16:17], v[16:17], v[56:57]
	s_waitcnt vmcnt(8) lgkmcnt(2)
	v_mul_f64 v[20:21], v[10:11], v[58:59]
	v_fmac_f64_e32 v[20:21], v[12:13], v[52:53]
	v_add_f64 v[18:19], v[18:19], v[20:21]
	v_fma_f64 v[14:15], v[14:15], v[50:51], -v[16:17]
	s_waitcnt vmcnt(4) lgkmcnt(1)
	v_mul_f64 v[20:21], v[6:7], v[60:61]
	v_fmac_f64_e32 v[20:21], v[8:9], v[54:55]
	v_add_f64 v[18:19], v[18:19], v[20:21]
	s_waitcnt vmcnt(0) lgkmcnt(0)
	v_mul_f64 v[20:21], v[2:3], v[64:65]
	v_fmac_f64_e32 v[20:21], v[4:5], v[62:63]
	v_add_f64 v[22:23], v[18:19], v[20:21]
	ds_read_b128 v[18:21], v1 offset:1632
	buffer_load_dword v67, off, s[0:3], 0 offset:772
	buffer_load_dword v66, off, s[0:3], 0 offset:768
	;; [unrolled: 1-line block ×4, first 2 shown]
	v_mul_f64 v[12:13], v[12:13], v[58:59]
	v_add_f64 v[14:15], v[14:15], 0
	v_fma_f64 v[10:11], v[10:11], v[52:53], -v[12:13]
	v_mul_f64 v[8:9], v[8:9], v[60:61]
	v_add_f64 v[10:11], v[14:15], v[10:11]
	v_fma_f64 v[6:7], v[6:7], v[54:55], -v[8:9]
	;; [unrolled: 3-line block ×3, first 2 shown]
	v_add_f64 v[2:3], v[6:7], v[2:3]
	s_waitcnt vmcnt(0) lgkmcnt(0)
	v_mul_f64 v[24:25], v[18:19], v[68:69]
	v_fmac_f64_e32 v[24:25], v[20:21], v[66:67]
	v_add_f64 v[26:27], v[22:23], v[24:25]
	ds_read_b128 v[22:25], v1 offset:1648
	buffer_load_dword v71, off, s[0:3], 0 offset:788
	buffer_load_dword v70, off, s[0:3], 0 offset:784
	buffer_load_dword v73, off, s[0:3], 0 offset:796
	buffer_load_dword v72, off, s[0:3], 0 offset:792
	v_mul_f64 v[4:5], v[20:21], v[68:69]
	v_fma_f64 v[4:5], v[18:19], v[66:67], -v[4:5]
	v_add_f64 v[2:3], v[2:3], v[4:5]
	s_waitcnt vmcnt(0) lgkmcnt(0)
	v_mul_f64 v[28:29], v[22:23], v[72:73]
	v_fmac_f64_e32 v[28:29], v[24:25], v[70:71]
	v_add_f64 v[30:31], v[26:27], v[28:29]
	ds_read_b128 v[26:29], v1 offset:1664
	buffer_load_dword v75, off, s[0:3], 0 offset:804
	buffer_load_dword v74, off, s[0:3], 0 offset:800
	buffer_load_dword v77, off, s[0:3], 0 offset:812
	buffer_load_dword v76, off, s[0:3], 0 offset:808
	v_mul_f64 v[4:5], v[24:25], v[72:73]
	v_fma_f64 v[4:5], v[22:23], v[70:71], -v[4:5]
	;; [unrolled: 12-line block ×7, first 2 shown]
	v_add_f64 v[2:3], v[2:3], v[4:5]
	s_waitcnt vmcnt(0) lgkmcnt(0)
	v_mul_f64 v[4:5], v[96:97], v[102:103]
	v_mul_f64 v[104:105], v[94:95], v[102:103]
	v_fma_f64 v[4:5], v[94:95], v[100:101], -v[4:5]
	v_fmac_f64_e32 v[104:105], v[96:97], v[100:101]
	v_add_f64 v[2:3], v[2:3], v[4:5]
	v_add_f64 v[98:99], v[98:99], v[104:105]
	v_add_f64 v[2:3], v[48:49], -v[2:3]
	v_add_f64 v[4:5], v[46:47], -v[98:99]
	buffer_store_dword v3, off, s[0:3], 0 offset:692
	buffer_store_dword v2, off, s[0:3], 0 offset:688
	;; [unrolled: 1-line block ×4, first 2 shown]
	s_and_saveexec_b64 s[4:5], vcc
	s_cbranch_execz .LBB118_261
; %bb.260:
	v_accvgpr_read_b32 v0, a123
	buffer_load_dword v2, v0, s[0:3], 0 offen
	buffer_load_dword v3, v0, s[0:3], 0 offen offset:4
	buffer_load_dword v4, v0, s[0:3], 0 offen offset:8
	;; [unrolled: 1-line block ×3, first 2 shown]
	v_mov_b32_e32 v0, 0
	v_accvgpr_read_b32 v1, a165
	buffer_store_dword v0, off, s[0:3], 0 offset:672
	buffer_store_dword v0, off, s[0:3], 0 offset:676
	;; [unrolled: 1-line block ×4, first 2 shown]
	s_waitcnt vmcnt(4)
	ds_write_b128 v1, v[2:5]
.LBB118_261:
	s_or_b64 exec, exec, s[4:5]
	s_waitcnt lgkmcnt(0)
	; wave barrier
	s_waitcnt lgkmcnt(0)
	buffer_load_dword v2, off, s[0:3], 0 offset:688
	buffer_load_dword v3, off, s[0:3], 0 offset:692
	;; [unrolled: 1-line block ×56, first 2 shown]
	v_mov_b32_e32 v1, 0
	ds_read_b128 v[30:33], v1 offset:1552
	ds_read_b128 v[34:37], v1 offset:1568
	;; [unrolled: 1-line block ×9, first 2 shown]
	v_cmp_lt_u32_e32 vcc, 40, v254
	s_waitcnt vmcnt(52) lgkmcnt(8)
	v_mul_f64 v[62:63], v[30:31], v[6:7]
	v_fmac_f64_e32 v[62:63], v[32:33], v[2:3]
	v_mul_f64 v[6:7], v[32:33], v[6:7]
	v_add_f64 v[62:63], v[62:63], 0
	s_waitcnt vmcnt(48) lgkmcnt(7)
	v_mul_f64 v[64:65], v[34:35], v[8:9]
	v_fmac_f64_e32 v[64:65], v[36:37], v[4:5]
	s_waitcnt vmcnt(46) lgkmcnt(6)
	v_mul_f64 v[66:67], v[38:39], v[10:11]
	v_fma_f64 v[2:3], v[30:31], v[2:3], -v[6:7]
	v_mul_f64 v[6:7], v[36:37], v[8:9]
	s_waitcnt vmcnt(44) lgkmcnt(5)
	v_mul_f64 v[68:69], v[42:43], v[12:13]
	v_add_f64 v[62:63], v[62:63], v[64:65]
	v_add_f64 v[2:3], v[2:3], 0
	v_fma_f64 v[4:5], v[34:35], v[4:5], -v[6:7]
	v_add_f64 v[2:3], v[2:3], v[4:5]
	v_mul_f64 v[4:5], v[40:41], v[10:11]
	s_waitcnt vmcnt(37) lgkmcnt(4)
	v_mul_f64 v[70:71], v[46:47], v[20:21]
	s_waitcnt lgkmcnt(3)
	v_mul_f64 v[72:73], v[50:51], v[18:19]
	s_waitcnt vmcnt(35)
	v_fmac_f64_e32 v[70:71], v[48:49], v[22:23]
	s_waitcnt lgkmcnt(2)
	v_mul_f64 v[74:75], v[54:55], v[14:15]
	s_waitcnt vmcnt(33)
	v_fmac_f64_e32 v[66:67], v[40:41], v[28:29]
	v_add_f64 v[62:63], v[62:63], v[66:67]
	s_waitcnt vmcnt(31)
	v_fmac_f64_e32 v[68:69], v[44:45], v[26:27]
	v_add_f64 v[62:63], v[62:63], v[68:69]
	v_fma_f64 v[4:5], v[38:39], v[28:29], -v[4:5]
	s_waitcnt vmcnt(29)
	v_fmac_f64_e32 v[72:73], v[52:53], v[24:25]
	v_add_f64 v[62:63], v[62:63], v[70:71]
	v_add_f64 v[2:3], v[2:3], v[4:5]
	v_mul_f64 v[4:5], v[44:45], v[12:13]
	s_waitcnt vmcnt(28)
	v_fmac_f64_e32 v[74:75], v[56:57], v[16:17]
	v_add_f64 v[62:63], v[62:63], v[72:73]
	v_fma_f64 v[4:5], v[42:43], v[26:27], -v[4:5]
	v_add_f64 v[66:67], v[62:63], v[74:75]
	ds_read_b128 v[62:65], v1 offset:1680
	s_waitcnt vmcnt(24) lgkmcnt(2)
	v_mul_f64 v[68:69], v[58:59], v[86:87]
	v_add_f64 v[2:3], v[2:3], v[4:5]
	v_mul_f64 v[4:5], v[48:49], v[20:21]
	s_waitcnt vmcnt(22)
	v_fmac_f64_e32 v[68:69], v[60:61], v[88:89]
	v_fma_f64 v[4:5], v[46:47], v[22:23], -v[4:5]
	v_add_f64 v[70:71], v[66:67], v[68:69]
	ds_read_b128 v[66:69], v1 offset:1696
	v_add_f64 v[2:3], v[2:3], v[4:5]
	v_mul_f64 v[4:5], v[52:53], v[18:19]
	v_fma_f64 v[4:5], v[50:51], v[24:25], -v[4:5]
	v_add_f64 v[2:3], v[2:3], v[4:5]
	v_mul_f64 v[4:5], v[56:57], v[14:15]
	s_waitcnt vmcnt(21) lgkmcnt(1)
	v_mul_f64 v[72:73], v[62:63], v[82:83]
	v_fma_f64 v[4:5], v[54:55], v[16:17], -v[4:5]
	s_waitcnt vmcnt(20)
	v_fmac_f64_e32 v[72:73], v[64:65], v[84:85]
	v_add_f64 v[2:3], v[2:3], v[4:5]
	v_mul_f64 v[4:5], v[60:61], v[86:87]
	v_add_f64 v[74:75], v[70:71], v[72:73]
	ds_read_b128 v[70:73], v1 offset:1712
	s_waitcnt vmcnt(16) lgkmcnt(1)
	v_mul_f64 v[76:77], v[66:67], v[94:95]
	v_fma_f64 v[4:5], v[58:59], v[88:89], -v[4:5]
	s_waitcnt vmcnt(14)
	v_fmac_f64_e32 v[76:77], v[68:69], v[96:97]
	v_add_f64 v[2:3], v[2:3], v[4:5]
	v_mul_f64 v[4:5], v[64:65], v[82:83]
	v_add_f64 v[110:111], v[74:75], v[76:77]
	ds_read_b128 v[74:77], v1 offset:1728
	v_fma_f64 v[4:5], v[62:63], v[84:85], -v[4:5]
	v_add_f64 v[2:3], v[2:3], v[4:5]
	v_mul_f64 v[4:5], v[68:69], v[94:95]
	v_fma_f64 v[4:5], v[66:67], v[96:97], -v[4:5]
	v_add_f64 v[2:3], v[2:3], v[4:5]
	s_waitcnt vmcnt(13) lgkmcnt(1)
	v_mul_f64 v[4:5], v[72:73], v[90:91]
	v_mul_f64 v[112:113], v[70:71], v[90:91]
	s_waitcnt vmcnt(12)
	v_fma_f64 v[4:5], v[70:71], v[92:93], -v[4:5]
	v_fmac_f64_e32 v[112:113], v[72:73], v[92:93]
	v_add_f64 v[2:3], v[2:3], v[4:5]
	s_waitcnt vmcnt(8) lgkmcnt(0)
	v_mul_f64 v[4:5], v[76:77], v[102:103]
	v_add_f64 v[110:111], v[110:111], v[112:113]
	v_mul_f64 v[112:113], v[74:75], v[102:103]
	s_waitcnt vmcnt(6)
	v_fma_f64 v[4:5], v[74:75], v[104:105], -v[4:5]
	v_fmac_f64_e32 v[112:113], v[76:77], v[104:105]
	v_add_f64 v[2:3], v[2:3], v[4:5]
	s_waitcnt vmcnt(5)
	v_mul_f64 v[4:5], v[80:81], v[98:99]
	v_add_f64 v[110:111], v[110:111], v[112:113]
	v_mul_f64 v[112:113], v[78:79], v[98:99]
	s_waitcnt vmcnt(4)
	v_fma_f64 v[4:5], v[78:79], v[100:101], -v[4:5]
	v_fmac_f64_e32 v[112:113], v[80:81], v[100:101]
	v_add_f64 v[2:3], v[2:3], v[4:5]
	v_add_f64 v[110:111], v[110:111], v[112:113]
	s_waitcnt vmcnt(2)
	v_add_f64 v[2:3], v[106:107], -v[2:3]
	s_waitcnt vmcnt(0)
	v_add_f64 v[4:5], v[108:109], -v[110:111]
	buffer_store_dword v3, off, s[0:3], 0 offset:676
	buffer_store_dword v2, off, s[0:3], 0 offset:672
	;; [unrolled: 1-line block ×4, first 2 shown]
	s_and_saveexec_b64 s[4:5], vcc
	s_cbranch_execz .LBB118_263
; %bb.262:
	v_accvgpr_read_b32 v0, a124
	buffer_load_dword v2, v0, s[0:3], 0 offen
	buffer_load_dword v3, v0, s[0:3], 0 offen offset:4
	buffer_load_dword v4, v0, s[0:3], 0 offen offset:8
	;; [unrolled: 1-line block ×3, first 2 shown]
	v_accvgpr_read_b32 v0, a165
	buffer_store_dword v1, off, s[0:3], 0 offset:656
	buffer_store_dword v1, off, s[0:3], 0 offset:660
	;; [unrolled: 1-line block ×4, first 2 shown]
	s_waitcnt vmcnt(4)
	ds_write_b128 v0, v[2:5]
.LBB118_263:
	s_or_b64 exec, exec, s[4:5]
	s_waitcnt lgkmcnt(0)
	; wave barrier
	s_waitcnt lgkmcnt(0)
	buffer_load_dword v2, off, s[0:3], 0 offset:672
	buffer_load_dword v3, off, s[0:3], 0 offset:676
	;; [unrolled: 1-line block ×60, first 2 shown]
	ds_read_b128 v[30:33], v1 offset:1536
	ds_read_b128 v[34:37], v1 offset:1552
	;; [unrolled: 1-line block ×8, first 2 shown]
	v_cmp_lt_u32_e32 vcc, 39, v254
	ds_read_b128 v[82:85], v1 offset:1744
	s_waitcnt vmcnt(56) lgkmcnt(8)
	v_mul_f64 v[62:63], v[30:31], v[6:7]
	v_fmac_f64_e32 v[62:63], v[32:33], v[2:3]
	v_add_f64 v[62:63], v[62:63], 0
	v_mul_f64 v[6:7], v[32:33], v[6:7]
	s_waitcnt vmcnt(52) lgkmcnt(7)
	v_mul_f64 v[64:65], v[34:35], v[8:9]
	v_fmac_f64_e32 v[64:65], v[36:37], v[4:5]
	s_waitcnt vmcnt(50) lgkmcnt(6)
	v_mul_f64 v[66:67], v[38:39], v[10:11]
	v_add_f64 v[62:63], v[62:63], v[64:65]
	s_waitcnt vmcnt(48) lgkmcnt(4)
	v_mul_f64 v[70:71], v[46:47], v[12:13]
	v_fma_f64 v[2:3], v[30:31], v[2:3], -v[6:7]
	s_waitcnt vmcnt(46)
	v_fmac_f64_e32 v[70:71], v[48:49], v[14:15]
	v_mul_f64 v[6:7], v[36:37], v[8:9]
	s_waitcnt vmcnt(44)
	v_mul_f64 v[68:69], v[42:43], v[16:17]
	v_add_f64 v[2:3], v[2:3], 0
	v_fma_f64 v[4:5], v[34:35], v[4:5], -v[6:7]
	v_add_f64 v[2:3], v[2:3], v[4:5]
	s_waitcnt vmcnt(40) lgkmcnt(3)
	v_mul_f64 v[72:73], v[50:51], v[22:23]
	v_mul_f64 v[4:5], v[40:41], v[10:11]
	s_waitcnt vmcnt(38)
	v_fmac_f64_e32 v[66:67], v[40:41], v[28:29]
	v_add_f64 v[62:63], v[62:63], v[66:67]
	s_waitcnt vmcnt(36)
	v_fmac_f64_e32 v[68:69], v[44:45], v[26:27]
	v_add_f64 v[62:63], v[62:63], v[68:69]
	;; [unrolled: 3-line block ×3, first 2 shown]
	s_waitcnt vmcnt(33) lgkmcnt(2)
	v_mul_f64 v[64:65], v[54:55], v[18:19]
	v_add_f64 v[62:63], v[62:63], v[72:73]
	s_waitcnt vmcnt(32)
	v_fmac_f64_e32 v[64:65], v[56:57], v[20:21]
	v_add_f64 v[66:67], v[62:63], v[64:65]
	ds_read_b128 v[62:65], v1 offset:1664
	v_fma_f64 v[4:5], v[38:39], v[28:29], -v[4:5]
	v_add_f64 v[2:3], v[2:3], v[4:5]
	v_mul_f64 v[4:5], v[44:45], v[16:17]
	v_fma_f64 v[4:5], v[42:43], v[26:27], -v[4:5]
	s_waitcnt vmcnt(28) lgkmcnt(2)
	v_mul_f64 v[68:69], v[58:59], v[90:91]
	v_add_f64 v[2:3], v[2:3], v[4:5]
	v_mul_f64 v[4:5], v[48:49], v[12:13]
	s_waitcnt vmcnt(26)
	v_fmac_f64_e32 v[68:69], v[60:61], v[92:93]
	v_fma_f64 v[4:5], v[46:47], v[14:15], -v[4:5]
	v_add_f64 v[70:71], v[66:67], v[68:69]
	ds_read_b128 v[66:69], v1 offset:1680
	s_waitcnt vmcnt(25) lgkmcnt(1)
	v_mul_f64 v[72:73], v[62:63], v[86:87]
	v_add_f64 v[2:3], v[2:3], v[4:5]
	v_mul_f64 v[4:5], v[52:53], v[22:23]
	s_waitcnt vmcnt(24)
	v_fmac_f64_e32 v[72:73], v[64:65], v[88:89]
	v_fma_f64 v[4:5], v[50:51], v[24:25], -v[4:5]
	v_add_f64 v[74:75], v[70:71], v[72:73]
	ds_read_b128 v[70:73], v1 offset:1696
	v_add_f64 v[2:3], v[2:3], v[4:5]
	v_mul_f64 v[4:5], v[56:57], v[18:19]
	v_fma_f64 v[4:5], v[54:55], v[20:21], -v[4:5]
	v_add_f64 v[2:3], v[2:3], v[4:5]
	v_mul_f64 v[4:5], v[60:61], v[90:91]
	s_waitcnt vmcnt(20) lgkmcnt(1)
	v_mul_f64 v[76:77], v[66:67], v[98:99]
	v_fma_f64 v[4:5], v[58:59], v[92:93], -v[4:5]
	s_waitcnt vmcnt(18)
	v_fmac_f64_e32 v[76:77], v[68:69], v[100:101]
	v_add_f64 v[2:3], v[2:3], v[4:5]
	v_mul_f64 v[4:5], v[64:65], v[86:87]
	v_add_f64 v[78:79], v[74:75], v[76:77]
	ds_read_b128 v[74:77], v1 offset:1712
	s_waitcnt vmcnt(17) lgkmcnt(1)
	v_mul_f64 v[80:81], v[70:71], v[94:95]
	v_fma_f64 v[4:5], v[62:63], v[88:89], -v[4:5]
	s_waitcnt vmcnt(16)
	v_fmac_f64_e32 v[80:81], v[72:73], v[96:97]
	v_add_f64 v[2:3], v[2:3], v[4:5]
	v_mul_f64 v[4:5], v[68:69], v[98:99]
	v_add_f64 v[118:119], v[78:79], v[80:81]
	ds_read_b128 v[78:81], v1 offset:1728
	v_fma_f64 v[4:5], v[66:67], v[100:101], -v[4:5]
	v_add_f64 v[2:3], v[2:3], v[4:5]
	v_mul_f64 v[4:5], v[72:73], v[94:95]
	v_fma_f64 v[4:5], v[70:71], v[96:97], -v[4:5]
	v_add_f64 v[2:3], v[2:3], v[4:5]
	s_waitcnt vmcnt(12) lgkmcnt(1)
	v_mul_f64 v[4:5], v[76:77], v[106:107]
	v_mul_f64 v[120:121], v[74:75], v[106:107]
	s_waitcnt vmcnt(10)
	v_fma_f64 v[4:5], v[74:75], v[108:109], -v[4:5]
	v_fmac_f64_e32 v[120:121], v[76:77], v[108:109]
	v_add_f64 v[2:3], v[2:3], v[4:5]
	s_waitcnt vmcnt(9) lgkmcnt(0)
	v_mul_f64 v[4:5], v[80:81], v[102:103]
	v_add_f64 v[118:119], v[118:119], v[120:121]
	v_mul_f64 v[120:121], v[78:79], v[102:103]
	s_waitcnt vmcnt(8)
	v_fma_f64 v[4:5], v[78:79], v[104:105], -v[4:5]
	v_fmac_f64_e32 v[120:121], v[80:81], v[104:105]
	v_add_f64 v[2:3], v[2:3], v[4:5]
	s_waitcnt vmcnt(6)
	v_mul_f64 v[4:5], v[84:85], v[110:111]
	v_add_f64 v[118:119], v[118:119], v[120:121]
	v_mul_f64 v[120:121], v[82:83], v[110:111]
	s_waitcnt vmcnt(4)
	v_fma_f64 v[4:5], v[82:83], v[112:113], -v[4:5]
	v_fmac_f64_e32 v[120:121], v[84:85], v[112:113]
	v_add_f64 v[2:3], v[2:3], v[4:5]
	v_add_f64 v[118:119], v[118:119], v[120:121]
	s_waitcnt vmcnt(2)
	v_add_f64 v[2:3], v[114:115], -v[2:3]
	s_waitcnt vmcnt(0)
	v_add_f64 v[4:5], v[116:117], -v[118:119]
	buffer_store_dword v3, off, s[0:3], 0 offset:660
	buffer_store_dword v2, off, s[0:3], 0 offset:656
	;; [unrolled: 1-line block ×4, first 2 shown]
	s_and_saveexec_b64 s[4:5], vcc
	s_cbranch_execz .LBB118_265
; %bb.264:
	v_accvgpr_read_b32 v0, a125
	buffer_load_dword v2, v0, s[0:3], 0 offen
	buffer_load_dword v3, v0, s[0:3], 0 offen offset:4
	buffer_load_dword v4, v0, s[0:3], 0 offen offset:8
	buffer_load_dword v5, v0, s[0:3], 0 offen offset:12
	v_mov_b32_e32 v0, 0
	v_accvgpr_read_b32 v1, a165
	buffer_store_dword v0, off, s[0:3], 0 offset:640
	buffer_store_dword v0, off, s[0:3], 0 offset:644
	;; [unrolled: 1-line block ×4, first 2 shown]
	s_waitcnt vmcnt(4)
	ds_write_b128 v1, v[2:5]
.LBB118_265:
	s_or_b64 exec, exec, s[4:5]
	s_waitcnt lgkmcnt(0)
	; wave barrier
	s_waitcnt lgkmcnt(0)
	buffer_load_dword v2, off, s[0:3], 0 offset:656
	buffer_load_dword v3, off, s[0:3], 0 offset:660
	;; [unrolled: 1-line block ×64, first 2 shown]
	v_mov_b32_e32 v1, 0
	ds_read_b128 v[38:41], v1 offset:1520
	ds_read_b128 v[42:45], v1 offset:1536
	;; [unrolled: 1-line block ×7, first 2 shown]
	v_cmp_lt_u32_e32 vcc, 38, v254
	s_waitcnt vmcnt(60) lgkmcnt(6)
	v_mul_f64 v[62:63], v[38:39], v[4:5]
	v_fmac_f64_e32 v[62:63], v[40:41], v[2:3]
	s_waitcnt vmcnt(58) lgkmcnt(5)
	v_mul_f64 v[64:65], v[42:43], v[6:7]
	v_add_f64 v[62:63], v[62:63], 0
	s_waitcnt vmcnt(56) lgkmcnt(4)
	v_mul_f64 v[66:67], v[46:47], v[8:9]
	v_mul_f64 v[4:5], v[40:41], v[4:5]
	s_waitcnt vmcnt(54) lgkmcnt(2)
	v_mul_f64 v[70:71], v[54:55], v[10:11]
	v_fma_f64 v[2:3], v[38:39], v[2:3], -v[4:5]
	v_mul_f64 v[4:5], v[44:45], v[6:7]
	s_waitcnt vmcnt(51)
	v_mul_f64 v[68:69], v[50:51], v[14:15]
	v_add_f64 v[2:3], v[2:3], 0
	s_waitcnt vmcnt(49)
	v_fmac_f64_e32 v[64:65], v[44:45], v[20:21]
	v_add_f64 v[62:63], v[62:63], v[64:65]
	s_waitcnt vmcnt(47)
	v_fmac_f64_e32 v[66:67], v[48:49], v[18:19]
	;; [unrolled: 3-line block ×4, first 2 shown]
	v_add_f64 v[66:67], v[62:63], v[70:71]
	ds_read_b128 v[62:65], v1 offset:1616
	s_waitcnt vmcnt(40) lgkmcnt(2)
	v_mul_f64 v[68:69], v[58:59], v[26:27]
	v_fma_f64 v[4:5], v[42:43], v[20:21], -v[4:5]
	s_waitcnt vmcnt(38)
	v_fmac_f64_e32 v[68:69], v[60:61], v[28:29]
	v_add_f64 v[70:71], v[66:67], v[68:69]
	ds_read_b128 v[66:69], v1 offset:1632
	s_waitcnt vmcnt(37) lgkmcnt(1)
	v_mul_f64 v[72:73], v[62:63], v[22:23]
	s_waitcnt vmcnt(36)
	v_fmac_f64_e32 v[72:73], v[64:65], v[24:25]
	v_add_f64 v[2:3], v[2:3], v[4:5]
	v_mul_f64 v[4:5], v[48:49], v[8:9]
	v_add_f64 v[74:75], v[70:71], v[72:73]
	ds_read_b128 v[70:73], v1 offset:1648
	s_waitcnt vmcnt(32) lgkmcnt(1)
	v_mul_f64 v[76:77], v[66:67], v[34:35]
	v_fma_f64 v[4:5], v[46:47], v[18:19], -v[4:5]
	s_waitcnt vmcnt(30)
	v_fmac_f64_e32 v[76:77], v[68:69], v[36:37]
	v_add_f64 v[2:3], v[2:3], v[4:5]
	v_mul_f64 v[4:5], v[52:53], v[14:15]
	v_add_f64 v[78:79], v[74:75], v[76:77]
	ds_read_b128 v[74:77], v1 offset:1664
	v_fma_f64 v[4:5], v[50:51], v[16:17], -v[4:5]
	v_add_f64 v[2:3], v[2:3], v[4:5]
	v_mul_f64 v[4:5], v[56:57], v[10:11]
	v_fma_f64 v[4:5], v[54:55], v[12:13], -v[4:5]
	s_waitcnt vmcnt(29) lgkmcnt(1)
	v_mul_f64 v[80:81], v[70:71], v[30:31]
	v_add_f64 v[2:3], v[2:3], v[4:5]
	v_mul_f64 v[4:5], v[60:61], v[26:27]
	s_waitcnt vmcnt(28)
	v_fmac_f64_e32 v[80:81], v[72:73], v[32:33]
	v_fma_f64 v[4:5], v[58:59], v[28:29], -v[4:5]
	v_add_f64 v[82:83], v[78:79], v[80:81]
	ds_read_b128 v[78:81], v1 offset:1680
	s_waitcnt vmcnt(24) lgkmcnt(1)
	v_mul_f64 v[84:85], v[74:75], v[102:103]
	v_add_f64 v[2:3], v[2:3], v[4:5]
	v_mul_f64 v[4:5], v[64:65], v[22:23]
	s_waitcnt vmcnt(22)
	v_fmac_f64_e32 v[84:85], v[76:77], v[104:105]
	v_fma_f64 v[4:5], v[62:63], v[24:25], -v[4:5]
	v_add_f64 v[86:87], v[82:83], v[84:85]
	ds_read_b128 v[82:85], v1 offset:1696
	v_add_f64 v[2:3], v[2:3], v[4:5]
	v_mul_f64 v[4:5], v[68:69], v[34:35]
	v_fma_f64 v[4:5], v[66:67], v[36:37], -v[4:5]
	v_add_f64 v[2:3], v[2:3], v[4:5]
	v_mul_f64 v[4:5], v[72:73], v[30:31]
	s_waitcnt vmcnt(21) lgkmcnt(1)
	v_mul_f64 v[88:89], v[78:79], v[98:99]
	v_fma_f64 v[4:5], v[70:71], v[32:33], -v[4:5]
	s_waitcnt vmcnt(20)
	v_fmac_f64_e32 v[88:89], v[80:81], v[100:101]
	v_add_f64 v[2:3], v[2:3], v[4:5]
	v_mul_f64 v[4:5], v[76:77], v[102:103]
	v_add_f64 v[90:91], v[86:87], v[88:89]
	ds_read_b128 v[86:89], v1 offset:1712
	s_waitcnt vmcnt(16) lgkmcnt(1)
	v_mul_f64 v[92:93], v[82:83], v[110:111]
	v_fma_f64 v[4:5], v[74:75], v[104:105], -v[4:5]
	s_waitcnt vmcnt(14)
	v_fmac_f64_e32 v[92:93], v[84:85], v[112:113]
	v_add_f64 v[2:3], v[2:3], v[4:5]
	v_mul_f64 v[4:5], v[80:81], v[98:99]
	v_add_f64 v[126:127], v[90:91], v[92:93]
	ds_read_b128 v[90:93], v1 offset:1728
	v_fma_f64 v[4:5], v[78:79], v[100:101], -v[4:5]
	v_add_f64 v[2:3], v[2:3], v[4:5]
	v_mul_f64 v[4:5], v[84:85], v[110:111]
	v_fma_f64 v[4:5], v[82:83], v[112:113], -v[4:5]
	v_add_f64 v[2:3], v[2:3], v[4:5]
	s_waitcnt vmcnt(13) lgkmcnt(1)
	v_mul_f64 v[4:5], v[88:89], v[106:107]
	v_mul_f64 v[128:129], v[86:87], v[106:107]
	s_waitcnt vmcnt(12)
	v_fma_f64 v[4:5], v[86:87], v[108:109], -v[4:5]
	v_fmac_f64_e32 v[128:129], v[88:89], v[108:109]
	v_add_f64 v[2:3], v[2:3], v[4:5]
	s_waitcnt vmcnt(8) lgkmcnt(0)
	v_mul_f64 v[4:5], v[92:93], v[118:119]
	v_add_f64 v[126:127], v[126:127], v[128:129]
	v_mul_f64 v[128:129], v[90:91], v[118:119]
	s_waitcnt vmcnt(6)
	v_fma_f64 v[4:5], v[90:91], v[120:121], -v[4:5]
	v_fmac_f64_e32 v[128:129], v[92:93], v[120:121]
	v_add_f64 v[2:3], v[2:3], v[4:5]
	s_waitcnt vmcnt(5)
	v_mul_f64 v[4:5], v[96:97], v[114:115]
	v_add_f64 v[126:127], v[126:127], v[128:129]
	v_mul_f64 v[128:129], v[94:95], v[114:115]
	s_waitcnt vmcnt(4)
	v_fma_f64 v[4:5], v[94:95], v[116:117], -v[4:5]
	v_fmac_f64_e32 v[128:129], v[96:97], v[116:117]
	v_add_f64 v[2:3], v[2:3], v[4:5]
	v_add_f64 v[126:127], v[126:127], v[128:129]
	s_waitcnt vmcnt(2)
	v_add_f64 v[2:3], v[122:123], -v[2:3]
	s_waitcnt vmcnt(0)
	v_add_f64 v[4:5], v[124:125], -v[126:127]
	buffer_store_dword v3, off, s[0:3], 0 offset:644
	buffer_store_dword v2, off, s[0:3], 0 offset:640
	;; [unrolled: 1-line block ×4, first 2 shown]
	s_and_saveexec_b64 s[4:5], vcc
	s_cbranch_execz .LBB118_267
; %bb.266:
	v_accvgpr_read_b32 v0, a126
	buffer_load_dword v2, v0, s[0:3], 0 offen
	buffer_load_dword v3, v0, s[0:3], 0 offen offset:4
	buffer_load_dword v4, v0, s[0:3], 0 offen offset:8
	;; [unrolled: 1-line block ×3, first 2 shown]
	v_accvgpr_read_b32 v0, a165
	buffer_store_dword v1, off, s[0:3], 0 offset:624
	buffer_store_dword v1, off, s[0:3], 0 offset:628
	;; [unrolled: 1-line block ×4, first 2 shown]
	s_waitcnt vmcnt(4)
	ds_write_b128 v0, v[2:5]
.LBB118_267:
	s_or_b64 exec, exec, s[4:5]
	s_waitcnt lgkmcnt(0)
	; wave barrier
	s_waitcnt lgkmcnt(0)
	buffer_load_dword v2, off, s[0:3], 0 offset:640
	buffer_load_dword v3, off, s[0:3], 0 offset:644
	;; [unrolled: 1-line block ×64, first 2 shown]
	ds_read_b128 v[46:49], v1 offset:1504
	ds_read_b128 v[50:53], v1 offset:1520
	;; [unrolled: 1-line block ×4, first 2 shown]
	buffer_load_dword v130, off, s[0:3], 0 offset:624
	buffer_load_dword v131, off, s[0:3], 0 offset:628
	;; [unrolled: 1-line block ×4, first 2 shown]
	v_cmp_lt_u32_e32 vcc, 37, v254
	ds_read_b128 v[106:109], v1 offset:1744
	s_waitcnt vmcnt(62) lgkmcnt(4)
	v_mul_f64 v[62:63], v[46:47], v[4:5]
	v_fmac_f64_e32 v[62:63], v[48:49], v[2:3]
	v_add_f64 v[62:63], v[62:63], 0
	s_waitcnt lgkmcnt(2)
	v_mul_f64 v[66:67], v[54:55], v[6:7]
	v_mul_f64 v[4:5], v[48:49], v[4:5]
	v_fma_f64 v[2:3], v[46:47], v[2:3], -v[4:5]
	s_waitcnt vmcnt(58) lgkmcnt(1)
	v_mul_f64 v[68:69], v[58:59], v[12:13]
	v_add_f64 v[2:3], v[2:3], 0
	s_waitcnt vmcnt(56)
	v_mul_f64 v[64:65], v[50:51], v[18:19]
	v_mul_f64 v[4:5], v[52:53], v[18:19]
	s_waitcnt vmcnt(53)
	v_fmac_f64_e32 v[66:67], v[56:57], v[16:17]
	s_waitcnt vmcnt(52)
	v_fmac_f64_e32 v[64:65], v[52:53], v[20:21]
	v_add_f64 v[70:71], v[62:63], v[64:65]
	ds_read_b128 v[62:65], v1 offset:1568
	v_add_f64 v[66:67], v[70:71], v[66:67]
	s_waitcnt vmcnt(50)
	v_fmac_f64_e32 v[68:69], v[60:61], v[14:15]
	v_add_f64 v[70:71], v[66:67], v[68:69]
	ds_read_b128 v[66:69], v1 offset:1584
	s_waitcnt vmcnt(49) lgkmcnt(1)
	v_mul_f64 v[72:73], v[62:63], v[8:9]
	s_waitcnt vmcnt(48)
	v_fmac_f64_e32 v[72:73], v[64:65], v[10:11]
	v_add_f64 v[74:75], v[70:71], v[72:73]
	ds_read_b128 v[70:73], v1 offset:1600
	s_waitcnt vmcnt(44) lgkmcnt(1)
	v_mul_f64 v[76:77], v[66:67], v[26:27]
	;; [unrolled: 6-line block ×3, first 2 shown]
	s_waitcnt vmcnt(40)
	v_fmac_f64_e32 v[80:81], v[72:73], v[24:25]
	v_add_f64 v[82:83], v[78:79], v[80:81]
	ds_read_b128 v[78:81], v1 offset:1632
	v_fma_f64 v[4:5], v[50:51], v[20:21], -v[4:5]
	v_add_f64 v[2:3], v[2:3], v[4:5]
	v_mul_f64 v[4:5], v[56:57], v[6:7]
	s_waitcnt vmcnt(36) lgkmcnt(1)
	v_mul_f64 v[84:85], v[74:75], v[34:35]
	v_fma_f64 v[4:5], v[54:55], v[16:17], -v[4:5]
	s_waitcnt vmcnt(34)
	v_fmac_f64_e32 v[84:85], v[76:77], v[36:37]
	v_add_f64 v[2:3], v[2:3], v[4:5]
	v_mul_f64 v[4:5], v[60:61], v[12:13]
	v_add_f64 v[86:87], v[82:83], v[84:85]
	ds_read_b128 v[82:85], v1 offset:1648
	s_waitcnt vmcnt(33) lgkmcnt(1)
	v_mul_f64 v[88:89], v[78:79], v[30:31]
	v_fma_f64 v[4:5], v[58:59], v[14:15], -v[4:5]
	s_waitcnt vmcnt(32)
	v_fmac_f64_e32 v[88:89], v[80:81], v[32:33]
	v_add_f64 v[2:3], v[2:3], v[4:5]
	v_mul_f64 v[4:5], v[64:65], v[8:9]
	v_add_f64 v[90:91], v[86:87], v[88:89]
	ds_read_b128 v[86:89], v1 offset:1664
	v_fma_f64 v[4:5], v[62:63], v[10:11], -v[4:5]
	v_add_f64 v[2:3], v[2:3], v[4:5]
	v_mul_f64 v[4:5], v[68:69], v[26:27]
	v_fma_f64 v[4:5], v[66:67], v[28:29], -v[4:5]
	s_waitcnt vmcnt(28) lgkmcnt(1)
	v_mul_f64 v[92:93], v[82:83], v[42:43]
	v_add_f64 v[2:3], v[2:3], v[4:5]
	v_mul_f64 v[4:5], v[72:73], v[22:23]
	s_waitcnt vmcnt(26)
	v_fmac_f64_e32 v[92:93], v[84:85], v[44:45]
	v_fma_f64 v[4:5], v[70:71], v[24:25], -v[4:5]
	v_add_f64 v[94:95], v[90:91], v[92:93]
	ds_read_b128 v[90:93], v1 offset:1680
	s_waitcnt vmcnt(25) lgkmcnt(1)
	v_mul_f64 v[96:97], v[86:87], v[38:39]
	v_add_f64 v[2:3], v[2:3], v[4:5]
	v_mul_f64 v[4:5], v[76:77], v[34:35]
	s_waitcnt vmcnt(24)
	v_fmac_f64_e32 v[96:97], v[88:89], v[40:41]
	v_fma_f64 v[4:5], v[74:75], v[36:37], -v[4:5]
	v_add_f64 v[98:99], v[94:95], v[96:97]
	ds_read_b128 v[94:97], v1 offset:1696
	v_add_f64 v[2:3], v[2:3], v[4:5]
	v_mul_f64 v[4:5], v[80:81], v[30:31]
	v_fma_f64 v[4:5], v[78:79], v[32:33], -v[4:5]
	v_add_f64 v[2:3], v[2:3], v[4:5]
	v_mul_f64 v[4:5], v[84:85], v[42:43]
	s_waitcnt vmcnt(20) lgkmcnt(1)
	v_mul_f64 v[100:101], v[90:91], v[114:115]
	v_fma_f64 v[4:5], v[82:83], v[44:45], -v[4:5]
	s_waitcnt vmcnt(18)
	v_fmac_f64_e32 v[100:101], v[92:93], v[116:117]
	v_add_f64 v[2:3], v[2:3], v[4:5]
	v_mul_f64 v[4:5], v[88:89], v[38:39]
	v_add_f64 v[102:103], v[98:99], v[100:101]
	ds_read_b128 v[98:101], v1 offset:1712
	s_waitcnt vmcnt(17) lgkmcnt(1)
	v_mul_f64 v[104:105], v[94:95], v[110:111]
	v_fma_f64 v[4:5], v[86:87], v[40:41], -v[4:5]
	s_waitcnt vmcnt(16)
	v_fmac_f64_e32 v[104:105], v[96:97], v[112:113]
	v_add_f64 v[2:3], v[2:3], v[4:5]
	v_mul_f64 v[4:5], v[92:93], v[114:115]
	v_add_f64 v[134:135], v[102:103], v[104:105]
	ds_read_b128 v[102:105], v1 offset:1728
	v_fma_f64 v[4:5], v[90:91], v[116:117], -v[4:5]
	v_add_f64 v[2:3], v[2:3], v[4:5]
	v_mul_f64 v[4:5], v[96:97], v[110:111]
	v_fma_f64 v[4:5], v[94:95], v[112:113], -v[4:5]
	v_add_f64 v[2:3], v[2:3], v[4:5]
	s_waitcnt vmcnt(12) lgkmcnt(1)
	v_mul_f64 v[4:5], v[100:101], v[122:123]
	v_mul_f64 v[136:137], v[98:99], v[122:123]
	s_waitcnt vmcnt(10)
	v_fma_f64 v[4:5], v[98:99], v[124:125], -v[4:5]
	v_fmac_f64_e32 v[136:137], v[100:101], v[124:125]
	v_add_f64 v[2:3], v[2:3], v[4:5]
	s_waitcnt vmcnt(9) lgkmcnt(0)
	v_mul_f64 v[4:5], v[104:105], v[118:119]
	v_add_f64 v[134:135], v[134:135], v[136:137]
	v_mul_f64 v[136:137], v[102:103], v[118:119]
	s_waitcnt vmcnt(8)
	v_fma_f64 v[4:5], v[102:103], v[120:121], -v[4:5]
	v_fmac_f64_e32 v[136:137], v[104:105], v[120:121]
	v_add_f64 v[2:3], v[2:3], v[4:5]
	s_waitcnt vmcnt(6)
	v_mul_f64 v[4:5], v[108:109], v[126:127]
	v_add_f64 v[134:135], v[134:135], v[136:137]
	v_mul_f64 v[136:137], v[106:107], v[126:127]
	s_waitcnt vmcnt(4)
	v_fma_f64 v[4:5], v[106:107], v[128:129], -v[4:5]
	v_fmac_f64_e32 v[136:137], v[108:109], v[128:129]
	v_add_f64 v[2:3], v[2:3], v[4:5]
	v_add_f64 v[134:135], v[134:135], v[136:137]
	s_waitcnt vmcnt(2)
	v_add_f64 v[2:3], v[130:131], -v[2:3]
	s_waitcnt vmcnt(0)
	v_add_f64 v[4:5], v[132:133], -v[134:135]
	buffer_store_dword v3, off, s[0:3], 0 offset:628
	buffer_store_dword v2, off, s[0:3], 0 offset:624
	;; [unrolled: 1-line block ×4, first 2 shown]
	s_and_saveexec_b64 s[4:5], vcc
	s_cbranch_execz .LBB118_269
; %bb.268:
	v_accvgpr_read_b32 v0, a127
	buffer_load_dword v2, v0, s[0:3], 0 offen
	buffer_load_dword v3, v0, s[0:3], 0 offen offset:4
	buffer_load_dword v4, v0, s[0:3], 0 offen offset:8
	;; [unrolled: 1-line block ×3, first 2 shown]
	v_mov_b32_e32 v0, 0
	v_accvgpr_read_b32 v1, a165
	buffer_store_dword v0, off, s[0:3], 0 offset:608
	buffer_store_dword v0, off, s[0:3], 0 offset:612
	;; [unrolled: 1-line block ×4, first 2 shown]
	s_waitcnt vmcnt(4)
	ds_write_b128 v1, v[2:5]
.LBB118_269:
	s_or_b64 exec, exec, s[4:5]
	s_waitcnt lgkmcnt(0)
	; wave barrier
	s_waitcnt lgkmcnt(0)
	buffer_load_dword v2, off, s[0:3], 0 offset:624
	buffer_load_dword v3, off, s[0:3], 0 offset:628
	;; [unrolled: 1-line block ×68, first 2 shown]
	v_mov_b32_e32 v1, 0
	buffer_load_dword v138, off, s[0:3], 0 offset:608
	buffer_load_dword v139, off, s[0:3], 0 offset:612
	;; [unrolled: 1-line block ×3, first 2 shown]
	ds_read_b128 v[46:49], v1 offset:1488
	ds_read_b128 v[50:53], v1 offset:1504
	buffer_load_dword v141, off, s[0:3], 0 offset:620
	ds_read_b128 v[54:57], v1 offset:1520
	ds_read_b128 v[58:61], v1 offset:1536
	;; [unrolled: 1-line block ×3, first 2 shown]
	v_cmp_lt_u32_e32 vcc, 36, v254
	s_waitcnt vmcnt(62) lgkmcnt(4)
	v_mul_f64 v[62:63], v[46:47], v[6:7]
	v_fmac_f64_e32 v[62:63], v[48:49], v[2:3]
	v_add_f64 v[62:63], v[62:63], 0
	v_mul_f64 v[6:7], v[48:49], v[6:7]
	s_waitcnt lgkmcnt(3)
	v_mul_f64 v[64:65], v[50:51], v[10:11]
	v_fmac_f64_e32 v[64:65], v[52:53], v[4:5]
	v_add_f64 v[62:63], v[62:63], v[64:65]
	v_fma_f64 v[2:3], v[46:47], v[2:3], -v[6:7]
	s_waitcnt vmcnt(60) lgkmcnt(2)
	v_mul_f64 v[64:65], v[54:55], v[12:13]
	v_fmac_f64_e32 v[64:65], v[56:57], v[8:9]
	v_add_f64 v[66:67], v[62:63], v[64:65]
	ds_read_b128 v[62:65], v1 offset:1552
	s_waitcnt vmcnt(56) lgkmcnt(2)
	v_mul_f64 v[68:69], v[58:59], v[18:19]
	v_mul_f64 v[6:7], v[52:53], v[10:11]
	s_waitcnt vmcnt(54)
	v_fmac_f64_e32 v[68:69], v[60:61], v[20:21]
	v_add_f64 v[70:71], v[66:67], v[68:69]
	ds_read_b128 v[66:69], v1 offset:1568
	s_waitcnt vmcnt(53) lgkmcnt(1)
	v_mul_f64 v[72:73], v[62:63], v[14:15]
	s_waitcnt vmcnt(52)
	v_fmac_f64_e32 v[72:73], v[64:65], v[16:17]
	v_add_f64 v[74:75], v[70:71], v[72:73]
	ds_read_b128 v[70:73], v1 offset:1584
	s_waitcnt vmcnt(48) lgkmcnt(1)
	;; [unrolled: 6-line block ×4, first 2 shown]
	v_mul_f64 v[84:85], v[74:75], v[34:35]
	s_waitcnt vmcnt(38)
	v_fmac_f64_e32 v[84:85], v[76:77], v[36:37]
	v_add_f64 v[2:3], v[2:3], 0
	v_fma_f64 v[4:5], v[50:51], v[4:5], -v[6:7]
	v_add_f64 v[86:87], v[82:83], v[84:85]
	ds_read_b128 v[82:85], v1 offset:1632
	v_add_f64 v[2:3], v[2:3], v[4:5]
	v_mul_f64 v[4:5], v[56:57], v[12:13]
	v_fma_f64 v[4:5], v[54:55], v[8:9], -v[4:5]
	v_add_f64 v[2:3], v[2:3], v[4:5]
	v_mul_f64 v[4:5], v[60:61], v[18:19]
	s_waitcnt vmcnt(37) lgkmcnt(1)
	v_mul_f64 v[88:89], v[78:79], v[30:31]
	v_fma_f64 v[4:5], v[58:59], v[20:21], -v[4:5]
	s_waitcnt vmcnt(36)
	v_fmac_f64_e32 v[88:89], v[80:81], v[32:33]
	v_add_f64 v[2:3], v[2:3], v[4:5]
	v_mul_f64 v[4:5], v[64:65], v[14:15]
	v_add_f64 v[90:91], v[86:87], v[88:89]
	ds_read_b128 v[86:89], v1 offset:1648
	s_waitcnt vmcnt(32) lgkmcnt(1)
	v_mul_f64 v[92:93], v[82:83], v[42:43]
	v_fma_f64 v[4:5], v[62:63], v[16:17], -v[4:5]
	s_waitcnt vmcnt(30)
	v_fmac_f64_e32 v[92:93], v[84:85], v[44:45]
	v_add_f64 v[2:3], v[2:3], v[4:5]
	v_mul_f64 v[4:5], v[68:69], v[26:27]
	v_add_f64 v[94:95], v[90:91], v[92:93]
	ds_read_b128 v[90:93], v1 offset:1664
	v_fma_f64 v[4:5], v[66:67], v[28:29], -v[4:5]
	v_add_f64 v[2:3], v[2:3], v[4:5]
	v_mul_f64 v[4:5], v[72:73], v[22:23]
	v_fma_f64 v[4:5], v[70:71], v[24:25], -v[4:5]
	s_waitcnt vmcnt(29) lgkmcnt(1)
	v_mul_f64 v[96:97], v[86:87], v[38:39]
	v_add_f64 v[2:3], v[2:3], v[4:5]
	v_mul_f64 v[4:5], v[76:77], v[34:35]
	s_waitcnt vmcnt(28)
	v_fmac_f64_e32 v[96:97], v[88:89], v[40:41]
	v_fma_f64 v[4:5], v[74:75], v[36:37], -v[4:5]
	v_add_f64 v[98:99], v[94:95], v[96:97]
	ds_read_b128 v[94:97], v1 offset:1680
	s_waitcnt vmcnt(24) lgkmcnt(1)
	v_mul_f64 v[100:101], v[90:91], v[118:119]
	v_add_f64 v[2:3], v[2:3], v[4:5]
	v_mul_f64 v[4:5], v[80:81], v[30:31]
	s_waitcnt vmcnt(22)
	v_fmac_f64_e32 v[100:101], v[92:93], v[120:121]
	v_fma_f64 v[4:5], v[78:79], v[32:33], -v[4:5]
	v_add_f64 v[102:103], v[98:99], v[100:101]
	ds_read_b128 v[98:101], v1 offset:1696
	v_add_f64 v[2:3], v[2:3], v[4:5]
	v_mul_f64 v[4:5], v[84:85], v[42:43]
	v_fma_f64 v[4:5], v[82:83], v[44:45], -v[4:5]
	v_add_f64 v[2:3], v[2:3], v[4:5]
	v_mul_f64 v[4:5], v[88:89], v[38:39]
	s_waitcnt vmcnt(21) lgkmcnt(1)
	v_mul_f64 v[104:105], v[94:95], v[114:115]
	v_fma_f64 v[4:5], v[86:87], v[40:41], -v[4:5]
	s_waitcnt vmcnt(20)
	v_fmac_f64_e32 v[104:105], v[96:97], v[116:117]
	v_add_f64 v[2:3], v[2:3], v[4:5]
	v_mul_f64 v[4:5], v[92:93], v[118:119]
	v_add_f64 v[106:107], v[102:103], v[104:105]
	ds_read_b128 v[102:105], v1 offset:1712
	s_waitcnt vmcnt(16) lgkmcnt(1)
	v_mul_f64 v[108:109], v[98:99], v[126:127]
	v_fma_f64 v[4:5], v[90:91], v[120:121], -v[4:5]
	s_waitcnt vmcnt(14)
	v_fmac_f64_e32 v[108:109], v[100:101], v[128:129]
	v_add_f64 v[2:3], v[2:3], v[4:5]
	v_mul_f64 v[4:5], v[96:97], v[114:115]
	v_add_f64 v[142:143], v[106:107], v[108:109]
	ds_read_b128 v[106:109], v1 offset:1728
	v_fma_f64 v[4:5], v[94:95], v[116:117], -v[4:5]
	v_add_f64 v[2:3], v[2:3], v[4:5]
	v_mul_f64 v[4:5], v[100:101], v[126:127]
	v_fma_f64 v[4:5], v[98:99], v[128:129], -v[4:5]
	v_add_f64 v[2:3], v[2:3], v[4:5]
	s_waitcnt vmcnt(13) lgkmcnt(1)
	v_mul_f64 v[4:5], v[104:105], v[122:123]
	v_mul_f64 v[144:145], v[102:103], v[122:123]
	s_waitcnt vmcnt(12)
	v_fma_f64 v[4:5], v[102:103], v[124:125], -v[4:5]
	v_fmac_f64_e32 v[144:145], v[104:105], v[124:125]
	v_add_f64 v[2:3], v[2:3], v[4:5]
	s_waitcnt vmcnt(8) lgkmcnt(0)
	v_mul_f64 v[4:5], v[108:109], v[134:135]
	v_add_f64 v[142:143], v[142:143], v[144:145]
	v_mul_f64 v[144:145], v[106:107], v[134:135]
	s_waitcnt vmcnt(6)
	v_fma_f64 v[4:5], v[106:107], v[136:137], -v[4:5]
	v_fmac_f64_e32 v[144:145], v[108:109], v[136:137]
	v_add_f64 v[2:3], v[2:3], v[4:5]
	s_waitcnt vmcnt(5)
	v_mul_f64 v[4:5], v[112:113], v[130:131]
	v_add_f64 v[142:143], v[142:143], v[144:145]
	v_mul_f64 v[144:145], v[110:111], v[130:131]
	s_waitcnt vmcnt(4)
	v_fma_f64 v[4:5], v[110:111], v[132:133], -v[4:5]
	v_fmac_f64_e32 v[144:145], v[112:113], v[132:133]
	v_add_f64 v[2:3], v[2:3], v[4:5]
	v_add_f64 v[142:143], v[142:143], v[144:145]
	s_waitcnt vmcnt(2)
	v_add_f64 v[2:3], v[138:139], -v[2:3]
	s_waitcnt vmcnt(0)
	v_add_f64 v[4:5], v[140:141], -v[142:143]
	buffer_store_dword v3, off, s[0:3], 0 offset:612
	buffer_store_dword v2, off, s[0:3], 0 offset:608
	;; [unrolled: 1-line block ×4, first 2 shown]
	s_and_saveexec_b64 s[4:5], vcc
	s_cbranch_execz .LBB118_271
; %bb.270:
	v_accvgpr_read_b32 v0, a128
	buffer_load_dword v2, v0, s[0:3], 0 offen
	buffer_load_dword v3, v0, s[0:3], 0 offen offset:4
	buffer_load_dword v4, v0, s[0:3], 0 offen offset:8
	;; [unrolled: 1-line block ×3, first 2 shown]
	v_accvgpr_read_b32 v0, a165
	buffer_store_dword v1, off, s[0:3], 0 offset:592
	buffer_store_dword v1, off, s[0:3], 0 offset:596
	;; [unrolled: 1-line block ×4, first 2 shown]
	s_waitcnt vmcnt(4)
	ds_write_b128 v0, v[2:5]
.LBB118_271:
	s_or_b64 exec, exec, s[4:5]
	s_waitcnt lgkmcnt(0)
	; wave barrier
	s_waitcnt lgkmcnt(0)
	buffer_load_dword v2, off, s[0:3], 0 offset:608
	buffer_load_dword v3, off, s[0:3], 0 offset:612
	;; [unrolled: 1-line block ×72, first 2 shown]
	ds_read_b128 v[52:55], v1 offset:1472
	buffer_load_dword v146, off, s[0:3], 0 offset:592
	buffer_load_dword v147, off, s[0:3], 0 offset:596
	;; [unrolled: 1-line block ×4, first 2 shown]
	ds_read_b128 v[56:59], v1 offset:1488
	ds_read_b128 v[60:63], v1 offset:1504
	;; [unrolled: 1-line block ×3, first 2 shown]
	v_cmp_lt_u32_e32 vcc, 35, v254
	ds_read_b128 v[124:127], v1 offset:1744
	s_waitcnt vmcnt(62) lgkmcnt(4)
	v_mul_f64 v[68:69], v[52:53], v[8:9]
	v_fmac_f64_e32 v[68:69], v[54:55], v[2:3]
	v_add_f64 v[68:69], v[68:69], 0
	v_mul_f64 v[8:9], v[54:55], v[8:9]
	s_waitcnt lgkmcnt(3)
	v_mul_f64 v[70:71], v[56:57], v[10:11]
	v_fmac_f64_e32 v[70:71], v[58:59], v[4:5]
	v_add_f64 v[68:69], v[68:69], v[70:71]
	v_fma_f64 v[2:3], v[52:53], v[2:3], -v[8:9]
	s_waitcnt lgkmcnt(2)
	v_mul_f64 v[70:71], v[60:61], v[12:13]
	v_fmac_f64_e32 v[70:71], v[62:63], v[6:7]
	v_add_f64 v[72:73], v[68:69], v[70:71]
	ds_read_b128 v[68:71], v1 offset:1536
	s_waitcnt vmcnt(60) lgkmcnt(2)
	v_mul_f64 v[74:75], v[64:65], v[18:19]
	v_mul_f64 v[8:9], v[58:59], v[10:11]
	s_waitcnt vmcnt(58)
	v_fmac_f64_e32 v[74:75], v[66:67], v[20:21]
	v_add_f64 v[76:77], v[72:73], v[74:75]
	ds_read_b128 v[72:75], v1 offset:1552
	s_waitcnt vmcnt(57) lgkmcnt(1)
	v_mul_f64 v[78:79], v[68:69], v[14:15]
	s_waitcnt vmcnt(56)
	v_fmac_f64_e32 v[78:79], v[70:71], v[16:17]
	v_add_f64 v[80:81], v[76:77], v[78:79]
	ds_read_b128 v[76:79], v1 offset:1568
	s_waitcnt vmcnt(52) lgkmcnt(1)
	v_mul_f64 v[82:83], v[72:73], v[26:27]
	s_waitcnt vmcnt(50)
	v_fmac_f64_e32 v[82:83], v[74:75], v[28:29]
	v_add_f64 v[84:85], v[80:81], v[82:83]
	ds_read_b128 v[80:83], v1 offset:1584
	s_waitcnt vmcnt(49) lgkmcnt(1)
	v_mul_f64 v[86:87], v[76:77], v[22:23]
	s_waitcnt vmcnt(48)
	v_fmac_f64_e32 v[86:87], v[78:79], v[24:25]
	v_add_f64 v[88:89], v[84:85], v[86:87]
	ds_read_b128 v[84:87], v1 offset:1600
	s_waitcnt vmcnt(44) lgkmcnt(1)
	v_mul_f64 v[90:91], v[80:81], v[34:35]
	s_waitcnt vmcnt(42)
	v_fmac_f64_e32 v[90:91], v[82:83], v[36:37]
	v_add_f64 v[2:3], v[2:3], 0
	v_fma_f64 v[4:5], v[56:57], v[4:5], -v[8:9]
	v_add_f64 v[92:93], v[88:89], v[90:91]
	ds_read_b128 v[88:91], v1 offset:1616
	s_waitcnt vmcnt(41) lgkmcnt(1)
	v_mul_f64 v[94:95], v[84:85], v[30:31]
	v_add_f64 v[2:3], v[2:3], v[4:5]
	v_mul_f64 v[4:5], v[62:63], v[12:13]
	s_waitcnt vmcnt(40)
	v_fmac_f64_e32 v[94:95], v[86:87], v[32:33]
	v_fma_f64 v[4:5], v[60:61], v[6:7], -v[4:5]
	v_add_f64 v[96:97], v[92:93], v[94:95]
	ds_read_b128 v[92:95], v1 offset:1632
	v_add_f64 v[2:3], v[2:3], v[4:5]
	v_mul_f64 v[4:5], v[66:67], v[18:19]
	v_fma_f64 v[4:5], v[64:65], v[20:21], -v[4:5]
	v_add_f64 v[2:3], v[2:3], v[4:5]
	v_mul_f64 v[4:5], v[70:71], v[14:15]
	s_waitcnt vmcnt(36) lgkmcnt(1)
	v_mul_f64 v[98:99], v[88:89], v[42:43]
	v_fma_f64 v[4:5], v[68:69], v[16:17], -v[4:5]
	s_waitcnt vmcnt(34)
	v_fmac_f64_e32 v[98:99], v[90:91], v[44:45]
	v_add_f64 v[2:3], v[2:3], v[4:5]
	v_mul_f64 v[4:5], v[74:75], v[26:27]
	v_add_f64 v[100:101], v[96:97], v[98:99]
	ds_read_b128 v[96:99], v1 offset:1648
	s_waitcnt vmcnt(33) lgkmcnt(1)
	v_mul_f64 v[102:103], v[92:93], v[38:39]
	v_fma_f64 v[4:5], v[72:73], v[28:29], -v[4:5]
	s_waitcnt vmcnt(32)
	v_fmac_f64_e32 v[102:103], v[94:95], v[40:41]
	v_add_f64 v[2:3], v[2:3], v[4:5]
	v_mul_f64 v[4:5], v[78:79], v[22:23]
	v_add_f64 v[104:105], v[100:101], v[102:103]
	ds_read_b128 v[100:103], v1 offset:1664
	v_fma_f64 v[4:5], v[76:77], v[24:25], -v[4:5]
	v_add_f64 v[2:3], v[2:3], v[4:5]
	v_mul_f64 v[4:5], v[82:83], v[34:35]
	v_fma_f64 v[4:5], v[80:81], v[36:37], -v[4:5]
	s_waitcnt vmcnt(28) lgkmcnt(1)
	v_mul_f64 v[106:107], v[96:97], v[50:51]
	v_add_f64 v[2:3], v[2:3], v[4:5]
	v_mul_f64 v[4:5], v[86:87], v[30:31]
	s_waitcnt vmcnt(26)
	v_fmac_f64_e32 v[106:107], v[98:99], v[116:117]
	v_fma_f64 v[4:5], v[84:85], v[32:33], -v[4:5]
	v_add_f64 v[108:109], v[104:105], v[106:107]
	ds_read_b128 v[104:107], v1 offset:1680
	s_waitcnt vmcnt(25) lgkmcnt(1)
	v_mul_f64 v[110:111], v[100:101], v[46:47]
	v_add_f64 v[2:3], v[2:3], v[4:5]
	v_mul_f64 v[4:5], v[90:91], v[42:43]
	s_waitcnt vmcnt(24)
	v_fmac_f64_e32 v[110:111], v[102:103], v[48:49]
	v_fma_f64 v[4:5], v[88:89], v[44:45], -v[4:5]
	v_add_f64 v[112:113], v[108:109], v[110:111]
	ds_read_b128 v[108:111], v1 offset:1696
	v_add_f64 v[2:3], v[2:3], v[4:5]
	v_mul_f64 v[4:5], v[94:95], v[38:39]
	v_fma_f64 v[4:5], v[92:93], v[40:41], -v[4:5]
	v_add_f64 v[2:3], v[2:3], v[4:5]
	v_mul_f64 v[4:5], v[98:99], v[50:51]
	s_waitcnt vmcnt(20) lgkmcnt(1)
	v_mul_f64 v[114:115], v[104:105], v[130:131]
	v_fma_f64 v[4:5], v[96:97], v[116:117], -v[4:5]
	s_waitcnt vmcnt(18)
	v_fmac_f64_e32 v[114:115], v[106:107], v[132:133]
	v_add_f64 v[2:3], v[2:3], v[4:5]
	v_mul_f64 v[4:5], v[102:103], v[46:47]
	v_add_f64 v[120:121], v[112:113], v[114:115]
	ds_read_b128 v[112:115], v1 offset:1712
	s_waitcnt vmcnt(17) lgkmcnt(1)
	v_mul_f64 v[122:123], v[108:109], v[118:119]
	v_fma_f64 v[4:5], v[100:101], v[48:49], -v[4:5]
	s_waitcnt vmcnt(16)
	v_fmac_f64_e32 v[122:123], v[110:111], v[128:129]
	v_add_f64 v[2:3], v[2:3], v[4:5]
	v_mul_f64 v[4:5], v[106:107], v[130:131]
	v_add_f64 v[150:151], v[120:121], v[122:123]
	ds_read_b128 v[120:123], v1 offset:1728
	v_fma_f64 v[4:5], v[104:105], v[132:133], -v[4:5]
	v_add_f64 v[2:3], v[2:3], v[4:5]
	v_mul_f64 v[4:5], v[110:111], v[118:119]
	v_fma_f64 v[4:5], v[108:109], v[128:129], -v[4:5]
	v_add_f64 v[2:3], v[2:3], v[4:5]
	s_waitcnt vmcnt(12) lgkmcnt(1)
	v_mul_f64 v[4:5], v[114:115], v[138:139]
	v_mul_f64 v[152:153], v[112:113], v[138:139]
	s_waitcnt vmcnt(10)
	v_fma_f64 v[4:5], v[112:113], v[140:141], -v[4:5]
	v_fmac_f64_e32 v[152:153], v[114:115], v[140:141]
	v_add_f64 v[2:3], v[2:3], v[4:5]
	s_waitcnt vmcnt(9) lgkmcnt(0)
	v_mul_f64 v[4:5], v[122:123], v[134:135]
	v_add_f64 v[150:151], v[150:151], v[152:153]
	v_mul_f64 v[152:153], v[120:121], v[134:135]
	s_waitcnt vmcnt(8)
	v_fma_f64 v[4:5], v[120:121], v[136:137], -v[4:5]
	v_fmac_f64_e32 v[152:153], v[122:123], v[136:137]
	v_add_f64 v[2:3], v[2:3], v[4:5]
	s_waitcnt vmcnt(6)
	v_mul_f64 v[4:5], v[126:127], v[142:143]
	v_add_f64 v[150:151], v[150:151], v[152:153]
	v_mul_f64 v[152:153], v[124:125], v[142:143]
	s_waitcnt vmcnt(4)
	v_fma_f64 v[4:5], v[124:125], v[144:145], -v[4:5]
	v_fmac_f64_e32 v[152:153], v[126:127], v[144:145]
	v_add_f64 v[2:3], v[2:3], v[4:5]
	v_add_f64 v[150:151], v[150:151], v[152:153]
	s_waitcnt vmcnt(2)
	v_add_f64 v[2:3], v[146:147], -v[2:3]
	s_waitcnt vmcnt(0)
	v_add_f64 v[4:5], v[148:149], -v[150:151]
	buffer_store_dword v3, off, s[0:3], 0 offset:596
	buffer_store_dword v2, off, s[0:3], 0 offset:592
	;; [unrolled: 1-line block ×4, first 2 shown]
	s_and_saveexec_b64 s[4:5], vcc
	s_cbranch_execz .LBB118_273
; %bb.272:
	v_accvgpr_read_b32 v0, a129
	buffer_load_dword v2, v0, s[0:3], 0 offen
	buffer_load_dword v3, v0, s[0:3], 0 offen offset:4
	buffer_load_dword v4, v0, s[0:3], 0 offen offset:8
	;; [unrolled: 1-line block ×3, first 2 shown]
	v_mov_b32_e32 v0, 0
	v_accvgpr_read_b32 v1, a165
	buffer_store_dword v0, off, s[0:3], 0 offset:576
	buffer_store_dword v0, off, s[0:3], 0 offset:580
	;; [unrolled: 1-line block ×4, first 2 shown]
	s_waitcnt vmcnt(4)
	ds_write_b128 v1, v[2:5]
.LBB118_273:
	s_or_b64 exec, exec, s[4:5]
	s_waitcnt lgkmcnt(0)
	; wave barrier
	s_waitcnt lgkmcnt(0)
	buffer_load_dword v2, off, s[0:3], 0 offset:592
	buffer_load_dword v3, off, s[0:3], 0 offset:596
	;; [unrolled: 1-line block ×76, first 2 shown]
	v_mov_b32_e32 v1, 0
	ds_read_b128 v[54:57], v1 offset:1456
	buffer_load_dword v154, off, s[0:3], 0 offset:576
	buffer_load_dword v155, off, s[0:3], 0 offset:580
	;; [unrolled: 1-line block ×4, first 2 shown]
	ds_read_b128 v[58:61], v1 offset:1472
	ds_read_b128 v[62:65], v1 offset:1488
	;; [unrolled: 1-line block ×4, first 2 shown]
	v_cmp_lt_u32_e32 vcc, 34, v254
	s_waitcnt vmcnt(62) lgkmcnt(4)
	v_mul_f64 v[70:71], v[54:55], v[8:9]
	v_fmac_f64_e32 v[70:71], v[56:57], v[2:3]
	v_add_f64 v[70:71], v[70:71], 0
	v_mul_f64 v[8:9], v[56:57], v[8:9]
	s_waitcnt lgkmcnt(3)
	v_mul_f64 v[72:73], v[58:59], v[10:11]
	v_fmac_f64_e32 v[72:73], v[60:61], v[4:5]
	v_add_f64 v[70:71], v[70:71], v[72:73]
	v_fma_f64 v[2:3], v[54:55], v[2:3], -v[8:9]
	s_waitcnt lgkmcnt(2)
	v_mul_f64 v[72:73], v[62:63], v[12:13]
	v_fmac_f64_e32 v[72:73], v[64:65], v[6:7]
	v_add_f64 v[74:75], v[70:71], v[72:73]
	ds_read_b128 v[70:73], v1 offset:1520
	s_waitcnt lgkmcnt(2)
	v_mul_f64 v[76:77], v[66:67], v[18:19]
	v_mul_f64 v[8:9], v[60:61], v[10:11]
	v_fmac_f64_e32 v[76:77], v[68:69], v[20:21]
	v_add_f64 v[78:79], v[74:75], v[76:77]
	ds_read_b128 v[74:77], v1 offset:1536
	s_waitcnt vmcnt(61) lgkmcnt(1)
	v_mul_f64 v[80:81], v[70:71], v[14:15]
	s_waitcnt vmcnt(60)
	v_fmac_f64_e32 v[80:81], v[72:73], v[16:17]
	v_add_f64 v[82:83], v[78:79], v[80:81]
	ds_read_b128 v[78:81], v1 offset:1552
	s_waitcnt vmcnt(56) lgkmcnt(1)
	v_mul_f64 v[84:85], v[74:75], v[26:27]
	s_waitcnt vmcnt(54)
	;; [unrolled: 6-line block ×4, first 2 shown]
	v_fmac_f64_e32 v[92:93], v[84:85], v[36:37]
	v_add_f64 v[94:95], v[90:91], v[92:93]
	ds_read_b128 v[90:93], v1 offset:1600
	v_add_f64 v[2:3], v[2:3], 0
	v_fma_f64 v[4:5], v[58:59], v[4:5], -v[8:9]
	s_waitcnt vmcnt(45) lgkmcnt(1)
	v_mul_f64 v[96:97], v[86:87], v[30:31]
	v_add_f64 v[2:3], v[2:3], v[4:5]
	v_mul_f64 v[4:5], v[64:65], v[12:13]
	s_waitcnt vmcnt(44)
	v_fmac_f64_e32 v[96:97], v[88:89], v[32:33]
	v_fma_f64 v[4:5], v[62:63], v[6:7], -v[4:5]
	v_add_f64 v[98:99], v[94:95], v[96:97]
	ds_read_b128 v[94:97], v1 offset:1616
	s_waitcnt vmcnt(40) lgkmcnt(1)
	v_mul_f64 v[100:101], v[90:91], v[42:43]
	v_add_f64 v[2:3], v[2:3], v[4:5]
	v_mul_f64 v[4:5], v[68:69], v[18:19]
	s_waitcnt vmcnt(38)
	v_fmac_f64_e32 v[100:101], v[92:93], v[44:45]
	v_fma_f64 v[4:5], v[66:67], v[20:21], -v[4:5]
	v_add_f64 v[102:103], v[98:99], v[100:101]
	ds_read_b128 v[98:101], v1 offset:1632
	v_add_f64 v[2:3], v[2:3], v[4:5]
	v_mul_f64 v[4:5], v[72:73], v[14:15]
	v_fma_f64 v[4:5], v[70:71], v[16:17], -v[4:5]
	v_add_f64 v[2:3], v[2:3], v[4:5]
	v_mul_f64 v[4:5], v[76:77], v[26:27]
	s_waitcnt vmcnt(37) lgkmcnt(1)
	v_mul_f64 v[104:105], v[94:95], v[38:39]
	v_fma_f64 v[4:5], v[74:75], v[28:29], -v[4:5]
	s_waitcnt vmcnt(36)
	v_fmac_f64_e32 v[104:105], v[96:97], v[40:41]
	v_add_f64 v[2:3], v[2:3], v[4:5]
	v_mul_f64 v[4:5], v[80:81], v[22:23]
	v_add_f64 v[106:107], v[102:103], v[104:105]
	ds_read_b128 v[102:105], v1 offset:1648
	s_waitcnt vmcnt(32) lgkmcnt(1)
	v_mul_f64 v[108:109], v[98:99], v[50:51]
	v_fma_f64 v[4:5], v[78:79], v[24:25], -v[4:5]
	s_waitcnt vmcnt(30)
	v_fmac_f64_e32 v[108:109], v[100:101], v[52:53]
	v_add_f64 v[2:3], v[2:3], v[4:5]
	v_mul_f64 v[4:5], v[84:85], v[34:35]
	v_add_f64 v[110:111], v[106:107], v[108:109]
	ds_read_b128 v[106:109], v1 offset:1664
	v_fma_f64 v[4:5], v[82:83], v[36:37], -v[4:5]
	v_add_f64 v[2:3], v[2:3], v[4:5]
	v_mul_f64 v[4:5], v[88:89], v[30:31]
	v_fma_f64 v[4:5], v[86:87], v[32:33], -v[4:5]
	s_waitcnt vmcnt(29) lgkmcnt(1)
	v_mul_f64 v[112:113], v[102:103], v[46:47]
	v_add_f64 v[2:3], v[2:3], v[4:5]
	v_mul_f64 v[4:5], v[92:93], v[42:43]
	s_waitcnt vmcnt(28)
	v_fmac_f64_e32 v[112:113], v[104:105], v[48:49]
	v_fma_f64 v[4:5], v[90:91], v[44:45], -v[4:5]
	v_add_f64 v[114:115], v[110:111], v[112:113]
	ds_read_b128 v[110:113], v1 offset:1680
	s_waitcnt vmcnt(24) lgkmcnt(1)
	v_mul_f64 v[116:117], v[106:107], v[134:135]
	v_add_f64 v[2:3], v[2:3], v[4:5]
	v_mul_f64 v[4:5], v[96:97], v[38:39]
	s_waitcnt vmcnt(22)
	v_fmac_f64_e32 v[116:117], v[108:109], v[136:137]
	v_fma_f64 v[4:5], v[94:95], v[40:41], -v[4:5]
	v_add_f64 v[120:121], v[114:115], v[116:117]
	ds_read_b128 v[114:117], v1 offset:1696
	v_add_f64 v[2:3], v[2:3], v[4:5]
	v_mul_f64 v[4:5], v[100:101], v[50:51]
	v_fma_f64 v[4:5], v[98:99], v[52:53], -v[4:5]
	v_add_f64 v[2:3], v[2:3], v[4:5]
	v_mul_f64 v[4:5], v[104:105], v[46:47]
	s_waitcnt vmcnt(21) lgkmcnt(1)
	v_mul_f64 v[122:123], v[110:111], v[118:119]
	v_fma_f64 v[4:5], v[102:103], v[48:49], -v[4:5]
	s_waitcnt vmcnt(20)
	v_fmac_f64_e32 v[122:123], v[112:113], v[132:133]
	v_add_f64 v[2:3], v[2:3], v[4:5]
	v_mul_f64 v[4:5], v[108:109], v[134:135]
	v_add_f64 v[124:125], v[120:121], v[122:123]
	ds_read_b128 v[120:123], v1 offset:1712
	s_waitcnt vmcnt(16) lgkmcnt(1)
	v_mul_f64 v[126:127], v[114:115], v[142:143]
	v_fma_f64 v[4:5], v[106:107], v[136:137], -v[4:5]
	s_waitcnt vmcnt(14)
	v_fmac_f64_e32 v[126:127], v[116:117], v[144:145]
	v_add_f64 v[2:3], v[2:3], v[4:5]
	v_mul_f64 v[4:5], v[112:113], v[118:119]
	v_add_f64 v[158:159], v[124:125], v[126:127]
	ds_read_b128 v[124:127], v1 offset:1728
	v_fma_f64 v[4:5], v[110:111], v[132:133], -v[4:5]
	v_add_f64 v[2:3], v[2:3], v[4:5]
	v_mul_f64 v[4:5], v[116:117], v[142:143]
	v_fma_f64 v[4:5], v[114:115], v[144:145], -v[4:5]
	v_add_f64 v[2:3], v[2:3], v[4:5]
	s_waitcnt vmcnt(13) lgkmcnt(1)
	v_mul_f64 v[4:5], v[122:123], v[138:139]
	v_mul_f64 v[160:161], v[120:121], v[138:139]
	s_waitcnt vmcnt(12)
	v_fma_f64 v[4:5], v[120:121], v[140:141], -v[4:5]
	v_fmac_f64_e32 v[160:161], v[122:123], v[140:141]
	v_add_f64 v[2:3], v[2:3], v[4:5]
	s_waitcnt vmcnt(8) lgkmcnt(0)
	v_mul_f64 v[4:5], v[126:127], v[150:151]
	v_add_f64 v[158:159], v[158:159], v[160:161]
	v_mul_f64 v[160:161], v[124:125], v[150:151]
	s_waitcnt vmcnt(6)
	v_fma_f64 v[4:5], v[124:125], v[152:153], -v[4:5]
	v_fmac_f64_e32 v[160:161], v[126:127], v[152:153]
	v_add_f64 v[2:3], v[2:3], v[4:5]
	s_waitcnt vmcnt(5)
	v_mul_f64 v[4:5], v[130:131], v[146:147]
	v_add_f64 v[158:159], v[158:159], v[160:161]
	v_mul_f64 v[160:161], v[128:129], v[146:147]
	s_waitcnt vmcnt(4)
	v_fma_f64 v[4:5], v[128:129], v[148:149], -v[4:5]
	v_fmac_f64_e32 v[160:161], v[130:131], v[148:149]
	v_add_f64 v[2:3], v[2:3], v[4:5]
	v_add_f64 v[158:159], v[158:159], v[160:161]
	s_waitcnt vmcnt(2)
	v_add_f64 v[2:3], v[154:155], -v[2:3]
	s_waitcnt vmcnt(0)
	v_add_f64 v[4:5], v[156:157], -v[158:159]
	buffer_store_dword v3, off, s[0:3], 0 offset:580
	buffer_store_dword v2, off, s[0:3], 0 offset:576
	;; [unrolled: 1-line block ×4, first 2 shown]
	s_and_saveexec_b64 s[4:5], vcc
	s_cbranch_execz .LBB118_275
; %bb.274:
	v_accvgpr_read_b32 v0, a130
	buffer_load_dword v2, v0, s[0:3], 0 offen
	buffer_load_dword v3, v0, s[0:3], 0 offen offset:4
	buffer_load_dword v4, v0, s[0:3], 0 offen offset:8
	;; [unrolled: 1-line block ×3, first 2 shown]
	v_accvgpr_read_b32 v0, a165
	buffer_store_dword v1, off, s[0:3], 0 offset:560
	buffer_store_dword v1, off, s[0:3], 0 offset:564
	;; [unrolled: 1-line block ×4, first 2 shown]
	s_waitcnt vmcnt(4)
	ds_write_b128 v0, v[2:5]
.LBB118_275:
	s_or_b64 exec, exec, s[4:5]
	s_waitcnt lgkmcnt(0)
	; wave barrier
	s_waitcnt lgkmcnt(0)
	buffer_load_dword v2, off, s[0:3], 0 offset:576
	buffer_load_dword v3, off, s[0:3], 0 offset:580
	;; [unrolled: 1-line block ×76, first 2 shown]
	ds_read_b128 v[54:57], v1 offset:1440
	buffer_load_dword v159, off, s[0:3], 0 offset:892
	buffer_load_dword v158, off, s[0:3], 0 offset:888
	;; [unrolled: 1-line block ×8, first 2 shown]
	ds_read_b128 v[58:61], v1 offset:1456
	ds_read_b128 v[62:65], v1 offset:1472
	;; [unrolled: 1-line block ×3, first 2 shown]
	v_cmp_lt_u32_e32 vcc, 33, v254
	ds_read_b128 v[132:135], v1 offset:1744
	s_waitcnt vmcnt(62) lgkmcnt(4)
	v_mul_f64 v[70:71], v[54:55], v[8:9]
	v_fmac_f64_e32 v[70:71], v[56:57], v[2:3]
	v_add_f64 v[70:71], v[70:71], 0
	v_mul_f64 v[8:9], v[56:57], v[8:9]
	s_waitcnt lgkmcnt(3)
	v_mul_f64 v[72:73], v[58:59], v[10:11]
	v_fmac_f64_e32 v[72:73], v[60:61], v[4:5]
	v_add_f64 v[70:71], v[70:71], v[72:73]
	v_fma_f64 v[2:3], v[54:55], v[2:3], -v[8:9]
	s_waitcnt lgkmcnt(2)
	v_mul_f64 v[72:73], v[62:63], v[12:13]
	v_fmac_f64_e32 v[72:73], v[64:65], v[6:7]
	v_add_f64 v[74:75], v[70:71], v[72:73]
	ds_read_b128 v[70:73], v1 offset:1504
	v_mul_f64 v[8:9], v[60:61], v[10:11]
	v_add_f64 v[2:3], v[2:3], 0
	s_waitcnt lgkmcnt(2)
	v_mul_f64 v[76:77], v[66:67], v[18:19]
	v_fma_f64 v[4:5], v[58:59], v[4:5], -v[8:9]
	v_fmac_f64_e32 v[76:77], v[68:69], v[20:21]
	v_add_f64 v[78:79], v[74:75], v[76:77]
	ds_read_b128 v[74:77], v1 offset:1520
	s_waitcnt lgkmcnt(1)
	v_mul_f64 v[80:81], v[70:71], v[14:15]
	v_fmac_f64_e32 v[80:81], v[72:73], v[16:17]
	v_add_f64 v[82:83], v[78:79], v[80:81]
	ds_read_b128 v[78:81], v1 offset:1536
	s_waitcnt vmcnt(58) lgkmcnt(1)
	v_mul_f64 v[84:85], v[74:75], v[26:27]
	s_waitcnt vmcnt(56)
	v_fmac_f64_e32 v[84:85], v[76:77], v[28:29]
	v_add_f64 v[86:87], v[82:83], v[84:85]
	ds_read_b128 v[82:85], v1 offset:1552
	s_waitcnt lgkmcnt(1)
	v_mul_f64 v[88:89], v[78:79], v[22:23]
	v_fmac_f64_e32 v[88:89], v[80:81], v[24:25]
	v_add_f64 v[90:91], v[86:87], v[88:89]
	ds_read_b128 v[86:89], v1 offset:1568
	s_waitcnt vmcnt(50) lgkmcnt(1)
	v_mul_f64 v[92:93], v[82:83], v[34:35]
	s_waitcnt vmcnt(48)
	v_fmac_f64_e32 v[92:93], v[84:85], v[36:37]
	v_add_f64 v[94:95], v[90:91], v[92:93]
	ds_read_b128 v[90:93], v1 offset:1584
	s_waitcnt lgkmcnt(1)
	v_mul_f64 v[96:97], v[86:87], v[30:31]
	v_fmac_f64_e32 v[96:97], v[88:89], v[32:33]
	v_add_f64 v[98:99], v[94:95], v[96:97]
	ds_read_b128 v[94:97], v1 offset:1600
	v_add_f64 v[2:3], v[2:3], v[4:5]
	v_mul_f64 v[4:5], v[64:65], v[12:13]
	v_fma_f64 v[4:5], v[62:63], v[6:7], -v[4:5]
	s_waitcnt vmcnt(42) lgkmcnt(1)
	v_mul_f64 v[100:101], v[90:91], v[42:43]
	v_add_f64 v[2:3], v[2:3], v[4:5]
	v_mul_f64 v[4:5], v[68:69], v[18:19]
	s_waitcnt vmcnt(40)
	v_fmac_f64_e32 v[100:101], v[92:93], v[44:45]
	v_fma_f64 v[4:5], v[66:67], v[20:21], -v[4:5]
	v_add_f64 v[102:103], v[98:99], v[100:101]
	ds_read_b128 v[98:101], v1 offset:1616
	s_waitcnt lgkmcnt(1)
	v_mul_f64 v[104:105], v[94:95], v[38:39]
	v_add_f64 v[2:3], v[2:3], v[4:5]
	v_mul_f64 v[4:5], v[72:73], v[14:15]
	v_fmac_f64_e32 v[104:105], v[96:97], v[40:41]
	v_fma_f64 v[4:5], v[70:71], v[16:17], -v[4:5]
	v_add_f64 v[106:107], v[102:103], v[104:105]
	ds_read_b128 v[102:105], v1 offset:1632
	v_add_f64 v[2:3], v[2:3], v[4:5]
	v_mul_f64 v[4:5], v[76:77], v[26:27]
	v_fma_f64 v[4:5], v[74:75], v[28:29], -v[4:5]
	v_add_f64 v[2:3], v[2:3], v[4:5]
	v_mul_f64 v[4:5], v[80:81], v[22:23]
	s_waitcnt vmcnt(34) lgkmcnt(1)
	v_mul_f64 v[108:109], v[98:99], v[50:51]
	v_fma_f64 v[4:5], v[78:79], v[24:25], -v[4:5]
	s_waitcnt vmcnt(32)
	v_fmac_f64_e32 v[108:109], v[100:101], v[52:53]
	v_add_f64 v[2:3], v[2:3], v[4:5]
	v_mul_f64 v[4:5], v[84:85], v[34:35]
	v_add_f64 v[110:111], v[106:107], v[108:109]
	ds_read_b128 v[106:109], v1 offset:1648
	s_waitcnt lgkmcnt(1)
	v_mul_f64 v[112:113], v[102:103], v[46:47]
	v_fma_f64 v[4:5], v[82:83], v[36:37], -v[4:5]
	v_fmac_f64_e32 v[112:113], v[104:105], v[48:49]
	v_add_f64 v[2:3], v[2:3], v[4:5]
	v_mul_f64 v[4:5], v[88:89], v[30:31]
	v_add_f64 v[114:115], v[110:111], v[112:113]
	ds_read_b128 v[110:113], v1 offset:1664
	v_fma_f64 v[4:5], v[86:87], v[32:33], -v[4:5]
	v_add_f64 v[2:3], v[2:3], v[4:5]
	v_mul_f64 v[4:5], v[92:93], v[42:43]
	v_fma_f64 v[4:5], v[90:91], v[44:45], -v[4:5]
	s_waitcnt vmcnt(26) lgkmcnt(1)
	v_mul_f64 v[116:117], v[106:107], v[138:139]
	v_add_f64 v[2:3], v[2:3], v[4:5]
	v_mul_f64 v[4:5], v[96:97], v[38:39]
	s_waitcnt vmcnt(24)
	v_fmac_f64_e32 v[116:117], v[108:109], v[140:141]
	v_fma_f64 v[4:5], v[94:95], v[40:41], -v[4:5]
	v_add_f64 v[120:121], v[114:115], v[116:117]
	ds_read_b128 v[114:117], v1 offset:1680
	s_waitcnt lgkmcnt(1)
	v_mul_f64 v[122:123], v[110:111], v[118:119]
	v_add_f64 v[2:3], v[2:3], v[4:5]
	v_mul_f64 v[4:5], v[100:101], v[50:51]
	v_fmac_f64_e32 v[122:123], v[112:113], v[136:137]
	v_fma_f64 v[4:5], v[98:99], v[52:53], -v[4:5]
	v_add_f64 v[124:125], v[120:121], v[122:123]
	ds_read_b128 v[120:123], v1 offset:1696
	v_add_f64 v[2:3], v[2:3], v[4:5]
	v_mul_f64 v[4:5], v[104:105], v[46:47]
	v_fma_f64 v[4:5], v[102:103], v[48:49], -v[4:5]
	v_add_f64 v[2:3], v[2:3], v[4:5]
	v_mul_f64 v[4:5], v[108:109], v[138:139]
	s_waitcnt vmcnt(18) lgkmcnt(1)
	v_mul_f64 v[126:127], v[114:115], v[146:147]
	v_fma_f64 v[4:5], v[106:107], v[140:141], -v[4:5]
	s_waitcnt vmcnt(16)
	v_fmac_f64_e32 v[126:127], v[116:117], v[148:149]
	v_add_f64 v[2:3], v[2:3], v[4:5]
	v_mul_f64 v[4:5], v[112:113], v[118:119]
	v_add_f64 v[128:129], v[124:125], v[126:127]
	ds_read_b128 v[124:127], v1 offset:1712
	s_waitcnt lgkmcnt(1)
	v_mul_f64 v[130:131], v[120:121], v[142:143]
	v_fma_f64 v[4:5], v[110:111], v[136:137], -v[4:5]
	v_fmac_f64_e32 v[130:131], v[122:123], v[144:145]
	v_add_f64 v[2:3], v[2:3], v[4:5]
	v_mul_f64 v[4:5], v[116:117], v[146:147]
	v_add_f64 v[166:167], v[128:129], v[130:131]
	ds_read_b128 v[128:131], v1 offset:1728
	v_fma_f64 v[4:5], v[114:115], v[148:149], -v[4:5]
	v_add_f64 v[2:3], v[2:3], v[4:5]
	v_mul_f64 v[4:5], v[122:123], v[142:143]
	v_fma_f64 v[4:5], v[120:121], v[144:145], -v[4:5]
	v_add_f64 v[2:3], v[2:3], v[4:5]
	s_waitcnt vmcnt(10) lgkmcnt(1)
	v_mul_f64 v[4:5], v[126:127], v[154:155]
	v_mul_f64 v[168:169], v[124:125], v[154:155]
	s_waitcnt vmcnt(8)
	v_fma_f64 v[4:5], v[124:125], v[156:157], -v[4:5]
	v_fmac_f64_e32 v[168:169], v[126:127], v[156:157]
	v_add_f64 v[2:3], v[2:3], v[4:5]
	s_waitcnt lgkmcnt(0)
	v_mul_f64 v[4:5], v[130:131], v[150:151]
	v_add_f64 v[166:167], v[166:167], v[168:169]
	v_mul_f64 v[168:169], v[128:129], v[150:151]
	v_fma_f64 v[4:5], v[128:129], v[152:153], -v[4:5]
	v_fmac_f64_e32 v[168:169], v[130:131], v[152:153]
	v_add_f64 v[2:3], v[2:3], v[4:5]
	s_waitcnt vmcnt(6)
	v_mul_f64 v[4:5], v[134:135], v[158:159]
	v_add_f64 v[166:167], v[166:167], v[168:169]
	v_mul_f64 v[168:169], v[132:133], v[158:159]
	s_waitcnt vmcnt(4)
	v_fma_f64 v[4:5], v[132:133], v[160:161], -v[4:5]
	v_fmac_f64_e32 v[168:169], v[134:135], v[160:161]
	v_add_f64 v[2:3], v[2:3], v[4:5]
	v_add_f64 v[166:167], v[166:167], v[168:169]
	s_waitcnt vmcnt(2)
	v_add_f64 v[2:3], v[162:163], -v[2:3]
	s_waitcnt vmcnt(0)
	v_add_f64 v[4:5], v[164:165], -v[166:167]
	buffer_store_dword v3, off, s[0:3], 0 offset:564
	buffer_store_dword v2, off, s[0:3], 0 offset:560
	;; [unrolled: 1-line block ×4, first 2 shown]
	s_and_saveexec_b64 s[4:5], vcc
	s_cbranch_execz .LBB118_277
; %bb.276:
	v_accvgpr_read_b32 v0, a131
	buffer_load_dword v2, v0, s[0:3], 0 offen
	buffer_load_dword v3, v0, s[0:3], 0 offen offset:4
	buffer_load_dword v4, v0, s[0:3], 0 offen offset:8
	;; [unrolled: 1-line block ×3, first 2 shown]
	v_mov_b32_e32 v0, 0
	v_accvgpr_read_b32 v1, a165
	buffer_store_dword v0, off, s[0:3], 0 offset:544
	buffer_store_dword v0, off, s[0:3], 0 offset:548
	;; [unrolled: 1-line block ×4, first 2 shown]
	s_waitcnt vmcnt(4)
	ds_write_b128 v1, v[2:5]
.LBB118_277:
	s_or_b64 exec, exec, s[4:5]
	s_waitcnt lgkmcnt(0)
	; wave barrier
	s_waitcnt lgkmcnt(0)
	buffer_load_dword v4, off, s[0:3], 0 offset:544
	buffer_load_dword v5, off, s[0:3], 0 offset:548
	;; [unrolled: 1-line block ×84, first 2 shown]
	v_mov_b32_e32 v1, 0
	ds_read_b128 v[66:69], v1 offset:1424
	buffer_load_dword v171, off, s[0:3], 0 offset:892
	buffer_load_dword v170, off, s[0:3], 0 offset:888
	;; [unrolled: 1-line block ×4, first 2 shown]
	ds_read_b128 v[70:73], v1 offset:1440
	ds_read_b128 v[74:77], v1 offset:1456
	;; [unrolled: 1-line block ×4, first 2 shown]
	v_cmp_lt_u32_e32 vcc, 32, v254
	s_waitcnt vmcnt(62) lgkmcnt(4)
	v_mul_f64 v[82:83], v[66:67], v[12:13]
	v_fmac_f64_e32 v[82:83], v[68:69], v[6:7]
	s_waitcnt lgkmcnt(3)
	v_mul_f64 v[84:85], v[70:71], v[14:15]
	v_add_f64 v[82:83], v[82:83], 0
	v_fmac_f64_e32 v[84:85], v[72:73], v[8:9]
	v_add_f64 v[82:83], v[82:83], v[84:85]
	s_waitcnt lgkmcnt(2)
	v_mul_f64 v[84:85], v[74:75], v[16:17]
	v_fmac_f64_e32 v[84:85], v[76:77], v[10:11]
	v_add_f64 v[86:87], v[82:83], v[84:85]
	ds_read_b128 v[82:85], v1 offset:1488
	v_mul_f64 v[12:13], v[68:69], v[12:13]
	s_waitcnt lgkmcnt(2)
	v_mul_f64 v[88:89], v[78:79], v[22:23]
	v_fma_f64 v[6:7], v[66:67], v[6:7], -v[12:13]
	v_fmac_f64_e32 v[88:89], v[80:81], v[24:25]
	v_add_f64 v[90:91], v[86:87], v[88:89]
	ds_read_b128 v[86:89], v1 offset:1504
	s_waitcnt lgkmcnt(1)
	v_mul_f64 v[92:93], v[82:83], v[18:19]
	v_fmac_f64_e32 v[92:93], v[84:85], v[20:21]
	v_add_f64 v[94:95], v[90:91], v[92:93]
	ds_read_b128 v[90:93], v1 offset:1520
	s_waitcnt vmcnt(58) lgkmcnt(1)
	v_mul_f64 v[96:97], v[86:87], v[30:31]
	s_waitcnt vmcnt(56)
	v_fmac_f64_e32 v[96:97], v[88:89], v[32:33]
	v_add_f64 v[98:99], v[94:95], v[96:97]
	ds_read_b128 v[94:97], v1 offset:1536
	s_waitcnt lgkmcnt(1)
	v_mul_f64 v[100:101], v[90:91], v[26:27]
	v_fmac_f64_e32 v[100:101], v[92:93], v[28:29]
	v_add_f64 v[102:103], v[98:99], v[100:101]
	ds_read_b128 v[98:101], v1 offset:1552
	s_waitcnt vmcnt(50) lgkmcnt(1)
	v_mul_f64 v[104:105], v[94:95], v[38:39]
	s_waitcnt vmcnt(48)
	v_fmac_f64_e32 v[104:105], v[96:97], v[40:41]
	v_add_f64 v[106:107], v[102:103], v[104:105]
	ds_read_b128 v[102:105], v1 offset:1568
	s_waitcnt lgkmcnt(1)
	v_mul_f64 v[108:109], v[98:99], v[34:35]
	v_fmac_f64_e32 v[108:109], v[100:101], v[36:37]
	v_mul_f64 v[12:13], v[72:73], v[14:15]
	v_add_f64 v[110:111], v[106:107], v[108:109]
	ds_read_b128 v[106:109], v1 offset:1584
	s_waitcnt vmcnt(42) lgkmcnt(1)
	v_mul_f64 v[112:113], v[102:103], v[46:47]
	v_add_f64 v[6:7], v[6:7], 0
	v_fma_f64 v[8:9], v[70:71], v[8:9], -v[12:13]
	s_waitcnt vmcnt(40)
	v_fmac_f64_e32 v[112:113], v[104:105], v[48:49]
	v_add_f64 v[6:7], v[6:7], v[8:9]
	v_mul_f64 v[8:9], v[76:77], v[16:17]
	v_add_f64 v[114:115], v[110:111], v[112:113]
	ds_read_b128 v[110:113], v1 offset:1600
	v_fma_f64 v[8:9], v[74:75], v[10:11], -v[8:9]
	v_add_f64 v[6:7], v[6:7], v[8:9]
	v_mul_f64 v[8:9], v[80:81], v[22:23]
	v_fma_f64 v[8:9], v[78:79], v[24:25], -v[8:9]
	s_waitcnt lgkmcnt(1)
	v_mul_f64 v[116:117], v[106:107], v[42:43]
	v_add_f64 v[6:7], v[6:7], v[8:9]
	v_mul_f64 v[8:9], v[84:85], v[18:19]
	v_fmac_f64_e32 v[116:117], v[108:109], v[44:45]
	v_fma_f64 v[8:9], v[82:83], v[20:21], -v[8:9]
	v_add_f64 v[120:121], v[114:115], v[116:117]
	ds_read_b128 v[114:117], v1 offset:1616
	s_waitcnt vmcnt(34) lgkmcnt(1)
	v_mul_f64 v[122:123], v[110:111], v[54:55]
	v_add_f64 v[6:7], v[6:7], v[8:9]
	v_mul_f64 v[8:9], v[88:89], v[30:31]
	s_waitcnt vmcnt(32)
	v_fmac_f64_e32 v[122:123], v[112:113], v[56:57]
	v_fma_f64 v[8:9], v[86:87], v[32:33], -v[8:9]
	v_add_f64 v[124:125], v[120:121], v[122:123]
	ds_read_b128 v[120:123], v1 offset:1632
	v_add_f64 v[6:7], v[6:7], v[8:9]
	v_mul_f64 v[8:9], v[92:93], v[26:27]
	v_fma_f64 v[8:9], v[90:91], v[28:29], -v[8:9]
	v_add_f64 v[6:7], v[6:7], v[8:9]
	v_mul_f64 v[8:9], v[96:97], v[38:39]
	s_waitcnt lgkmcnt(1)
	v_mul_f64 v[126:127], v[114:115], v[50:51]
	v_fma_f64 v[8:9], v[94:95], v[40:41], -v[8:9]
	v_fmac_f64_e32 v[126:127], v[116:117], v[52:53]
	v_add_f64 v[6:7], v[6:7], v[8:9]
	v_mul_f64 v[8:9], v[100:101], v[34:35]
	v_add_f64 v[128:129], v[124:125], v[126:127]
	ds_read_b128 v[124:127], v1 offset:1648
	s_waitcnt vmcnt(26) lgkmcnt(1)
	v_mul_f64 v[130:131], v[120:121], v[62:63]
	v_fma_f64 v[8:9], v[98:99], v[36:37], -v[8:9]
	s_waitcnt vmcnt(24)
	v_fmac_f64_e32 v[130:131], v[122:123], v[64:65]
	v_add_f64 v[6:7], v[6:7], v[8:9]
	v_mul_f64 v[8:9], v[104:105], v[46:47]
	v_add_f64 v[132:133], v[128:129], v[130:131]
	ds_read_b128 v[128:131], v1 offset:1664
	v_fma_f64 v[8:9], v[102:103], v[48:49], -v[8:9]
	v_add_f64 v[6:7], v[6:7], v[8:9]
	v_mul_f64 v[8:9], v[108:109], v[42:43]
	v_fma_f64 v[8:9], v[106:107], v[44:45], -v[8:9]
	s_waitcnt lgkmcnt(1)
	v_mul_f64 v[134:135], v[124:125], v[58:59]
	v_add_f64 v[6:7], v[6:7], v[8:9]
	v_mul_f64 v[8:9], v[112:113], v[54:55]
	v_fmac_f64_e32 v[134:135], v[126:127], v[60:61]
	v_fma_f64 v[8:9], v[110:111], v[56:57], -v[8:9]
	v_add_f64 v[136:137], v[132:133], v[134:135]
	ds_read_b128 v[132:135], v1 offset:1680
	s_waitcnt vmcnt(18) lgkmcnt(1)
	v_mul_f64 v[138:139], v[128:129], v[154:155]
	v_add_f64 v[6:7], v[6:7], v[8:9]
	v_mul_f64 v[8:9], v[116:117], v[50:51]
	s_waitcnt vmcnt(16)
	v_fmac_f64_e32 v[138:139], v[130:131], v[156:157]
	v_fma_f64 v[8:9], v[114:115], v[52:53], -v[8:9]
	v_add_f64 v[140:141], v[136:137], v[138:139]
	ds_read_b128 v[136:139], v1 offset:1696
	v_add_f64 v[6:7], v[6:7], v[8:9]
	v_mul_f64 v[8:9], v[122:123], v[62:63]
	v_fma_f64 v[8:9], v[120:121], v[64:65], -v[8:9]
	v_add_f64 v[6:7], v[6:7], v[8:9]
	v_mul_f64 v[8:9], v[126:127], v[58:59]
	s_waitcnt lgkmcnt(1)
	v_mul_f64 v[142:143], v[132:133], v[118:119]
	v_fma_f64 v[8:9], v[124:125], v[60:61], -v[8:9]
	v_fmac_f64_e32 v[142:143], v[134:135], v[152:153]
	v_add_f64 v[6:7], v[6:7], v[8:9]
	v_mul_f64 v[8:9], v[130:131], v[154:155]
	v_add_f64 v[144:145], v[140:141], v[142:143]
	ds_read_b128 v[140:143], v1 offset:1712
	s_waitcnt vmcnt(10) lgkmcnt(1)
	v_mul_f64 v[146:147], v[136:137], v[162:163]
	v_fma_f64 v[8:9], v[128:129], v[156:157], -v[8:9]
	s_waitcnt vmcnt(8)
	v_fmac_f64_e32 v[146:147], v[138:139], v[164:165]
	v_add_f64 v[6:7], v[6:7], v[8:9]
	v_mul_f64 v[8:9], v[134:135], v[118:119]
	v_add_f64 v[174:175], v[144:145], v[146:147]
	ds_read_b128 v[144:147], v1 offset:1728
	v_fma_f64 v[8:9], v[132:133], v[152:153], -v[8:9]
	v_add_f64 v[6:7], v[6:7], v[8:9]
	v_mul_f64 v[8:9], v[138:139], v[162:163]
	v_fma_f64 v[8:9], v[136:137], v[164:165], -v[8:9]
	v_add_f64 v[6:7], v[6:7], v[8:9]
	s_waitcnt lgkmcnt(1)
	v_mul_f64 v[8:9], v[142:143], v[158:159]
	v_mul_f64 v[176:177], v[140:141], v[158:159]
	v_fma_f64 v[8:9], v[140:141], v[160:161], -v[8:9]
	v_fmac_f64_e32 v[176:177], v[142:143], v[160:161]
	v_add_f64 v[6:7], v[6:7], v[8:9]
	s_waitcnt vmcnt(6) lgkmcnt(0)
	v_mul_f64 v[8:9], v[146:147], v[166:167]
	v_add_f64 v[174:175], v[174:175], v[176:177]
	v_mul_f64 v[176:177], v[144:145], v[166:167]
	s_waitcnt vmcnt(4)
	v_fma_f64 v[8:9], v[144:145], v[168:169], -v[8:9]
	v_fmac_f64_e32 v[176:177], v[146:147], v[168:169]
	v_add_f64 v[6:7], v[6:7], v[8:9]
	s_waitcnt vmcnt(2)
	v_mul_f64 v[8:9], v[150:151], v[170:171]
	v_add_f64 v[174:175], v[174:175], v[176:177]
	v_mul_f64 v[176:177], v[148:149], v[170:171]
	s_waitcnt vmcnt(0)
	v_fma_f64 v[8:9], v[148:149], v[172:173], -v[8:9]
	v_fmac_f64_e32 v[176:177], v[150:151], v[172:173]
	v_add_f64 v[6:7], v[6:7], v[8:9]
	v_add_f64 v[174:175], v[174:175], v[176:177]
	v_add_f64 v[4:5], v[4:5], -v[6:7]
	v_add_f64 v[2:3], v[2:3], -v[174:175]
	buffer_store_dword v5, off, s[0:3], 0 offset:548
	buffer_store_dword v4, off, s[0:3], 0 offset:544
	;; [unrolled: 1-line block ×4, first 2 shown]
	s_and_saveexec_b64 s[4:5], vcc
	s_cbranch_execz .LBB118_279
; %bb.278:
	v_accvgpr_read_b32 v0, a132
	buffer_load_dword v2, v0, s[0:3], 0 offen
	buffer_load_dword v3, v0, s[0:3], 0 offen offset:4
	buffer_load_dword v4, v0, s[0:3], 0 offen offset:8
	;; [unrolled: 1-line block ×3, first 2 shown]
	v_accvgpr_read_b32 v0, a165
	buffer_store_dword v1, off, s[0:3], 0 offset:528
	buffer_store_dword v1, off, s[0:3], 0 offset:532
	buffer_store_dword v1, off, s[0:3], 0 offset:536
	buffer_store_dword v1, off, s[0:3], 0 offset:540
	s_waitcnt vmcnt(4)
	ds_write_b128 v0, v[2:5]
.LBB118_279:
	s_or_b64 exec, exec, s[4:5]
	s_waitcnt lgkmcnt(0)
	; wave barrier
	s_waitcnt lgkmcnt(0)
	ds_read_b128 v[14:17], v1 offset:1408
	ds_read_b128 v[10:13], v1 offset:1424
	;; [unrolled: 1-line block ×4, first 2 shown]
	buffer_load_dword v20, off, s[0:3], 0 offset:528
	buffer_load_dword v21, off, s[0:3], 0 offset:532
	;; [unrolled: 1-line block ×92, first 2 shown]
	s_waitcnt vmcnt(62) lgkmcnt(3)
	v_mul_f64 v[86:87], v[14:15], v[28:29]
	v_fmac_f64_e32 v[86:87], v[16:17], v[22:23]
	s_waitcnt lgkmcnt(2)
	v_mul_f64 v[88:89], v[10:11], v[30:31]
	v_add_f64 v[86:87], v[86:87], 0
	v_fmac_f64_e32 v[88:89], v[12:13], v[24:25]
	v_add_f64 v[86:87], v[86:87], v[88:89]
	s_waitcnt lgkmcnt(1)
	v_mul_f64 v[88:89], v[6:7], v[32:33]
	v_fmac_f64_e32 v[88:89], v[8:9], v[26:27]
	v_add_f64 v[90:91], v[86:87], v[88:89]
	ds_read_b128 v[86:89], v1 offset:1472
	v_mul_f64 v[16:17], v[16:17], v[28:29]
	v_fma_f64 v[14:15], v[14:15], v[22:23], -v[16:17]
	s_waitcnt lgkmcnt(1)
	v_mul_f64 v[92:93], v[2:3], v[38:39]
	v_mul_f64 v[12:13], v[12:13], v[30:31]
	v_fmac_f64_e32 v[92:93], v[4:5], v[40:41]
	v_add_f64 v[94:95], v[90:91], v[92:93]
	ds_read_b128 v[90:93], v1 offset:1488
	s_waitcnt lgkmcnt(1)
	v_mul_f64 v[96:97], v[86:87], v[34:35]
	v_fmac_f64_e32 v[96:97], v[88:89], v[36:37]
	v_add_f64 v[98:99], v[94:95], v[96:97]
	ds_read_b128 v[94:97], v1 offset:1504
	s_waitcnt lgkmcnt(1)
	v_mul_f64 v[100:101], v[90:91], v[46:47]
	s_waitcnt vmcnt(60)
	v_fmac_f64_e32 v[100:101], v[92:93], v[48:49]
	v_add_f64 v[102:103], v[98:99], v[100:101]
	ds_read_b128 v[98:101], v1 offset:1520
	s_waitcnt lgkmcnt(1)
	v_mul_f64 v[104:105], v[94:95], v[42:43]
	v_fmac_f64_e32 v[104:105], v[96:97], v[44:45]
	v_add_f64 v[106:107], v[102:103], v[104:105]
	ds_read_b128 v[102:105], v1 offset:1536
	s_waitcnt vmcnt(54) lgkmcnt(1)
	v_mul_f64 v[108:109], v[98:99], v[54:55]
	s_waitcnt vmcnt(52)
	v_fmac_f64_e32 v[108:109], v[100:101], v[56:57]
	v_add_f64 v[110:111], v[106:107], v[108:109]
	ds_read_b128 v[106:109], v1 offset:1552
	s_waitcnt lgkmcnt(1)
	v_mul_f64 v[112:113], v[102:103], v[50:51]
	v_fmac_f64_e32 v[112:113], v[104:105], v[52:53]
	v_add_f64 v[114:115], v[110:111], v[112:113]
	ds_read_b128 v[110:113], v1 offset:1568
	s_waitcnt vmcnt(46) lgkmcnt(1)
	v_mul_f64 v[116:117], v[106:107], v[62:63]
	s_waitcnt vmcnt(44)
	v_fmac_f64_e32 v[116:117], v[108:109], v[64:65]
	v_add_f64 v[120:121], v[114:115], v[116:117]
	ds_read_b128 v[114:117], v1 offset:1584
	s_waitcnt lgkmcnt(1)
	v_mul_f64 v[122:123], v[110:111], v[58:59]
	v_fmac_f64_e32 v[122:123], v[112:113], v[60:61]
	v_add_f64 v[14:15], v[14:15], 0
	v_fma_f64 v[10:11], v[10:11], v[24:25], -v[12:13]
	v_mul_f64 v[8:9], v[8:9], v[32:33]
	v_add_f64 v[124:125], v[120:121], v[122:123]
	ds_read_b128 v[120:123], v1 offset:1600
	v_add_f64 v[10:11], v[14:15], v[10:11]
	v_fma_f64 v[6:7], v[6:7], v[26:27], -v[8:9]
	v_mul_f64 v[4:5], v[4:5], v[38:39]
	v_add_f64 v[6:7], v[10:11], v[6:7]
	v_fma_f64 v[2:3], v[2:3], v[40:41], -v[4:5]
	v_mul_f64 v[4:5], v[88:89], v[34:35]
	v_add_f64 v[2:3], v[6:7], v[2:3]
	v_fma_f64 v[4:5], v[86:87], v[36:37], -v[4:5]
	s_waitcnt vmcnt(38) lgkmcnt(1)
	v_mul_f64 v[126:127], v[114:115], v[70:71]
	v_add_f64 v[2:3], v[2:3], v[4:5]
	v_mul_f64 v[4:5], v[92:93], v[46:47]
	s_waitcnt vmcnt(36)
	v_fmac_f64_e32 v[126:127], v[116:117], v[72:73]
	v_fma_f64 v[4:5], v[90:91], v[48:49], -v[4:5]
	v_add_f64 v[128:129], v[124:125], v[126:127]
	ds_read_b128 v[124:127], v1 offset:1616
	s_waitcnt lgkmcnt(1)
	v_mul_f64 v[130:131], v[120:121], v[66:67]
	v_add_f64 v[2:3], v[2:3], v[4:5]
	v_mul_f64 v[4:5], v[96:97], v[42:43]
	v_fmac_f64_e32 v[130:131], v[122:123], v[68:69]
	v_fma_f64 v[4:5], v[94:95], v[44:45], -v[4:5]
	v_add_f64 v[132:133], v[128:129], v[130:131]
	ds_read_b128 v[128:131], v1 offset:1632
	v_add_f64 v[2:3], v[2:3], v[4:5]
	v_mul_f64 v[4:5], v[100:101], v[54:55]
	v_fma_f64 v[4:5], v[98:99], v[56:57], -v[4:5]
	v_add_f64 v[2:3], v[2:3], v[4:5]
	v_mul_f64 v[4:5], v[104:105], v[50:51]
	s_waitcnt vmcnt(30) lgkmcnt(1)
	v_mul_f64 v[134:135], v[124:125], v[78:79]
	v_fma_f64 v[4:5], v[102:103], v[52:53], -v[4:5]
	s_waitcnt vmcnt(28)
	v_fmac_f64_e32 v[134:135], v[126:127], v[80:81]
	v_add_f64 v[2:3], v[2:3], v[4:5]
	v_mul_f64 v[4:5], v[108:109], v[62:63]
	v_add_f64 v[136:137], v[132:133], v[134:135]
	ds_read_b128 v[132:135], v1 offset:1648
	s_waitcnt lgkmcnt(1)
	v_mul_f64 v[138:139], v[128:129], v[74:75]
	v_fma_f64 v[4:5], v[106:107], v[64:65], -v[4:5]
	v_fmac_f64_e32 v[138:139], v[130:131], v[76:77]
	v_add_f64 v[2:3], v[2:3], v[4:5]
	v_mul_f64 v[4:5], v[112:113], v[58:59]
	v_add_f64 v[140:141], v[136:137], v[138:139]
	ds_read_b128 v[136:139], v1 offset:1664
	v_fma_f64 v[4:5], v[110:111], v[60:61], -v[4:5]
	v_add_f64 v[2:3], v[2:3], v[4:5]
	v_mul_f64 v[4:5], v[116:117], v[70:71]
	v_fma_f64 v[4:5], v[114:115], v[72:73], -v[4:5]
	s_waitcnt vmcnt(22) lgkmcnt(1)
	v_mul_f64 v[142:143], v[132:133], v[118:119]
	v_add_f64 v[2:3], v[2:3], v[4:5]
	v_mul_f64 v[4:5], v[122:123], v[66:67]
	s_waitcnt vmcnt(20)
	v_fmac_f64_e32 v[142:143], v[134:135], v[160:161]
	v_fma_f64 v[4:5], v[120:121], v[68:69], -v[4:5]
	v_add_f64 v[144:145], v[140:141], v[142:143]
	ds_read_b128 v[140:143], v1 offset:1680
	s_waitcnt lgkmcnt(1)
	v_mul_f64 v[146:147], v[136:137], v[82:83]
	v_add_f64 v[2:3], v[2:3], v[4:5]
	v_mul_f64 v[4:5], v[126:127], v[78:79]
	v_fmac_f64_e32 v[146:147], v[138:139], v[84:85]
	v_fma_f64 v[4:5], v[124:125], v[80:81], -v[4:5]
	v_add_f64 v[148:149], v[144:145], v[146:147]
	ds_read_b128 v[144:147], v1 offset:1696
	v_add_f64 v[2:3], v[2:3], v[4:5]
	v_mul_f64 v[4:5], v[130:131], v[74:75]
	v_fma_f64 v[4:5], v[128:129], v[76:77], -v[4:5]
	v_add_f64 v[2:3], v[2:3], v[4:5]
	v_mul_f64 v[4:5], v[134:135], v[118:119]
	s_waitcnt vmcnt(14) lgkmcnt(1)
	v_mul_f64 v[150:151], v[140:141], v[166:167]
	v_fma_f64 v[4:5], v[132:133], v[160:161], -v[4:5]
	s_waitcnt vmcnt(12)
	v_fmac_f64_e32 v[150:151], v[142:143], v[168:169]
	v_add_f64 v[2:3], v[2:3], v[4:5]
	v_mul_f64 v[4:5], v[138:139], v[82:83]
	v_add_f64 v[152:153], v[148:149], v[150:151]
	ds_read_b128 v[148:151], v1 offset:1712
	s_waitcnt lgkmcnt(1)
	v_mul_f64 v[154:155], v[144:145], v[162:163]
	v_fma_f64 v[4:5], v[136:137], v[84:85], -v[4:5]
	v_fmac_f64_e32 v[154:155], v[146:147], v[164:165]
	v_add_f64 v[2:3], v[2:3], v[4:5]
	v_mul_f64 v[4:5], v[142:143], v[166:167]
	v_add_f64 v[182:183], v[152:153], v[154:155]
	ds_read_b128 v[152:155], v1 offset:1728
	ds_read_b128 v[156:159], v1 offset:1744
	v_fma_f64 v[4:5], v[140:141], v[168:169], -v[4:5]
	v_add_f64 v[2:3], v[2:3], v[4:5]
	v_mul_f64 v[4:5], v[146:147], v[162:163]
	v_fma_f64 v[4:5], v[144:145], v[164:165], -v[4:5]
	v_add_f64 v[2:3], v[2:3], v[4:5]
	s_waitcnt vmcnt(6) lgkmcnt(2)
	v_mul_f64 v[4:5], v[150:151], v[174:175]
	v_mul_f64 v[184:185], v[148:149], v[174:175]
	s_waitcnt vmcnt(4)
	v_fma_f64 v[4:5], v[148:149], v[176:177], -v[4:5]
	v_fmac_f64_e32 v[184:185], v[150:151], v[176:177]
	v_add_f64 v[2:3], v[2:3], v[4:5]
	s_waitcnt lgkmcnt(1)
	v_mul_f64 v[4:5], v[154:155], v[170:171]
	v_add_f64 v[182:183], v[182:183], v[184:185]
	v_mul_f64 v[184:185], v[152:153], v[170:171]
	v_fma_f64 v[4:5], v[152:153], v[172:173], -v[4:5]
	v_fmac_f64_e32 v[184:185], v[154:155], v[172:173]
	v_add_f64 v[2:3], v[2:3], v[4:5]
	s_waitcnt vmcnt(2) lgkmcnt(0)
	v_mul_f64 v[4:5], v[158:159], v[178:179]
	v_add_f64 v[182:183], v[182:183], v[184:185]
	v_mul_f64 v[184:185], v[156:157], v[178:179]
	s_waitcnt vmcnt(0)
	v_fma_f64 v[4:5], v[156:157], v[180:181], -v[4:5]
	v_fmac_f64_e32 v[184:185], v[158:159], v[180:181]
	v_add_f64 v[2:3], v[2:3], v[4:5]
	v_add_f64 v[182:183], v[182:183], v[184:185]
	v_add_f64 v[2:3], v[20:21], -v[2:3]
	v_cmp_lt_u32_e32 vcc, 31, v254
	v_add_f64 v[4:5], v[18:19], -v[182:183]
	buffer_store_dword v3, off, s[0:3], 0 offset:532
	buffer_store_dword v2, off, s[0:3], 0 offset:528
	;; [unrolled: 1-line block ×4, first 2 shown]
	s_and_saveexec_b64 s[4:5], vcc
	s_cbranch_execz .LBB118_281
; %bb.280:
	v_accvgpr_read_b32 v0, a133
	buffer_load_dword v2, v0, s[0:3], 0 offen
	buffer_load_dword v3, v0, s[0:3], 0 offen offset:4
	buffer_load_dword v4, v0, s[0:3], 0 offen offset:8
	;; [unrolled: 1-line block ×3, first 2 shown]
	v_mov_b32_e32 v0, 0
	v_accvgpr_read_b32 v1, a165
	buffer_store_dword v0, off, s[0:3], 0 offset:512
	buffer_store_dword v0, off, s[0:3], 0 offset:516
	;; [unrolled: 1-line block ×4, first 2 shown]
	s_waitcnt vmcnt(4)
	ds_write_b128 v1, v[2:5]
.LBB118_281:
	s_or_b64 exec, exec, s[4:5]
	s_waitcnt lgkmcnt(0)
	; wave barrier
	s_waitcnt lgkmcnt(0)
	buffer_load_dword v9, off, s[0:3], 0 offset:540
	buffer_load_dword v6, off, s[0:3], 0 offset:552
	;; [unrolled: 1-line block ×64, first 2 shown]
	v_mov_b32_e32 v1, 0
	ds_read_b128 v[74:77], v1 offset:1392
	ds_read_b128 v[78:81], v1 offset:1408
	buffer_load_dword v67, off, s[0:3], 0 offset:796
	buffer_load_dword v66, off, s[0:3], 0 offset:792
	buffer_load_dword v69, off, s[0:3], 0 offset:788
	buffer_load_dword v68, off, s[0:3], 0 offset:784
	buffer_load_dword v71, off, s[0:3], 0 offset:780
	buffer_load_dword v70, off, s[0:3], 0 offset:776
	buffer_load_dword v73, off, s[0:3], 0 offset:772
	buffer_load_dword v72, off, s[0:3], 0 offset:768
	ds_read_b128 v[82:85], v1 offset:1424
	ds_read_b128 v[86:89], v1 offset:1440
	buffer_load_dword v119, off, s[0:3], 0 offset:828
	buffer_load_dword v118, off, s[0:3], 0 offset:824
	;; [unrolled: 1-line block ×24, first 2 shown]
	ds_read_b128 v[164:167], v1 offset:1744
	v_cmp_lt_u32_e32 vcc, 30, v254
	s_waitcnt vmcnt(62) lgkmcnt(1)
	v_mul_f64 v[96:97], v[86:87], v[22:23]
	v_fmac_f64_e32 v[96:97], v[88:89], v[24:25]
	v_mul_f64 v[92:93], v[78:79], v[6:7]
	v_mul_f64 v[90:91], v[74:75], v[8:9]
	;; [unrolled: 1-line block ×3, first 2 shown]
	v_fmac_f64_e32 v[90:91], v[76:77], v[10:11]
	v_add_f64 v[90:91], v[90:91], 0
	v_fma_f64 v[8:9], v[74:75], v[10:11], -v[8:9]
	v_mul_f64 v[6:7], v[80:81], v[6:7]
	v_add_f64 v[8:9], v[8:9], 0
	v_fmac_f64_e32 v[92:93], v[80:81], v[14:15]
	v_add_f64 v[90:91], v[90:91], v[92:93]
	v_mul_f64 v[92:93], v[82:83], v[16:17]
	v_fmac_f64_e32 v[92:93], v[84:85], v[12:13]
	v_add_f64 v[94:95], v[90:91], v[92:93]
	ds_read_b128 v[90:93], v1 offset:1456
	v_add_f64 v[98:99], v[94:95], v[96:97]
	ds_read_b128 v[94:97], v1 offset:1472
	v_fma_f64 v[6:7], v[78:79], v[14:15], -v[6:7]
	v_add_f64 v[6:7], v[8:9], v[6:7]
	s_waitcnt lgkmcnt(1)
	v_mul_f64 v[100:101], v[90:91], v[18:19]
	v_fmac_f64_e32 v[100:101], v[92:93], v[20:21]
	v_add_f64 v[102:103], v[98:99], v[100:101]
	ds_read_b128 v[98:101], v1 offset:1488
	s_waitcnt lgkmcnt(1)
	v_mul_f64 v[104:105], v[94:95], v[30:31]
	v_fmac_f64_e32 v[104:105], v[96:97], v[32:33]
	v_add_f64 v[106:107], v[102:103], v[104:105]
	ds_read_b128 v[102:105], v1 offset:1504
	;; [unrolled: 5-line block ×3, first 2 shown]
	s_waitcnt vmcnt(58) lgkmcnt(1)
	v_mul_f64 v[112:113], v[102:103], v[38:39]
	s_waitcnt vmcnt(56)
	v_fmac_f64_e32 v[112:113], v[104:105], v[40:41]
	v_add_f64 v[114:115], v[110:111], v[112:113]
	ds_read_b128 v[110:113], v1 offset:1536
	s_waitcnt lgkmcnt(1)
	v_mul_f64 v[116:117], v[106:107], v[34:35]
	v_fmac_f64_e32 v[116:117], v[108:109], v[36:37]
	v_add_f64 v[120:121], v[114:115], v[116:117]
	ds_read_b128 v[114:117], v1 offset:1552
	s_waitcnt vmcnt(50) lgkmcnt(1)
	v_mul_f64 v[122:123], v[110:111], v[46:47]
	s_waitcnt vmcnt(48)
	v_fmac_f64_e32 v[122:123], v[112:113], v[48:49]
	v_add_f64 v[124:125], v[120:121], v[122:123]
	ds_read_b128 v[120:123], v1 offset:1568
	v_mul_f64 v[8:9], v[84:85], v[16:17]
	s_waitcnt lgkmcnt(1)
	v_mul_f64 v[126:127], v[114:115], v[42:43]
	v_fma_f64 v[8:9], v[82:83], v[12:13], -v[8:9]
	v_fmac_f64_e32 v[126:127], v[116:117], v[44:45]
	v_add_f64 v[6:7], v[6:7], v[8:9]
	v_mul_f64 v[8:9], v[88:89], v[22:23]
	v_add_f64 v[128:129], v[124:125], v[126:127]
	ds_read_b128 v[124:127], v1 offset:1584
	s_waitcnt vmcnt(42) lgkmcnt(1)
	v_mul_f64 v[130:131], v[120:121], v[54:55]
	v_fma_f64 v[8:9], v[86:87], v[24:25], -v[8:9]
	s_waitcnt vmcnt(40)
	v_fmac_f64_e32 v[130:131], v[122:123], v[56:57]
	v_add_f64 v[6:7], v[6:7], v[8:9]
	v_mul_f64 v[8:9], v[92:93], v[18:19]
	v_add_f64 v[132:133], v[128:129], v[130:131]
	ds_read_b128 v[128:131], v1 offset:1600
	v_fma_f64 v[8:9], v[90:91], v[20:21], -v[8:9]
	v_add_f64 v[6:7], v[6:7], v[8:9]
	v_mul_f64 v[8:9], v[96:97], v[30:31]
	v_fma_f64 v[8:9], v[94:95], v[32:33], -v[8:9]
	s_waitcnt lgkmcnt(1)
	v_mul_f64 v[134:135], v[124:125], v[50:51]
	v_add_f64 v[6:7], v[6:7], v[8:9]
	v_mul_f64 v[8:9], v[100:101], v[26:27]
	v_fmac_f64_e32 v[134:135], v[126:127], v[52:53]
	v_fma_f64 v[8:9], v[98:99], v[28:29], -v[8:9]
	v_add_f64 v[136:137], v[132:133], v[134:135]
	ds_read_b128 v[132:135], v1 offset:1616
	s_waitcnt vmcnt(34) lgkmcnt(1)
	v_mul_f64 v[138:139], v[128:129], v[62:63]
	v_add_f64 v[6:7], v[6:7], v[8:9]
	v_mul_f64 v[8:9], v[104:105], v[38:39]
	s_waitcnt vmcnt(32)
	v_fmac_f64_e32 v[138:139], v[130:131], v[64:65]
	v_fma_f64 v[8:9], v[102:103], v[40:41], -v[8:9]
	v_add_f64 v[140:141], v[136:137], v[138:139]
	ds_read_b128 v[136:139], v1 offset:1632
	v_add_f64 v[6:7], v[6:7], v[8:9]
	v_mul_f64 v[8:9], v[108:109], v[34:35]
	v_fma_f64 v[8:9], v[106:107], v[36:37], -v[8:9]
	v_add_f64 v[6:7], v[6:7], v[8:9]
	v_mul_f64 v[8:9], v[112:113], v[46:47]
	s_waitcnt lgkmcnt(1)
	v_mul_f64 v[142:143], v[132:133], v[58:59]
	v_fma_f64 v[8:9], v[110:111], v[48:49], -v[8:9]
	v_fmac_f64_e32 v[142:143], v[134:135], v[60:61]
	v_add_f64 v[6:7], v[6:7], v[8:9]
	v_mul_f64 v[8:9], v[116:117], v[42:43]
	v_add_f64 v[144:145], v[140:141], v[142:143]
	ds_read_b128 v[140:143], v1 offset:1648
	s_waitcnt vmcnt(26) lgkmcnt(1)
	v_mul_f64 v[146:147], v[136:137], v[70:71]
	v_fma_f64 v[8:9], v[114:115], v[44:45], -v[8:9]
	s_waitcnt vmcnt(24)
	v_fmac_f64_e32 v[146:147], v[138:139], v[72:73]
	v_add_f64 v[6:7], v[6:7], v[8:9]
	v_mul_f64 v[8:9], v[122:123], v[54:55]
	v_add_f64 v[148:149], v[144:145], v[146:147]
	ds_read_b128 v[144:147], v1 offset:1664
	v_fma_f64 v[8:9], v[120:121], v[56:57], -v[8:9]
	v_add_f64 v[6:7], v[6:7], v[8:9]
	v_mul_f64 v[8:9], v[126:127], v[50:51]
	v_fma_f64 v[8:9], v[124:125], v[52:53], -v[8:9]
	s_waitcnt lgkmcnt(1)
	v_mul_f64 v[150:151], v[140:141], v[66:67]
	v_add_f64 v[6:7], v[6:7], v[8:9]
	v_mul_f64 v[8:9], v[130:131], v[62:63]
	v_fmac_f64_e32 v[150:151], v[142:143], v[68:69]
	v_fma_f64 v[8:9], v[128:129], v[64:65], -v[8:9]
	v_add_f64 v[152:153], v[148:149], v[150:151]
	ds_read_b128 v[148:151], v1 offset:1680
	s_waitcnt vmcnt(18) lgkmcnt(1)
	v_mul_f64 v[154:155], v[144:145], v[170:171]
	v_add_f64 v[6:7], v[6:7], v[8:9]
	v_mul_f64 v[8:9], v[134:135], v[58:59]
	s_waitcnt vmcnt(16)
	v_fmac_f64_e32 v[154:155], v[146:147], v[172:173]
	v_fma_f64 v[8:9], v[132:133], v[60:61], -v[8:9]
	v_add_f64 v[156:157], v[152:153], v[154:155]
	ds_read_b128 v[152:155], v1 offset:1696
	v_add_f64 v[6:7], v[6:7], v[8:9]
	v_mul_f64 v[8:9], v[138:139], v[70:71]
	v_fma_f64 v[8:9], v[136:137], v[72:73], -v[8:9]
	v_add_f64 v[6:7], v[6:7], v[8:9]
	v_mul_f64 v[8:9], v[142:143], v[66:67]
	s_waitcnt lgkmcnt(1)
	v_mul_f64 v[158:159], v[148:149], v[118:119]
	v_fma_f64 v[8:9], v[140:141], v[68:69], -v[8:9]
	v_fmac_f64_e32 v[158:159], v[150:151], v[168:169]
	v_add_f64 v[6:7], v[6:7], v[8:9]
	v_mul_f64 v[8:9], v[146:147], v[170:171]
	v_add_f64 v[160:161], v[156:157], v[158:159]
	ds_read_b128 v[156:159], v1 offset:1712
	s_waitcnt vmcnt(10) lgkmcnt(1)
	v_mul_f64 v[162:163], v[152:153], v[178:179]
	v_fma_f64 v[8:9], v[144:145], v[172:173], -v[8:9]
	s_waitcnt vmcnt(8)
	v_fmac_f64_e32 v[162:163], v[154:155], v[180:181]
	v_add_f64 v[6:7], v[6:7], v[8:9]
	v_mul_f64 v[8:9], v[150:151], v[118:119]
	v_add_f64 v[190:191], v[160:161], v[162:163]
	ds_read_b128 v[160:163], v1 offset:1728
	v_fma_f64 v[8:9], v[148:149], v[168:169], -v[8:9]
	v_add_f64 v[6:7], v[6:7], v[8:9]
	v_mul_f64 v[8:9], v[154:155], v[178:179]
	v_fma_f64 v[8:9], v[152:153], v[180:181], -v[8:9]
	v_add_f64 v[6:7], v[6:7], v[8:9]
	s_waitcnt lgkmcnt(1)
	v_mul_f64 v[8:9], v[158:159], v[174:175]
	v_mul_f64 v[192:193], v[156:157], v[174:175]
	v_fma_f64 v[8:9], v[156:157], v[176:177], -v[8:9]
	v_fmac_f64_e32 v[192:193], v[158:159], v[176:177]
	v_add_f64 v[6:7], v[6:7], v[8:9]
	s_waitcnt vmcnt(2) lgkmcnt(0)
	v_mul_f64 v[8:9], v[162:163], v[186:187]
	v_add_f64 v[190:191], v[190:191], v[192:193]
	v_mul_f64 v[192:193], v[160:161], v[186:187]
	s_waitcnt vmcnt(0)
	v_fma_f64 v[8:9], v[160:161], v[188:189], -v[8:9]
	v_fmac_f64_e32 v[192:193], v[162:163], v[188:189]
	v_add_f64 v[6:7], v[6:7], v[8:9]
	v_mul_f64 v[8:9], v[166:167], v[182:183]
	v_add_f64 v[190:191], v[190:191], v[192:193]
	v_mul_f64 v[192:193], v[164:165], v[182:183]
	v_fma_f64 v[8:9], v[164:165], v[184:185], -v[8:9]
	v_fmac_f64_e32 v[192:193], v[166:167], v[184:185]
	v_add_f64 v[6:7], v[6:7], v[8:9]
	v_add_f64 v[190:191], v[190:191], v[192:193]
	v_add_f64 v[4:5], v[4:5], -v[6:7]
	v_add_f64 v[2:3], v[2:3], -v[190:191]
	buffer_store_dword v5, off, s[0:3], 0 offset:516
	buffer_store_dword v4, off, s[0:3], 0 offset:512
	;; [unrolled: 1-line block ×4, first 2 shown]
	s_and_saveexec_b64 s[4:5], vcc
	s_cbranch_execz .LBB118_283
; %bb.282:
	v_accvgpr_read_b32 v0, a134
	buffer_load_dword v2, v0, s[0:3], 0 offen
	buffer_load_dword v3, v0, s[0:3], 0 offen offset:4
	buffer_load_dword v4, v0, s[0:3], 0 offen offset:8
	;; [unrolled: 1-line block ×3, first 2 shown]
	v_accvgpr_read_b32 v0, a165
	buffer_store_dword v1, off, s[0:3], 0 offset:496
	buffer_store_dword v1, off, s[0:3], 0 offset:500
	;; [unrolled: 1-line block ×4, first 2 shown]
	s_waitcnt vmcnt(4)
	ds_write_b128 v0, v[2:5]
.LBB118_283:
	s_or_b64 exec, exec, s[4:5]
	s_waitcnt lgkmcnt(0)
	; wave barrier
	s_waitcnt lgkmcnt(0)
	buffer_load_dword v22, off, s[0:3], 0 offset:512
	buffer_load_dword v23, off, s[0:3], 0 offset:516
	;; [unrolled: 1-line block ×16, first 2 shown]
	ds_read_b128 v[2:5], v1 offset:1376
	ds_read_b128 v[6:9], v1 offset:1392
	;; [unrolled: 1-line block ×4, first 2 shown]
	buffer_load_dword v35, off, s[0:3], 0 offset:588
	buffer_load_dword v34, off, s[0:3], 0 offset:584
	;; [unrolled: 1-line block ×48, first 2 shown]
	v_cmp_lt_u32_e32 vcc, 29, v254
	s_waitcnt vmcnt(42) lgkmcnt(0)
	v_mul_f64 v[104:105], v[14:15], v[38:39]
	s_waitcnt vmcnt(40)
	v_fmac_f64_e32 v[104:105], v[16:17], v[40:41]
	v_mul_f64 v[82:83], v[2:3], v[24:25]
	v_fmac_f64_e32 v[82:83], v[4:5], v[22:23]
	v_add_f64 v[82:83], v[82:83], 0
	v_mul_f64 v[4:5], v[4:5], v[24:25]
	v_mul_f64 v[84:85], v[6:7], v[32:33]
	v_fma_f64 v[2:3], v[2:3], v[22:23], -v[4:5]
	v_mul_f64 v[98:99], v[10:11], v[26:27]
	v_fmac_f64_e32 v[98:99], v[12:13], v[30:31]
	v_fmac_f64_e32 v[84:85], v[8:9], v[28:29]
	v_add_f64 v[100:101], v[82:83], v[84:85]
	buffer_load_dword v83, off, s[0:3], 0 offset:780
	buffer_load_dword v82, off, s[0:3], 0 offset:776
	buffer_load_dword v85, off, s[0:3], 0 offset:772
	buffer_load_dword v84, off, s[0:3], 0 offset:768
	buffer_load_dword v87, off, s[0:3], 0 offset:764
	buffer_load_dword v86, off, s[0:3], 0 offset:760
	buffer_load_dword v89, off, s[0:3], 0 offset:756
	buffer_load_dword v88, off, s[0:3], 0 offset:752
	buffer_load_dword v91, off, s[0:3], 0 offset:812
	buffer_load_dword v90, off, s[0:3], 0 offset:808
	buffer_load_dword v93, off, s[0:3], 0 offset:804
	buffer_load_dword v92, off, s[0:3], 0 offset:800
	buffer_load_dword v95, off, s[0:3], 0 offset:796
	buffer_load_dword v94, off, s[0:3], 0 offset:792
	buffer_load_dword v97, off, s[0:3], 0 offset:788
	buffer_load_dword v96, off, s[0:3], 0 offset:784
	buffer_load_dword v119, off, s[0:3], 0 offset:844
	buffer_load_dword v118, off, s[0:3], 0 offset:840
	buffer_load_dword v181, off, s[0:3], 0 offset:836
	buffer_load_dword v180, off, s[0:3], 0 offset:832
	buffer_load_dword v183, off, s[0:3], 0 offset:828
	buffer_load_dword v182, off, s[0:3], 0 offset:824
	buffer_load_dword v185, off, s[0:3], 0 offset:820
	buffer_load_dword v184, off, s[0:3], 0 offset:816
	buffer_load_dword v187, off, s[0:3], 0 offset:876
	buffer_load_dword v186, off, s[0:3], 0 offset:872
	buffer_load_dword v189, off, s[0:3], 0 offset:868
	buffer_load_dword v188, off, s[0:3], 0 offset:864
	buffer_load_dword v191, off, s[0:3], 0 offset:860
	buffer_load_dword v190, off, s[0:3], 0 offset:856
	buffer_load_dword v193, off, s[0:3], 0 offset:852
	buffer_load_dword v192, off, s[0:3], 0 offset:848
	v_add_f64 v[102:103], v[100:101], v[98:99]
	ds_read_b128 v[98:101], v1 offset:1440
	buffer_load_dword v195, off, s[0:3], 0 offset:892
	buffer_load_dword v194, off, s[0:3], 0 offset:888
	;; [unrolled: 1-line block ×4, first 2 shown]
	v_add_f64 v[106:107], v[102:103], v[104:105]
	ds_read_b128 v[102:105], v1 offset:1456
	v_mul_f64 v[4:5], v[8:9], v[32:33]
	s_waitcnt lgkmcnt(1)
	v_mul_f64 v[108:109], v[98:99], v[34:35]
	v_fmac_f64_e32 v[108:109], v[100:101], v[36:37]
	v_add_f64 v[110:111], v[106:107], v[108:109]
	ds_read_b128 v[106:109], v1 offset:1472
	s_waitcnt vmcnt(62) lgkmcnt(1)
	v_mul_f64 v[112:113], v[102:103], v[46:47]
	v_fmac_f64_e32 v[112:113], v[104:105], v[48:49]
	v_add_f64 v[114:115], v[110:111], v[112:113]
	ds_read_b128 v[110:113], v1 offset:1488
	s_waitcnt lgkmcnt(1)
	v_mul_f64 v[116:117], v[106:107], v[42:43]
	v_fmac_f64_e32 v[116:117], v[108:109], v[44:45]
	v_add_f64 v[120:121], v[114:115], v[116:117]
	ds_read_b128 v[114:117], v1 offset:1504
	s_waitcnt lgkmcnt(1)
	v_mul_f64 v[122:123], v[110:111], v[54:55]
	s_waitcnt vmcnt(60)
	v_fmac_f64_e32 v[122:123], v[112:113], v[56:57]
	v_add_f64 v[124:125], v[120:121], v[122:123]
	ds_read_b128 v[120:123], v1 offset:1520
	s_waitcnt lgkmcnt(1)
	v_mul_f64 v[126:127], v[114:115], v[50:51]
	v_fmac_f64_e32 v[126:127], v[116:117], v[52:53]
	v_add_f64 v[128:129], v[124:125], v[126:127]
	ds_read_b128 v[124:127], v1 offset:1536
	s_waitcnt vmcnt(54) lgkmcnt(1)
	v_mul_f64 v[130:131], v[120:121], v[62:63]
	s_waitcnt vmcnt(52)
	v_fmac_f64_e32 v[130:131], v[122:123], v[64:65]
	v_add_f64 v[132:133], v[128:129], v[130:131]
	ds_read_b128 v[128:131], v1 offset:1552
	s_waitcnt lgkmcnt(1)
	v_mul_f64 v[134:135], v[124:125], v[58:59]
	v_fmac_f64_e32 v[134:135], v[126:127], v[60:61]
	v_add_f64 v[2:3], v[2:3], 0
	v_fma_f64 v[4:5], v[6:7], v[28:29], -v[4:5]
	v_add_f64 v[136:137], v[132:133], v[134:135]
	ds_read_b128 v[132:135], v1 offset:1568
	v_add_f64 v[2:3], v[2:3], v[4:5]
	v_mul_f64 v[4:5], v[12:13], v[26:27]
	v_fma_f64 v[4:5], v[10:11], v[30:31], -v[4:5]
	v_add_f64 v[2:3], v[2:3], v[4:5]
	v_mul_f64 v[4:5], v[16:17], v[38:39]
	s_waitcnt vmcnt(46) lgkmcnt(1)
	v_mul_f64 v[138:139], v[128:129], v[70:71]
	v_fma_f64 v[4:5], v[14:15], v[40:41], -v[4:5]
	s_waitcnt vmcnt(44)
	v_fmac_f64_e32 v[138:139], v[130:131], v[72:73]
	v_add_f64 v[2:3], v[2:3], v[4:5]
	v_mul_f64 v[4:5], v[100:101], v[34:35]
	v_add_f64 v[140:141], v[136:137], v[138:139]
	ds_read_b128 v[136:139], v1 offset:1584
	s_waitcnt lgkmcnt(1)
	v_mul_f64 v[142:143], v[132:133], v[66:67]
	v_fma_f64 v[4:5], v[98:99], v[36:37], -v[4:5]
	v_fmac_f64_e32 v[142:143], v[134:135], v[68:69]
	v_add_f64 v[2:3], v[2:3], v[4:5]
	v_mul_f64 v[4:5], v[104:105], v[46:47]
	v_add_f64 v[144:145], v[140:141], v[142:143]
	ds_read_b128 v[140:143], v1 offset:1600
	v_fma_f64 v[4:5], v[102:103], v[48:49], -v[4:5]
	v_add_f64 v[2:3], v[2:3], v[4:5]
	v_mul_f64 v[4:5], v[108:109], v[42:43]
	v_fma_f64 v[4:5], v[106:107], v[44:45], -v[4:5]
	s_waitcnt vmcnt(38) lgkmcnt(1)
	v_mul_f64 v[146:147], v[136:137], v[78:79]
	v_add_f64 v[2:3], v[2:3], v[4:5]
	v_mul_f64 v[4:5], v[112:113], v[54:55]
	s_waitcnt vmcnt(36)
	v_fmac_f64_e32 v[146:147], v[138:139], v[80:81]
	v_fma_f64 v[4:5], v[110:111], v[56:57], -v[4:5]
	v_add_f64 v[148:149], v[144:145], v[146:147]
	ds_read_b128 v[144:147], v1 offset:1616
	s_waitcnt lgkmcnt(1)
	v_mul_f64 v[150:151], v[140:141], v[74:75]
	v_add_f64 v[2:3], v[2:3], v[4:5]
	v_mul_f64 v[4:5], v[116:117], v[50:51]
	v_fmac_f64_e32 v[150:151], v[142:143], v[76:77]
	v_fma_f64 v[4:5], v[114:115], v[52:53], -v[4:5]
	v_add_f64 v[152:153], v[148:149], v[150:151]
	ds_read_b128 v[148:151], v1 offset:1632
	v_add_f64 v[2:3], v[2:3], v[4:5]
	v_mul_f64 v[4:5], v[122:123], v[62:63]
	v_fma_f64 v[4:5], v[120:121], v[64:65], -v[4:5]
	v_add_f64 v[2:3], v[2:3], v[4:5]
	v_mul_f64 v[4:5], v[126:127], v[58:59]
	s_waitcnt vmcnt(30) lgkmcnt(1)
	v_mul_f64 v[154:155], v[144:145], v[86:87]
	v_fma_f64 v[4:5], v[124:125], v[60:61], -v[4:5]
	s_waitcnt vmcnt(28)
	v_fmac_f64_e32 v[154:155], v[146:147], v[88:89]
	v_add_f64 v[2:3], v[2:3], v[4:5]
	v_mul_f64 v[4:5], v[130:131], v[70:71]
	v_add_f64 v[156:157], v[152:153], v[154:155]
	ds_read_b128 v[152:155], v1 offset:1648
	s_waitcnt lgkmcnt(1)
	v_mul_f64 v[158:159], v[148:149], v[82:83]
	v_fma_f64 v[4:5], v[128:129], v[72:73], -v[4:5]
	v_fmac_f64_e32 v[158:159], v[150:151], v[84:85]
	v_add_f64 v[2:3], v[2:3], v[4:5]
	v_mul_f64 v[4:5], v[134:135], v[66:67]
	v_add_f64 v[160:161], v[156:157], v[158:159]
	ds_read_b128 v[156:159], v1 offset:1664
	v_fma_f64 v[4:5], v[132:133], v[68:69], -v[4:5]
	v_add_f64 v[2:3], v[2:3], v[4:5]
	v_mul_f64 v[4:5], v[138:139], v[78:79]
	v_fma_f64 v[4:5], v[136:137], v[80:81], -v[4:5]
	s_waitcnt vmcnt(22) lgkmcnt(1)
	v_mul_f64 v[162:163], v[152:153], v[94:95]
	v_add_f64 v[2:3], v[2:3], v[4:5]
	v_mul_f64 v[4:5], v[142:143], v[74:75]
	s_waitcnt vmcnt(20)
	v_fmac_f64_e32 v[162:163], v[154:155], v[96:97]
	v_fma_f64 v[4:5], v[140:141], v[76:77], -v[4:5]
	v_add_f64 v[164:165], v[160:161], v[162:163]
	ds_read_b128 v[160:163], v1 offset:1680
	s_waitcnt lgkmcnt(1)
	v_mul_f64 v[166:167], v[156:157], v[90:91]
	v_add_f64 v[2:3], v[2:3], v[4:5]
	v_mul_f64 v[4:5], v[146:147], v[86:87]
	v_fmac_f64_e32 v[166:167], v[158:159], v[92:93]
	v_fma_f64 v[4:5], v[144:145], v[88:89], -v[4:5]
	v_add_f64 v[168:169], v[164:165], v[166:167]
	ds_read_b128 v[164:167], v1 offset:1696
	v_add_f64 v[2:3], v[2:3], v[4:5]
	v_mul_f64 v[4:5], v[150:151], v[82:83]
	v_fma_f64 v[4:5], v[148:149], v[84:85], -v[4:5]
	v_add_f64 v[2:3], v[2:3], v[4:5]
	v_mul_f64 v[4:5], v[154:155], v[94:95]
	s_waitcnt vmcnt(14) lgkmcnt(1)
	v_mul_f64 v[170:171], v[160:161], v[182:183]
	v_fma_f64 v[4:5], v[152:153], v[96:97], -v[4:5]
	s_waitcnt vmcnt(12)
	v_fmac_f64_e32 v[170:171], v[162:163], v[184:185]
	v_add_f64 v[2:3], v[2:3], v[4:5]
	v_mul_f64 v[4:5], v[158:159], v[90:91]
	v_add_f64 v[172:173], v[168:169], v[170:171]
	ds_read_b128 v[168:171], v1 offset:1712
	s_waitcnt lgkmcnt(1)
	v_mul_f64 v[174:175], v[164:165], v[118:119]
	v_fma_f64 v[4:5], v[156:157], v[92:93], -v[4:5]
	v_fmac_f64_e32 v[174:175], v[166:167], v[180:181]
	v_add_f64 v[2:3], v[2:3], v[4:5]
	v_mul_f64 v[4:5], v[162:163], v[182:183]
	v_add_f64 v[198:199], v[172:173], v[174:175]
	ds_read_b128 v[172:175], v1 offset:1728
	v_fma_f64 v[4:5], v[160:161], v[184:185], -v[4:5]
	v_add_f64 v[2:3], v[2:3], v[4:5]
	v_mul_f64 v[4:5], v[166:167], v[118:119]
	ds_read_b128 v[176:179], v1 offset:1744
	v_fma_f64 v[4:5], v[164:165], v[180:181], -v[4:5]
	v_add_f64 v[2:3], v[2:3], v[4:5]
	s_waitcnt vmcnt(6) lgkmcnt(2)
	v_mul_f64 v[4:5], v[170:171], v[190:191]
	v_mul_f64 v[200:201], v[168:169], v[190:191]
	s_waitcnt vmcnt(4)
	v_fma_f64 v[4:5], v[168:169], v[192:193], -v[4:5]
	v_fmac_f64_e32 v[200:201], v[170:171], v[192:193]
	v_add_f64 v[2:3], v[2:3], v[4:5]
	s_waitcnt lgkmcnt(1)
	v_mul_f64 v[4:5], v[174:175], v[186:187]
	v_add_f64 v[198:199], v[198:199], v[200:201]
	v_mul_f64 v[200:201], v[172:173], v[186:187]
	v_fma_f64 v[4:5], v[172:173], v[188:189], -v[4:5]
	v_fmac_f64_e32 v[200:201], v[174:175], v[188:189]
	v_add_f64 v[2:3], v[2:3], v[4:5]
	s_waitcnt vmcnt(2) lgkmcnt(0)
	v_mul_f64 v[4:5], v[178:179], v[194:195]
	v_add_f64 v[198:199], v[198:199], v[200:201]
	v_mul_f64 v[200:201], v[176:177], v[194:195]
	s_waitcnt vmcnt(0)
	v_fma_f64 v[4:5], v[176:177], v[196:197], -v[4:5]
	v_fmac_f64_e32 v[200:201], v[178:179], v[196:197]
	v_add_f64 v[2:3], v[2:3], v[4:5]
	v_add_f64 v[198:199], v[198:199], v[200:201]
	v_add_f64 v[2:3], v[20:21], -v[2:3]
	v_add_f64 v[4:5], v[18:19], -v[198:199]
	buffer_store_dword v3, off, s[0:3], 0 offset:500
	buffer_store_dword v2, off, s[0:3], 0 offset:496
	buffer_store_dword v5, off, s[0:3], 0 offset:508
	buffer_store_dword v4, off, s[0:3], 0 offset:504
	s_and_saveexec_b64 s[4:5], vcc
	s_cbranch_execz .LBB118_285
; %bb.284:
	v_accvgpr_read_b32 v0, a135
	buffer_load_dword v2, v0, s[0:3], 0 offen
	buffer_load_dword v3, v0, s[0:3], 0 offen offset:4
	buffer_load_dword v4, v0, s[0:3], 0 offen offset:8
	;; [unrolled: 1-line block ×3, first 2 shown]
	v_mov_b32_e32 v0, 0
	v_accvgpr_read_b32 v1, a165
	buffer_store_dword v0, off, s[0:3], 0 offset:480
	buffer_store_dword v0, off, s[0:3], 0 offset:484
	;; [unrolled: 1-line block ×4, first 2 shown]
	s_waitcnt vmcnt(4)
	ds_write_b128 v1, v[2:5]
.LBB118_285:
	s_or_b64 exec, exec, s[4:5]
	s_waitcnt lgkmcnt(0)
	; wave barrier
	s_waitcnt lgkmcnt(0)
	buffer_load_dword v22, off, s[0:3], 0 offset:496
	buffer_load_dword v23, off, s[0:3], 0 offset:500
	buffer_load_dword v26, off, s[0:3], 0 offset:504
	buffer_load_dword v27, off, s[0:3], 0 offset:508
	buffer_load_dword v24, off, s[0:3], 0 offset:512
	buffer_load_dword v25, off, s[0:3], 0 offset:516
	buffer_load_dword v28, off, s[0:3], 0 offset:520
	buffer_load_dword v29, off, s[0:3], 0 offset:524
	buffer_load_dword v30, off, s[0:3], 0 offset:536
	buffer_load_dword v31, off, s[0:3], 0 offset:540
	buffer_load_dword v37, off, s[0:3], 0 offset:572
	buffer_load_dword v39, off, s[0:3], 0 offset:564
	buffer_load_dword v41, off, s[0:3], 0 offset:556
	buffer_load_dword v40, off, s[0:3], 0 offset:552
	buffer_load_dword v44, off, s[0:3], 0 offset:528
	buffer_load_dword v45, off, s[0:3], 0 offset:532
	buffer_load_dword v43, off, s[0:3], 0 offset:548
	buffer_load_dword v42, off, s[0:3], 0 offset:544
	buffer_load_dword v36, off, s[0:3], 0 offset:568
	buffer_load_dword v38, off, s[0:3], 0 offset:560
	buffer_load_dword v34, off, s[0:3], 0 offset:480
	buffer_load_dword v35, off, s[0:3], 0 offset:484
	buffer_load_dword v32, off, s[0:3], 0 offset:488
	buffer_load_dword v33, off, s[0:3], 0 offset:492
	buffer_load_dword v47, off, s[0:3], 0 offset:604
	buffer_load_dword v46, off, s[0:3], 0 offset:600
	buffer_load_dword v49, off, s[0:3], 0 offset:596
	buffer_load_dword v48, off, s[0:3], 0 offset:592
	buffer_load_dword v51, off, s[0:3], 0 offset:588
	buffer_load_dword v50, off, s[0:3], 0 offset:584
	buffer_load_dword v53, off, s[0:3], 0 offset:580
	buffer_load_dword v52, off, s[0:3], 0 offset:576
	buffer_load_dword v55, off, s[0:3], 0 offset:636
	buffer_load_dword v54, off, s[0:3], 0 offset:632
	buffer_load_dword v57, off, s[0:3], 0 offset:628
	buffer_load_dword v56, off, s[0:3], 0 offset:624
	buffer_load_dword v59, off, s[0:3], 0 offset:620
	buffer_load_dword v58, off, s[0:3], 0 offset:616
	buffer_load_dword v61, off, s[0:3], 0 offset:612
	buffer_load_dword v60, off, s[0:3], 0 offset:608
	buffer_load_dword v63, off, s[0:3], 0 offset:668
	buffer_load_dword v62, off, s[0:3], 0 offset:664
	buffer_load_dword v65, off, s[0:3], 0 offset:660
	buffer_load_dword v64, off, s[0:3], 0 offset:656
	buffer_load_dword v67, off, s[0:3], 0 offset:652
	buffer_load_dword v66, off, s[0:3], 0 offset:648
	buffer_load_dword v69, off, s[0:3], 0 offset:644
	buffer_load_dword v68, off, s[0:3], 0 offset:640
	buffer_load_dword v71, off, s[0:3], 0 offset:700
	buffer_load_dword v70, off, s[0:3], 0 offset:696
	buffer_load_dword v73, off, s[0:3], 0 offset:692
	buffer_load_dword v72, off, s[0:3], 0 offset:688
	buffer_load_dword v75, off, s[0:3], 0 offset:684
	buffer_load_dword v74, off, s[0:3], 0 offset:680
	buffer_load_dword v77, off, s[0:3], 0 offset:676
	buffer_load_dword v76, off, s[0:3], 0 offset:672
	buffer_load_dword v79, off, s[0:3], 0 offset:732
	buffer_load_dword v78, off, s[0:3], 0 offset:728
	buffer_load_dword v81, off, s[0:3], 0 offset:724
	buffer_load_dword v80, off, s[0:3], 0 offset:720
	buffer_load_dword v83, off, s[0:3], 0 offset:716
	buffer_load_dword v82, off, s[0:3], 0 offset:712
	buffer_load_dword v85, off, s[0:3], 0 offset:708
	buffer_load_dword v84, off, s[0:3], 0 offset:704
	v_mov_b32_e32 v1, 0
	ds_read_b128 v[18:21], v1 offset:1360
	ds_read_b128 v[14:17], v1 offset:1376
	;; [unrolled: 1-line block ×5, first 2 shown]
	v_cmp_lt_u32_e32 vcc, 28, v254
	s_waitcnt vmcnt(60) lgkmcnt(4)
	v_mul_f64 v[86:87], v[18:19], v[26:27]
	v_fmac_f64_e32 v[86:87], v[20:21], v[22:23]
	v_add_f64 v[86:87], v[86:87], 0
	v_mul_f64 v[20:21], v[20:21], v[26:27]
	s_waitcnt vmcnt(56) lgkmcnt(3)
	v_mul_f64 v[88:89], v[14:15], v[28:29]
	v_fmac_f64_e32 v[88:89], v[16:17], v[24:25]
	s_waitcnt vmcnt(54) lgkmcnt(2)
	v_mul_f64 v[90:91], v[10:11], v[30:31]
	v_add_f64 v[86:87], v[86:87], v[88:89]
	v_fma_f64 v[18:19], v[18:19], v[22:23], -v[20:21]
	v_mul_f64 v[16:17], v[16:17], v[28:29]
	s_waitcnt vmcnt(50) lgkmcnt(1)
	v_mul_f64 v[102:103], v[6:7], v[40:41]
	v_add_f64 v[18:19], v[18:19], 0
	s_waitcnt vmcnt(48)
	v_fmac_f64_e32 v[90:91], v[12:13], v[44:45]
	v_add_f64 v[104:105], v[86:87], v[90:91]
	buffer_load_dword v87, off, s[0:3], 0 offset:764
	buffer_load_dword v86, off, s[0:3], 0 offset:760
	;; [unrolled: 1-line block ×40, first 2 shown]
	s_waitcnt vmcnt(62)
	v_fmac_f64_e32 v[102:103], v[8:9], v[42:43]
	v_add_f64 v[106:107], v[104:105], v[102:103]
	ds_read_b128 v[102:105], v1 offset:1440
	s_waitcnt lgkmcnt(1)
	v_mul_f64 v[108:109], v[2:3], v[36:37]
	v_fmac_f64_e32 v[108:109], v[4:5], v[38:39]
	v_add_f64 v[110:111], v[106:107], v[108:109]
	ds_read_b128 v[106:109], v1 offset:1456
	s_waitcnt lgkmcnt(1)
	v_mul_f64 v[112:113], v[102:103], v[50:51]
	;; [unrolled: 5-line block ×5, first 2 shown]
	v_fmac_f64_e32 v[126:127], v[116:117], v[56:57]
	v_add_f64 v[128:129], v[124:125], v[126:127]
	ds_read_b128 v[124:127], v1 offset:1520
	s_waitcnt vmcnt(58) lgkmcnt(1)
	v_mul_f64 v[130:131], v[120:121], v[66:67]
	s_waitcnt vmcnt(56)
	v_fmac_f64_e32 v[130:131], v[122:123], v[68:69]
	v_add_f64 v[132:133], v[128:129], v[130:131]
	ds_read_b128 v[128:131], v1 offset:1536
	s_waitcnt lgkmcnt(1)
	v_mul_f64 v[134:135], v[124:125], v[62:63]
	v_fmac_f64_e32 v[134:135], v[126:127], v[64:65]
	v_add_f64 v[136:137], v[132:133], v[134:135]
	ds_read_b128 v[132:135], v1 offset:1552
	s_waitcnt vmcnt(50) lgkmcnt(1)
	v_mul_f64 v[138:139], v[128:129], v[74:75]
	s_waitcnt vmcnt(48)
	v_fmac_f64_e32 v[138:139], v[130:131], v[76:77]
	v_add_f64 v[140:141], v[136:137], v[138:139]
	ds_read_b128 v[136:139], v1 offset:1568
	v_fma_f64 v[14:15], v[14:15], v[24:25], -v[16:17]
	v_mul_f64 v[12:13], v[12:13], v[30:31]
	v_add_f64 v[14:15], v[18:19], v[14:15]
	v_fma_f64 v[10:11], v[10:11], v[44:45], -v[12:13]
	v_mul_f64 v[8:9], v[8:9], v[40:41]
	s_waitcnt lgkmcnt(1)
	v_mul_f64 v[142:143], v[132:133], v[70:71]
	v_add_f64 v[10:11], v[14:15], v[10:11]
	v_fma_f64 v[6:7], v[6:7], v[42:43], -v[8:9]
	v_mul_f64 v[4:5], v[4:5], v[36:37]
	v_fmac_f64_e32 v[142:143], v[134:135], v[72:73]
	v_add_f64 v[6:7], v[10:11], v[6:7]
	v_fma_f64 v[2:3], v[2:3], v[38:39], -v[4:5]
	v_mul_f64 v[4:5], v[104:105], v[50:51]
	v_add_f64 v[144:145], v[140:141], v[142:143]
	ds_read_b128 v[140:143], v1 offset:1584
	s_waitcnt vmcnt(42) lgkmcnt(1)
	v_mul_f64 v[146:147], v[136:137], v[82:83]
	v_add_f64 v[2:3], v[6:7], v[2:3]
	v_fma_f64 v[4:5], v[102:103], v[52:53], -v[4:5]
	s_waitcnt vmcnt(40)
	v_fmac_f64_e32 v[146:147], v[138:139], v[84:85]
	v_add_f64 v[2:3], v[2:3], v[4:5]
	v_mul_f64 v[4:5], v[108:109], v[46:47]
	v_add_f64 v[148:149], v[144:145], v[146:147]
	ds_read_b128 v[144:147], v1 offset:1600
	v_fma_f64 v[4:5], v[106:107], v[48:49], -v[4:5]
	v_add_f64 v[2:3], v[2:3], v[4:5]
	v_mul_f64 v[4:5], v[112:113], v[58:59]
	v_fma_f64 v[4:5], v[110:111], v[60:61], -v[4:5]
	s_waitcnt lgkmcnt(1)
	v_mul_f64 v[150:151], v[140:141], v[78:79]
	v_add_f64 v[2:3], v[2:3], v[4:5]
	v_mul_f64 v[4:5], v[116:117], v[54:55]
	v_fmac_f64_e32 v[150:151], v[142:143], v[80:81]
	v_fma_f64 v[4:5], v[114:115], v[56:57], -v[4:5]
	v_add_f64 v[152:153], v[148:149], v[150:151]
	ds_read_b128 v[148:151], v1 offset:1616
	s_waitcnt vmcnt(34) lgkmcnt(1)
	v_mul_f64 v[154:155], v[144:145], v[90:91]
	v_add_f64 v[2:3], v[2:3], v[4:5]
	v_mul_f64 v[4:5], v[122:123], v[66:67]
	s_waitcnt vmcnt(32)
	v_fmac_f64_e32 v[154:155], v[146:147], v[92:93]
	v_fma_f64 v[4:5], v[120:121], v[68:69], -v[4:5]
	v_add_f64 v[156:157], v[152:153], v[154:155]
	ds_read_b128 v[152:155], v1 offset:1632
	v_add_f64 v[2:3], v[2:3], v[4:5]
	v_mul_f64 v[4:5], v[126:127], v[62:63]
	v_fma_f64 v[4:5], v[124:125], v[64:65], -v[4:5]
	v_add_f64 v[2:3], v[2:3], v[4:5]
	v_mul_f64 v[4:5], v[130:131], v[74:75]
	s_waitcnt lgkmcnt(1)
	v_mul_f64 v[158:159], v[148:149], v[86:87]
	v_fma_f64 v[4:5], v[128:129], v[76:77], -v[4:5]
	v_fmac_f64_e32 v[158:159], v[150:151], v[88:89]
	v_add_f64 v[2:3], v[2:3], v[4:5]
	v_mul_f64 v[4:5], v[134:135], v[70:71]
	v_add_f64 v[160:161], v[156:157], v[158:159]
	ds_read_b128 v[156:159], v1 offset:1648
	s_waitcnt vmcnt(26) lgkmcnt(1)
	v_mul_f64 v[162:163], v[152:153], v[98:99]
	v_fma_f64 v[4:5], v[132:133], v[72:73], -v[4:5]
	s_waitcnt vmcnt(24)
	v_fmac_f64_e32 v[162:163], v[154:155], v[100:101]
	v_add_f64 v[2:3], v[2:3], v[4:5]
	v_mul_f64 v[4:5], v[138:139], v[82:83]
	v_add_f64 v[164:165], v[160:161], v[162:163]
	ds_read_b128 v[160:163], v1 offset:1664
	v_fma_f64 v[4:5], v[136:137], v[84:85], -v[4:5]
	v_add_f64 v[2:3], v[2:3], v[4:5]
	v_mul_f64 v[4:5], v[142:143], v[78:79]
	v_fma_f64 v[4:5], v[140:141], v[80:81], -v[4:5]
	s_waitcnt lgkmcnt(1)
	v_mul_f64 v[166:167], v[156:157], v[94:95]
	v_add_f64 v[2:3], v[2:3], v[4:5]
	v_mul_f64 v[4:5], v[146:147], v[90:91]
	v_fmac_f64_e32 v[166:167], v[158:159], v[96:97]
	v_fma_f64 v[4:5], v[144:145], v[92:93], -v[4:5]
	v_add_f64 v[168:169], v[164:165], v[166:167]
	ds_read_b128 v[164:167], v1 offset:1680
	s_waitcnt vmcnt(18) lgkmcnt(1)
	v_mul_f64 v[170:171], v[160:161], v[186:187]
	v_add_f64 v[2:3], v[2:3], v[4:5]
	v_mul_f64 v[4:5], v[150:151], v[86:87]
	s_waitcnt vmcnt(16)
	v_fmac_f64_e32 v[170:171], v[162:163], v[188:189]
	v_fma_f64 v[4:5], v[148:149], v[88:89], -v[4:5]
	v_add_f64 v[172:173], v[168:169], v[170:171]
	ds_read_b128 v[168:171], v1 offset:1696
	v_add_f64 v[2:3], v[2:3], v[4:5]
	v_mul_f64 v[4:5], v[154:155], v[98:99]
	v_fma_f64 v[4:5], v[152:153], v[100:101], -v[4:5]
	v_add_f64 v[2:3], v[2:3], v[4:5]
	v_mul_f64 v[4:5], v[158:159], v[94:95]
	s_waitcnt lgkmcnt(1)
	v_mul_f64 v[174:175], v[164:165], v[118:119]
	v_fma_f64 v[4:5], v[156:157], v[96:97], -v[4:5]
	v_fmac_f64_e32 v[174:175], v[166:167], v[184:185]
	v_add_f64 v[2:3], v[2:3], v[4:5]
	v_mul_f64 v[4:5], v[162:163], v[186:187]
	v_add_f64 v[176:177], v[172:173], v[174:175]
	ds_read_b128 v[172:175], v1 offset:1712
	s_waitcnt vmcnt(10) lgkmcnt(1)
	v_mul_f64 v[178:179], v[168:169], v[194:195]
	v_fma_f64 v[4:5], v[160:161], v[188:189], -v[4:5]
	s_waitcnt vmcnt(8)
	v_fmac_f64_e32 v[178:179], v[170:171], v[196:197]
	v_add_f64 v[2:3], v[2:3], v[4:5]
	v_mul_f64 v[4:5], v[166:167], v[118:119]
	v_add_f64 v[206:207], v[176:177], v[178:179]
	ds_read_b128 v[176:179], v1 offset:1728
	ds_read_b128 v[180:183], v1 offset:1744
	v_fma_f64 v[4:5], v[164:165], v[184:185], -v[4:5]
	v_add_f64 v[2:3], v[2:3], v[4:5]
	v_mul_f64 v[4:5], v[170:171], v[194:195]
	v_fma_f64 v[4:5], v[168:169], v[196:197], -v[4:5]
	v_add_f64 v[2:3], v[2:3], v[4:5]
	s_waitcnt lgkmcnt(2)
	v_mul_f64 v[4:5], v[174:175], v[190:191]
	v_mul_f64 v[208:209], v[172:173], v[190:191]
	v_fma_f64 v[4:5], v[172:173], v[192:193], -v[4:5]
	v_fmac_f64_e32 v[208:209], v[174:175], v[192:193]
	v_add_f64 v[2:3], v[2:3], v[4:5]
	s_waitcnt vmcnt(2) lgkmcnt(1)
	v_mul_f64 v[4:5], v[178:179], v[202:203]
	v_add_f64 v[206:207], v[206:207], v[208:209]
	v_mul_f64 v[208:209], v[176:177], v[202:203]
	s_waitcnt vmcnt(0)
	v_fma_f64 v[4:5], v[176:177], v[204:205], -v[4:5]
	v_fmac_f64_e32 v[208:209], v[178:179], v[204:205]
	v_add_f64 v[2:3], v[2:3], v[4:5]
	s_waitcnt lgkmcnt(0)
	v_mul_f64 v[4:5], v[182:183], v[198:199]
	v_add_f64 v[206:207], v[206:207], v[208:209]
	v_mul_f64 v[208:209], v[180:181], v[198:199]
	v_fma_f64 v[4:5], v[180:181], v[200:201], -v[4:5]
	v_fmac_f64_e32 v[208:209], v[182:183], v[200:201]
	v_add_f64 v[2:3], v[2:3], v[4:5]
	v_add_f64 v[206:207], v[206:207], v[208:209]
	v_add_f64 v[2:3], v[34:35], -v[2:3]
	v_add_f64 v[4:5], v[32:33], -v[206:207]
	buffer_store_dword v3, off, s[0:3], 0 offset:484
	buffer_store_dword v2, off, s[0:3], 0 offset:480
	;; [unrolled: 1-line block ×4, first 2 shown]
	s_and_saveexec_b64 s[4:5], vcc
	s_cbranch_execz .LBB118_287
; %bb.286:
	v_accvgpr_read_b32 v0, a136
	buffer_load_dword v2, v0, s[0:3], 0 offen
	buffer_load_dword v3, v0, s[0:3], 0 offen offset:4
	buffer_load_dword v4, v0, s[0:3], 0 offen offset:8
	;; [unrolled: 1-line block ×3, first 2 shown]
	v_accvgpr_read_b32 v0, a165
	buffer_store_dword v1, off, s[0:3], 0 offset:464
	buffer_store_dword v1, off, s[0:3], 0 offset:468
	;; [unrolled: 1-line block ×4, first 2 shown]
	s_waitcnt vmcnt(4)
	ds_write_b128 v0, v[2:5]
.LBB118_287:
	s_or_b64 exec, exec, s[4:5]
	s_waitcnt lgkmcnt(0)
	; wave barrier
	s_waitcnt lgkmcnt(0)
	buffer_load_dword v26, off, s[0:3], 0 offset:480
	buffer_load_dword v27, off, s[0:3], 0 offset:484
	buffer_load_dword v28, off, s[0:3], 0 offset:488
	buffer_load_dword v29, off, s[0:3], 0 offset:492
	buffer_load_dword v30, off, s[0:3], 0 offset:504
	buffer_load_dword v31, off, s[0:3], 0 offset:508
	buffer_load_dword v32, off, s[0:3], 0 offset:520
	buffer_load_dword v33, off, s[0:3], 0 offset:524
	buffer_load_dword v39, off, s[0:3], 0 offset:556
	buffer_load_dword v38, off, s[0:3], 0 offset:552
	buffer_load_dword v41, off, s[0:3], 0 offset:548
	buffer_load_dword v43, off, s[0:3], 0 offset:540
	buffer_load_dword v42, off, s[0:3], 0 offset:536
	buffer_load_dword v48, off, s[0:3], 0 offset:496
	buffer_load_dword v49, off, s[0:3], 0 offset:500
	buffer_load_dword v46, off, s[0:3], 0 offset:512
	buffer_load_dword v47, off, s[0:3], 0 offset:516
	buffer_load_dword v45, off, s[0:3], 0 offset:532
	buffer_load_dword v44, off, s[0:3], 0 offset:528
	buffer_load_dword v40, off, s[0:3], 0 offset:544
	buffer_load_dword v36, off, s[0:3], 0 offset:464
	buffer_load_dword v37, off, s[0:3], 0 offset:468
	buffer_load_dword v34, off, s[0:3], 0 offset:472
	buffer_load_dword v35, off, s[0:3], 0 offset:476
	ds_read_b128 v[22:25], v1 offset:1344
	ds_read_b128 v[18:21], v1 offset:1360
	;; [unrolled: 1-line block ×6, first 2 shown]
	buffer_load_dword v51, off, s[0:3], 0 offset:588
	buffer_load_dword v50, off, s[0:3], 0 offset:584
	buffer_load_dword v53, off, s[0:3], 0 offset:580
	buffer_load_dword v52, off, s[0:3], 0 offset:576
	buffer_load_dword v55, off, s[0:3], 0 offset:572
	buffer_load_dword v54, off, s[0:3], 0 offset:568
	buffer_load_dword v57, off, s[0:3], 0 offset:564
	buffer_load_dword v56, off, s[0:3], 0 offset:560
	buffer_load_dword v59, off, s[0:3], 0 offset:620
	buffer_load_dword v58, off, s[0:3], 0 offset:616
	buffer_load_dword v61, off, s[0:3], 0 offset:612
	buffer_load_dword v60, off, s[0:3], 0 offset:608
	buffer_load_dword v63, off, s[0:3], 0 offset:604
	buffer_load_dword v62, off, s[0:3], 0 offset:600
	buffer_load_dword v65, off, s[0:3], 0 offset:596
	buffer_load_dword v64, off, s[0:3], 0 offset:592
	buffer_load_dword v67, off, s[0:3], 0 offset:652
	buffer_load_dword v66, off, s[0:3], 0 offset:648
	buffer_load_dword v69, off, s[0:3], 0 offset:644
	buffer_load_dword v68, off, s[0:3], 0 offset:640
	buffer_load_dword v71, off, s[0:3], 0 offset:636
	buffer_load_dword v70, off, s[0:3], 0 offset:632
	buffer_load_dword v73, off, s[0:3], 0 offset:628
	buffer_load_dword v72, off, s[0:3], 0 offset:624
	buffer_load_dword v75, off, s[0:3], 0 offset:684
	buffer_load_dword v74, off, s[0:3], 0 offset:680
	buffer_load_dword v77, off, s[0:3], 0 offset:676
	buffer_load_dword v76, off, s[0:3], 0 offset:672
	buffer_load_dword v79, off, s[0:3], 0 offset:668
	buffer_load_dword v78, off, s[0:3], 0 offset:664
	buffer_load_dword v81, off, s[0:3], 0 offset:660
	buffer_load_dword v80, off, s[0:3], 0 offset:656
	buffer_load_dword v83, off, s[0:3], 0 offset:716
	buffer_load_dword v82, off, s[0:3], 0 offset:712
	buffer_load_dword v85, off, s[0:3], 0 offset:708
	buffer_load_dword v84, off, s[0:3], 0 offset:704
	buffer_load_dword v87, off, s[0:3], 0 offset:700
	buffer_load_dword v86, off, s[0:3], 0 offset:696
	buffer_load_dword v89, off, s[0:3], 0 offset:692
	buffer_load_dword v88, off, s[0:3], 0 offset:688
	v_cmp_lt_u32_e32 vcc, 27, v254
	s_waitcnt vmcnt(34) lgkmcnt(0)
	v_mul_f64 v[122:123], v[14:15], v[54:55]
	s_waitcnt vmcnt(32)
	v_fmac_f64_e32 v[122:123], v[16:17], v[56:57]
	v_mul_f64 v[90:91], v[22:23], v[28:29]
	v_fmac_f64_e32 v[90:91], v[24:25], v[26:27]
	v_mul_f64 v[92:93], v[18:19], v[30:31]
	v_add_f64 v[90:91], v[90:91], 0
	v_mul_f64 v[94:95], v[10:11], v[32:33]
	v_mul_f64 v[24:25], v[24:25], v[28:29]
	;; [unrolled: 1-line block ×3, first 2 shown]
	v_fma_f64 v[22:23], v[22:23], v[26:27], -v[24:25]
	v_add_f64 v[22:23], v[22:23], 0
	v_mul_f64 v[96:97], v[6:7], v[42:43]
	v_fmac_f64_e32 v[92:93], v[20:21], v[48:49]
	v_add_f64 v[90:91], v[90:91], v[92:93]
	v_fmac_f64_e32 v[94:95], v[12:13], v[46:47]
	v_add_f64 v[90:91], v[90:91], v[94:95]
	;; [unrolled: 2-line block ×3, first 2 shown]
	buffer_load_dword v91, off, s[0:3], 0 offset:748
	buffer_load_dword v90, off, s[0:3], 0 offset:744
	;; [unrolled: 1-line block ×40, first 2 shown]
	v_fmac_f64_e32 v[114:115], v[4:5], v[40:41]
	v_add_f64 v[120:121], v[116:117], v[114:115]
	ds_read_b128 v[114:117], v1 offset:1440
	buffer_load_dword v211, off, s[0:3], 0 offset:892
	buffer_load_dword v210, off, s[0:3], 0 offset:888
	;; [unrolled: 1-line block ×4, first 2 shown]
	v_add_f64 v[124:125], v[120:121], v[122:123]
	ds_read_b128 v[120:123], v1 offset:1456
	v_mul_f64 v[20:21], v[20:21], v[30:31]
	s_waitcnt lgkmcnt(1)
	v_mul_f64 v[126:127], v[114:115], v[50:51]
	v_fmac_f64_e32 v[126:127], v[116:117], v[52:53]
	v_add_f64 v[128:129], v[124:125], v[126:127]
	ds_read_b128 v[124:127], v1 offset:1472
	s_waitcnt vmcnt(62) lgkmcnt(1)
	v_mul_f64 v[130:131], v[120:121], v[62:63]
	v_fmac_f64_e32 v[130:131], v[122:123], v[64:65]
	v_add_f64 v[132:133], v[128:129], v[130:131]
	ds_read_b128 v[128:131], v1 offset:1488
	s_waitcnt lgkmcnt(1)
	v_mul_f64 v[134:135], v[124:125], v[58:59]
	v_fmac_f64_e32 v[134:135], v[126:127], v[60:61]
	v_add_f64 v[136:137], v[132:133], v[134:135]
	ds_read_b128 v[132:135], v1 offset:1504
	s_waitcnt lgkmcnt(1)
	v_mul_f64 v[138:139], v[128:129], v[70:71]
	s_waitcnt vmcnt(60)
	v_fmac_f64_e32 v[138:139], v[130:131], v[72:73]
	v_add_f64 v[140:141], v[136:137], v[138:139]
	ds_read_b128 v[136:139], v1 offset:1520
	s_waitcnt lgkmcnt(1)
	v_mul_f64 v[142:143], v[132:133], v[66:67]
	v_fmac_f64_e32 v[142:143], v[134:135], v[68:69]
	v_add_f64 v[144:145], v[140:141], v[142:143]
	ds_read_b128 v[140:143], v1 offset:1536
	s_waitcnt vmcnt(54) lgkmcnt(1)
	v_mul_f64 v[146:147], v[136:137], v[78:79]
	s_waitcnt vmcnt(52)
	v_fmac_f64_e32 v[146:147], v[138:139], v[80:81]
	v_add_f64 v[148:149], v[144:145], v[146:147]
	ds_read_b128 v[144:147], v1 offset:1552
	s_waitcnt lgkmcnt(1)
	v_mul_f64 v[150:151], v[140:141], v[74:75]
	v_fmac_f64_e32 v[150:151], v[142:143], v[76:77]
	v_fma_f64 v[18:19], v[18:19], v[48:49], -v[20:21]
	v_mul_f64 v[12:13], v[12:13], v[32:33]
	v_add_f64 v[152:153], v[148:149], v[150:151]
	ds_read_b128 v[148:151], v1 offset:1568
	v_add_f64 v[18:19], v[22:23], v[18:19]
	v_fma_f64 v[10:11], v[10:11], v[46:47], -v[12:13]
	v_mul_f64 v[8:9], v[8:9], v[42:43]
	v_add_f64 v[10:11], v[18:19], v[10:11]
	v_fma_f64 v[6:7], v[6:7], v[44:45], -v[8:9]
	v_mul_f64 v[4:5], v[4:5], v[38:39]
	;; [unrolled: 3-line block ×3, first 2 shown]
	s_waitcnt vmcnt(46) lgkmcnt(1)
	v_mul_f64 v[154:155], v[144:145], v[86:87]
	v_add_f64 v[2:3], v[6:7], v[2:3]
	v_fma_f64 v[4:5], v[14:15], v[56:57], -v[4:5]
	s_waitcnt vmcnt(44)
	v_fmac_f64_e32 v[154:155], v[146:147], v[88:89]
	v_add_f64 v[2:3], v[2:3], v[4:5]
	v_mul_f64 v[4:5], v[116:117], v[50:51]
	v_add_f64 v[156:157], v[152:153], v[154:155]
	ds_read_b128 v[152:155], v1 offset:1584
	s_waitcnt lgkmcnt(1)
	v_mul_f64 v[158:159], v[148:149], v[82:83]
	v_fma_f64 v[4:5], v[114:115], v[52:53], -v[4:5]
	v_fmac_f64_e32 v[158:159], v[150:151], v[84:85]
	v_add_f64 v[2:3], v[2:3], v[4:5]
	v_mul_f64 v[4:5], v[122:123], v[62:63]
	v_add_f64 v[160:161], v[156:157], v[158:159]
	ds_read_b128 v[156:159], v1 offset:1600
	v_fma_f64 v[4:5], v[120:121], v[64:65], -v[4:5]
	v_add_f64 v[2:3], v[2:3], v[4:5]
	v_mul_f64 v[4:5], v[126:127], v[58:59]
	v_fma_f64 v[4:5], v[124:125], v[60:61], -v[4:5]
	s_waitcnt vmcnt(38) lgkmcnt(1)
	v_mul_f64 v[162:163], v[152:153], v[94:95]
	v_add_f64 v[2:3], v[2:3], v[4:5]
	v_mul_f64 v[4:5], v[130:131], v[70:71]
	s_waitcnt vmcnt(36)
	v_fmac_f64_e32 v[162:163], v[154:155], v[96:97]
	v_fma_f64 v[4:5], v[128:129], v[72:73], -v[4:5]
	v_add_f64 v[164:165], v[160:161], v[162:163]
	ds_read_b128 v[160:163], v1 offset:1616
	s_waitcnt lgkmcnt(1)
	v_mul_f64 v[166:167], v[156:157], v[90:91]
	v_add_f64 v[2:3], v[2:3], v[4:5]
	v_mul_f64 v[4:5], v[134:135], v[66:67]
	v_fmac_f64_e32 v[166:167], v[158:159], v[92:93]
	v_fma_f64 v[4:5], v[132:133], v[68:69], -v[4:5]
	v_add_f64 v[168:169], v[164:165], v[166:167]
	ds_read_b128 v[164:167], v1 offset:1632
	v_add_f64 v[2:3], v[2:3], v[4:5]
	v_mul_f64 v[4:5], v[138:139], v[78:79]
	v_fma_f64 v[4:5], v[136:137], v[80:81], -v[4:5]
	v_add_f64 v[2:3], v[2:3], v[4:5]
	v_mul_f64 v[4:5], v[142:143], v[74:75]
	s_waitcnt vmcnt(30) lgkmcnt(1)
	v_mul_f64 v[170:171], v[160:161], v[102:103]
	v_fma_f64 v[4:5], v[140:141], v[76:77], -v[4:5]
	s_waitcnt vmcnt(28)
	v_fmac_f64_e32 v[170:171], v[162:163], v[104:105]
	v_add_f64 v[2:3], v[2:3], v[4:5]
	v_mul_f64 v[4:5], v[146:147], v[86:87]
	v_add_f64 v[172:173], v[168:169], v[170:171]
	ds_read_b128 v[168:171], v1 offset:1648
	s_waitcnt lgkmcnt(1)
	v_mul_f64 v[174:175], v[164:165], v[98:99]
	v_fma_f64 v[4:5], v[144:145], v[88:89], -v[4:5]
	v_fmac_f64_e32 v[174:175], v[166:167], v[100:101]
	v_add_f64 v[2:3], v[2:3], v[4:5]
	v_mul_f64 v[4:5], v[150:151], v[82:83]
	v_add_f64 v[176:177], v[172:173], v[174:175]
	ds_read_b128 v[172:175], v1 offset:1664
	v_fma_f64 v[4:5], v[148:149], v[84:85], -v[4:5]
	v_add_f64 v[2:3], v[2:3], v[4:5]
	v_mul_f64 v[4:5], v[154:155], v[94:95]
	v_fma_f64 v[4:5], v[152:153], v[96:97], -v[4:5]
	s_waitcnt vmcnt(22) lgkmcnt(1)
	v_mul_f64 v[178:179], v[168:169], v[110:111]
	v_add_f64 v[2:3], v[2:3], v[4:5]
	v_mul_f64 v[4:5], v[158:159], v[90:91]
	s_waitcnt vmcnt(20)
	v_fmac_f64_e32 v[178:179], v[170:171], v[112:113]
	v_fma_f64 v[4:5], v[156:157], v[92:93], -v[4:5]
	v_add_f64 v[180:181], v[176:177], v[178:179]
	ds_read_b128 v[176:179], v1 offset:1680
	s_waitcnt lgkmcnt(1)
	v_mul_f64 v[182:183], v[172:173], v[106:107]
	v_add_f64 v[2:3], v[2:3], v[4:5]
	v_mul_f64 v[4:5], v[162:163], v[102:103]
	v_fmac_f64_e32 v[182:183], v[174:175], v[108:109]
	v_fma_f64 v[4:5], v[160:161], v[104:105], -v[4:5]
	v_add_f64 v[184:185], v[180:181], v[182:183]
	ds_read_b128 v[180:183], v1 offset:1696
	v_add_f64 v[2:3], v[2:3], v[4:5]
	v_mul_f64 v[4:5], v[166:167], v[98:99]
	v_fma_f64 v[4:5], v[164:165], v[100:101], -v[4:5]
	v_add_f64 v[2:3], v[2:3], v[4:5]
	v_mul_f64 v[4:5], v[170:171], v[110:111]
	s_waitcnt vmcnt(14) lgkmcnt(1)
	v_mul_f64 v[186:187], v[176:177], v[198:199]
	v_fma_f64 v[4:5], v[168:169], v[112:113], -v[4:5]
	s_waitcnt vmcnt(12)
	v_fmac_f64_e32 v[186:187], v[178:179], v[200:201]
	v_add_f64 v[2:3], v[2:3], v[4:5]
	v_mul_f64 v[4:5], v[174:175], v[106:107]
	v_add_f64 v[188:189], v[184:185], v[186:187]
	ds_read_b128 v[184:187], v1 offset:1712
	s_waitcnt lgkmcnt(1)
	v_mul_f64 v[190:191], v[180:181], v[118:119]
	v_fma_f64 v[4:5], v[172:173], v[108:109], -v[4:5]
	v_fmac_f64_e32 v[190:191], v[182:183], v[196:197]
	v_add_f64 v[2:3], v[2:3], v[4:5]
	v_mul_f64 v[4:5], v[178:179], v[198:199]
	v_add_f64 v[214:215], v[188:189], v[190:191]
	ds_read_b128 v[188:191], v1 offset:1728
	v_fma_f64 v[4:5], v[176:177], v[200:201], -v[4:5]
	v_add_f64 v[2:3], v[2:3], v[4:5]
	v_mul_f64 v[4:5], v[182:183], v[118:119]
	ds_read_b128 v[192:195], v1 offset:1744
	v_fma_f64 v[4:5], v[180:181], v[196:197], -v[4:5]
	v_add_f64 v[2:3], v[2:3], v[4:5]
	s_waitcnt vmcnt(6) lgkmcnt(2)
	v_mul_f64 v[4:5], v[186:187], v[206:207]
	v_mul_f64 v[216:217], v[184:185], v[206:207]
	s_waitcnt vmcnt(4)
	v_fma_f64 v[4:5], v[184:185], v[208:209], -v[4:5]
	v_fmac_f64_e32 v[216:217], v[186:187], v[208:209]
	v_add_f64 v[2:3], v[2:3], v[4:5]
	s_waitcnt lgkmcnt(1)
	v_mul_f64 v[4:5], v[190:191], v[202:203]
	v_add_f64 v[214:215], v[214:215], v[216:217]
	v_mul_f64 v[216:217], v[188:189], v[202:203]
	v_fma_f64 v[4:5], v[188:189], v[204:205], -v[4:5]
	v_fmac_f64_e32 v[216:217], v[190:191], v[204:205]
	v_add_f64 v[2:3], v[2:3], v[4:5]
	s_waitcnt vmcnt(2) lgkmcnt(0)
	v_mul_f64 v[4:5], v[194:195], v[210:211]
	v_add_f64 v[214:215], v[214:215], v[216:217]
	v_mul_f64 v[216:217], v[192:193], v[210:211]
	s_waitcnt vmcnt(0)
	v_fma_f64 v[4:5], v[192:193], v[212:213], -v[4:5]
	v_fmac_f64_e32 v[216:217], v[194:195], v[212:213]
	v_add_f64 v[2:3], v[2:3], v[4:5]
	v_add_f64 v[214:215], v[214:215], v[216:217]
	v_add_f64 v[2:3], v[36:37], -v[2:3]
	v_add_f64 v[4:5], v[34:35], -v[214:215]
	buffer_store_dword v3, off, s[0:3], 0 offset:468
	buffer_store_dword v2, off, s[0:3], 0 offset:464
	;; [unrolled: 1-line block ×4, first 2 shown]
	s_and_saveexec_b64 s[4:5], vcc
	s_cbranch_execz .LBB118_289
; %bb.288:
	v_accvgpr_read_b32 v0, a137
	buffer_load_dword v2, v0, s[0:3], 0 offen
	buffer_load_dword v3, v0, s[0:3], 0 offen offset:4
	buffer_load_dword v4, v0, s[0:3], 0 offen offset:8
	;; [unrolled: 1-line block ×3, first 2 shown]
	v_mov_b32_e32 v0, 0
	v_accvgpr_read_b32 v1, a165
	buffer_store_dword v0, off, s[0:3], 0 offset:448
	buffer_store_dword v0, off, s[0:3], 0 offset:452
	;; [unrolled: 1-line block ×4, first 2 shown]
	s_waitcnt vmcnt(4)
	ds_write_b128 v1, v[2:5]
.LBB118_289:
	s_or_b64 exec, exec, s[4:5]
	s_waitcnt lgkmcnt(0)
	; wave barrier
	s_waitcnt lgkmcnt(0)
	buffer_load_dword v30, off, s[0:3], 0 offset:464
	buffer_load_dword v31, off, s[0:3], 0 offset:468
	;; [unrolled: 1-line block ×56, first 2 shown]
	v_mov_b32_e32 v1, 0
	ds_read_b128 v[26:29], v1 offset:1328
	ds_read_b128 v[22:25], v1 offset:1344
	;; [unrolled: 1-line block ×7, first 2 shown]
	v_cmp_lt_u32_e32 vcc, 26, v254
	s_waitcnt vmcnt(52) lgkmcnt(6)
	v_mul_f64 v[86:87], v[26:27], v[34:35]
	v_fmac_f64_e32 v[86:87], v[28:29], v[30:31]
	v_add_f64 v[86:87], v[86:87], 0
	v_mul_f64 v[28:29], v[28:29], v[34:35]
	s_waitcnt vmcnt(48) lgkmcnt(5)
	v_mul_f64 v[88:89], v[22:23], v[36:37]
	v_fmac_f64_e32 v[88:89], v[24:25], v[32:33]
	s_waitcnt vmcnt(46) lgkmcnt(4)
	v_mul_f64 v[90:91], v[18:19], v[38:39]
	v_add_f64 v[86:87], v[86:87], v[88:89]
	s_waitcnt vmcnt(44) lgkmcnt(2)
	v_mul_f64 v[94:95], v[10:11], v[40:41]
	v_fma_f64 v[26:27], v[26:27], v[30:31], -v[28:29]
	s_waitcnt vmcnt(42)
	v_fmac_f64_e32 v[94:95], v[12:13], v[42:43]
	v_mul_f64 v[24:25], v[24:25], v[36:37]
	s_waitcnt vmcnt(40)
	v_mul_f64 v[92:93], v[14:15], v[48:49]
	v_add_f64 v[26:27], v[26:27], 0
	v_fma_f64 v[22:23], v[22:23], v[32:33], -v[24:25]
	v_add_f64 v[22:23], v[26:27], v[22:23]
	s_waitcnt vmcnt(36) lgkmcnt(1)
	v_mul_f64 v[110:111], v[6:7], v[54:55]
	v_mul_f64 v[12:13], v[12:13], v[40:41]
	s_waitcnt vmcnt(34)
	v_fmac_f64_e32 v[90:91], v[20:21], v[60:61]
	v_add_f64 v[86:87], v[86:87], v[90:91]
	s_waitcnt vmcnt(32)
	v_fmac_f64_e32 v[92:93], v[16:17], v[58:59]
	v_add_f64 v[86:87], v[86:87], v[92:93]
	v_add_f64 v[116:117], v[86:87], v[94:95]
	buffer_load_dword v87, off, s[0:3], 0 offset:700
	buffer_load_dword v86, off, s[0:3], 0 offset:696
	;; [unrolled: 1-line block ×56, first 2 shown]
	ds_read_b128 v[126:129], v1 offset:1440
	ds_read_b128 v[130:133], v1 offset:1456
	v_mul_f64 v[20:21], v[20:21], v[38:39]
	v_fma_f64 v[18:19], v[18:19], v[60:61], -v[20:21]
	v_mul_f64 v[16:17], v[16:17], v[48:49]
	s_waitcnt vmcnt(62)
	v_fmac_f64_e32 v[110:111], v[8:9], v[56:57]
	v_add_f64 v[18:19], v[22:23], v[18:19]
	v_fma_f64 v[14:15], v[14:15], v[58:59], -v[16:17]
	v_add_f64 v[110:111], v[116:117], v[110:111]
	s_waitcnt lgkmcnt(2)
	v_mul_f64 v[116:117], v[2:3], v[50:51]
	v_add_f64 v[14:15], v[18:19], v[14:15]
	v_fma_f64 v[10:11], v[10:11], v[42:43], -v[12:13]
	v_mul_f64 v[8:9], v[8:9], v[54:55]
	v_fmac_f64_e32 v[116:117], v[4:5], v[52:53]
	ds_read_b128 v[134:137], v1 offset:1472
	ds_read_b128 v[138:141], v1 offset:1488
	v_add_f64 v[10:11], v[14:15], v[10:11]
	v_fma_f64 v[6:7], v[6:7], v[56:57], -v[8:9]
	v_mul_f64 v[4:5], v[4:5], v[50:51]
	v_add_f64 v[6:7], v[10:11], v[6:7]
	v_fma_f64 v[2:3], v[2:3], v[52:53], -v[4:5]
	s_waitcnt lgkmcnt(3)
	v_mul_f64 v[4:5], v[128:129], v[66:67]
	v_add_f64 v[110:111], v[110:111], v[116:117]
	v_mul_f64 v[116:117], v[126:127], v[66:67]
	v_add_f64 v[2:3], v[6:7], v[2:3]
	v_fma_f64 v[4:5], v[126:127], v[68:69], -v[4:5]
	v_fmac_f64_e32 v[116:117], v[128:129], v[68:69]
	v_add_f64 v[2:3], v[2:3], v[4:5]
	s_waitcnt lgkmcnt(2)
	v_mul_f64 v[4:5], v[132:133], v[62:63]
	v_add_f64 v[110:111], v[110:111], v[116:117]
	v_mul_f64 v[116:117], v[130:131], v[62:63]
	ds_read_b128 v[142:145], v1 offset:1504
	ds_read_b128 v[146:149], v1 offset:1520
	v_fma_f64 v[4:5], v[130:131], v[64:65], -v[4:5]
	v_fmac_f64_e32 v[116:117], v[132:133], v[64:65]
	v_add_f64 v[2:3], v[2:3], v[4:5]
	s_waitcnt lgkmcnt(3)
	v_mul_f64 v[4:5], v[136:137], v[74:75]
	v_add_f64 v[110:111], v[110:111], v[116:117]
	v_mul_f64 v[116:117], v[134:135], v[74:75]
	v_fma_f64 v[4:5], v[134:135], v[76:77], -v[4:5]
	v_fmac_f64_e32 v[116:117], v[136:137], v[76:77]
	v_add_f64 v[2:3], v[2:3], v[4:5]
	s_waitcnt lgkmcnt(2)
	v_mul_f64 v[4:5], v[140:141], v[70:71]
	v_add_f64 v[110:111], v[110:111], v[116:117]
	v_mul_f64 v[116:117], v[138:139], v[70:71]
	ds_read_b128 v[150:153], v1 offset:1536
	ds_read_b128 v[154:157], v1 offset:1552
	v_fma_f64 v[4:5], v[138:139], v[72:73], -v[4:5]
	v_fmac_f64_e32 v[116:117], v[140:141], v[72:73]
	v_add_f64 v[2:3], v[2:3], v[4:5]
	s_waitcnt vmcnt(58) lgkmcnt(3)
	v_mul_f64 v[4:5], v[144:145], v[82:83]
	v_add_f64 v[110:111], v[110:111], v[116:117]
	v_mul_f64 v[116:117], v[142:143], v[82:83]
	s_waitcnt vmcnt(56)
	v_fma_f64 v[4:5], v[142:143], v[84:85], -v[4:5]
	v_fmac_f64_e32 v[116:117], v[144:145], v[84:85]
	v_add_f64 v[2:3], v[2:3], v[4:5]
	s_waitcnt lgkmcnt(2)
	v_mul_f64 v[4:5], v[148:149], v[78:79]
	v_add_f64 v[110:111], v[110:111], v[116:117]
	v_mul_f64 v[116:117], v[146:147], v[78:79]
	ds_read_b128 v[158:161], v1 offset:1568
	ds_read_b128 v[162:165], v1 offset:1584
	v_fma_f64 v[4:5], v[146:147], v[80:81], -v[4:5]
	v_fmac_f64_e32 v[116:117], v[148:149], v[80:81]
	v_add_f64 v[2:3], v[2:3], v[4:5]
	s_waitcnt vmcnt(50) lgkmcnt(3)
	v_mul_f64 v[4:5], v[152:153], v[90:91]
	v_add_f64 v[110:111], v[110:111], v[116:117]
	v_mul_f64 v[116:117], v[150:151], v[90:91]
	s_waitcnt vmcnt(48)
	;; [unrolled: 17-line block ×7, first 2 shown]
	v_fma_f64 v[4:5], v[190:191], v[216:217], -v[4:5]
	v_fmac_f64_e32 v[116:117], v[192:193], v[216:217]
	v_add_f64 v[2:3], v[2:3], v[4:5]
	s_waitcnt lgkmcnt(2)
	v_mul_f64 v[4:5], v[196:197], v[210:211]
	v_add_f64 v[110:111], v[110:111], v[116:117]
	v_mul_f64 v[116:117], v[194:195], v[210:211]
	v_fma_f64 v[4:5], v[194:195], v[212:213], -v[4:5]
	v_fmac_f64_e32 v[116:117], v[196:197], v[212:213]
	v_add_f64 v[2:3], v[2:3], v[4:5]
	s_waitcnt vmcnt(2) lgkmcnt(1)
	v_mul_f64 v[4:5], v[200:201], v[222:223]
	v_add_f64 v[110:111], v[110:111], v[116:117]
	v_mul_f64 v[116:117], v[198:199], v[222:223]
	s_waitcnt vmcnt(0)
	v_fma_f64 v[4:5], v[198:199], v[224:225], -v[4:5]
	v_fmac_f64_e32 v[116:117], v[200:201], v[224:225]
	v_add_f64 v[2:3], v[2:3], v[4:5]
	s_waitcnt lgkmcnt(0)
	v_mul_f64 v[4:5], v[204:205], v[218:219]
	v_add_f64 v[110:111], v[110:111], v[116:117]
	v_mul_f64 v[116:117], v[202:203], v[218:219]
	v_fma_f64 v[4:5], v[202:203], v[220:221], -v[4:5]
	v_fmac_f64_e32 v[116:117], v[204:205], v[220:221]
	v_add_f64 v[2:3], v[2:3], v[4:5]
	v_add_f64 v[110:111], v[110:111], v[116:117]
	v_add_f64 v[2:3], v[46:47], -v[2:3]
	v_add_f64 v[4:5], v[44:45], -v[110:111]
	buffer_store_dword v3, off, s[0:3], 0 offset:452
	buffer_store_dword v2, off, s[0:3], 0 offset:448
	;; [unrolled: 1-line block ×4, first 2 shown]
	s_and_saveexec_b64 s[4:5], vcc
	s_cbranch_execz .LBB118_291
; %bb.290:
	v_accvgpr_read_b32 v0, a138
	buffer_load_dword v2, v0, s[0:3], 0 offen
	buffer_load_dword v3, v0, s[0:3], 0 offen offset:4
	buffer_load_dword v4, v0, s[0:3], 0 offen offset:8
	;; [unrolled: 1-line block ×3, first 2 shown]
	v_accvgpr_read_b32 v0, a165
	buffer_store_dword v1, off, s[0:3], 0 offset:432
	buffer_store_dword v1, off, s[0:3], 0 offset:436
	;; [unrolled: 1-line block ×4, first 2 shown]
	s_waitcnt vmcnt(4)
	ds_write_b128 v0, v[2:5]
.LBB118_291:
	s_or_b64 exec, exec, s[4:5]
	s_waitcnt lgkmcnt(0)
	; wave barrier
	s_waitcnt lgkmcnt(0)
	buffer_load_dword v34, off, s[0:3], 0 offset:448
	buffer_load_dword v35, off, s[0:3], 0 offset:452
	;; [unrolled: 1-line block ×32, first 2 shown]
	ds_read_b128 v[30:33], v1 offset:1312
	ds_read_b128 v[26:29], v1 offset:1328
	;; [unrolled: 1-line block ×8, first 2 shown]
	buffer_load_dword v67, off, s[0:3], 0 offset:588
	buffer_load_dword v66, off, s[0:3], 0 offset:584
	;; [unrolled: 1-line block ×24, first 2 shown]
	v_cmp_lt_u32_e32 vcc, 25, v254
	s_waitcnt vmcnt(52) lgkmcnt(7)
	v_mul_f64 v[90:91], v[30:31], v[38:39]
	v_fmac_f64_e32 v[90:91], v[32:33], v[34:35]
	v_add_f64 v[90:91], v[90:91], 0
	v_mul_f64 v[32:33], v[32:33], v[38:39]
	s_waitcnt vmcnt(48) lgkmcnt(6)
	v_mul_f64 v[92:93], v[26:27], v[40:41]
	v_fmac_f64_e32 v[92:93], v[28:29], v[36:37]
	s_waitcnt vmcnt(46) lgkmcnt(5)
	v_mul_f64 v[94:95], v[22:23], v[42:43]
	v_add_f64 v[90:91], v[90:91], v[92:93]
	s_waitcnt vmcnt(44) lgkmcnt(4)
	v_mul_f64 v[96:97], v[18:19], v[48:49]
	v_fma_f64 v[30:31], v[30:31], v[34:35], -v[32:33]
	s_waitcnt vmcnt(42) lgkmcnt(1)
	v_mul_f64 v[124:125], v[2:3], v[50:51]
	v_mul_f64 v[28:29], v[28:29], v[40:41]
	s_waitcnt vmcnt(18) lgkmcnt(0)
	v_mul_f64 v[138:139], v[14:15], v[70:71]
	v_mul_f64 v[100:101], v[6:7], v[54:55]
	s_waitcnt vmcnt(16)
	v_fmac_f64_e32 v[138:139], v[16:17], v[72:73]
	v_mul_f64 v[98:99], v[10:11], v[56:57]
	v_add_f64 v[30:31], v[30:31], 0
	v_fmac_f64_e32 v[98:99], v[12:13], v[58:59]
	v_fma_f64 v[26:27], v[26:27], v[36:37], -v[28:29]
	v_fmac_f64_e32 v[94:95], v[24:25], v[64:65]
	v_add_f64 v[90:91], v[90:91], v[94:95]
	v_fmac_f64_e32 v[96:97], v[20:21], v[62:63]
	v_add_f64 v[90:91], v[90:91], v[96:97]
	;; [unrolled: 2-line block ×3, first 2 shown]
	v_add_f64 v[126:127], v[90:91], v[100:101]
	buffer_load_dword v91, off, s[0:3], 0 offset:684
	buffer_load_dword v90, off, s[0:3], 0 offset:680
	;; [unrolled: 1-line block ×56, first 2 shown]
	v_fmac_f64_e32 v[124:125], v[4:5], v[52:53]
	v_add_f64 v[136:137], v[126:127], v[124:125]
	ds_read_b128 v[124:127], v1 offset:1440
	buffer_load_dword v227, off, s[0:3], 0 offset:892
	buffer_load_dword v226, off, s[0:3], 0 offset:888
	;; [unrolled: 1-line block ×4, first 2 shown]
	v_add_f64 v[140:141], v[136:137], v[138:139]
	ds_read_b128 v[136:139], v1 offset:1456
	v_mul_f64 v[24:25], v[24:25], v[42:43]
	s_waitcnt lgkmcnt(1)
	v_mul_f64 v[142:143], v[124:125], v[66:67]
	v_fmac_f64_e32 v[142:143], v[126:127], v[68:69]
	v_add_f64 v[144:145], v[140:141], v[142:143]
	ds_read_b128 v[140:143], v1 offset:1472
	s_waitcnt vmcnt(62) lgkmcnt(1)
	v_mul_f64 v[146:147], v[136:137], v[78:79]
	v_fmac_f64_e32 v[146:147], v[138:139], v[80:81]
	v_add_f64 v[148:149], v[144:145], v[146:147]
	ds_read_b128 v[144:147], v1 offset:1488
	s_waitcnt lgkmcnt(1)
	v_mul_f64 v[150:151], v[140:141], v[74:75]
	v_fmac_f64_e32 v[150:151], v[142:143], v[76:77]
	v_add_f64 v[152:153], v[148:149], v[150:151]
	ds_read_b128 v[148:151], v1 offset:1504
	s_waitcnt lgkmcnt(1)
	v_mul_f64 v[154:155], v[144:145], v[86:87]
	s_waitcnt vmcnt(60)
	v_fmac_f64_e32 v[154:155], v[146:147], v[88:89]
	v_add_f64 v[156:157], v[152:153], v[154:155]
	ds_read_b128 v[152:155], v1 offset:1520
	s_waitcnt lgkmcnt(1)
	v_mul_f64 v[158:159], v[148:149], v[82:83]
	v_fmac_f64_e32 v[158:159], v[150:151], v[84:85]
	v_add_f64 v[160:161], v[156:157], v[158:159]
	ds_read_b128 v[156:159], v1 offset:1536
	v_add_f64 v[26:27], v[30:31], v[26:27]
	v_fma_f64 v[22:23], v[22:23], v[64:65], -v[24:25]
	s_waitcnt vmcnt(54) lgkmcnt(1)
	v_mul_f64 v[162:163], v[152:153], v[94:95]
	v_mul_f64 v[20:21], v[20:21], v[48:49]
	s_waitcnt vmcnt(52)
	v_fmac_f64_e32 v[162:163], v[154:155], v[96:97]
	v_add_f64 v[164:165], v[160:161], v[162:163]
	ds_read_b128 v[160:163], v1 offset:1552
	s_waitcnt lgkmcnt(1)
	v_mul_f64 v[166:167], v[156:157], v[90:91]
	v_fmac_f64_e32 v[166:167], v[158:159], v[92:93]
	v_add_f64 v[22:23], v[26:27], v[22:23]
	v_fma_f64 v[18:19], v[18:19], v[62:63], -v[20:21]
	v_mul_f64 v[12:13], v[12:13], v[56:57]
	v_add_f64 v[168:169], v[164:165], v[166:167]
	ds_read_b128 v[164:167], v1 offset:1568
	v_add_f64 v[18:19], v[22:23], v[18:19]
	v_fma_f64 v[10:11], v[10:11], v[58:59], -v[12:13]
	v_mul_f64 v[8:9], v[8:9], v[54:55]
	v_add_f64 v[10:11], v[18:19], v[10:11]
	v_fma_f64 v[6:7], v[6:7], v[60:61], -v[8:9]
	v_mul_f64 v[4:5], v[4:5], v[50:51]
	;; [unrolled: 3-line block ×3, first 2 shown]
	s_waitcnt vmcnt(46) lgkmcnt(1)
	v_mul_f64 v[170:171], v[160:161], v[102:103]
	v_add_f64 v[2:3], v[6:7], v[2:3]
	v_fma_f64 v[4:5], v[14:15], v[72:73], -v[4:5]
	s_waitcnt vmcnt(44)
	v_fmac_f64_e32 v[170:171], v[162:163], v[104:105]
	v_add_f64 v[2:3], v[2:3], v[4:5]
	v_mul_f64 v[4:5], v[126:127], v[66:67]
	v_add_f64 v[172:173], v[168:169], v[170:171]
	ds_read_b128 v[168:171], v1 offset:1584
	s_waitcnt lgkmcnt(1)
	v_mul_f64 v[174:175], v[164:165], v[98:99]
	v_fma_f64 v[4:5], v[124:125], v[68:69], -v[4:5]
	v_fmac_f64_e32 v[174:175], v[166:167], v[100:101]
	v_add_f64 v[2:3], v[2:3], v[4:5]
	v_mul_f64 v[4:5], v[138:139], v[78:79]
	v_add_f64 v[176:177], v[172:173], v[174:175]
	ds_read_b128 v[172:175], v1 offset:1600
	v_fma_f64 v[4:5], v[136:137], v[80:81], -v[4:5]
	v_add_f64 v[2:3], v[2:3], v[4:5]
	v_mul_f64 v[4:5], v[142:143], v[74:75]
	v_fma_f64 v[4:5], v[140:141], v[76:77], -v[4:5]
	s_waitcnt vmcnt(38) lgkmcnt(1)
	v_mul_f64 v[178:179], v[168:169], v[110:111]
	v_add_f64 v[2:3], v[2:3], v[4:5]
	v_mul_f64 v[4:5], v[146:147], v[86:87]
	s_waitcnt vmcnt(36)
	v_fmac_f64_e32 v[178:179], v[170:171], v[112:113]
	v_fma_f64 v[4:5], v[144:145], v[88:89], -v[4:5]
	v_add_f64 v[180:181], v[176:177], v[178:179]
	ds_read_b128 v[176:179], v1 offset:1616
	s_waitcnt lgkmcnt(1)
	v_mul_f64 v[182:183], v[172:173], v[106:107]
	v_add_f64 v[2:3], v[2:3], v[4:5]
	v_mul_f64 v[4:5], v[150:151], v[82:83]
	v_fmac_f64_e32 v[182:183], v[174:175], v[108:109]
	v_fma_f64 v[4:5], v[148:149], v[84:85], -v[4:5]
	v_add_f64 v[184:185], v[180:181], v[182:183]
	ds_read_b128 v[180:183], v1 offset:1632
	v_add_f64 v[2:3], v[2:3], v[4:5]
	v_mul_f64 v[4:5], v[154:155], v[94:95]
	v_fma_f64 v[4:5], v[152:153], v[96:97], -v[4:5]
	v_add_f64 v[2:3], v[2:3], v[4:5]
	v_mul_f64 v[4:5], v[158:159], v[90:91]
	s_waitcnt vmcnt(30) lgkmcnt(1)
	v_mul_f64 v[186:187], v[176:177], v[120:121]
	v_fma_f64 v[4:5], v[156:157], v[92:93], -v[4:5]
	s_waitcnt vmcnt(28)
	v_fmac_f64_e32 v[186:187], v[178:179], v[122:123]
	v_add_f64 v[2:3], v[2:3], v[4:5]
	v_mul_f64 v[4:5], v[162:163], v[102:103]
	v_add_f64 v[188:189], v[184:185], v[186:187]
	ds_read_b128 v[184:187], v1 offset:1648
	s_waitcnt lgkmcnt(1)
	v_mul_f64 v[190:191], v[180:181], v[114:115]
	v_fma_f64 v[4:5], v[160:161], v[104:105], -v[4:5]
	v_fmac_f64_e32 v[190:191], v[182:183], v[116:117]
	v_add_f64 v[2:3], v[2:3], v[4:5]
	v_mul_f64 v[4:5], v[166:167], v[98:99]
	v_add_f64 v[192:193], v[188:189], v[190:191]
	ds_read_b128 v[188:191], v1 offset:1664
	v_fma_f64 v[4:5], v[164:165], v[100:101], -v[4:5]
	v_add_f64 v[2:3], v[2:3], v[4:5]
	v_mul_f64 v[4:5], v[170:171], v[110:111]
	v_fma_f64 v[4:5], v[168:169], v[112:113], -v[4:5]
	s_waitcnt vmcnt(22) lgkmcnt(1)
	v_mul_f64 v[194:195], v[184:185], v[132:133]
	v_add_f64 v[2:3], v[2:3], v[4:5]
	v_mul_f64 v[4:5], v[174:175], v[106:107]
	s_waitcnt vmcnt(20)
	v_fmac_f64_e32 v[194:195], v[186:187], v[134:135]
	v_fma_f64 v[4:5], v[172:173], v[108:109], -v[4:5]
	v_add_f64 v[196:197], v[192:193], v[194:195]
	ds_read_b128 v[192:195], v1 offset:1680
	s_waitcnt lgkmcnt(1)
	v_mul_f64 v[198:199], v[188:189], v[128:129]
	v_add_f64 v[2:3], v[2:3], v[4:5]
	v_mul_f64 v[4:5], v[178:179], v[120:121]
	v_fmac_f64_e32 v[198:199], v[190:191], v[130:131]
	v_fma_f64 v[4:5], v[176:177], v[122:123], -v[4:5]
	v_add_f64 v[200:201], v[196:197], v[198:199]
	ds_read_b128 v[196:199], v1 offset:1696
	v_add_f64 v[2:3], v[2:3], v[4:5]
	v_mul_f64 v[4:5], v[182:183], v[114:115]
	v_fma_f64 v[4:5], v[180:181], v[116:117], -v[4:5]
	v_add_f64 v[2:3], v[2:3], v[4:5]
	v_mul_f64 v[4:5], v[186:187], v[132:133]
	s_waitcnt vmcnt(14) lgkmcnt(1)
	v_mul_f64 v[202:203], v[192:193], v[214:215]
	v_fma_f64 v[4:5], v[184:185], v[134:135], -v[4:5]
	s_waitcnt vmcnt(12)
	v_fmac_f64_e32 v[202:203], v[194:195], v[216:217]
	v_add_f64 v[2:3], v[2:3], v[4:5]
	v_mul_f64 v[4:5], v[190:191], v[128:129]
	v_add_f64 v[204:205], v[200:201], v[202:203]
	ds_read_b128 v[200:203], v1 offset:1712
	s_waitcnt lgkmcnt(1)
	v_mul_f64 v[206:207], v[196:197], v[118:119]
	v_fma_f64 v[4:5], v[188:189], v[130:131], -v[4:5]
	v_fmac_f64_e32 v[206:207], v[198:199], v[212:213]
	v_add_f64 v[2:3], v[2:3], v[4:5]
	v_mul_f64 v[4:5], v[194:195], v[214:215]
	v_add_f64 v[230:231], v[204:205], v[206:207]
	ds_read_b128 v[204:207], v1 offset:1728
	v_fma_f64 v[4:5], v[192:193], v[216:217], -v[4:5]
	v_add_f64 v[2:3], v[2:3], v[4:5]
	v_mul_f64 v[4:5], v[198:199], v[118:119]
	ds_read_b128 v[208:211], v1 offset:1744
	v_fma_f64 v[4:5], v[196:197], v[212:213], -v[4:5]
	v_add_f64 v[2:3], v[2:3], v[4:5]
	s_waitcnt vmcnt(6) lgkmcnt(2)
	v_mul_f64 v[4:5], v[202:203], v[222:223]
	v_mul_f64 v[232:233], v[200:201], v[222:223]
	s_waitcnt vmcnt(4)
	v_fma_f64 v[4:5], v[200:201], v[224:225], -v[4:5]
	v_fmac_f64_e32 v[232:233], v[202:203], v[224:225]
	v_add_f64 v[2:3], v[2:3], v[4:5]
	s_waitcnt lgkmcnt(1)
	v_mul_f64 v[4:5], v[206:207], v[218:219]
	v_add_f64 v[230:231], v[230:231], v[232:233]
	v_mul_f64 v[232:233], v[204:205], v[218:219]
	v_fma_f64 v[4:5], v[204:205], v[220:221], -v[4:5]
	v_fmac_f64_e32 v[232:233], v[206:207], v[220:221]
	v_add_f64 v[2:3], v[2:3], v[4:5]
	s_waitcnt vmcnt(2) lgkmcnt(0)
	v_mul_f64 v[4:5], v[210:211], v[226:227]
	v_add_f64 v[230:231], v[230:231], v[232:233]
	v_mul_f64 v[232:233], v[208:209], v[226:227]
	s_waitcnt vmcnt(0)
	v_fma_f64 v[4:5], v[208:209], v[228:229], -v[4:5]
	v_fmac_f64_e32 v[232:233], v[210:211], v[228:229]
	v_add_f64 v[2:3], v[2:3], v[4:5]
	v_add_f64 v[230:231], v[230:231], v[232:233]
	v_add_f64 v[2:3], v[46:47], -v[2:3]
	v_add_f64 v[4:5], v[44:45], -v[230:231]
	buffer_store_dword v3, off, s[0:3], 0 offset:436
	buffer_store_dword v2, off, s[0:3], 0 offset:432
	;; [unrolled: 1-line block ×4, first 2 shown]
	s_and_saveexec_b64 s[4:5], vcc
	s_cbranch_execz .LBB118_293
; %bb.292:
	v_accvgpr_read_b32 v0, a139
	buffer_load_dword v2, v0, s[0:3], 0 offen
	buffer_load_dword v3, v0, s[0:3], 0 offen offset:4
	buffer_load_dword v4, v0, s[0:3], 0 offen offset:8
	;; [unrolled: 1-line block ×3, first 2 shown]
	v_mov_b32_e32 v0, 0
	v_accvgpr_read_b32 v1, a165
	buffer_store_dword v0, off, s[0:3], 0 offset:416
	buffer_store_dword v0, off, s[0:3], 0 offset:420
	;; [unrolled: 1-line block ×4, first 2 shown]
	s_waitcnt vmcnt(4)
	ds_write_b128 v1, v[2:5]
.LBB118_293:
	s_or_b64 exec, exec, s[4:5]
	s_waitcnt lgkmcnt(0)
	; wave barrier
	s_waitcnt lgkmcnt(0)
	buffer_load_dword v38, off, s[0:3], 0 offset:432
	buffer_load_dword v39, off, s[0:3], 0 offset:436
	;; [unrolled: 1-line block ×48, first 2 shown]
	v_mov_b32_e32 v1, 0
	ds_read_b128 v[34:37], v1 offset:1296
	ds_read_b128 v[30:33], v1 offset:1312
	ds_read_b128 v[26:29], v1 offset:1328
	ds_read_b128 v[22:25], v1 offset:1344
	ds_read_b128 v[18:21], v1 offset:1360
	ds_read_b128 v[14:17], v1 offset:1376
	ds_read_b128 v[10:13], v1 offset:1392
	ds_read_b128 v[6:9], v1 offset:1408
	ds_read_b128 v[2:5], v1 offset:1424
	v_cmp_lt_u32_e32 vcc, 24, v254
	s_waitcnt vmcnt(44) lgkmcnt(8)
	v_mul_f64 v[86:87], v[34:35], v[42:43]
	v_fmac_f64_e32 v[86:87], v[36:37], v[38:39]
	v_add_f64 v[86:87], v[86:87], 0
	v_mul_f64 v[36:37], v[36:37], v[42:43]
	s_waitcnt vmcnt(40) lgkmcnt(7)
	v_mul_f64 v[88:89], v[30:31], v[44:45]
	v_fmac_f64_e32 v[88:89], v[32:33], v[40:41]
	s_waitcnt vmcnt(38) lgkmcnt(6)
	v_mul_f64 v[90:91], v[26:27], v[46:47]
	v_add_f64 v[86:87], v[86:87], v[88:89]
	s_waitcnt vmcnt(36) lgkmcnt(4)
	v_mul_f64 v[94:95], v[18:19], v[48:49]
	v_fma_f64 v[34:35], v[34:35], v[38:39], -v[36:37]
	s_waitcnt vmcnt(34)
	v_fmac_f64_e32 v[94:95], v[20:21], v[50:51]
	v_mul_f64 v[32:33], v[32:33], v[44:45]
	s_waitcnt vmcnt(32)
	v_mul_f64 v[92:93], v[22:23], v[52:53]
	v_add_f64 v[34:35], v[34:35], 0
	s_waitcnt vmcnt(30) lgkmcnt(2)
	v_mul_f64 v[98:99], v[10:11], v[54:55]
	v_fma_f64 v[30:31], v[30:31], v[40:41], -v[32:33]
	s_waitcnt vmcnt(28)
	v_fmac_f64_e32 v[98:99], v[12:13], v[56:57]
	v_add_f64 v[30:31], v[34:35], v[30:31]
	s_waitcnt vmcnt(26)
	v_mul_f64 v[96:97], v[14:15], v[58:59]
	v_mul_f64 v[20:21], v[20:21], v[48:49]
	v_fma_f64 v[18:19], v[18:19], v[50:51], -v[20:21]
	v_mul_f64 v[12:13], v[12:13], v[54:55]
	s_waitcnt vmcnt(22) lgkmcnt(1)
	v_mul_f64 v[110:111], v[6:7], v[68:69]
	v_fma_f64 v[10:11], v[10:11], v[56:57], -v[12:13]
	s_waitcnt vmcnt(20)
	v_fmac_f64_e32 v[90:91], v[28:29], v[76:77]
	v_add_f64 v[86:87], v[86:87], v[90:91]
	s_waitcnt vmcnt(18)
	v_fmac_f64_e32 v[92:93], v[24:25], v[74:75]
	v_add_f64 v[86:87], v[86:87], v[92:93]
	;; [unrolled: 3-line block ×3, first 2 shown]
	v_add_f64 v[86:87], v[86:87], v[96:97]
	v_add_f64 v[112:113], v[86:87], v[98:99]
	buffer_load_dword v87, off, s[0:3], 0 offset:636
	buffer_load_dword v86, off, s[0:3], 0 offset:632
	;; [unrolled: 1-line block ×72, first 2 shown]
	s_waitcnt vmcnt(62)
	v_fmac_f64_e32 v[110:111], v[8:9], v[70:71]
	v_add_f64 v[144:145], v[112:113], v[110:111]
	ds_read_b128 v[110:113], v1 offset:1440
	s_waitcnt lgkmcnt(1)
	v_mul_f64 v[146:147], v[2:3], v[64:65]
	v_fmac_f64_e32 v[146:147], v[4:5], v[66:67]
	v_add_f64 v[148:149], v[144:145], v[146:147]
	ds_read_b128 v[144:147], v1 offset:1456
	s_waitcnt lgkmcnt(1)
	v_mul_f64 v[150:151], v[110:111], v[82:83]
	;; [unrolled: 5-line block ×5, first 2 shown]
	v_fmac_f64_e32 v[162:163], v[154:155], v[88:89]
	v_add_f64 v[164:165], v[160:161], v[162:163]
	ds_read_b128 v[160:163], v1 offset:1520
	s_waitcnt vmcnt(58) lgkmcnt(1)
	v_mul_f64 v[166:167], v[156:157], v[98:99]
	s_waitcnt vmcnt(56)
	v_fmac_f64_e32 v[166:167], v[158:159], v[100:101]
	v_add_f64 v[168:169], v[164:165], v[166:167]
	ds_read_b128 v[164:167], v1 offset:1536
	s_waitcnt lgkmcnt(1)
	v_mul_f64 v[170:171], v[160:161], v[94:95]
	v_fmac_f64_e32 v[170:171], v[162:163], v[96:97]
	v_mul_f64 v[28:29], v[28:29], v[46:47]
	v_add_f64 v[172:173], v[168:169], v[170:171]
	ds_read_b128 v[168:171], v1 offset:1552
	s_waitcnt vmcnt(50) lgkmcnt(1)
	v_mul_f64 v[174:175], v[164:165], v[106:107]
	v_fma_f64 v[26:27], v[26:27], v[76:77], -v[28:29]
	v_mul_f64 v[24:25], v[24:25], v[52:53]
	s_waitcnt vmcnt(48)
	v_fmac_f64_e32 v[174:175], v[166:167], v[108:109]
	v_add_f64 v[26:27], v[30:31], v[26:27]
	v_fma_f64 v[22:23], v[22:23], v[74:75], -v[24:25]
	v_add_f64 v[176:177], v[172:173], v[174:175]
	ds_read_b128 v[172:175], v1 offset:1568
	v_add_f64 v[22:23], v[26:27], v[22:23]
	v_mul_f64 v[16:17], v[16:17], v[58:59]
	v_add_f64 v[18:19], v[22:23], v[18:19]
	v_fma_f64 v[14:15], v[14:15], v[72:73], -v[16:17]
	v_add_f64 v[14:15], v[18:19], v[14:15]
	v_mul_f64 v[8:9], v[8:9], v[68:69]
	s_waitcnt lgkmcnt(1)
	v_mul_f64 v[178:179], v[168:169], v[102:103]
	v_add_f64 v[10:11], v[14:15], v[10:11]
	v_fma_f64 v[6:7], v[6:7], v[70:71], -v[8:9]
	v_mul_f64 v[4:5], v[4:5], v[64:65]
	v_fmac_f64_e32 v[178:179], v[170:171], v[104:105]
	v_add_f64 v[6:7], v[10:11], v[6:7]
	v_fma_f64 v[2:3], v[2:3], v[66:67], -v[4:5]
	v_mul_f64 v[4:5], v[112:113], v[82:83]
	v_add_f64 v[180:181], v[176:177], v[178:179]
	ds_read_b128 v[176:179], v1 offset:1584
	s_waitcnt vmcnt(42) lgkmcnt(1)
	v_mul_f64 v[182:183], v[172:173], v[120:121]
	v_add_f64 v[2:3], v[6:7], v[2:3]
	v_fma_f64 v[4:5], v[110:111], v[84:85], -v[4:5]
	s_waitcnt vmcnt(40)
	v_fmac_f64_e32 v[182:183], v[174:175], v[122:123]
	v_add_f64 v[2:3], v[2:3], v[4:5]
	v_mul_f64 v[4:5], v[146:147], v[78:79]
	v_add_f64 v[184:185], v[180:181], v[182:183]
	ds_read_b128 v[180:183], v1 offset:1600
	v_fma_f64 v[4:5], v[144:145], v[80:81], -v[4:5]
	v_add_f64 v[2:3], v[2:3], v[4:5]
	v_mul_f64 v[4:5], v[150:151], v[90:91]
	v_fma_f64 v[4:5], v[148:149], v[92:93], -v[4:5]
	s_waitcnt lgkmcnt(1)
	v_mul_f64 v[186:187], v[176:177], v[114:115]
	v_add_f64 v[2:3], v[2:3], v[4:5]
	v_mul_f64 v[4:5], v[154:155], v[86:87]
	v_fmac_f64_e32 v[186:187], v[178:179], v[116:117]
	v_fma_f64 v[4:5], v[152:153], v[88:89], -v[4:5]
	v_add_f64 v[188:189], v[184:185], v[186:187]
	ds_read_b128 v[184:187], v1 offset:1616
	s_waitcnt vmcnt(34) lgkmcnt(1)
	v_mul_f64 v[190:191], v[180:181], v[128:129]
	v_add_f64 v[2:3], v[2:3], v[4:5]
	v_mul_f64 v[4:5], v[158:159], v[98:99]
	s_waitcnt vmcnt(32)
	v_fmac_f64_e32 v[190:191], v[182:183], v[130:131]
	v_fma_f64 v[4:5], v[156:157], v[100:101], -v[4:5]
	v_add_f64 v[192:193], v[188:189], v[190:191]
	ds_read_b128 v[188:191], v1 offset:1632
	v_add_f64 v[2:3], v[2:3], v[4:5]
	v_mul_f64 v[4:5], v[162:163], v[94:95]
	v_fma_f64 v[4:5], v[160:161], v[96:97], -v[4:5]
	v_add_f64 v[2:3], v[2:3], v[4:5]
	v_mul_f64 v[4:5], v[166:167], v[106:107]
	s_waitcnt lgkmcnt(1)
	v_mul_f64 v[194:195], v[184:185], v[124:125]
	v_fma_f64 v[4:5], v[164:165], v[108:109], -v[4:5]
	v_fmac_f64_e32 v[194:195], v[186:187], v[126:127]
	v_add_f64 v[2:3], v[2:3], v[4:5]
	v_mul_f64 v[4:5], v[170:171], v[102:103]
	v_add_f64 v[196:197], v[192:193], v[194:195]
	ds_read_b128 v[192:195], v1 offset:1648
	s_waitcnt vmcnt(26) lgkmcnt(1)
	v_mul_f64 v[198:199], v[188:189], v[136:137]
	v_fma_f64 v[4:5], v[168:169], v[104:105], -v[4:5]
	s_waitcnt vmcnt(24)
	v_fmac_f64_e32 v[198:199], v[190:191], v[138:139]
	v_add_f64 v[2:3], v[2:3], v[4:5]
	v_mul_f64 v[4:5], v[174:175], v[120:121]
	v_add_f64 v[200:201], v[196:197], v[198:199]
	ds_read_b128 v[196:199], v1 offset:1664
	v_fma_f64 v[4:5], v[172:173], v[122:123], -v[4:5]
	v_add_f64 v[2:3], v[2:3], v[4:5]
	v_mul_f64 v[4:5], v[178:179], v[114:115]
	v_fma_f64 v[4:5], v[176:177], v[116:117], -v[4:5]
	s_waitcnt lgkmcnt(1)
	v_mul_f64 v[202:203], v[192:193], v[132:133]
	v_add_f64 v[2:3], v[2:3], v[4:5]
	v_mul_f64 v[4:5], v[182:183], v[128:129]
	v_fmac_f64_e32 v[202:203], v[194:195], v[134:135]
	v_fma_f64 v[4:5], v[180:181], v[130:131], -v[4:5]
	v_add_f64 v[204:205], v[200:201], v[202:203]
	ds_read_b128 v[200:203], v1 offset:1680
	s_waitcnt vmcnt(18) lgkmcnt(1)
	v_mul_f64 v[206:207], v[196:197], v[118:119]
	v_add_f64 v[2:3], v[2:3], v[4:5]
	v_mul_f64 v[4:5], v[186:187], v[124:125]
	s_waitcnt vmcnt(16)
	v_fmac_f64_e32 v[206:207], v[198:199], v[220:221]
	v_fma_f64 v[4:5], v[184:185], v[126:127], -v[4:5]
	v_add_f64 v[208:209], v[204:205], v[206:207]
	ds_read_b128 v[204:207], v1 offset:1696
	v_add_f64 v[2:3], v[2:3], v[4:5]
	v_mul_f64 v[4:5], v[190:191], v[136:137]
	v_fma_f64 v[4:5], v[188:189], v[138:139], -v[4:5]
	v_add_f64 v[2:3], v[2:3], v[4:5]
	v_mul_f64 v[4:5], v[194:195], v[132:133]
	s_waitcnt lgkmcnt(1)
	v_mul_f64 v[210:211], v[200:201], v[140:141]
	v_fma_f64 v[4:5], v[192:193], v[134:135], -v[4:5]
	v_fmac_f64_e32 v[210:211], v[202:203], v[142:143]
	v_add_f64 v[2:3], v[2:3], v[4:5]
	v_mul_f64 v[4:5], v[198:199], v[118:119]
	v_add_f64 v[212:213], v[208:209], v[210:211]
	ds_read_b128 v[208:211], v1 offset:1712
	s_waitcnt vmcnt(10) lgkmcnt(1)
	v_mul_f64 v[214:215], v[204:205], v[226:227]
	v_fma_f64 v[4:5], v[196:197], v[220:221], -v[4:5]
	s_waitcnt vmcnt(8)
	v_fmac_f64_e32 v[214:215], v[206:207], v[228:229]
	v_add_f64 v[2:3], v[2:3], v[4:5]
	v_mul_f64 v[4:5], v[202:203], v[140:141]
	v_add_f64 v[238:239], v[212:213], v[214:215]
	ds_read_b128 v[212:215], v1 offset:1728
	ds_read_b128 v[216:219], v1 offset:1744
	v_fma_f64 v[4:5], v[200:201], v[142:143], -v[4:5]
	v_add_f64 v[2:3], v[2:3], v[4:5]
	v_mul_f64 v[4:5], v[206:207], v[226:227]
	v_fma_f64 v[4:5], v[204:205], v[228:229], -v[4:5]
	v_add_f64 v[2:3], v[2:3], v[4:5]
	s_waitcnt lgkmcnt(2)
	v_mul_f64 v[4:5], v[210:211], v[222:223]
	v_mul_f64 v[240:241], v[208:209], v[222:223]
	v_fma_f64 v[4:5], v[208:209], v[224:225], -v[4:5]
	v_fmac_f64_e32 v[240:241], v[210:211], v[224:225]
	v_add_f64 v[2:3], v[2:3], v[4:5]
	s_waitcnt vmcnt(2) lgkmcnt(1)
	v_mul_f64 v[4:5], v[214:215], v[234:235]
	v_add_f64 v[238:239], v[238:239], v[240:241]
	v_mul_f64 v[240:241], v[212:213], v[234:235]
	s_waitcnt vmcnt(0)
	v_fma_f64 v[4:5], v[212:213], v[236:237], -v[4:5]
	v_fmac_f64_e32 v[240:241], v[214:215], v[236:237]
	v_add_f64 v[2:3], v[2:3], v[4:5]
	s_waitcnt lgkmcnt(0)
	v_mul_f64 v[4:5], v[218:219], v[230:231]
	v_add_f64 v[238:239], v[238:239], v[240:241]
	v_mul_f64 v[240:241], v[216:217], v[230:231]
	v_fma_f64 v[4:5], v[216:217], v[232:233], -v[4:5]
	v_fmac_f64_e32 v[240:241], v[218:219], v[232:233]
	v_add_f64 v[2:3], v[2:3], v[4:5]
	v_add_f64 v[238:239], v[238:239], v[240:241]
	v_add_f64 v[2:3], v[62:63], -v[2:3]
	v_add_f64 v[4:5], v[60:61], -v[238:239]
	buffer_store_dword v3, off, s[0:3], 0 offset:420
	buffer_store_dword v2, off, s[0:3], 0 offset:416
	;; [unrolled: 1-line block ×4, first 2 shown]
	s_and_saveexec_b64 s[4:5], vcc
	s_cbranch_execz .LBB118_295
; %bb.294:
	v_accvgpr_read_b32 v0, a140
	buffer_load_dword v2, v0, s[0:3], 0 offen
	buffer_load_dword v3, v0, s[0:3], 0 offen offset:4
	buffer_load_dword v4, v0, s[0:3], 0 offen offset:8
	;; [unrolled: 1-line block ×3, first 2 shown]
	v_accvgpr_read_b32 v0, a165
	buffer_store_dword v1, off, s[0:3], 0 offset:400
	buffer_store_dword v1, off, s[0:3], 0 offset:404
	;; [unrolled: 1-line block ×4, first 2 shown]
	s_waitcnt vmcnt(4)
	ds_write_b128 v0, v[2:5]
.LBB118_295:
	s_or_b64 exec, exec, s[4:5]
	s_waitcnt lgkmcnt(0)
	; wave barrier
	s_waitcnt lgkmcnt(0)
	buffer_load_dword v48, off, s[0:3], 0 offset:416
	buffer_load_dword v49, off, s[0:3], 0 offset:420
	;; [unrolled: 1-line block ×40, first 2 shown]
	ds_read_b128 v[38:41], v1 offset:1280
	ds_read_b128 v[34:37], v1 offset:1296
	;; [unrolled: 1-line block ×10, first 2 shown]
	buffer_load_dword v83, off, s[0:3], 0 offset:588
	buffer_load_dword v82, off, s[0:3], 0 offset:584
	;; [unrolled: 1-line block ×8, first 2 shown]
	v_cmp_lt_u32_e32 vcc, 23, v254
	s_waitcnt vmcnt(44) lgkmcnt(9)
	v_mul_f64 v[90:91], v[38:39], v[50:51]
	v_fmac_f64_e32 v[90:91], v[40:41], v[48:49]
	v_add_f64 v[90:91], v[90:91], 0
	v_mul_f64 v[40:41], v[40:41], v[50:51]
	s_waitcnt vmcnt(40) lgkmcnt(8)
	v_mul_f64 v[92:93], v[34:35], v[44:45]
	v_fmac_f64_e32 v[92:93], v[36:37], v[42:43]
	s_waitcnt vmcnt(38) lgkmcnt(7)
	v_mul_f64 v[94:95], v[30:31], v[46:47]
	v_add_f64 v[90:91], v[90:91], v[92:93]
	s_waitcnt vmcnt(36) lgkmcnt(5)
	v_mul_f64 v[98:99], v[22:23], v[52:53]
	v_mul_f64 v[36:37], v[36:37], v[44:45]
	s_waitcnt vmcnt(34)
	v_fmac_f64_e32 v[98:99], v[24:25], v[54:55]
	v_fma_f64 v[34:35], v[34:35], v[42:43], -v[36:37]
	s_waitcnt vmcnt(32)
	v_mul_f64 v[96:97], v[26:27], v[56:57]
	v_mul_f64 v[24:25], v[24:25], v[52:53]
	s_waitcnt vmcnt(30) lgkmcnt(4)
	v_mul_f64 v[100:101], v[18:19], v[62:63]
	v_fma_f64 v[22:23], v[22:23], v[54:55], -v[24:25]
	s_waitcnt vmcnt(28) lgkmcnt(1)
	v_mul_f64 v[124:125], v[2:3], v[64:65]
	s_waitcnt vmcnt(25)
	v_mul_f64 v[104:105], v[6:7], v[68:69]
	s_waitcnt vmcnt(23)
	;; [unrolled: 2-line block ×3, first 2 shown]
	v_fmac_f64_e32 v[102:103], v[12:13], v[72:73]
	v_mul_f64 v[12:13], v[12:13], v[70:71]
	s_waitcnt vmcnt(19)
	v_fmac_f64_e32 v[94:95], v[32:33], v[80:81]
	v_add_f64 v[90:91], v[90:91], v[94:95]
	s_waitcnt vmcnt(17)
	v_fmac_f64_e32 v[96:97], v[28:29], v[78:79]
	v_add_f64 v[90:91], v[90:91], v[96:97]
	;; [unrolled: 3-line block ×3, first 2 shown]
	v_add_f64 v[90:91], v[90:91], v[100:101]
	s_waitcnt vmcnt(13)
	v_fmac_f64_e32 v[104:105], v[8:9], v[74:75]
	v_add_f64 v[90:91], v[90:91], v[102:103]
	v_add_f64 v[126:127], v[90:91], v[104:105]
	buffer_load_dword v91, off, s[0:3], 0 offset:620
	buffer_load_dword v90, off, s[0:3], 0 offset:616
	;; [unrolled: 1-line block ×72, first 2 shown]
	s_waitcnt vmcnt(62)
	v_fmac_f64_e32 v[124:125], v[4:5], v[66:67]
	v_add_f64 v[152:153], v[126:127], v[124:125]
	ds_read_b128 v[124:127], v1 offset:1440
	s_waitcnt lgkmcnt(1)
	v_mul_f64 v[154:155], v[14:15], v[86:87]
	v_fmac_f64_e32 v[154:155], v[16:17], v[88:89]
	buffer_load_dword v235, off, s[0:3], 0 offset:892
	buffer_load_dword v234, off, s[0:3], 0 offset:888
	;; [unrolled: 1-line block ×4, first 2 shown]
	v_add_f64 v[156:157], v[152:153], v[154:155]
	s_waitcnt lgkmcnt(0)
	v_mul_f64 v[158:159], v[124:125], v[82:83]
	ds_read_b128 v[152:155], v1 offset:1456
	v_fmac_f64_e32 v[158:159], v[126:127], v[84:85]
	v_add_f64 v[160:161], v[156:157], v[158:159]
	ds_read_b128 v[156:159], v1 offset:1472
	v_mul_f64 v[32:33], v[32:33], v[46:47]
	s_waitcnt lgkmcnt(1)
	v_mul_f64 v[162:163], v[152:153], v[94:95]
	v_fma_f64 v[30:31], v[30:31], v[80:81], -v[32:33]
	v_fmac_f64_e32 v[162:163], v[154:155], v[96:97]
	s_waitcnt lgkmcnt(0)
	v_mul_f64 v[166:167], v[156:157], v[90:91]
	v_add_f64 v[164:165], v[160:161], v[162:163]
	ds_read_b128 v[160:163], v1 offset:1488
	v_fmac_f64_e32 v[166:167], v[158:159], v[92:93]
	v_add_f64 v[168:169], v[164:165], v[166:167]
	ds_read_b128 v[164:167], v1 offset:1504
	v_mul_f64 v[28:29], v[28:29], v[56:57]
	s_waitcnt vmcnt(62) lgkmcnt(1)
	v_mul_f64 v[170:171], v[160:161], v[102:103]
	s_waitcnt vmcnt(60)
	v_fmac_f64_e32 v[170:171], v[162:163], v[104:105]
	v_add_f64 v[172:173], v[168:169], v[170:171]
	s_waitcnt lgkmcnt(0)
	v_mul_f64 v[174:175], v[164:165], v[98:99]
	ds_read_b128 v[168:171], v1 offset:1520
	v_fmac_f64_e32 v[174:175], v[166:167], v[100:101]
	v_add_f64 v[176:177], v[172:173], v[174:175]
	ds_read_b128 v[172:175], v1 offset:1536
	v_fma_f64 v[26:27], v[26:27], v[78:79], -v[28:29]
	s_waitcnt vmcnt(54) lgkmcnt(1)
	v_mul_f64 v[178:179], v[168:169], v[110:111]
	s_waitcnt vmcnt(52)
	v_fmac_f64_e32 v[178:179], v[170:171], v[112:113]
	v_add_f64 v[180:181], v[176:177], v[178:179]
	s_waitcnt lgkmcnt(0)
	v_mul_f64 v[182:183], v[172:173], v[106:107]
	ds_read_b128 v[176:179], v1 offset:1552
	v_fmac_f64_e32 v[182:183], v[174:175], v[108:109]
	v_add_f64 v[184:185], v[180:181], v[182:183]
	ds_read_b128 v[180:183], v1 offset:1568
	v_mul_f64 v[20:21], v[20:21], v[62:63]
	s_waitcnt vmcnt(46) lgkmcnt(1)
	v_mul_f64 v[186:187], v[176:177], v[120:121]
	s_waitcnt vmcnt(44)
	v_fmac_f64_e32 v[186:187], v[178:179], v[122:123]
	v_add_f64 v[188:189], v[184:185], v[186:187]
	s_waitcnt lgkmcnt(0)
	v_mul_f64 v[190:191], v[180:181], v[114:115]
	ds_read_b128 v[184:187], v1 offset:1584
	v_fmac_f64_e32 v[190:191], v[182:183], v[116:117]
	v_add_f64 v[192:193], v[188:189], v[190:191]
	ds_read_b128 v[188:191], v1 offset:1600
	v_fma_f64 v[18:19], v[18:19], v[76:77], -v[20:21]
	s_waitcnt vmcnt(38) lgkmcnt(1)
	v_mul_f64 v[194:195], v[184:185], v[132:133]
	s_waitcnt vmcnt(36)
	v_fmac_f64_e32 v[194:195], v[186:187], v[134:135]
	v_add_f64 v[196:197], v[192:193], v[194:195]
	s_waitcnt lgkmcnt(0)
	v_mul_f64 v[198:199], v[188:189], v[128:129]
	ds_read_b128 v[192:195], v1 offset:1616
	v_fmac_f64_e32 v[198:199], v[190:191], v[130:131]
	v_add_f64 v[200:201], v[196:197], v[198:199]
	ds_read_b128 v[196:199], v1 offset:1632
	v_fma_f64 v[10:11], v[10:11], v[72:73], -v[12:13]
	s_waitcnt vmcnt(30) lgkmcnt(1)
	v_mul_f64 v[202:203], v[192:193], v[140:141]
	s_waitcnt vmcnt(28)
	v_fmac_f64_e32 v[202:203], v[194:195], v[142:143]
	v_add_f64 v[204:205], v[200:201], v[202:203]
	s_waitcnt lgkmcnt(0)
	v_mul_f64 v[206:207], v[196:197], v[136:137]
	ds_read_b128 v[200:203], v1 offset:1648
	v_fmac_f64_e32 v[206:207], v[198:199], v[138:139]
	v_add_f64 v[208:209], v[204:205], v[206:207]
	ds_read_b128 v[204:207], v1 offset:1664
	v_mul_f64 v[8:9], v[8:9], v[68:69]
	s_waitcnt vmcnt(22) lgkmcnt(1)
	v_mul_f64 v[210:211], v[200:201], v[148:149]
	s_waitcnt vmcnt(20)
	v_fmac_f64_e32 v[210:211], v[202:203], v[150:151]
	v_add_f64 v[212:213], v[208:209], v[210:211]
	s_waitcnt lgkmcnt(0)
	v_mul_f64 v[214:215], v[204:205], v[144:145]
	ds_read_b128 v[208:211], v1 offset:1680
	v_fmac_f64_e32 v[214:215], v[206:207], v[146:147]
	v_add_f64 v[216:217], v[212:213], v[214:215]
	ds_read_b128 v[212:215], v1 offset:1696
	v_fma_f64 v[6:7], v[6:7], v[74:75], -v[8:9]
	s_waitcnt vmcnt(14) lgkmcnt(1)
	v_mul_f64 v[218:219], v[208:209], v[222:223]
	s_waitcnt vmcnt(12)
	v_fmac_f64_e32 v[218:219], v[210:211], v[224:225]
	v_add_f64 v[238:239], v[216:217], v[218:219]
	s_waitcnt lgkmcnt(0)
	v_mul_f64 v[240:241], v[212:213], v[118:119]
	v_fmac_f64_e32 v[240:241], v[214:215], v[220:221]
	v_add_f64 v[238:239], v[238:239], v[240:241]
	v_fma_f64 v[240:241], v[38:39], v[48:49], -v[40:41]
	v_add_f64 v[240:241], v[240:241], 0
	v_add_f64 v[34:35], v[240:241], v[34:35]
	;; [unrolled: 1-line block ×7, first 2 shown]
	v_mul_f64 v[4:5], v[4:5], v[64:65]
	v_add_f64 v[6:7], v[10:11], v[6:7]
	v_fma_f64 v[2:3], v[2:3], v[66:67], -v[4:5]
	v_mul_f64 v[4:5], v[16:17], v[86:87]
	v_add_f64 v[2:3], v[6:7], v[2:3]
	v_fma_f64 v[4:5], v[14:15], v[88:89], -v[4:5]
	v_add_f64 v[2:3], v[2:3], v[4:5]
	v_mul_f64 v[4:5], v[126:127], v[82:83]
	v_fma_f64 v[4:5], v[124:125], v[84:85], -v[4:5]
	v_add_f64 v[2:3], v[2:3], v[4:5]
	v_mul_f64 v[4:5], v[154:155], v[94:95]
	;; [unrolled: 3-line block ×15, first 2 shown]
	ds_read_b128 v[216:219], v1 offset:1712
	ds_read_b128 v[38:41], v1 offset:1728
	v_fma_f64 v[4:5], v[204:205], v[146:147], -v[4:5]
	v_add_f64 v[2:3], v[2:3], v[4:5]
	v_mul_f64 v[4:5], v[210:211], v[222:223]
	v_fma_f64 v[4:5], v[208:209], v[224:225], -v[4:5]
	v_add_f64 v[2:3], v[2:3], v[4:5]
	v_mul_f64 v[4:5], v[214:215], v[118:119]
	ds_read_b128 v[48:51], v1 offset:1744
	v_fma_f64 v[4:5], v[212:213], v[220:221], -v[4:5]
	v_add_f64 v[2:3], v[2:3], v[4:5]
	s_waitcnt vmcnt(6) lgkmcnt(2)
	v_mul_f64 v[4:5], v[218:219], v[230:231]
	v_mul_f64 v[242:243], v[216:217], v[230:231]
	s_waitcnt vmcnt(4)
	v_fma_f64 v[4:5], v[216:217], v[232:233], -v[4:5]
	v_fmac_f64_e32 v[242:243], v[218:219], v[232:233]
	v_add_f64 v[2:3], v[2:3], v[4:5]
	s_waitcnt lgkmcnt(1)
	v_mul_f64 v[4:5], v[40:41], v[226:227]
	v_add_f64 v[238:239], v[238:239], v[242:243]
	v_mul_f64 v[242:243], v[38:39], v[226:227]
	v_fma_f64 v[4:5], v[38:39], v[228:229], -v[4:5]
	v_fmac_f64_e32 v[242:243], v[40:41], v[228:229]
	v_add_f64 v[2:3], v[2:3], v[4:5]
	s_waitcnt vmcnt(2) lgkmcnt(0)
	v_mul_f64 v[4:5], v[50:51], v[234:235]
	v_add_f64 v[238:239], v[238:239], v[242:243]
	v_mul_f64 v[242:243], v[48:49], v[234:235]
	s_waitcnt vmcnt(0)
	v_fma_f64 v[4:5], v[48:49], v[236:237], -v[4:5]
	v_fmac_f64_e32 v[242:243], v[50:51], v[236:237]
	v_add_f64 v[2:3], v[2:3], v[4:5]
	v_add_f64 v[238:239], v[238:239], v[242:243]
	v_add_f64 v[2:3], v[60:61], -v[2:3]
	v_add_f64 v[4:5], v[58:59], -v[238:239]
	buffer_store_dword v3, off, s[0:3], 0 offset:404
	buffer_store_dword v2, off, s[0:3], 0 offset:400
	;; [unrolled: 1-line block ×4, first 2 shown]
	s_and_saveexec_b64 s[4:5], vcc
	s_cbranch_execz .LBB118_297
; %bb.296:
	v_accvgpr_read_b32 v0, a141
	buffer_load_dword v2, v0, s[0:3], 0 offen
	buffer_load_dword v3, v0, s[0:3], 0 offen offset:4
	buffer_load_dword v4, v0, s[0:3], 0 offen offset:8
	;; [unrolled: 1-line block ×3, first 2 shown]
	v_mov_b32_e32 v0, 0
	v_accvgpr_read_b32 v1, a165
	buffer_store_dword v0, off, s[0:3], 0 offset:384
	buffer_store_dword v0, off, s[0:3], 0 offset:388
	;; [unrolled: 1-line block ×4, first 2 shown]
	s_waitcnt vmcnt(4)
	ds_write_b128 v1, v[2:5]
.LBB118_297:
	s_or_b64 exec, exec, s[4:5]
	s_waitcnt lgkmcnt(0)
	; wave barrier
	s_waitcnt lgkmcnt(0)
	buffer_load_dword v106, off, s[0:3], 0 offset:400
	buffer_load_dword v107, off, s[0:3], 0 offset:404
	;; [unrolled: 1-line block ×49, first 2 shown]
	v_mov_b32_e32 v1, 0
	ds_read_b128 v[110:113], v1 offset:1264
	ds_read_b128 v[250:253], v1 offset:1280
	;; [unrolled: 1-line block ×10, first 2 shown]
	buffer_load_dword v160, off, s[0:3], 0 offset:592
	buffer_load_dword v175, off, s[0:3], 0 offset:588
	buffer_load_dword v174, off, s[0:3], 0 offset:584
	buffer_load_dword v179, off, s[0:3], 0 offset:580
	buffer_load_dword v178, off, s[0:3], 0 offset:576
	buffer_load_dword v163, off, s[0:3], 0 offset:636
	buffer_load_dword v162, off, s[0:3], 0 offset:632
	buffer_load_dword v165, off, s[0:3], 0 offset:628
	buffer_load_dword v164, off, s[0:3], 0 offset:624
	buffer_load_dword v183, off, s[0:3], 0 offset:620
	buffer_load_dword v182, off, s[0:3], 0 offset:616
	buffer_load_dword v187, off, s[0:3], 0 offset:612
	buffer_load_dword v186, off, s[0:3], 0 offset:608
	buffer_load_dword v167, off, s[0:3], 0 offset:668
	buffer_load_dword v166, off, s[0:3], 0 offset:664
	buffer_load_dword v169, off, s[0:3], 0 offset:660
	buffer_load_dword v168, off, s[0:3], 0 offset:656
	buffer_load_dword v191, off, s[0:3], 0 offset:652
	buffer_load_dword v190, off, s[0:3], 0 offset:648
	buffer_load_dword v195, off, s[0:3], 0 offset:644
	buffer_load_dword v194, off, s[0:3], 0 offset:640
	buffer_load_dword v171, off, s[0:3], 0 offset:700
	buffer_load_dword v170, off, s[0:3], 0 offset:696
	buffer_load_dword v173, off, s[0:3], 0 offset:692
	buffer_load_dword v172, off, s[0:3], 0 offset:688
	buffer_load_dword v199, off, s[0:3], 0 offset:684
	buffer_load_dword v198, off, s[0:3], 0 offset:680
	buffer_load_dword v203, off, s[0:3], 0 offset:676
	buffer_load_dword v202, off, s[0:3], 0 offset:672
	buffer_load_dword v177, off, s[0:3], 0 offset:732
	buffer_load_dword v176, off, s[0:3], 0 offset:728
	buffer_load_dword v181, off, s[0:3], 0 offset:724
	buffer_load_dword v180, off, s[0:3], 0 offset:720
	buffer_load_dword v207, off, s[0:3], 0 offset:716
	buffer_load_dword v206, off, s[0:3], 0 offset:712
	buffer_load_dword v211, off, s[0:3], 0 offset:708
	buffer_load_dword v210, off, s[0:3], 0 offset:704
	buffer_load_dword v185, off, s[0:3], 0 offset:764
	buffer_load_dword v184, off, s[0:3], 0 offset:760
	buffer_load_dword v189, off, s[0:3], 0 offset:756
	buffer_load_dword v188, off, s[0:3], 0 offset:752
	buffer_load_dword v215, off, s[0:3], 0 offset:748
	buffer_load_dword v214, off, s[0:3], 0 offset:744
	buffer_load_dword v217, off, s[0:3], 0 offset:740
	buffer_load_dword v216, off, s[0:3], 0 offset:736
	buffer_load_dword v193, off, s[0:3], 0 offset:796
	buffer_load_dword v192, off, s[0:3], 0 offset:792
	buffer_load_dword v197, off, s[0:3], 0 offset:788
	buffer_load_dword v196, off, s[0:3], 0 offset:784
	buffer_load_dword v219, off, s[0:3], 0 offset:780
	buffer_load_dword v218, off, s[0:3], 0 offset:776
	buffer_load_dword v229, off, s[0:3], 0 offset:772
	buffer_load_dword v228, off, s[0:3], 0 offset:768
	buffer_load_dword v201, off, s[0:3], 0 offset:828
	buffer_load_dword v200, off, s[0:3], 0 offset:824
	buffer_load_dword v205, off, s[0:3], 0 offset:820
	buffer_load_dword v204, off, s[0:3], 0 offset:816
	buffer_load_dword v233, off, s[0:3], 0 offset:812
	buffer_load_dword v232, off, s[0:3], 0 offset:808
	buffer_load_dword v237, off, s[0:3], 0 offset:804
	buffer_load_dword v236, off, s[0:3], 0 offset:800
	buffer_load_dword v209, off, s[0:3], 0 offset:860
	buffer_load_dword v208, off, s[0:3], 0 offset:856
	buffer_load_dword v213, off, s[0:3], 0 offset:852
	buffer_load_dword v212, off, s[0:3], 0 offset:848
	buffer_load_dword v239, off, s[0:3], 0 offset:844
	buffer_load_dword v238, off, s[0:3], 0 offset:840
	buffer_load_dword v241, off, s[0:3], 0 offset:836
	buffer_load_dword v240, off, s[0:3], 0 offset:832
	v_accvgpr_write_b32 a164, v254
	v_cmp_lt_u32_e32 vcc, 22, v254
	s_waitcnt vmcnt(62) lgkmcnt(9)
	v_mul_f64 v[34:35], v[110:111], v[108:109]
	v_fmac_f64_e32 v[34:35], v[112:113], v[106:107]
	v_add_f64 v[34:35], v[34:35], 0
	v_mul_f64 v[108:109], v[112:113], v[108:109]
	s_waitcnt lgkmcnt(8)
	v_mul_f64 v[36:37], v[250:251], v[116:117]
	v_fmac_f64_e32 v[36:37], v[252:253], v[114:115]
	s_waitcnt lgkmcnt(7)
	v_mul_f64 v[38:39], v[30:31], v[120:121]
	v_add_f64 v[34:35], v[34:35], v[36:37]
	s_waitcnt lgkmcnt(5)
	v_mul_f64 v[42:43], v[22:23], v[122:123]
	v_mul_f64 v[116:117], v[252:253], v[116:117]
	v_fmac_f64_e32 v[42:43], v[24:25], v[124:125]
	v_fma_f64 v[248:249], v[110:111], v[106:107], -v[108:109]
	v_mul_f64 v[40:41], v[26:27], v[126:127]
	v_fma_f64 v[250:251], v[250:251], v[114:115], -v[116:117]
	s_waitcnt lgkmcnt(3)
	v_mul_f64 v[46:47], v[14:15], v[128:129]
	v_mul_f64 v[24:25], v[24:25], v[122:123]
	v_fmac_f64_e32 v[46:47], v[16:17], v[130:131]
	v_fma_f64 v[22:23], v[22:23], v[124:125], -v[24:25]
	v_mul_f64 v[44:45], v[18:19], v[132:133]
	v_mul_f64 v[16:17], v[16:17], v[128:129]
	s_waitcnt lgkmcnt(1)
	v_mul_f64 v[50:51], v[6:7], v[134:135]
	v_fma_f64 v[14:15], v[14:15], v[130:131], -v[16:17]
	v_fmac_f64_e32 v[50:51], v[8:9], v[136:137]
	v_mul_f64 v[8:9], v[8:9], v[134:135]
	v_mul_f64 v[48:49], v[10:11], v[142:143]
	v_fma_f64 v[6:7], v[6:7], v[136:137], -v[8:9]
	s_waitcnt lgkmcnt(0)
	v_mul_f64 v[52:53], v[2:3], v[138:139]
	v_fmac_f64_e32 v[38:39], v[32:33], v[154:155]
	v_add_f64 v[34:35], v[34:35], v[38:39]
	v_fmac_f64_e32 v[40:41], v[28:29], v[152:153]
	v_add_f64 v[34:35], v[34:35], v[40:41]
	v_fmac_f64_e32 v[44:45], v[20:21], v[150:151]
	v_add_f64 v[34:35], v[34:35], v[42:43]
	v_add_f64 v[34:35], v[34:35], v[44:45]
	v_fmac_f64_e32 v[48:49], v[12:13], v[148:149]
	v_add_f64 v[34:35], v[34:35], v[46:47]
	v_add_f64 v[34:35], v[34:35], v[48:49]
	v_fmac_f64_e32 v[52:53], v[4:5], v[146:147]
	v_add_f64 v[34:35], v[34:35], v[50:51]
	v_add_f64 v[42:43], v[34:35], v[52:53]
	ds_read_b128 v[38:41], v1 offset:1424
	ds_read_b128 v[34:37], v1 offset:1440
	buffer_load_dword v231, off, s[0:3], 0 offset:892
	buffer_load_dword v230, off, s[0:3], 0 offset:888
	;; [unrolled: 1-line block ×8, first 2 shown]
	ds_read_b128 v[110:113], v1 offset:1712
	ds_read_b128 v[106:109], v1 offset:1728
	s_waitcnt lgkmcnt(3)
	v_mul_f64 v[44:45], v[38:39], v[144:145]
	v_fmac_f64_e32 v[44:45], v[40:41], v[156:157]
	v_add_f64 v[46:47], v[42:43], v[44:45]
	ds_read_b128 v[42:45], v1 offset:1456
	s_waitcnt lgkmcnt(3)
	v_mul_f64 v[48:49], v[34:35], v[174:175]
	v_fmac_f64_e32 v[48:49], v[36:37], v[178:179]
	v_add_f64 v[50:51], v[46:47], v[48:49]
	;; [unrolled: 5-line block ×3, first 2 shown]
	ds_read_b128 v[50:53], v1 offset:1488
	s_waitcnt vmcnt(62) lgkmcnt(1)
	v_mul_f64 v[56:57], v[46:47], v[182:183]
	v_fmac_f64_e32 v[56:57], v[48:49], v[186:187]
	v_add_f64 v[58:59], v[54:55], v[56:57]
	ds_read_b128 v[54:57], v1 offset:1504
	s_waitcnt lgkmcnt(1)
	v_mul_f64 v[60:61], v[50:51], v[162:163]
	v_fmac_f64_e32 v[60:61], v[52:53], v[164:165]
	v_add_f64 v[62:63], v[58:59], v[60:61]
	ds_read_b128 v[58:61], v1 offset:1520
	s_waitcnt vmcnt(58) lgkmcnt(1)
	v_mul_f64 v[64:65], v[54:55], v[190:191]
	s_waitcnt vmcnt(56)
	v_fmac_f64_e32 v[64:65], v[56:57], v[194:195]
	v_add_f64 v[66:67], v[62:63], v[64:65]
	ds_read_b128 v[62:65], v1 offset:1536
	s_waitcnt lgkmcnt(1)
	v_mul_f64 v[68:69], v[58:59], v[166:167]
	v_fmac_f64_e32 v[68:69], v[60:61], v[168:169]
	v_add_f64 v[70:71], v[66:67], v[68:69]
	ds_read_b128 v[66:69], v1 offset:1552
	s_waitcnt vmcnt(50) lgkmcnt(1)
	v_mul_f64 v[72:73], v[62:63], v[198:199]
	s_waitcnt vmcnt(48)
	;; [unrolled: 11-line block ×5, first 2 shown]
	v_fmac_f64_e32 v[96:97], v[88:89], v[228:229]
	v_add_f64 v[98:99], v[94:95], v[96:97]
	ds_read_b128 v[94:97], v1 offset:1664
	s_waitcnt lgkmcnt(1)
	v_mul_f64 v[100:101], v[90:91], v[192:193]
	v_fmac_f64_e32 v[100:101], v[92:93], v[196:197]
	v_add_f64 v[118:119], v[98:99], v[100:101]
	ds_read_b128 v[98:101], v1 offset:1680
	ds_read_b128 v[102:105], v1 offset:1696
	;; [unrolled: 1-line block ×3, first 2 shown]
	buffer_load_dword v252, off, s[0:3], 0 offset:392
	buffer_load_dword v253, off, s[0:3], 0 offset:396
	s_waitcnt vmcnt(20) lgkmcnt(3)
	v_mul_f64 v[220:221], v[94:95], v[232:233]
	s_waitcnt vmcnt(18)
	v_fmac_f64_e32 v[220:221], v[96:97], v[236:237]
	v_add_f64 v[118:119], v[118:119], v[220:221]
	s_waitcnt lgkmcnt(2)
	v_mul_f64 v[220:221], v[98:99], v[200:201]
	v_fmac_f64_e32 v[220:221], v[100:101], v[204:205]
	v_add_f64 v[118:119], v[118:119], v[220:221]
	s_waitcnt vmcnt(12) lgkmcnt(1)
	v_mul_f64 v[220:221], v[102:103], v[238:239]
	s_waitcnt vmcnt(10)
	v_fmac_f64_e32 v[220:221], v[104:105], v[240:241]
	v_add_f64 v[118:119], v[118:119], v[220:221]
	v_mul_f64 v[220:221], v[110:111], v[208:209]
	v_fmac_f64_e32 v[220:221], v[112:113], v[212:213]
	v_add_f64 v[118:119], v[118:119], v[220:221]
	s_waitcnt vmcnt(4)
	v_mul_f64 v[220:221], v[106:107], v[242:243]
	v_mul_f64 v[32:33], v[32:33], v[120:121]
	s_waitcnt vmcnt(2)
	v_fmac_f64_e32 v[220:221], v[108:109], v[244:245]
	v_add_f64 v[118:119], v[118:119], v[220:221]
	s_waitcnt lgkmcnt(0)
	v_mul_f64 v[220:221], v[114:115], v[230:231]
	v_fmac_f64_e32 v[220:221], v[116:117], v[234:235]
	v_add_f64 v[246:247], v[118:119], v[220:221]
	v_add_f64 v[118:119], v[248:249], 0
	;; [unrolled: 1-line block ×3, first 2 shown]
	v_fma_f64 v[30:31], v[30:31], v[154:155], -v[32:33]
	v_mul_f64 v[28:29], v[28:29], v[126:127]
	v_add_f64 v[30:31], v[118:119], v[30:31]
	v_fma_f64 v[26:27], v[26:27], v[152:153], -v[28:29]
	v_add_f64 v[26:27], v[30:31], v[26:27]
	v_mul_f64 v[20:21], v[20:21], v[132:133]
	v_add_f64 v[22:23], v[26:27], v[22:23]
	v_fma_f64 v[18:19], v[18:19], v[150:151], -v[20:21]
	v_add_f64 v[18:19], v[22:23], v[18:19]
	;; [unrolled: 4-line block ×3, first 2 shown]
	v_mul_f64 v[4:5], v[4:5], v[138:139]
	v_add_f64 v[6:7], v[10:11], v[6:7]
	v_fma_f64 v[2:3], v[2:3], v[146:147], -v[4:5]
	v_mul_f64 v[4:5], v[40:41], v[144:145]
	v_add_f64 v[2:3], v[6:7], v[2:3]
	v_fma_f64 v[4:5], v[38:39], v[156:157], -v[4:5]
	v_add_f64 v[2:3], v[2:3], v[4:5]
	v_mul_f64 v[4:5], v[36:37], v[174:175]
	v_fma_f64 v[4:5], v[34:35], v[178:179], -v[4:5]
	v_add_f64 v[2:3], v[2:3], v[4:5]
	v_mul_f64 v[4:5], v[44:45], v[158:159]
	;; [unrolled: 3-line block ×20, first 2 shown]
	v_fma_f64 v[4:5], v[114:115], v[234:235], -v[4:5]
	v_add_f64 v[2:3], v[2:3], v[4:5]
	v_add_f64 v[2:3], v[140:141], -v[2:3]
	s_waitcnt vmcnt(0)
	v_add_f64 v[4:5], v[252:253], -v[246:247]
	buffer_store_dword v3, off, s[0:3], 0 offset:388
	buffer_store_dword v2, off, s[0:3], 0 offset:384
	;; [unrolled: 1-line block ×4, first 2 shown]
	s_and_saveexec_b64 s[4:5], vcc
	s_cbranch_execz .LBB118_299
; %bb.298:
	v_accvgpr_read_b32 v0, a142
	buffer_load_dword v2, v0, s[0:3], 0 offen
	buffer_load_dword v3, v0, s[0:3], 0 offen offset:4
	buffer_load_dword v4, v0, s[0:3], 0 offen offset:8
	;; [unrolled: 1-line block ×3, first 2 shown]
	v_accvgpr_read_b32 v0, a165
	buffer_store_dword v1, off, s[0:3], 0 offset:368
	buffer_store_dword v1, off, s[0:3], 0 offset:372
	;; [unrolled: 1-line block ×4, first 2 shown]
	s_waitcnt vmcnt(4)
	ds_write_b128 v0, v[2:5]
.LBB118_299:
	s_or_b64 exec, exec, s[4:5]
	s_waitcnt lgkmcnt(0)
	; wave barrier
	s_waitcnt lgkmcnt(0)
	buffer_load_dword v112, off, s[0:3], 0 offset:384
	buffer_load_dword v113, off, s[0:3], 0 offset:388
	;; [unrolled: 1-line block ×36, first 2 shown]
	ds_read_b128 v[102:105], v1 offset:1248
	ds_read_b128 v[106:109], v1 offset:1264
	;; [unrolled: 1-line block ×9, first 2 shown]
	buffer_load_dword v145, off, s[0:3], 0 offset:556
	buffer_load_dword v144, off, s[0:3], 0 offset:552
	;; [unrolled: 1-line block ×78, first 2 shown]
	v_accvgpr_read_b32 v226, a164
	v_cmp_lt_u32_e32 vcc, 21, v226
	s_waitcnt vmcnt(62) lgkmcnt(8)
	v_mul_f64 v[26:27], v[102:103], v[246:247]
	v_fmac_f64_e32 v[26:27], v[104:105], v[112:113]
	v_add_f64 v[26:27], v[26:27], 0
	v_mul_f64 v[104:105], v[104:105], v[246:247]
	s_waitcnt lgkmcnt(7)
	v_mul_f64 v[28:29], v[106:107], v[248:249]
	v_fmac_f64_e32 v[28:29], v[108:109], v[110:111]
	s_waitcnt lgkmcnt(6)
	v_mul_f64 v[30:31], v[114:115], v[244:245]
	v_add_f64 v[26:27], v[26:27], v[28:29]
	s_waitcnt lgkmcnt(4)
	v_mul_f64 v[34:35], v[18:19], v[120:121]
	v_fma_f64 v[246:247], v[102:103], v[112:113], -v[104:105]
	v_fmac_f64_e32 v[34:35], v[20:21], v[122:123]
	v_mul_f64 v[108:109], v[108:109], v[248:249]
	v_mul_f64 v[32:33], v[22:23], v[124:125]
	v_fma_f64 v[248:249], v[106:107], v[110:111], -v[108:109]
	s_waitcnt lgkmcnt(2)
	v_mul_f64 v[38:39], v[10:11], v[126:127]
	v_mul_f64 v[20:21], v[20:21], v[120:121]
	v_fmac_f64_e32 v[38:39], v[12:13], v[128:129]
	v_fma_f64 v[18:19], v[18:19], v[122:123], -v[20:21]
	v_mul_f64 v[36:37], v[14:15], v[132:133]
	v_mul_f64 v[12:13], v[12:13], v[126:127]
	s_waitcnt lgkmcnt(1)
	v_mul_f64 v[40:41], v[6:7], v[130:131]
	v_fma_f64 v[10:11], v[10:11], v[128:129], -v[12:13]
	v_fmac_f64_e32 v[30:31], v[116:117], v[250:251]
	v_add_f64 v[26:27], v[26:27], v[30:31]
	v_fmac_f64_e32 v[32:33], v[24:25], v[140:141]
	v_add_f64 v[26:27], v[26:27], v[32:33]
	;; [unrolled: 2-line block ×3, first 2 shown]
	v_add_f64 v[26:27], v[26:27], v[36:37]
	v_fmac_f64_e32 v[40:41], v[8:9], v[136:137]
	v_add_f64 v[30:31], v[26:27], v[38:39]
	v_add_f64 v[30:31], v[30:31], v[40:41]
	s_waitcnt lgkmcnt(0)
	v_mul_f64 v[32:33], v[2:3], v[134:135]
	v_fmac_f64_e32 v[32:33], v[4:5], v[142:143]
	ds_read_b128 v[26:29], v1 offset:1392
	v_add_f64 v[34:35], v[30:31], v[32:33]
	ds_read_b128 v[30:33], v1 offset:1408
	buffer_load_dword v231, off, s[0:3], 0 offset:820
	buffer_load_dword v230, off, s[0:3], 0 offset:816
	v_mul_f64 v[116:117], v[116:117], v[244:245]
	s_waitcnt lgkmcnt(1)
	v_mul_f64 v[36:37], v[26:27], v[148:149]
	v_fmac_f64_e32 v[36:37], v[28:29], v[150:151]
	v_add_f64 v[38:39], v[34:35], v[36:37]
	ds_read_b128 v[34:37], v1 offset:1424
	s_waitcnt lgkmcnt(1)
	v_mul_f64 v[40:41], v[30:31], v[144:145]
	v_fmac_f64_e32 v[40:41], v[32:33], v[146:147]
	v_add_f64 v[42:43], v[38:39], v[40:41]
	ds_read_b128 v[38:41], v1 offset:1440
	;; [unrolled: 5-line block ×4, first 2 shown]
	buffer_load_dword v233, off, s[0:3], 0 offset:876
	buffer_load_dword v235, off, s[0:3], 0 offset:860
	;; [unrolled: 1-line block ×12, first 2 shown]
	s_waitcnt vmcnt(62) lgkmcnt(1)
	v_mul_f64 v[52:53], v[42:43], v[176:177]
	v_fmac_f64_e32 v[52:53], v[44:45], v[180:181]
	v_add_f64 v[54:55], v[50:51], v[52:53]
	ds_read_b128 v[50:53], v1 offset:1488
	s_waitcnt lgkmcnt(1)
	v_mul_f64 v[56:57], v[46:47], v[156:157]
	v_fmac_f64_e32 v[56:57], v[48:49], v[158:159]
	v_add_f64 v[58:59], v[54:55], v[56:57]
	ds_read_b128 v[54:57], v1 offset:1504
	s_waitcnt lgkmcnt(1)
	v_mul_f64 v[60:61], v[50:51], v[184:185]
	s_waitcnt vmcnt(60)
	v_fmac_f64_e32 v[60:61], v[52:53], v[188:189]
	v_add_f64 v[62:63], v[58:59], v[60:61]
	ds_read_b128 v[58:61], v1 offset:1520
	s_waitcnt lgkmcnt(1)
	v_mul_f64 v[64:65], v[54:55], v[164:165]
	v_fmac_f64_e32 v[64:65], v[56:57], v[166:167]
	v_add_f64 v[66:67], v[62:63], v[64:65]
	ds_read_b128 v[62:65], v1 offset:1536
	s_waitcnt vmcnt(54) lgkmcnt(1)
	v_mul_f64 v[68:69], v[58:59], v[192:193]
	s_waitcnt vmcnt(52)
	v_fmac_f64_e32 v[68:69], v[60:61], v[196:197]
	v_add_f64 v[70:71], v[66:67], v[68:69]
	ds_read_b128 v[66:69], v1 offset:1552
	s_waitcnt lgkmcnt(1)
	v_mul_f64 v[72:73], v[62:63], v[168:169]
	v_fmac_f64_e32 v[72:73], v[64:65], v[170:171]
	v_add_f64 v[74:75], v[70:71], v[72:73]
	ds_read_b128 v[70:73], v1 offset:1568
	s_waitcnt vmcnt(46) lgkmcnt(1)
	;; [unrolled: 11-line block ×4, first 2 shown]
	v_mul_f64 v[92:93], v[82:83], v[212:213]
	s_waitcnt vmcnt(28)
	v_fmac_f64_e32 v[92:93], v[84:85], v[214:215]
	v_add_f64 v[98:99], v[90:91], v[92:93]
	ds_read_b128 v[90:93], v1 offset:1648
	ds_read_b128 v[94:97], v1 offset:1664
	s_waitcnt lgkmcnt(2)
	v_mul_f64 v[100:101], v[86:87], v[186:187]
	v_fmac_f64_e32 v[100:101], v[88:89], v[190:191]
	v_add_f64 v[98:99], v[98:99], v[100:101]
	s_waitcnt vmcnt(22) lgkmcnt(1)
	v_mul_f64 v[100:101], v[90:91], v[216:217]
	s_waitcnt vmcnt(20)
	v_fmac_f64_e32 v[100:101], v[92:93], v[218:219]
	v_add_f64 v[98:99], v[98:99], v[100:101]
	s_waitcnt lgkmcnt(0)
	v_mul_f64 v[100:101], v[94:95], v[194:195]
	v_fmac_f64_e32 v[100:101], v[96:97], v[198:199]
	v_add_f64 v[118:119], v[98:99], v[100:101]
	ds_read_b128 v[98:101], v1 offset:1680
	ds_read_b128 v[102:105], v1 offset:1696
	;; [unrolled: 1-line block ×3, first 2 shown]
	v_fma_f64 v[250:251], v[114:115], v[250:251], -v[116:117]
	ds_read_b128 v[114:117], v1 offset:1744
	s_waitcnt vmcnt(14) lgkmcnt(3)
	v_mul_f64 v[112:113], v[98:99], v[228:229]
	s_waitcnt lgkmcnt(2)
	v_mul_f64 v[110:111], v[102:103], v[202:203]
	s_waitcnt vmcnt(12)
	v_fmac_f64_e32 v[112:113], v[100:101], v[230:231]
	v_add_f64 v[112:113], v[118:119], v[112:113]
	v_fmac_f64_e32 v[110:111], v[104:105], v[206:207]
	v_add_f64 v[118:119], v[112:113], v[110:111]
	ds_read_b128 v[110:113], v1 offset:1728
	buffer_load_dword v254, off, s[0:3], 0 offset:368
	buffer_load_dword v255, off, s[0:3], 0 offset:372
	;; [unrolled: 1-line block ×4, first 2 shown]
	v_mul_f64 v[24:25], v[24:25], v[124:125]
	v_fma_f64 v[22:23], v[22:23], v[140:141], -v[24:25]
	v_mul_f64 v[16:17], v[16:17], v[132:133]
	s_waitcnt vmcnt(13) lgkmcnt(2)
	v_mul_f64 v[220:221], v[106:107], v[234:235]
	v_fma_f64 v[14:15], v[14:15], v[138:139], -v[16:17]
	s_waitcnt vmcnt(11)
	v_fmac_f64_e32 v[220:221], v[108:109], v[240:241]
	v_add_f64 v[118:119], v[118:119], v[220:221]
	s_waitcnt vmcnt(10) lgkmcnt(0)
	v_mul_f64 v[220:221], v[110:111], v[232:233]
	s_waitcnt vmcnt(8)
	v_fmac_f64_e32 v[220:221], v[112:113], v[238:239]
	v_add_f64 v[118:119], v[118:119], v[220:221]
	s_waitcnt vmcnt(6)
	v_mul_f64 v[220:221], v[114:115], v[236:237]
	v_mul_f64 v[8:9], v[8:9], v[130:131]
	s_waitcnt vmcnt(4)
	v_fmac_f64_e32 v[220:221], v[116:117], v[242:243]
	v_add_f64 v[244:245], v[118:119], v[220:221]
	v_add_f64 v[118:119], v[246:247], 0
	;; [unrolled: 1-line block ×8, first 2 shown]
	v_fma_f64 v[6:7], v[6:7], v[136:137], -v[8:9]
	v_mul_f64 v[4:5], v[4:5], v[134:135]
	v_add_f64 v[6:7], v[10:11], v[6:7]
	v_fma_f64 v[2:3], v[2:3], v[142:143], -v[4:5]
	v_mul_f64 v[4:5], v[28:29], v[148:149]
	v_add_f64 v[2:3], v[6:7], v[2:3]
	v_fma_f64 v[4:5], v[26:27], v[150:151], -v[4:5]
	v_add_f64 v[2:3], v[2:3], v[4:5]
	v_mul_f64 v[4:5], v[32:33], v[144:145]
	v_fma_f64 v[4:5], v[30:31], v[146:147], -v[4:5]
	v_add_f64 v[2:3], v[2:3], v[4:5]
	v_mul_f64 v[4:5], v[36:37], v[160:161]
	;; [unrolled: 3-line block ×22, first 2 shown]
	v_fma_f64 v[4:5], v[114:115], v[242:243], -v[4:5]
	v_add_f64 v[2:3], v[2:3], v[4:5]
	s_waitcnt vmcnt(2)
	v_add_f64 v[2:3], v[254:255], -v[2:3]
	s_waitcnt vmcnt(0)
	v_add_f64 v[4:5], v[252:253], -v[244:245]
	buffer_store_dword v3, off, s[0:3], 0 offset:372
	buffer_store_dword v2, off, s[0:3], 0 offset:368
	;; [unrolled: 1-line block ×4, first 2 shown]
	s_and_saveexec_b64 s[4:5], vcc
	s_cbranch_execz .LBB118_301
; %bb.300:
	v_accvgpr_read_b32 v0, a143
	buffer_load_dword v2, v0, s[0:3], 0 offen
	buffer_load_dword v3, v0, s[0:3], 0 offen offset:4
	buffer_load_dword v4, v0, s[0:3], 0 offen offset:8
	;; [unrolled: 1-line block ×3, first 2 shown]
	v_mov_b32_e32 v0, 0
	v_accvgpr_read_b32 v1, a165
	buffer_store_dword v0, off, s[0:3], 0 offset:352
	buffer_store_dword v0, off, s[0:3], 0 offset:356
	;; [unrolled: 1-line block ×4, first 2 shown]
	s_waitcnt vmcnt(4)
	ds_write_b128 v1, v[2:5]
.LBB118_301:
	s_or_b64 exec, exec, s[4:5]
	s_waitcnt lgkmcnt(0)
	; wave barrier
	s_waitcnt lgkmcnt(0)
	buffer_load_dword v94, off, s[0:3], 0 offset:368
	buffer_load_dword v95, off, s[0:3], 0 offset:372
	;; [unrolled: 1-line block ×52, first 2 shown]
	v_mov_b32_e32 v1, 0
	ds_read_b128 v[102:105], v1 offset:1232
	ds_read_b128 v[114:117], v1 offset:1248
	;; [unrolled: 1-line block ×10, first 2 shown]
	v_cmp_lt_u32_e32 vcc, 20, v226
	s_waitcnt vmcnt(48) lgkmcnt(9)
	v_mul_f64 v[26:27], v[102:103], v[96:97]
	v_fmac_f64_e32 v[26:27], v[104:105], v[94:95]
	v_add_f64 v[26:27], v[26:27], 0
	v_mul_f64 v[96:97], v[104:105], v[96:97]
	s_waitcnt vmcnt(44) lgkmcnt(8)
	v_mul_f64 v[28:29], v[114:115], v[100:101]
	v_fmac_f64_e32 v[28:29], v[116:117], v[98:99]
	s_waitcnt vmcnt(42) lgkmcnt(7)
	v_mul_f64 v[30:31], v[244:245], v[106:107]
	v_add_f64 v[26:27], v[26:27], v[28:29]
	s_waitcnt vmcnt(40) lgkmcnt(5)
	v_mul_f64 v[34:35], v[22:23], v[122:123]
	v_fma_f64 v[220:221], v[102:103], v[94:95], -v[96:97]
	s_waitcnt vmcnt(38)
	v_fmac_f64_e32 v[34:35], v[24:25], v[126:127]
	v_mul_f64 v[100:101], v[116:117], v[100:101]
	s_waitcnt vmcnt(36)
	v_mul_f64 v[32:33], v[250:251], v[110:111]
	v_fma_f64 v[222:223], v[114:115], v[98:99], -v[100:101]
	s_waitcnt vmcnt(34) lgkmcnt(3)
	v_mul_f64 v[38:39], v[14:15], v[120:121]
	v_mul_f64 v[106:107], v[246:247], v[106:107]
	s_waitcnt vmcnt(32)
	v_fmac_f64_e32 v[38:39], v[16:17], v[124:125]
	v_mul_f64 v[110:111], v[252:253], v[110:111]
	s_waitcnt vmcnt(30)
	v_mul_f64 v[36:37], v[18:19], v[132:133]
	v_mul_f64 v[24:25], v[24:25], v[122:123]
	v_fma_f64 v[22:23], v[22:23], v[126:127], -v[24:25]
	s_waitcnt vmcnt(27) lgkmcnt(2)
	v_mul_f64 v[40:41], v[10:11], v[130:131]
	s_waitcnt vmcnt(26) lgkmcnt(1)
	v_mul_f64 v[42:43], v[6:7], v[128:129]
	v_mul_f64 v[16:17], v[16:17], v[120:121]
	s_waitcnt vmcnt(24)
	v_fmac_f64_e32 v[30:31], v[246:247], v[108:109]
	v_add_f64 v[26:27], v[26:27], v[30:31]
	s_waitcnt vmcnt(22)
	v_fmac_f64_e32 v[32:33], v[252:253], v[112:113]
	v_add_f64 v[26:27], v[26:27], v[32:33]
	;; [unrolled: 3-line block ×3, first 2 shown]
	v_add_f64 v[26:27], v[26:27], v[36:37]
	s_waitcnt vmcnt(18)
	v_fmac_f64_e32 v[40:41], v[12:13], v[134:135]
	v_add_f64 v[26:27], v[26:27], v[38:39]
	v_add_f64 v[26:27], v[26:27], v[40:41]
	s_waitcnt vmcnt(16)
	v_fmac_f64_e32 v[42:43], v[8:9], v[140:141]
	v_add_f64 v[34:35], v[26:27], v[42:43]
	ds_read_b128 v[26:29], v1 offset:1392
	ds_read_b128 v[30:33], v1 offset:1408
	buffer_load_dword v157, off, s[0:3], 0 offset:604
	buffer_load_dword v156, off, s[0:3], 0 offset:600
	;; [unrolled: 1-line block ×56, first 2 shown]
	s_waitcnt vmcnt(62) lgkmcnt(2)
	v_mul_f64 v[36:37], v[2:3], v[144:145]
	v_fmac_f64_e32 v[36:37], v[4:5], v[146:147]
	v_add_f64 v[34:35], v[34:35], v[36:37]
	s_waitcnt lgkmcnt(1)
	v_mul_f64 v[36:37], v[26:27], v[138:139]
	v_fmac_f64_e32 v[36:37], v[28:29], v[142:143]
	v_add_f64 v[34:35], v[34:35], v[36:37]
	s_waitcnt lgkmcnt(0)
	v_mul_f64 v[36:37], v[30:31], v[148:149]
	s_waitcnt vmcnt(60)
	v_fmac_f64_e32 v[36:37], v[32:33], v[152:153]
	v_add_f64 v[42:43], v[34:35], v[36:37]
	ds_read_b128 v[34:37], v1 offset:1424
	buffer_load_dword v201, off, s[0:3], 0 offset:828
	buffer_load_dword v200, off, s[0:3], 0 offset:824
	;; [unrolled: 1-line block ×16, first 2 shown]
	ds_read_b128 v[38:41], v1 offset:1440
	buffer_load_dword v231, off, s[0:3], 0 offset:892
	buffer_load_dword v230, off, s[0:3], 0 offset:888
	;; [unrolled: 1-line block ×8, first 2 shown]
	ds_read_b128 v[98:101], v1 offset:1680
	s_waitcnt vmcnt(62) lgkmcnt(2)
	v_mul_f64 v[44:45], v[34:35], v[150:151]
	v_fmac_f64_e32 v[44:45], v[36:37], v[154:155]
	v_add_f64 v[46:47], v[42:43], v[44:45]
	ds_read_b128 v[42:45], v1 offset:1456
	v_fma_f64 v[248:249], v[244:245], v[108:109], -v[106:107]
	ds_read_b128 v[106:109], v1 offset:1712
	v_fma_f64 v[246:247], v[250:251], v[112:113], -v[110:111]
	v_mul_f64 v[20:21], v[20:21], v[132:133]
	v_fma_f64 v[18:19], v[18:19], v[136:137], -v[20:21]
	v_fma_f64 v[14:15], v[14:15], v[124:125], -v[16:17]
	v_mul_f64 v[12:13], v[12:13], v[130:131]
	v_fma_f64 v[10:11], v[10:11], v[134:135], -v[12:13]
	v_mul_f64 v[8:9], v[8:9], v[128:129]
	;; [unrolled: 2-line block ×3, first 2 shown]
	s_waitcnt lgkmcnt(3)
	v_mul_f64 v[48:49], v[38:39], v[172:173]
	v_fma_f64 v[2:3], v[2:3], v[146:147], -v[4:5]
	v_fmac_f64_e32 v[48:49], v[40:41], v[176:177]
	v_add_f64 v[50:51], v[46:47], v[48:49]
	ds_read_b128 v[46:49], v1 offset:1472
	s_waitcnt lgkmcnt(2)
	v_mul_f64 v[52:53], v[42:43], v[156:157]
	v_fmac_f64_e32 v[52:53], v[44:45], v[158:159]
	v_add_f64 v[54:55], v[50:51], v[52:53]
	ds_read_b128 v[50:53], v1 offset:1488
	s_waitcnt lgkmcnt(1)
	v_mul_f64 v[56:57], v[46:47], v[180:181]
	;; [unrolled: 5-line block ×3, first 2 shown]
	v_fmac_f64_e32 v[60:61], v[52:53], v[162:163]
	v_add_f64 v[62:63], v[58:59], v[60:61]
	ds_read_b128 v[58:61], v1 offset:1520
	s_waitcnt vmcnt(58) lgkmcnt(1)
	v_mul_f64 v[64:65], v[54:55], v[188:189]
	s_waitcnt vmcnt(56)
	v_fmac_f64_e32 v[64:65], v[56:57], v[192:193]
	v_add_f64 v[66:67], v[62:63], v[64:65]
	ds_read_b128 v[62:65], v1 offset:1536
	s_waitcnt lgkmcnt(1)
	v_mul_f64 v[68:69], v[58:59], v[164:165]
	v_fmac_f64_e32 v[68:69], v[60:61], v[166:167]
	v_add_f64 v[70:71], v[66:67], v[68:69]
	ds_read_b128 v[66:69], v1 offset:1552
	s_waitcnt vmcnt(50) lgkmcnt(1)
	v_mul_f64 v[72:73], v[62:63], v[196:197]
	s_waitcnt vmcnt(48)
	v_fmac_f64_e32 v[72:73], v[64:65], v[198:199]
	v_add_f64 v[74:75], v[70:71], v[72:73]
	ds_read_b128 v[70:73], v1 offset:1568
	s_waitcnt lgkmcnt(1)
	v_mul_f64 v[76:77], v[66:67], v[168:169]
	v_fmac_f64_e32 v[76:77], v[68:69], v[170:171]
	v_add_f64 v[78:79], v[74:75], v[76:77]
	ds_read_b128 v[74:77], v1 offset:1584
	s_waitcnt vmcnt(42) lgkmcnt(1)
	v_mul_f64 v[80:81], v[70:71], v[202:203]
	s_waitcnt vmcnt(40)
	v_fmac_f64_e32 v[80:81], v[72:73], v[206:207]
	v_add_f64 v[82:83], v[78:79], v[80:81]
	ds_read_b128 v[78:81], v1 offset:1600
	s_waitcnt lgkmcnt(1)
	v_mul_f64 v[84:85], v[74:75], v[174:175]
	v_fmac_f64_e32 v[84:85], v[76:77], v[178:179]
	v_add_f64 v[90:91], v[82:83], v[84:85]
	ds_read_b128 v[82:85], v1 offset:1616
	ds_read_b128 v[86:89], v1 offset:1632
	s_waitcnt vmcnt(34) lgkmcnt(2)
	v_mul_f64 v[92:93], v[78:79], v[210:211]
	s_waitcnt vmcnt(32)
	v_fmac_f64_e32 v[92:93], v[80:81], v[216:217]
	v_add_f64 v[90:91], v[90:91], v[92:93]
	s_waitcnt lgkmcnt(1)
	v_mul_f64 v[92:93], v[82:83], v[182:183]
	v_fmac_f64_e32 v[92:93], v[84:85], v[186:187]
	v_add_f64 v[90:91], v[90:91], v[92:93]
	s_waitcnt vmcnt(27) lgkmcnt(0)
	v_mul_f64 v[92:93], v[86:87], v[214:215]
	s_waitcnt vmcnt(25)
	v_fmac_f64_e32 v[92:93], v[88:89], v[218:219]
	v_add_f64 v[118:119], v[90:91], v[92:93]
	ds_read_b128 v[90:93], v1 offset:1648
	ds_read_b128 v[94:97], v1 offset:1664
	ds_read_b128 v[110:113], v1 offset:1728
	v_mul_f64 v[4:5], v[28:29], v[138:139]
	v_fma_f64 v[4:5], v[26:27], v[142:143], -v[4:5]
	s_waitcnt lgkmcnt(2)
	v_mul_f64 v[102:103], v[90:91], v[190:191]
	s_waitcnt vmcnt(24)
	v_fmac_f64_e32 v[102:103], v[92:93], v[194:195]
	s_waitcnt vmcnt(18) lgkmcnt(1)
	v_mul_f64 v[104:105], v[94:95], v[228:229]
	v_add_f64 v[102:103], v[118:119], v[102:103]
	s_waitcnt vmcnt(16)
	v_fmac_f64_e32 v[104:105], v[96:97], v[232:233]
	v_add_f64 v[102:103], v[102:103], v[104:105]
	v_mul_f64 v[104:105], v[98:99], v[200:201]
	v_fmac_f64_e32 v[104:105], v[100:101], v[204:205]
	v_add_f64 v[114:115], v[102:103], v[104:105]
	ds_read_b128 v[102:105], v1 offset:1696
	s_waitcnt vmcnt(10) lgkmcnt(0)
	v_mul_f64 v[116:117], v[102:103], v[236:237]
	s_waitcnt vmcnt(8)
	v_fmac_f64_e32 v[116:117], v[104:105], v[238:239]
	v_add_f64 v[114:115], v[114:115], v[116:117]
	v_mul_f64 v[116:117], v[106:107], v[208:209]
	v_fmac_f64_e32 v[116:117], v[108:109], v[212:213]
	v_add_f64 v[114:115], v[114:115], v[116:117]
	s_waitcnt vmcnt(2)
	v_mul_f64 v[116:117], v[110:111], v[240:241]
	s_waitcnt vmcnt(0)
	v_fmac_f64_e32 v[116:117], v[112:113], v[242:243]
	v_add_f64 v[118:119], v[114:115], v[116:117]
	ds_read_b128 v[114:117], v1 offset:1744
	buffer_load_dword v252, off, s[0:3], 0 offset:352
	buffer_load_dword v253, off, s[0:3], 0 offset:356
	s_waitcnt lgkmcnt(0)
	v_mul_f64 v[224:225], v[114:115], v[230:231]
	v_fmac_f64_e32 v[224:225], v[116:117], v[234:235]
	v_add_f64 v[244:245], v[118:119], v[224:225]
	v_add_f64 v[118:119], v[220:221], 0
	;; [unrolled: 1-line block ×4, first 2 shown]
	buffer_load_dword v248, off, s[0:3], 0 offset:360
	buffer_load_dword v249, off, s[0:3], 0 offset:364
	v_add_f64 v[118:119], v[118:119], v[246:247]
	v_add_f64 v[22:23], v[118:119], v[22:23]
	;; [unrolled: 1-line block ×8, first 2 shown]
	v_mul_f64 v[4:5], v[32:33], v[148:149]
	v_fma_f64 v[4:5], v[30:31], v[152:153], -v[4:5]
	v_add_f64 v[2:3], v[2:3], v[4:5]
	v_mul_f64 v[4:5], v[36:37], v[150:151]
	v_fma_f64 v[4:5], v[34:35], v[154:155], -v[4:5]
	v_add_f64 v[2:3], v[2:3], v[4:5]
	;; [unrolled: 3-line block ×22, first 2 shown]
	s_waitcnt vmcnt(2)
	v_add_f64 v[2:3], v[252:253], -v[2:3]
	s_waitcnt vmcnt(0)
	v_add_f64 v[4:5], v[248:249], -v[244:245]
	buffer_store_dword v3, off, s[0:3], 0 offset:356
	buffer_store_dword v2, off, s[0:3], 0 offset:352
	;; [unrolled: 1-line block ×4, first 2 shown]
	s_and_saveexec_b64 s[4:5], vcc
	s_cbranch_execz .LBB118_303
; %bb.302:
	v_accvgpr_read_b32 v0, a144
	buffer_load_dword v2, v0, s[0:3], 0 offen
	buffer_load_dword v3, v0, s[0:3], 0 offen offset:4
	buffer_load_dword v4, v0, s[0:3], 0 offen offset:8
	;; [unrolled: 1-line block ×3, first 2 shown]
	v_accvgpr_read_b32 v0, a165
	buffer_store_dword v1, off, s[0:3], 0 offset:336
	buffer_store_dword v1, off, s[0:3], 0 offset:340
	;; [unrolled: 1-line block ×4, first 2 shown]
	s_waitcnt vmcnt(4)
	ds_write_b128 v0, v[2:5]
.LBB118_303:
	s_or_b64 exec, exec, s[4:5]
	s_waitcnt lgkmcnt(0)
	; wave barrier
	s_waitcnt lgkmcnt(0)
	buffer_load_dword v86, off, s[0:3], 0 offset:352
	buffer_load_dword v87, off, s[0:3], 0 offset:356
	;; [unrolled: 1-line block ×42, first 2 shown]
	ds_read_b128 v[94:97], v1 offset:1216
	ds_read_b128 v[106:109], v1 offset:1232
	;; [unrolled: 1-line block ×10, first 2 shown]
	buffer_load_dword v147, off, s[0:3], 0 offset:500
	buffer_load_dword v146, off, s[0:3], 0 offset:496
	ds_read_b128 v[6:9], v1 offset:1376
	buffer_load_dword v143, off, s[0:3], 0 offset:556
	buffer_load_dword v142, off, s[0:3], 0 offset:552
	;; [unrolled: 1-line block ×80, first 2 shown]
	s_waitcnt vmcnt(62) lgkmcnt(10)
	v_mul_f64 v[26:27], v[94:95], v[88:89]
	v_fmac_f64_e32 v[26:27], v[96:97], v[86:87]
	v_add_f64 v[26:27], v[26:27], 0
	v_mul_f64 v[88:89], v[96:97], v[88:89]
	s_waitcnt lgkmcnt(9)
	v_mul_f64 v[28:29], v[106:107], v[92:93]
	v_fmac_f64_e32 v[28:29], v[108:109], v[90:91]
	s_waitcnt lgkmcnt(8)
	v_mul_f64 v[30:31], v[114:115], v[98:99]
	v_add_f64 v[26:27], v[26:27], v[28:29]
	s_waitcnt lgkmcnt(6)
	v_mul_f64 v[34:35], v[248:249], v[110:111]
	v_fma_f64 v[220:221], v[94:95], v[86:87], -v[88:89]
	v_fmac_f64_e32 v[34:35], v[250:251], v[112:113]
	v_mul_f64 v[92:93], v[108:109], v[92:93]
	v_mul_f64 v[32:33], v[244:245], v[102:103]
	v_mul_f64 v[98:99], v[116:117], v[98:99]
	s_waitcnt lgkmcnt(4)
	v_mul_f64 v[38:39], v[18:19], v[120:121]
	v_mul_f64 v[102:103], v[246:247], v[102:103]
	v_fmac_f64_e32 v[38:39], v[20:21], v[122:123]
	v_mul_f64 v[110:111], v[250:251], v[110:111]
	v_mul_f64 v[36:37], v[22:23], v[124:125]
	v_fma_f64 v[248:249], v[248:249], v[112:113], -v[110:111]
	s_waitcnt lgkmcnt(2)
	v_mul_f64 v[42:43], v[10:11], v[126:127]
	v_add_f64 v[220:221], v[220:221], 0
	v_mul_f64 v[20:21], v[20:21], v[120:121]
	v_mul_f64 v[40:41], v[14:15], v[132:133]
	v_fma_f64 v[18:19], v[18:19], v[122:123], -v[20:21]
	s_waitcnt lgkmcnt(1)
	v_mul_f64 v[44:45], v[2:3], v[130:131]
	v_fmac_f64_e32 v[30:31], v[116:117], v[100:101]
	v_add_f64 v[26:27], v[26:27], v[30:31]
	v_fmac_f64_e32 v[32:33], v[246:247], v[104:105]
	v_add_f64 v[26:27], v[26:27], v[32:33]
	;; [unrolled: 2-line block ×3, first 2 shown]
	v_add_f64 v[26:27], v[26:27], v[36:37]
	v_fmac_f64_e32 v[40:41], v[16:17], v[134:135]
	v_add_f64 v[26:27], v[26:27], v[38:39]
	v_fmac_f64_e32 v[42:43], v[12:13], v[128:129]
	v_add_f64 v[26:27], v[26:27], v[40:41]
	v_add_f64 v[26:27], v[26:27], v[42:43]
	s_waitcnt lgkmcnt(0)
	v_mul_f64 v[32:33], v[6:7], v[138:139]
	v_fmac_f64_e32 v[44:45], v[4:5], v[146:147]
	v_add_f64 v[30:31], v[26:27], v[44:45]
	ds_read_b128 v[26:29], v1 offset:1392
	v_fmac_f64_e32 v[32:33], v[8:9], v[140:141]
	v_add_f64 v[34:35], v[30:31], v[32:33]
	ds_read_b128 v[30:33], v1 offset:1408
	v_fma_f64 v[222:223], v[114:115], v[100:101], -v[98:99]
	s_waitcnt lgkmcnt(1)
	v_mul_f64 v[36:37], v[26:27], v[148:149]
	v_fmac_f64_e32 v[36:37], v[28:29], v[164:165]
	v_add_f64 v[38:39], v[34:35], v[36:37]
	ds_read_b128 v[34:37], v1 offset:1424
	s_waitcnt lgkmcnt(1)
	v_mul_f64 v[40:41], v[30:31], v[142:143]
	v_fmac_f64_e32 v[40:41], v[32:33], v[144:145]
	v_add_f64 v[42:43], v[38:39], v[40:41]
	ds_read_b128 v[38:41], v1 offset:1440
	;; [unrolled: 5-line block ×4, first 2 shown]
	s_waitcnt vmcnt(58) lgkmcnt(1)
	v_mul_f64 v[52:53], v[42:43], v[176:177]
	s_waitcnt vmcnt(56)
	v_fmac_f64_e32 v[52:53], v[44:45], v[180:181]
	v_add_f64 v[54:55], v[50:51], v[52:53]
	ds_read_b128 v[50:53], v1 offset:1488
	buffer_load_dword v232, off, s[0:3], 0 offset:872
	buffer_load_dword v237, off, s[0:3], 0 offset:860
	;; [unrolled: 1-line block ×8, first 2 shown]
	s_waitcnt lgkmcnt(1)
	v_mul_f64 v[56:57], v[46:47], v[154:155]
	v_fmac_f64_e32 v[56:57], v[48:49], v[156:157]
	v_add_f64 v[58:59], v[54:55], v[56:57]
	ds_read_b128 v[54:57], v1 offset:1504
	s_waitcnt vmcnt(58) lgkmcnt(1)
	v_mul_f64 v[60:61], v[50:51], v[184:185]
	s_waitcnt vmcnt(56)
	v_fmac_f64_e32 v[60:61], v[52:53], v[188:189]
	buffer_load_dword v241, off, s[0:3], 0 offset:892
	buffer_load_dword v240, off, s[0:3], 0 offset:888
	;; [unrolled: 1-line block ×4, first 2 shown]
	v_add_f64 v[62:63], v[58:59], v[60:61]
	ds_read_b128 v[58:61], v1 offset:1520
	s_waitcnt lgkmcnt(1)
	v_mul_f64 v[64:65], v[54:55], v[158:159]
	v_fmac_f64_e32 v[64:65], v[56:57], v[160:161]
	v_add_f64 v[66:67], v[62:63], v[64:65]
	ds_read_b128 v[62:65], v1 offset:1536
	s_waitcnt vmcnt(54) lgkmcnt(1)
	v_mul_f64 v[68:69], v[58:59], v[192:193]
	s_waitcnt vmcnt(52)
	v_fmac_f64_e32 v[68:69], v[60:61], v[196:197]
	v_add_f64 v[70:71], v[66:67], v[68:69]
	ds_read_b128 v[66:69], v1 offset:1552
	s_waitcnt lgkmcnt(1)
	v_mul_f64 v[72:73], v[62:63], v[162:163]
	v_fmac_f64_e32 v[72:73], v[64:65], v[166:167]
	v_add_f64 v[74:75], v[70:71], v[72:73]
	ds_read_b128 v[70:73], v1 offset:1568
	s_waitcnt vmcnt(46) lgkmcnt(1)
	v_mul_f64 v[76:77], v[66:67], v[200:201]
	s_waitcnt vmcnt(44)
	v_fmac_f64_e32 v[76:77], v[68:69], v[204:205]
	v_add_f64 v[82:83], v[74:75], v[76:77]
	ds_read_b128 v[74:77], v1 offset:1584
	ds_read_b128 v[78:81], v1 offset:1600
	s_waitcnt lgkmcnt(2)
	v_mul_f64 v[84:85], v[70:71], v[170:171]
	v_fmac_f64_e32 v[84:85], v[72:73], v[174:175]
	v_add_f64 v[82:83], v[82:83], v[84:85]
	s_waitcnt vmcnt(38) lgkmcnt(1)
	v_mul_f64 v[84:85], v[74:75], v[208:209]
	s_waitcnt vmcnt(36)
	v_fmac_f64_e32 v[84:85], v[76:77], v[210:211]
	v_add_f64 v[82:83], v[82:83], v[84:85]
	s_waitcnt lgkmcnt(0)
	v_mul_f64 v[84:85], v[78:79], v[178:179]
	v_fmac_f64_e32 v[84:85], v[80:81], v[182:183]
	v_add_f64 v[118:119], v[82:83], v[84:85]
	ds_read_b128 v[82:85], v1 offset:1616
	ds_read_b128 v[86:89], v1 offset:1632
	ds_read_b128 v[98:101], v1 offset:1680
	v_fma_f64 v[246:247], v[244:245], v[104:105], -v[102:103]
	ds_read_b128 v[102:105], v1 offset:1712
	ds_read_b128 v[110:113], v1 offset:1728
	s_waitcnt vmcnt(30) lgkmcnt(4)
	v_mul_f64 v[94:95], v[82:83], v[212:213]
	s_waitcnt vmcnt(28)
	v_fmac_f64_e32 v[94:95], v[84:85], v[214:215]
	v_add_f64 v[94:95], v[118:119], v[94:95]
	v_fma_f64 v[118:119], v[106:107], v[90:91], -v[92:93]
	ds_read_b128 v[90:93], v1 offset:1648
	s_waitcnt lgkmcnt(4)
	v_mul_f64 v[96:97], v[86:87], v[186:187]
	v_fmac_f64_e32 v[96:97], v[88:89], v[190:191]
	v_add_f64 v[106:107], v[94:95], v[96:97]
	ds_read_b128 v[94:97], v1 offset:1664
	s_waitcnt vmcnt(22) lgkmcnt(1)
	v_mul_f64 v[108:109], v[90:91], v[216:217]
	s_waitcnt vmcnt(20)
	v_fmac_f64_e32 v[108:109], v[92:93], v[218:219]
	v_add_f64 v[106:107], v[106:107], v[108:109]
	v_add_f64 v[118:119], v[220:221], v[118:119]
	s_waitcnt lgkmcnt(0)
	v_mul_f64 v[108:109], v[94:95], v[194:195]
	v_fmac_f64_e32 v[108:109], v[96:97], v[198:199]
	v_add_f64 v[114:115], v[106:107], v[108:109]
	ds_read_b128 v[106:109], v1 offset:1696
	s_waitcnt vmcnt(14)
	v_mul_f64 v[116:117], v[98:99], v[228:229]
	s_waitcnt vmcnt(12)
	v_fmac_f64_e32 v[116:117], v[100:101], v[230:231]
	v_add_f64 v[114:115], v[114:115], v[116:117]
	v_add_f64 v[250:251], v[118:119], v[222:223]
	s_waitcnt lgkmcnt(0)
	v_mul_f64 v[116:117], v[106:107], v[202:203]
	v_fmac_f64_e32 v[116:117], v[108:109], v[206:207]
	v_add_f64 v[114:115], v[114:115], v[116:117]
	v_add_f64 v[118:119], v[250:251], v[246:247]
	v_mul_f64 v[24:25], v[24:25], v[124:125]
	v_add_f64 v[118:119], v[118:119], v[248:249]
	v_fma_f64 v[22:23], v[22:23], v[136:137], -v[24:25]
	v_add_f64 v[22:23], v[118:119], v[22:23]
	v_mul_f64 v[16:17], v[16:17], v[132:133]
	v_add_f64 v[18:19], v[22:23], v[18:19]
	v_fma_f64 v[14:15], v[14:15], v[134:135], -v[16:17]
	v_mul_f64 v[12:13], v[12:13], v[126:127]
	s_waitcnt vmcnt(9)
	v_mul_f64 v[116:117], v[102:103], v[236:237]
	v_add_f64 v[14:15], v[18:19], v[14:15]
	s_waitcnt vmcnt(7)
	v_fmac_f64_e32 v[116:117], v[104:105], v[238:239]
	v_add_f64 v[114:115], v[114:115], v[116:117]
	s_waitcnt vmcnt(5)
	v_mul_f64 v[116:117], v[110:111], v[232:233]
	s_waitcnt vmcnt(4)
	v_fmac_f64_e32 v[116:117], v[112:113], v[234:235]
	v_add_f64 v[224:225], v[114:115], v[116:117]
	ds_read_b128 v[114:117], v1 offset:1744
	buffer_load_dword v254, off, s[0:3], 0 offset:336
	buffer_load_dword v255, off, s[0:3], 0 offset:340
	;; [unrolled: 1-line block ×4, first 2 shown]
	v_fma_f64 v[10:11], v[10:11], v[128:129], -v[12:13]
	v_mul_f64 v[4:5], v[4:5], v[130:131]
	v_add_f64 v[10:11], v[14:15], v[10:11]
	v_fma_f64 v[2:3], v[2:3], v[146:147], -v[4:5]
	v_mul_f64 v[4:5], v[8:9], v[138:139]
	v_add_f64 v[2:3], v[10:11], v[2:3]
	v_fma_f64 v[4:5], v[6:7], v[140:141], -v[4:5]
	v_add_f64 v[2:3], v[2:3], v[4:5]
	v_mul_f64 v[4:5], v[28:29], v[148:149]
	v_fma_f64 v[4:5], v[26:27], v[164:165], -v[4:5]
	v_add_f64 v[2:3], v[2:3], v[4:5]
	v_mul_f64 v[4:5], v[32:33], v[142:143]
	;; [unrolled: 3-line block ×22, first 2 shown]
	v_fma_f64 v[4:5], v[110:111], v[234:235], -v[4:5]
	v_add_f64 v[2:3], v[2:3], v[4:5]
	s_waitcnt vmcnt(6) lgkmcnt(0)
	v_mul_f64 v[4:5], v[116:117], v[240:241]
	s_waitcnt vmcnt(4)
	v_fma_f64 v[4:5], v[114:115], v[242:243], -v[4:5]
	v_mul_f64 v[226:227], v[114:115], v[240:241]
	v_add_f64 v[2:3], v[2:3], v[4:5]
	v_fmac_f64_e32 v[226:227], v[116:117], v[242:243]
	s_waitcnt vmcnt(2)
	v_add_f64 v[2:3], v[254:255], -v[2:3]
	v_accvgpr_read_b32 v254, a164
	v_add_f64 v[244:245], v[224:225], v[226:227]
	v_cmp_lt_u32_e32 vcc, 19, v254
	s_waitcnt vmcnt(0)
	v_add_f64 v[4:5], v[252:253], -v[244:245]
	buffer_store_dword v3, off, s[0:3], 0 offset:340
	buffer_store_dword v2, off, s[0:3], 0 offset:336
	;; [unrolled: 1-line block ×4, first 2 shown]
	s_and_saveexec_b64 s[4:5], vcc
	s_cbranch_execz .LBB118_305
; %bb.304:
	v_accvgpr_read_b32 v0, a145
	buffer_load_dword v2, v0, s[0:3], 0 offen
	buffer_load_dword v3, v0, s[0:3], 0 offen offset:4
	buffer_load_dword v4, v0, s[0:3], 0 offen offset:8
	;; [unrolled: 1-line block ×3, first 2 shown]
	v_mov_b32_e32 v0, 0
	v_accvgpr_read_b32 v1, a165
	buffer_store_dword v0, off, s[0:3], 0 offset:320
	buffer_store_dword v0, off, s[0:3], 0 offset:324
	;; [unrolled: 1-line block ×4, first 2 shown]
	s_waitcnt vmcnt(4)
	ds_write_b128 v1, v[2:5]
.LBB118_305:
	s_or_b64 exec, exec, s[4:5]
	s_waitcnt lgkmcnt(0)
	; wave barrier
	s_waitcnt lgkmcnt(0)
	buffer_load_dword v82, off, s[0:3], 0 offset:336
	buffer_load_dword v83, off, s[0:3], 0 offset:340
	;; [unrolled: 1-line block ×54, first 2 shown]
	v_mov_b32_e32 v1, 0
	ds_read_b128 v[90:93], v1 offset:1200
	ds_read_b128 v[106:109], v1 offset:1216
	;; [unrolled: 1-line block ×9, first 2 shown]
	buffer_load_dword v151, off, s[0:3], 0 offset:564
	buffer_load_dword v150, off, s[0:3], 0 offset:560
	;; [unrolled: 1-line block ×62, first 2 shown]
	v_cmp_lt_u32_e32 vcc, 18, v254
	s_waitcnt vmcnt(62) lgkmcnt(8)
	v_mul_f64 v[14:15], v[90:91], v[84:85]
	v_fmac_f64_e32 v[14:15], v[92:93], v[82:83]
	v_add_f64 v[14:15], v[14:15], 0
	v_mul_f64 v[84:85], v[92:93], v[84:85]
	s_waitcnt lgkmcnt(7)
	v_mul_f64 v[16:17], v[106:107], v[88:89]
	v_fmac_f64_e32 v[16:17], v[108:109], v[86:87]
	s_waitcnt lgkmcnt(6)
	v_mul_f64 v[18:19], v[114:115], v[94:95]
	v_add_f64 v[14:15], v[14:15], v[16:17]
	s_waitcnt lgkmcnt(4)
	v_mul_f64 v[22:23], v[246:247], v[102:103]
	v_fma_f64 v[220:221], v[90:91], v[82:83], -v[84:85]
	v_fmac_f64_e32 v[22:23], v[248:249], v[104:105]
	v_mul_f64 v[88:89], v[108:109], v[88:89]
	v_mul_f64 v[20:21], v[242:243], v[98:99]
	v_fma_f64 v[222:223], v[106:107], v[86:87], -v[88:89]
	s_waitcnt lgkmcnt(2)
	v_mul_f64 v[26:27], v[10:11], v[120:121]
	v_mul_f64 v[94:95], v[116:117], v[94:95]
	v_fmac_f64_e32 v[26:27], v[12:13], v[122:123]
	v_mul_f64 v[98:99], v[244:245], v[98:99]
	v_mul_f64 v[24:25], v[250:251], v[110:111]
	;; [unrolled: 1-line block ×3, first 2 shown]
	s_waitcnt lgkmcnt(1)
	v_mul_f64 v[28:29], v[6:7], v[124:125]
	v_mul_f64 v[110:111], v[252:253], v[110:111]
	v_fmac_f64_e32 v[18:19], v[116:117], v[96:97]
	v_add_f64 v[14:15], v[14:15], v[18:19]
	v_fmac_f64_e32 v[20:21], v[244:245], v[100:101]
	v_add_f64 v[14:15], v[14:15], v[20:21]
	;; [unrolled: 2-line block ×3, first 2 shown]
	v_add_f64 v[14:15], v[14:15], v[24:25]
	v_fmac_f64_e32 v[28:29], v[8:9], v[128:129]
	v_add_f64 v[14:15], v[14:15], v[26:27]
	v_add_f64 v[18:19], v[14:15], v[28:29]
	ds_read_b128 v[14:17], v1 offset:1344
	s_waitcnt lgkmcnt(1)
	v_mul_f64 v[20:21], v[2:3], v[126:127]
	v_fmac_f64_e32 v[20:21], v[4:5], v[130:131]
	v_add_f64 v[22:23], v[18:19], v[20:21]
	ds_read_b128 v[18:21], v1 offset:1360
	s_waitcnt lgkmcnt(1)
	v_mul_f64 v[24:25], v[14:15], v[136:137]
	v_fmac_f64_e32 v[24:25], v[16:17], v[138:139]
	;; [unrolled: 5-line block ×5, first 2 shown]
	v_add_f64 v[38:39], v[34:35], v[36:37]
	ds_read_b128 v[34:37], v1 offset:1424
	s_waitcnt vmcnt(58) lgkmcnt(1)
	v_mul_f64 v[40:41], v[30:31], v[164:165]
	s_waitcnt vmcnt(56)
	v_fmac_f64_e32 v[40:41], v[32:33], v[168:169]
	v_add_f64 v[42:43], v[38:39], v[40:41]
	ds_read_b128 v[38:41], v1 offset:1440
	s_waitcnt lgkmcnt(1)
	v_mul_f64 v[44:45], v[34:35], v[144:145]
	v_fmac_f64_e32 v[44:45], v[36:37], v[150:151]
	v_add_f64 v[46:47], v[42:43], v[44:45]
	ds_read_b128 v[42:45], v1 offset:1456
	s_waitcnt vmcnt(50) lgkmcnt(1)
	v_mul_f64 v[48:49], v[38:39], v[172:173]
	s_waitcnt vmcnt(48)
	v_fmac_f64_e32 v[48:49], v[40:41], v[176:177]
	v_add_f64 v[50:51], v[46:47], v[48:49]
	ds_read_b128 v[46:49], v1 offset:1472
	buffer_load_dword v213, off, s[0:3], 0 offset:812
	buffer_load_dword v212, off, s[0:3], 0 offset:808
	;; [unrolled: 1-line block ×8, first 2 shown]
	s_waitcnt lgkmcnt(1)
	v_mul_f64 v[52:53], v[42:43], v[152:153]
	v_fmac_f64_e32 v[52:53], v[44:45], v[154:155]
	v_add_f64 v[54:55], v[50:51], v[52:53]
	ds_read_b128 v[50:53], v1 offset:1488
	s_waitcnt vmcnt(50) lgkmcnt(1)
	v_mul_f64 v[56:57], v[46:47], v[180:181]
	s_waitcnt vmcnt(48)
	v_fmac_f64_e32 v[56:57], v[48:49], v[184:185]
	buffer_load_dword v217, off, s[0:3], 0 offset:860
	buffer_load_dword v231, off, s[0:3], 0 offset:844
	;; [unrolled: 1-line block ×12, first 2 shown]
	v_add_f64 v[58:59], v[54:55], v[56:57]
	ds_read_b128 v[54:57], v1 offset:1504
	s_waitcnt lgkmcnt(1)
	v_mul_f64 v[60:61], v[50:51], v[156:157]
	v_fmac_f64_e32 v[60:61], v[52:53], v[158:159]
	v_add_f64 v[62:63], v[58:59], v[60:61]
	ds_read_b128 v[58:61], v1 offset:1520
	s_waitcnt vmcnt(54) lgkmcnt(1)
	v_mul_f64 v[64:65], v[54:55], v[188:189]
	s_waitcnt vmcnt(52)
	v_fmac_f64_e32 v[64:65], v[56:57], v[192:193]
	v_add_f64 v[66:67], v[62:63], v[64:65]
	ds_read_b128 v[62:65], v1 offset:1536
	s_waitcnt lgkmcnt(1)
	v_mul_f64 v[68:69], v[58:59], v[160:161]
	v_fmac_f64_e32 v[68:69], v[60:61], v[162:163]
	v_add_f64 v[70:71], v[66:67], v[68:69]
	ds_read_b128 v[66:69], v1 offset:1552
	s_waitcnt vmcnt(46) lgkmcnt(1)
	v_mul_f64 v[72:73], v[62:63], v[196:197]
	s_waitcnt vmcnt(44)
	v_fmac_f64_e32 v[72:73], v[64:65], v[198:199]
	v_add_f64 v[78:79], v[70:71], v[72:73]
	ds_read_b128 v[70:73], v1 offset:1568
	ds_read_b128 v[74:77], v1 offset:1584
	s_waitcnt lgkmcnt(2)
	v_mul_f64 v[80:81], v[66:67], v[166:167]
	v_fmac_f64_e32 v[80:81], v[68:69], v[170:171]
	v_add_f64 v[78:79], v[78:79], v[80:81]
	s_waitcnt vmcnt(38) lgkmcnt(1)
	v_mul_f64 v[80:81], v[70:71], v[200:201]
	s_waitcnt vmcnt(36)
	v_fmac_f64_e32 v[80:81], v[72:73], v[202:203]
	v_add_f64 v[78:79], v[78:79], v[80:81]
	s_waitcnt lgkmcnt(0)
	v_mul_f64 v[80:81], v[74:75], v[174:175]
	v_fmac_f64_e32 v[80:81], v[76:77], v[178:179]
	v_add_f64 v[118:119], v[78:79], v[80:81]
	ds_read_b128 v[78:81], v1 offset:1600
	ds_read_b128 v[82:85], v1 offset:1616
	;; [unrolled: 1-line block ×3, first 2 shown]
	v_fma_f64 v[224:225], v[242:243], v[100:101], -v[98:99]
	ds_read_b128 v[98:101], v1 offset:1680
	s_waitcnt vmcnt(30) lgkmcnt(3)
	v_mul_f64 v[90:91], v[78:79], v[204:205]
	s_waitcnt vmcnt(28)
	v_fmac_f64_e32 v[90:91], v[80:81], v[206:207]
	s_waitcnt lgkmcnt(2)
	v_mul_f64 v[92:93], v[82:83], v[182:183]
	v_add_f64 v[90:91], v[118:119], v[90:91]
	v_fmac_f64_e32 v[92:93], v[84:85], v[186:187]
	v_add_f64 v[90:91], v[90:91], v[92:93]
	v_fma_f64 v[118:119], v[114:115], v[96:97], -v[94:95]
	ds_read_b128 v[94:97], v1 offset:1664
	s_waitcnt vmcnt(22) lgkmcnt(2)
	v_mul_f64 v[92:93], v[86:87], v[208:209]
	s_waitcnt vmcnt(20)
	v_fmac_f64_e32 v[92:93], v[88:89], v[210:211]
	v_add_f64 v[106:107], v[90:91], v[92:93]
	ds_read_b128 v[90:93], v1 offset:1648
	buffer_load_dword v240, off, s[0:3], 0 offset:888
	v_fma_f64 v[226:227], v[246:247], v[104:105], -v[102:103]
	ds_read_b128 v[102:105], v1 offset:1696
	v_fma_f64 v[250:251], v[250:251], v[112:113], -v[110:111]
	s_waitcnt lgkmcnt(1)
	v_mul_f64 v[108:109], v[90:91], v[190:191]
	v_fmac_f64_e32 v[108:109], v[92:93], v[194:195]
	v_add_f64 v[106:107], v[106:107], v[108:109]
	ds_read_b128 v[110:113], v1 offset:1728
	v_add_f64 v[220:221], v[220:221], 0
	v_add_f64 v[220:221], v[220:221], v[222:223]
	;; [unrolled: 1-line block ×5, first 2 shown]
	v_mul_f64 v[12:13], v[12:13], v[120:121]
	v_add_f64 v[118:119], v[252:253], v[250:251]
	v_fma_f64 v[10:11], v[10:11], v[122:123], -v[12:13]
	v_mul_f64 v[8:9], v[8:9], v[124:125]
	v_add_f64 v[10:11], v[118:119], v[10:11]
	v_fma_f64 v[6:7], v[6:7], v[128:129], -v[8:9]
	;; [unrolled: 3-line block ×3, first 2 shown]
	v_mul_f64 v[4:5], v[16:17], v[136:137]
	v_add_f64 v[2:3], v[6:7], v[2:3]
	s_waitcnt vmcnt(19)
	v_mul_f64 v[108:109], v[94:95], v[212:213]
	v_fma_f64 v[4:5], v[14:15], v[138:139], -v[4:5]
	s_waitcnt vmcnt(17)
	v_fmac_f64_e32 v[108:109], v[96:97], v[214:215]
	v_add_f64 v[106:107], v[106:107], v[108:109]
	s_waitcnt vmcnt(15)
	v_mul_f64 v[108:109], v[98:99], v[218:219]
	s_waitcnt vmcnt(13)
	v_fmac_f64_e32 v[108:109], v[100:101], v[228:229]
	v_add_f64 v[114:115], v[106:107], v[108:109]
	ds_read_b128 v[106:109], v1 offset:1712
	buffer_load_dword v244, off, s[0:3], 0 offset:880
	buffer_load_dword v241, off, s[0:3], 0 offset:892
	buffer_load_dword v245, off, s[0:3], 0 offset:884
	s_waitcnt vmcnt(13) lgkmcnt(2)
	v_mul_f64 v[116:117], v[102:103], v[230:231]
	s_waitcnt vmcnt(11)
	v_fmac_f64_e32 v[116:117], v[104:105], v[236:237]
	v_add_f64 v[114:115], v[114:115], v[116:117]
	s_waitcnt vmcnt(10) lgkmcnt(0)
	v_mul_f64 v[116:117], v[106:107], v[216:217]
	s_waitcnt vmcnt(8)
	v_fmac_f64_e32 v[116:117], v[108:109], v[234:235]
	v_add_f64 v[114:115], v[114:115], v[116:117]
	s_waitcnt vmcnt(6)
	v_mul_f64 v[116:117], v[110:111], v[232:233]
	s_waitcnt vmcnt(4)
	v_fmac_f64_e32 v[116:117], v[112:113], v[238:239]
	v_add_f64 v[242:243], v[114:115], v[116:117]
	ds_read_b128 v[114:117], v1 offset:1744
	buffer_load_dword v248, off, s[0:3], 0 offset:320
	buffer_load_dword v249, off, s[0:3], 0 offset:324
	v_add_f64 v[2:3], v[2:3], v[4:5]
	v_mul_f64 v[4:5], v[20:21], v[132:133]
	v_fma_f64 v[4:5], v[18:19], v[134:135], -v[4:5]
	v_add_f64 v[2:3], v[2:3], v[4:5]
	v_mul_f64 v[4:5], v[24:25], v[146:147]
	v_fma_f64 v[4:5], v[22:23], v[148:149], -v[4:5]
	;; [unrolled: 3-line block ×22, first 2 shown]
	v_add_f64 v[2:3], v[2:3], v[4:5]
	s_waitcnt vmcnt(3) lgkmcnt(0)
	v_mul_f64 v[246:247], v[114:115], v[240:241]
	s_waitcnt vmcnt(2)
	v_fmac_f64_e32 v[246:247], v[116:117], v[244:245]
	v_add_f64 v[242:243], v[242:243], v[246:247]
	buffer_load_dword v246, off, s[0:3], 0 offset:328
	buffer_load_dword v247, off, s[0:3], 0 offset:332
	v_mul_f64 v[4:5], v[108:109], v[216:217]
	v_fma_f64 v[4:5], v[106:107], v[234:235], -v[4:5]
	v_add_f64 v[2:3], v[2:3], v[4:5]
	v_mul_f64 v[4:5], v[112:113], v[232:233]
	v_fma_f64 v[4:5], v[110:111], v[238:239], -v[4:5]
	v_add_f64 v[2:3], v[2:3], v[4:5]
	;; [unrolled: 3-line block ×3, first 2 shown]
	s_waitcnt vmcnt(2)
	v_add_f64 v[2:3], v[248:249], -v[2:3]
	s_waitcnt vmcnt(0)
	v_add_f64 v[4:5], v[246:247], -v[242:243]
	buffer_store_dword v3, off, s[0:3], 0 offset:324
	buffer_store_dword v2, off, s[0:3], 0 offset:320
	;; [unrolled: 1-line block ×4, first 2 shown]
	s_and_saveexec_b64 s[4:5], vcc
	s_cbranch_execz .LBB118_307
; %bb.306:
	v_accvgpr_read_b32 v0, a146
	buffer_load_dword v2, v0, s[0:3], 0 offen
	buffer_load_dword v3, v0, s[0:3], 0 offen offset:4
	buffer_load_dword v4, v0, s[0:3], 0 offen offset:8
	;; [unrolled: 1-line block ×3, first 2 shown]
	v_accvgpr_read_b32 v0, a165
	buffer_store_dword v1, off, s[0:3], 0 offset:304
	buffer_store_dword v1, off, s[0:3], 0 offset:308
	;; [unrolled: 1-line block ×4, first 2 shown]
	s_waitcnt vmcnt(4)
	ds_write_b128 v0, v[2:5]
.LBB118_307:
	s_or_b64 exec, exec, s[4:5]
	s_waitcnt lgkmcnt(0)
	; wave barrier
	s_waitcnt lgkmcnt(0)
	buffer_load_dword v84, off, s[0:3], 0 offset:320
	buffer_load_dword v85, off, s[0:3], 0 offset:324
	;; [unrolled: 1-line block ×34, first 2 shown]
	ds_read_b128 v[74:77], v1 offset:1184
	ds_read_b128 v[78:81], v1 offset:1200
	;; [unrolled: 1-line block ×8, first 2 shown]
	buffer_load_dword v127, off, s[0:3], 0 offset:436
	buffer_load_dword v126, off, s[0:3], 0 offset:432
	ds_read_b128 v[6:9], v1 offset:1312
	buffer_load_dword v129, off, s[0:3], 0 offset:492
	buffer_load_dword v128, off, s[0:3], 0 offset:488
	;; [unrolled: 1-line block ×80, first 2 shown]
	s_waitcnt vmcnt(62) lgkmcnt(8)
	v_mul_f64 v[10:11], v[74:75], v[106:107]
	v_fmac_f64_e32 v[10:11], v[76:77], v[84:85]
	v_add_f64 v[10:11], v[10:11], 0
	v_mul_f64 v[76:77], v[76:77], v[106:107]
	s_waitcnt lgkmcnt(7)
	v_mul_f64 v[12:13], v[78:79], v[96:97]
	v_fmac_f64_e32 v[12:13], v[80:81], v[82:83]
	s_waitcnt lgkmcnt(6)
	v_mul_f64 v[14:15], v[86:87], v[94:95]
	v_add_f64 v[10:11], v[10:11], v[12:13]
	s_waitcnt lgkmcnt(4)
	v_mul_f64 v[18:19], v[98:99], v[108:109]
	v_fma_f64 v[220:221], v[74:75], v[84:85], -v[76:77]
	v_fmac_f64_e32 v[18:19], v[100:101], v[114:115]
	v_mul_f64 v[80:81], v[80:81], v[96:97]
	v_mul_f64 v[16:17], v[90:91], v[116:117]
	v_fma_f64 v[222:223], v[78:79], v[82:83], -v[80:81]
	s_waitcnt lgkmcnt(2)
	v_mul_f64 v[22:23], v[110:111], v[240:241]
	v_mul_f64 v[100:101], v[100:101], v[108:109]
	v_fma_f64 v[226:227], v[98:99], v[114:115], -v[100:101]
	v_mul_f64 v[20:21], v[102:103], v[244:245]
	v_add_f64 v[220:221], v[220:221], 0
	s_waitcnt lgkmcnt(1)
	v_mul_f64 v[24:25], v[2:3], v[120:121]
	v_add_f64 v[220:221], v[220:221], v[222:223]
	v_fmac_f64_e32 v[14:15], v[88:89], v[250:251]
	v_add_f64 v[10:11], v[10:11], v[14:15]
	v_fmac_f64_e32 v[16:17], v[92:93], v[248:249]
	;; [unrolled: 2-line block ×4, first 2 shown]
	v_add_f64 v[10:11], v[10:11], v[20:21]
	v_add_f64 v[10:11], v[10:11], v[22:23]
	s_waitcnt lgkmcnt(0)
	v_mul_f64 v[16:17], v[6:7], v[122:123]
	v_fmac_f64_e32 v[16:17], v[8:9], v[124:125]
	v_fmac_f64_e32 v[24:25], v[4:5], v[126:127]
	v_add_f64 v[14:15], v[10:11], v[24:25]
	ds_read_b128 v[10:13], v1 offset:1328
	v_add_f64 v[18:19], v[14:15], v[16:17]
	ds_read_b128 v[14:17], v1 offset:1344
	v_mul_f64 v[88:89], v[88:89], v[94:95]
	v_mul_f64 v[92:93], v[92:93], v[116:117]
	s_waitcnt lgkmcnt(1)
	v_mul_f64 v[20:21], v[10:11], v[132:133]
	v_fmac_f64_e32 v[20:21], v[12:13], v[134:135]
	s_waitcnt lgkmcnt(0)
	v_mul_f64 v[24:25], v[14:15], v[128:129]
	v_add_f64 v[22:23], v[18:19], v[20:21]
	ds_read_b128 v[18:21], v1 offset:1360
	v_fmac_f64_e32 v[24:25], v[16:17], v[130:131]
	v_add_f64 v[26:27], v[22:23], v[24:25]
	ds_read_b128 v[22:25], v1 offset:1376
	v_fma_f64 v[224:225], v[90:91], v[248:249], -v[92:93]
	s_waitcnt lgkmcnt(1)
	v_mul_f64 v[28:29], v[18:19], v[144:145]
	v_fmac_f64_e32 v[28:29], v[20:21], v[146:147]
	v_add_f64 v[30:31], v[26:27], v[28:29]
	s_waitcnt lgkmcnt(0)
	v_mul_f64 v[32:33], v[22:23], v[136:137]
	ds_read_b128 v[26:29], v1 offset:1392
	v_fmac_f64_e32 v[32:33], v[24:25], v[138:139]
	v_add_f64 v[34:35], v[30:31], v[32:33]
	ds_read_b128 v[30:33], v1 offset:1408
	v_mul_f64 v[104:105], v[104:105], v[244:245]
	s_waitcnt vmcnt(58) lgkmcnt(1)
	v_mul_f64 v[36:37], v[26:27], v[160:161]
	s_waitcnt vmcnt(56)
	v_fmac_f64_e32 v[36:37], v[28:29], v[164:165]
	v_add_f64 v[38:39], v[34:35], v[36:37]
	s_waitcnt lgkmcnt(0)
	v_mul_f64 v[40:41], v[30:31], v[140:141]
	ds_read_b128 v[34:37], v1 offset:1424
	v_fmac_f64_e32 v[40:41], v[32:33], v[142:143]
	v_add_f64 v[42:43], v[38:39], v[40:41]
	ds_read_b128 v[38:41], v1 offset:1440
	v_mul_f64 v[112:113], v[112:113], v[240:241]
	s_waitcnt vmcnt(50) lgkmcnt(1)
	v_mul_f64 v[44:45], v[34:35], v[168:169]
	s_waitcnt vmcnt(48)
	v_fmac_f64_e32 v[44:45], v[36:37], v[172:173]
	v_add_f64 v[46:47], v[42:43], v[44:45]
	s_waitcnt lgkmcnt(0)
	v_mul_f64 v[48:49], v[38:39], v[148:149]
	v_fmac_f64_e32 v[48:49], v[40:41], v[150:151]
	ds_read_b128 v[42:45], v1 offset:1456
	v_add_f64 v[50:51], v[46:47], v[48:49]
	ds_read_b128 v[46:49], v1 offset:1472
	buffer_load_dword v209, off, s[0:3], 0 offset:812
	buffer_load_dword v211, off, s[0:3], 0 offset:796
	;; [unrolled: 1-line block ×12, first 2 shown]
	v_fma_f64 v[252:253], v[110:111], v[242:243], -v[112:113]
	s_waitcnt vmcnt(54) lgkmcnt(1)
	v_mul_f64 v[52:53], v[42:43], v[176:177]
	s_waitcnt vmcnt(52)
	v_fmac_f64_e32 v[52:53], v[44:45], v[180:181]
	v_add_f64 v[54:55], v[50:51], v[52:53]
	ds_read_b128 v[50:53], v1 offset:1488
	s_waitcnt lgkmcnt(1)
	v_mul_f64 v[56:57], v[46:47], v[152:153]
	v_fmac_f64_e32 v[56:57], v[48:49], v[154:155]
	buffer_load_dword v231, off, s[0:3], 0 offset:844
	buffer_load_dword v230, off, s[0:3], 0 offset:840
	;; [unrolled: 1-line block ×12, first 2 shown]
	v_add_f64 v[58:59], v[54:55], v[56:57]
	ds_read_b128 v[54:57], v1 offset:1504
	s_waitcnt vmcnt(58) lgkmcnt(1)
	v_mul_f64 v[60:61], v[50:51], v[184:185]
	s_waitcnt vmcnt(56)
	v_fmac_f64_e32 v[60:61], v[52:53], v[188:189]
	v_add_f64 v[62:63], v[58:59], v[60:61]
	ds_read_b128 v[58:61], v1 offset:1520
	s_waitcnt lgkmcnt(1)
	v_mul_f64 v[64:65], v[54:55], v[156:157]
	v_fmac_f64_e32 v[64:65], v[56:57], v[158:159]
	v_add_f64 v[70:71], v[62:63], v[64:65]
	ds_read_b128 v[62:65], v1 offset:1536
	ds_read_b128 v[66:69], v1 offset:1552
	s_waitcnt vmcnt(50) lgkmcnt(2)
	v_mul_f64 v[72:73], v[58:59], v[192:193]
	s_waitcnt vmcnt(48)
	v_fmac_f64_e32 v[72:73], v[60:61], v[194:195]
	v_add_f64 v[70:71], v[70:71], v[72:73]
	s_waitcnt lgkmcnt(1)
	v_mul_f64 v[72:73], v[62:63], v[162:163]
	v_fmac_f64_e32 v[72:73], v[64:65], v[166:167]
	v_add_f64 v[70:71], v[70:71], v[72:73]
	s_waitcnt vmcnt(42) lgkmcnt(0)
	v_mul_f64 v[72:73], v[66:67], v[196:197]
	s_waitcnt vmcnt(40)
	v_fmac_f64_e32 v[72:73], v[68:69], v[198:199]
	v_add_f64 v[118:119], v[70:71], v[72:73]
	ds_read_b128 v[70:73], v1 offset:1568
	ds_read_b128 v[74:77], v1 offset:1584
	;; [unrolled: 1-line block ×5, first 2 shown]
	s_waitcnt lgkmcnt(4)
	v_mul_f64 v[84:85], v[70:71], v[170:171]
	v_fmac_f64_e32 v[84:85], v[72:73], v[174:175]
	v_add_f64 v[82:83], v[118:119], v[84:85]
	s_waitcnt vmcnt(34) lgkmcnt(3)
	v_mul_f64 v[84:85], v[74:75], v[200:201]
	s_waitcnt vmcnt(32)
	v_fmac_f64_e32 v[84:85], v[76:77], v[202:203]
	v_add_f64 v[82:83], v[82:83], v[84:85]
	v_fma_f64 v[118:119], v[86:87], v[250:251], -v[88:89]
	ds_read_b128 v[86:89], v1 offset:1632
	s_waitcnt lgkmcnt(3)
	v_mul_f64 v[84:85], v[78:79], v[178:179]
	v_fmac_f64_e32 v[84:85], v[80:81], v[182:183]
	v_add_f64 v[96:97], v[82:83], v[84:85]
	ds_read_b128 v[82:85], v1 offset:1616
	v_fma_f64 v[250:251], v[102:103], v[246:247], -v[104:105]
	ds_read_b128 v[110:113], v1 offset:1728
	v_add_f64 v[118:119], v[220:221], v[118:119]
	v_add_f64 v[118:119], v[118:119], v[224:225]
	s_waitcnt vmcnt(26) lgkmcnt(1)
	v_mul_f64 v[94:95], v[82:83], v[204:205]
	s_waitcnt vmcnt(24)
	v_fmac_f64_e32 v[94:95], v[84:85], v[206:207]
	v_add_f64 v[94:95], v[96:97], v[94:95]
	v_mul_f64 v[96:97], v[86:87], v[186:187]
	v_fmac_f64_e32 v[96:97], v[88:89], v[190:191]
	v_add_f64 v[106:107], v[94:95], v[96:97]
	ds_read_b128 v[94:97], v1 offset:1664
	v_add_f64 v[254:255], v[118:119], v[226:227]
	v_add_f64 v[118:119], v[254:255], v[250:251]
	v_mul_f64 v[4:5], v[4:5], v[120:121]
	v_add_f64 v[118:119], v[118:119], v[252:253]
	ds_read_b128 v[102:105], v1 offset:1712
	v_fma_f64 v[2:3], v[2:3], v[126:127], -v[4:5]
	v_mul_f64 v[4:5], v[8:9], v[122:123]
	v_add_f64 v[2:3], v[118:119], v[2:3]
	v_fma_f64 v[4:5], v[6:7], v[124:125], -v[4:5]
	v_add_f64 v[2:3], v[2:3], v[4:5]
	v_mul_f64 v[4:5], v[12:13], v[132:133]
	v_fma_f64 v[4:5], v[10:11], v[134:135], -v[4:5]
	v_add_f64 v[2:3], v[2:3], v[4:5]
	v_mul_f64 v[4:5], v[16:17], v[128:129]
	s_waitcnt vmcnt(21)
	v_mul_f64 v[108:109], v[90:91], v[210:211]
	v_fma_f64 v[4:5], v[14:15], v[130:131], -v[4:5]
	s_waitcnt vmcnt(19)
	v_fmac_f64_e32 v[108:109], v[92:93], v[216:217]
	v_add_f64 v[106:107], v[106:107], v[108:109]
	s_waitcnt vmcnt(18) lgkmcnt(1)
	v_mul_f64 v[108:109], v[94:95], v[208:209]
	s_waitcnt vmcnt(16)
	v_fmac_f64_e32 v[108:109], v[96:97], v[214:215]
	v_add_f64 v[114:115], v[106:107], v[108:109]
	ds_read_b128 v[106:109], v1 offset:1696
	buffer_load_dword v243, off, s[0:3], 0 offset:892
	buffer_load_dword v242, off, s[0:3], 0 offset:888
	;; [unrolled: 1-line block ×4, first 2 shown]
	s_waitcnt vmcnt(18)
	v_mul_f64 v[116:117], v[98:99], v[212:213]
	s_waitcnt vmcnt(16)
	v_fmac_f64_e32 v[116:117], v[100:101], v[218:219]
	v_add_f64 v[114:115], v[114:115], v[116:117]
	s_waitcnt vmcnt(14) lgkmcnt(0)
	v_mul_f64 v[116:117], v[106:107], v[230:231]
	s_waitcnt vmcnt(12)
	v_fmac_f64_e32 v[116:117], v[108:109], v[232:233]
	v_add_f64 v[114:115], v[114:115], v[116:117]
	s_waitcnt vmcnt(9)
	v_mul_f64 v[116:117], v[102:103], v[236:237]
	s_waitcnt vmcnt(7)
	v_fmac_f64_e32 v[116:117], v[104:105], v[238:239]
	v_add_f64 v[114:115], v[114:115], v[116:117]
	s_waitcnt vmcnt(5)
	v_mul_f64 v[116:117], v[110:111], v[228:229]
	s_waitcnt vmcnt(4)
	v_fmac_f64_e32 v[116:117], v[112:113], v[234:235]
	v_add_f64 v[240:241], v[114:115], v[116:117]
	ds_read_b128 v[114:117], v1 offset:1744
	v_add_f64 v[2:3], v[2:3], v[4:5]
	v_mul_f64 v[4:5], v[20:21], v[144:145]
	v_fma_f64 v[4:5], v[18:19], v[146:147], -v[4:5]
	v_add_f64 v[2:3], v[2:3], v[4:5]
	v_mul_f64 v[4:5], v[24:25], v[136:137]
	v_fma_f64 v[4:5], v[22:23], v[138:139], -v[4:5]
	;; [unrolled: 3-line block ×21, first 2 shown]
	v_add_f64 v[2:3], v[2:3], v[4:5]
	s_waitcnt vmcnt(2) lgkmcnt(0)
	v_mul_f64 v[246:247], v[114:115], v[242:243]
	v_mul_f64 v[4:5], v[108:109], v[230:231]
	s_waitcnt vmcnt(0)
	v_fmac_f64_e32 v[246:247], v[116:117], v[244:245]
	v_add_f64 v[240:241], v[240:241], v[246:247]
	buffer_load_dword v248, off, s[0:3], 0 offset:304
	buffer_load_dword v249, off, s[0:3], 0 offset:308
	;; [unrolled: 1-line block ×4, first 2 shown]
	v_fma_f64 v[4:5], v[106:107], v[232:233], -v[4:5]
	v_add_f64 v[2:3], v[2:3], v[4:5]
	v_mul_f64 v[4:5], v[104:105], v[236:237]
	v_fma_f64 v[4:5], v[102:103], v[238:239], -v[4:5]
	v_add_f64 v[2:3], v[2:3], v[4:5]
	v_mul_f64 v[4:5], v[112:113], v[228:229]
	;; [unrolled: 3-line block ×3, first 2 shown]
	v_fma_f64 v[4:5], v[114:115], v[244:245], -v[4:5]
	v_add_f64 v[2:3], v[2:3], v[4:5]
	v_accvgpr_read_b32 v254, a164
	v_cmp_lt_u32_e32 vcc, 17, v254
	s_waitcnt vmcnt(2)
	v_add_f64 v[2:3], v[248:249], -v[2:3]
	s_waitcnt vmcnt(0)
	v_add_f64 v[4:5], v[246:247], -v[240:241]
	buffer_store_dword v3, off, s[0:3], 0 offset:308
	buffer_store_dword v2, off, s[0:3], 0 offset:304
	;; [unrolled: 1-line block ×4, first 2 shown]
	s_and_saveexec_b64 s[4:5], vcc
	s_cbranch_execz .LBB118_309
; %bb.308:
	v_accvgpr_read_b32 v0, a147
	buffer_load_dword v2, v0, s[0:3], 0 offen
	buffer_load_dword v3, v0, s[0:3], 0 offen offset:4
	buffer_load_dword v4, v0, s[0:3], 0 offen offset:8
	;; [unrolled: 1-line block ×3, first 2 shown]
	v_mov_b32_e32 v0, 0
	v_accvgpr_read_b32 v1, a165
	buffer_store_dword v0, off, s[0:3], 0 offset:288
	buffer_store_dword v0, off, s[0:3], 0 offset:292
	;; [unrolled: 1-line block ×4, first 2 shown]
	s_waitcnt vmcnt(4)
	ds_write_b128 v1, v[2:5]
.LBB118_309:
	s_or_b64 exec, exec, s[4:5]
	s_waitcnt lgkmcnt(0)
	; wave barrier
	s_waitcnt lgkmcnt(0)
	buffer_load_dword v66, off, s[0:3], 0 offset:304
	buffer_load_dword v67, off, s[0:3], 0 offset:308
	;; [unrolled: 1-line block ×55, first 2 shown]
	v_mov_b32_e32 v1, 0
	ds_read_b128 v[74:77], v1 offset:1168
	ds_read_b128 v[86:89], v1 offset:1184
	;; [unrolled: 1-line block ×9, first 2 shown]
	buffer_load_dword v138, off, s[0:3], 0 offset:528
	buffer_load_dword v157, off, s[0:3], 0 offset:524
	;; [unrolled: 1-line block ×61, first 2 shown]
	v_cmp_lt_u32_e32 vcc, 16, v254
	s_waitcnt vmcnt(62) lgkmcnt(8)
	v_mul_f64 v[6:7], v[74:75], v[68:69]
	v_fmac_f64_e32 v[6:7], v[76:77], v[66:67]
	v_add_f64 v[6:7], v[6:7], 0
	v_mul_f64 v[68:69], v[76:77], v[68:69]
	s_waitcnt lgkmcnt(7)
	v_mul_f64 v[8:9], v[86:87], v[72:73]
	v_fmac_f64_e32 v[8:9], v[88:89], v[70:71]
	s_waitcnt lgkmcnt(6)
	v_mul_f64 v[10:11], v[98:99], v[78:79]
	v_add_f64 v[6:7], v[6:7], v[8:9]
	s_waitcnt lgkmcnt(4)
	v_mul_f64 v[14:15], v[114:115], v[90:91]
	v_fma_f64 v[220:221], v[74:75], v[66:67], -v[68:69]
	v_fmac_f64_e32 v[14:15], v[116:117], v[92:93]
	v_mul_f64 v[72:73], v[88:89], v[72:73]
	v_mul_f64 v[12:13], v[110:111], v[82:83]
	;; [unrolled: 1-line block ×3, first 2 shown]
	s_waitcnt lgkmcnt(2)
	v_mul_f64 v[18:19], v[244:245], v[102:103]
	v_mul_f64 v[82:83], v[112:113], v[82:83]
	;; [unrolled: 1-line block ×4, first 2 shown]
	v_fma_f64 v[226:227], v[114:115], v[92:93], -v[90:91]
	s_waitcnt lgkmcnt(1)
	v_mul_f64 v[20:21], v[248:249], v[106:107]
	v_fmac_f64_e32 v[20:21], v[250:251], v[108:109]
	v_fmac_f64_e32 v[10:11], v[100:101], v[80:81]
	v_add_f64 v[6:7], v[6:7], v[10:11]
	v_fmac_f64_e32 v[12:13], v[112:113], v[84:85]
	v_add_f64 v[6:7], v[6:7], v[12:13]
	;; [unrolled: 2-line block ×4, first 2 shown]
	v_add_f64 v[6:7], v[6:7], v[18:19]
	v_add_f64 v[10:11], v[6:7], v[20:21]
	ds_read_b128 v[6:9], v1 offset:1312
	s_waitcnt lgkmcnt(1)
	v_mul_f64 v[12:13], v[2:3], v[120:121]
	v_fmac_f64_e32 v[12:13], v[4:5], v[122:123]
	v_add_f64 v[14:15], v[10:11], v[12:13]
	ds_read_b128 v[10:13], v1 offset:1328
	s_waitcnt lgkmcnt(1)
	v_mul_f64 v[16:17], v[6:7], v[128:129]
	v_fmac_f64_e32 v[16:17], v[8:9], v[130:131]
	v_add_f64 v[18:19], v[14:15], v[16:17]
	ds_read_b128 v[14:17], v1 offset:1344
	s_waitcnt lgkmcnt(1)
	v_mul_f64 v[20:21], v[10:11], v[124:125]
	v_fmac_f64_e32 v[20:21], v[12:13], v[126:127]
	v_add_f64 v[22:23], v[18:19], v[20:21]
	ds_read_b128 v[18:21], v1 offset:1360
	s_waitcnt lgkmcnt(1)
	v_mul_f64 v[24:25], v[14:15], v[140:141]
	v_fmac_f64_e32 v[24:25], v[16:17], v[142:143]
	v_add_f64 v[26:27], v[22:23], v[24:25]
	ds_read_b128 v[22:25], v1 offset:1376
	s_waitcnt lgkmcnt(1)
	v_mul_f64 v[28:29], v[18:19], v[132:133]
	v_fmac_f64_e32 v[28:29], v[20:21], v[134:135]
	v_add_f64 v[30:31], v[26:27], v[28:29]
	ds_read_b128 v[26:29], v1 offset:1392
	s_waitcnt vmcnt(58) lgkmcnt(1)
	v_mul_f64 v[32:33], v[22:23], v[156:157]
	s_waitcnt vmcnt(56)
	v_fmac_f64_e32 v[32:33], v[24:25], v[160:161]
	v_add_f64 v[34:35], v[30:31], v[32:33]
	ds_read_b128 v[30:33], v1 offset:1408
	s_waitcnt lgkmcnt(1)
	v_mul_f64 v[36:37], v[26:27], v[136:137]
	v_fmac_f64_e32 v[36:37], v[28:29], v[138:139]
	v_add_f64 v[38:39], v[34:35], v[36:37]
	ds_read_b128 v[34:37], v1 offset:1424
	s_waitcnt vmcnt(50) lgkmcnt(1)
	v_mul_f64 v[40:41], v[30:31], v[164:165]
	s_waitcnt vmcnt(48)
	v_fmac_f64_e32 v[40:41], v[32:33], v[168:169]
	v_add_f64 v[42:43], v[38:39], v[40:41]
	ds_read_b128 v[38:41], v1 offset:1440
	s_waitcnt lgkmcnt(1)
	v_mul_f64 v[44:45], v[34:35], v[144:145]
	v_fmac_f64_e32 v[44:45], v[36:37], v[146:147]
	v_add_f64 v[46:47], v[42:43], v[44:45]
	ds_read_b128 v[42:45], v1 offset:1456
	s_waitcnt vmcnt(42) lgkmcnt(1)
	v_mul_f64 v[48:49], v[38:39], v[172:173]
	s_waitcnt vmcnt(40)
	v_fmac_f64_e32 v[48:49], v[40:41], v[176:177]
	v_add_f64 v[50:51], v[46:47], v[48:49]
	ds_read_b128 v[46:49], v1 offset:1472
	buffer_load_dword v205, off, s[0:3], 0 offset:780
	buffer_load_dword v204, off, s[0:3], 0 offset:776
	;; [unrolled: 1-line block ×4, first 2 shown]
	s_waitcnt lgkmcnt(1)
	v_mul_f64 v[52:53], v[42:43], v[148:149]
	v_fmac_f64_e32 v[52:53], v[44:45], v[150:151]
	v_add_f64 v[54:55], v[50:51], v[52:53]
	ds_read_b128 v[50:53], v1 offset:1488
	buffer_load_dword v209, off, s[0:3], 0 offset:796
	buffer_load_dword v208, off, s[0:3], 0 offset:792
	;; [unrolled: 1-line block ×8, first 2 shown]
	s_waitcnt vmcnt(46) lgkmcnt(1)
	v_mul_f64 v[56:57], v[46:47], v[180:181]
	s_waitcnt vmcnt(44)
	v_fmac_f64_e32 v[56:57], v[48:49], v[184:185]
	v_add_f64 v[58:59], v[54:55], v[56:57]
	ds_read_b128 v[54:57], v1 offset:1504
	buffer_load_dword v219, off, s[0:3], 0 offset:828
	buffer_load_dword v218, off, s[0:3], 0 offset:824
	buffer_load_dword v229, off, s[0:3], 0 offset:820
	buffer_load_dword v228, off, s[0:3], 0 offset:816
	buffer_load_dword v216, off, s[0:3], 0 offset:856
	buffer_load_dword v233, off, s[0:3], 0 offset:844
	buffer_load_dword v232, off, s[0:3], 0 offset:840
	buffer_load_dword v235, off, s[0:3], 0 offset:836
	buffer_load_dword v234, off, s[0:3], 0 offset:832
	buffer_load_dword v230, off, s[0:3], 0 offset:848
	buffer_load_dword v217, off, s[0:3], 0 offset:860
	buffer_load_dword v231, off, s[0:3], 0 offset:852
	s_waitcnt lgkmcnt(1)
	v_mul_f64 v[60:61], v[50:51], v[152:153]
	v_fmac_f64_e32 v[60:61], v[52:53], v[154:155]
	v_add_f64 v[62:63], v[58:59], v[60:61]
	ds_read_b128 v[58:61], v1 offset:1520
	s_waitcnt vmcnt(50) lgkmcnt(1)
	v_mul_f64 v[64:65], v[54:55], v[188:189]
	s_waitcnt vmcnt(48)
	v_fmac_f64_e32 v[64:65], v[56:57], v[190:191]
	v_add_f64 v[62:63], v[62:63], v[64:65]
	buffer_load_dword v237, off, s[0:3], 0 offset:876
	buffer_load_dword v236, off, s[0:3], 0 offset:872
	buffer_load_dword v239, off, s[0:3], 0 offset:868
	buffer_load_dword v238, off, s[0:3], 0 offset:864
	s_waitcnt lgkmcnt(0)
	v_mul_f64 v[64:65], v[58:59], v[158:159]
	v_fmac_f64_e32 v[64:65], v[60:61], v[162:163]
	v_add_f64 v[118:119], v[62:63], v[64:65]
	ds_read_b128 v[62:65], v1 offset:1536
	ds_read_b128 v[66:69], v1 offset:1552
	v_fma_f64 v[222:223], v[98:99], v[80:81], -v[78:79]
	ds_read_b128 v[78:81], v1 offset:1600
	v_fma_f64 v[224:225], v[110:111], v[84:85], -v[82:83]
	ds_read_b128 v[82:85], v1 offset:1616
	s_waitcnt vmcnt(46) lgkmcnt(3)
	v_mul_f64 v[74:75], v[62:63], v[192:193]
	s_waitcnt vmcnt(44)
	v_fmac_f64_e32 v[74:75], v[64:65], v[194:195]
	v_add_f64 v[74:75], v[118:119], v[74:75]
	v_fma_f64 v[118:119], v[86:87], v[70:71], -v[72:73]
	ds_read_b128 v[70:73], v1 offset:1568
	s_waitcnt lgkmcnt(3)
	v_mul_f64 v[76:77], v[66:67], v[166:167]
	v_fmac_f64_e32 v[76:77], v[68:69], v[170:171]
	v_add_f64 v[86:87], v[74:75], v[76:77]
	ds_read_b128 v[74:77], v1 offset:1584
	s_waitcnt vmcnt(38) lgkmcnt(1)
	v_mul_f64 v[88:89], v[70:71], v[196:197]
	s_waitcnt vmcnt(36)
	v_fmac_f64_e32 v[88:89], v[72:73], v[198:199]
	v_add_f64 v[86:87], v[86:87], v[88:89]
	ds_read_b128 v[90:93], v1 offset:1648
	s_waitcnt lgkmcnt(1)
	v_mul_f64 v[88:89], v[74:75], v[174:175]
	v_fmac_f64_e32 v[88:89], v[76:77], v[178:179]
	v_add_f64 v[86:87], v[86:87], v[88:89]
	s_waitcnt vmcnt(30)
	v_mul_f64 v[88:89], v[78:79], v[200:201]
	s_waitcnt vmcnt(28)
	v_fmac_f64_e32 v[88:89], v[80:81], v[202:203]
	v_add_f64 v[86:87], v[86:87], v[88:89]
	v_mul_f64 v[88:89], v[82:83], v[182:183]
	v_fmac_f64_e32 v[88:89], v[84:85], v[186:187]
	v_add_f64 v[98:99], v[86:87], v[88:89]
	ds_read_b128 v[86:89], v1 offset:1632
	v_mul_f64 v[94:95], v[242:243], v[94:95]
	v_fma_f64 v[252:253], v[240:241], v[96:97], -v[94:95]
	ds_read_b128 v[94:97], v1 offset:1664
	v_mul_f64 v[102:103], v[246:247], v[102:103]
	v_fma_f64 v[246:247], v[244:245], v[104:105], -v[102:103]
	;; [unrolled: 3-line block ×3, first 2 shown]
	v_add_f64 v[220:221], v[220:221], 0
	v_add_f64 v[118:119], v[220:221], v[118:119]
	;; [unrolled: 1-line block ×7, first 2 shown]
	v_mul_f64 v[4:5], v[4:5], v[120:121]
	v_add_f64 v[118:119], v[252:253], v[250:251]
	v_fma_f64 v[2:3], v[2:3], v[122:123], -v[4:5]
	v_mul_f64 v[4:5], v[8:9], v[128:129]
	v_add_f64 v[2:3], v[118:119], v[2:3]
	v_fma_f64 v[4:5], v[6:7], v[130:131], -v[4:5]
	v_add_f64 v[2:3], v[2:3], v[4:5]
	ds_read_b128 v[106:109], v1 offset:1712
	v_mul_f64 v[4:5], v[12:13], v[124:125]
	v_fma_f64 v[4:5], v[10:11], v[126:127], -v[4:5]
	v_add_f64 v[2:3], v[2:3], v[4:5]
	s_waitcnt vmcnt(26) lgkmcnt(3)
	v_mul_f64 v[100:101], v[86:87], v[204:205]
	v_mul_f64 v[4:5], v[16:17], v[140:141]
	s_waitcnt vmcnt(24)
	v_fmac_f64_e32 v[100:101], v[88:89], v[206:207]
	v_add_f64 v[98:99], v[98:99], v[100:101]
	s_waitcnt vmcnt(22)
	v_mul_f64 v[100:101], v[90:91], v[208:209]
	s_waitcnt vmcnt(20)
	v_fmac_f64_e32 v[100:101], v[92:93], v[212:213]
	v_add_f64 v[98:99], v[98:99], v[100:101]
	s_waitcnt vmcnt(18) lgkmcnt(2)
	v_mul_f64 v[100:101], v[94:95], v[210:211]
	s_waitcnt vmcnt(16)
	v_fmac_f64_e32 v[100:101], v[96:97], v[214:215]
	v_add_f64 v[110:111], v[98:99], v[100:101]
	ds_read_b128 v[98:101], v1 offset:1680
	v_fma_f64 v[4:5], v[14:15], v[142:143], -v[4:5]
	v_add_f64 v[2:3], v[2:3], v[4:5]
	v_mul_f64 v[4:5], v[20:21], v[132:133]
	v_fma_f64 v[4:5], v[18:19], v[134:135], -v[4:5]
	s_waitcnt vmcnt(14) lgkmcnt(0)
	v_mul_f64 v[112:113], v[98:99], v[218:219]
	s_waitcnt vmcnt(12)
	v_fmac_f64_e32 v[112:113], v[100:101], v[228:229]
	v_add_f64 v[110:111], v[110:111], v[112:113]
	s_waitcnt vmcnt(9)
	v_mul_f64 v[112:113], v[102:103], v[232:233]
	s_waitcnt vmcnt(7)
	v_fmac_f64_e32 v[112:113], v[104:105], v[234:235]
	v_add_f64 v[110:111], v[110:111], v[112:113]
	s_waitcnt vmcnt(5)
	v_mul_f64 v[112:113], v[106:107], v[216:217]
	s_waitcnt vmcnt(4)
	v_fmac_f64_e32 v[112:113], v[108:109], v[230:231]
	v_add_f64 v[114:115], v[110:111], v[112:113]
	ds_read_b128 v[110:113], v1 offset:1728
	buffer_load_dword v242, off, s[0:3], 0 offset:888
	buffer_load_dword v243, off, s[0:3], 0 offset:892
	;; [unrolled: 1-line block ×4, first 2 shown]
	v_add_f64 v[2:3], v[2:3], v[4:5]
	v_mul_f64 v[4:5], v[24:25], v[156:157]
	v_fma_f64 v[4:5], v[22:23], v[160:161], -v[4:5]
	s_waitcnt vmcnt(6) lgkmcnt(0)
	v_mul_f64 v[116:117], v[110:111], v[236:237]
	s_waitcnt vmcnt(4)
	v_fmac_f64_e32 v[116:117], v[112:113], v[238:239]
	v_add_f64 v[240:241], v[114:115], v[116:117]
	ds_read_b128 v[114:117], v1 offset:1744
	v_add_f64 v[2:3], v[2:3], v[4:5]
	v_mul_f64 v[4:5], v[28:29], v[136:137]
	v_fma_f64 v[4:5], v[26:27], v[138:139], -v[4:5]
	v_add_f64 v[2:3], v[2:3], v[4:5]
	v_mul_f64 v[4:5], v[32:33], v[164:165]
	v_fma_f64 v[4:5], v[30:31], v[168:169], -v[4:5]
	;; [unrolled: 3-line block ×22, first 2 shown]
	v_add_f64 v[2:3], v[2:3], v[4:5]
	s_waitcnt vmcnt(2) lgkmcnt(0)
	v_mul_f64 v[248:249], v[114:115], v[242:243]
	v_mul_f64 v[4:5], v[116:117], v[242:243]
	s_waitcnt vmcnt(0)
	v_fmac_f64_e32 v[248:249], v[116:117], v[244:245]
	v_add_f64 v[240:241], v[240:241], v[248:249]
	buffer_load_dword v248, off, s[0:3], 0 offset:288
	buffer_load_dword v249, off, s[0:3], 0 offset:292
	;; [unrolled: 1-line block ×4, first 2 shown]
	v_fma_f64 v[4:5], v[114:115], v[244:245], -v[4:5]
	v_add_f64 v[2:3], v[2:3], v[4:5]
	s_waitcnt vmcnt(2)
	v_add_f64 v[2:3], v[248:249], -v[2:3]
	s_waitcnt vmcnt(0)
	v_add_f64 v[4:5], v[246:247], -v[240:241]
	buffer_store_dword v3, off, s[0:3], 0 offset:292
	buffer_store_dword v2, off, s[0:3], 0 offset:288
	;; [unrolled: 1-line block ×4, first 2 shown]
	s_and_saveexec_b64 s[4:5], vcc
	s_cbranch_execz .LBB118_311
; %bb.310:
	v_accvgpr_read_b32 v0, a148
	buffer_load_dword v2, v0, s[0:3], 0 offen
	buffer_load_dword v3, v0, s[0:3], 0 offen offset:4
	buffer_load_dword v4, v0, s[0:3], 0 offen offset:8
	;; [unrolled: 1-line block ×3, first 2 shown]
	v_accvgpr_read_b32 v0, a165
	buffer_store_dword v1, off, s[0:3], 0 offset:272
	buffer_store_dword v1, off, s[0:3], 0 offset:276
	;; [unrolled: 1-line block ×4, first 2 shown]
	s_waitcnt vmcnt(4)
	ds_write_b128 v0, v[2:5]
.LBB118_311:
	s_or_b64 exec, exec, s[4:5]
	s_waitcnt lgkmcnt(0)
	; wave barrier
	s_waitcnt lgkmcnt(0)
	buffer_load_dword v66, off, s[0:3], 0 offset:288
	buffer_load_dword v67, off, s[0:3], 0 offset:292
	;; [unrolled: 1-line block ×42, first 2 shown]
	ds_read_b128 v[78:81], v1 offset:1152
	ds_read_b128 v[90:93], v1 offset:1168
	;; [unrolled: 1-line block ×10, first 2 shown]
	buffer_load_dword v131, off, s[0:3], 0 offset:436
	buffer_load_dword v130, off, s[0:3], 0 offset:432
	ds_read_b128 v[6:9], v1 offset:1312
	buffer_load_dword v127, off, s[0:3], 0 offset:492
	buffer_load_dword v126, off, s[0:3], 0 offset:488
	buffer_load_dword v129, off, s[0:3], 0 offset:484
	buffer_load_dword v128, off, s[0:3], 0 offset:480
	buffer_load_dword v133, off, s[0:3], 0 offset:476
	buffer_load_dword v132, off, s[0:3], 0 offset:472
	buffer_load_dword v149, off, s[0:3], 0 offset:468
	buffer_load_dword v148, off, s[0:3], 0 offset:464
	buffer_load_dword v135, off, s[0:3], 0 offset:524
	buffer_load_dword v134, off, s[0:3], 0 offset:520
	buffer_load_dword v137, off, s[0:3], 0 offset:516
	buffer_load_dword v136, off, s[0:3], 0 offset:512
	buffer_load_dword v153, off, s[0:3], 0 offset:508
	buffer_load_dword v152, off, s[0:3], 0 offset:504
	buffer_load_dword v157, off, s[0:3], 0 offset:500
	buffer_load_dword v156, off, s[0:3], 0 offset:496
	buffer_load_dword v139, off, s[0:3], 0 offset:556
	buffer_load_dword v138, off, s[0:3], 0 offset:552
	buffer_load_dword v141, off, s[0:3], 0 offset:548
	buffer_load_dword v140, off, s[0:3], 0 offset:544
	buffer_load_dword v161, off, s[0:3], 0 offset:540
	buffer_load_dword v160, off, s[0:3], 0 offset:536
	buffer_load_dword v165, off, s[0:3], 0 offset:532
	buffer_load_dword v164, off, s[0:3], 0 offset:528
	buffer_load_dword v143, off, s[0:3], 0 offset:588
	buffer_load_dword v142, off, s[0:3], 0 offset:584
	buffer_load_dword v145, off, s[0:3], 0 offset:580
	buffer_load_dword v144, off, s[0:3], 0 offset:576
	buffer_load_dword v169, off, s[0:3], 0 offset:572
	buffer_load_dword v168, off, s[0:3], 0 offset:568
	buffer_load_dword v173, off, s[0:3], 0 offset:564
	buffer_load_dword v172, off, s[0:3], 0 offset:560
	buffer_load_dword v147, off, s[0:3], 0 offset:620
	buffer_load_dword v146, off, s[0:3], 0 offset:616
	buffer_load_dword v151, off, s[0:3], 0 offset:612
	buffer_load_dword v150, off, s[0:3], 0 offset:608
	buffer_load_dword v177, off, s[0:3], 0 offset:604
	buffer_load_dword v176, off, s[0:3], 0 offset:600
	buffer_load_dword v181, off, s[0:3], 0 offset:596
	buffer_load_dword v180, off, s[0:3], 0 offset:592
	buffer_load_dword v155, off, s[0:3], 0 offset:652
	buffer_load_dword v154, off, s[0:3], 0 offset:648
	buffer_load_dword v159, off, s[0:3], 0 offset:644
	buffer_load_dword v158, off, s[0:3], 0 offset:640
	buffer_load_dword v185, off, s[0:3], 0 offset:636
	buffer_load_dword v184, off, s[0:3], 0 offset:632
	buffer_load_dword v189, off, s[0:3], 0 offset:628
	buffer_load_dword v188, off, s[0:3], 0 offset:624
	buffer_load_dword v163, off, s[0:3], 0 offset:684
	buffer_load_dword v162, off, s[0:3], 0 offset:680
	buffer_load_dword v167, off, s[0:3], 0 offset:676
	buffer_load_dword v166, off, s[0:3], 0 offset:672
	buffer_load_dword v193, off, s[0:3], 0 offset:668
	buffer_load_dword v192, off, s[0:3], 0 offset:664
	buffer_load_dword v195, off, s[0:3], 0 offset:660
	buffer_load_dword v194, off, s[0:3], 0 offset:656
	buffer_load_dword v171, off, s[0:3], 0 offset:716
	buffer_load_dword v170, off, s[0:3], 0 offset:712
	buffer_load_dword v175, off, s[0:3], 0 offset:708
	buffer_load_dword v174, off, s[0:3], 0 offset:704
	buffer_load_dword v197, off, s[0:3], 0 offset:700
	buffer_load_dword v196, off, s[0:3], 0 offset:696
	buffer_load_dword v199, off, s[0:3], 0 offset:692
	buffer_load_dword v198, off, s[0:3], 0 offset:688
	buffer_load_dword v179, off, s[0:3], 0 offset:748
	buffer_load_dword v178, off, s[0:3], 0 offset:744
	buffer_load_dword v183, off, s[0:3], 0 offset:740
	buffer_load_dword v182, off, s[0:3], 0 offset:736
	buffer_load_dword v201, off, s[0:3], 0 offset:732
	buffer_load_dword v200, off, s[0:3], 0 offset:728
	buffer_load_dword v203, off, s[0:3], 0 offset:724
	buffer_load_dword v202, off, s[0:3], 0 offset:720
	buffer_load_dword v187, off, s[0:3], 0 offset:780
	buffer_load_dword v186, off, s[0:3], 0 offset:776
	buffer_load_dword v191, off, s[0:3], 0 offset:772
	buffer_load_dword v190, off, s[0:3], 0 offset:768
	buffer_load_dword v205, off, s[0:3], 0 offset:764
	buffer_load_dword v204, off, s[0:3], 0 offset:760
	buffer_load_dword v207, off, s[0:3], 0 offset:756
	buffer_load_dword v206, off, s[0:3], 0 offset:752
	s_waitcnt vmcnt(62) lgkmcnt(10)
	v_mul_f64 v[10:11], v[78:79], v[68:69]
	v_fmac_f64_e32 v[10:11], v[80:81], v[66:67]
	v_add_f64 v[10:11], v[10:11], 0
	v_mul_f64 v[68:69], v[80:81], v[68:69]
	s_waitcnt lgkmcnt(9)
	v_mul_f64 v[12:13], v[90:91], v[64:65]
	v_fmac_f64_e32 v[12:13], v[92:93], v[62:63]
	s_waitcnt lgkmcnt(8)
	v_mul_f64 v[14:15], v[102:103], v[70:71]
	v_add_f64 v[10:11], v[10:11], v[12:13]
	s_waitcnt lgkmcnt(6)
	v_mul_f64 v[18:19], v[114:115], v[82:83]
	v_mul_f64 v[64:65], v[92:93], v[64:65]
	v_fmac_f64_e32 v[18:19], v[116:117], v[84:85]
	v_fma_f64 v[222:223], v[90:91], v[62:63], -v[64:65]
	v_mul_f64 v[16:17], v[110:111], v[74:75]
	v_fma_f64 v[220:221], v[78:79], v[66:67], -v[68:69]
	s_waitcnt lgkmcnt(4)
	v_mul_f64 v[22:23], v[244:245], v[94:95]
	v_mul_f64 v[70:71], v[104:105], v[70:71]
	v_fmac_f64_e32 v[22:23], v[246:247], v[96:97]
	v_mul_f64 v[74:75], v[112:113], v[74:75]
	v_mul_f64 v[20:21], v[240:241], v[86:87]
	v_mul_f64 v[82:83], v[116:117], v[82:83]
	s_waitcnt lgkmcnt(2)
	v_mul_f64 v[26:27], v[252:253], v[106:107]
	v_fma_f64 v[226:227], v[114:115], v[84:85], -v[82:83]
	v_mul_f64 v[86:87], v[242:243], v[86:87]
	v_mul_f64 v[24:25], v[248:249], v[98:99]
	;; [unrolled: 1-line block ×3, first 2 shown]
	s_waitcnt lgkmcnt(1)
	v_mul_f64 v[28:29], v[120:121], v[4:5]
	v_fma_f64 v[246:247], v[244:245], v[96:97], -v[94:95]
	v_fmac_f64_e32 v[14:15], v[104:105], v[72:73]
	v_add_f64 v[10:11], v[10:11], v[14:15]
	v_fmac_f64_e32 v[16:17], v[112:113], v[76:77]
	v_add_f64 v[10:11], v[10:11], v[16:17]
	;; [unrolled: 2-line block ×3, first 2 shown]
	v_add_f64 v[10:11], v[10:11], v[20:21]
	v_fmac_f64_e32 v[24:25], v[250:251], v[100:101]
	v_add_f64 v[10:11], v[10:11], v[22:23]
	v_fmac_f64_e32 v[26:27], v[254:255], v[108:109]
	v_add_f64 v[10:11], v[10:11], v[24:25]
	v_add_f64 v[10:11], v[10:11], v[26:27]
	s_waitcnt lgkmcnt(0)
	v_mul_f64 v[16:17], v[6:7], v[2:3]
	v_fmac_f64_e32 v[28:29], v[122:123], v[130:131]
	v_add_f64 v[14:15], v[10:11], v[28:29]
	ds_read_b128 v[10:13], v1 offset:1328
	v_fmac_f64_e32 v[16:17], v[8:9], v[124:125]
	v_add_f64 v[18:19], v[14:15], v[16:17]
	ds_read_b128 v[14:17], v1 offset:1344
	v_fma_f64 v[224:225], v[110:111], v[76:77], -v[74:75]
	s_waitcnt lgkmcnt(1)
	v_mul_f64 v[20:21], v[10:11], v[132:133]
	v_fmac_f64_e32 v[20:21], v[12:13], v[148:149]
	v_add_f64 v[22:23], v[18:19], v[20:21]
	ds_read_b128 v[18:21], v1 offset:1360
	s_waitcnt lgkmcnt(1)
	v_mul_f64 v[24:25], v[14:15], v[126:127]
	v_fmac_f64_e32 v[24:25], v[16:17], v[128:129]
	v_add_f64 v[26:27], v[22:23], v[24:25]
	ds_read_b128 v[22:25], v1 offset:1376
	;; [unrolled: 5-line block ×4, first 2 shown]
	s_waitcnt vmcnt(58) lgkmcnt(1)
	v_mul_f64 v[36:37], v[26:27], v[160:161]
	s_waitcnt vmcnt(56)
	v_fmac_f64_e32 v[36:37], v[28:29], v[164:165]
	v_add_f64 v[38:39], v[34:35], v[36:37]
	ds_read_b128 v[34:37], v1 offset:1424
	s_waitcnt lgkmcnt(1)
	v_mul_f64 v[40:41], v[30:31], v[138:139]
	v_fmac_f64_e32 v[40:41], v[32:33], v[140:141]
	v_add_f64 v[42:43], v[38:39], v[40:41]
	ds_read_b128 v[38:41], v1 offset:1440
	s_waitcnt vmcnt(50) lgkmcnt(1)
	v_mul_f64 v[44:45], v[34:35], v[168:169]
	s_waitcnt vmcnt(48)
	v_fmac_f64_e32 v[44:45], v[36:37], v[172:173]
	v_add_f64 v[46:47], v[42:43], v[44:45]
	ds_read_b128 v[42:45], v1 offset:1456
	s_waitcnt lgkmcnt(1)
	v_mul_f64 v[48:49], v[38:39], v[142:143]
	v_fmac_f64_e32 v[48:49], v[40:41], v[144:145]
	v_add_f64 v[50:51], v[46:47], v[48:49]
	ds_read_b128 v[46:49], v1 offset:1472
	s_waitcnt vmcnt(42) lgkmcnt(1)
	v_mul_f64 v[52:53], v[42:43], v[176:177]
	s_waitcnt vmcnt(40)
	v_fmac_f64_e32 v[52:53], v[44:45], v[180:181]
	v_add_f64 v[54:55], v[50:51], v[52:53]
	ds_read_b128 v[50:53], v1 offset:1488
	s_waitcnt lgkmcnt(1)
	v_mul_f64 v[56:57], v[46:47], v[146:147]
	buffer_load_dword v209, off, s[0:3], 0 offset:796
	buffer_load_dword v208, off, s[0:3], 0 offset:792
	;; [unrolled: 1-line block ×4, first 2 shown]
	v_fmac_f64_e32 v[56:57], v[48:49], v[150:151]
	v_add_f64 v[58:59], v[54:55], v[56:57]
	ds_read_b128 v[54:57], v1 offset:1504
	buffer_load_dword v214, off, s[0:3], 0 offset:808
	buffer_load_dword v216, off, s[0:3], 0 offset:800
	;; [unrolled: 1-line block ×16, first 2 shown]
	s_waitcnt vmcnt(54) lgkmcnt(1)
	v_mul_f64 v[60:61], v[50:51], v[184:185]
	s_waitcnt vmcnt(52)
	v_fmac_f64_e32 v[60:61], v[52:53], v[188:189]
	v_add_f64 v[118:119], v[58:59], v[60:61]
	ds_read_b128 v[58:61], v1 offset:1520
	buffer_load_dword v236, off, s[0:3], 0 offset:872
	buffer_load_dword v238, off, s[0:3], 0 offset:864
	;; [unrolled: 1-line block ×4, first 2 shown]
	ds_read_b128 v[62:65], v1 offset:1536
	s_waitcnt lgkmcnt(2)
	v_mul_f64 v[66:67], v[54:55], v[154:155]
	v_fmac_f64_e32 v[66:67], v[56:57], v[158:159]
	s_waitcnt vmcnt(50) lgkmcnt(1)
	v_mul_f64 v[68:69], v[58:59], v[192:193]
	v_add_f64 v[66:67], v[118:119], v[66:67]
	s_waitcnt vmcnt(48)
	v_fmac_f64_e32 v[68:69], v[60:61], v[194:195]
	v_add_f64 v[66:67], v[66:67], v[68:69]
	v_fma_f64 v[118:119], v[102:103], v[72:73], -v[70:71]
	ds_read_b128 v[70:73], v1 offset:1568
	s_waitcnt lgkmcnt(1)
	v_mul_f64 v[68:69], v[62:63], v[162:163]
	v_fmac_f64_e32 v[68:69], v[64:65], v[166:167]
	v_add_f64 v[78:79], v[66:67], v[68:69]
	ds_read_b128 v[66:69], v1 offset:1552
	ds_read_b128 v[74:77], v1 offset:1584
	;; [unrolled: 1-line block ×3, first 2 shown]
	v_accvgpr_write_b32 a167, v3
	v_accvgpr_write_b32 a166, v2
	s_waitcnt vmcnt(42) lgkmcnt(2)
	v_mul_f64 v[80:81], v[66:67], v[196:197]
	s_waitcnt vmcnt(40)
	v_fmac_f64_e32 v[80:81], v[68:69], v[198:199]
	v_add_f64 v[78:79], v[78:79], v[80:81]
	v_mul_f64 v[80:81], v[70:71], v[170:171]
	v_fmac_f64_e32 v[80:81], v[72:73], v[174:175]
	v_add_f64 v[90:91], v[78:79], v[80:81]
	ds_read_b128 v[78:81], v1 offset:1600
	s_waitcnt vmcnt(34) lgkmcnt(2)
	v_mul_f64 v[92:93], v[74:75], v[200:201]
	s_waitcnt vmcnt(32)
	v_fmac_f64_e32 v[92:93], v[76:77], v[202:203]
	v_fma_f64 v[2:3], v[240:241], v[88:89], -v[86:87]
	ds_read_b128 v[86:89], v1 offset:1632
	ds_read_b128 v[94:97], v1 offset:1664
	v_add_f64 v[90:91], v[90:91], v[92:93]
	s_waitcnt lgkmcnt(2)
	v_mul_f64 v[92:93], v[78:79], v[178:179]
	v_fmac_f64_e32 v[92:93], v[80:81], v[182:183]
	v_add_f64 v[90:91], v[90:91], v[92:93]
	s_waitcnt vmcnt(26)
	v_mul_f64 v[92:93], v[82:83], v[204:205]
	s_waitcnt vmcnt(24)
	v_fmac_f64_e32 v[92:93], v[84:85], v[206:207]
	v_add_f64 v[90:91], v[90:91], v[92:93]
	s_waitcnt lgkmcnt(1)
	v_mul_f64 v[92:93], v[86:87], v[186:187]
	v_fmac_f64_e32 v[92:93], v[88:89], v[190:191]
	v_add_f64 v[102:103], v[90:91], v[92:93]
	ds_read_b128 v[90:93], v1 offset:1648
	v_mul_f64 v[98:99], v[250:251], v[98:99]
	v_fma_f64 v[250:251], v[248:249], v[100:101], -v[98:99]
	ds_read_b128 v[98:101], v1 offset:1680
	v_mul_f64 v[106:107], v[254:255], v[106:107]
	v_fma_f64 v[252:253], v[252:253], v[108:109], -v[106:107]
	v_add_f64 v[220:221], v[220:221], 0
	v_add_f64 v[220:221], v[220:221], v[222:223]
	;; [unrolled: 1-line block ×8, first 2 shown]
	v_mul_f64 v[4:5], v[122:123], v[4:5]
	v_add_f64 v[2:3], v[2:3], v[252:253]
	v_fma_f64 v[4:5], v[120:121], v[130:131], -v[4:5]
	v_add_f64 v[2:3], v[2:3], v[4:5]
	ds_read_b128 v[106:109], v1 offset:1712
	s_waitcnt vmcnt(13) lgkmcnt(1)
	v_mul_f64 v[112:113], v[98:99], v[218:219]
	v_mul_f64 v[104:105], v[90:91], v[208:209]
	s_waitcnt vmcnt(11)
	v_fmac_f64_e32 v[112:113], v[100:101], v[232:233]
	v_fmac_f64_e32 v[104:105], v[92:93], v[210:211]
	v_add_f64 v[102:103], v[102:103], v[104:105]
	v_mul_f64 v[104:105], v[94:95], v[214:215]
	v_fmac_f64_e32 v[104:105], v[96:97], v[216:217]
	v_add_f64 v[110:111], v[102:103], v[104:105]
	ds_read_b128 v[102:105], v1 offset:1696
	v_add_f64 v[110:111], v[110:111], v[112:113]
	s_waitcnt vmcnt(10) lgkmcnt(0)
	v_mul_f64 v[112:113], v[102:103], v[212:213]
	s_waitcnt vmcnt(8)
	v_fmac_f64_e32 v[112:113], v[104:105], v[230:231]
	v_add_f64 v[110:111], v[110:111], v[112:113]
	s_waitcnt vmcnt(6)
	v_mul_f64 v[112:113], v[106:107], v[228:229]
	s_waitcnt vmcnt(4)
	v_fmac_f64_e32 v[112:113], v[108:109], v[234:235]
	v_add_f64 v[114:115], v[110:111], v[112:113]
	ds_read_b128 v[110:113], v1 offset:1728
	buffer_load_dword v243, off, s[0:3], 0 offset:892
	buffer_load_dword v242, off, s[0:3], 0 offset:888
	;; [unrolled: 1-line block ×4, first 2 shown]
	s_waitcnt vmcnt(5) lgkmcnt(0)
	v_mul_f64 v[116:117], v[110:111], v[236:237]
	s_waitcnt vmcnt(4)
	v_fmac_f64_e32 v[116:117], v[112:113], v[238:239]
	v_add_f64 v[240:241], v[114:115], v[116:117]
	ds_read_b128 v[114:117], v1 offset:1744
	v_accvgpr_read_b32 v0, a166
	v_accvgpr_read_b32 v1, a167
	v_mul_f64 v[4:5], v[8:9], v[0:1]
	v_fma_f64 v[4:5], v[6:7], v[124:125], -v[4:5]
	v_add_f64 v[2:3], v[2:3], v[4:5]
	v_mul_f64 v[4:5], v[12:13], v[132:133]
	v_fma_f64 v[4:5], v[10:11], v[148:149], -v[4:5]
	v_add_f64 v[2:3], v[2:3], v[4:5]
	;; [unrolled: 3-line block ×22, first 2 shown]
	v_mul_f64 v[4:5], v[96:97], v[214:215]
	v_fma_f64 v[4:5], v[94:95], v[216:217], -v[4:5]
	s_waitcnt vmcnt(2) lgkmcnt(0)
	v_mul_f64 v[248:249], v[114:115], v[242:243]
	v_add_f64 v[2:3], v[2:3], v[4:5]
	s_waitcnt vmcnt(0)
	v_fmac_f64_e32 v[248:249], v[116:117], v[244:245]
	v_add_f64 v[240:241], v[240:241], v[248:249]
	buffer_load_dword v248, off, s[0:3], 0 offset:272
	buffer_load_dword v249, off, s[0:3], 0 offset:276
	;; [unrolled: 1-line block ×4, first 2 shown]
	v_mul_f64 v[4:5], v[100:101], v[218:219]
	v_fma_f64 v[4:5], v[98:99], v[232:233], -v[4:5]
	v_add_f64 v[2:3], v[2:3], v[4:5]
	v_mul_f64 v[4:5], v[104:105], v[212:213]
	v_fma_f64 v[4:5], v[102:103], v[230:231], -v[4:5]
	v_add_f64 v[2:3], v[2:3], v[4:5]
	;; [unrolled: 3-line block ×5, first 2 shown]
	v_accvgpr_read_b32 v0, a164
	v_cmp_lt_u32_e32 vcc, 15, v0
	s_waitcnt vmcnt(2)
	v_add_f64 v[2:3], v[248:249], -v[2:3]
	s_waitcnt vmcnt(0)
	v_add_f64 v[4:5], v[246:247], -v[240:241]
	buffer_store_dword v3, off, s[0:3], 0 offset:276
	buffer_store_dword v2, off, s[0:3], 0 offset:272
	;; [unrolled: 1-line block ×4, first 2 shown]
	s_and_saveexec_b64 s[4:5], vcc
	s_cbranch_execz .LBB118_313
; %bb.312:
	v_accvgpr_read_b32 v0, a149
	buffer_load_dword v2, v0, s[0:3], 0 offen
	buffer_load_dword v3, v0, s[0:3], 0 offen offset:4
	buffer_load_dword v4, v0, s[0:3], 0 offen offset:8
	buffer_load_dword v5, v0, s[0:3], 0 offen offset:12
	v_mov_b32_e32 v0, 0
	v_accvgpr_read_b32 v1, a165
	buffer_store_dword v0, off, s[0:3], 0 offset:256
	buffer_store_dword v0, off, s[0:3], 0 offset:260
	;; [unrolled: 1-line block ×4, first 2 shown]
	s_waitcnt vmcnt(4)
	ds_write_b128 v1, v[2:5]
.LBB118_313:
	s_or_b64 exec, exec, s[4:5]
	s_waitcnt lgkmcnt(0)
	; wave barrier
	s_waitcnt lgkmcnt(0)
	buffer_load_dword v54, off, s[0:3], 0 offset:272
	buffer_load_dword v55, off, s[0:3], 0 offset:276
	;; [unrolled: 1-line block ×49, first 2 shown]
	s_waitcnt vmcnt(8)
	v_pk_mov_b32 v[2:3], v[0:1], v[0:1] op_sel:[0,1]
	v_mov_b32_e32 v1, 0
	ds_read_b128 v[62:65], v1 offset:1136
	ds_read_b128 v[74:77], v1 offset:1152
	ds_read_b128 v[86:89], v1 offset:1168
	ds_read_b128 v[98:101], v1 offset:1184
	ds_read_b128 v[110:113], v1 offset:1200
	ds_read_b128 v[114:117], v1 offset:1216
	ds_read_b128 v[236:239], v1 offset:1232
	ds_read_b128 v[240:243], v1 offset:1248
	ds_read_b128 v[244:247], v1 offset:1264
	ds_read_b128 v[248:251], v1 offset:1280
	ds_read_b128 v[120:123], v1 offset:1296
	s_waitcnt lgkmcnt(10)
	v_mul_f64 v[6:7], v[62:63], v[56:57]
	s_waitcnt lgkmcnt(9)
	v_mul_f64 v[8:9], v[74:75], v[60:61]
	v_fmac_f64_e32 v[6:7], v[64:65], v[54:55]
	s_waitcnt lgkmcnt(8)
	v_mul_f64 v[10:11], v[86:87], v[66:67]
	v_fmac_f64_e32 v[8:9], v[76:77], v[58:59]
	v_add_f64 v[6:7], v[6:7], 0
	s_waitcnt lgkmcnt(7)
	v_mul_f64 v[12:13], v[98:99], v[70:71]
	v_fmac_f64_e32 v[10:11], v[88:89], v[68:69]
	v_add_f64 v[6:7], v[6:7], v[8:9]
	;; [unrolled: 4-line block ×4, first 2 shown]
	buffer_load_dword v128, off, s[0:3], 0 offset:456
	buffer_load_dword v145, off, s[0:3], 0 offset:452
	;; [unrolled: 1-line block ×75, first 2 shown]
	s_waitcnt lgkmcnt(4)
	v_mul_f64 v[18:19], v[236:237], v[90:91]
	v_fmac_f64_e32 v[16:17], v[116:117], v[84:85]
	v_add_f64 v[6:7], v[6:7], v[14:15]
	s_waitcnt lgkmcnt(3)
	v_mul_f64 v[20:21], v[240:241], v[94:95]
	v_fmac_f64_e32 v[18:19], v[238:239], v[92:93]
	v_add_f64 v[6:7], v[6:7], v[16:17]
	;; [unrolled: 4-line block ×4, first 2 shown]
	v_add_f64 v[6:7], v[6:7], v[22:23]
	s_waitcnt vmcnt(62)
	v_fmac_f64_e32 v[24:25], v[250:251], v[108:109]
	v_add_f64 v[10:11], v[6:7], v[24:25]
	ds_read_b128 v[6:9], v1 offset:1312
	s_waitcnt lgkmcnt(1)
	v_mul_f64 v[12:13], v[120:121], v[4:5]
	v_fmac_f64_e32 v[12:13], v[122:123], v[2:3]
	v_add_f64 v[14:15], v[10:11], v[12:13]
	ds_read_b128 v[10:13], v1 offset:1328
	s_waitcnt lgkmcnt(1)
	v_mul_f64 v[16:17], v[6:7], v[128:129]
	;; [unrolled: 5-line block ×5, first 2 shown]
	v_fmac_f64_e32 v[28:29], v[20:21], v[132:133]
	v_add_f64 v[30:31], v[26:27], v[28:29]
	ds_read_b128 v[26:29], v1 offset:1392
	s_waitcnt vmcnt(58) lgkmcnt(1)
	v_mul_f64 v[32:33], v[22:23], v[156:157]
	s_waitcnt vmcnt(56)
	v_fmac_f64_e32 v[32:33], v[24:25], v[160:161]
	v_add_f64 v[34:35], v[30:31], v[32:33]
	ds_read_b128 v[30:33], v1 offset:1408
	s_waitcnt lgkmcnt(1)
	v_mul_f64 v[36:37], v[26:27], v[134:135]
	v_fmac_f64_e32 v[36:37], v[28:29], v[136:137]
	v_add_f64 v[38:39], v[34:35], v[36:37]
	ds_read_b128 v[34:37], v1 offset:1424
	s_waitcnt vmcnt(50) lgkmcnt(1)
	v_mul_f64 v[40:41], v[30:31], v[164:165]
	s_waitcnt vmcnt(48)
	v_fmac_f64_e32 v[40:41], v[32:33], v[168:169]
	v_add_f64 v[42:43], v[38:39], v[40:41]
	ds_read_b128 v[38:41], v1 offset:1440
	s_waitcnt lgkmcnt(1)
	v_mul_f64 v[44:45], v[34:35], v[138:139]
	;; [unrolled: 11-line block ×3, first 2 shown]
	buffer_load_dword v205, off, s[0:3], 0 offset:780
	buffer_load_dword v204, off, s[0:3], 0 offset:776
	;; [unrolled: 1-line block ×4, first 2 shown]
	v_fmac_f64_e32 v[52:53], v[44:45], v[146:147]
	v_add_f64 v[118:119], v[50:51], v[52:53]
	ds_read_b128 v[50:53], v1 offset:1488
	buffer_load_dword v208, off, s[0:3], 0 offset:792
	buffer_load_dword v210, off, s[0:3], 0 offset:784
	;; [unrolled: 1-line block ×12, first 2 shown]
	s_waitcnt vmcnt(50) lgkmcnt(1)
	v_mul_f64 v[212:213], v[46:47], v[180:181]
	s_waitcnt vmcnt(48)
	v_fmac_f64_e32 v[212:213], v[48:49], v[184:185]
	v_add_f64 v[118:119], v[118:119], v[212:213]
	buffer_load_dword v212, off, s[0:3], 0 offset:856
	buffer_load_dword v233, off, s[0:3], 0 offset:844
	buffer_load_dword v232, off, s[0:3], 0 offset:840
	buffer_load_dword v235, off, s[0:3], 0 offset:836
	buffer_load_dword v234, off, s[0:3], 0 offset:832
	buffer_load_dword v230, off, s[0:3], 0 offset:848
	buffer_load_dword v213, off, s[0:3], 0 offset:860
	buffer_load_dword v231, off, s[0:3], 0 offset:852
	v_mul_f64 v[56:57], v[64:65], v[56:57]
	v_fma_f64 v[220:221], v[62:63], v[54:55], -v[56:57]
	ds_read_b128 v[54:57], v1 offset:1504
	v_mul_f64 v[60:61], v[76:77], v[60:61]
	v_fma_f64 v[222:223], v[74:75], v[58:59], -v[60:61]
	ds_read_b128 v[58:61], v1 offset:1520
	s_waitcnt lgkmcnt(2)
	v_mul_f64 v[62:63], v[50:51], v[150:151]
	v_fmac_f64_e32 v[62:63], v[52:53], v[154:155]
	s_waitcnt vmcnt(50) lgkmcnt(1)
	v_mul_f64 v[64:65], v[54:55], v[188:189]
	v_add_f64 v[62:63], v[118:119], v[62:63]
	s_waitcnt vmcnt(48)
	v_fmac_f64_e32 v[64:65], v[56:57], v[190:191]
	v_add_f64 v[62:63], v[62:63], v[64:65]
	s_waitcnt lgkmcnt(0)
	v_mul_f64 v[64:65], v[58:59], v[158:159]
	v_fmac_f64_e32 v[64:65], v[60:61], v[162:163]
	v_add_f64 v[74:75], v[62:63], v[64:65]
	ds_read_b128 v[62:65], v1 offset:1536
	v_mul_f64 v[66:67], v[88:89], v[66:67]
	v_fma_f64 v[118:119], v[86:87], v[68:69], -v[66:67]
	ds_read_b128 v[66:69], v1 offset:1552
	v_mul_f64 v[70:71], v[100:101], v[70:71]
	s_waitcnt vmcnt(42) lgkmcnt(1)
	v_mul_f64 v[76:77], v[62:63], v[192:193]
	s_waitcnt vmcnt(40)
	v_fmac_f64_e32 v[76:77], v[64:65], v[194:195]
	v_add_f64 v[74:75], v[74:75], v[76:77]
	v_fma_f64 v[224:225], v[98:99], v[72:73], -v[70:71]
	ds_read_b128 v[70:73], v1 offset:1568
	s_waitcnt lgkmcnt(1)
	v_mul_f64 v[76:77], v[66:67], v[166:167]
	v_fmac_f64_e32 v[76:77], v[68:69], v[170:171]
	v_add_f64 v[86:87], v[74:75], v[76:77]
	ds_read_b128 v[74:77], v1 offset:1584
	v_mul_f64 v[78:79], v[112:113], v[78:79]
	v_fma_f64 v[226:227], v[110:111], v[80:81], -v[78:79]
	ds_read_b128 v[78:81], v1 offset:1600
	s_waitcnt vmcnt(34) lgkmcnt(2)
	v_mul_f64 v[88:89], v[70:71], v[196:197]
	v_mul_f64 v[82:83], v[116:117], v[82:83]
	s_waitcnt vmcnt(32)
	v_fmac_f64_e32 v[88:89], v[72:73], v[198:199]
	v_fma_f64 v[252:253], v[114:115], v[84:85], -v[82:83]
	ds_read_b128 v[82:85], v1 offset:1616
	v_add_f64 v[86:87], v[86:87], v[88:89]
	s_waitcnt lgkmcnt(2)
	v_mul_f64 v[88:89], v[74:75], v[174:175]
	v_fmac_f64_e32 v[88:89], v[76:77], v[178:179]
	v_add_f64 v[86:87], v[86:87], v[88:89]
	s_waitcnt vmcnt(26) lgkmcnt(1)
	v_mul_f64 v[88:89], v[78:79], v[200:201]
	s_waitcnt vmcnt(24)
	v_fmac_f64_e32 v[88:89], v[80:81], v[202:203]
	v_add_f64 v[86:87], v[86:87], v[88:89]
	s_waitcnt lgkmcnt(0)
	v_mul_f64 v[88:89], v[82:83], v[182:183]
	v_fmac_f64_e32 v[88:89], v[84:85], v[186:187]
	v_add_f64 v[98:99], v[86:87], v[88:89]
	ds_read_b128 v[86:89], v1 offset:1632
	v_mul_f64 v[90:91], v[238:239], v[90:91]
	v_fma_f64 v[254:255], v[236:237], v[92:93], -v[90:91]
	ds_read_b128 v[90:93], v1 offset:1648
	v_accvgpr_write_b32 a167, v3
	v_mul_f64 v[94:95], v[242:243], v[94:95]
	v_accvgpr_write_b32 a166, v2
	v_fma_f64 v[2:3], v[240:241], v[96:97], -v[94:95]
	ds_read_b128 v[94:97], v1 offset:1664
	v_mul_f64 v[102:103], v[246:247], v[102:103]
	v_fma_f64 v[246:247], v[244:245], v[104:105], -v[102:103]
	ds_read_b128 v[102:105], v1 offset:1696
	v_mul_f64 v[106:107], v[250:251], v[106:107]
	v_fma_f64 v[250:251], v[248:249], v[108:109], -v[106:107]
	ds_read_b128 v[106:109], v1 offset:1712
	v_add_f64 v[220:221], v[220:221], 0
	v_add_f64 v[220:221], v[220:221], v[222:223]
	;; [unrolled: 1-line block ×6, first 2 shown]
	s_waitcnt vmcnt(22) lgkmcnt(4)
	v_mul_f64 v[100:101], v[86:87], v[204:205]
	v_add_f64 v[118:119], v[118:119], v[254:255]
	s_waitcnt vmcnt(20)
	v_fmac_f64_e32 v[100:101], v[88:89], v[206:207]
	v_add_f64 v[98:99], v[98:99], v[100:101]
	v_add_f64 v[2:3], v[118:119], v[2:3]
	s_waitcnt vmcnt(17) lgkmcnt(3)
	v_mul_f64 v[100:101], v[90:91], v[208:209]
	s_waitcnt vmcnt(16)
	v_fmac_f64_e32 v[100:101], v[92:93], v[210:211]
	v_add_f64 v[110:111], v[98:99], v[100:101]
	ds_read_b128 v[98:101], v1 offset:1680
	s_waitcnt vmcnt(14) lgkmcnt(3)
	v_mul_f64 v[112:113], v[94:95], v[214:215]
	s_waitcnt vmcnt(12)
	v_fmac_f64_e32 v[112:113], v[96:97], v[218:219]
	buffer_load_dword v237, off, s[0:3], 0 offset:876
	buffer_load_dword v236, off, s[0:3], 0 offset:872
	;; [unrolled: 1-line block ×4, first 2 shown]
	v_add_f64 v[110:111], v[110:111], v[112:113]
	s_waitcnt vmcnt(14) lgkmcnt(0)
	v_mul_f64 v[112:113], v[98:99], v[216:217]
	s_waitcnt vmcnt(12)
	v_fmac_f64_e32 v[112:113], v[100:101], v[228:229]
	v_add_f64 v[110:111], v[110:111], v[112:113]
	s_waitcnt vmcnt(9)
	v_mul_f64 v[112:113], v[102:103], v[232:233]
	s_waitcnt vmcnt(7)
	v_fmac_f64_e32 v[112:113], v[104:105], v[234:235]
	v_add_f64 v[110:111], v[110:111], v[112:113]
	s_waitcnt vmcnt(5)
	v_mul_f64 v[112:113], v[106:107], v[212:213]
	s_waitcnt vmcnt(4)
	v_fmac_f64_e32 v[112:113], v[108:109], v[230:231]
	v_add_f64 v[114:115], v[110:111], v[112:113]
	ds_read_b128 v[110:113], v1 offset:1728
	buffer_load_dword v242, off, s[0:3], 0 offset:888
	buffer_load_dword v243, off, s[0:3], 0 offset:892
	;; [unrolled: 1-line block ×4, first 2 shown]
	v_add_f64 v[252:253], v[2:3], v[246:247]
	v_accvgpr_read_b32 v118, a166
	v_mul_f64 v[4:5], v[122:123], v[4:5]
	v_accvgpr_read_b32 v119, a167
	v_add_f64 v[2:3], v[252:253], v[250:251]
	v_fma_f64 v[4:5], v[120:121], v[118:119], -v[4:5]
	v_add_f64 v[2:3], v[2:3], v[4:5]
	v_mul_f64 v[4:5], v[8:9], v[128:129]
	v_fma_f64 v[4:5], v[6:7], v[144:145], -v[4:5]
	v_add_f64 v[2:3], v[2:3], v[4:5]
	v_mul_f64 v[4:5], v[12:13], v[124:125]
	;; [unrolled: 3-line block ×20, first 2 shown]
	s_waitcnt vmcnt(6) lgkmcnt(0)
	v_mul_f64 v[116:117], v[110:111], v[236:237]
	v_fma_f64 v[4:5], v[82:83], v[186:187], -v[4:5]
	s_waitcnt vmcnt(4)
	v_fmac_f64_e32 v[116:117], v[112:113], v[238:239]
	v_add_f64 v[240:241], v[114:115], v[116:117]
	ds_read_b128 v[114:117], v1 offset:1744
	v_add_f64 v[2:3], v[2:3], v[4:5]
	v_mul_f64 v[4:5], v[88:89], v[204:205]
	v_fma_f64 v[4:5], v[86:87], v[206:207], -v[4:5]
	v_add_f64 v[2:3], v[2:3], v[4:5]
	v_mul_f64 v[4:5], v[92:93], v[208:209]
	v_fma_f64 v[4:5], v[90:91], v[210:211], -v[4:5]
	v_add_f64 v[2:3], v[2:3], v[4:5]
	s_waitcnt vmcnt(2) lgkmcnt(0)
	v_mul_f64 v[248:249], v[114:115], v[242:243]
	v_mul_f64 v[4:5], v[96:97], v[214:215]
	s_waitcnt vmcnt(0)
	v_fmac_f64_e32 v[248:249], v[116:117], v[244:245]
	v_add_f64 v[240:241], v[240:241], v[248:249]
	buffer_load_dword v248, off, s[0:3], 0 offset:256
	buffer_load_dword v249, off, s[0:3], 0 offset:260
	;; [unrolled: 1-line block ×4, first 2 shown]
	v_fma_f64 v[4:5], v[94:95], v[218:219], -v[4:5]
	v_add_f64 v[2:3], v[2:3], v[4:5]
	v_mul_f64 v[4:5], v[100:101], v[216:217]
	v_fma_f64 v[4:5], v[98:99], v[228:229], -v[4:5]
	v_add_f64 v[2:3], v[2:3], v[4:5]
	v_mul_f64 v[4:5], v[104:105], v[232:233]
	;; [unrolled: 3-line block ×5, first 2 shown]
	v_fma_f64 v[4:5], v[114:115], v[244:245], -v[4:5]
	v_add_f64 v[2:3], v[2:3], v[4:5]
	v_accvgpr_read_b32 v0, a164
	v_cmp_lt_u32_e32 vcc, 14, v0
	s_waitcnt vmcnt(2)
	v_add_f64 v[2:3], v[248:249], -v[2:3]
	s_waitcnt vmcnt(0)
	v_add_f64 v[4:5], v[246:247], -v[240:241]
	buffer_store_dword v3, off, s[0:3], 0 offset:260
	buffer_store_dword v2, off, s[0:3], 0 offset:256
	;; [unrolled: 1-line block ×4, first 2 shown]
	s_and_saveexec_b64 s[4:5], vcc
	s_cbranch_execz .LBB118_315
; %bb.314:
	v_accvgpr_read_b32 v0, a150
	buffer_load_dword v2, v0, s[0:3], 0 offen
	buffer_load_dword v3, v0, s[0:3], 0 offen offset:4
	buffer_load_dword v4, v0, s[0:3], 0 offen offset:8
	;; [unrolled: 1-line block ×3, first 2 shown]
	v_accvgpr_read_b32 v0, a165
	buffer_store_dword v1, off, s[0:3], 0 offset:240
	buffer_store_dword v1, off, s[0:3], 0 offset:244
	;; [unrolled: 1-line block ×4, first 2 shown]
	s_waitcnt vmcnt(4)
	ds_write_b128 v0, v[2:5]
.LBB118_315:
	s_or_b64 exec, exec, s[4:5]
	s_waitcnt lgkmcnt(0)
	; wave barrier
	s_waitcnt lgkmcnt(0)
	buffer_load_dword v56, off, s[0:3], 0 offset:256
	buffer_load_dword v57, off, s[0:3], 0 offset:260
	;; [unrolled: 1-line block ×42, first 2 shown]
	ds_read_b128 v[78:81], v1 offset:1120
	ds_read_b128 v[90:93], v1 offset:1136
	;; [unrolled: 1-line block ×10, first 2 shown]
	buffer_load_dword v105, off, s[0:3], 0 offset:404
	buffer_load_dword v104, off, s[0:3], 0 offset:400
	ds_read_b128 v[106:109], v1 offset:1280
	buffer_load_dword v3, off, s[0:3], 0 offset:460
	buffer_load_dword v2, off, s[0:3], 0 offset:456
	s_waitcnt vmcnt(38) lgkmcnt(9)
	v_mul_f64 v[4:5], v[90:91], v[62:63]
	v_fmac_f64_e32 v[4:5], v[92:93], v[54:55]
	s_waitcnt vmcnt(36) lgkmcnt(8)
	v_mul_f64 v[6:7], v[114:115], v[58:59]
	v_mul_f64 v[58:59], v[116:117], v[58:59]
	s_waitcnt vmcnt(34) lgkmcnt(6)
	v_mul_f64 v[10:11], v[240:241], v[70:71]
	v_mul_f64 v[70:71], v[242:243], v[70:71]
	s_waitcnt vmcnt(32)
	v_fmac_f64_e32 v[10:11], v[242:243], v[72:73]
	v_fma_f64 v[240:241], v[240:241], v[72:73], -v[70:71]
	s_waitcnt vmcnt(30)
	v_mul_f64 v[8:9], v[236:237], v[64:65]
	s_waitcnt vmcnt(28) lgkmcnt(4)
	v_mul_f64 v[14:15], v[248:249], v[82:83]
	v_mul_f64 v[82:83], v[250:251], v[82:83]
	s_waitcnt vmcnt(26)
	v_fmac_f64_e32 v[14:15], v[250:251], v[84:85]
	v_fma_f64 v[248:249], v[248:249], v[84:85], -v[82:83]
	s_waitcnt vmcnt(24)
	v_mul_f64 v[12:13], v[244:245], v[74:75]
	v_mul_f64 v[74:75], v[246:247], v[74:75]
	s_waitcnt vmcnt(22) lgkmcnt(2)
	v_mul_f64 v[18:19], v[220:221], v[94:95]
	v_mul_f64 v[94:95], v[222:223], v[94:95]
	s_waitcnt vmcnt(19)
	v_mul_f64 v[16:17], v[252:253], v[86:87]
	v_mul_f64 v[86:87], v[254:255], v[86:87]
	s_waitcnt vmcnt(17) lgkmcnt(1)
	v_mul_f64 v[20:21], v[98:99], v[102:103]
	s_waitcnt vmcnt(15)
	v_fmac_f64_e32 v[6:7], v[116:117], v[68:69]
	s_waitcnt vmcnt(13)
	v_fmac_f64_e32 v[8:9], v[238:239], v[66:67]
	;; [unrolled: 2-line block ×3, first 2 shown]
	v_fma_f64 v[246:247], v[244:245], v[76:77], -v[74:75]
	s_waitcnt vmcnt(9)
	v_fmac_f64_e32 v[16:17], v[254:255], v[88:89]
	s_waitcnt vmcnt(8)
	v_fmac_f64_e32 v[18:19], v[222:223], v[96:97]
	v_fma_f64 v[254:255], v[252:253], v[88:89], -v[86:87]
	v_fma_f64 v[220:221], v[220:221], v[96:97], -v[94:95]
	s_waitcnt vmcnt(2)
	v_fmac_f64_e32 v[20:21], v[100:101], v[104:105]
	v_mul_f64 v[100:101], v[100:101], v[102:103]
	s_waitcnt vmcnt(0)
	v_pk_mov_b32 v[22:23], v[2:3], v[2:3] op_sel:[0,1]
	buffer_load_dword v3, off, s[0:3], 0 offset:452
	buffer_load_dword v2, off, s[0:3], 0 offset:448
	;; [unrolled: 1-line block ×78, first 2 shown]
	ds_read_b128 v[120:123], v1 offset:1296
	v_accvgpr_write_b32 a167, v23
	v_accvgpr_write_b32 a166, v22
	v_fma_f64 v[250:251], v[98:99], v[104:105], -v[100:101]
	s_waitcnt vmcnt(62)
	v_pk_mov_b32 v[24:25], v[2:3], v[2:3] op_sel:[0,1]
	v_mul_f64 v[2:3], v[78:79], v[60:61]
	v_fmac_f64_e32 v[2:3], v[80:81], v[56:57]
	v_add_f64 v[2:3], v[2:3], 0
	v_add_f64 v[2:3], v[2:3], v[4:5]
	;; [unrolled: 1-line block ×9, first 2 shown]
	s_waitcnt lgkmcnt(1)
	v_mul_f64 v[8:9], v[106:107], v[110:111]
	v_add_f64 v[6:7], v[2:3], v[20:21]
	v_fmac_f64_e32 v[8:9], v[108:109], v[112:113]
	v_add_f64 v[10:11], v[6:7], v[8:9]
	ds_read_b128 v[6:9], v1 offset:1312
	s_waitcnt lgkmcnt(1)
	v_mul_f64 v[12:13], v[120:121], v[124:125]
	v_fmac_f64_e32 v[12:13], v[122:123], v[140:141]
	v_add_f64 v[14:15], v[10:11], v[12:13]
	ds_read_b128 v[10:13], v1 offset:1328
	s_waitcnt lgkmcnt(1)
	v_mul_f64 v[16:17], v[6:7], v[22:23]
	v_fmac_f64_e32 v[16:17], v[8:9], v[24:25]
	v_add_f64 v[18:19], v[14:15], v[16:17]
	ds_read_b128 v[14:17], v1 offset:1344
	s_waitcnt lgkmcnt(1)
	v_mul_f64 v[20:21], v[10:11], v[144:145]
	v_fmac_f64_e32 v[20:21], v[12:13], v[148:149]
	v_add_f64 v[22:23], v[18:19], v[20:21]
	ds_read_b128 v[18:21], v1 offset:1360
	v_accvgpr_write_b32 a169, v25
	v_accvgpr_write_b32 a168, v24
	s_waitcnt lgkmcnt(1)
	v_mul_f64 v[24:25], v[14:15], v[126:127]
	v_fmac_f64_e32 v[24:25], v[16:17], v[128:129]
	v_add_f64 v[26:27], v[22:23], v[24:25]
	ds_read_b128 v[22:25], v1 offset:1376
	s_waitcnt vmcnt(58) lgkmcnt(1)
	v_mul_f64 v[28:29], v[18:19], v[152:153]
	s_waitcnt vmcnt(56)
	v_fmac_f64_e32 v[28:29], v[20:21], v[156:157]
	v_add_f64 v[30:31], v[26:27], v[28:29]
	ds_read_b128 v[26:29], v1 offset:1392
	s_waitcnt lgkmcnt(1)
	v_mul_f64 v[32:33], v[22:23], v[130:131]
	v_fmac_f64_e32 v[32:33], v[24:25], v[132:133]
	v_add_f64 v[34:35], v[30:31], v[32:33]
	ds_read_b128 v[30:33], v1 offset:1408
	s_waitcnt vmcnt(50) lgkmcnt(1)
	v_mul_f64 v[36:37], v[26:27], v[160:161]
	s_waitcnt vmcnt(48)
	v_fmac_f64_e32 v[36:37], v[28:29], v[164:165]
	v_add_f64 v[38:39], v[34:35], v[36:37]
	ds_read_b128 v[34:37], v1 offset:1424
	;; [unrolled: 11-line block ×4, first 2 shown]
	buffer_load_dword v200, off, s[0:3], 0 offset:776
	buffer_load_dword v205, off, s[0:3], 0 offset:764
	buffer_load_dword v204, off, s[0:3], 0 offset:760
	buffer_load_dword v207, off, s[0:3], 0 offset:756
	buffer_load_dword v206, off, s[0:3], 0 offset:752
	buffer_load_dword v202, off, s[0:3], 0 offset:768
	buffer_load_dword v201, off, s[0:3], 0 offset:780
	buffer_load_dword v203, off, s[0:3], 0 offset:772
	s_waitcnt lgkmcnt(1)
	v_mul_f64 v[208:209], v[46:47], v[146:147]
	v_fmac_f64_e32 v[208:209], v[48:49], v[150:151]
	v_add_f64 v[118:119], v[118:119], v[208:209]
	buffer_load_dword v209, off, s[0:3], 0 offset:796
	buffer_load_dword v208, off, s[0:3], 0 offset:792
	;; [unrolled: 1-line block ×20, first 2 shown]
	v_mul_f64 v[60:61], v[80:81], v[60:61]
	s_waitcnt vmcnt(54) lgkmcnt(0)
	v_mul_f64 v[224:225], v[50:51], v[184:185]
	v_fma_f64 v[226:227], v[78:79], v[56:57], -v[60:61]
	v_mul_f64 v[56:57], v[92:93], v[62:63]
	v_fma_f64 v[2:3], v[90:91], v[54:55], -v[56:57]
	s_waitcnt vmcnt(52)
	v_fmac_f64_e32 v[224:225], v[52:53], v[186:187]
	ds_read_b128 v[54:57], v1 offset:1504
	v_add_f64 v[4:5], v[118:119], v[224:225]
	v_fma_f64 v[118:119], v[114:115], v[68:69], -v[58:59]
	ds_read_b128 v[58:61], v1 offset:1520
	v_mul_f64 v[62:63], v[238:239], v[64:65]
	v_fma_f64 v[224:225], v[236:237], v[66:67], -v[62:63]
	ds_read_b128 v[62:65], v1 offset:1536
	ds_read_b128 v[70:73], v1 offset:1568
	s_waitcnt lgkmcnt(3)
	v_mul_f64 v[68:69], v[54:55], v[154:155]
	v_fmac_f64_e32 v[68:69], v[56:57], v[158:159]
	s_waitcnt vmcnt(46) lgkmcnt(2)
	v_mul_f64 v[66:67], v[58:59], v[188:189]
	v_add_f64 v[4:5], v[4:5], v[68:69]
	s_waitcnt vmcnt(44)
	v_fmac_f64_e32 v[66:67], v[60:61], v[190:191]
	v_add_f64 v[4:5], v[4:5], v[66:67]
	s_waitcnt lgkmcnt(1)
	v_mul_f64 v[66:67], v[62:63], v[162:163]
	v_fmac_f64_e32 v[66:67], v[64:65], v[166:167]
	v_add_f64 v[4:5], v[4:5], v[66:67]
	ds_read_b128 v[66:69], v1 offset:1552
	ds_read_b128 v[74:77], v1 offset:1584
	;; [unrolled: 1-line block ×5, first 2 shown]
	s_waitcnt vmcnt(38) lgkmcnt(4)
	v_mul_f64 v[78:79], v[66:67], v[192:193]
	s_waitcnt vmcnt(36)
	v_fmac_f64_e32 v[78:79], v[68:69], v[194:195]
	v_add_f64 v[4:5], v[4:5], v[78:79]
	v_mul_f64 v[78:79], v[70:71], v[170:171]
	v_fmac_f64_e32 v[78:79], v[72:73], v[174:175]
	v_add_f64 v[4:5], v[4:5], v[78:79]
	s_waitcnt vmcnt(30) lgkmcnt(3)
	v_mul_f64 v[78:79], v[74:75], v[196:197]
	s_waitcnt vmcnt(28)
	v_fmac_f64_e32 v[78:79], v[76:77], v[198:199]
	v_add_f64 v[4:5], v[4:5], v[78:79]
	ds_read_b128 v[78:81], v1 offset:1600
	v_mul_f64 v[108:109], v[108:109], v[110:111]
	v_fma_f64 v[252:253], v[106:107], v[112:113], -v[108:109]
	ds_read_b128 v[98:101], v1 offset:1680
	ds_read_b128 v[106:109], v1 offset:1712
	s_waitcnt lgkmcnt(2)
	v_mul_f64 v[90:91], v[78:79], v[178:179]
	v_fmac_f64_e32 v[90:91], v[80:81], v[182:183]
	v_add_f64 v[4:5], v[4:5], v[90:91]
	s_waitcnt vmcnt(25)
	v_mul_f64 v[90:91], v[82:83], v[204:205]
	s_waitcnt vmcnt(23)
	v_fmac_f64_e32 v[90:91], v[84:85], v[206:207]
	v_add_f64 v[4:5], v[4:5], v[90:91]
	s_waitcnt vmcnt(21)
	v_mul_f64 v[90:91], v[86:87], v[200:201]
	s_waitcnt vmcnt(20)
	v_fmac_f64_e32 v[90:91], v[88:89], v[202:203]
	v_add_f64 v[4:5], v[4:5], v[90:91]
	ds_read_b128 v[90:93], v1 offset:1648
	s_waitcnt vmcnt(14)
	v_mul_f64 v[102:103], v[94:95], v[214:215]
	s_waitcnt vmcnt(9) lgkmcnt(2)
	v_mul_f64 v[110:111], v[98:99], v[228:229]
	v_fmac_f64_e32 v[102:103], v[96:97], v[216:217]
	s_waitcnt vmcnt(7)
	v_fmac_f64_e32 v[110:111], v[100:101], v[232:233]
	s_waitcnt lgkmcnt(0)
	v_mul_f64 v[114:115], v[90:91], v[208:209]
	v_fmac_f64_e32 v[114:115], v[92:93], v[210:211]
	v_add_f64 v[4:5], v[4:5], v[114:115]
	v_add_f64 v[4:5], v[4:5], v[102:103]
	ds_read_b128 v[102:105], v1 offset:1696
	buffer_load_dword v236, off, s[0:3], 0 offset:872
	buffer_load_dword v237, off, s[0:3], 0 offset:876
	;; [unrolled: 1-line block ×4, first 2 shown]
	v_add_f64 v[4:5], v[4:5], v[110:111]
	s_waitcnt vmcnt(9) lgkmcnt(0)
	v_mul_f64 v[110:111], v[102:103], v[212:213]
	s_waitcnt vmcnt(8)
	v_fmac_f64_e32 v[110:111], v[104:105], v[218:219]
	v_add_f64 v[4:5], v[4:5], v[110:111]
	s_waitcnt vmcnt(6)
	v_mul_f64 v[110:111], v[106:107], v[230:231]
	s_waitcnt vmcnt(4)
	v_fmac_f64_e32 v[110:111], v[108:109], v[234:235]
	v_add_f64 v[4:5], v[4:5], v[110:111]
	ds_read_b128 v[110:113], v1 offset:1728
	buffer_load_dword v243, off, s[0:3], 0 offset:892
	buffer_load_dword v242, off, s[0:3], 0 offset:888
	;; [unrolled: 1-line block ×4, first 2 shown]
	s_waitcnt vmcnt(6) lgkmcnt(0)
	v_mul_f64 v[114:115], v[110:111], v[236:237]
	s_waitcnt vmcnt(4)
	v_fmac_f64_e32 v[114:115], v[112:113], v[238:239]
	v_add_f64 v[4:5], v[4:5], v[114:115]
	ds_read_b128 v[114:117], v1 offset:1744
	v_accvgpr_read_b32 v0, a166
	v_accvgpr_read_b32 v1, a167
	v_mul_f64 v[8:9], v[8:9], v[0:1]
	v_accvgpr_read_b32 v0, a168
	v_accvgpr_read_b32 v1, a169
	v_fma_f64 v[6:7], v[6:7], v[0:1], -v[8:9]
	s_waitcnt vmcnt(2) lgkmcnt(0)
	v_mul_f64 v[222:223], v[114:115], v[242:243]
	v_accvgpr_read_b32 v0, a164
	s_waitcnt vmcnt(0)
	v_fmac_f64_e32 v[222:223], v[116:117], v[244:245]
	v_add_f64 v[4:5], v[4:5], v[222:223]
	v_add_f64 v[222:223], v[226:227], 0
	;; [unrolled: 1-line block ×8, first 2 shown]
	buffer_load_dword v248, off, s[0:3], 0 offset:240
	buffer_load_dword v249, off, s[0:3], 0 offset:244
	buffer_load_dword v246, off, s[0:3], 0 offset:248
	buffer_load_dword v247, off, s[0:3], 0 offset:252
	v_add_f64 v[2:3], v[2:3], v[254:255]
	v_add_f64 v[254:255], v[2:3], v[220:221]
	;; [unrolled: 1-line block ×3, first 2 shown]
	v_mul_f64 v[118:119], v[122:123], v[124:125]
	v_add_f64 v[2:3], v[2:3], v[252:253]
	v_fma_f64 v[118:119], v[120:121], v[140:141], -v[118:119]
	v_add_f64 v[2:3], v[2:3], v[118:119]
	v_add_f64 v[2:3], v[2:3], v[6:7]
	v_mul_f64 v[6:7], v[12:13], v[144:145]
	v_fma_f64 v[6:7], v[10:11], v[148:149], -v[6:7]
	v_add_f64 v[2:3], v[2:3], v[6:7]
	v_mul_f64 v[6:7], v[16:17], v[126:127]
	v_fma_f64 v[6:7], v[14:15], v[128:129], -v[6:7]
	;; [unrolled: 3-line block ×27, first 2 shown]
	v_add_f64 v[2:3], v[2:3], v[6:7]
	s_waitcnt vmcnt(2)
	v_add_f64 v[2:3], v[248:249], -v[2:3]
	v_cmp_lt_u32_e32 vcc, 13, v0
	s_waitcnt vmcnt(0)
	v_add_f64 v[4:5], v[246:247], -v[4:5]
	buffer_store_dword v3, off, s[0:3], 0 offset:244
	buffer_store_dword v2, off, s[0:3], 0 offset:240
	;; [unrolled: 1-line block ×4, first 2 shown]
	s_and_saveexec_b64 s[4:5], vcc
	s_cbranch_execz .LBB118_317
; %bb.316:
	v_accvgpr_read_b32 v0, a151
	buffer_load_dword v2, v0, s[0:3], 0 offen
	buffer_load_dword v3, v0, s[0:3], 0 offen offset:4
	buffer_load_dword v4, v0, s[0:3], 0 offen offset:8
	;; [unrolled: 1-line block ×3, first 2 shown]
	v_mov_b32_e32 v0, 0
	v_accvgpr_read_b32 v1, a165
	buffer_store_dword v0, off, s[0:3], 0 offset:224
	buffer_store_dword v0, off, s[0:3], 0 offset:228
	;; [unrolled: 1-line block ×4, first 2 shown]
	s_waitcnt vmcnt(4)
	ds_write_b128 v1, v[2:5]
.LBB118_317:
	s_or_b64 exec, exec, s[4:5]
	s_waitcnt lgkmcnt(0)
	; wave barrier
	s_waitcnt lgkmcnt(0)
	buffer_load_dword v54, off, s[0:3], 0 offset:240
	buffer_load_dword v55, off, s[0:3], 0 offset:244
	;; [unrolled: 1-line block ×46, first 2 shown]
	v_mov_b32_e32 v1, 0
	v_accvgpr_read_b32 v0, a164
	v_cmp_lt_u32_e32 vcc, 12, v0
	s_waitcnt vmcnt(0)
	v_pk_mov_b32 v[22:23], v[2:3], v[2:3] op_sel:[0,1]
	buffer_load_dword v3, off, s[0:3], 0 offset:436
	buffer_load_dword v2, off, s[0:3], 0 offset:432
	;; [unrolled: 1-line block ×3, first 2 shown]
	ds_read_b128 v[94:97], v1 offset:1104
	ds_read_b128 v[108:111], v1 offset:1120
	ds_read_b128 v[112:115], v1 offset:1136
	ds_read_b128 v[220:223], v1 offset:1152
	ds_read_b128 v[236:239], v1 offset:1168
	ds_read_b128 v[240:243], v1 offset:1184
	ds_read_b128 v[244:247], v1 offset:1200
	ds_read_b128 v[248:251], v1 offset:1216
	ds_read_b128 v[252:255], v1 offset:1232
	ds_read_b128 v[224:227], v1 offset:1248
	ds_read_b128 v[98:101], v1 offset:1264
	s_waitcnt lgkmcnt(9)
	v_mul_f64 v[4:5], v[108:109], v[62:63]
	v_fmac_f64_e32 v[4:5], v[110:111], v[58:59]
	s_waitcnt lgkmcnt(8)
	v_mul_f64 v[6:7], v[112:113], v[60:61]
	s_waitcnt lgkmcnt(7)
	v_mul_f64 v[8:9], v[220:221], v[68:69]
	v_fmac_f64_e32 v[6:7], v[114:115], v[84:85]
	s_waitcnt lgkmcnt(6)
	v_mul_f64 v[10:11], v[236:237], v[64:65]
	v_fmac_f64_e32 v[8:9], v[222:223], v[82:83]
	;; [unrolled: 3-line block ×7, first 2 shown]
	v_fmac_f64_e32 v[20:21], v[226:227], v[92:93]
	v_accvgpr_write_b32 a167, v23
	v_accvgpr_write_b32 a166, v22
	v_mul_f64 v[62:63], v[110:111], v[62:63]
	v_mul_f64 v[74:75], v[246:247], v[74:75]
	v_fma_f64 v[246:247], v[244:245], v[76:77], -v[74:75]
	v_mul_f64 v[78:79], v[250:251], v[78:79]
	v_fma_f64 v[248:249], v[248:249], v[80:81], -v[78:79]
	;; [unrolled: 2-line block ×4, first 2 shown]
	s_waitcnt vmcnt(1)
	v_pk_mov_b32 v[24:25], v[2:3], v[2:3] op_sel:[0,1]
	v_mul_f64 v[2:3], v[94:95], v[56:57]
	v_fmac_f64_e32 v[2:3], v[96:97], v[54:55]
	v_add_f64 v[2:3], v[2:3], 0
	v_add_f64 v[2:3], v[2:3], v[4:5]
	buffer_load_dword v106, off, s[0:3], 0 offset:424
	buffer_load_dword v233, off, s[0:3], 0 offset:420
	;; [unrolled: 1-line block ×75, first 2 shown]
	v_add_f64 v[2:3], v[2:3], v[6:7]
	v_add_f64 v[2:3], v[2:3], v[8:9]
	;; [unrolled: 1-line block ×3, first 2 shown]
	ds_read_b128 v[116:119], v1 offset:1280
	ds_read_b128 v[120:123], v1 offset:1296
	v_add_f64 v[2:3], v[2:3], v[12:13]
	v_add_f64 v[2:3], v[2:3], v[14:15]
	;; [unrolled: 1-line block ×5, first 2 shown]
	s_waitcnt lgkmcnt(0)
	v_mul_f64 v[12:13], v[120:121], v[22:23]
	ds_read_b128 v[196:199], v1 offset:1312
	v_fmac_f64_e32 v[12:13], v[122:123], v[24:25]
	v_accvgpr_write_b32 a169, v25
	v_accvgpr_write_b32 a168, v24
	v_mul_f64 v[56:57], v[96:97], v[56:57]
	s_waitcnt vmcnt(62)
	v_mul_f64 v[8:9], v[116:117], v[106:107]
	v_fmac_f64_e32 v[8:9], v[118:119], v[232:233]
	v_pk_mov_b32 v[26:27], v[4:5], v[4:5] op_sel:[0,1]
	v_mul_f64 v[4:5], v[98:99], v[102:103]
	v_fmac_f64_e32 v[4:5], v[100:101], v[104:105]
	v_add_f64 v[6:7], v[2:3], v[4:5]
	v_add_f64 v[10:11], v[6:7], v[8:9]
	;; [unrolled: 1-line block ×3, first 2 shown]
	ds_read_b128 v[10:13], v1 offset:1328
	s_waitcnt lgkmcnt(1)
	v_mul_f64 v[16:17], v[196:197], v[140:141]
	v_fmac_f64_e32 v[16:17], v[198:199], v[144:145]
	v_add_f64 v[18:19], v[14:15], v[16:17]
	ds_read_b128 v[14:17], v1 offset:1344
	s_waitcnt lgkmcnt(1)
	v_mul_f64 v[20:21], v[10:11], v[26:27]
	v_fmac_f64_e32 v[20:21], v[12:13], v[126:127]
	v_add_f64 v[22:23], v[18:19], v[20:21]
	ds_read_b128 v[18:21], v1 offset:1360
	s_waitcnt vmcnt(58) lgkmcnt(1)
	v_mul_f64 v[24:25], v[14:15], v[148:149]
	v_accvgpr_write_b32 a171, v27
	s_waitcnt vmcnt(56)
	v_fmac_f64_e32 v[24:25], v[16:17], v[152:153]
	v_accvgpr_write_b32 a170, v26
	s_waitcnt lgkmcnt(0)
	v_mul_f64 v[28:29], v[18:19], v[128:129]
	v_add_f64 v[26:27], v[22:23], v[24:25]
	ds_read_b128 v[22:25], v1 offset:1376
	v_fmac_f64_e32 v[28:29], v[20:21], v[130:131]
	v_add_f64 v[30:31], v[26:27], v[28:29]
	ds_read_b128 v[26:29], v1 offset:1392
	v_fma_f64 v[6:7], v[94:95], v[54:55], -v[56:57]
	s_waitcnt vmcnt(50) lgkmcnt(1)
	v_mul_f64 v[32:33], v[22:23], v[156:157]
	s_waitcnt vmcnt(48)
	v_fmac_f64_e32 v[32:33], v[24:25], v[160:161]
	v_add_f64 v[34:35], v[30:31], v[32:33]
	s_waitcnt lgkmcnt(0)
	v_mul_f64 v[36:37], v[26:27], v[132:133]
	ds_read_b128 v[30:33], v1 offset:1408
	v_fmac_f64_e32 v[36:37], v[28:29], v[134:135]
	v_add_f64 v[38:39], v[34:35], v[36:37]
	ds_read_b128 v[34:37], v1 offset:1424
	v_fma_f64 v[94:95], v[108:109], v[58:59], -v[62:63]
	s_waitcnt vmcnt(42) lgkmcnt(1)
	v_mul_f64 v[40:41], v[30:31], v[164:165]
	s_waitcnt vmcnt(40)
	v_fmac_f64_e32 v[40:41], v[32:33], v[168:169]
	v_add_f64 v[42:43], v[38:39], v[40:41]
	s_waitcnt lgkmcnt(0)
	v_mul_f64 v[44:45], v[34:35], v[136:137]
	ds_read_b128 v[38:41], v1 offset:1440
	v_fmac_f64_e32 v[44:45], v[36:37], v[138:139]
	v_add_f64 v[46:47], v[42:43], v[44:45]
	ds_read_b128 v[42:45], v1 offset:1456
	v_mul_f64 v[58:59], v[114:115], v[60:61]
	s_waitcnt vmcnt(34) lgkmcnt(1)
	v_mul_f64 v[48:49], v[38:39], v[172:173]
	s_waitcnt vmcnt(32)
	v_fmac_f64_e32 v[48:49], v[40:41], v[176:177]
	v_add_f64 v[50:51], v[46:47], v[48:49]
	s_waitcnt lgkmcnt(0)
	v_mul_f64 v[52:53], v[42:43], v[142:143]
	v_fmac_f64_e32 v[52:53], v[44:45], v[146:147]
	ds_read_b128 v[46:49], v1 offset:1472
	v_add_f64 v[200:201], v[50:51], v[52:53]
	ds_read_b128 v[50:53], v1 offset:1488
	buffer_load_dword v9, off, s[0:3], 0 offset:748
	buffer_load_dword v8, off, s[0:3], 0 offset:744
	;; [unrolled: 1-line block ×4, first 2 shown]
	v_fma_f64 v[96:97], v[112:113], v[84:85], -v[58:59]
	s_waitcnt vmcnt(30) lgkmcnt(1)
	v_mul_f64 v[202:203], v[46:47], v[180:181]
	s_waitcnt vmcnt(28)
	v_fmac_f64_e32 v[202:203], v[48:49], v[182:183]
	v_add_f64 v[234:235], v[200:201], v[202:203]
	buffer_load_dword v202, off, s[0:3], 0 offset:760
	buffer_load_dword v204, off, s[0:3], 0 offset:752
	;; [unrolled: 1-line block ×12, first 2 shown]
	ds_read_b128 v[54:57], v1 offset:1504
	buffer_load_dword v213, off, s[0:3], 0 offset:812
	buffer_load_dword v212, off, s[0:3], 0 offset:808
	buffer_load_dword v215, off, s[0:3], 0 offset:804
	buffer_load_dword v214, off, s[0:3], 0 offset:800
	buffer_load_dword v216, off, s[0:3], 0 offset:824
	buffer_load_dword v218, off, s[0:3], 0 offset:816
	buffer_load_dword v217, off, s[0:3], 0 offset:828
	buffer_load_dword v219, off, s[0:3], 0 offset:820
	buffer_load_dword v229, off, s[0:3], 0 offset:844
	buffer_load_dword v228, off, s[0:3], 0 offset:840
	buffer_load_dword v231, off, s[0:3], 0 offset:836
	buffer_load_dword v230, off, s[0:3], 0 offset:832
	s_waitcnt lgkmcnt(1)
	v_mul_f64 v[4:5], v[50:51], v[150:151]
	v_fmac_f64_e32 v[4:5], v[52:53], v[154:155]
	v_mul_f64 v[58:59], v[222:223], v[68:69]
	v_add_f64 v[4:5], v[234:235], v[4:5]
	v_fma_f64 v[2:3], v[220:221], v[82:83], -v[58:59]
	buffer_load_dword v220, off, s[0:3], 0 offset:856
	buffer_load_dword v234, off, s[0:3], 0 offset:848
	;; [unrolled: 1-line block ×4, first 2 shown]
	s_waitcnt vmcnt(50) lgkmcnt(0)
	v_mul_f64 v[58:59], v[54:55], v[184:185]
	s_waitcnt vmcnt(48)
	v_fmac_f64_e32 v[58:59], v[56:57], v[186:187]
	v_add_f64 v[4:5], v[4:5], v[58:59]
	ds_read_b128 v[58:61], v1 offset:1520
	v_mul_f64 v[62:63], v[238:239], v[64:65]
	v_fma_f64 v[236:237], v[236:237], v[66:67], -v[62:63]
	ds_read_b128 v[62:65], v1 offset:1536
	v_mul_f64 v[66:67], v[242:243], v[70:71]
	v_fma_f64 v[240:241], v[240:241], v[72:73], -v[66:67]
	ds_read_b128 v[66:69], v1 offset:1552
	ds_read_b128 v[74:77], v1 offset:1584
	s_waitcnt lgkmcnt(3)
	v_mul_f64 v[82:83], v[58:59], v[158:159]
	v_fmac_f64_e32 v[82:83], v[60:61], v[162:163]
	s_waitcnt vmcnt(42) lgkmcnt(2)
	v_mul_f64 v[70:71], v[62:63], v[188:189]
	v_add_f64 v[4:5], v[4:5], v[82:83]
	s_waitcnt vmcnt(40)
	v_fmac_f64_e32 v[70:71], v[64:65], v[190:191]
	v_add_f64 v[4:5], v[4:5], v[70:71]
	s_waitcnt lgkmcnt(1)
	v_mul_f64 v[70:71], v[66:67], v[166:167]
	v_fmac_f64_e32 v[70:71], v[68:69], v[170:171]
	v_add_f64 v[4:5], v[4:5], v[70:71]
	ds_read_b128 v[70:73], v1 offset:1568
	ds_read_b128 v[78:81], v1 offset:1600
	;; [unrolled: 1-line block ×4, first 2 shown]
	v_mul_f64 v[100:101], v[100:101], v[102:103]
	s_waitcnt vmcnt(34) lgkmcnt(3)
	v_mul_f64 v[82:83], v[70:71], v[192:193]
	s_waitcnt vmcnt(32)
	v_fmac_f64_e32 v[82:83], v[72:73], v[194:195]
	v_add_f64 v[4:5], v[4:5], v[82:83]
	v_mul_f64 v[82:83], v[74:75], v[174:175]
	v_fmac_f64_e32 v[82:83], v[76:77], v[178:179]
	v_add_f64 v[4:5], v[4:5], v[82:83]
	v_fma_f64 v[254:255], v[98:99], v[104:105], -v[100:101]
	ds_read_b128 v[98:101], v1 offset:1680
	v_mul_f64 v[102:103], v[118:119], v[106:107]
	v_fma_f64 v[250:251], v[116:117], v[232:233], -v[102:103]
	ds_read_b128 v[102:105], v1 offset:1696
	v_add_f64 v[6:7], v[6:7], 0
	v_add_f64 v[6:7], v[6:7], v[94:95]
	;; [unrolled: 1-line block ×9, first 2 shown]
	v_accvgpr_read_b32 v6, a166
	ds_read_b128 v[86:89], v1 offset:1632
	v_add_f64 v[2:3], v[2:3], v[226:227]
	v_accvgpr_read_b32 v7, a167
	v_accvgpr_read_b32 v94, a168
	v_add_f64 v[252:253], v[2:3], v[254:255]
	v_mul_f64 v[6:7], v[122:123], v[6:7]
	v_accvgpr_read_b32 v95, a169
	v_add_f64 v[2:3], v[252:253], v[250:251]
	v_fma_f64 v[6:7], v[120:121], v[94:95], -v[6:7]
	v_add_f64 v[2:3], v[2:3], v[6:7]
	v_mul_f64 v[6:7], v[198:199], v[140:141]
	v_fma_f64 v[6:7], v[196:197], v[144:145], -v[6:7]
	v_add_f64 v[2:3], v[2:3], v[6:7]
	v_accvgpr_read_b32 v6, a170
	v_accvgpr_read_b32 v7, a171
	v_mul_f64 v[6:7], v[12:13], v[6:7]
	s_waitcnt vmcnt(30) lgkmcnt(5)
	v_mul_f64 v[82:83], v[78:79], v[8:9]
	v_fma_f64 v[6:7], v[10:11], v[126:127], -v[6:7]
	s_waitcnt vmcnt(28)
	v_fmac_f64_e32 v[82:83], v[80:81], v[124:125]
	v_add_f64 v[4:5], v[4:5], v[82:83]
	ds_read_b128 v[82:85], v1 offset:1616
	v_add_f64 v[2:3], v[2:3], v[6:7]
	s_waitcnt vmcnt(9) lgkmcnt(3)
	v_mul_f64 v[106:107], v[98:99], v[216:217]
	s_waitcnt vmcnt(8)
	v_fmac_f64_e32 v[106:107], v[100:101], v[218:219]
	v_mul_f64 v[6:7], v[16:17], v[148:149]
	s_waitcnt lgkmcnt(0)
	v_mul_f64 v[108:109], v[82:83], v[202:203]
	v_fmac_f64_e32 v[108:109], v[84:85], v[204:205]
	v_add_f64 v[4:5], v[4:5], v[108:109]
	v_mul_f64 v[108:109], v[86:87], v[206:207]
	v_fmac_f64_e32 v[108:109], v[88:89], v[210:211]
	v_add_f64 v[4:5], v[4:5], v[108:109]
	;; [unrolled: 3-line block ×4, first 2 shown]
	v_add_f64 v[4:5], v[4:5], v[106:107]
	s_waitcnt vmcnt(6)
	v_mul_f64 v[106:107], v[102:103], v[228:229]
	s_waitcnt vmcnt(4)
	v_fmac_f64_e32 v[106:107], v[104:105], v[230:231]
	v_add_f64 v[4:5], v[4:5], v[106:107]
	ds_read_b128 v[106:109], v1 offset:1712
	v_fma_f64 v[6:7], v[14:15], v[152:153], -v[6:7]
	v_add_f64 v[2:3], v[2:3], v[6:7]
	v_mul_f64 v[6:7], v[20:21], v[128:129]
	v_fma_f64 v[6:7], v[18:19], v[130:131], -v[6:7]
	s_waitcnt vmcnt(1) lgkmcnt(0)
	v_mul_f64 v[110:111], v[106:107], v[220:221]
	s_waitcnt vmcnt(0)
	v_fmac_f64_e32 v[110:111], v[108:109], v[234:235]
	v_add_f64 v[114:115], v[4:5], v[110:111]
	buffer_load_dword v5, off, s[0:3], 0 offset:876
	buffer_load_dword v4, off, s[0:3], 0 offset:872
	;; [unrolled: 1-line block ×4, first 2 shown]
	ds_read_b128 v[110:113], v1 offset:1728
	buffer_load_dword v242, off, s[0:3], 0 offset:888
	buffer_load_dword v243, off, s[0:3], 0 offset:892
	;; [unrolled: 1-line block ×4, first 2 shown]
	v_add_f64 v[2:3], v[2:3], v[6:7]
	v_mul_f64 v[6:7], v[24:25], v[156:157]
	v_fma_f64 v[6:7], v[22:23], v[160:161], -v[6:7]
	v_add_f64 v[2:3], v[2:3], v[6:7]
	v_mul_f64 v[6:7], v[28:29], v[132:133]
	v_fma_f64 v[6:7], v[26:27], v[134:135], -v[6:7]
	;; [unrolled: 3-line block ×22, first 2 shown]
	v_add_f64 v[2:3], v[2:3], v[6:7]
	s_waitcnt vmcnt(6) lgkmcnt(0)
	v_mul_f64 v[116:117], v[110:111], v[4:5]
	v_mul_f64 v[4:5], v[112:113], v[4:5]
	s_waitcnt vmcnt(4)
	v_fmac_f64_e32 v[116:117], v[112:113], v[238:239]
	v_add_f64 v[118:119], v[114:115], v[116:117]
	ds_read_b128 v[114:117], v1 offset:1744
	buffer_load_dword v248, off, s[0:3], 0 offset:224
	buffer_load_dword v249, off, s[0:3], 0 offset:228
	;; [unrolled: 1-line block ×4, first 2 shown]
	v_fma_f64 v[4:5], v[110:111], v[238:239], -v[4:5]
	v_add_f64 v[2:3], v[2:3], v[4:5]
	s_waitcnt vmcnt(6) lgkmcnt(0)
	v_mul_f64 v[4:5], v[116:117], v[242:243]
	v_mul_f64 v[232:233], v[114:115], v[242:243]
	s_waitcnt vmcnt(4)
	v_fma_f64 v[4:5], v[114:115], v[244:245], -v[4:5]
	v_fmac_f64_e32 v[232:233], v[116:117], v[244:245]
	v_add_f64 v[2:3], v[2:3], v[4:5]
	v_add_f64 v[118:119], v[118:119], v[232:233]
	s_waitcnt vmcnt(2)
	v_add_f64 v[2:3], v[248:249], -v[2:3]
	s_waitcnt vmcnt(0)
	v_add_f64 v[4:5], v[246:247], -v[118:119]
	buffer_store_dword v3, off, s[0:3], 0 offset:228
	buffer_store_dword v2, off, s[0:3], 0 offset:224
	;; [unrolled: 1-line block ×4, first 2 shown]
	s_and_saveexec_b64 s[4:5], vcc
	s_cbranch_execz .LBB118_319
; %bb.318:
	v_accvgpr_read_b32 v0, a152
	buffer_load_dword v2, v0, s[0:3], 0 offen
	buffer_load_dword v3, v0, s[0:3], 0 offen offset:4
	buffer_load_dword v4, v0, s[0:3], 0 offen offset:8
	;; [unrolled: 1-line block ×3, first 2 shown]
	v_accvgpr_read_b32 v0, a165
	buffer_store_dword v1, off, s[0:3], 0 offset:208
	buffer_store_dword v1, off, s[0:3], 0 offset:212
	;; [unrolled: 1-line block ×4, first 2 shown]
	s_waitcnt vmcnt(4)
	ds_write_b128 v0, v[2:5]
.LBB118_319:
	s_or_b64 exec, exec, s[4:5]
	s_waitcnt lgkmcnt(0)
	; wave barrier
	s_waitcnt lgkmcnt(0)
	buffer_load_dword v58, off, s[0:3], 0 offset:224
	buffer_load_dword v59, off, s[0:3], 0 offset:228
	;; [unrolled: 1-line block ×42, first 2 shown]
	ds_read_b128 v[110:113], v1 offset:1088
	ds_read_b128 v[114:117], v1 offset:1104
	ds_read_b128 v[212:215], v1 offset:1120
	ds_read_b128 v[216:219], v1 offset:1136
	ds_read_b128 v[220:223], v1 offset:1152
	ds_read_b128 v[224:227], v1 offset:1168
	ds_read_b128 v[236:239], v1 offset:1184
	ds_read_b128 v[240:243], v1 offset:1200
	ds_read_b128 v[244:247], v1 offset:1216
	ds_read_b128 v[82:85], v1 offset:1232
	buffer_load_dword v119, off, s[0:3], 0 offset:372
	buffer_load_dword v118, off, s[0:3], 0 offset:368
	ds_read_b128 v[90:93], v1 offset:1248
	buffer_load_dword v105, off, s[0:3], 0 offset:428
	buffer_load_dword v104, off, s[0:3], 0 offset:424
	;; [unrolled: 1-line block ×6, first 2 shown]
	s_waitcnt vmcnt(46) lgkmcnt(10)
	v_mul_f64 v[2:3], v[110:111], v[60:61]
	v_fmac_f64_e32 v[2:3], v[112:113], v[58:59]
	v_add_f64 v[2:3], v[2:3], 0
	v_mul_f64 v[60:61], v[112:113], v[60:61]
	s_waitcnt vmcnt(42) lgkmcnt(9)
	v_mul_f64 v[4:5], v[114:115], v[62:63]
	v_fmac_f64_e32 v[4:5], v[116:117], v[56:57]
	v_add_f64 v[2:3], v[2:3], v[4:5]
	buffer_load_dword v233, off, s[0:3], 0 offset:404
	buffer_load_dword v232, off, s[0:3], 0 offset:400
	;; [unrolled: 1-line block ×4, first 2 shown]
	s_waitcnt vmcnt(44) lgkmcnt(8)
	v_mul_f64 v[6:7], v[212:213], v[228:229]
	s_waitcnt vmcnt(42) lgkmcnt(6)
	v_mul_f64 v[10:11], v[220:221], v[64:65]
	s_waitcnt vmcnt(40)
	v_fmac_f64_e32 v[10:11], v[222:223], v[66:67]
	s_waitcnt vmcnt(38)
	v_mul_f64 v[8:9], v[216:217], v[68:69]
	s_waitcnt vmcnt(36) lgkmcnt(4)
	v_mul_f64 v[14:15], v[236:237], v[70:71]
	s_waitcnt vmcnt(34)
	v_fmac_f64_e32 v[14:15], v[238:239], v[72:73]
	s_waitcnt vmcnt(32)
	v_mul_f64 v[12:13], v[224:225], v[74:75]
	s_waitcnt vmcnt(30) lgkmcnt(2)
	v_mul_f64 v[18:19], v[244:245], v[78:79]
	v_mul_f64 v[78:79], v[246:247], v[78:79]
	s_waitcnt vmcnt(27)
	v_mul_f64 v[16:17], v[240:241], v[76:77]
	s_waitcnt vmcnt(25) lgkmcnt(1)
	v_mul_f64 v[20:21], v[82:83], v[86:87]
	s_waitcnt vmcnt(23)
	v_fmac_f64_e32 v[6:7], v[214:215], v[100:101]
	v_add_f64 v[2:3], v[2:3], v[6:7]
	s_waitcnt vmcnt(21)
	v_fmac_f64_e32 v[8:9], v[218:219], v[98:99]
	v_add_f64 v[2:3], v[2:3], v[8:9]
	;; [unrolled: 3-line block ×3, first 2 shown]
	v_add_f64 v[2:3], v[2:3], v[12:13]
	s_waitcnt vmcnt(17)
	v_fmac_f64_e32 v[16:17], v[242:243], v[88:89]
	v_add_f64 v[2:3], v[2:3], v[14:15]
	s_waitcnt vmcnt(16)
	v_fmac_f64_e32 v[18:19], v[246:247], v[80:81]
	v_add_f64 v[2:3], v[2:3], v[16:17]
	v_add_f64 v[2:3], v[2:3], v[18:19]
	v_fma_f64 v[246:247], v[244:245], v[80:81], -v[78:79]
	s_waitcnt vmcnt(10)
	v_fmac_f64_e32 v[20:21], v[84:85], v[118:119]
	v_add_f64 v[2:3], v[2:3], v[20:21]
	v_mul_f64 v[84:85], v[84:85], v[86:87]
	s_waitcnt vmcnt(0)
	v_pk_mov_b32 v[18:19], v[4:5], v[4:5] op_sel:[0,1]
	buffer_load_dword v5, off, s[0:3], 0 offset:452
	buffer_load_dword v4, off, s[0:3], 0 offset:448
	v_accvgpr_write_b32 a167, v19
	v_accvgpr_write_b32 a166, v18
	s_waitcnt vmcnt(0)
	v_pk_mov_b32 v[22:23], v[4:5], v[4:5] op_sel:[0,1]
	buffer_load_dword v137, off, s[0:3], 0 offset:444
	buffer_load_dword v136, off, s[0:3], 0 offset:440
	;; [unrolled: 1-line block ×6, first 2 shown]
	v_accvgpr_write_b32 a169, v23
	v_accvgpr_write_b32 a168, v22
	s_waitcnt vmcnt(0)
	v_pk_mov_b32 v[26:27], v[4:5], v[4:5] op_sel:[0,1]
	buffer_load_dword v5, off, s[0:3], 0 offset:484
	buffer_load_dword v4, off, s[0:3], 0 offset:480
	v_accvgpr_write_b32 a171, v27
	v_accvgpr_write_b32 a170, v26
	s_waitcnt vmcnt(0)
	v_pk_mov_b32 v[28:29], v[4:5], v[4:5] op_sel:[0,1]
	buffer_load_dword v145, off, s[0:3], 0 offset:476
	buffer_load_dword v144, off, s[0:3], 0 offset:472
	;; [unrolled: 1-line block ×60, first 2 shown]
	ds_read_b128 v[248:251], v1 offset:1264
	ds_read_b128 v[252:255], v1 offset:1280
	;; [unrolled: 1-line block ×5, first 2 shown]
	v_accvgpr_write_b32 a173, v29
	s_waitcnt lgkmcnt(3)
	v_mul_f64 v[8:9], v[252:253], v[104:105]
	v_fmac_f64_e32 v[8:9], v[254:255], v[106:107]
	s_waitcnt lgkmcnt(2)
	v_mul_f64 v[12:13], v[120:121], v[136:137]
	v_fmac_f64_e32 v[12:13], v[122:123], v[140:141]
	;; [unrolled: 3-line block ×3, first 2 shown]
	v_accvgpr_write_b32 a172, v28
	s_waitcnt vmcnt(54)
	v_pk_mov_b32 v[34:35], v[4:5], v[4:5] op_sel:[0,1]
	v_mul_f64 v[4:5], v[90:91], v[96:97]
	v_fmac_f64_e32 v[4:5], v[92:93], v[102:103]
	v_add_f64 v[2:3], v[2:3], v[4:5]
	v_mul_f64 v[4:5], v[248:249], v[108:109]
	v_fmac_f64_e32 v[4:5], v[250:251], v[232:233]
	v_add_f64 v[6:7], v[2:3], v[4:5]
	v_add_f64 v[10:11], v[6:7], v[8:9]
	;; [unrolled: 1-line block ×4, first 2 shown]
	ds_read_b128 v[14:17], v1 offset:1344
	s_waitcnt lgkmcnt(1)
	v_mul_f64 v[20:21], v[124:125], v[144:145]
	v_fmac_f64_e32 v[20:21], v[126:127], v[148:149]
	v_add_f64 v[22:23], v[18:19], v[20:21]
	ds_read_b128 v[18:21], v1 offset:1360
	s_waitcnt lgkmcnt(1)
	v_mul_f64 v[24:25], v[14:15], v[26:27]
	v_fmac_f64_e32 v[24:25], v[16:17], v[28:29]
	v_add_f64 v[26:27], v[22:23], v[24:25]
	ds_read_b128 v[22:25], v1 offset:1376
	s_waitcnt vmcnt(50) lgkmcnt(1)
	v_mul_f64 v[28:29], v[18:19], v[152:153]
	s_waitcnt vmcnt(48)
	v_fmac_f64_e32 v[28:29], v[20:21], v[156:157]
	v_add_f64 v[30:31], v[26:27], v[28:29]
	ds_read_b128 v[26:29], v1 offset:1392
	s_waitcnt lgkmcnt(1)
	v_mul_f64 v[32:33], v[22:23], v[34:35]
	v_accvgpr_write_b32 a175, v35
	v_fmac_f64_e32 v[32:33], v[24:25], v[130:131]
	v_accvgpr_write_b32 a174, v34
	v_add_f64 v[34:35], v[30:31], v[32:33]
	ds_read_b128 v[30:33], v1 offset:1408
	s_waitcnt vmcnt(42) lgkmcnt(1)
	v_mul_f64 v[36:37], v[26:27], v[160:161]
	s_waitcnt vmcnt(40)
	v_fmac_f64_e32 v[36:37], v[28:29], v[164:165]
	v_add_f64 v[38:39], v[34:35], v[36:37]
	ds_read_b128 v[34:37], v1 offset:1424
	s_waitcnt lgkmcnt(1)
	v_mul_f64 v[40:41], v[30:31], v[132:133]
	v_fmac_f64_e32 v[40:41], v[32:33], v[134:135]
	v_add_f64 v[42:43], v[38:39], v[40:41]
	ds_read_b128 v[38:41], v1 offset:1440
	s_waitcnt vmcnt(34) lgkmcnt(1)
	v_mul_f64 v[44:45], v[34:35], v[168:169]
	s_waitcnt vmcnt(32)
	v_fmac_f64_e32 v[44:45], v[36:37], v[172:173]
	v_add_f64 v[46:47], v[42:43], v[44:45]
	ds_read_b128 v[42:45], v1 offset:1456
	s_waitcnt lgkmcnt(1)
	v_mul_f64 v[48:49], v[38:39], v[138:139]
	v_fmac_f64_e32 v[48:49], v[40:41], v[142:143]
	v_add_f64 v[50:51], v[46:47], v[48:49]
	ds_read_b128 v[46:49], v1 offset:1472
	s_waitcnt vmcnt(26) lgkmcnt(1)
	v_mul_f64 v[52:53], v[42:43], v[176:177]
	s_waitcnt vmcnt(24)
	v_fmac_f64_e32 v[52:53], v[44:45], v[178:179]
	v_add_f64 v[234:235], v[50:51], v[52:53]
	ds_read_b128 v[50:53], v1 offset:1488
	buffer_load_dword v13, off, s[0:3], 0 offset:732
	buffer_load_dword v12, off, s[0:3], 0 offset:728
	;; [unrolled: 1-line block ×20, first 2 shown]
	v_mul_f64 v[4:5], v[116:117], v[62:63]
	v_fma_f64 v[8:9], v[114:115], v[56:57], -v[4:5]
	v_mul_f64 v[56:57], v[214:215], v[228:229]
	v_fma_f64 v[10:11], v[110:111], v[58:59], -v[60:61]
	v_fma_f64 v[58:59], v[212:213], v[100:101], -v[56:57]
	v_mul_f64 v[56:57], v[218:219], v[68:69]
	v_fma_f64 v[60:61], v[216:217], v[98:99], -v[56:57]
	buffer_load_dword v214, off, s[0:3], 0 offset:808
	buffer_load_dword v216, off, s[0:3], 0 offset:800
	;; [unrolled: 1-line block ×12, first 2 shown]
	s_waitcnt lgkmcnt(1)
	v_mul_f64 v[54:55], v[46:47], v[146:147]
	v_fmac_f64_e32 v[54:55], v[48:49], v[150:151]
	v_add_f64 v[62:63], v[234:235], v[54:55]
	v_mul_f64 v[54:55], v[222:223], v[64:65]
	v_fma_f64 v[6:7], v[220:221], v[66:67], -v[54:55]
	buffer_load_dword v221, off, s[0:3], 0 offset:860
	buffer_load_dword v220, off, s[0:3], 0 offset:856
	;; [unrolled: 1-line block ×4, first 2 shown]
	s_waitcnt vmcnt(54) lgkmcnt(0)
	v_mul_f64 v[64:65], v[50:51], v[180:181]
	ds_read_b128 v[54:57], v1 offset:1504
	s_waitcnt vmcnt(52)
	v_fmac_f64_e32 v[64:65], v[52:53], v[182:183]
	v_add_f64 v[62:63], v[62:63], v[64:65]
	v_mul_f64 v[64:65], v[226:227], v[74:75]
	v_fma_f64 v[226:227], v[224:225], v[94:95], -v[64:65]
	ds_read_b128 v[222:225], v1 offset:1520
	s_waitcnt lgkmcnt(1)
	v_mul_f64 v[64:65], v[54:55], v[154:155]
	v_fmac_f64_e32 v[64:65], v[56:57], v[158:159]
	v_add_f64 v[74:75], v[62:63], v[64:65]
	ds_read_b128 v[62:65], v1 offset:1536
	v_mul_f64 v[66:67], v[238:239], v[70:71]
	s_waitcnt vmcnt(46) lgkmcnt(1)
	v_mul_f64 v[70:71], v[222:223], v[184:185]
	v_fma_f64 v[236:237], v[236:237], v[72:73], -v[66:67]
	ds_read_b128 v[66:69], v1 offset:1552
	s_waitcnt vmcnt(44)
	v_fmac_f64_e32 v[70:71], v[224:225], v[186:187]
	v_add_f64 v[74:75], v[74:75], v[70:71]
	v_mul_f64 v[70:71], v[242:243], v[76:77]
	v_fma_f64 v[240:241], v[240:241], v[88:89], -v[70:71]
	ds_read_b128 v[70:73], v1 offset:1568
	ds_read_b128 v[78:81], v1 offset:1600
	s_waitcnt lgkmcnt(3)
	v_mul_f64 v[94:95], v[62:63], v[162:163]
	v_fmac_f64_e32 v[94:95], v[64:65], v[166:167]
	s_waitcnt vmcnt(38) lgkmcnt(2)
	v_mul_f64 v[76:77], v[66:67], v[188:189]
	v_add_f64 v[74:75], v[74:75], v[94:95]
	s_waitcnt vmcnt(36)
	v_fmac_f64_e32 v[76:77], v[68:69], v[190:191]
	v_add_f64 v[74:75], v[74:75], v[76:77]
	s_waitcnt lgkmcnt(1)
	v_mul_f64 v[76:77], v[70:71], v[170:171]
	v_fmac_f64_e32 v[76:77], v[72:73], v[174:175]
	v_add_f64 v[88:89], v[74:75], v[76:77]
	ds_read_b128 v[74:77], v1 offset:1584
	v_fma_f64 v[4:5], v[82:83], v[118:119], -v[84:85]
	ds_read_b128 v[82:85], v1 offset:1616
	v_mul_f64 v[92:93], v[92:93], v[96:97]
	v_fma_f64 v[2:3], v[90:91], v[102:103], -v[92:93]
	v_mul_f64 v[98:99], v[250:251], v[108:109]
	v_fma_f64 v[250:251], v[248:249], v[232:233], -v[98:99]
	ds_read_b128 v[98:101], v1 offset:1664
	v_mul_f64 v[102:103], v[254:255], v[104:105]
	v_fma_f64 v[252:253], v[252:253], v[106:107], -v[102:103]
	ds_read_b128 v[102:105], v1 offset:1696
	v_add_f64 v[10:11], v[10:11], 0
	v_add_f64 v[8:9], v[10:11], v[8:9]
	;; [unrolled: 1-line block ×4, first 2 shown]
	ds_read_b128 v[90:93], v1 offset:1648
	v_add_f64 v[6:7], v[8:9], v[6:7]
	v_add_f64 v[6:7], v[6:7], v[226:227]
	;; [unrolled: 1-line block ×8, first 2 shown]
	v_mul_f64 v[4:5], v[122:123], v[136:137]
	v_add_f64 v[2:3], v[2:3], v[252:253]
	s_waitcnt vmcnt(25) lgkmcnt(3)
	v_mul_f64 v[96:97], v[82:83], v[202:203]
	v_fma_f64 v[4:5], v[120:121], v[140:141], -v[4:5]
	s_waitcnt vmcnt(23)
	v_fmac_f64_e32 v[96:97], v[84:85], v[208:209]
	v_add_f64 v[2:3], v[2:3], v[4:5]
	v_mul_f64 v[94:95], v[74:75], v[12:13]
	v_fmac_f64_e32 v[94:95], v[76:77], v[128:129]
	v_mul_f64 v[86:87], v[78:79], v[198:199]
	v_add_f64 v[88:89], v[88:89], v[94:95]
	v_fmac_f64_e32 v[86:87], v[80:81], v[200:201]
	v_add_f64 v[94:95], v[88:89], v[86:87]
	ds_read_b128 v[86:89], v1 offset:1632
	v_add_f64 v[94:95], v[94:95], v[96:97]
	s_waitcnt vmcnt(22) lgkmcnt(0)
	v_mul_f64 v[96:97], v[86:87], v[196:197]
	s_waitcnt vmcnt(20)
	v_fmac_f64_e32 v[96:97], v[88:89], v[206:207]
	v_add_f64 v[94:95], v[94:95], v[96:97]
	s_waitcnt vmcnt(18)
	v_mul_f64 v[96:97], v[90:91], v[204:205]
	s_waitcnt vmcnt(16)
	v_fmac_f64_e32 v[96:97], v[92:93], v[210:211]
	v_add_f64 v[108:109], v[94:95], v[96:97]
	ds_read_b128 v[94:97], v1 offset:1680
	s_waitcnt vmcnt(13)
	v_mul_f64 v[106:107], v[98:99], v[214:215]
	s_waitcnt vmcnt(12)
	v_fmac_f64_e32 v[106:107], v[100:101], v[216:217]
	v_add_f64 v[106:107], v[108:109], v[106:107]
	s_waitcnt vmcnt(9) lgkmcnt(0)
	v_mul_f64 v[108:109], v[94:95], v[228:229]
	s_waitcnt vmcnt(7)
	v_fmac_f64_e32 v[108:109], v[96:97], v[230:231]
	v_add_f64 v[106:107], v[106:107], v[108:109]
	s_waitcnt vmcnt(5)
	v_mul_f64 v[108:109], v[102:103], v[212:213]
	s_waitcnt vmcnt(4)
	v_fmac_f64_e32 v[108:109], v[104:105], v[218:219]
	v_add_f64 v[110:111], v[106:107], v[108:109]
	ds_read_b128 v[106:109], v1 offset:1712
	buffer_load_dword v118, off, s[0:3], 0 offset:872
	buffer_load_dword v119, off, s[0:3], 0 offset:876
	;; [unrolled: 1-line block ×4, first 2 shown]
	s_waitcnt vmcnt(6) lgkmcnt(0)
	v_mul_f64 v[112:113], v[106:107], v[220:221]
	s_waitcnt vmcnt(4)
	v_fmac_f64_e32 v[112:113], v[108:109], v[234:235]
	v_add_f64 v[114:115], v[110:111], v[112:113]
	ds_read_b128 v[110:113], v1 offset:1728
	buffer_load_dword v243, off, s[0:3], 0 offset:892
	buffer_load_dword v242, off, s[0:3], 0 offset:888
	;; [unrolled: 1-line block ×4, first 2 shown]
	s_waitcnt vmcnt(6) lgkmcnt(0)
	v_mul_f64 v[116:117], v[110:111], v[118:119]
	s_waitcnt vmcnt(4)
	v_fmac_f64_e32 v[116:117], v[112:113], v[238:239]
	v_add_f64 v[232:233], v[114:115], v[116:117]
	ds_read_b128 v[114:117], v1 offset:1744
	v_accvgpr_read_b32 v0, a166
	v_accvgpr_read_b32 v1, a167
	v_mul_f64 v[4:5], v[194:195], v[0:1]
	v_accvgpr_read_b32 v0, a168
	s_waitcnt vmcnt(2) lgkmcnt(0)
	v_mul_f64 v[248:249], v[114:115], v[242:243]
	s_waitcnt vmcnt(0)
	v_fmac_f64_e32 v[248:249], v[116:117], v[244:245]
	v_add_f64 v[232:233], v[232:233], v[248:249]
	buffer_load_dword v248, off, s[0:3], 0 offset:208
	buffer_load_dword v249, off, s[0:3], 0 offset:212
	;; [unrolled: 1-line block ×4, first 2 shown]
	v_accvgpr_read_b32 v1, a169
	v_fma_f64 v[4:5], v[192:193], v[0:1], -v[4:5]
	v_add_f64 v[2:3], v[2:3], v[4:5]
	v_mul_f64 v[4:5], v[126:127], v[144:145]
	v_accvgpr_read_b32 v0, a170
	v_fma_f64 v[4:5], v[124:125], v[148:149], -v[4:5]
	v_accvgpr_read_b32 v1, a171
	v_add_f64 v[2:3], v[2:3], v[4:5]
	v_mul_f64 v[4:5], v[16:17], v[0:1]
	v_accvgpr_read_b32 v0, a172
	v_accvgpr_read_b32 v1, a173
	v_fma_f64 v[4:5], v[14:15], v[0:1], -v[4:5]
	v_add_f64 v[2:3], v[2:3], v[4:5]
	v_mul_f64 v[4:5], v[20:21], v[152:153]
	v_accvgpr_read_b32 v0, a174
	v_fma_f64 v[4:5], v[18:19], v[156:157], -v[4:5]
	v_accvgpr_read_b32 v1, a175
	v_add_f64 v[2:3], v[2:3], v[4:5]
	v_mul_f64 v[4:5], v[24:25], v[0:1]
	v_fma_f64 v[4:5], v[22:23], v[130:131], -v[4:5]
	v_add_f64 v[2:3], v[2:3], v[4:5]
	v_mul_f64 v[4:5], v[28:29], v[160:161]
	v_fma_f64 v[4:5], v[26:27], v[164:165], -v[4:5]
	;; [unrolled: 3-line block ×24, first 2 shown]
	v_add_f64 v[2:3], v[2:3], v[4:5]
	v_accvgpr_read_b32 v0, a164
	s_waitcnt vmcnt(2)
	v_add_f64 v[2:3], v[248:249], -v[2:3]
	v_cmp_lt_u32_e32 vcc, 11, v0
	s_waitcnt vmcnt(0)
	v_add_f64 v[4:5], v[246:247], -v[232:233]
	buffer_store_dword v3, off, s[0:3], 0 offset:212
	buffer_store_dword v2, off, s[0:3], 0 offset:208
	;; [unrolled: 1-line block ×4, first 2 shown]
	s_and_saveexec_b64 s[4:5], vcc
	s_cbranch_execz .LBB118_321
; %bb.320:
	v_accvgpr_read_b32 v0, a153
	buffer_load_dword v2, v0, s[0:3], 0 offen
	buffer_load_dword v3, v0, s[0:3], 0 offen offset:4
	buffer_load_dword v4, v0, s[0:3], 0 offen offset:8
	;; [unrolled: 1-line block ×3, first 2 shown]
	v_mov_b32_e32 v0, 0
	v_accvgpr_read_b32 v1, a165
	buffer_store_dword v0, off, s[0:3], 0 offset:192
	buffer_store_dword v0, off, s[0:3], 0 offset:196
	;; [unrolled: 1-line block ×4, first 2 shown]
	s_waitcnt vmcnt(4)
	ds_write_b128 v1, v[2:5]
.LBB118_321:
	s_or_b64 exec, exec, s[4:5]
	s_waitcnt lgkmcnt(0)
	; wave barrier
	s_waitcnt lgkmcnt(0)
	buffer_load_dword v50, off, s[0:3], 0 offset:208
	buffer_load_dword v51, off, s[0:3], 0 offset:212
	;; [unrolled: 1-line block ×54, first 2 shown]
	v_mov_b32_e32 v1, 0
	ds_read_b128 v[102:105], v1 offset:1072
	ds_read_b128 v[106:109], v1 offset:1088
	;; [unrolled: 1-line block ×9, first 2 shown]
	v_accvgpr_read_b32 v0, a164
	v_cmp_lt_u32_e32 vcc, 10, v0
	s_waitcnt vmcnt(46) lgkmcnt(7)
	v_mul_f64 v[4:5], v[106:107], v[58:59]
	v_fmac_f64_e32 v[4:5], v[108:109], v[52:53]
	s_waitcnt vmcnt(44) lgkmcnt(6)
	v_mul_f64 v[6:7], v[110:111], v[204:205]
	s_waitcnt vmcnt(42) lgkmcnt(4)
	v_mul_f64 v[10:11], v[208:209], v[62:63]
	s_waitcnt vmcnt(40)
	v_fmac_f64_e32 v[10:11], v[210:211], v[60:61]
	s_waitcnt vmcnt(38)
	v_mul_f64 v[8:9], v[114:115], v[64:65]
	s_waitcnt vmcnt(36) lgkmcnt(2)
	v_mul_f64 v[14:15], v[224:225], v[66:67]
	s_waitcnt vmcnt(34)
	v_fmac_f64_e32 v[14:15], v[226:227], v[70:71]
	s_waitcnt vmcnt(32)
	;; [unrolled: 6-line block ×3, first 2 shown]
	v_fmac_f64_e32 v[8:9], v[116:117], v[80:81]
	s_waitcnt vmcnt(24)
	v_fmac_f64_e32 v[12:13], v[222:223], v[78:79]
	s_waitcnt vmcnt(22)
	;; [unrolled: 2-line block ×3, first 2 shown]
	v_pk_mov_b32 v[18:19], v[2:3], v[2:3] op_sel:[0,1]
	v_mul_f64 v[2:3], v[102:103], v[56:57]
	v_fmac_f64_e32 v[2:3], v[104:105], v[50:51]
	v_add_f64 v[2:3], v[2:3], 0
	v_add_f64 v[2:3], v[2:3], v[4:5]
	buffer_load_dword v5, off, s[0:3], 0 offset:436
	buffer_load_dword v4, off, s[0:3], 0 offset:432
	v_add_f64 v[2:3], v[2:3], v[6:7]
	v_add_f64 v[2:3], v[2:3], v[8:9]
	;; [unrolled: 1-line block ×6, first 2 shown]
	v_accvgpr_write_b32 a167, v19
	v_accvgpr_write_b32 a166, v18
	s_waitcnt vmcnt(0)
	v_pk_mov_b32 v[14:15], v[4:5], v[4:5] op_sel:[0,1]
	buffer_load_dword v55, off, s[0:3], 0 offset:428
	buffer_load_dword v54, off, s[0:3], 0 offset:424
	;; [unrolled: 1-line block ×6, first 2 shown]
	v_accvgpr_write_b32 a169, v15
	v_accvgpr_write_b32 a168, v14
	s_waitcnt vmcnt(0)
	v_pk_mov_b32 v[22:23], v[4:5], v[4:5] op_sel:[0,1]
	buffer_load_dword v5, off, s[0:3], 0 offset:468
	buffer_load_dword v4, off, s[0:3], 0 offset:464
	v_accvgpr_write_b32 a171, v23
	v_accvgpr_write_b32 a170, v22
	s_waitcnt vmcnt(0)
	v_pk_mov_b32 v[24:25], v[4:5], v[4:5] op_sel:[0,1]
	buffer_load_dword v141, off, s[0:3], 0 offset:460
	buffer_load_dword v140, off, s[0:3], 0 offset:456
	;; [unrolled: 1-line block ×52, first 2 shown]
	ds_read_b128 v[240:243], v1 offset:1216
	ds_read_b128 v[244:247], v1 offset:1232
	;; [unrolled: 1-line block ×7, first 2 shown]
	v_accvgpr_write_b32 a173, v25
	v_accvgpr_write_b32 a172, v24
	s_waitcnt lgkmcnt(2)
	v_mul_f64 v[8:9], v[118:119], v[54:55]
	v_fmac_f64_e32 v[8:9], v[120:121], v[200:201]
	s_waitcnt lgkmcnt(1)
	v_mul_f64 v[12:13], v[126:127], v[18:19]
	v_fmac_f64_e32 v[12:13], v[128:129], v[14:15]
	v_mul_f64 v[54:55], v[120:121], v[54:55]
	s_waitcnt vmcnt(46)
	v_pk_mov_b32 v[30:31], v[4:5], v[4:5] op_sel:[0,1]
	v_mul_f64 v[4:5], v[236:237], v[74:75]
	v_fmac_f64_e32 v[4:5], v[238:239], v[84:85]
	v_add_f64 v[2:3], v[2:3], v[4:5]
	v_mul_f64 v[4:5], v[240:241], v[90:91]
	v_fmac_f64_e32 v[4:5], v[242:243], v[92:93]
	v_add_f64 v[2:3], v[2:3], v[4:5]
	;; [unrolled: 3-line block ×5, first 2 shown]
	v_add_f64 v[10:11], v[6:7], v[8:9]
	v_add_f64 v[14:15], v[10:11], v[12:13]
	ds_read_b128 v[10:13], v1 offset:1328
	s_waitcnt lgkmcnt(1)
	v_mul_f64 v[16:17], v[122:123], v[140:141]
	v_fmac_f64_e32 v[16:17], v[124:125], v[144:145]
	v_add_f64 v[18:19], v[14:15], v[16:17]
	ds_read_b128 v[14:17], v1 offset:1344
	s_waitcnt lgkmcnt(1)
	v_mul_f64 v[20:21], v[10:11], v[22:23]
	v_fmac_f64_e32 v[20:21], v[12:13], v[24:25]
	v_add_f64 v[22:23], v[18:19], v[20:21]
	ds_read_b128 v[18:21], v1 offset:1360
	s_waitcnt vmcnt(42) lgkmcnt(1)
	v_mul_f64 v[24:25], v[14:15], v[148:149]
	s_waitcnt vmcnt(40)
	v_fmac_f64_e32 v[24:25], v[16:17], v[152:153]
	v_add_f64 v[26:27], v[22:23], v[24:25]
	ds_read_b128 v[22:25], v1 offset:1376
	s_waitcnt lgkmcnt(1)
	v_mul_f64 v[28:29], v[18:19], v[30:31]
	v_accvgpr_write_b32 a175, v31
	v_fmac_f64_e32 v[28:29], v[20:21], v[130:131]
	v_accvgpr_write_b32 a174, v30
	v_add_f64 v[30:31], v[26:27], v[28:29]
	ds_read_b128 v[26:29], v1 offset:1392
	s_waitcnt vmcnt(34) lgkmcnt(1)
	v_mul_f64 v[32:33], v[22:23], v[156:157]
	s_waitcnt vmcnt(32)
	v_fmac_f64_e32 v[32:33], v[24:25], v[160:161]
	v_add_f64 v[34:35], v[30:31], v[32:33]
	ds_read_b128 v[30:33], v1 offset:1408
	s_waitcnt lgkmcnt(1)
	v_mul_f64 v[36:37], v[26:27], v[132:133]
	v_fmac_f64_e32 v[36:37], v[28:29], v[134:135]
	v_add_f64 v[38:39], v[34:35], v[36:37]
	ds_read_b128 v[34:37], v1 offset:1424
	s_waitcnt vmcnt(26) lgkmcnt(1)
	v_mul_f64 v[40:41], v[30:31], v[164:165]
	s_waitcnt vmcnt(24)
	v_fmac_f64_e32 v[40:41], v[32:33], v[166:167]
	v_add_f64 v[42:43], v[38:39], v[40:41]
	ds_read_b128 v[38:41], v1 offset:1440
	s_waitcnt lgkmcnt(1)
	v_mul_f64 v[44:45], v[34:35], v[136:137]
	v_fmac_f64_e32 v[44:45], v[36:37], v[138:139]
	v_add_f64 v[46:47], v[42:43], v[44:45]
	ds_read_b128 v[42:45], v1 offset:1456
	buffer_load_dword v181, off, s[0:3], 0 offset:700
	buffer_load_dword v183, off, s[0:3], 0 offset:684
	;; [unrolled: 1-line block ×8, first 2 shown]
	s_waitcnt vmcnt(26) lgkmcnt(1)
	v_mul_f64 v[48:49], v[38:39], v[168:169]
	s_waitcnt vmcnt(24)
	v_fmac_f64_e32 v[48:49], v[40:41], v[170:171]
	v_add_f64 v[192:193], v[46:47], v[48:49]
	ds_read_b128 v[46:49], v1 offset:1472
	buffer_load_dword v189, off, s[0:3], 0 offset:716
	buffer_load_dword v188, off, s[0:3], 0 offset:712
	;; [unrolled: 1-line block ×4, first 2 shown]
	s_waitcnt lgkmcnt(1)
	v_mul_f64 v[194:195], v[42:43], v[142:143]
	v_fmac_f64_e32 v[194:195], v[44:45], v[146:147]
	v_add_f64 v[2:3], v[192:193], v[194:195]
	buffer_load_dword v193, off, s[0:3], 0 offset:732
	buffer_load_dword v192, off, s[0:3], 0 offset:728
	;; [unrolled: 1-line block ×8, first 2 shown]
	v_mul_f64 v[4:5], v[104:105], v[56:57]
	buffer_load_dword v56, off, s[0:3], 0 offset:760
	buffer_load_dword v202, off, s[0:3], 0 offset:752
	;; [unrolled: 1-line block ×4, first 2 shown]
	v_fma_f64 v[6:7], v[102:103], v[50:51], -v[4:5]
	v_mul_f64 v[50:51], v[108:109], v[58:59]
	v_fma_f64 v[102:103], v[106:107], v[52:53], -v[50:51]
	v_mul_f64 v[50:51], v[112:113], v[204:205]
	v_fma_f64 v[104:105], v[110:111], v[82:83], -v[50:51]
	buffer_load_dword v205, off, s[0:3], 0 offset:780
	buffer_load_dword v204, off, s[0:3], 0 offset:776
	;; [unrolled: 1-line block ×4, first 2 shown]
	v_mul_f64 v[50:51], v[116:117], v[64:65]
	v_fma_f64 v[64:65], v[114:115], v[80:81], -v[50:51]
	v_mul_f64 v[50:51], v[210:211], v[62:63]
	buffer_load_dword v211, off, s[0:3], 0 offset:796
	buffer_load_dword v210, off, s[0:3], 0 offset:792
	buffer_load_dword v213, off, s[0:3], 0 offset:788
	buffer_load_dword v212, off, s[0:3], 0 offset:784
	v_fma_f64 v[62:63], v[208:209], v[60:61], -v[50:51]
	buffer_load_dword v209, off, s[0:3], 0 offset:828
	buffer_load_dword v215, off, s[0:3], 0 offset:812
	;; [unrolled: 1-line block ×12, first 2 shown]
	ds_read_b128 v[50:53], v1 offset:1488
	v_mul_f64 v[60:61], v[222:223], v[76:77]
	v_fma_f64 v[4:5], v[220:221], v[78:79], -v[60:61]
	ds_read_b128 v[220:223], v1 offset:1504
	s_waitcnt vmcnt(54) lgkmcnt(2)
	v_mul_f64 v[58:59], v[46:47], v[172:173]
	s_waitcnt vmcnt(52)
	v_fmac_f64_e32 v[58:59], v[48:49], v[174:175]
	s_waitcnt lgkmcnt(1)
	v_mul_f64 v[8:9], v[50:51], v[150:151]
	v_add_f64 v[2:3], v[2:3], v[58:59]
	v_fmac_f64_e32 v[8:9], v[52:53], v[154:155]
	v_add_f64 v[2:3], v[2:3], v[8:9]
	s_waitcnt vmcnt(46) lgkmcnt(0)
	v_mul_f64 v[8:9], v[220:221], v[176:177]
	s_waitcnt vmcnt(44)
	v_fmac_f64_e32 v[8:9], v[222:223], v[178:179]
	ds_read_b128 v[58:61], v1 offset:1520
	v_add_f64 v[2:3], v[2:3], v[8:9]
	v_mul_f64 v[8:9], v[226:227], v[66:67]
	v_fma_f64 v[8:9], v[224:225], v[70:71], -v[8:9]
	ds_read_b128 v[224:227], v1 offset:1536
	v_mul_f64 v[66:67], v[234:235], v[68:69]
	v_fma_f64 v[232:233], v[232:233], v[72:73], -v[66:67]
	ds_read_b128 v[66:69], v1 offset:1552
	s_waitcnt lgkmcnt(2)
	v_mul_f64 v[70:71], v[58:59], v[158:159]
	v_fmac_f64_e32 v[70:71], v[60:61], v[162:163]
	v_add_f64 v[2:3], v[2:3], v[70:71]
	v_mul_f64 v[74:75], v[238:239], v[74:75]
	v_fma_f64 v[234:235], v[236:237], v[84:85], -v[74:75]
	ds_read_b128 v[74:77], v1 offset:1584
	v_mul_f64 v[78:79], v[242:243], v[90:91]
	v_fma_f64 v[240:241], v[240:241], v[92:93], -v[78:79]
	v_mul_f64 v[86:87], v[246:247], v[86:87]
	v_fma_f64 v[246:247], v[244:245], v[88:89], -v[86:87]
	;; [unrolled: 2-line block ×3, first 2 shown]
	v_add_f64 v[6:7], v[6:7], 0
	v_add_f64 v[6:7], v[6:7], v[102:103]
	;; [unrolled: 1-line block ×3, first 2 shown]
	ds_read_b128 v[78:81], v1 offset:1600
	v_add_f64 v[6:7], v[6:7], v[64:65]
	v_add_f64 v[6:7], v[6:7], v[62:63]
	;; [unrolled: 1-line block ×8, first 2 shown]
	v_accvgpr_read_b32 v6, a166
	v_accvgpr_read_b32 v7, a167
	ds_read_b128 v[86:89], v1 offset:1632
	v_accvgpr_read_b32 v8, a168
	v_mul_f64 v[6:7], v[128:129], v[6:7]
	v_accvgpr_read_b32 v9, a169
	s_waitcnt vmcnt(41) lgkmcnt(4)
	v_mul_f64 v[70:71], v[224:225], v[182:183]
	v_fma_f64 v[6:7], v[126:127], v[8:9], -v[6:7]
	s_waitcnt vmcnt(39)
	v_fmac_f64_e32 v[70:71], v[226:227], v[186:187]
	v_add_f64 v[2:3], v[2:3], v[70:71]
	s_waitcnt vmcnt(38) lgkmcnt(3)
	v_mul_f64 v[70:71], v[66:67], v[180:181]
	s_waitcnt vmcnt(36)
	v_fmac_f64_e32 v[70:71], v[68:69], v[184:185]
	v_add_f64 v[2:3], v[2:3], v[70:71]
	ds_read_b128 v[70:73], v1 offset:1568
	ds_read_b128 v[94:97], v1 offset:1664
	v_accvgpr_read_b32 v8, a172
	v_accvgpr_read_b32 v9, a173
	s_waitcnt vmcnt(34) lgkmcnt(1)
	v_mul_f64 v[82:83], v[70:71], v[188:189]
	s_waitcnt vmcnt(32)
	v_fmac_f64_e32 v[82:83], v[72:73], v[190:191]
	v_add_f64 v[2:3], v[2:3], v[82:83]
	s_waitcnt vmcnt(30)
	v_mul_f64 v[82:83], v[74:75], v[192:193]
	s_waitcnt vmcnt(28)
	v_fmac_f64_e32 v[82:83], v[76:77], v[196:197]
	v_add_f64 v[2:3], v[2:3], v[82:83]
	s_waitcnt vmcnt(26)
	v_mul_f64 v[82:83], v[78:79], v[194:195]
	s_waitcnt vmcnt(24)
	v_fmac_f64_e32 v[82:83], v[80:81], v[198:199]
	v_add_f64 v[2:3], v[2:3], v[82:83]
	ds_read_b128 v[82:85], v1 offset:1616
	s_waitcnt vmcnt(21) lgkmcnt(0)
	v_mul_f64 v[90:91], v[82:83], v[56:57]
	s_waitcnt vmcnt(20)
	v_fmac_f64_e32 v[90:91], v[84:85], v[202:203]
	v_add_f64 v[106:107], v[2:3], v[90:91]
	v_mul_f64 v[90:91], v[250:251], v[98:99]
	v_fma_f64 v[248:249], v[248:249], v[100:101], -v[90:91]
	ds_read_b128 v[90:93], v1 offset:1648
	s_waitcnt vmcnt(18)
	v_mul_f64 v[98:99], v[86:87], v[204:205]
	s_waitcnt vmcnt(16)
	v_fmac_f64_e32 v[98:99], v[88:89], v[206:207]
	v_add_f64 v[98:99], v[106:107], v[98:99]
	v_fma_f64 v[250:251], v[118:119], v[200:201], -v[54:55]
	s_waitcnt vmcnt(14) lgkmcnt(0)
	v_mul_f64 v[100:101], v[90:91], v[210:211]
	s_waitcnt vmcnt(12)
	v_fmac_f64_e32 v[100:101], v[92:93], v[212:213]
	v_add_f64 v[106:107], v[98:99], v[100:101]
	ds_read_b128 v[98:101], v1 offset:1680
	ds_read_b128 v[118:121], v1 offset:1696
	s_waitcnt vmcnt(9)
	v_mul_f64 v[54:55], v[94:95], v[214:215]
	s_waitcnt vmcnt(7)
	v_fmac_f64_e32 v[54:55], v[96:97], v[228:229]
	v_add_f64 v[54:55], v[106:107], v[54:55]
	s_waitcnt vmcnt(6) lgkmcnt(1)
	v_mul_f64 v[106:107], v[98:99], v[208:209]
	s_waitcnt vmcnt(4)
	v_fmac_f64_e32 v[106:107], v[100:101], v[218:219]
	v_add_f64 v[54:55], v[54:55], v[106:107]
	s_waitcnt vmcnt(2) lgkmcnt(0)
	v_mul_f64 v[106:107], v[118:119], v[216:217]
	buffer_load_dword v2, off, s[0:3], 0 offset:856
	s_waitcnt vmcnt(1)
	v_fmac_f64_e32 v[106:107], v[120:121], v[230:231]
	v_add_f64 v[110:111], v[54:55], v[106:107]
	buffer_load_dword v54, off, s[0:3], 0 offset:848
	buffer_load_dword v3, off, s[0:3], 0 offset:860
	;; [unrolled: 1-line block ×3, first 2 shown]
	ds_read_b128 v[106:109], v1 offset:1712
	buffer_load_dword v237, off, s[0:3], 0 offset:876
	buffer_load_dword v236, off, s[0:3], 0 offset:872
	;; [unrolled: 1-line block ×4, first 2 shown]
	v_add_f64 v[4:5], v[4:5], v[248:249]
	v_add_f64 v[252:253], v[4:5], v[252:253]
	;; [unrolled: 1-line block ×4, first 2 shown]
	v_mul_f64 v[6:7], v[124:125], v[140:141]
	v_fma_f64 v[6:7], v[122:123], v[144:145], -v[6:7]
	v_add_f64 v[4:5], v[4:5], v[6:7]
	v_accvgpr_read_b32 v6, a170
	v_accvgpr_read_b32 v7, a171
	v_mul_f64 v[6:7], v[12:13], v[6:7]
	v_fma_f64 v[6:7], v[10:11], v[8:9], -v[6:7]
	v_add_f64 v[4:5], v[4:5], v[6:7]
	v_mul_f64 v[6:7], v[16:17], v[148:149]
	v_fma_f64 v[6:7], v[14:15], v[152:153], -v[6:7]
	v_add_f64 v[4:5], v[4:5], v[6:7]
	v_accvgpr_read_b32 v6, a174
	v_accvgpr_read_b32 v7, a175
	v_mul_f64 v[6:7], v[20:21], v[6:7]
	v_fma_f64 v[6:7], v[18:19], v[130:131], -v[6:7]
	v_add_f64 v[4:5], v[4:5], v[6:7]
	v_mul_f64 v[6:7], v[24:25], v[156:157]
	v_fma_f64 v[6:7], v[22:23], v[160:161], -v[6:7]
	v_add_f64 v[4:5], v[4:5], v[6:7]
	;; [unrolled: 3-line block ×19, first 2 shown]
	v_mul_f64 v[6:7], v[96:97], v[214:215]
	v_fma_f64 v[6:7], v[94:95], v[228:229], -v[6:7]
	s_waitcnt vmcnt(5) lgkmcnt(0)
	v_mul_f64 v[112:113], v[106:107], v[2:3]
	s_waitcnt vmcnt(4)
	v_fmac_f64_e32 v[112:113], v[108:109], v[54:55]
	v_add_f64 v[114:115], v[110:111], v[112:113]
	ds_read_b128 v[110:113], v1 offset:1728
	buffer_load_dword v242, off, s[0:3], 0 offset:888
	buffer_load_dword v243, off, s[0:3], 0 offset:892
	buffer_load_dword v244, off, s[0:3], 0 offset:880
	buffer_load_dword v245, off, s[0:3], 0 offset:884
	v_add_f64 v[4:5], v[4:5], v[6:7]
	v_mul_f64 v[6:7], v[100:101], v[208:209]
	v_fma_f64 v[6:7], v[98:99], v[218:219], -v[6:7]
	s_waitcnt vmcnt(6) lgkmcnt(0)
	v_mul_f64 v[116:117], v[110:111], v[236:237]
	s_waitcnt vmcnt(4)
	v_fmac_f64_e32 v[116:117], v[112:113], v[238:239]
	v_add_f64 v[200:201], v[114:115], v[116:117]
	ds_read_b128 v[114:117], v1 offset:1744
	buffer_load_dword v248, off, s[0:3], 0 offset:192
	buffer_load_dword v249, off, s[0:3], 0 offset:196
	;; [unrolled: 1-line block ×4, first 2 shown]
	v_add_f64 v[4:5], v[4:5], v[6:7]
	v_mul_f64 v[6:7], v[120:121], v[216:217]
	v_fma_f64 v[6:7], v[118:119], v[230:231], -v[6:7]
	v_mul_f64 v[2:3], v[108:109], v[2:3]
	v_add_f64 v[4:5], v[4:5], v[6:7]
	v_fma_f64 v[2:3], v[106:107], v[54:55], -v[2:3]
	v_add_f64 v[2:3], v[4:5], v[2:3]
	v_mul_f64 v[4:5], v[112:113], v[236:237]
	v_fma_f64 v[4:5], v[110:111], v[238:239], -v[4:5]
	v_add_f64 v[2:3], v[2:3], v[4:5]
	s_waitcnt vmcnt(6) lgkmcnt(0)
	v_mul_f64 v[4:5], v[116:117], v[242:243]
	v_mul_f64 v[254:255], v[114:115], v[242:243]
	s_waitcnt vmcnt(4)
	v_fma_f64 v[4:5], v[114:115], v[244:245], -v[4:5]
	v_fmac_f64_e32 v[254:255], v[116:117], v[244:245]
	v_add_f64 v[2:3], v[2:3], v[4:5]
	v_add_f64 v[200:201], v[200:201], v[254:255]
	s_waitcnt vmcnt(2)
	v_add_f64 v[2:3], v[248:249], -v[2:3]
	s_waitcnt vmcnt(0)
	v_add_f64 v[4:5], v[246:247], -v[200:201]
	buffer_store_dword v3, off, s[0:3], 0 offset:196
	buffer_store_dword v2, off, s[0:3], 0 offset:192
	;; [unrolled: 1-line block ×4, first 2 shown]
	s_and_saveexec_b64 s[4:5], vcc
	s_cbranch_execz .LBB118_323
; %bb.322:
	v_accvgpr_read_b32 v0, a154
	buffer_load_dword v2, v0, s[0:3], 0 offen
	buffer_load_dword v3, v0, s[0:3], 0 offen offset:4
	buffer_load_dword v4, v0, s[0:3], 0 offen offset:8
	;; [unrolled: 1-line block ×3, first 2 shown]
	v_accvgpr_read_b32 v0, a165
	buffer_store_dword v1, off, s[0:3], 0 offset:176
	buffer_store_dword v1, off, s[0:3], 0 offset:180
	;; [unrolled: 1-line block ×4, first 2 shown]
	s_waitcnt vmcnt(4)
	ds_write_b128 v0, v[2:5]
.LBB118_323:
	s_or_b64 exec, exec, s[4:5]
	s_waitcnt lgkmcnt(0)
	; wave barrier
	s_waitcnt lgkmcnt(0)
	buffer_load_dword v186, off, s[0:3], 0 offset:192
	buffer_load_dword v187, off, s[0:3], 0 offset:196
	;; [unrolled: 1-line block ×36, first 2 shown]
	ds_read_b128 v[82:85], v1 offset:1056
	ds_read_b128 v[78:81], v1 offset:1072
	;; [unrolled: 1-line block ×9, first 2 shown]
	buffer_load_dword v235, off, s[0:3], 0 offset:364
	buffer_load_dword v234, off, s[0:3], 0 offset:360
	;; [unrolled: 1-line block ×19, first 2 shown]
	s_waitcnt vmcnt(51) lgkmcnt(8)
	v_mul_f64 v[2:3], v[82:83], v[194:195]
	v_fmac_f64_e32 v[2:3], v[84:85], v[186:187]
	v_add_f64 v[2:3], v[2:3], 0
	s_waitcnt vmcnt(47) lgkmcnt(7)
	v_mul_f64 v[4:5], v[78:79], v[198:199]
	v_fmac_f64_e32 v[4:5], v[80:81], v[196:197]
	v_add_f64 v[2:3], v[2:3], v[4:5]
	buffer_load_dword v244, off, s[0:3], 0 offset:416
	buffer_load_dword v99, off, s[0:3], 0 offset:412
	;; [unrolled: 1-line block ×7, first 2 shown]
	s_waitcnt vmcnt(52) lgkmcnt(6)
	v_mul_f64 v[6:7], v[74:75], v[202:203]
	s_waitcnt vmcnt(50) lgkmcnt(4)
	v_mul_f64 v[10:11], v[62:63], v[212:213]
	s_waitcnt vmcnt(48)
	v_fmac_f64_e32 v[10:11], v[64:65], v[214:215]
	v_mul_f64 v[80:81], v[80:81], v[198:199]
	s_waitcnt vmcnt(46)
	v_mul_f64 v[8:9], v[70:71], v[204:205]
	v_fma_f64 v[78:79], v[78:79], v[196:197], -v[80:81]
	s_waitcnt vmcnt(44) lgkmcnt(2)
	v_mul_f64 v[14:15], v[54:55], v[104:105]
	v_mul_f64 v[64:65], v[64:65], v[212:213]
	s_waitcnt vmcnt(42)
	v_fmac_f64_e32 v[14:15], v[56:57], v[108:109]
	v_fma_f64 v[212:213], v[62:63], v[214:215], -v[64:65]
	s_waitcnt vmcnt(40)
	v_mul_f64 v[12:13], v[50:51], v[112:113]
	s_waitcnt vmcnt(38) lgkmcnt(1)
	v_mul_f64 v[16:17], v[58:59], v[106:107]
	s_waitcnt vmcnt(36)
	v_fmac_f64_e32 v[6:7], v[76:77], v[200:201]
	v_add_f64 v[2:3], v[2:3], v[6:7]
	s_waitcnt vmcnt(34)
	v_fmac_f64_e32 v[8:9], v[72:73], v[116:117]
	v_add_f64 v[2:3], v[2:3], v[8:9]
	;; [unrolled: 3-line block ×3, first 2 shown]
	v_add_f64 v[2:3], v[2:3], v[12:13]
	s_waitcnt vmcnt(30)
	v_fmac_f64_e32 v[16:17], v[60:61], v[110:111]
	v_add_f64 v[2:3], v[2:3], v[14:15]
	v_add_f64 v[2:3], v[2:3], v[16:17]
	v_mul_f64 v[76:77], v[76:77], v[202:203]
	v_fma_f64 v[80:81], v[74:75], v[200:201], -v[76:77]
	v_mul_f64 v[72:73], v[72:73], v[204:205]
	v_mul_f64 v[52:53], v[52:53], v[112:113]
	;; [unrolled: 1-line block ×3, first 2 shown]
	v_fma_f64 v[116:117], v[70:71], v[116:117], -v[72:73]
	s_waitcnt vmcnt(0)
	v_pk_mov_b32 v[18:19], v[4:5], v[4:5] op_sel:[0,1]
	buffer_load_dword v5, off, s[0:3], 0 offset:452
	buffer_load_dword v4, off, s[0:3], 0 offset:448
	v_accvgpr_write_b32 a167, v19
	v_accvgpr_write_b32 a166, v18
	s_waitcnt vmcnt(0)
	v_pk_mov_b32 v[20:21], v[4:5], v[4:5] op_sel:[0,1]
	buffer_load_dword v137, off, s[0:3], 0 offset:444
	buffer_load_dword v136, off, s[0:3], 0 offset:440
	;; [unrolled: 1-line block ×6, first 2 shown]
	v_accvgpr_write_b32 a169, v21
	v_accvgpr_write_b32 a168, v20
	s_waitcnt vmcnt(0)
	v_pk_mov_b32 v[26:27], v[4:5], v[4:5] op_sel:[0,1]
	buffer_load_dword v5, off, s[0:3], 0 offset:484
	buffer_load_dword v4, off, s[0:3], 0 offset:480
	v_accvgpr_write_b32 a171, v27
	v_accvgpr_write_b32 a170, v26
	s_waitcnt vmcnt(0)
	v_pk_mov_b32 v[28:29], v[4:5], v[4:5] op_sel:[0,1]
	buffer_load_dword v145, off, s[0:3], 0 offset:476
	buffer_load_dword v144, off, s[0:3], 0 offset:472
	;; [unrolled: 1-line block ×6, first 2 shown]
	v_accvgpr_write_b32 a173, v29
	v_accvgpr_write_b32 a172, v28
	s_waitcnt vmcnt(0)
	v_pk_mov_b32 v[34:35], v[4:5], v[4:5] op_sel:[0,1]
	buffer_load_dword v255, off, s[0:3], 0 offset:516
	buffer_load_dword v254, off, s[0:3], 0 offset:512
	;; [unrolled: 1-line block ×38, first 2 shown]
	ds_read_b128 v[220:223], v1 offset:1200
	ds_read_b128 v[224:227], v1 offset:1216
	;; [unrolled: 1-line block ×9, first 2 shown]
	v_accvgpr_write_b32 a175, v35
	s_waitcnt lgkmcnt(3)
	v_mul_f64 v[8:9], v[94:95], v[242:243]
	v_fmac_f64_e32 v[8:9], v[96:97], v[244:245]
	s_waitcnt lgkmcnt(2)
	v_mul_f64 v[12:13], v[130:131], v[136:137]
	v_fmac_f64_e32 v[12:13], v[132:133], v[140:141]
	;; [unrolled: 3-line block ×3, first 2 shown]
	v_accvgpr_write_b32 a174, v34
	v_mul_f64 v[70:71], v[222:223], v[238:239]
	v_mul_f64 v[96:97], v[96:97], v[242:243]
	s_waitcnt vmcnt(30)
	v_pk_mov_b32 v[42:43], v[4:5], v[4:5] op_sel:[0,1]
	v_mul_f64 v[4:5], v[66:67], v[102:103]
	v_fmac_f64_e32 v[4:5], v[68:69], v[232:233]
	v_add_f64 v[2:3], v[2:3], v[4:5]
	v_mul_f64 v[4:5], v[220:221], v[238:239]
	v_fmac_f64_e32 v[4:5], v[222:223], v[240:241]
	v_add_f64 v[2:3], v[2:3], v[4:5]
	;; [unrolled: 3-line block ×6, first 2 shown]
	v_add_f64 v[10:11], v[6:7], v[8:9]
	v_add_f64 v[14:15], v[10:11], v[12:13]
	;; [unrolled: 1-line block ×3, first 2 shown]
	ds_read_b128 v[14:17], v1 offset:1344
	s_waitcnt lgkmcnt(1)
	v_mul_f64 v[20:21], v[122:123], v[144:145]
	v_fmac_f64_e32 v[20:21], v[124:125], v[148:149]
	v_add_f64 v[22:23], v[18:19], v[20:21]
	ds_read_b128 v[18:21], v1 offset:1360
	s_waitcnt lgkmcnt(1)
	v_mul_f64 v[24:25], v[14:15], v[26:27]
	v_fmac_f64_e32 v[24:25], v[16:17], v[28:29]
	v_add_f64 v[26:27], v[22:23], v[24:25]
	;; [unrolled: 5-line block ×4, first 2 shown]
	ds_read_b128 v[30:33], v1 offset:1408
	s_waitcnt vmcnt(26) lgkmcnt(1)
	v_mul_f64 v[36:37], v[26:27], v[160:161]
	s_waitcnt vmcnt(24)
	v_fmac_f64_e32 v[36:37], v[28:29], v[162:163]
	v_add_f64 v[38:39], v[34:35], v[36:37]
	ds_read_b128 v[34:37], v1 offset:1424
	s_waitcnt lgkmcnt(1)
	v_mul_f64 v[40:41], v[30:31], v[42:43]
	v_accvgpr_write_b32 a177, v43
	v_fmac_f64_e32 v[40:41], v[32:33], v[134:135]
	v_accvgpr_write_b32 a176, v42
	v_add_f64 v[42:43], v[38:39], v[40:41]
	ds_read_b128 v[38:41], v1 offset:1440
	s_waitcnt vmcnt(18) lgkmcnt(1)
	v_mul_f64 v[44:45], v[34:35], v[164:165]
	s_waitcnt vmcnt(16)
	v_fmac_f64_e32 v[44:45], v[36:37], v[166:167]
	v_add_f64 v[46:47], v[42:43], v[44:45]
	ds_read_b128 v[42:45], v1 offset:1456
	buffer_load_dword v177, off, s[0:3], 0 offset:668
	buffer_load_dword v176, off, s[0:3], 0 offset:664
	;; [unrolled: 1-line block ×4, first 2 shown]
	s_waitcnt lgkmcnt(1)
	v_mul_f64 v[48:49], v[38:39], v[138:139]
	v_fmac_f64_e32 v[48:49], v[40:41], v[142:143]
	v_add_f64 v[180:181], v[46:47], v[48:49]
	ds_read_b128 v[46:49], v1 offset:1472
	buffer_load_dword v183, off, s[0:3], 0 offset:684
	buffer_load_dword v182, off, s[0:3], 0 offset:680
	;; [unrolled: 1-line block ×4, first 2 shown]
	s_waitcnt vmcnt(18) lgkmcnt(1)
	v_mul_f64 v[188:189], v[42:43], v[168:169]
	s_waitcnt vmcnt(16)
	v_fmac_f64_e32 v[188:189], v[44:45], v[170:171]
	v_add_f64 v[2:3], v[180:181], v[188:189]
	buffer_load_dword v181, off, s[0:3], 0 offset:716
	buffer_load_dword v189, off, s[0:3], 0 offset:700
	;; [unrolled: 1-line block ×8, first 2 shown]
	v_mul_f64 v[4:5], v[84:85], v[194:195]
	v_fma_f64 v[10:11], v[82:83], v[186:187], -v[4:5]
	buffer_load_dword v186, off, s[0:3], 0 offset:744
	buffer_load_dword v195, off, s[0:3], 0 offset:732
	buffer_load_dword v194, off, s[0:3], 0 offset:728
	buffer_load_dword v199, off, s[0:3], 0 offset:724
	buffer_load_dword v198, off, s[0:3], 0 offset:720
	buffer_load_dword v196, off, s[0:3], 0 offset:736
	buffer_load_dword v187, off, s[0:3], 0 offset:748
	buffer_load_dword v197, off, s[0:3], 0 offset:740
	buffer_load_dword v201, off, s[0:3], 0 offset:780
	buffer_load_dword v203, off, s[0:3], 0 offset:764
	buffer_load_dword v202, off, s[0:3], 0 offset:760
	buffer_load_dword v209, off, s[0:3], 0 offset:756
	buffer_load_dword v208, off, s[0:3], 0 offset:752
	buffer_load_dword v200, off, s[0:3], 0 offset:776
	buffer_load_dword v207, off, s[0:3], 0 offset:772
	buffer_load_dword v206, off, s[0:3], 0 offset:768
	buffer_load_dword v205, off, s[0:3], 0 offset:796
	buffer_load_dword v204, off, s[0:3], 0 offset:792
	buffer_load_dword v211, off, s[0:3], 0 offset:788
	buffer_load_dword v210, off, s[0:3], 0 offset:784
	s_waitcnt lgkmcnt(0)
	v_mul_f64 v[8:9], v[46:47], v[146:147]
	v_fmac_f64_e32 v[8:9], v[48:49], v[150:151]
	v_fma_f64 v[6:7], v[50:51], v[114:115], -v[52:53]
	buffer_load_dword v215, off, s[0:3], 0 offset:812
	buffer_load_dword v214, off, s[0:3], 0 offset:808
	;; [unrolled: 1-line block ×12, first 2 shown]
	v_add_f64 v[2:3], v[2:3], v[8:9]
	ds_read_b128 v[50:53], v1 offset:1488
	v_mul_f64 v[8:9], v[56:57], v[104:105]
	v_fma_f64 v[8:9], v[54:55], v[108:109], -v[8:9]
	ds_read_b128 v[54:57], v1 offset:1504
	v_fma_f64 v[4:5], v[58:59], v[110:111], -v[60:61]
	ds_read_b128 v[58:61], v1 offset:1520
	s_waitcnt vmcnt(50) lgkmcnt(2)
	v_mul_f64 v[62:63], v[50:51], v[172:173]
	s_waitcnt vmcnt(48)
	v_fmac_f64_e32 v[62:63], v[52:53], v[174:175]
	s_waitcnt lgkmcnt(1)
	v_mul_f64 v[12:13], v[54:55], v[154:155]
	v_add_f64 v[2:3], v[2:3], v[62:63]
	ds_read_b128 v[62:65], v1 offset:1536
	v_fmac_f64_e32 v[12:13], v[56:57], v[158:159]
	v_add_f64 v[2:3], v[2:3], v[12:13]
	v_fma_f64 v[240:241], v[220:221], v[240:241], -v[70:71]
	v_mul_f64 v[82:83], v[226:227], v[234:235]
	v_mul_f64 v[88:89], v[88:89], v[246:247]
	v_fma_f64 v[246:247], v[86:87], v[248:249], -v[88:89]
	ds_read_b128 v[86:89], v1 offset:1648
	v_mul_f64 v[92:93], v[92:93], v[98:99]
	v_add_f64 v[10:11], v[10:11], 0
	v_add_f64 v[10:11], v[10:11], v[78:79]
	;; [unrolled: 1-line block ×8, first 2 shown]
	v_mul_f64 v[6:7], v[132:133], v[136:137]
	v_fma_f64 v[6:7], v[130:131], v[140:141], -v[6:7]
	ds_read_b128 v[70:73], v1 offset:1568
	ds_read_b128 v[220:223], v1 offset:1632
	s_waitcnt vmcnt(46) lgkmcnt(4)
	v_mul_f64 v[12:13], v[58:59], v[176:177]
	s_waitcnt vmcnt(44)
	v_fmac_f64_e32 v[12:13], v[60:61], v[178:179]
	v_add_f64 v[2:3], v[2:3], v[12:13]
	v_mul_f64 v[12:13], v[68:69], v[102:103]
	v_fma_f64 v[12:13], v[66:67], v[232:233], -v[12:13]
	ds_read_b128 v[66:69], v1 offset:1552
	s_waitcnt vmcnt(42) lgkmcnt(4)
	v_mul_f64 v[74:75], v[62:63], v[182:183]
	s_waitcnt vmcnt(40)
	v_fmac_f64_e32 v[74:75], v[64:65], v[184:185]
	v_add_f64 v[2:3], v[2:3], v[74:75]
	v_fma_f64 v[232:233], v[224:225], v[236:237], -v[82:83]
	s_waitcnt vmcnt(37) lgkmcnt(0)
	v_mul_f64 v[74:75], v[66:67], v[188:189]
	s_waitcnt vmcnt(35)
	v_fmac_f64_e32 v[74:75], v[68:69], v[192:193]
	v_add_f64 v[2:3], v[2:3], v[74:75]
	s_waitcnt vmcnt(34)
	v_mul_f64 v[74:75], v[70:71], v[180:181]
	s_waitcnt vmcnt(32)
	v_fmac_f64_e32 v[74:75], v[72:73], v[190:191]
	v_add_f64 v[2:3], v[2:3], v[74:75]
	ds_read_b128 v[74:77], v1 offset:1584
	ds_read_b128 v[224:227], v1 offset:1600
	v_add_f64 v[4:5], v[4:5], v[12:13]
	v_add_f64 v[4:5], v[4:5], v[240:241]
	v_add_f64 v[4:5], v[4:5], v[232:233]
	s_waitcnt vmcnt(29) lgkmcnt(1)
	v_mul_f64 v[82:83], v[74:75], v[194:195]
	s_waitcnt vmcnt(27)
	v_fmac_f64_e32 v[82:83], v[76:77], v[198:199]
	v_add_f64 v[2:3], v[2:3], v[82:83]
	v_mul_f64 v[82:83], v[120:121], v[250:251]
	v_fma_f64 v[118:119], v[118:119], v[252:253], -v[82:83]
	ds_read_b128 v[82:85], v1 offset:1616
	s_waitcnt vmcnt(25) lgkmcnt(1)
	v_mul_f64 v[102:103], v[224:225], v[186:187]
	s_waitcnt vmcnt(24)
	v_fmac_f64_e32 v[102:103], v[226:227], v[196:197]
	v_add_f64 v[2:3], v[2:3], v[102:103]
	v_fma_f64 v[250:251], v[90:91], v[100:101], -v[92:93]
	s_waitcnt vmcnt(21) lgkmcnt(0)
	v_mul_f64 v[102:103], v[82:83], v[202:203]
	s_waitcnt vmcnt(19)
	v_fmac_f64_e32 v[102:103], v[84:85], v[208:209]
	v_add_f64 v[2:3], v[2:3], v[102:103]
	s_waitcnt vmcnt(18)
	v_mul_f64 v[102:103], v[220:221], v[200:201]
	s_waitcnt vmcnt(16)
	v_fmac_f64_e32 v[102:103], v[222:223], v[206:207]
	v_add_f64 v[2:3], v[2:3], v[102:103]
	ds_read_b128 v[98:101], v1 offset:1664
	s_waitcnt vmcnt(14)
	v_mul_f64 v[102:103], v[86:87], v[204:205]
	s_waitcnt vmcnt(12)
	v_fmac_f64_e32 v[102:103], v[88:89], v[210:211]
	v_add_f64 v[2:3], v[2:3], v[102:103]
	ds_read_b128 v[90:93], v1 offset:1680
	ds_read_b128 v[102:105], v1 offset:1696
	buffer_load_dword v121, off, s[0:3], 0 offset:860
	buffer_load_dword v120, off, s[0:3], 0 offset:856
	;; [unrolled: 1-line block ×4, first 2 shown]
	ds_read_b128 v[106:109], v1 offset:1712
	buffer_load_dword v236, off, s[0:3], 0 offset:872
	buffer_load_dword v237, off, s[0:3], 0 offset:876
	;; [unrolled: 1-line block ×4, first 2 shown]
	v_fma_f64 v[252:253], v[94:95], v[244:245], -v[96:97]
	ds_read_b128 v[110:113], v1 offset:1728
	buffer_load_dword v243, off, s[0:3], 0 offset:892
	buffer_load_dword v242, off, s[0:3], 0 offset:888
	;; [unrolled: 1-line block ×4, first 2 shown]
	s_waitcnt vmcnt(22) lgkmcnt(4)
	v_mul_f64 v[94:95], v[98:99], v[214:215]
	s_waitcnt vmcnt(20)
	v_fmac_f64_e32 v[94:95], v[100:101], v[216:217]
	v_add_f64 v[2:3], v[2:3], v[94:95]
	s_waitcnt vmcnt(17) lgkmcnt(3)
	v_mul_f64 v[94:95], v[90:91], v[228:229]
	s_waitcnt vmcnt(15)
	v_fmac_f64_e32 v[94:95], v[92:93], v[230:231]
	v_add_f64 v[2:3], v[2:3], v[94:95]
	;; [unrolled: 5-line block ×3, first 2 shown]
	v_add_f64 v[4:5], v[4:5], v[118:119]
	v_add_f64 v[118:119], v[4:5], v[246:247]
	;; [unrolled: 1-line block ×5, first 2 shown]
	s_waitcnt vmcnt(10) lgkmcnt(1)
	v_mul_f64 v[94:95], v[106:107], v[120:121]
	s_waitcnt vmcnt(8)
	v_fmac_f64_e32 v[94:95], v[108:109], v[234:235]
	v_add_f64 v[2:3], v[2:3], v[94:95]
	s_waitcnt vmcnt(6) lgkmcnt(0)
	v_mul_f64 v[94:95], v[110:111], v[236:237]
	s_waitcnt vmcnt(4)
	v_fmac_f64_e32 v[94:95], v[112:113], v[238:239]
	v_add_f64 v[2:3], v[2:3], v[94:95]
	ds_read_b128 v[94:97], v1 offset:1744
	v_accvgpr_read_b32 v0, a166
	v_accvgpr_read_b32 v1, a167
	v_mul_f64 v[6:7], v[128:129], v[0:1]
	v_accvgpr_read_b32 v0, a168
	s_waitcnt vmcnt(2) lgkmcnt(0)
	v_mul_f64 v[248:249], v[94:95], v[242:243]
	s_waitcnt vmcnt(0)
	v_fmac_f64_e32 v[248:249], v[96:97], v[244:245]
	v_add_f64 v[2:3], v[2:3], v[248:249]
	buffer_load_dword v248, off, s[0:3], 0 offset:176
	buffer_load_dword v249, off, s[0:3], 0 offset:180
	buffer_load_dword v246, off, s[0:3], 0 offset:184
	buffer_load_dword v247, off, s[0:3], 0 offset:188
	v_accvgpr_read_b32 v1, a169
	v_fma_f64 v[6:7], v[126:127], v[0:1], -v[6:7]
	v_add_f64 v[4:5], v[4:5], v[6:7]
	v_mul_f64 v[6:7], v[124:125], v[144:145]
	v_accvgpr_read_b32 v0, a170
	v_fma_f64 v[6:7], v[122:123], v[148:149], -v[6:7]
	v_accvgpr_read_b32 v1, a171
	v_add_f64 v[4:5], v[4:5], v[6:7]
	v_mul_f64 v[6:7], v[16:17], v[0:1]
	v_accvgpr_read_b32 v0, a172
	v_accvgpr_read_b32 v1, a173
	v_fma_f64 v[6:7], v[14:15], v[0:1], -v[6:7]
	v_add_f64 v[4:5], v[4:5], v[6:7]
	v_mul_f64 v[6:7], v[20:21], v[152:153]
	v_accvgpr_read_b32 v0, a174
	v_fma_f64 v[6:7], v[18:19], v[156:157], -v[6:7]
	v_accvgpr_read_b32 v1, a175
	v_add_f64 v[4:5], v[4:5], v[6:7]
	v_mul_f64 v[6:7], v[24:25], v[0:1]
	v_fma_f64 v[6:7], v[22:23], v[254:255], -v[6:7]
	v_add_f64 v[4:5], v[4:5], v[6:7]
	v_mul_f64 v[6:7], v[28:29], v[160:161]
	v_accvgpr_read_b32 v0, a176
	v_fma_f64 v[6:7], v[26:27], v[162:163], -v[6:7]
	v_accvgpr_read_b32 v1, a177
	v_add_f64 v[4:5], v[4:5], v[6:7]
	v_mul_f64 v[6:7], v[32:33], v[0:1]
	v_fma_f64 v[6:7], v[30:31], v[134:135], -v[6:7]
	v_add_f64 v[4:5], v[4:5], v[6:7]
	v_mul_f64 v[6:7], v[36:37], v[164:165]
	v_fma_f64 v[6:7], v[34:35], v[166:167], -v[6:7]
	;; [unrolled: 3-line block ×22, first 2 shown]
	v_add_f64 v[4:5], v[4:5], v[6:7]
	v_accvgpr_read_b32 v0, a164
	s_waitcnt vmcnt(2)
	v_add_f64 v[4:5], v[248:249], -v[4:5]
	v_cmp_lt_u32_e32 vcc, 9, v0
	s_waitcnt vmcnt(0)
	v_add_f64 v[2:3], v[246:247], -v[2:3]
	buffer_store_dword v5, off, s[0:3], 0 offset:180
	buffer_store_dword v4, off, s[0:3], 0 offset:176
	;; [unrolled: 1-line block ×4, first 2 shown]
	s_and_saveexec_b64 s[4:5], vcc
	s_cbranch_execz .LBB118_325
; %bb.324:
	v_accvgpr_read_b32 v0, a155
	buffer_load_dword v2, v0, s[0:3], 0 offen
	buffer_load_dword v3, v0, s[0:3], 0 offen offset:4
	buffer_load_dword v4, v0, s[0:3], 0 offen offset:8
	;; [unrolled: 1-line block ×3, first 2 shown]
	v_mov_b32_e32 v0, 0
	v_accvgpr_read_b32 v1, a165
	buffer_store_dword v0, off, s[0:3], 0 offset:160
	buffer_store_dword v0, off, s[0:3], 0 offset:164
	;; [unrolled: 1-line block ×4, first 2 shown]
	s_waitcnt vmcnt(4)
	ds_write_b128 v1, v[2:5]
.LBB118_325:
	s_or_b64 exec, exec, s[4:5]
	s_waitcnt lgkmcnt(0)
	; wave barrier
	s_waitcnt lgkmcnt(0)
	buffer_load_dword v56, off, s[0:3], 0 offset:176
	buffer_load_dword v57, off, s[0:3], 0 offset:180
	;; [unrolled: 1-line block ×36, first 2 shown]
	v_mov_b32_e32 v1, 0
	buffer_load_dword v87, off, s[0:3], 0 offset:348
	buffer_load_dword v86, off, s[0:3], 0 offset:344
	;; [unrolled: 1-line block ×18, first 2 shown]
	ds_read_b128 v[110:113], v1 offset:1040
	ds_read_b128 v[114:117], v1 offset:1056
	;; [unrolled: 1-line block ×9, first 2 shown]
	v_accvgpr_read_b32 v0, a164
	v_cmp_lt_u32_e32 vcc, 8, v0
	s_waitcnt vmcnt(50) lgkmcnt(8)
	v_mul_f64 v[2:3], v[110:111], v[58:59]
	v_fmac_f64_e32 v[2:3], v[112:113], v[56:57]
	v_add_f64 v[2:3], v[2:3], 0
	s_waitcnt vmcnt(46) lgkmcnt(7)
	v_mul_f64 v[4:5], v[114:115], v[54:55]
	v_fmac_f64_e32 v[4:5], v[116:117], v[52:53]
	v_add_f64 v[2:3], v[2:3], v[4:5]
	buffer_load_dword v105, off, s[0:3], 0 offset:404
	buffer_load_dword v104, off, s[0:3], 0 offset:400
	;; [unrolled: 1-line block ×8, first 2 shown]
	s_waitcnt vmcnt(52) lgkmcnt(6)
	v_mul_f64 v[6:7], v[196:197], v[50:51]
	s_waitcnt vmcnt(50) lgkmcnt(4)
	v_mul_f64 v[10:11], v[204:205], v[60:61]
	s_waitcnt vmcnt(48)
	v_fmac_f64_e32 v[10:11], v[206:207], v[62:63]
	v_mul_f64 v[50:51], v[198:199], v[50:51]
	s_waitcnt vmcnt(46)
	v_mul_f64 v[8:9], v[200:201], v[64:65]
	v_mul_f64 v[54:55], v[116:117], v[54:55]
	s_waitcnt vmcnt(44) lgkmcnt(2)
	v_mul_f64 v[14:15], v[214:215], v[74:75]
	s_waitcnt vmcnt(42)
	v_fmac_f64_e32 v[14:15], v[216:217], v[72:73]
	s_waitcnt vmcnt(40)
	v_mul_f64 v[12:13], v[208:209], v[76:77]
	s_waitcnt vmcnt(38) lgkmcnt(1)
	v_mul_f64 v[16:17], v[220:221], v[68:69]
	s_waitcnt vmcnt(36)
	v_fmac_f64_e32 v[6:7], v[198:199], v[82:83]
	v_add_f64 v[2:3], v[2:3], v[6:7]
	s_waitcnt vmcnt(34)
	v_fmac_f64_e32 v[8:9], v[202:203], v[80:81]
	v_add_f64 v[2:3], v[2:3], v[8:9]
	;; [unrolled: 3-line block ×3, first 2 shown]
	v_add_f64 v[2:3], v[2:3], v[12:13]
	v_add_f64 v[2:3], v[2:3], v[14:15]
	s_waitcnt vmcnt(30)
	v_fmac_f64_e32 v[16:17], v[222:223], v[70:71]
	v_add_f64 v[2:3], v[2:3], v[16:17]
	v_fma_f64 v[212:213], v[196:197], v[82:83], -v[50:51]
	v_mul_f64 v[50:51], v[202:203], v[64:65]
	s_waitcnt vmcnt(0)
	v_pk_mov_b32 v[14:15], v[4:5], v[4:5] op_sel:[0,1]
	buffer_load_dword v5, off, s[0:3], 0 offset:436
	buffer_load_dword v4, off, s[0:3], 0 offset:432
	v_accvgpr_write_b32 a167, v15
	v_accvgpr_write_b32 a166, v14
	s_waitcnt vmcnt(0)
	v_pk_mov_b32 v[18:19], v[4:5], v[4:5] op_sel:[0,1]
	buffer_load_dword v107, off, s[0:3], 0 offset:428
	buffer_load_dword v106, off, s[0:3], 0 offset:424
	;; [unrolled: 1-line block ×6, first 2 shown]
	v_accvgpr_write_b32 a169, v19
	v_accvgpr_write_b32 a168, v18
	s_waitcnt vmcnt(0)
	v_pk_mov_b32 v[22:23], v[4:5], v[4:5] op_sel:[0,1]
	buffer_load_dword v5, off, s[0:3], 0 offset:468
	buffer_load_dword v4, off, s[0:3], 0 offset:464
	v_accvgpr_write_b32 a171, v23
	v_accvgpr_write_b32 a170, v22
	s_waitcnt vmcnt(0)
	v_pk_mov_b32 v[24:25], v[4:5], v[4:5] op_sel:[0,1]
	buffer_load_dword v141, off, s[0:3], 0 offset:460
	buffer_load_dword v140, off, s[0:3], 0 offset:456
	;; [unrolled: 1-line block ×6, first 2 shown]
	v_accvgpr_write_b32 a173, v25
	v_accvgpr_write_b32 a172, v24
	s_waitcnt vmcnt(0)
	v_pk_mov_b32 v[30:31], v[4:5], v[4:5] op_sel:[0,1]
	buffer_load_dword v5, off, s[0:3], 0 offset:500
	buffer_load_dword v4, off, s[0:3], 0 offset:496
	v_accvgpr_write_b32 a175, v31
	v_accvgpr_write_b32 a174, v30
	s_waitcnt vmcnt(0)
	v_pk_mov_b32 v[32:33], v[4:5], v[4:5] op_sel:[0,1]
	buffer_load_dword v149, off, s[0:3], 0 offset:492
	buffer_load_dword v148, off, s[0:3], 0 offset:488
	;; [unrolled: 1-line block ×36, first 2 shown]
	ds_read_b128 v[232:235], v1 offset:1184
	ds_read_b128 v[236:239], v1 offset:1200
	;; [unrolled: 1-line block ×10, first 2 shown]
	v_accvgpr_write_b32 a177, v33
	s_waitcnt lgkmcnt(3)
	v_mul_f64 v[8:9], v[118:119], v[106:107]
	v_fmac_f64_e32 v[8:9], v[120:121], v[108:109]
	s_waitcnt lgkmcnt(2)
	v_mul_f64 v[12:13], v[130:131], v[14:15]
	v_fmac_f64_e32 v[12:13], v[132:133], v[18:19]
	;; [unrolled: 3-line block ×4, first 2 shown]
	v_accvgpr_write_b32 a176, v32
	s_waitcnt vmcnt(30)
	v_pk_mov_b32 v[38:39], v[4:5], v[4:5] op_sel:[0,1]
	v_mul_f64 v[4:5], v[224:225], v[66:67]
	v_fmac_f64_e32 v[4:5], v[226:227], v[84:85]
	v_add_f64 v[2:3], v[2:3], v[4:5]
	v_mul_f64 v[4:5], v[232:233], v[90:91]
	v_fmac_f64_e32 v[4:5], v[234:235], v[92:93]
	v_add_f64 v[2:3], v[2:3], v[4:5]
	v_mul_f64 v[4:5], v[236:237], v[86:87]
	v_fmac_f64_e32 v[4:5], v[238:239], v[88:89]
	v_add_f64 v[2:3], v[2:3], v[4:5]
	v_mul_f64 v[4:5], v[240:241], v[100:101]
	v_fmac_f64_e32 v[4:5], v[242:243], v[102:103]
	v_add_f64 v[2:3], v[2:3], v[4:5]
	v_mul_f64 v[4:5], v[244:245], v[96:97]
	v_fmac_f64_e32 v[4:5], v[246:247], v[98:99]
	v_add_f64 v[2:3], v[2:3], v[4:5]
	v_mul_f64 v[4:5], v[248:249], v[228:229]
	v_fmac_f64_e32 v[4:5], v[250:251], v[230:231]
	v_add_f64 v[2:3], v[2:3], v[4:5]
	v_mul_f64 v[4:5], v[252:253], v[94:95]
	v_fmac_f64_e32 v[4:5], v[254:255], v[104:105]
	v_add_f64 v[6:7], v[2:3], v[4:5]
	v_add_f64 v[10:11], v[6:7], v[8:9]
	v_add_f64 v[14:15], v[10:11], v[12:13]
	v_add_f64 v[18:19], v[14:15], v[16:17]
	ds_read_b128 v[14:17], v1 offset:1344
	v_add_f64 v[22:23], v[18:19], v[20:21]
	ds_read_b128 v[18:21], v1 offset:1360
	v_accvgpr_write_b32 a179, v39
	v_accvgpr_write_b32 a178, v38
	s_waitcnt lgkmcnt(1)
	v_mul_f64 v[24:25], v[14:15], v[148:149]
	v_fmac_f64_e32 v[24:25], v[16:17], v[152:153]
	v_add_f64 v[26:27], v[22:23], v[24:25]
	ds_read_b128 v[22:25], v1 offset:1376
	s_waitcnt lgkmcnt(1)
	v_mul_f64 v[28:29], v[18:19], v[30:31]
	v_fmac_f64_e32 v[28:29], v[20:21], v[32:33]
	v_add_f64 v[30:31], v[26:27], v[28:29]
	ds_read_b128 v[26:29], v1 offset:1392
	s_waitcnt vmcnt(26) lgkmcnt(1)
	v_mul_f64 v[32:33], v[22:23], v[156:157]
	s_waitcnt vmcnt(24)
	v_fmac_f64_e32 v[32:33], v[24:25], v[158:159]
	v_add_f64 v[34:35], v[30:31], v[32:33]
	ds_read_b128 v[30:33], v1 offset:1408
	s_waitcnt lgkmcnt(1)
	v_mul_f64 v[36:37], v[26:27], v[38:39]
	v_fmac_f64_e32 v[36:37], v[28:29], v[134:135]
	v_add_f64 v[38:39], v[34:35], v[36:37]
	ds_read_b128 v[34:37], v1 offset:1424
	s_waitcnt vmcnt(18) lgkmcnt(1)
	v_mul_f64 v[40:41], v[30:31], v[160:161]
	s_waitcnt vmcnt(16)
	;; [unrolled: 11-line block ×3, first 2 shown]
	v_fmac_f64_e32 v[48:49], v[40:41], v[166:167]
	v_add_f64 v[174:175], v[46:47], v[48:49]
	ds_read_b128 v[46:49], v1 offset:1472
	buffer_load_dword v173, off, s[0:3], 0 offset:652
	buffer_load_dword v172, off, s[0:3], 0 offset:648
	;; [unrolled: 1-line block ×4, first 2 shown]
	s_waitcnt lgkmcnt(1)
	v_mul_f64 v[178:179], v[42:43], v[142:143]
	v_fmac_f64_e32 v[178:179], v[44:45], v[146:147]
	v_add_f64 v[2:3], v[174:175], v[178:179]
	buffer_load_dword v179, off, s[0:3], 0 offset:668
	buffer_load_dword v178, off, s[0:3], 0 offset:664
	;; [unrolled: 1-line block ×24, first 2 shown]
	v_mul_f64 v[4:5], v[112:113], v[58:59]
	v_fma_f64 v[10:11], v[110:111], v[56:57], -v[4:5]
	v_fma_f64 v[110:111], v[200:201], v[80:81], -v[50:51]
	v_mul_f64 v[50:51], v[206:207], v[60:61]
	v_fma_f64 v[112:113], v[204:205], v[62:63], -v[50:51]
	buffer_load_dword v201, off, s[0:3], 0 offset:764
	buffer_load_dword v200, off, s[0:3], 0 offset:760
	;; [unrolled: 1-line block ×8, first 2 shown]
	v_fma_f64 v[58:59], v[114:115], v[52:53], -v[54:55]
	ds_read_b128 v[50:53], v1 offset:1488
	v_mul_f64 v[54:55], v[210:211], v[76:77]
	buffer_load_dword v211, off, s[0:3], 0 offset:796
	buffer_load_dword v210, off, s[0:3], 0 offset:792
	;; [unrolled: 1-line block ×4, first 2 shown]
	v_fma_f64 v[114:115], v[208:209], v[78:79], -v[54:55]
	v_mul_f64 v[54:55], v[216:217], v[74:75]
	v_fma_f64 v[116:117], v[214:215], v[72:73], -v[54:55]
	buffer_load_dword v208, off, s[0:3], 0 offset:824
	buffer_load_dword v217, off, s[0:3], 0 offset:812
	buffer_load_dword v216, off, s[0:3], 0 offset:808
	buffer_load_dword v219, off, s[0:3], 0 offset:804
	buffer_load_dword v218, off, s[0:3], 0 offset:800
	buffer_load_dword v214, off, s[0:3], 0 offset:816
	buffer_load_dword v209, off, s[0:3], 0 offset:828
	buffer_load_dword v215, off, s[0:3], 0 offset:820
	v_mul_f64 v[56:57], v[222:223], v[68:69]
	v_fma_f64 v[6:7], v[220:221], v[70:71], -v[56:57]
	buffer_load_dword v221, off, s[0:3], 0 offset:844
	buffer_load_dword v220, off, s[0:3], 0 offset:840
	;; [unrolled: 1-line block ×4, first 2 shown]
	s_waitcnt vmcnt(54) lgkmcnt(1)
	v_mul_f64 v[54:55], v[46:47], v[168:169]
	s_waitcnt vmcnt(52)
	v_fmac_f64_e32 v[54:55], v[48:49], v[170:171]
	v_add_f64 v[2:3], v[2:3], v[54:55]
	ds_read_b128 v[54:57], v1 offset:1504
	s_waitcnt lgkmcnt(1)
	v_mul_f64 v[8:9], v[50:51], v[150:151]
	v_fmac_f64_e32 v[8:9], v[52:53], v[154:155]
	v_add_f64 v[2:3], v[2:3], v[8:9]
	v_mul_f64 v[8:9], v[226:227], v[66:67]
	v_fma_f64 v[8:9], v[224:225], v[84:85], -v[8:9]
	ds_read_b128 v[224:227], v1 offset:1520
	v_mul_f64 v[70:71], v[238:239], v[86:87]
	v_mul_f64 v[86:87], v[250:251], v[228:229]
	;; [unrolled: 1-line block ×3, first 2 shown]
	v_fma_f64 v[252:253], v[252:253], v[104:105], -v[94:95]
	v_add_f64 v[10:11], v[10:11], 0
	v_add_f64 v[10:11], v[10:11], v[58:59]
	;; [unrolled: 1-line block ×9, first 2 shown]
	v_accvgpr_read_b32 v8, a168
	v_accvgpr_read_b32 v9, a169
	ds_read_b128 v[82:85], v1 offset:1616
	s_waitcnt vmcnt(50) lgkmcnt(2)
	v_mul_f64 v[62:63], v[54:55], v[172:173]
	s_waitcnt vmcnt(48)
	v_fmac_f64_e32 v[62:63], v[56:57], v[176:177]
	v_add_f64 v[2:3], v[2:3], v[62:63]
	v_mul_f64 v[62:63], v[234:235], v[90:91]
	v_fma_f64 v[232:233], v[232:233], v[92:93], -v[62:63]
	ds_read_b128 v[62:65], v1 offset:1536
	s_waitcnt vmcnt(46) lgkmcnt(2)
	v_mul_f64 v[66:67], v[224:225], v[178:179]
	s_waitcnt vmcnt(44)
	v_fmac_f64_e32 v[66:67], v[226:227], v[180:181]
	v_add_f64 v[2:3], v[2:3], v[66:67]
	ds_read_b128 v[66:69], v1 offset:1552
	s_waitcnt vmcnt(41) lgkmcnt(1)
	v_mul_f64 v[74:75], v[62:63], v[184:185]
	v_fma_f64 v[234:235], v[236:237], v[88:89], -v[70:71]
	s_waitcnt vmcnt(39)
	v_fmac_f64_e32 v[74:75], v[64:65], v[188:189]
	ds_read_b128 v[70:73], v1 offset:1568
	v_add_f64 v[2:3], v[2:3], v[74:75]
	v_mul_f64 v[74:75], v[242:243], v[100:101]
	v_fma_f64 v[4:5], v[240:241], v[102:103], -v[74:75]
	ds_read_b128 v[74:77], v1 offset:1584
	s_waitcnt vmcnt(38) lgkmcnt(2)
	v_mul_f64 v[78:79], v[66:67], v[174:175]
	s_waitcnt vmcnt(36)
	v_fmac_f64_e32 v[78:79], v[68:69], v[186:187]
	v_add_f64 v[2:3], v[2:3], v[78:79]
	s_waitcnt vmcnt(33) lgkmcnt(1)
	v_mul_f64 v[12:13], v[70:71], v[192:193]
	ds_read_b128 v[78:81], v1 offset:1600
	s_waitcnt vmcnt(31)
	v_fmac_f64_e32 v[12:13], v[72:73], v[194:195]
	v_add_f64 v[2:3], v[2:3], v[12:13]
	s_waitcnt vmcnt(29) lgkmcnt(1)
	v_mul_f64 v[12:13], v[74:75], v[182:183]
	s_waitcnt vmcnt(28)
	v_fmac_f64_e32 v[12:13], v[76:77], v[190:191]
	v_add_f64 v[2:3], v[2:3], v[12:13]
	v_mul_f64 v[12:13], v[246:247], v[96:97]
	v_fma_f64 v[246:247], v[248:249], v[230:231], -v[86:87]
	ds_read_b128 v[86:89], v1 offset:1632
	ds_read_b128 v[94:97], v1 offset:1664
	s_waitcnt vmcnt(26) lgkmcnt(2)
	v_mul_f64 v[90:91], v[78:79], v[196:197]
	s_waitcnt vmcnt(24)
	v_fmac_f64_e32 v[90:91], v[80:81], v[198:199]
	v_add_f64 v[2:3], v[2:3], v[90:91]
	s_waitcnt vmcnt(22)
	v_mul_f64 v[90:91], v[82:83], v[200:201]
	s_waitcnt vmcnt(20)
	v_fmac_f64_e32 v[90:91], v[84:85], v[204:205]
	v_add_f64 v[2:3], v[2:3], v[90:91]
	s_waitcnt vmcnt(18) lgkmcnt(1)
	v_mul_f64 v[90:91], v[86:87], v[202:203]
	s_waitcnt vmcnt(16)
	v_fmac_f64_e32 v[90:91], v[88:89], v[206:207]
	v_add_f64 v[2:3], v[2:3], v[90:91]
	ds_read_b128 v[90:93], v1 offset:1648
	v_fma_f64 v[12:13], v[244:245], v[98:99], -v[12:13]
	v_mul_f64 v[98:99], v[120:121], v[106:107]
	v_fma_f64 v[250:251], v[118:119], v[108:109], -v[98:99]
	ds_read_b128 v[98:101], v1 offset:1680
	s_waitcnt vmcnt(14) lgkmcnt(1)
	v_mul_f64 v[102:103], v[90:91], v[210:211]
	s_waitcnt vmcnt(12)
	v_fmac_f64_e32 v[102:103], v[92:93], v[60:61]
	v_add_f64 v[2:3], v[2:3], v[102:103]
	s_waitcnt vmcnt(9)
	v_mul_f64 v[102:103], v[94:95], v[216:217]
	s_waitcnt vmcnt(7)
	v_fmac_f64_e32 v[102:103], v[96:97], v[218:219]
	v_add_f64 v[2:3], v[2:3], v[102:103]
	s_waitcnt vmcnt(5) lgkmcnt(0)
	v_mul_f64 v[102:103], v[98:99], v[208:209]
	s_waitcnt vmcnt(4)
	v_fmac_f64_e32 v[102:103], v[100:101], v[214:215]
	v_add_f64 v[2:3], v[2:3], v[102:103]
	ds_read_b128 v[102:105], v1 offset:1696
	v_add_f64 v[6:7], v[6:7], v[232:233]
	v_add_f64 v[6:7], v[6:7], v[234:235]
	;; [unrolled: 1-line block ×4, first 2 shown]
	s_waitcnt vmcnt(2) lgkmcnt(0)
	v_mul_f64 v[106:107], v[102:103], v[220:221]
	s_waitcnt vmcnt(0)
	v_fmac_f64_e32 v[106:107], v[104:105], v[222:223]
	v_add_f64 v[118:119], v[2:3], v[106:107]
	buffer_load_dword v2, off, s[0:3], 0 offset:856
	buffer_load_dword v3, off, s[0:3], 0 offset:860
	;; [unrolled: 1-line block ×4, first 2 shown]
	ds_read_b128 v[106:109], v1 offset:1712
	buffer_load_dword v237, off, s[0:3], 0 offset:876
	buffer_load_dword v236, off, s[0:3], 0 offset:872
	;; [unrolled: 1-line block ×4, first 2 shown]
	v_add_f64 v[4:5], v[4:5], v[246:247]
	v_accvgpr_read_b32 v6, a166
	v_accvgpr_read_b32 v7, a167
	v_add_f64 v[252:253], v[4:5], v[252:253]
	v_mul_f64 v[6:7], v[132:133], v[6:7]
	v_add_f64 v[4:5], v[252:253], v[250:251]
	v_fma_f64 v[6:7], v[130:131], v[8:9], -v[6:7]
	v_add_f64 v[4:5], v[4:5], v[6:7]
	v_mul_f64 v[6:7], v[128:129], v[140:141]
	v_fma_f64 v[6:7], v[126:127], v[144:145], -v[6:7]
	v_add_f64 v[4:5], v[4:5], v[6:7]
	v_accvgpr_read_b32 v6, a170
	v_accvgpr_read_b32 v7, a171
	;; [unrolled: 1-line block ×3, first 2 shown]
	v_mul_f64 v[6:7], v[124:125], v[6:7]
	v_accvgpr_read_b32 v9, a173
	v_fma_f64 v[6:7], v[122:123], v[8:9], -v[6:7]
	v_add_f64 v[4:5], v[4:5], v[6:7]
	v_mul_f64 v[6:7], v[16:17], v[148:149]
	v_fma_f64 v[6:7], v[14:15], v[152:153], -v[6:7]
	v_add_f64 v[4:5], v[4:5], v[6:7]
	v_accvgpr_read_b32 v6, a174
	v_accvgpr_read_b32 v7, a175
	v_accvgpr_read_b32 v8, a176
	v_mul_f64 v[6:7], v[20:21], v[6:7]
	v_accvgpr_read_b32 v9, a177
	v_fma_f64 v[6:7], v[18:19], v[8:9], -v[6:7]
	v_add_f64 v[4:5], v[4:5], v[6:7]
	v_mul_f64 v[6:7], v[24:25], v[156:157]
	v_fma_f64 v[6:7], v[22:23], v[158:159], -v[6:7]
	v_add_f64 v[4:5], v[4:5], v[6:7]
	v_accvgpr_read_b32 v6, a178
	v_accvgpr_read_b32 v7, a179
	v_mul_f64 v[6:7], v[28:29], v[6:7]
	v_fma_f64 v[6:7], v[26:27], v[134:135], -v[6:7]
	v_add_f64 v[4:5], v[4:5], v[6:7]
	v_mul_f64 v[6:7], v[32:33], v[160:161]
	v_fma_f64 v[6:7], v[30:31], v[162:163], -v[6:7]
	v_add_f64 v[4:5], v[4:5], v[6:7]
	;; [unrolled: 3-line block ×14, first 2 shown]
	s_waitcnt vmcnt(6) lgkmcnt(0)
	v_mul_f64 v[120:121], v[106:107], v[2:3]
	v_mul_f64 v[6:7], v[84:85], v[200:201]
	s_waitcnt vmcnt(4)
	v_fmac_f64_e32 v[120:121], v[108:109], v[254:255]
	v_add_f64 v[228:229], v[118:119], v[120:121]
	ds_read_b128 v[118:121], v1 offset:1728
	buffer_load_dword v242, off, s[0:3], 0 offset:888
	buffer_load_dword v243, off, s[0:3], 0 offset:892
	;; [unrolled: 1-line block ×4, first 2 shown]
	v_fma_f64 v[6:7], v[82:83], v[204:205], -v[6:7]
	v_add_f64 v[4:5], v[4:5], v[6:7]
	v_mul_f64 v[6:7], v[88:89], v[202:203]
	s_waitcnt vmcnt(6) lgkmcnt(0)
	v_mul_f64 v[230:231], v[118:119], v[236:237]
	s_waitcnt vmcnt(4)
	v_fmac_f64_e32 v[230:231], v[120:121], v[238:239]
	v_add_f64 v[240:241], v[228:229], v[230:231]
	ds_read_b128 v[228:231], v1 offset:1744
	v_fma_f64 v[6:7], v[86:87], v[206:207], -v[6:7]
	v_add_f64 v[4:5], v[4:5], v[6:7]
	v_mul_f64 v[6:7], v[92:93], v[210:211]
	v_fma_f64 v[6:7], v[90:91], v[60:61], -v[6:7]
	v_add_f64 v[4:5], v[4:5], v[6:7]
	v_mul_f64 v[6:7], v[96:97], v[216:217]
	;; [unrolled: 3-line block ×4, first 2 shown]
	v_fma_f64 v[6:7], v[102:103], v[222:223], -v[6:7]
	v_mul_f64 v[2:3], v[108:109], v[2:3]
	v_add_f64 v[4:5], v[4:5], v[6:7]
	v_fma_f64 v[2:3], v[106:107], v[254:255], -v[2:3]
	v_add_f64 v[2:3], v[4:5], v[2:3]
	v_mul_f64 v[4:5], v[120:121], v[236:237]
	v_fma_f64 v[4:5], v[118:119], v[238:239], -v[4:5]
	v_add_f64 v[2:3], v[2:3], v[4:5]
	s_waitcnt vmcnt(2) lgkmcnt(0)
	v_mul_f64 v[248:249], v[228:229], v[242:243]
	v_mul_f64 v[4:5], v[230:231], v[242:243]
	s_waitcnt vmcnt(0)
	v_fmac_f64_e32 v[248:249], v[230:231], v[244:245]
	v_add_f64 v[240:241], v[240:241], v[248:249]
	buffer_load_dword v248, off, s[0:3], 0 offset:160
	buffer_load_dword v249, off, s[0:3], 0 offset:164
	;; [unrolled: 1-line block ×4, first 2 shown]
	v_fma_f64 v[4:5], v[228:229], v[244:245], -v[4:5]
	v_add_f64 v[2:3], v[2:3], v[4:5]
	s_waitcnt vmcnt(2)
	v_add_f64 v[2:3], v[248:249], -v[2:3]
	s_waitcnt vmcnt(0)
	v_add_f64 v[4:5], v[246:247], -v[240:241]
	buffer_store_dword v3, off, s[0:3], 0 offset:164
	buffer_store_dword v2, off, s[0:3], 0 offset:160
	;; [unrolled: 1-line block ×4, first 2 shown]
	s_and_saveexec_b64 s[4:5], vcc
	s_cbranch_execz .LBB118_327
; %bb.326:
	v_accvgpr_read_b32 v0, a156
	buffer_load_dword v2, v0, s[0:3], 0 offen
	buffer_load_dword v3, v0, s[0:3], 0 offen offset:4
	buffer_load_dword v4, v0, s[0:3], 0 offen offset:8
	;; [unrolled: 1-line block ×3, first 2 shown]
	v_accvgpr_read_b32 v0, a165
	buffer_store_dword v1, off, s[0:3], 0 offset:144
	buffer_store_dword v1, off, s[0:3], 0 offset:148
	;; [unrolled: 1-line block ×4, first 2 shown]
	s_waitcnt vmcnt(4)
	ds_write_b128 v0, v[2:5]
.LBB118_327:
	s_or_b64 exec, exec, s[4:5]
	s_waitcnt lgkmcnt(0)
	; wave barrier
	s_waitcnt lgkmcnt(0)
	buffer_load_dword v60, off, s[0:3], 0 offset:160
	buffer_load_dword v61, off, s[0:3], 0 offset:164
	;; [unrolled: 1-line block ×42, first 2 shown]
	ds_read_b128 v[114:117], v1 offset:1024
	ds_read_b128 v[182:185], v1 offset:1040
	ds_read_b128 v[186:189], v1 offset:1056
	ds_read_b128 v[194:197], v1 offset:1072
	ds_read_b128 v[200:203], v1 offset:1088
	ds_read_b128 v[204:207], v1 offset:1104
	ds_read_b128 v[208:211], v1 offset:1120
	ds_read_b128 v[212:215], v1 offset:1136
	ds_read_b128 v[220:223], v1 offset:1152
	ds_read_b128 v[54:57], v1 offset:1168
	buffer_load_dword v119, off, s[0:3], 0 offset:308
	buffer_load_dword v118, off, s[0:3], 0 offset:304
	ds_read_b128 v[62:65], v1 offset:1184
	buffer_load_dword v101, off, s[0:3], 0 offset:364
	buffer_load_dword v100, off, s[0:3], 0 offset:360
	;; [unrolled: 1-line block ×6, first 2 shown]
	s_waitcnt vmcnt(46) lgkmcnt(10)
	v_mul_f64 v[2:3], v[114:115], v[176:177]
	v_fmac_f64_e32 v[2:3], v[116:117], v[60:61]
	v_add_f64 v[2:3], v[2:3], 0
	s_waitcnt vmcnt(42) lgkmcnt(9)
	v_mul_f64 v[4:5], v[182:183], v[58:59]
	v_fmac_f64_e32 v[4:5], v[184:185], v[50:51]
	v_add_f64 v[2:3], v[2:3], v[4:5]
	buffer_load_dword v249, off, s[0:3], 0 offset:340
	buffer_load_dword v248, off, s[0:3], 0 offset:336
	;; [unrolled: 1-line block ×20, first 2 shown]
	s_waitcnt vmcnt(60) lgkmcnt(8)
	v_mul_f64 v[6:7], v[186:187], v[52:53]
	s_waitcnt vmcnt(58) lgkmcnt(6)
	v_mul_f64 v[10:11], v[200:201], v[68:69]
	s_waitcnt vmcnt(56)
	v_fmac_f64_e32 v[10:11], v[202:203], v[70:71]
	v_mul_f64 v[58:59], v[184:185], v[58:59]
	s_waitcnt vmcnt(54)
	v_mul_f64 v[8:9], v[194:195], v[72:73]
	v_fma_f64 v[216:217], v[182:183], v[50:51], -v[58:59]
	s_waitcnt vmcnt(52) lgkmcnt(4)
	v_mul_f64 v[14:15], v[208:209], v[74:75]
	v_mul_f64 v[50:51], v[188:189], v[52:53]
	s_waitcnt vmcnt(50)
	v_fmac_f64_e32 v[14:15], v[210:211], v[76:77]
	s_waitcnt vmcnt(48)
	v_mul_f64 v[12:13], v[204:205], v[78:79]
	s_waitcnt vmcnt(46) lgkmcnt(2)
	v_mul_f64 v[18:19], v[220:221], v[82:83]
	s_waitcnt vmcnt(43)
	v_mul_f64 v[16:17], v[212:213], v[86:87]
	s_waitcnt vmcnt(41) lgkmcnt(1)
	v_mul_f64 v[20:21], v[54:55], v[80:81]
	s_waitcnt vmcnt(39)
	v_fmac_f64_e32 v[6:7], v[188:189], v[96:97]
	v_add_f64 v[2:3], v[2:3], v[6:7]
	s_waitcnt vmcnt(37)
	v_fmac_f64_e32 v[8:9], v[196:197], v[92:93]
	v_add_f64 v[2:3], v[2:3], v[8:9]
	;; [unrolled: 3-line block ×3, first 2 shown]
	v_add_f64 v[2:3], v[2:3], v[12:13]
	s_waitcnt vmcnt(33)
	v_fmac_f64_e32 v[16:17], v[214:215], v[88:89]
	v_add_f64 v[2:3], v[2:3], v[14:15]
	s_waitcnt vmcnt(32)
	v_fmac_f64_e32 v[18:19], v[222:223], v[84:85]
	v_add_f64 v[2:3], v[2:3], v[16:17]
	v_add_f64 v[2:3], v[2:3], v[18:19]
	v_fma_f64 v[96:97], v[186:187], v[96:97], -v[50:51]
	s_waitcnt vmcnt(26)
	v_fmac_f64_e32 v[20:21], v[56:57], v[118:119]
	v_add_f64 v[2:3], v[2:3], v[20:21]
	v_mul_f64 v[50:51], v[196:197], v[72:73]
	v_mul_f64 v[56:57], v[56:57], v[80:81]
	v_fma_f64 v[118:119], v[54:55], v[118:119], -v[56:57]
	s_waitcnt vmcnt(0)
	v_pk_mov_b32 v[18:19], v[4:5], v[4:5] op_sel:[0,1]
	buffer_load_dword v5, off, s[0:3], 0 offset:452
	buffer_load_dword v4, off, s[0:3], 0 offset:448
	v_accvgpr_write_b32 a169, v19
	v_accvgpr_write_b32 a168, v18
	s_waitcnt vmcnt(0)
	v_pk_mov_b32 v[22:23], v[4:5], v[4:5] op_sel:[0,1]
	buffer_load_dword v5, off, s[0:3], 0 offset:444
	buffer_load_dword v4, off, s[0:3], 0 offset:440
	v_accvgpr_write_b32 a171, v23
	v_accvgpr_write_b32 a170, v22
	s_waitcnt vmcnt(0)
	v_pk_mov_b32 v[14:15], v[4:5], v[4:5] op_sel:[0,1]
	buffer_load_dword v141, off, s[0:3], 0 offset:436
	buffer_load_dword v140, off, s[0:3], 0 offset:432
	buffer_load_dword v5, off, s[0:3], 0 offset:492
	buffer_load_dword v4, off, s[0:3], 0 offset:488
	v_accvgpr_write_b32 a167, v15
	v_accvgpr_write_b32 a166, v14
	s_waitcnt vmcnt(0)
	v_pk_mov_b32 v[26:27], v[4:5], v[4:5] op_sel:[0,1]
	buffer_load_dword v5, off, s[0:3], 0 offset:484
	buffer_load_dword v4, off, s[0:3], 0 offset:480
	v_accvgpr_write_b32 a173, v27
	v_accvgpr_write_b32 a172, v26
	s_waitcnt vmcnt(0)
	v_pk_mov_b32 v[28:29], v[4:5], v[4:5] op_sel:[0,1]
	buffer_load_dword v145, off, s[0:3], 0 offset:476
	buffer_load_dword v144, off, s[0:3], 0 offset:472
	buffer_load_dword v149, off, s[0:3], 0 offset:468
	buffer_load_dword v148, off, s[0:3], 0 offset:464
	buffer_load_dword v5, off, s[0:3], 0 offset:524
	buffer_load_dword v4, off, s[0:3], 0 offset:520
	v_accvgpr_write_b32 a175, v29
	v_accvgpr_write_b32 a174, v28
	s_waitcnt vmcnt(0)
	v_pk_mov_b32 v[34:35], v[4:5], v[4:5] op_sel:[0,1]
	buffer_load_dword v5, off, s[0:3], 0 offset:516
	buffer_load_dword v4, off, s[0:3], 0 offset:512
	v_accvgpr_write_b32 a177, v35
	v_accvgpr_write_b32 a176, v34
	s_waitcnt vmcnt(0)
	v_pk_mov_b32 v[36:37], v[4:5], v[4:5] op_sel:[0,1]
	buffer_load_dword v153, off, s[0:3], 0 offset:508
	buffer_load_dword v152, off, s[0:3], 0 offset:504
	;; [unrolled: 16-line block ×3, first 2 shown]
	buffer_load_dword v163, off, s[0:3], 0 offset:532
	buffer_load_dword v162, off, s[0:3], 0 offset:528
	;; [unrolled: 1-line block ×26, first 2 shown]
	ds_read_b128 v[224:227], v1 offset:1200
	ds_read_b128 v[232:235], v1 offset:1216
	;; [unrolled: 1-line block ×10, first 2 shown]
	s_waitcnt lgkmcnt(4)
	v_mul_f64 v[8:9], v[252:253], v[106:107]
	v_fmac_f64_e32 v[8:9], v[254:255], v[108:109]
	s_waitcnt lgkmcnt(3)
	v_mul_f64 v[12:13], v[136:137], v[14:15]
	v_fmac_f64_e32 v[12:13], v[138:139], v[140:141]
	;; [unrolled: 3-line block ×4, first 2 shown]
	ds_read_b128 v[120:123], v1 offset:1360
	s_waitcnt lgkmcnt(1)
	v_mul_f64 v[24:25], v[124:125], v[26:27]
	v_fmac_f64_e32 v[24:25], v[126:127], v[28:29]
	v_accvgpr_write_b32 a183, v45
	v_accvgpr_write_b32 a182, v44
	s_waitcnt vmcnt(22)
	v_pk_mov_b32 v[178:179], v[4:5], v[4:5] op_sel:[0,1]
	v_mul_f64 v[4:5], v[62:63], v[94:95]
	v_fmac_f64_e32 v[4:5], v[64:65], v[98:99]
	v_add_f64 v[2:3], v[2:3], v[4:5]
	v_mul_f64 v[4:5], v[224:225], v[104:105]
	v_fmac_f64_e32 v[4:5], v[226:227], v[248:249]
	v_add_f64 v[2:3], v[2:3], v[4:5]
	;; [unrolled: 3-line block ×6, first 2 shown]
	v_add_f64 v[10:11], v[6:7], v[8:9]
	v_add_f64 v[14:15], v[10:11], v[12:13]
	;; [unrolled: 1-line block ×5, first 2 shown]
	ds_read_b128 v[22:25], v1 offset:1376
	s_waitcnt lgkmcnt(1)
	v_mul_f64 v[28:29], v[120:121], v[152:153]
	v_fmac_f64_e32 v[28:29], v[122:123], v[156:157]
	v_add_f64 v[30:31], v[26:27], v[28:29]
	ds_read_b128 v[26:29], v1 offset:1392
	s_waitcnt lgkmcnt(1)
	v_mul_f64 v[32:33], v[22:23], v[34:35]
	v_fmac_f64_e32 v[32:33], v[24:25], v[36:37]
	v_add_f64 v[34:35], v[30:31], v[32:33]
	;; [unrolled: 5-line block ×4, first 2 shown]
	ds_read_b128 v[38:41], v1 offset:1440
	ds_read_b128 v[42:45], v1 offset:1456
	s_waitcnt vmcnt(18) lgkmcnt(2)
	v_mul_f64 v[48:49], v[34:35], v[164:165]
	s_waitcnt vmcnt(16)
	v_fmac_f64_e32 v[48:49], v[36:37], v[166:167]
	v_add_f64 v[46:47], v[46:47], v[48:49]
	s_waitcnt lgkmcnt(1)
	v_mul_f64 v[48:49], v[38:39], v[178:179]
	v_fmac_f64_e32 v[48:49], v[40:41], v[142:143]
	v_add_f64 v[46:47], v[46:47], v[48:49]
	s_waitcnt vmcnt(10) lgkmcnt(0)
	v_mul_f64 v[48:49], v[42:43], v[168:169]
	v_accvgpr_write_b32 a185, v179
	s_waitcnt vmcnt(8)
	v_fmac_f64_e32 v[48:49], v[44:45], v[170:171]
	v_accvgpr_write_b32 a184, v178
	v_add_f64 v[2:3], v[46:47], v[48:49]
	ds_read_b128 v[46:49], v1 offset:1472
	v_mul_f64 v[4:5], v[116:117], v[176:177]
	buffer_load_dword v177, off, s[0:3], 0 offset:668
	buffer_load_dword v176, off, s[0:3], 0 offset:664
	;; [unrolled: 1-line block ×16, first 2 shown]
	v_fma_f64 v[14:15], v[194:195], v[92:93], -v[50:51]
	buffer_load_dword v184, off, s[0:3], 0 offset:744
	buffer_load_dword v197, off, s[0:3], 0 offset:732
	;; [unrolled: 1-line block ×8, first 2 shown]
	v_mul_f64 v[8:9], v[202:203], v[68:69]
	v_fma_f64 v[10:11], v[200:201], v[70:71], -v[8:9]
	buffer_load_dword v201, off, s[0:3], 0 offset:764
	buffer_load_dword v200, off, s[0:3], 0 offset:760
	;; [unrolled: 1-line block ×4, first 2 shown]
	v_mul_f64 v[12:13], v[210:211], v[74:75]
	v_mul_f64 v[50:51], v[206:207], v[78:79]
	v_fma_f64 v[12:13], v[208:209], v[76:77], -v[12:13]
	buffer_load_dword v206, off, s[0:3], 0 offset:776
	buffer_load_dword v208, off, s[0:3], 0 offset:768
	;; [unrolled: 1-line block ×4, first 2 shown]
	v_fma_f64 v[8:9], v[204:205], v[90:91], -v[50:51]
	v_mul_f64 v[50:51], v[214:215], v[86:87]
	v_fma_f64 v[6:7], v[212:213], v[88:89], -v[50:51]
	buffer_load_dword v205, off, s[0:3], 0 offset:812
	buffer_load_dword v211, off, s[0:3], 0 offset:796
	;; [unrolled: 1-line block ×12, first 2 shown]
	v_mul_f64 v[16:17], v[222:223], v[82:83]
	ds_read_b128 v[50:53], v1 offset:1488
	v_fma_f64 v[16:17], v[220:221], v[84:85], -v[16:17]
	buffer_load_dword v220, off, s[0:3], 0 offset:840
	buffer_load_dword v222, off, s[0:3], 0 offset:832
	;; [unrolled: 1-line block ×4, first 2 shown]
	ds_read_b128 v[54:57], v1 offset:1504
	s_waitcnt lgkmcnt(2)
	v_mul_f64 v[58:59], v[46:47], v[146:147]
	v_fmac_f64_e32 v[58:59], v[48:49], v[150:151]
	v_add_f64 v[2:3], v[2:3], v[58:59]
	s_waitcnt vmcnt(50) lgkmcnt(1)
	v_mul_f64 v[58:59], v[50:51], v[172:173]
	s_waitcnt vmcnt(48)
	v_fmac_f64_e32 v[58:59], v[52:53], v[174:175]
	v_mul_f64 v[64:65], v[64:65], v[94:95]
	v_add_f64 v[2:3], v[2:3], v[58:59]
	v_fma_f64 v[94:95], v[62:63], v[98:99], -v[64:65]
	ds_read_b128 v[62:65], v1 offset:1536
	s_waitcnt lgkmcnt(1)
	v_mul_f64 v[58:59], v[54:55], v[154:155]
	v_fmac_f64_e32 v[58:59], v[56:57], v[158:159]
	v_fma_f64 v[18:19], v[114:115], v[60:61], -v[4:5]
	v_add_f64 v[2:3], v[2:3], v[58:59]
	ds_read_b128 v[58:61], v1 offset:1520
	v_mul_f64 v[74:75], v[234:235], v[100:101]
	v_fma_f64 v[232:233], v[232:233], v[102:103], -v[74:75]
	ds_read_b128 v[74:77], v1 offset:1584
	v_mul_f64 v[86:87], v[242:243], v[110:111]
	v_fma_f64 v[4:5], v[240:241], v[112:113], -v[86:87]
	v_add_f64 v[18:19], v[18:19], 0
	v_add_f64 v[18:19], v[18:19], v[216:217]
	;; [unrolled: 1-line block ×11, first 2 shown]
	ds_read_b128 v[86:89], v1 offset:1632
	ds_read_b128 v[90:93], v1 offset:1648
	;; [unrolled: 1-line block ×3, first 2 shown]
	s_waitcnt vmcnt(46) lgkmcnt(4)
	v_mul_f64 v[70:71], v[58:59], v[176:177]
	s_waitcnt vmcnt(44)
	v_fmac_f64_e32 v[70:71], v[60:61], v[180:181]
	v_add_f64 v[2:3], v[2:3], v[70:71]
	v_mul_f64 v[70:71], v[226:227], v[104:105]
	v_fma_f64 v[248:249], v[224:225], v[248:249], -v[70:71]
	ds_read_b128 v[224:227], v1 offset:1552
	s_waitcnt vmcnt(41)
	v_mul_f64 v[70:71], v[62:63], v[178:179]
	s_waitcnt vmcnt(40)
	v_fmac_f64_e32 v[70:71], v[64:65], v[182:183]
	v_add_f64 v[2:3], v[2:3], v[70:71]
	ds_read_b128 v[70:73], v1 offset:1568
	s_waitcnt vmcnt(38) lgkmcnt(1)
	v_mul_f64 v[78:79], v[224:225], v[186:187]
	s_waitcnt vmcnt(36)
	v_fmac_f64_e32 v[78:79], v[226:227], v[190:191]
	v_add_f64 v[2:3], v[2:3], v[78:79]
	v_mul_f64 v[78:79], v[238:239], v[250:251]
	v_fma_f64 v[250:251], v[236:237], v[228:229], -v[78:79]
	ds_read_b128 v[78:81], v1 offset:1600
	s_waitcnt vmcnt(34) lgkmcnt(1)
	v_mul_f64 v[82:83], v[70:71], v[188:189]
	s_waitcnt vmcnt(32)
	v_fmac_f64_e32 v[82:83], v[72:73], v[192:193]
	v_add_f64 v[2:3], v[2:3], v[82:83]
	s_waitcnt vmcnt(29)
	v_mul_f64 v[82:83], v[74:75], v[196:197]
	s_waitcnt vmcnt(27)
	v_fmac_f64_e32 v[82:83], v[76:77], v[198:199]
	v_add_f64 v[2:3], v[2:3], v[82:83]
	s_waitcnt vmcnt(25) lgkmcnt(0)
	v_mul_f64 v[82:83], v[78:79], v[184:185]
	s_waitcnt vmcnt(24)
	v_fmac_f64_e32 v[82:83], v[80:81], v[194:195]
	v_add_f64 v[2:3], v[2:3], v[82:83]
	ds_read_b128 v[82:85], v1 offset:1616
	ds_read_b128 v[102:105], v1 offset:1696
	v_add_f64 v[6:7], v[6:7], v[248:249]
	v_add_f64 v[6:7], v[6:7], v[232:233]
	;; [unrolled: 1-line block ×3, first 2 shown]
	s_waitcnt vmcnt(22) lgkmcnt(1)
	v_mul_f64 v[20:21], v[82:83], v[200:201]
	s_waitcnt vmcnt(20)
	v_fmac_f64_e32 v[20:21], v[84:85], v[202:203]
	v_add_f64 v[2:3], v[2:3], v[20:21]
	v_mul_f64 v[20:21], v[246:247], v[230:231]
	v_fma_f64 v[66:67], v[244:245], v[66:67], -v[20:21]
	s_waitcnt vmcnt(17)
	v_mul_f64 v[20:21], v[86:87], v[206:207]
	ds_read_b128 v[228:231], v1 offset:1664
	s_waitcnt vmcnt(16)
	v_fmac_f64_e32 v[20:21], v[88:89], v[208:209]
	v_add_f64 v[2:3], v[2:3], v[20:21]
	v_mul_f64 v[20:21], v[254:255], v[106:107]
	v_fma_f64 v[252:253], v[252:253], v[108:109], -v[20:21]
	s_waitcnt vmcnt(13)
	v_mul_f64 v[20:21], v[90:91], v[210:211]
	s_waitcnt vmcnt(11)
	v_fmac_f64_e32 v[20:21], v[92:93], v[68:69]
	v_add_f64 v[2:3], v[2:3], v[20:21]
	s_waitcnt vmcnt(10) lgkmcnt(0)
	v_mul_f64 v[20:21], v[228:229], v[204:205]
	s_waitcnt vmcnt(8)
	v_fmac_f64_e32 v[20:21], v[230:231], v[214:215]
	v_add_f64 v[2:3], v[2:3], v[20:21]
	s_waitcnt vmcnt(6)
	v_mul_f64 v[20:21], v[98:99], v[212:213]
	s_waitcnt vmcnt(4)
	v_fmac_f64_e32 v[20:21], v[100:101], v[218:219]
	v_add_f64 v[2:3], v[2:3], v[20:21]
	s_waitcnt vmcnt(1)
	v_mul_f64 v[20:21], v[102:103], v[220:221]
	s_waitcnt vmcnt(0)
	v_fmac_f64_e32 v[20:21], v[104:105], v[222:223]
	v_add_f64 v[20:21], v[2:3], v[20:21]
	buffer_load_dword v3, off, s[0:3], 0 offset:860
	buffer_load_dword v2, off, s[0:3], 0 offset:856
	;; [unrolled: 1-line block ×4, first 2 shown]
	ds_read_b128 v[106:109], v1 offset:1712
	buffer_load_dword v236, off, s[0:3], 0 offset:872
	buffer_load_dword v237, off, s[0:3], 0 offset:876
	;; [unrolled: 1-line block ×4, first 2 shown]
	v_add_f64 v[254:255], v[6:7], v[4:5]
	v_add_f64 v[4:5], v[254:255], v[66:67]
	;; [unrolled: 1-line block ×3, first 2 shown]
	s_waitcnt vmcnt(6) lgkmcnt(0)
	v_mul_f64 v[110:111], v[106:107], v[2:3]
	v_mul_f64 v[2:3], v[108:109], v[2:3]
	s_waitcnt vmcnt(4)
	v_fmac_f64_e32 v[110:111], v[108:109], v[234:235]
	v_add_f64 v[20:21], v[20:21], v[110:111]
	ds_read_b128 v[110:113], v1 offset:1728
	buffer_load_dword v243, off, s[0:3], 0 offset:892
	buffer_load_dword v242, off, s[0:3], 0 offset:888
	buffer_load_dword v245, off, s[0:3], 0 offset:884
	buffer_load_dword v244, off, s[0:3], 0 offset:880
	v_fma_f64 v[2:3], v[106:107], v[234:235], -v[2:3]
	s_waitcnt vmcnt(6) lgkmcnt(0)
	v_mul_f64 v[114:115], v[110:111], v[236:237]
	s_waitcnt vmcnt(4)
	v_fmac_f64_e32 v[114:115], v[112:113], v[238:239]
	v_add_f64 v[20:21], v[20:21], v[114:115]
	ds_read_b128 v[114:117], v1 offset:1744
	buffer_load_dword v248, off, s[0:3], 0 offset:144
	buffer_load_dword v249, off, s[0:3], 0 offset:148
	;; [unrolled: 1-line block ×4, first 2 shown]
	v_accvgpr_read_b32 v0, a166
	v_accvgpr_read_b32 v1, a167
	v_mul_f64 v[6:7], v[138:139], v[0:1]
	v_accvgpr_read_b32 v0, a168
	v_fma_f64 v[6:7], v[136:137], v[140:141], -v[6:7]
	v_accvgpr_read_b32 v1, a169
	v_add_f64 v[4:5], v[4:5], v[6:7]
	v_mul_f64 v[6:7], v[134:135], v[0:1]
	v_accvgpr_read_b32 v0, a170
	v_accvgpr_read_b32 v1, a171
	v_fma_f64 v[6:7], v[132:133], v[0:1], -v[6:7]
	v_add_f64 v[4:5], v[4:5], v[6:7]
	v_mul_f64 v[6:7], v[130:131], v[144:145]
	v_accvgpr_read_b32 v0, a172
	v_fma_f64 v[6:7], v[128:129], v[148:149], -v[6:7]
	v_accvgpr_read_b32 v1, a173
	v_add_f64 v[4:5], v[4:5], v[6:7]
	v_mul_f64 v[6:7], v[126:127], v[0:1]
	v_accvgpr_read_b32 v0, a174
	v_accvgpr_read_b32 v1, a175
	v_fma_f64 v[6:7], v[124:125], v[0:1], -v[6:7]
	v_add_f64 v[4:5], v[4:5], v[6:7]
	;; [unrolled: 10-line block ×4, first 2 shown]
	v_mul_f64 v[6:7], v[36:37], v[164:165]
	v_accvgpr_read_b32 v0, a184
	v_fma_f64 v[6:7], v[34:35], v[166:167], -v[6:7]
	v_accvgpr_read_b32 v1, a185
	v_add_f64 v[4:5], v[4:5], v[6:7]
	v_mul_f64 v[6:7], v[40:41], v[0:1]
	v_fma_f64 v[6:7], v[38:39], v[142:143], -v[6:7]
	v_add_f64 v[4:5], v[4:5], v[6:7]
	v_mul_f64 v[6:7], v[44:45], v[168:169]
	v_fma_f64 v[6:7], v[42:43], v[170:171], -v[6:7]
	;; [unrolled: 3-line block ×17, first 2 shown]
	v_add_f64 v[4:5], v[4:5], v[6:7]
	v_add_f64 v[2:3], v[4:5], v[2:3]
	v_mul_f64 v[4:5], v[112:113], v[236:237]
	v_fma_f64 v[4:5], v[110:111], v[238:239], -v[4:5]
	v_add_f64 v[2:3], v[2:3], v[4:5]
	s_waitcnt vmcnt(6) lgkmcnt(0)
	v_mul_f64 v[4:5], v[116:117], v[242:243]
	v_mul_f64 v[240:241], v[114:115], v[242:243]
	s_waitcnt vmcnt(4)
	v_fma_f64 v[4:5], v[114:115], v[244:245], -v[4:5]
	v_fmac_f64_e32 v[240:241], v[116:117], v[244:245]
	v_add_f64 v[2:3], v[2:3], v[4:5]
	v_accvgpr_read_b32 v0, a164
	v_add_f64 v[240:241], v[20:21], v[240:241]
	s_waitcnt vmcnt(2)
	v_add_f64 v[2:3], v[248:249], -v[2:3]
	v_cmp_lt_u32_e32 vcc, 7, v0
	s_waitcnt vmcnt(0)
	v_add_f64 v[4:5], v[246:247], -v[240:241]
	buffer_store_dword v3, off, s[0:3], 0 offset:148
	buffer_store_dword v2, off, s[0:3], 0 offset:144
	;; [unrolled: 1-line block ×4, first 2 shown]
	s_and_saveexec_b64 s[4:5], vcc
	s_cbranch_execz .LBB118_329
; %bb.328:
	v_accvgpr_read_b32 v0, a157
	buffer_load_dword v2, v0, s[0:3], 0 offen
	buffer_load_dword v3, v0, s[0:3], 0 offen offset:4
	buffer_load_dword v4, v0, s[0:3], 0 offen offset:8
	;; [unrolled: 1-line block ×3, first 2 shown]
	v_mov_b32_e32 v0, 0
	v_accvgpr_read_b32 v1, a165
	buffer_store_dword v0, off, s[0:3], 0 offset:128
	buffer_store_dword v0, off, s[0:3], 0 offset:132
	;; [unrolled: 1-line block ×4, first 2 shown]
	s_waitcnt vmcnt(4)
	ds_write_b128 v1, v[2:5]
.LBB118_329:
	s_or_b64 exec, exec, s[4:5]
	s_waitcnt lgkmcnt(0)
	; wave barrier
	s_waitcnt lgkmcnt(0)
	buffer_load_dword v48, off, s[0:3], 0 offset:144
	buffer_load_dword v49, off, s[0:3], 0 offset:148
	;; [unrolled: 1-line block ×42, first 2 shown]
	v_mov_b32_e32 v1, 0
	buffer_load_dword v99, off, s[0:3], 0 offset:292
	buffer_load_dword v98, off, s[0:3], 0 offset:288
	;; [unrolled: 1-line block ×7, first 2 shown]
	ds_read_b128 v[112:115], v1 offset:1008
	ds_read_b128 v[116:119], v1 offset:1024
	;; [unrolled: 1-line block ×11, first 2 shown]
	v_accvgpr_read_b32 v0, a164
	v_cmp_lt_u32_e32 vcc, 6, v0
	s_waitcnt vmcnt(45) lgkmcnt(10)
	v_mul_f64 v[2:3], v[112:113], v[52:53]
	v_fmac_f64_e32 v[2:3], v[114:115], v[48:49]
	v_add_f64 v[2:3], v[2:3], 0
	s_waitcnt vmcnt(41) lgkmcnt(9)
	v_mul_f64 v[4:5], v[116:117], v[54:55]
	v_fmac_f64_e32 v[4:5], v[118:119], v[174:175]
	v_add_f64 v[2:3], v[2:3], v[4:5]
	buffer_load_dword v96, off, s[0:3], 0 offset:328
	buffer_load_dword v253, off, s[0:3], 0 offset:324
	;; [unrolled: 1-line block ×21, first 2 shown]
	s_waitcnt vmcnt(60) lgkmcnt(8)
	v_mul_f64 v[6:7], v[180:181], v[46:47]
	s_waitcnt vmcnt(58) lgkmcnt(6)
	v_mul_f64 v[10:11], v[190:191], v[62:63]
	s_waitcnt vmcnt(56)
	v_fmac_f64_e32 v[10:11], v[192:193], v[56:57]
	v_mul_f64 v[46:47], v[182:183], v[46:47]
	s_waitcnt vmcnt(54)
	v_mul_f64 v[8:9], v[184:185], v[64:65]
	s_waitcnt vmcnt(52) lgkmcnt(4)
	v_mul_f64 v[14:15], v[200:201], v[66:67]
	s_waitcnt vmcnt(50)
	v_fmac_f64_e32 v[14:15], v[202:203], v[68:69]
	s_waitcnt vmcnt(48)
	v_mul_f64 v[12:13], v[196:197], v[70:71]
	s_waitcnt vmcnt(46) lgkmcnt(2)
	v_mul_f64 v[18:19], v[214:215], v[76:77]
	s_waitcnt vmcnt(43)
	v_mul_f64 v[16:17], v[204:205], v[78:79]
	s_waitcnt vmcnt(41) lgkmcnt(1)
	v_mul_f64 v[20:21], v[220:221], v[72:73]
	s_waitcnt vmcnt(39)
	v_fmac_f64_e32 v[6:7], v[182:183], v[90:91]
	v_add_f64 v[2:3], v[2:3], v[6:7]
	s_waitcnt vmcnt(37)
	v_fmac_f64_e32 v[8:9], v[186:187], v[88:89]
	v_add_f64 v[2:3], v[2:3], v[8:9]
	;; [unrolled: 3-line block ×3, first 2 shown]
	v_add_f64 v[2:3], v[2:3], v[12:13]
	v_add_f64 v[2:3], v[2:3], v[14:15]
	s_waitcnt vmcnt(33)
	v_fmac_f64_e32 v[16:17], v[206:207], v[80:81]
	v_add_f64 v[2:3], v[2:3], v[16:17]
	s_waitcnt vmcnt(32)
	v_fmac_f64_e32 v[18:19], v[216:217], v[74:75]
	;; [unrolled: 3-line block ×3, first 2 shown]
	v_add_f64 v[2:3], v[2:3], v[20:21]
	s_waitcnt vmcnt(0)
	v_pk_mov_b32 v[14:15], v[4:5], v[4:5] op_sel:[0,1]
	buffer_load_dword v5, off, s[0:3], 0 offset:436
	buffer_load_dword v4, off, s[0:3], 0 offset:432
	v_accvgpr_write_b32 a167, v15
	v_accvgpr_write_b32 a166, v14
	s_waitcnt vmcnt(0)
	v_pk_mov_b32 v[16:17], v[4:5], v[4:5] op_sel:[0,1]
	buffer_load_dword v105, off, s[0:3], 0 offset:428
	buffer_load_dword v104, off, s[0:3], 0 offset:424
	buffer_load_dword v107, off, s[0:3], 0 offset:420
	buffer_load_dword v106, off, s[0:3], 0 offset:416
	buffer_load_dword v5, off, s[0:3], 0 offset:476
	buffer_load_dword v4, off, s[0:3], 0 offset:472
	v_accvgpr_write_b32 a169, v17
	v_accvgpr_write_b32 a168, v16
	s_waitcnt vmcnt(0)
	v_pk_mov_b32 v[22:23], v[4:5], v[4:5] op_sel:[0,1]
	buffer_load_dword v5, off, s[0:3], 0 offset:468
	buffer_load_dword v4, off, s[0:3], 0 offset:464
	v_accvgpr_write_b32 a171, v23
	v_accvgpr_write_b32 a170, v22
	s_waitcnt vmcnt(0)
	v_pk_mov_b32 v[24:25], v[4:5], v[4:5] op_sel:[0,1]
	buffer_load_dword v141, off, s[0:3], 0 offset:460
	buffer_load_dword v140, off, s[0:3], 0 offset:456
	buffer_load_dword v145, off, s[0:3], 0 offset:452
	buffer_load_dword v144, off, s[0:3], 0 offset:448
	buffer_load_dword v5, off, s[0:3], 0 offset:508
	buffer_load_dword v4, off, s[0:3], 0 offset:504
	v_accvgpr_write_b32 a173, v25
	v_accvgpr_write_b32 a172, v24
	;; [unrolled: 16-line block ×4, first 2 shown]
	s_waitcnt vmcnt(0)
	v_pk_mov_b32 v[178:179], v[4:5], v[4:5] op_sel:[0,1]
	buffer_load_dword v5, off, s[0:3], 0 offset:564
	buffer_load_dword v4, off, s[0:3], 0 offset:560
	;; [unrolled: 1-line block ×22, first 2 shown]
	ds_read_b128 v[224:227], v1 offset:1184
	ds_read_b128 v[228:231], v1 offset:1200
	;; [unrolled: 1-line block ×12, first 2 shown]
	s_waitcnt lgkmcnt(5)
	v_mul_f64 v[8:9], v[248:249], v[104:105]
	v_fmac_f64_e32 v[8:9], v[250:251], v[106:107]
	s_waitcnt lgkmcnt(4)
	v_mul_f64 v[12:13], v[136:137], v[14:15]
	v_fmac_f64_e32 v[12:13], v[138:139], v[16:17]
	;; [unrolled: 3-line block ×6, first 2 shown]
	v_accvgpr_write_b32 a183, v179
	v_accvgpr_write_b32 a182, v178
	s_waitcnt vmcnt(20)
	v_pk_mov_b32 v[188:189], v[4:5], v[4:5] op_sel:[0,1]
	v_mul_f64 v[4:5], v[58:59], v[84:85]
	v_fmac_f64_e32 v[4:5], v[60:61], v[86:87]
	v_add_f64 v[2:3], v[2:3], v[4:5]
	v_mul_f64 v[4:5], v[224:225], v[96:97]
	v_fmac_f64_e32 v[4:5], v[226:227], v[252:253]
	v_add_f64 v[2:3], v[2:3], v[4:5]
	;; [unrolled: 3-line block ×7, first 2 shown]
	v_add_f64 v[10:11], v[6:7], v[8:9]
	v_add_f64 v[14:15], v[10:11], v[12:13]
	;; [unrolled: 1-line block ×5, first 2 shown]
	ds_read_b128 v[22:25], v1 offset:1376
	v_add_f64 v[30:31], v[26:27], v[28:29]
	ds_read_b128 v[26:29], v1 offset:1392
	v_mul_f64 v[4:5], v[114:115], v[52:53]
	v_fma_f64 v[18:19], v[112:113], v[48:49], -v[4:5]
	s_waitcnt lgkmcnt(1)
	v_mul_f64 v[32:33], v[22:23], v[156:157]
	v_fmac_f64_e32 v[32:33], v[24:25], v[158:159]
	s_waitcnt lgkmcnt(0)
	v_mul_f64 v[36:37], v[26:27], v[38:39]
	v_add_f64 v[34:35], v[30:31], v[32:33]
	ds_read_b128 v[30:33], v1 offset:1408
	v_fmac_f64_e32 v[36:37], v[28:29], v[40:41]
	v_add_f64 v[38:39], v[34:35], v[36:37]
	ds_read_b128 v[34:37], v1 offset:1424
	v_mul_f64 v[48:49], v[118:119], v[54:55]
	s_waitcnt vmcnt(18) lgkmcnt(1)
	v_mul_f64 v[40:41], v[30:31], v[160:161]
	s_waitcnt vmcnt(16)
	v_fmac_f64_e32 v[40:41], v[32:33], v[162:163]
	v_add_f64 v[42:43], v[38:39], v[40:41]
	s_waitcnt lgkmcnt(0)
	v_mul_f64 v[44:45], v[34:35], v[178:179]
	v_fmac_f64_e32 v[44:45], v[36:37], v[188:189]
	ds_read_b128 v[38:41], v1 offset:1440
	v_add_f64 v[2:3], v[42:43], v[44:45]
	ds_read_b128 v[42:45], v1 offset:1456
	v_fma_f64 v[114:115], v[116:117], v[174:175], -v[48:49]
	buffer_load_dword v119, off, s[0:3], 0 offset:652
	buffer_load_dword v118, off, s[0:3], 0 offset:648
	;; [unrolled: 1-line block ×8, first 2 shown]
	v_fma_f64 v[116:117], v[180:181], v[90:91], -v[46:47]
	v_mul_f64 v[46:47], v[186:187], v[64:65]
	v_fma_f64 v[14:15], v[184:185], v[88:89], -v[46:47]
	buffer_load_dword v181, off, s[0:3], 0 offset:700
	buffer_load_dword v185, off, s[0:3], 0 offset:684
	;; [unrolled: 1-line block ×6, first 2 shown]
	v_accvgpr_write_b32 a184, v188
	v_accvgpr_write_b32 a185, v189
	buffer_load_dword v189, off, s[0:3], 0 offset:692
	buffer_load_dword v188, off, s[0:3], 0 offset:688
	v_mul_f64 v[8:9], v[192:193], v[62:63]
	v_fma_f64 v[10:11], v[190:191], v[56:57], -v[8:9]
	buffer_load_dword v182, off, s[0:3], 0 offset:728
	buffer_load_dword v193, off, s[0:3], 0 offset:716
	;; [unrolled: 1-line block ×8, first 2 shown]
	v_mul_f64 v[54:55], v[198:199], v[70:71]
	ds_read_b128 v[46:49], v1 offset:1472
	v_fma_f64 v[8:9], v[196:197], v[82:83], -v[54:55]
	buffer_load_dword v197, off, s[0:3], 0 offset:748
	buffer_load_dword v196, off, s[0:3], 0 offset:744
	;; [unrolled: 1-line block ×4, first 2 shown]
	v_mul_f64 v[12:13], v[202:203], v[66:67]
	v_fma_f64 v[12:13], v[200:201], v[68:69], -v[12:13]
	buffer_load_dword v200, off, s[0:3], 0 offset:760
	buffer_load_dword v202, off, s[0:3], 0 offset:752
	;; [unrolled: 1-line block ×4, first 2 shown]
	v_mul_f64 v[54:55], v[206:207], v[78:79]
	buffer_load_dword v207, off, s[0:3], 0 offset:780
	buffer_load_dword v206, off, s[0:3], 0 offset:776
	;; [unrolled: 1-line block ×8, first 2 shown]
	v_mul_f64 v[16:17], v[216:217], v[76:77]
	v_fma_f64 v[6:7], v[204:205], v[80:81], -v[54:55]
	v_fma_f64 v[16:17], v[214:215], v[74:75], -v[16:17]
	buffer_load_dword v204, off, s[0:3], 0 offset:824
	buffer_load_dword v217, off, s[0:3], 0 offset:812
	;; [unrolled: 1-line block ×8, first 2 shown]
	v_mul_f64 v[56:57], v[222:223], v[72:73]
	s_waitcnt vmcnt(58) lgkmcnt(2)
	v_mul_f64 v[112:113], v[38:39], v[164:165]
	v_fma_f64 v[4:5], v[220:221], v[98:99], -v[56:57]
	ds_read_b128 v[220:223], v1 offset:1488
	s_waitcnt vmcnt(56)
	v_fmac_f64_e32 v[112:113], v[40:41], v[166:167]
	s_waitcnt lgkmcnt(2)
	v_mul_f64 v[54:55], v[42:43], v[142:143]
	v_add_f64 v[2:3], v[2:3], v[112:113]
	v_fmac_f64_e32 v[54:55], v[44:45], v[146:147]
	v_add_f64 v[2:3], v[2:3], v[54:55]
	ds_read_b128 v[54:57], v1 offset:1504
	s_waitcnt vmcnt(50) lgkmcnt(2)
	v_mul_f64 v[20:21], v[46:47], v[168:169]
	s_waitcnt vmcnt(48)
	v_fmac_f64_e32 v[20:21], v[48:49], v[170:171]
	v_add_f64 v[2:3], v[2:3], v[20:21]
	s_waitcnt lgkmcnt(1)
	v_mul_f64 v[20:21], v[220:221], v[150:151]
	v_fmac_f64_e32 v[20:21], v[222:223], v[154:155]
	v_add_f64 v[2:3], v[2:3], v[20:21]
	v_mul_f64 v[20:21], v[60:61], v[84:85]
	v_fma_f64 v[20:21], v[58:59], v[86:87], -v[20:21]
	ds_read_b128 v[58:61], v1 offset:1520
	v_mul_f64 v[70:71], v[230:231], v[92:93]
	v_fma_f64 v[228:229], v[228:229], v[94:95], -v[70:71]
	v_mul_f64 v[82:83], v[238:239], v[108:109]
	v_mul_f64 v[50:51], v[242:243], v[50:51]
	;; [unrolled: 1-line block ×3, first 2 shown]
	v_fma_f64 v[50:51], v[240:241], v[176:177], -v[50:51]
	v_fma_f64 v[176:177], v[244:245], v[102:103], -v[94:95]
	v_add_f64 v[18:19], v[18:19], 0
	v_add_f64 v[18:19], v[18:19], v[114:115]
	v_add_f64 v[18:19], v[18:19], v[116:117]
	ds_read_b128 v[70:73], v1 offset:1568
	v_add_f64 v[14:15], v[18:19], v[14:15]
	v_add_f64 v[10:11], v[14:15], v[10:11]
	;; [unrolled: 1-line block ×8, first 2 shown]
	v_accvgpr_read_b32 v6, a166
	v_accvgpr_read_b32 v7, a167
	;; [unrolled: 1-line block ×3, first 2 shown]
	v_mul_f64 v[6:7], v[138:139], v[6:7]
	v_accvgpr_read_b32 v9, a169
	v_fma_f64 v[6:7], v[136:137], v[8:9], -v[6:7]
	v_accvgpr_read_b32 v8, a172
	v_accvgpr_read_b32 v9, a173
	s_waitcnt vmcnt(46) lgkmcnt(2)
	v_mul_f64 v[62:63], v[54:55], v[118:119]
	s_waitcnt vmcnt(44)
	v_fmac_f64_e32 v[62:63], v[56:57], v[178:179]
	v_add_f64 v[2:3], v[2:3], v[62:63]
	v_mul_f64 v[62:63], v[226:227], v[96:97]
	v_fma_f64 v[252:253], v[224:225], v[252:253], -v[62:63]
	ds_read_b128 v[62:65], v1 offset:1536
	s_waitcnt vmcnt(41) lgkmcnt(2)
	v_mul_f64 v[66:67], v[58:59], v[174:175]
	s_waitcnt vmcnt(40)
	v_fmac_f64_e32 v[66:67], v[60:61], v[52:53]
	v_add_f64 v[2:3], v[2:3], v[66:67]
	ds_read_b128 v[66:69], v1 offset:1552
	s_waitcnt vmcnt(37) lgkmcnt(1)
	v_mul_f64 v[74:75], v[62:63], v[184:185]
	s_waitcnt vmcnt(35)
	v_fmac_f64_e32 v[74:75], v[64:65], v[186:187]
	v_add_f64 v[2:3], v[2:3], v[74:75]
	v_mul_f64 v[74:75], v[234:235], v[254:255]
	v_fma_f64 v[172:173], v[232:233], v[172:173], -v[74:75]
	ds_read_b128 v[74:77], v1 offset:1584
	s_waitcnt vmcnt(34) lgkmcnt(1)
	v_mul_f64 v[78:79], v[66:67], v[180:181]
	s_waitcnt vmcnt(32)
	v_fmac_f64_e32 v[78:79], v[68:69], v[188:189]
	v_add_f64 v[2:3], v[2:3], v[78:79]
	s_waitcnt vmcnt(29)
	v_mul_f64 v[78:79], v[70:71], v[192:193]
	s_waitcnt vmcnt(27)
	v_fmac_f64_e32 v[78:79], v[72:73], v[194:195]
	v_add_f64 v[2:3], v[2:3], v[78:79]
	v_fma_f64 v[254:255], v[236:237], v[110:111], -v[82:83]
	ds_read_b128 v[82:85], v1 offset:1616
	s_waitcnt vmcnt(25) lgkmcnt(1)
	v_mul_f64 v[78:79], v[74:75], v[182:183]
	s_waitcnt vmcnt(24)
	v_fmac_f64_e32 v[78:79], v[76:77], v[190:191]
	v_add_f64 v[2:3], v[2:3], v[78:79]
	ds_read_b128 v[78:81], v1 offset:1600
	ds_read_b128 v[94:97], v1 offset:1664
	s_waitcnt vmcnt(17) lgkmcnt(2)
	v_mul_f64 v[90:91], v[82:83], v[200:201]
	s_waitcnt vmcnt(16)
	v_fmac_f64_e32 v[90:91], v[84:85], v[202:203]
	v_add_f64 v[4:5], v[4:5], v[252:253]
	s_waitcnt lgkmcnt(1)
	v_mul_f64 v[86:87], v[78:79], v[196:197]
	v_fmac_f64_e32 v[86:87], v[80:81], v[198:199]
	v_add_f64 v[2:3], v[2:3], v[86:87]
	ds_read_b128 v[86:89], v1 offset:1632
	v_add_f64 v[2:3], v[2:3], v[90:91]
	ds_read_b128 v[90:93], v1 offset:1648
	v_add_f64 v[4:5], v[4:5], v[228:229]
	v_add_f64 v[4:5], v[4:5], v[172:173]
	s_waitcnt vmcnt(14) lgkmcnt(1)
	v_mul_f64 v[98:99], v[86:87], v[206:207]
	s_waitcnt vmcnt(12)
	v_fmac_f64_e32 v[98:99], v[88:89], v[210:211]
	v_add_f64 v[2:3], v[2:3], v[98:99]
	v_mul_f64 v[98:99], v[250:251], v[104:105]
	v_fma_f64 v[250:251], v[248:249], v[106:107], -v[98:99]
	ds_read_b128 v[98:101], v1 offset:1680
	s_waitcnt vmcnt(10) lgkmcnt(1)
	v_mul_f64 v[102:103], v[90:91], v[208:209]
	s_waitcnt vmcnt(8)
	v_fmac_f64_e32 v[102:103], v[92:93], v[212:213]
	v_add_f64 v[2:3], v[2:3], v[102:103]
	s_waitcnt vmcnt(5)
	v_mul_f64 v[102:103], v[94:95], v[216:217]
	s_waitcnt vmcnt(3)
	v_fmac_f64_e32 v[102:103], v[96:97], v[218:219]
	v_add_f64 v[2:3], v[2:3], v[102:103]
	s_waitcnt vmcnt(1) lgkmcnt(0)
	v_mul_f64 v[102:103], v[98:99], v[204:205]
	s_waitcnt vmcnt(0)
	v_fmac_f64_e32 v[102:103], v[100:101], v[214:215]
	v_add_f64 v[106:107], v[2:3], v[102:103]
	buffer_load_dword v3, off, s[0:3], 0 offset:844
	buffer_load_dword v2, off, s[0:3], 0 offset:840
	;; [unrolled: 1-line block ×4, first 2 shown]
	ds_read_b128 v[102:105], v1 offset:1696
	buffer_load_dword v232, off, s[0:3], 0 offset:856
	buffer_load_dword v233, off, s[0:3], 0 offset:860
	;; [unrolled: 1-line block ×4, first 2 shown]
	v_add_f64 v[4:5], v[4:5], v[254:255]
	v_add_f64 v[4:5], v[4:5], v[50:51]
	;; [unrolled: 1-line block ×5, first 2 shown]
	v_mul_f64 v[6:7], v[134:135], v[140:141]
	v_fma_f64 v[6:7], v[132:133], v[144:145], -v[6:7]
	v_add_f64 v[4:5], v[4:5], v[6:7]
	v_accvgpr_read_b32 v6, a170
	v_accvgpr_read_b32 v7, a171
	v_mul_f64 v[6:7], v[130:131], v[6:7]
	v_fma_f64 v[6:7], v[128:129], v[8:9], -v[6:7]
	v_add_f64 v[4:5], v[4:5], v[6:7]
	v_mul_f64 v[6:7], v[126:127], v[148:149]
	v_fma_f64 v[6:7], v[124:125], v[152:153], -v[6:7]
	v_add_f64 v[4:5], v[4:5], v[6:7]
	v_accvgpr_read_b32 v6, a174
	v_accvgpr_read_b32 v7, a175
	v_accvgpr_read_b32 v8, a176
	v_mul_f64 v[6:7], v[122:123], v[6:7]
	v_accvgpr_read_b32 v9, a177
	v_fma_f64 v[6:7], v[120:121], v[8:9], -v[6:7]
	v_add_f64 v[4:5], v[4:5], v[6:7]
	v_mul_f64 v[6:7], v[24:25], v[156:157]
	v_fma_f64 v[6:7], v[22:23], v[158:159], -v[6:7]
	v_add_f64 v[4:5], v[4:5], v[6:7]
	v_accvgpr_read_b32 v6, a178
	v_accvgpr_read_b32 v7, a179
	v_accvgpr_read_b32 v8, a180
	v_mul_f64 v[6:7], v[28:29], v[6:7]
	v_accvgpr_read_b32 v9, a181
	;; [unrolled: 10-line block ×3, first 2 shown]
	v_fma_f64 v[6:7], v[34:35], v[8:9], -v[6:7]
	v_add_f64 v[4:5], v[4:5], v[6:7]
	v_mul_f64 v[6:7], v[40:41], v[164:165]
	v_fma_f64 v[6:7], v[38:39], v[166:167], -v[6:7]
	v_add_f64 v[4:5], v[4:5], v[6:7]
	v_mul_f64 v[6:7], v[44:45], v[142:143]
	;; [unrolled: 3-line block ×11, first 2 shown]
	v_fma_f64 v[6:7], v[78:79], v[198:199], -v[6:7]
	s_waitcnt vmcnt(6) lgkmcnt(0)
	v_mul_f64 v[108:109], v[102:103], v[2:3]
	v_add_f64 v[4:5], v[4:5], v[6:7]
	s_waitcnt vmcnt(4)
	v_fmac_f64_e32 v[108:109], v[104:105], v[230:231]
	v_add_f64 v[110:111], v[106:107], v[108:109]
	ds_read_b128 v[106:109], v1 offset:1712
	buffer_load_dword v237, off, s[0:3], 0 offset:876
	buffer_load_dword v236, off, s[0:3], 0 offset:872
	;; [unrolled: 1-line block ×4, first 2 shown]
	v_mul_f64 v[6:7], v[84:85], v[200:201]
	v_fma_f64 v[6:7], v[82:83], v[202:203], -v[6:7]
	v_add_f64 v[4:5], v[4:5], v[6:7]
	s_waitcnt vmcnt(6) lgkmcnt(0)
	v_mul_f64 v[112:113], v[106:107], v[232:233]
	s_waitcnt vmcnt(4)
	v_fmac_f64_e32 v[112:113], v[108:109], v[234:235]
	v_add_f64 v[224:225], v[110:111], v[112:113]
	ds_read_b128 v[110:113], v1 offset:1728
	buffer_load_dword v242, off, s[0:3], 0 offset:888
	buffer_load_dword v243, off, s[0:3], 0 offset:892
	;; [unrolled: 1-line block ×4, first 2 shown]
	v_mul_f64 v[6:7], v[88:89], v[206:207]
	v_fma_f64 v[6:7], v[86:87], v[210:211], -v[6:7]
	v_add_f64 v[4:5], v[4:5], v[6:7]
	v_mul_f64 v[6:7], v[92:93], v[208:209]
	v_fma_f64 v[6:7], v[90:91], v[212:213], -v[6:7]
	v_add_f64 v[4:5], v[4:5], v[6:7]
	;; [unrolled: 3-line block ×3, first 2 shown]
	v_mul_f64 v[6:7], v[100:101], v[204:205]
	v_fma_f64 v[6:7], v[98:99], v[214:215], -v[6:7]
	v_mul_f64 v[2:3], v[104:105], v[2:3]
	v_add_f64 v[4:5], v[4:5], v[6:7]
	v_fma_f64 v[2:3], v[102:103], v[230:231], -v[2:3]
	v_add_f64 v[2:3], v[4:5], v[2:3]
	v_mul_f64 v[4:5], v[108:109], v[232:233]
	v_fma_f64 v[4:5], v[106:107], v[234:235], -v[4:5]
	v_add_f64 v[2:3], v[2:3], v[4:5]
	s_waitcnt vmcnt(6) lgkmcnt(0)
	v_mul_f64 v[226:227], v[110:111], v[236:237]
	v_mul_f64 v[4:5], v[112:113], v[236:237]
	s_waitcnt vmcnt(4)
	v_fmac_f64_e32 v[226:227], v[112:113], v[238:239]
	v_add_f64 v[240:241], v[224:225], v[226:227]
	ds_read_b128 v[224:227], v1 offset:1744
	buffer_load_dword v248, off, s[0:3], 0 offset:128
	buffer_load_dword v249, off, s[0:3], 0 offset:132
	v_fma_f64 v[4:5], v[110:111], v[238:239], -v[4:5]
	v_add_f64 v[2:3], v[2:3], v[4:5]
	s_waitcnt vmcnt(4) lgkmcnt(0)
	v_mul_f64 v[246:247], v[224:225], v[242:243]
	s_waitcnt vmcnt(2)
	v_fmac_f64_e32 v[246:247], v[226:227], v[244:245]
	v_add_f64 v[240:241], v[240:241], v[246:247]
	buffer_load_dword v246, off, s[0:3], 0 offset:136
	buffer_load_dword v247, off, s[0:3], 0 offset:140
	v_mul_f64 v[4:5], v[226:227], v[242:243]
	v_fma_f64 v[4:5], v[224:225], v[244:245], -v[4:5]
	v_add_f64 v[2:3], v[2:3], v[4:5]
	s_waitcnt vmcnt(2)
	v_add_f64 v[2:3], v[248:249], -v[2:3]
	s_waitcnt vmcnt(0)
	v_add_f64 v[4:5], v[246:247], -v[240:241]
	buffer_store_dword v3, off, s[0:3], 0 offset:132
	buffer_store_dword v2, off, s[0:3], 0 offset:128
	;; [unrolled: 1-line block ×4, first 2 shown]
	s_and_saveexec_b64 s[4:5], vcc
	s_cbranch_execz .LBB118_331
; %bb.330:
	v_accvgpr_read_b32 v0, a158
	buffer_load_dword v2, v0, s[0:3], 0 offen
	buffer_load_dword v3, v0, s[0:3], 0 offen offset:4
	buffer_load_dword v4, v0, s[0:3], 0 offen offset:8
	;; [unrolled: 1-line block ×3, first 2 shown]
	v_accvgpr_read_b32 v0, a165
	buffer_store_dword v1, off, s[0:3], 0 offset:112
	buffer_store_dword v1, off, s[0:3], 0 offset:116
	buffer_store_dword v1, off, s[0:3], 0 offset:120
	buffer_store_dword v1, off, s[0:3], 0 offset:124
	s_waitcnt vmcnt(4)
	ds_write_b128 v0, v[2:5]
.LBB118_331:
	s_or_b64 exec, exec, s[4:5]
	s_waitcnt lgkmcnt(0)
	; wave barrier
	s_waitcnt lgkmcnt(0)
	buffer_load_dword v42, off, s[0:3], 0 offset:128
	buffer_load_dword v43, off, s[0:3], 0 offset:132
	;; [unrolled: 1-line block ×42, first 2 shown]
	ds_read_b128 v[110:113], v1 offset:992
	ds_read_b128 v[114:117], v1 offset:1008
	ds_read_b128 v[176:179], v1 offset:1024
	ds_read_b128 v[180:183], v1 offset:1040
	ds_read_b128 v[188:191], v1 offset:1056
	ds_read_b128 v[192:195], v1 offset:1072
	ds_read_b128 v[196:199], v1 offset:1088
	ds_read_b128 v[200:203], v1 offset:1104
	ds_read_b128 v[204:207], v1 offset:1120
	ds_read_b128 v[210:213], v1 offset:1136
	buffer_load_dword v119, off, s[0:3], 0 offset:276
	buffer_load_dword v118, off, s[0:3], 0 offset:272
	ds_read_b128 v[50:53], v1 offset:1152
	buffer_load_dword v89, off, s[0:3], 0 offset:332
	buffer_load_dword v88, off, s[0:3], 0 offset:328
	;; [unrolled: 1-line block ×8, first 2 shown]
	s_waitcnt vmcnt(48) lgkmcnt(10)
	v_mul_f64 v[2:3], v[110:111], v[48:49]
	v_fmac_f64_e32 v[2:3], v[112:113], v[42:43]
	v_add_f64 v[2:3], v[2:3], 0
	s_waitcnt vmcnt(44) lgkmcnt(9)
	v_mul_f64 v[4:5], v[114:115], v[170:171]
	v_fmac_f64_e32 v[4:5], v[116:117], v[44:45]
	v_add_f64 v[2:3], v[2:3], v[4:5]
	buffer_load_dword v107, off, s[0:3], 0 offset:364
	buffer_load_dword v106, off, s[0:3], 0 offset:360
	;; [unrolled: 1-line block ×26, first 2 shown]
	s_waitcnt vmcnt(62) lgkmcnt(8)
	v_mul_f64 v[6:7], v[176:177], v[46:47]
	s_waitcnt lgkmcnt(6)
	v_mul_f64 v[10:11], v[188:189], v[58:59]
	v_fmac_f64_e32 v[10:11], v[190:191], v[56:57]
	v_mul_f64 v[46:47], v[178:179], v[46:47]
	v_mul_f64 v[8:9], v[180:181], v[60:61]
	s_waitcnt vmcnt(60) lgkmcnt(4)
	v_mul_f64 v[14:15], v[196:197], v[62:63]
	s_waitcnt vmcnt(58)
	v_fmac_f64_e32 v[14:15], v[198:199], v[64:65]
	s_waitcnt vmcnt(56)
	v_mul_f64 v[12:13], v[192:193], v[66:67]
	s_waitcnt vmcnt(54) lgkmcnt(2)
	v_mul_f64 v[18:19], v[204:205], v[68:69]
	s_waitcnt vmcnt(51)
	v_mul_f64 v[16:17], v[200:201], v[74:75]
	s_waitcnt vmcnt(49) lgkmcnt(1)
	v_mul_f64 v[20:21], v[210:211], v[72:73]
	s_waitcnt vmcnt(47)
	v_fmac_f64_e32 v[6:7], v[178:179], v[82:83]
	v_add_f64 v[2:3], v[2:3], v[6:7]
	s_waitcnt vmcnt(45)
	v_fmac_f64_e32 v[8:9], v[182:183], v[80:81]
	v_add_f64 v[2:3], v[2:3], v[8:9]
	;; [unrolled: 3-line block ×3, first 2 shown]
	v_add_f64 v[2:3], v[2:3], v[12:13]
	s_waitcnt vmcnt(41)
	v_fmac_f64_e32 v[16:17], v[202:203], v[76:77]
	v_add_f64 v[2:3], v[2:3], v[14:15]
	s_waitcnt vmcnt(40)
	v_fmac_f64_e32 v[18:19], v[206:207], v[70:71]
	v_add_f64 v[2:3], v[2:3], v[16:17]
	v_add_f64 v[2:3], v[2:3], v[18:19]
	s_waitcnt vmcnt(34)
	v_fmac_f64_e32 v[20:21], v[212:213], v[118:119]
	v_add_f64 v[2:3], v[2:3], v[20:21]
	s_waitcnt vmcnt(0)
	v_pk_mov_b32 v[18:19], v[4:5], v[4:5] op_sel:[0,1]
	buffer_load_dword v5, off, s[0:3], 0 offset:452
	buffer_load_dword v7, off, s[0:3], 0 offset:444
	;; [unrolled: 1-line block ×3, first 2 shown]
	v_accvgpr_write_b32 a171, v19
	v_accvgpr_write_b32 a170, v18
	s_waitcnt vmcnt(0)
	v_pk_mov_b32 v[14:15], v[6:7], v[6:7] op_sel:[0,1]
	buffer_load_dword v7, off, s[0:3], 0 offset:436
	buffer_load_dword v6, off, s[0:3], 0 offset:432
	buffer_load_dword v4, off, s[0:3], 0 offset:448
	v_accvgpr_write_b32 a167, v15
	v_accvgpr_write_b32 a166, v14
	s_waitcnt vmcnt(1)
	v_pk_mov_b32 v[16:17], v[6:7], v[6:7] op_sel:[0,1]
	s_waitcnt vmcnt(0)
	v_pk_mov_b32 v[22:23], v[4:5], v[4:5] op_sel:[0,1]
	buffer_load_dword v5, off, s[0:3], 0 offset:492
	buffer_load_dword v4, off, s[0:3], 0 offset:488
	v_accvgpr_write_b32 a169, v17
	v_accvgpr_write_b32 a168, v16
	;; [unrolled: 1-line block ×4, first 2 shown]
	s_waitcnt vmcnt(0)
	v_pk_mov_b32 v[26:27], v[4:5], v[4:5] op_sel:[0,1]
	buffer_load_dword v5, off, s[0:3], 0 offset:484
	buffer_load_dword v7, off, s[0:3], 0 offset:476
	;; [unrolled: 1-line block ×6, first 2 shown]
	v_accvgpr_write_b32 a177, v27
	v_accvgpr_write_b32 a176, v26
	s_waitcnt vmcnt(3)
	v_pk_mov_b32 v[24:25], v[6:7], v[6:7] op_sel:[0,1]
	s_waitcnt vmcnt(0)
	v_pk_mov_b32 v[28:29], v[4:5], v[4:5] op_sel:[0,1]
	buffer_load_dword v5, off, s[0:3], 0 offset:524
	buffer_load_dword v4, off, s[0:3], 0 offset:520
	v_accvgpr_write_b32 a175, v25
	v_accvgpr_write_b32 a174, v24
	;; [unrolled: 1-line block ×4, first 2 shown]
	s_waitcnt vmcnt(0)
	v_pk_mov_b32 v[34:35], v[4:5], v[4:5] op_sel:[0,1]
	buffer_load_dword v5, off, s[0:3], 0 offset:516
	buffer_load_dword v151, off, s[0:3], 0 offset:508
	;; [unrolled: 1-line block ×6, first 2 shown]
	v_accvgpr_write_b32 a181, v35
	v_accvgpr_write_b32 a180, v34
	s_waitcnt vmcnt(0)
	v_pk_mov_b32 v[36:37], v[4:5], v[4:5] op_sel:[0,1]
	buffer_load_dword v5, off, s[0:3], 0 offset:556
	buffer_load_dword v4, off, s[0:3], 0 offset:552
	v_accvgpr_write_b32 a183, v37
	v_accvgpr_write_b32 a182, v36
	s_waitcnt vmcnt(0)
	v_pk_mov_b32 v[38:39], v[4:5], v[4:5] op_sel:[0,1]
	buffer_load_dword v5, off, s[0:3], 0 offset:548
	buffer_load_dword v155, off, s[0:3], 0 offset:540
	;; [unrolled: 1-line block ×6, first 2 shown]
	v_accvgpr_write_b32 a185, v39
	v_accvgpr_write_b32 a184, v38
	s_waitcnt vmcnt(0)
	v_pk_mov_b32 v[40:41], v[4:5], v[4:5] op_sel:[0,1]
	buffer_load_dword v5, off, s[0:3], 0 offset:588
	buffer_load_dword v4, off, s[0:3], 0 offset:584
	;; [unrolled: 1-line block ×14, first 2 shown]
	ds_read_b128 v[220:223], v1 offset:1168
	ds_read_b128 v[224:227], v1 offset:1184
	;; [unrolled: 1-line block ×12, first 2 shown]
	s_waitcnt lgkmcnt(4)
	v_mul_f64 v[8:9], v[252:253], v[98:99]
	ds_read_b128 v[124:127], v1 offset:1360
	ds_read_b128 v[120:123], v1 offset:1376
	v_fmac_f64_e32 v[8:9], v[254:255], v[100:101]
	s_waitcnt lgkmcnt(5)
	v_mul_f64 v[12:13], v[140:141], v[14:15]
	v_fmac_f64_e32 v[12:13], v[142:143], v[16:17]
	s_waitcnt lgkmcnt(4)
	v_mul_f64 v[16:17], v[136:137], v[18:19]
	;; [unrolled: 3-line block ×6, first 2 shown]
	v_fmac_f64_e32 v[32:33], v[122:123], v[36:37]
	v_accvgpr_write_b32 a187, v41
	v_accvgpr_write_b32 a186, v40
	v_mul_f64 v[98:99], v[254:255], v[98:99]
	v_fma_f64 v[252:253], v[252:253], v[100:101], -v[98:99]
	s_waitcnt vmcnt(12)
	v_pk_mov_b32 v[172:173], v[4:5], v[4:5] op_sel:[0,1]
	v_mul_f64 v[4:5], v[50:51], v[84:85]
	v_fmac_f64_e32 v[4:5], v[52:53], v[86:87]
	v_add_f64 v[2:3], v[2:3], v[4:5]
	v_mul_f64 v[4:5], v[220:221], v[96:97]
	v_fmac_f64_e32 v[4:5], v[222:223], v[248:249]
	v_add_f64 v[2:3], v[2:3], v[4:5]
	;; [unrolled: 3-line block ×8, first 2 shown]
	v_add_f64 v[10:11], v[6:7], v[8:9]
	v_add_f64 v[14:15], v[10:11], v[12:13]
	;; [unrolled: 1-line block ×6, first 2 shown]
	ds_read_b128 v[26:29], v1 offset:1392
	v_add_f64 v[34:35], v[30:31], v[32:33]
	ds_read_b128 v[30:33], v1 offset:1408
	v_accvgpr_write_b32 a189, v173
	v_mul_f64 v[4:5], v[112:113], v[48:49]
	s_waitcnt lgkmcnt(1)
	v_mul_f64 v[36:37], v[26:27], v[154:155]
	v_fmac_f64_e32 v[36:37], v[28:29], v[156:157]
	v_add_f64 v[166:167], v[34:35], v[36:37]
	ds_read_b128 v[34:37], v1 offset:1424
	s_waitcnt lgkmcnt(1)
	v_mul_f64 v[168:169], v[30:31], v[38:39]
	v_fmac_f64_e32 v[168:169], v[32:33], v[40:41]
	ds_read_b128 v[38:41], v1 offset:1440
	v_add_f64 v[166:167], v[166:167], v[168:169]
	s_waitcnt vmcnt(9) lgkmcnt(1)
	v_mul_f64 v[168:169], v[34:35], v[158:159]
	s_waitcnt vmcnt(7)
	v_fmac_f64_e32 v[168:169], v[36:37], v[162:163]
	v_add_f64 v[166:167], v[166:167], v[168:169]
	s_waitcnt lgkmcnt(0)
	v_mul_f64 v[168:169], v[38:39], v[172:173]
	s_waitcnt vmcnt(6)
	v_fmac_f64_e32 v[168:169], v[40:41], v[144:145]
	v_add_f64 v[2:3], v[166:167], v[168:169]
	buffer_load_dword v169, off, s[0:3], 0 offset:612
	buffer_load_dword v168, off, s[0:3], 0 offset:608
	;; [unrolled: 1-line block ×3, first 2 shown]
	v_accvgpr_write_b32 a188, v172
	v_fma_f64 v[22:23], v[110:111], v[42:43], -v[4:5]
	v_mul_f64 v[42:43], v[116:117], v[170:171]
	buffer_load_dword v173, off, s[0:3], 0 offset:636
	buffer_load_dword v172, off, s[0:3], 0 offset:632
	;; [unrolled: 1-line block ×7, first 2 shown]
	v_fma_f64 v[110:111], v[114:115], v[44:45], -v[42:43]
	ds_read_b128 v[42:45], v1 offset:1456
	v_fma_f64 v[112:113], v[176:177], v[82:83], -v[46:47]
	v_mul_f64 v[46:47], v[182:183], v[60:61]
	buffer_load_dword v177, off, s[0:3], 0 offset:668
	buffer_load_dword v176, off, s[0:3], 0 offset:664
	;; [unrolled: 1-line block ×4, first 2 shown]
	v_fma_f64 v[18:19], v[180:181], v[80:81], -v[46:47]
	buffer_load_dword v181, off, s[0:3], 0 offset:684
	buffer_load_dword v180, off, s[0:3], 0 offset:680
	v_mul_f64 v[8:9], v[190:191], v[58:59]
	buffer_load_dword v185, off, s[0:3], 0 offset:676
	buffer_load_dword v184, off, s[0:3], 0 offset:672
	;; [unrolled: 1-line block ×6, first 2 shown]
	v_fma_f64 v[14:15], v[188:189], v[56:57], -v[8:9]
	buffer_load_dword v188, off, s[0:3], 0 offset:712
	v_mul_f64 v[46:47], v[194:195], v[66:67]
	v_fma_f64 v[10:11], v[192:193], v[78:79], -v[46:47]
	buffer_load_dword v192, off, s[0:3], 0 offset:704
	buffer_load_dword v189, off, s[0:3], 0 offset:716
	;; [unrolled: 1-line block ×3, first 2 shown]
	v_mul_f64 v[12:13], v[198:199], v[62:63]
	v_fma_f64 v[12:13], v[196:197], v[64:65], -v[12:13]
	buffer_load_dword v190, off, s[0:3], 0 offset:744
	buffer_load_dword v197, off, s[0:3], 0 offset:732
	buffer_load_dword v196, off, s[0:3], 0 offset:728
	buffer_load_dword v199, off, s[0:3], 0 offset:724
	buffer_load_dword v198, off, s[0:3], 0 offset:720
	buffer_load_dword v194, off, s[0:3], 0 offset:736
	buffer_load_dword v191, off, s[0:3], 0 offset:748
	buffer_load_dword v195, off, s[0:3], 0 offset:740
	v_mul_f64 v[48:49], v[202:203], v[74:75]
	v_fma_f64 v[8:9], v[200:201], v[76:77], -v[48:49]
	buffer_load_dword v201, off, s[0:3], 0 offset:764
	buffer_load_dword v200, off, s[0:3], 0 offset:760
	;; [unrolled: 1-line block ×4, first 2 shown]
	v_mul_f64 v[16:17], v[206:207], v[68:69]
	buffer_load_dword v207, off, s[0:3], 0 offset:780
	buffer_load_dword v206, off, s[0:3], 0 offset:776
	;; [unrolled: 1-line block ×4, first 2 shown]
	s_waitcnt vmcnt(44) lgkmcnt(0)
	v_mul_f64 v[46:47], v[42:43], v[160:161]
	s_waitcnt vmcnt(42)
	v_fmac_f64_e32 v[46:47], v[44:45], v[164:165]
	v_mul_f64 v[48:49], v[212:213], v[72:73]
	v_fma_f64 v[16:17], v[204:205], v[70:71], -v[16:17]
	v_fma_f64 v[6:7], v[210:211], v[118:119], -v[48:49]
	buffer_load_dword v204, off, s[0:3], 0 offset:808
	buffer_load_dword v213, off, s[0:3], 0 offset:796
	;; [unrolled: 1-line block ×12, first 2 shown]
	v_add_f64 v[2:3], v[2:3], v[46:47]
	ds_read_b128 v[46:49], v1 offset:1472
	v_mul_f64 v[20:21], v[52:53], v[84:85]
	v_fma_f64 v[20:21], v[50:51], v[86:87], -v[20:21]
	ds_read_b128 v[50:53], v1 offset:1488
	v_mul_f64 v[60:61], v[222:223], v[96:97]
	v_fma_f64 v[248:249], v[220:221], v[248:249], -v[60:61]
	ds_read_b128 v[220:223], v1 offset:1504
	s_waitcnt lgkmcnt(2)
	v_mul_f64 v[58:59], v[46:47], v[148:149]
	v_mul_f64 v[62:63], v[226:227], v[88:89]
	v_fma_f64 v[4:5], v[224:225], v[90:91], -v[62:63]
	ds_read_b128 v[62:65], v1 offset:1536
	v_mul_f64 v[66:67], v[230:231], v[250:251]
	v_fma_f64 v[214:215], v[228:229], v[214:215], -v[66:67]
	ds_read_b128 v[70:73], v1 offset:1568
	ds_read_b128 v[74:77], v1 offset:1584
	;; [unrolled: 1-line block ×3, first 2 shown]
	v_mul_f64 v[54:55], v[238:239], v[54:55]
	v_mul_f64 v[86:87], v[242:243], v[92:93]
	v_fma_f64 v[54:55], v[236:237], v[208:209], -v[54:55]
	v_fma_f64 v[208:209], v[240:241], v[94:95], -v[86:87]
	ds_read_b128 v[86:89], v1 offset:1632
	v_mul_f64 v[90:91], v[246:247], v[102:103]
	v_fma_f64 v[250:251], v[244:245], v[104:105], -v[90:91]
	ds_read_b128 v[66:69], v1 offset:1552
	ds_read_b128 v[90:93], v1 offset:1648
	;; [unrolled: 1-line block ×3, first 2 shown]
	s_waitcnt vmcnt(52)
	v_fmac_f64_e32 v[58:59], v[48:49], v[168:169]
	v_add_f64 v[2:3], v[2:3], v[58:59]
	s_waitcnt vmcnt(49) lgkmcnt(9)
	v_mul_f64 v[58:59], v[50:51], v[172:173]
	s_waitcnt vmcnt(47)
	v_fmac_f64_e32 v[58:59], v[52:53], v[174:175]
	v_add_f64 v[2:3], v[2:3], v[58:59]
	s_waitcnt vmcnt(45) lgkmcnt(8)
	v_mul_f64 v[58:59], v[220:221], v[166:167]
	s_waitcnt vmcnt(44)
	v_fmac_f64_e32 v[58:59], v[222:223], v[170:171]
	v_add_f64 v[2:3], v[2:3], v[58:59]
	ds_read_b128 v[58:61], v1 offset:1520
	s_waitcnt vmcnt(42) lgkmcnt(0)
	v_mul_f64 v[24:25], v[58:59], v[176:177]
	s_waitcnt vmcnt(40)
	v_fmac_f64_e32 v[24:25], v[60:61], v[178:179]
	v_add_f64 v[2:3], v[2:3], v[24:25]
	s_waitcnt vmcnt(38)
	v_mul_f64 v[24:25], v[62:63], v[180:181]
	s_waitcnt vmcnt(36)
	v_fmac_f64_e32 v[24:25], v[64:65], v[184:185]
	v_add_f64 v[2:3], v[2:3], v[24:25]
	s_waitcnt vmcnt(34)
	v_mul_f64 v[24:25], v[66:67], v[182:183]
	s_waitcnt vmcnt(32)
	v_fmac_f64_e32 v[24:25], v[68:69], v[186:187]
	s_waitcnt vmcnt(29)
	v_mul_f64 v[82:83], v[70:71], v[188:189]
	v_add_f64 v[2:3], v[2:3], v[24:25]
	s_waitcnt vmcnt(28)
	v_fmac_f64_e32 v[82:83], v[72:73], v[192:193]
	v_add_f64 v[2:3], v[2:3], v[82:83]
	s_waitcnt vmcnt(25)
	v_mul_f64 v[82:83], v[74:75], v[196:197]
	s_waitcnt vmcnt(23)
	v_fmac_f64_e32 v[82:83], v[76:77], v[198:199]
	v_add_f64 v[2:3], v[2:3], v[82:83]
	s_waitcnt vmcnt(21)
	v_mul_f64 v[82:83], v[78:79], v[190:191]
	s_waitcnt vmcnt(20)
	v_fmac_f64_e32 v[82:83], v[80:81], v[194:195]
	v_add_f64 v[2:3], v[2:3], v[82:83]
	ds_read_b128 v[82:85], v1 offset:1616
	s_waitcnt vmcnt(9)
	v_mul_f64 v[102:103], v[90:91], v[212:213]
	s_waitcnt vmcnt(7)
	v_fmac_f64_e32 v[102:103], v[92:93], v[216:217]
	v_mul_f64 v[24:25], v[234:235], v[106:107]
	v_fma_f64 v[24:25], v[232:233], v[108:109], -v[24:25]
	s_waitcnt lgkmcnt(0)
	v_mul_f64 v[94:95], v[82:83], v[200:201]
	v_fmac_f64_e32 v[94:95], v[84:85], v[202:203]
	v_add_f64 v[2:3], v[2:3], v[94:95]
	v_mul_f64 v[94:95], v[86:87], v[206:207]
	v_fmac_f64_e32 v[94:95], v[88:89], v[56:57]
	v_add_f64 v[2:3], v[2:3], v[94:95]
	ds_read_b128 v[94:97], v1 offset:1664
	buffer_load_dword v228, off, s[0:3], 0 offset:840
	buffer_load_dword v229, off, s[0:3], 0 offset:844
	buffer_load_dword v230, off, s[0:3], 0 offset:832
	buffer_load_dword v231, off, s[0:3], 0 offset:836
	v_add_f64 v[2:3], v[2:3], v[102:103]
	s_waitcnt vmcnt(9) lgkmcnt(0)
	v_mul_f64 v[102:103], v[94:95], v[204:205]
	s_waitcnt vmcnt(8)
	v_fmac_f64_e32 v[102:103], v[96:97], v[210:211]
	v_add_f64 v[2:3], v[2:3], v[102:103]
	s_waitcnt vmcnt(6)
	v_mul_f64 v[102:103], v[98:99], v[118:119]
	s_waitcnt vmcnt(4)
	v_fmac_f64_e32 v[102:103], v[100:101], v[218:219]
	v_add_f64 v[2:3], v[2:3], v[102:103]
	ds_read_b128 v[102:105], v1 offset:1696
	buffer_load_dword v233, off, s[0:3], 0 offset:860
	buffer_load_dword v232, off, s[0:3], 0 offset:856
	;; [unrolled: 1-line block ×4, first 2 shown]
	s_waitcnt vmcnt(6) lgkmcnt(0)
	v_mul_f64 v[106:107], v[102:103], v[228:229]
	s_waitcnt vmcnt(4)
	v_fmac_f64_e32 v[106:107], v[104:105], v[230:231]
	v_add_f64 v[2:3], v[2:3], v[106:107]
	ds_read_b128 v[106:109], v1 offset:1712
	buffer_load_dword v236, off, s[0:3], 0 offset:872
	buffer_load_dword v237, off, s[0:3], 0 offset:876
	buffer_load_dword v238, off, s[0:3], 0 offset:864
	buffer_load_dword v239, off, s[0:3], 0 offset:868
	ds_read_b128 v[224:227], v1 offset:1728
	buffer_load_dword v243, off, s[0:3], 0 offset:892
	buffer_load_dword v242, off, s[0:3], 0 offset:888
	;; [unrolled: 1-line block ×4, first 2 shown]
	s_waitcnt vmcnt(10) lgkmcnt(1)
	v_mul_f64 v[114:115], v[106:107], v[232:233]
	s_waitcnt vmcnt(8)
	v_fmac_f64_e32 v[114:115], v[108:109], v[234:235]
	v_add_f64 v[2:3], v[2:3], v[114:115]
	s_waitcnt vmcnt(6) lgkmcnt(0)
	v_mul_f64 v[114:115], v[224:225], v[236:237]
	s_waitcnt vmcnt(4)
	v_fmac_f64_e32 v[114:115], v[226:227], v[238:239]
	v_add_f64 v[2:3], v[2:3], v[114:115]
	ds_read_b128 v[114:117], v1 offset:1744
	v_accvgpr_read_b32 v0, a166
	v_accvgpr_read_b32 v1, a167
	s_waitcnt vmcnt(2) lgkmcnt(0)
	v_mul_f64 v[240:241], v[114:115], v[242:243]
	s_waitcnt vmcnt(0)
	v_fmac_f64_e32 v[240:241], v[116:117], v[244:245]
	v_add_f64 v[240:241], v[2:3], v[240:241]
	v_add_f64 v[2:3], v[22:23], 0
	;; [unrolled: 1-line block ×13, first 2 shown]
	buffer_load_dword v248, off, s[0:3], 0 offset:112
	buffer_load_dword v249, off, s[0:3], 0 offset:116
	;; [unrolled: 1-line block ×4, first 2 shown]
	v_add_f64 v[2:3], v[2:3], v[4:5]
	v_add_f64 v[2:3], v[2:3], v[214:215]
	;; [unrolled: 1-line block ×4, first 2 shown]
	v_mul_f64 v[4:5], v[142:143], v[0:1]
	v_accvgpr_read_b32 v0, a168
	v_add_f64 v[254:255], v[2:3], v[208:209]
	v_accvgpr_read_b32 v1, a169
	v_add_f64 v[2:3], v[254:255], v[250:251]
	v_fma_f64 v[4:5], v[140:141], v[0:1], -v[4:5]
	v_accvgpr_read_b32 v0, a170
	v_add_f64 v[2:3], v[2:3], v[252:253]
	v_accvgpr_read_b32 v1, a171
	v_add_f64 v[2:3], v[2:3], v[4:5]
	v_mul_f64 v[4:5], v[138:139], v[0:1]
	v_accvgpr_read_b32 v0, a172
	v_accvgpr_read_b32 v1, a173
	v_fma_f64 v[4:5], v[136:137], v[0:1], -v[4:5]
	v_accvgpr_read_b32 v0, a174
	v_accvgpr_read_b32 v1, a175
	v_add_f64 v[2:3], v[2:3], v[4:5]
	v_mul_f64 v[4:5], v[134:135], v[0:1]
	v_accvgpr_read_b32 v0, a176
	v_fma_f64 v[4:5], v[132:133], v[146:147], -v[4:5]
	v_accvgpr_read_b32 v1, a177
	v_add_f64 v[2:3], v[2:3], v[4:5]
	v_mul_f64 v[4:5], v[130:131], v[0:1]
	v_accvgpr_read_b32 v0, a178
	v_accvgpr_read_b32 v1, a179
	v_fma_f64 v[4:5], v[128:129], v[0:1], -v[4:5]
	v_add_f64 v[2:3], v[2:3], v[4:5]
	v_mul_f64 v[4:5], v[126:127], v[150:151]
	v_accvgpr_read_b32 v0, a180
	v_fma_f64 v[4:5], v[124:125], v[152:153], -v[4:5]
	v_accvgpr_read_b32 v1, a181
	v_add_f64 v[2:3], v[2:3], v[4:5]
	v_mul_f64 v[4:5], v[122:123], v[0:1]
	v_accvgpr_read_b32 v0, a182
	v_accvgpr_read_b32 v1, a183
	v_fma_f64 v[4:5], v[120:121], v[0:1], -v[4:5]
	;; [unrolled: 10-line block ×3, first 2 shown]
	v_add_f64 v[2:3], v[2:3], v[4:5]
	v_mul_f64 v[4:5], v[36:37], v[158:159]
	v_accvgpr_read_b32 v0, a188
	v_fma_f64 v[4:5], v[34:35], v[162:163], -v[4:5]
	v_accvgpr_read_b32 v1, a189
	v_add_f64 v[2:3], v[2:3], v[4:5]
	v_mul_f64 v[4:5], v[40:41], v[0:1]
	v_fma_f64 v[4:5], v[38:39], v[144:145], -v[4:5]
	v_add_f64 v[2:3], v[2:3], v[4:5]
	v_mul_f64 v[4:5], v[44:45], v[160:161]
	v_fma_f64 v[4:5], v[42:43], v[164:165], -v[4:5]
	;; [unrolled: 3-line block ×20, first 2 shown]
	v_add_f64 v[2:3], v[2:3], v[4:5]
	v_accvgpr_read_b32 v0, a164
	s_waitcnt vmcnt(2)
	v_add_f64 v[2:3], v[248:249], -v[2:3]
	v_cmp_lt_u32_e32 vcc, 5, v0
	s_waitcnt vmcnt(0)
	v_add_f64 v[4:5], v[246:247], -v[240:241]
	buffer_store_dword v3, off, s[0:3], 0 offset:116
	buffer_store_dword v2, off, s[0:3], 0 offset:112
	;; [unrolled: 1-line block ×4, first 2 shown]
	s_and_saveexec_b64 s[4:5], vcc
	s_cbranch_execz .LBB118_333
; %bb.332:
	v_accvgpr_read_b32 v0, a159
	buffer_load_dword v2, v0, s[0:3], 0 offen
	buffer_load_dword v3, v0, s[0:3], 0 offen offset:4
	buffer_load_dword v4, v0, s[0:3], 0 offen offset:8
	;; [unrolled: 1-line block ×3, first 2 shown]
	v_mov_b32_e32 v0, 0
	v_accvgpr_read_b32 v1, a165
	buffer_store_dword v0, off, s[0:3], 0 offset:96
	buffer_store_dword v0, off, s[0:3], 0 offset:100
	;; [unrolled: 1-line block ×4, first 2 shown]
	s_waitcnt vmcnt(4)
	ds_write_b128 v1, v[2:5]
.LBB118_333:
	s_or_b64 exec, exec, s[4:5]
	s_waitcnt lgkmcnt(0)
	; wave barrier
	s_waitcnt lgkmcnt(0)
	buffer_load_dword v38, off, s[0:3], 0 offset:112
	buffer_load_dword v39, off, s[0:3], 0 offset:116
	buffer_load_dword v40, off, s[0:3], 0 offset:120
	buffer_load_dword v41, off, s[0:3], 0 offset:124
	buffer_load_dword v44, off, s[0:3], 0 offset:128
	buffer_load_dword v45, off, s[0:3], 0 offset:132
	buffer_load_dword v46, off, s[0:3], 0 offset:136
	buffer_load_dword v47, off, s[0:3], 0 offset:140
	buffer_load_dword v42, off, s[0:3], 0 offset:152
	buffer_load_dword v43, off, s[0:3], 0 offset:156
	buffer_load_dword v49, off, s[0:3], 0 offset:188
	buffer_load_dword v48, off, s[0:3], 0 offset:184
	buffer_load_dword v51, off, s[0:3], 0 offset:180
	buffer_load_dword v50, off, s[0:3], 0 offset:176
	buffer_load_dword v179, off, s[0:3], 0 offset:172
	buffer_load_dword v178, off, s[0:3], 0 offset:168
	buffer_load_dword v57, off, s[0:3], 0 offset:220
	buffer_load_dword v56, off, s[0:3], 0 offset:216
	buffer_load_dword v213, off, s[0:3], 0 offset:212
	buffer_load_dword v212, off, s[0:3], 0 offset:208
	buffer_load_dword v59, off, s[0:3], 0 offset:204
	buffer_load_dword v58, off, s[0:3], 0 offset:200
	buffer_load_dword v65, off, s[0:3], 0 offset:252
	buffer_load_dword v64, off, s[0:3], 0 offset:248
	buffer_load_dword v62, off, s[0:3], 0 offset:240
	buffer_load_dword v67, off, s[0:3], 0 offset:236
	buffer_load_dword v66, off, s[0:3], 0 offset:232
	buffer_load_dword v61, off, s[0:3], 0 offset:268
	buffer_load_dword v60, off, s[0:3], 0 offset:264
	buffer_load_dword v74, off, s[0:3], 0 offset:144
	buffer_load_dword v75, off, s[0:3], 0 offset:148
	buffer_load_dword v73, off, s[0:3], 0 offset:164
	buffer_load_dword v72, off, s[0:3], 0 offset:160
	buffer_load_dword v71, off, s[0:3], 0 offset:196
	buffer_load_dword v70, off, s[0:3], 0 offset:192
	buffer_load_dword v69, off, s[0:3], 0 offset:228
	buffer_load_dword v68, off, s[0:3], 0 offset:224
	buffer_load_dword v63, off, s[0:3], 0 offset:244
	buffer_load_dword v76, off, s[0:3], 0 offset:280
	buffer_load_dword v82, off, s[0:3], 0 offset:272
	buffer_load_dword v83, off, s[0:3], 0 offset:276
	buffer_load_dword v77, off, s[0:3], 0 offset:284
	v_mov_b32_e32 v1, 0
	buffer_load_dword v99, off, s[0:3], 0 offset:260
	buffer_load_dword v98, off, s[0:3], 0 offset:256
	;; [unrolled: 1-line block ×7, first 2 shown]
	ds_read_b128 v[108:111], v1 offset:976
	ds_read_b128 v[112:115], v1 offset:992
	;; [unrolled: 1-line block ×11, first 2 shown]
	v_accvgpr_read_b32 v0, a164
	v_cmp_lt_u32_e32 vcc, 4, v0
	s_waitcnt vmcnt(45) lgkmcnt(10)
	v_mul_f64 v[2:3], v[108:109], v[40:41]
	v_fmac_f64_e32 v[2:3], v[110:111], v[38:39]
	v_add_f64 v[2:3], v[2:3], 0
	v_mul_f64 v[40:41], v[110:111], v[40:41]
	s_waitcnt vmcnt(41) lgkmcnt(9)
	v_mul_f64 v[4:5], v[112:113], v[46:47]
	v_fmac_f64_e32 v[4:5], v[114:115], v[44:45]
	v_add_f64 v[2:3], v[2:3], v[4:5]
	buffer_load_dword v84, off, s[0:3], 0 offset:296
	buffer_load_dword v229, off, s[0:3], 0 offset:292
	buffer_load_dword v228, off, s[0:3], 0 offset:288
	buffer_load_dword v105, off, s[0:3], 0 offset:348
	buffer_load_dword v104, off, s[0:3], 0 offset:344
	buffer_load_dword v107, off, s[0:3], 0 offset:340
	buffer_load_dword v106, off, s[0:3], 0 offset:336
	buffer_load_dword v255, off, s[0:3], 0 offset:332
	buffer_load_dword v254, off, s[0:3], 0 offset:328
	buffer_load_dword v177, off, s[0:3], 0 offset:324
	buffer_load_dword v176, off, s[0:3], 0 offset:320
	buffer_load_dword v87, off, s[0:3], 0 offset:380
	buffer_load_dword v86, off, s[0:3], 0 offset:376
	buffer_load_dword v89, off, s[0:3], 0 offset:372
	buffer_load_dword v88, off, s[0:3], 0 offset:368
	buffer_load_dword v55, off, s[0:3], 0 offset:364
	buffer_load_dword v54, off, s[0:3], 0 offset:360
	buffer_load_dword v191, off, s[0:3], 0 offset:356
	buffer_load_dword v190, off, s[0:3], 0 offset:352
	buffer_load_dword v91, off, s[0:3], 0 offset:412
	buffer_load_dword v90, off, s[0:3], 0 offset:408
	buffer_load_dword v93, off, s[0:3], 0 offset:404
	buffer_load_dword v92, off, s[0:3], 0 offset:400
	buffer_load_dword v101, off, s[0:3], 0 offset:396
	buffer_load_dword v100, off, s[0:3], 0 offset:392
	buffer_load_dword v103, off, s[0:3], 0 offset:388
	buffer_load_dword v102, off, s[0:3], 0 offset:384
	buffer_load_dword v5, off, s[0:3], 0 offset:444
	buffer_load_dword v4, off, s[0:3], 0 offset:440
	s_waitcnt vmcnt(62) lgkmcnt(8)
	v_mul_f64 v[6:7], v[116:117], v[42:43]
	s_waitcnt lgkmcnt(6)
	v_mul_f64 v[10:11], v[182:183], v[48:49]
	v_fmac_f64_e32 v[10:11], v[184:185], v[50:51]
	v_mul_f64 v[42:43], v[118:119], v[42:43]
	v_mul_f64 v[8:9], v[172:173], v[178:179]
	;; [unrolled: 1-line block ×3, first 2 shown]
	s_waitcnt vmcnt(60) lgkmcnt(4)
	v_mul_f64 v[14:15], v[192:193], v[56:57]
	s_waitcnt vmcnt(58)
	v_fmac_f64_e32 v[14:15], v[194:195], v[212:213]
	s_waitcnt vmcnt(56)
	v_mul_f64 v[12:13], v[186:187], v[58:59]
	s_waitcnt vmcnt(54) lgkmcnt(2)
	v_mul_f64 v[18:19], v[200:201], v[64:65]
	s_waitcnt vmcnt(51)
	v_mul_f64 v[16:17], v[196:197], v[66:67]
	s_waitcnt vmcnt(49) lgkmcnt(1)
	v_mul_f64 v[20:21], v[204:205], v[60:61]
	s_waitcnt vmcnt(47)
	v_fmac_f64_e32 v[6:7], v[118:119], v[74:75]
	v_add_f64 v[2:3], v[2:3], v[6:7]
	s_waitcnt vmcnt(45)
	v_fmac_f64_e32 v[8:9], v[174:175], v[72:73]
	v_add_f64 v[2:3], v[2:3], v[8:9]
	;; [unrolled: 3-line block ×3, first 2 shown]
	v_add_f64 v[2:3], v[2:3], v[12:13]
	v_add_f64 v[2:3], v[2:3], v[14:15]
	s_waitcnt vmcnt(41)
	v_fmac_f64_e32 v[16:17], v[198:199], v[68:69]
	v_add_f64 v[2:3], v[2:3], v[16:17]
	s_waitcnt vmcnt(40)
	v_fmac_f64_e32 v[18:19], v[202:203], v[62:63]
	;; [unrolled: 3-line block ×3, first 2 shown]
	v_add_f64 v[2:3], v[2:3], v[20:21]
	v_fma_f64 v[74:75], v[116:117], v[74:75], -v[42:43]
	v_mul_f64 v[42:43], v[174:175], v[178:179]
	v_fma_f64 v[214:215], v[172:173], v[72:73], -v[42:43]
	s_waitcnt vmcnt(0)
	v_pk_mov_b32 v[14:15], v[4:5], v[4:5] op_sel:[0,1]
	buffer_load_dword v5, off, s[0:3], 0 offset:436
	buffer_load_dword v4, off, s[0:3], 0 offset:432
	v_accvgpr_write_b32 a167, v15
	v_accvgpr_write_b32 a166, v14
	s_waitcnt vmcnt(0)
	v_pk_mov_b32 v[16:17], v[4:5], v[4:5] op_sel:[0,1]
	buffer_load_dword v95, off, s[0:3], 0 offset:428
	buffer_load_dword v94, off, s[0:3], 0 offset:424
	buffer_load_dword v97, off, s[0:3], 0 offset:420
	buffer_load_dword v96, off, s[0:3], 0 offset:416
	buffer_load_dword v5, off, s[0:3], 0 offset:476
	buffer_load_dword v4, off, s[0:3], 0 offset:472
	v_accvgpr_write_b32 a169, v17
	v_accvgpr_write_b32 a168, v16
	s_waitcnt vmcnt(0)
	v_pk_mov_b32 v[22:23], v[4:5], v[4:5] op_sel:[0,1]
	buffer_load_dword v5, off, s[0:3], 0 offset:468
	buffer_load_dword v4, off, s[0:3], 0 offset:464
	v_accvgpr_write_b32 a173, v23
	v_accvgpr_write_b32 a172, v22
	s_waitcnt vmcnt(0)
	v_pk_mov_b32 v[24:25], v[4:5], v[4:5] op_sel:[0,1]
	buffer_load_dword v5, off, s[0:3], 0 offset:460
	buffer_load_dword v4, off, s[0:3], 0 offset:456
	;; [unrolled: 6-line block ×3, first 2 shown]
	buffer_load_dword v5, off, s[0:3], 0 offset:508
	buffer_load_dword v4, off, s[0:3], 0 offset:504
	v_accvgpr_write_b32 a171, v19
	v_accvgpr_write_b32 a170, v18
	s_waitcnt vmcnt(0)
	v_pk_mov_b32 v[30:31], v[4:5], v[4:5] op_sel:[0,1]
	buffer_load_dword v5, off, s[0:3], 0 offset:500
	buffer_load_dword v4, off, s[0:3], 0 offset:496
	v_accvgpr_write_b32 a177, v31
	v_accvgpr_write_b32 a176, v30
	s_waitcnt vmcnt(0)
	v_pk_mov_b32 v[32:33], v[4:5], v[4:5] op_sel:[0,1]
	buffer_load_dword v149, off, s[0:3], 0 offset:492
	buffer_load_dword v148, off, s[0:3], 0 offset:488
	;; [unrolled: 1-line block ×6, first 2 shown]
	v_accvgpr_write_b32 a179, v33
	v_accvgpr_write_b32 a178, v32
	s_waitcnt vmcnt(0)
	v_pk_mov_b32 v[164:165], v[4:5], v[4:5] op_sel:[0,1]
	buffer_load_dword v5, off, s[0:3], 0 offset:532
	buffer_load_dword v4, off, s[0:3], 0 offset:528
	v_accvgpr_write_b32 a181, v165
	v_accvgpr_write_b32 a180, v164
	s_waitcnt vmcnt(0)
	v_pk_mov_b32 v[166:167], v[4:5], v[4:5] op_sel:[0,1]
	buffer_load_dword v153, off, s[0:3], 0 offset:524
	buffer_load_dword v152, off, s[0:3], 0 offset:520
	;; [unrolled: 1-line block ×6, first 2 shown]
	v_accvgpr_write_b32 a183, v167
	v_accvgpr_write_b32 a182, v166
	s_waitcnt vmcnt(0)
	v_pk_mov_b32 v[168:169], v[4:5], v[4:5] op_sel:[0,1]
	buffer_load_dword v5, off, s[0:3], 0 offset:564
	buffer_load_dword v4, off, s[0:3], 0 offset:560
	;; [unrolled: 1-line block ×14, first 2 shown]
	ds_read_b128 v[216:219], v1 offset:1152
	ds_read_b128 v[220:223], v1 offset:1168
	ds_read_b128 v[224:227], v1 offset:1184
	ds_read_b128 v[230:233], v1 offset:1200
	ds_read_b128 v[234:237], v1 offset:1216
	ds_read_b128 v[238:241], v1 offset:1232
	ds_read_b128 v[242:245], v1 offset:1248
	ds_read_b128 v[246:249], v1 offset:1264
	ds_read_b128 v[250:253], v1 offset:1280
	ds_read_b128 v[140:143], v1 offset:1296
	ds_read_b128 v[136:139], v1 offset:1312
	ds_read_b128 v[132:135], v1 offset:1328
	ds_read_b128 v[128:131], v1 offset:1344
	ds_read_b128 v[124:127], v1 offset:1360
	s_waitcnt lgkmcnt(5)
	v_mul_f64 v[8:9], v[250:251], v[94:95]
	v_fmac_f64_e32 v[8:9], v[252:253], v[96:97]
	s_waitcnt lgkmcnt(4)
	v_mul_f64 v[12:13], v[140:141], v[14:15]
	v_fmac_f64_e32 v[12:13], v[142:143], v[16:17]
	s_waitcnt lgkmcnt(3)
	v_mul_f64 v[16:17], v[136:137], v[18:19]
	ds_read_b128 v[120:123], v1 offset:1376
	v_fmac_f64_e32 v[16:17], v[138:139], v[144:145]
	s_waitcnt lgkmcnt(3)
	v_mul_f64 v[20:21], v[132:133], v[22:23]
	v_fmac_f64_e32 v[20:21], v[134:135], v[24:25]
	s_waitcnt lgkmcnt(2)
	v_mul_f64 v[24:25], v[128:129], v[148:149]
	;; [unrolled: 3-line block ×3, first 2 shown]
	v_fmac_f64_e32 v[28:29], v[126:127], v[32:33]
	v_accvgpr_write_b32 a185, v169
	v_accvgpr_write_b32 a184, v168
	v_mul_f64 v[94:95], v[252:253], v[94:95]
	v_fma_f64 v[250:251], v[250:251], v[96:97], -v[94:95]
	s_waitcnt vmcnt(6)
	v_accvgpr_write_b32 a189, v53
	v_accvgpr_write_b32 a188, v52
	v_pk_mov_b32 v[170:171], v[4:5], v[4:5] op_sel:[0,1]
	v_mul_f64 v[4:5], v[208:209], v[76:77]
	v_fmac_f64_e32 v[4:5], v[210:211], v[82:83]
	v_add_f64 v[2:3], v[2:3], v[4:5]
	v_mul_f64 v[4:5], v[216:217], v[84:85]
	v_fmac_f64_e32 v[4:5], v[218:219], v[228:229]
	v_add_f64 v[2:3], v[2:3], v[4:5]
	;; [unrolled: 3-line block ×9, first 2 shown]
	v_add_f64 v[10:11], v[6:7], v[8:9]
	v_add_f64 v[14:15], v[10:11], v[12:13]
	;; [unrolled: 1-line block ×6, first 2 shown]
	ds_read_b128 v[26:29], v1 offset:1392
	s_waitcnt lgkmcnt(1)
	v_mul_f64 v[32:33], v[120:121], v[152:153]
	v_fmac_f64_e32 v[32:33], v[122:123], v[154:155]
	v_add_f64 v[34:35], v[30:31], v[32:33]
	ds_read_b128 v[30:33], v1 offset:1408
	s_waitcnt lgkmcnt(1)
	v_mul_f64 v[36:37], v[26:27], v[164:165]
	v_fmac_f64_e32 v[36:37], v[28:29], v[166:167]
	v_add_f64 v[164:165], v[34:35], v[36:37]
	ds_read_b128 v[34:37], v1 offset:1424
	s_waitcnt lgkmcnt(1)
	v_mul_f64 v[4:5], v[30:31], v[156:157]
	v_fmac_f64_e32 v[4:5], v[32:33], v[158:159]
	v_fma_f64 v[18:19], v[108:109], v[38:39], -v[40:41]
	ds_read_b128 v[38:41], v1 offset:1440
	v_add_f64 v[4:5], v[164:165], v[4:5]
	buffer_load_dword v165, off, s[0:3], 0 offset:620
	buffer_load_dword v164, off, s[0:3], 0 offset:616
	;; [unrolled: 1-line block ×4, first 2 shown]
	s_waitcnt lgkmcnt(1)
	v_mul_f64 v[108:109], v[34:35], v[168:169]
	v_accvgpr_write_b32 a187, v171
	v_fmac_f64_e32 v[108:109], v[36:37], v[170:171]
	v_accvgpr_write_b32 a186, v170
	buffer_load_dword v22, off, s[0:3], 0 offset:632
	buffer_load_dword v170, off, s[0:3], 0 offset:624
	;; [unrolled: 1-line block ×4, first 2 shown]
	v_fma_f64 v[168:169], v[112:113], v[44:45], -v[46:47]
	buffer_load_dword v173, off, s[0:3], 0 offset:668
	buffer_load_dword v175, off, s[0:3], 0 offset:652
	;; [unrolled: 1-line block ×8, first 2 shown]
	v_mul_f64 v[46:47], v[184:185], v[48:49]
	ds_read_b128 v[42:45], v1 offset:1456
	v_fma_f64 v[14:15], v[182:183], v[50:51], -v[46:47]
	buffer_load_dword v118, off, s[0:3], 0 offset:696
	buffer_load_dword v183, off, s[0:3], 0 offset:684
	;; [unrolled: 1-line block ×5, first 2 shown]
	v_mul_f64 v[8:9], v[188:189], v[58:59]
	v_fma_f64 v[10:11], v[186:187], v[70:71], -v[8:9]
	buffer_load_dword v186, off, s[0:3], 0 offset:688
	buffer_load_dword v119, off, s[0:3], 0 offset:700
	;; [unrolled: 1-line block ×3, first 2 shown]
	v_mul_f64 v[46:47], v[194:195], v[56:57]
	buffer_load_dword v189, off, s[0:3], 0 offset:716
	buffer_load_dword v188, off, s[0:3], 0 offset:712
	;; [unrolled: 1-line block ×4, first 2 shown]
	v_mul_f64 v[12:13], v[198:199], v[66:67]
	v_fma_f64 v[12:13], v[196:197], v[68:69], -v[12:13]
	buffer_load_dword v194, off, s[0:3], 0 offset:728
	buffer_load_dword v196, off, s[0:3], 0 offset:720
	;; [unrolled: 1-line block ×4, first 2 shown]
	v_fma_f64 v[8:9], v[192:193], v[212:213], -v[46:47]
	v_mul_f64 v[46:47], v[202:203], v[64:65]
	v_fma_f64 v[6:7], v[200:201], v[62:63], -v[46:47]
	buffer_load_dword v193, off, s[0:3], 0 offset:764
	buffer_load_dword v199, off, s[0:3], 0 offset:748
	;; [unrolled: 1-line block ×8, first 2 shown]
	v_add_f64 v[4:5], v[4:5], v[108:109]
	s_waitcnt vmcnt(42) lgkmcnt(1)
	v_mul_f64 v[108:109], v[38:39], v[160:161]
	s_waitcnt vmcnt(40)
	v_fmac_f64_e32 v[108:109], v[40:41], v[162:163]
	v_mul_f64 v[50:51], v[206:207], v[60:61]
	v_add_f64 v[108:109], v[4:5], v[108:109]
	ds_read_b128 v[46:49], v1 offset:1472
	v_fma_f64 v[4:5], v[204:205], v[98:99], -v[50:51]
	buffer_load_dword v205, off, s[0:3], 0 offset:780
	buffer_load_dword v204, off, s[0:3], 0 offset:776
	;; [unrolled: 1-line block ×4, first 2 shown]
	v_mul_f64 v[20:21], v[210:211], v[76:77]
	v_fma_f64 v[20:21], v[208:209], v[82:83], -v[20:21]
	buffer_load_dword v208, off, s[0:3], 0 offset:792
	buffer_load_dword v210, off, s[0:3], 0 offset:784
	;; [unrolled: 1-line block ×8, first 2 shown]
	v_mul_f64 v[50:51], v[218:219], v[84:85]
	v_fma_f64 v[218:219], v[216:217], v[228:229], -v[50:51]
	buffer_load_dword v216, off, s[0:3], 0 offset:824
	buffer_load_dword v228, off, s[0:3], 0 offset:816
	;; [unrolled: 1-line block ×4, first 2 shown]
	s_waitcnt lgkmcnt(1)
	v_mul_f64 v[16:17], v[42:43], v[52:53]
	v_fmac_f64_e32 v[16:17], v[44:45], v[146:147]
	v_add_f64 v[16:17], v[108:109], v[16:17]
	v_mul_f64 v[58:59], v[222:223], v[78:79]
	v_fma_f64 v[2:3], v[220:221], v[80:81], -v[58:59]
	v_mul_f64 v[58:59], v[226:227], v[254:255]
	v_fma_f64 v[176:177], v[224:225], v[176:177], -v[58:59]
	ds_read_b128 v[58:61], v1 offset:1520
	ds_read_b128 v[62:65], v1 offset:1536
	;; [unrolled: 1-line block ×5, first 2 shown]
	v_mul_f64 v[54:55], v[236:237], v[54:55]
	v_fma_f64 v[54:55], v[234:235], v[190:191], -v[54:55]
	v_mul_f64 v[82:83], v[244:245], v[100:101]
	ds_read_b128 v[220:223], v1 offset:1504
	v_fma_f64 v[254:255], v[242:243], v[102:103], -v[82:83]
	ds_read_b128 v[82:85], v1 offset:1616
	v_mul_f64 v[90:91], v[248:249], v[90:91]
	v_fma_f64 v[242:243], v[246:247], v[92:93], -v[90:91]
	ds_read_b128 v[90:93], v1 offset:1648
	v_add_f64 v[18:19], v[18:19], 0
	v_add_f64 v[18:19], v[18:19], v[168:169]
	;; [unrolled: 1-line block ×14, first 2 shown]
	v_accvgpr_read_b32 v4, a166
	v_accvgpr_read_b32 v5, a167
	;; [unrolled: 1-line block ×3, first 2 shown]
	v_mul_f64 v[4:5], v[142:143], v[4:5]
	v_accvgpr_read_b32 v7, a169
	s_waitcnt vmcnt(54) lgkmcnt(8)
	v_mul_f64 v[50:51], v[46:47], v[164:165]
	ds_read_b128 v[94:97], v1 offset:1664
	s_waitcnt vmcnt(52)
	v_fmac_f64_e32 v[50:51], v[48:49], v[166:167]
	v_add_f64 v[16:17], v[16:17], v[50:51]
	ds_read_b128 v[50:53], v1 offset:1488
	v_fma_f64 v[4:5], v[140:141], v[6:7], -v[4:5]
	v_accvgpr_read_b32 v6, a174
	v_accvgpr_read_b32 v7, a175
	s_waitcnt vmcnt(49) lgkmcnt(0)
	v_mul_f64 v[24:25], v[50:51], v[22:23]
	s_waitcnt vmcnt(48)
	v_fmac_f64_e32 v[24:25], v[52:53], v[170:171]
	v_add_f64 v[16:17], v[16:17], v[24:25]
	s_waitcnt vmcnt(45)
	v_mul_f64 v[24:25], v[220:221], v[174:175]
	s_waitcnt vmcnt(43)
	v_fmac_f64_e32 v[24:25], v[222:223], v[180:181]
	v_add_f64 v[16:17], v[16:17], v[24:25]
	s_waitcnt vmcnt(42)
	v_mul_f64 v[24:25], v[58:59], v[172:173]
	s_waitcnt vmcnt(40)
	v_fmac_f64_e32 v[24:25], v[60:61], v[178:179]
	s_waitcnt vmcnt(37)
	v_mul_f64 v[78:79], v[62:63], v[182:183]
	v_add_f64 v[16:17], v[16:17], v[24:25]
	s_waitcnt vmcnt(35)
	v_fmac_f64_e32 v[78:79], v[64:65], v[184:185]
	v_add_f64 v[16:17], v[16:17], v[78:79]
	s_waitcnt vmcnt(33)
	v_mul_f64 v[78:79], v[66:67], v[118:119]
	s_waitcnt vmcnt(32)
	v_fmac_f64_e32 v[78:79], v[68:69], v[186:187]
	v_add_f64 v[16:17], v[16:17], v[78:79]
	s_waitcnt vmcnt(30)
	v_mul_f64 v[78:79], v[70:71], v[188:189]
	s_waitcnt vmcnt(28)
	v_fmac_f64_e32 v[78:79], v[72:73], v[56:57]
	v_add_f64 v[16:17], v[16:17], v[78:79]
	v_mul_f64 v[78:79], v[240:241], v[86:87]
	v_fma_f64 v[190:191], v[238:239], v[88:89], -v[78:79]
	ds_read_b128 v[78:81], v1 offset:1600
	s_waitcnt vmcnt(25)
	v_mul_f64 v[86:87], v[224:225], v[194:195]
	s_waitcnt vmcnt(24)
	v_fmac_f64_e32 v[86:87], v[226:227], v[196:197]
	v_add_f64 v[16:17], v[16:17], v[86:87]
	v_mul_f64 v[24:25], v[232:233], v[104:105]
	s_waitcnt vmcnt(21) lgkmcnt(0)
	v_mul_f64 v[86:87], v[78:79], v[198:199]
	s_waitcnt vmcnt(19)
	v_fmac_f64_e32 v[86:87], v[80:81], v[202:203]
	v_add_f64 v[16:17], v[16:17], v[86:87]
	s_waitcnt vmcnt(18)
	v_mul_f64 v[86:87], v[82:83], v[192:193]
	s_waitcnt vmcnt(16)
	v_fmac_f64_e32 v[86:87], v[84:85], v[200:201]
	v_add_f64 v[16:17], v[16:17], v[86:87]
	ds_read_b128 v[86:89], v1 offset:1632
	v_fma_f64 v[24:25], v[230:231], v[106:107], -v[24:25]
	v_add_f64 v[2:3], v[2:3], v[24:25]
	v_add_f64 v[2:3], v[2:3], v[54:55]
	;; [unrolled: 1-line block ×3, first 2 shown]
	s_waitcnt vmcnt(14) lgkmcnt(0)
	v_mul_f64 v[98:99], v[86:87], v[204:205]
	s_waitcnt vmcnt(12)
	v_fmac_f64_e32 v[98:99], v[88:89], v[206:207]
	v_add_f64 v[16:17], v[16:17], v[98:99]
	s_waitcnt vmcnt(9)
	v_mul_f64 v[98:99], v[90:91], v[208:209]
	s_waitcnt vmcnt(8)
	v_fmac_f64_e32 v[98:99], v[92:93], v[210:211]
	v_add_f64 v[16:17], v[16:17], v[98:99]
	s_waitcnt vmcnt(6)
	v_mul_f64 v[98:99], v[94:95], v[212:213]
	s_waitcnt vmcnt(4)
	v_fmac_f64_e32 v[98:99], v[96:97], v[76:77]
	v_add_f64 v[16:17], v[16:17], v[98:99]
	ds_read_b128 v[98:101], v1 offset:1680
	buffer_load_dword v231, off, s[0:3], 0 offset:844
	buffer_load_dword v230, off, s[0:3], 0 offset:840
	;; [unrolled: 1-line block ×4, first 2 shown]
	v_add_f64 v[2:3], v[2:3], v[254:255]
	v_add_f64 v[252:253], v[2:3], v[242:243]
	;; [unrolled: 1-line block ×3, first 2 shown]
	s_waitcnt vmcnt(5) lgkmcnt(0)
	v_mul_f64 v[102:103], v[98:99], v[216:217]
	s_waitcnt vmcnt(4)
	v_fmac_f64_e32 v[102:103], v[100:101], v[228:229]
	v_add_f64 v[16:17], v[16:17], v[102:103]
	ds_read_b128 v[102:105], v1 offset:1696
	buffer_load_dword v234, off, s[0:3], 0 offset:856
	buffer_load_dword v235, off, s[0:3], 0 offset:860
	;; [unrolled: 1-line block ×4, first 2 shown]
	v_add_f64 v[2:3], v[2:3], v[4:5]
	v_accvgpr_read_b32 v4, a170
	v_accvgpr_read_b32 v5, a171
	v_mul_f64 v[4:5], v[138:139], v[4:5]
	v_fma_f64 v[4:5], v[136:137], v[144:145], -v[4:5]
	v_add_f64 v[2:3], v[2:3], v[4:5]
	v_accvgpr_read_b32 v4, a172
	v_accvgpr_read_b32 v5, a173
	v_mul_f64 v[4:5], v[134:135], v[4:5]
	v_fma_f64 v[4:5], v[132:133], v[6:7], -v[4:5]
	v_add_f64 v[2:3], v[2:3], v[4:5]
	v_mul_f64 v[4:5], v[130:131], v[148:149]
	v_fma_f64 v[4:5], v[128:129], v[150:151], -v[4:5]
	v_add_f64 v[2:3], v[2:3], v[4:5]
	v_accvgpr_read_b32 v4, a176
	v_accvgpr_read_b32 v5, a177
	v_accvgpr_read_b32 v6, a178
	v_mul_f64 v[4:5], v[126:127], v[4:5]
	v_accvgpr_read_b32 v7, a179
	v_fma_f64 v[4:5], v[124:125], v[6:7], -v[4:5]
	v_add_f64 v[2:3], v[2:3], v[4:5]
	v_mul_f64 v[4:5], v[122:123], v[152:153]
	v_fma_f64 v[4:5], v[120:121], v[154:155], -v[4:5]
	v_add_f64 v[2:3], v[2:3], v[4:5]
	v_accvgpr_read_b32 v4, a180
	v_accvgpr_read_b32 v5, a181
	v_accvgpr_read_b32 v6, a182
	v_mul_f64 v[4:5], v[28:29], v[4:5]
	v_accvgpr_read_b32 v7, a183
	;; [unrolled: 10-line block ×3, first 2 shown]
	v_fma_f64 v[4:5], v[34:35], v[6:7], -v[4:5]
	v_add_f64 v[2:3], v[2:3], v[4:5]
	v_mul_f64 v[4:5], v[40:41], v[160:161]
	v_fma_f64 v[4:5], v[38:39], v[162:163], -v[4:5]
	v_add_f64 v[2:3], v[2:3], v[4:5]
	v_accvgpr_read_b32 v4, a188
	v_accvgpr_read_b32 v5, a189
	v_mul_f64 v[4:5], v[44:45], v[4:5]
	v_fma_f64 v[4:5], v[42:43], v[146:147], -v[4:5]
	v_add_f64 v[2:3], v[2:3], v[4:5]
	v_mul_f64 v[4:5], v[48:49], v[164:165]
	v_fma_f64 v[4:5], v[46:47], v[166:167], -v[4:5]
	v_add_f64 v[2:3], v[2:3], v[4:5]
	;; [unrolled: 3-line block ×7, first 2 shown]
	v_mul_f64 v[4:5], v[72:73], v[188:189]
	v_fma_f64 v[4:5], v[70:71], v[56:57], -v[4:5]
	s_waitcnt vmcnt(6) lgkmcnt(0)
	v_mul_f64 v[106:107], v[102:103], v[230:231]
	v_add_f64 v[2:3], v[2:3], v[4:5]
	s_waitcnt vmcnt(4)
	v_fmac_f64_e32 v[106:107], v[104:105], v[232:233]
	v_add_f64 v[16:17], v[16:17], v[106:107]
	ds_read_b128 v[106:109], v1 offset:1712
	buffer_load_dword v239, off, s[0:3], 0 offset:876
	buffer_load_dword v238, off, s[0:3], 0 offset:872
	;; [unrolled: 1-line block ×4, first 2 shown]
	v_mul_f64 v[4:5], v[226:227], v[194:195]
	v_fma_f64 v[4:5], v[224:225], v[196:197], -v[4:5]
	v_add_f64 v[2:3], v[2:3], v[4:5]
	s_waitcnt vmcnt(6) lgkmcnt(0)
	v_mul_f64 v[110:111], v[106:107], v[234:235]
	s_waitcnt vmcnt(4)
	v_fmac_f64_e32 v[110:111], v[108:109], v[236:237]
	v_add_f64 v[16:17], v[16:17], v[110:111]
	ds_read_b128 v[110:113], v1 offset:1728
	buffer_load_dword v244, off, s[0:3], 0 offset:888
	buffer_load_dword v245, off, s[0:3], 0 offset:892
	;; [unrolled: 1-line block ×4, first 2 shown]
	v_mul_f64 v[4:5], v[80:81], v[198:199]
	v_fma_f64 v[4:5], v[78:79], v[202:203], -v[4:5]
	v_add_f64 v[2:3], v[2:3], v[4:5]
	v_mul_f64 v[4:5], v[84:85], v[192:193]
	v_fma_f64 v[4:5], v[82:83], v[200:201], -v[4:5]
	v_add_f64 v[2:3], v[2:3], v[4:5]
	;; [unrolled: 3-line block ×8, first 2 shown]
	s_waitcnt vmcnt(6) lgkmcnt(0)
	v_mul_f64 v[114:115], v[110:111], v[238:239]
	v_mul_f64 v[4:5], v[112:113], v[238:239]
	s_waitcnt vmcnt(4)
	v_fmac_f64_e32 v[114:115], v[112:113], v[240:241]
	v_add_f64 v[16:17], v[16:17], v[114:115]
	ds_read_b128 v[114:117], v1 offset:1744
	v_fma_f64 v[4:5], v[110:111], v[240:241], -v[4:5]
	v_add_f64 v[2:3], v[2:3], v[4:5]
	s_waitcnt vmcnt(2) lgkmcnt(0)
	v_mul_f64 v[248:249], v[114:115], v[244:245]
	s_waitcnt vmcnt(0)
	v_fmac_f64_e32 v[248:249], v[116:117], v[246:247]
	v_add_f64 v[16:17], v[16:17], v[248:249]
	buffer_load_dword v248, off, s[0:3], 0 offset:96
	buffer_load_dword v249, off, s[0:3], 0 offset:100
	;; [unrolled: 1-line block ×4, first 2 shown]
	v_mul_f64 v[4:5], v[116:117], v[244:245]
	v_fma_f64 v[4:5], v[114:115], v[246:247], -v[4:5]
	v_add_f64 v[2:3], v[2:3], v[4:5]
	s_waitcnt vmcnt(2)
	v_add_f64 v[2:3], v[248:249], -v[2:3]
	s_waitcnt vmcnt(0)
	v_add_f64 v[4:5], v[218:219], -v[16:17]
	buffer_store_dword v3, off, s[0:3], 0 offset:100
	buffer_store_dword v2, off, s[0:3], 0 offset:96
	;; [unrolled: 1-line block ×4, first 2 shown]
	s_and_saveexec_b64 s[4:5], vcc
	s_cbranch_execz .LBB118_335
; %bb.334:
	v_accvgpr_read_b32 v0, a160
	buffer_load_dword v2, v0, s[0:3], 0 offen
	buffer_load_dword v3, v0, s[0:3], 0 offen offset:4
	buffer_load_dword v4, v0, s[0:3], 0 offen offset:8
	;; [unrolled: 1-line block ×3, first 2 shown]
	v_accvgpr_read_b32 v0, a165
	buffer_store_dword v1, off, s[0:3], 0 offset:80
	buffer_store_dword v1, off, s[0:3], 0 offset:84
	;; [unrolled: 1-line block ×4, first 2 shown]
	s_waitcnt vmcnt(4)
	ds_write_b128 v0, v[2:5]
.LBB118_335:
	s_or_b64 exec, exec, s[4:5]
	s_waitcnt lgkmcnt(0)
	; wave barrier
	s_waitcnt lgkmcnt(0)
	buffer_load_dword v212, off, s[0:3], 0 offset:96
	buffer_load_dword v213, off, s[0:3], 0 offset:100
	;; [unrolled: 1-line block ×42, first 2 shown]
	ds_read_b128 v[42:45], v1 offset:960
	ds_read_b128 v[108:111], v1 offset:976
	ds_read_b128 v[112:115], v1 offset:992
	ds_read_b128 v[116:119], v1 offset:1008
	ds_read_b128 v[170:173], v1 offset:1024
	ds_read_b128 v[180:183], v1 offset:1040
	ds_read_b128 v[184:187], v1 offset:1056
	ds_read_b128 v[188:191], v1 offset:1072
	ds_read_b128 v[192:195], v1 offset:1088
	ds_read_b128 v[196:199], v1 offset:1104
	buffer_load_dword v201, off, s[0:3], 0 offset:244
	buffer_load_dword v200, off, s[0:3], 0 offset:240
	ds_read_b128 v[46:49], v1 offset:1120
	buffer_load_dword v85, off, s[0:3], 0 offset:300
	buffer_load_dword v84, off, s[0:3], 0 offset:296
	;; [unrolled: 1-line block ×6, first 2 shown]
	s_waitcnt vmcnt(46) lgkmcnt(10)
	v_mul_f64 v[2:3], v[42:43], v[36:37]
	v_fmac_f64_e32 v[2:3], v[44:45], v[212:213]
	v_add_f64 v[2:3], v[2:3], 0
	v_mul_f64 v[36:37], v[44:45], v[36:37]
	s_waitcnt vmcnt(42) lgkmcnt(9)
	v_mul_f64 v[4:5], v[108:109], v[40:41]
	v_fmac_f64_e32 v[4:5], v[110:111], v[38:39]
	v_add_f64 v[2:3], v[2:3], v[4:5]
	buffer_load_dword v211, off, s[0:3], 0 offset:276
	buffer_load_dword v210, off, s[0:3], 0 offset:272
	;; [unrolled: 1-line block ×36, first 2 shown]
	s_waitcnt vmcnt(62) lgkmcnt(8)
	v_mul_f64 v[6:7], v[112:113], v[160:161]
	s_waitcnt lgkmcnt(6)
	v_mul_f64 v[10:11], v[170:171], v[174:175]
	v_fmac_f64_e32 v[10:11], v[172:173], v[176:177]
	v_mul_f64 v[40:41], v[110:111], v[40:41]
	v_mul_f64 v[8:9], v[116:117], v[56:57]
	v_fma_f64 v[228:229], v[108:109], v[38:39], -v[40:41]
	s_waitcnt lgkmcnt(4)
	v_mul_f64 v[14:15], v[184:185], v[58:59]
	v_mul_f64 v[108:109], v[114:115], v[160:161]
	v_fmac_f64_e32 v[14:15], v[186:187], v[60:61]
	v_mul_f64 v[56:57], v[118:119], v[56:57]
	v_mul_f64 v[12:13], v[180:181], v[62:63]
	;; [unrolled: 1-line block ×3, first 2 shown]
	s_waitcnt lgkmcnt(2)
	v_mul_f64 v[18:19], v[192:193], v[64:65]
	s_waitcnt vmcnt(59)
	v_mul_f64 v[16:17], v[188:189], v[70:71]
	s_waitcnt vmcnt(57) lgkmcnt(1)
	v_mul_f64 v[20:21], v[196:197], v[68:69]
	s_waitcnt vmcnt(55)
	v_fmac_f64_e32 v[6:7], v[114:115], v[78:79]
	v_add_f64 v[2:3], v[2:3], v[6:7]
	s_waitcnt vmcnt(53)
	v_fmac_f64_e32 v[8:9], v[118:119], v[76:77]
	v_add_f64 v[2:3], v[2:3], v[8:9]
	;; [unrolled: 3-line block ×3, first 2 shown]
	v_add_f64 v[2:3], v[2:3], v[12:13]
	s_waitcnt vmcnt(49)
	v_fmac_f64_e32 v[16:17], v[190:191], v[72:73]
	v_add_f64 v[2:3], v[2:3], v[14:15]
	s_waitcnt vmcnt(48)
	v_fmac_f64_e32 v[18:19], v[194:195], v[66:67]
	v_add_f64 v[2:3], v[2:3], v[16:17]
	v_add_f64 v[2:3], v[2:3], v[18:19]
	v_fma_f64 v[78:79], v[112:113], v[78:79], -v[108:109]
	s_waitcnt vmcnt(42)
	v_fmac_f64_e32 v[20:21], v[198:199], v[200:201]
	v_add_f64 v[2:3], v[2:3], v[20:21]
	s_waitcnt vmcnt(0)
	v_pk_mov_b32 v[18:19], v[4:5], v[4:5] op_sel:[0,1]
	buffer_load_dword v5, off, s[0:3], 0 offset:452
	buffer_load_dword v4, off, s[0:3], 0 offset:448
	v_accvgpr_write_b32 a171, v19
	v_accvgpr_write_b32 a170, v18
	s_waitcnt vmcnt(0)
	v_pk_mov_b32 v[22:23], v[4:5], v[4:5] op_sel:[0,1]
	buffer_load_dword v5, off, s[0:3], 0 offset:444
	buffer_load_dword v4, off, s[0:3], 0 offset:440
	v_accvgpr_write_b32 a173, v23
	v_accvgpr_write_b32 a172, v22
	;; [unrolled: 6-line block ×12, first 2 shown]
	s_waitcnt vmcnt(0)
	v_pk_mov_b32 v[178:179], v[4:5], v[4:5] op_sel:[0,1]
	buffer_load_dword v5, off, s[0:3], 0 offset:548
	buffer_load_dword v4, off, s[0:3], 0 offset:544
	s_waitcnt vmcnt(0)
	v_pk_mov_b32 v[202:203], v[4:5], v[4:5] op_sel:[0,1]
	buffer_load_dword v153, off, s[0:3], 0 offset:540
	buffer_load_dword v152, off, s[0:3], 0 offset:536
	;; [unrolled: 1-line block ×12, first 2 shown]
	ds_read_b128 v[204:207], v1 offset:1136
	ds_read_b128 v[216:219], v1 offset:1152
	;; [unrolled: 1-line block ×14, first 2 shown]
	s_waitcnt lgkmcnt(4)
	v_mul_f64 v[8:9], v[252:253], v[94:95]
	ds_read_b128 v[132:135], v1 offset:1360
	ds_read_b128 v[128:131], v1 offset:1376
	v_fmac_f64_e32 v[8:9], v[254:255], v[96:97]
	s_waitcnt lgkmcnt(5)
	v_mul_f64 v[12:13], v[148:149], v[14:15]
	v_fmac_f64_e32 v[12:13], v[150:151], v[16:17]
	s_waitcnt lgkmcnt(4)
	v_mul_f64 v[16:17], v[144:145], v[18:19]
	v_fmac_f64_e32 v[16:17], v[146:147], v[22:23]
	s_waitcnt lgkmcnt(3)
	v_mul_f64 v[20:21], v[140:141], v[24:25]
	v_fmac_f64_e32 v[20:21], v[142:143], v[30:31]
	s_waitcnt lgkmcnt(2)
	v_mul_f64 v[24:25], v[136:137], v[26:27]
	v_fmac_f64_e32 v[24:25], v[138:139], v[28:29]
	s_waitcnt lgkmcnt(1)
	v_mul_f64 v[28:29], v[132:133], v[32:33]
	ds_read_b128 v[124:127], v1 offset:1392
	v_fmac_f64_e32 v[28:29], v[134:135], v[120:121]
	ds_read_b128 v[120:123], v1 offset:1408
	s_waitcnt lgkmcnt(2)
	v_mul_f64 v[32:33], v[128:129], v[164:165]
	v_fmac_f64_e32 v[32:33], v[130:131], v[166:167]
	v_accvgpr_write_b32 a190, v202
	v_accvgpr_write_b32 a191, v203
	v_mul_f64 v[94:95], v[254:255], v[94:95]
	v_fma_f64 v[252:253], v[252:253], v[96:97], -v[94:95]
	s_waitcnt vmcnt(6)
	v_pk_mov_b32 v[214:215], v[4:5], v[4:5] op_sel:[0,1]
	v_mul_f64 v[4:5], v[46:47], v[80:81]
	v_fmac_f64_e32 v[4:5], v[48:49], v[82:83]
	v_add_f64 v[2:3], v[2:3], v[4:5]
	v_mul_f64 v[4:5], v[204:205], v[208:209]
	v_fmac_f64_e32 v[4:5], v[206:207], v[210:211]
	v_add_f64 v[2:3], v[2:3], v[4:5]
	;; [unrolled: 3-line block ×10, first 2 shown]
	v_add_f64 v[10:11], v[6:7], v[8:9]
	v_add_f64 v[14:15], v[10:11], v[12:13]
	;; [unrolled: 1-line block ×7, first 2 shown]
	ds_read_b128 v[30:33], v1 offset:1424
	s_waitcnt lgkmcnt(2)
	v_mul_f64 v[4:5], v[124:125], v[152:153]
	v_fma_f64 v[26:27], v[42:43], v[212:213], -v[36:37]
	v_fmac_f64_e32 v[4:5], v[126:127], v[154:155]
	s_waitcnt lgkmcnt(1)
	v_mul_f64 v[42:43], v[120:121], v[178:179]
	v_add_f64 v[4:5], v[164:165], v[4:5]
	v_fmac_f64_e32 v[42:43], v[122:123], v[202:203]
	v_add_f64 v[4:5], v[4:5], v[42:43]
	s_waitcnt vmcnt(2) lgkmcnt(0)
	v_mul_f64 v[42:43], v[30:31], v[156:157]
	s_waitcnt vmcnt(0)
	v_fmac_f64_e32 v[42:43], v[32:33], v[158:159]
	v_add_f64 v[4:5], v[4:5], v[42:43]
	ds_read_b128 v[42:45], v1 offset:1440
	ds_read_b128 v[38:41], v1 offset:1456
	buffer_load_dword v160, off, s[0:3], 0 offset:616
	buffer_load_dword v165, off, s[0:3], 0 offset:604
	;; [unrolled: 1-line block ×5, first 2 shown]
	v_fma_f64 v[212:213], v[116:117], v[76:77], -v[56:57]
	buffer_load_dword v56, off, s[0:3], 0 offset:608
	buffer_load_dword v161, off, s[0:3], 0 offset:620
	;; [unrolled: 1-line block ×5, first 2 shown]
	v_mul_f64 v[76:77], v[172:173], v[174:175]
	v_pk_mov_b32 v[36:37], v[178:179], v[178:179] op_sel:[0,1]
	v_fma_f64 v[22:23], v[170:171], v[176:177], -v[76:77]
	buffer_load_dword v177, off, s[0:3], 0 offset:636
	buffer_load_dword v176, off, s[0:3], 0 offset:632
	;; [unrolled: 1-line block ×7, first 2 shown]
	v_mul_f64 v[8:9], v[182:183], v[62:63]
	v_fma_f64 v[18:19], v[180:181], v[74:75], -v[8:9]
	buffer_load_dword v172, off, s[0:3], 0 offset:672
	buffer_load_dword v181, off, s[0:3], 0 offset:668
	;; [unrolled: 1-line block ×7, first 2 shown]
	v_fma_f64 v[14:15], v[184:185], v[60:61], -v[58:59]
	buffer_load_dword v185, off, s[0:3], 0 offset:700
	buffer_load_dword v184, off, s[0:3], 0 offset:696
	;; [unrolled: 1-line block ×4, first 2 shown]
	v_mul_f64 v[58:59], v[190:191], v[70:71]
	v_mul_f64 v[16:17], v[194:195], v[64:65]
	buffer_load_dword v190, off, s[0:3], 0 offset:712
	v_fma_f64 v[16:17], v[192:193], v[66:67], -v[16:17]
	buffer_load_dword v192, off, s[0:3], 0 offset:704
	buffer_load_dword v191, off, s[0:3], 0 offset:716
	;; [unrolled: 1-line block ×3, first 2 shown]
	v_fma_f64 v[10:11], v[188:189], v[72:73], -v[58:59]
	v_mul_f64 v[58:59], v[198:199], v[68:69]
	v_fma_f64 v[8:9], v[196:197], v[200:201], -v[58:59]
	buffer_load_dword v189, off, s[0:3], 0 offset:748
	buffer_load_dword v195, off, s[0:3], 0 offset:732
	buffer_load_dword v194, off, s[0:3], 0 offset:728
	buffer_load_dword v201, off, s[0:3], 0 offset:724
	buffer_load_dword v200, off, s[0:3], 0 offset:720
	buffer_load_dword v188, off, s[0:3], 0 offset:744
	buffer_load_dword v199, off, s[0:3], 0 offset:740
	buffer_load_dword v198, off, s[0:3], 0 offset:736
	buffer_load_dword v197, off, s[0:3], 0 offset:764
	buffer_load_dword v196, off, s[0:3], 0 offset:760
	buffer_load_dword v203, off, s[0:3], 0 offset:756
	buffer_load_dword v202, off, s[0:3], 0 offset:752
	v_mul_f64 v[20:21], v[48:49], v[80:81]
	v_accvgpr_write_b32 a192, v214
	v_fma_f64 v[20:21], v[46:47], v[82:83], -v[20:21]
	v_mul_f64 v[46:47], v[206:207], v[208:209]
	s_waitcnt lgkmcnt(1)
	v_mul_f64 v[12:13], v[42:43], v[214:215]
	v_accvgpr_write_b32 a193, v215
	v_fma_f64 v[6:7], v[204:205], v[210:211], -v[46:47]
	buffer_load_dword v206, off, s[0:3], 0 offset:776
	buffer_load_dword v208, off, s[0:3], 0 offset:768
	;; [unrolled: 1-line block ×12, first 2 shown]
	v_fmac_f64_e32 v[12:13], v[44:45], v[34:35]
	v_add_f64 v[12:13], v[4:5], v[12:13]
	v_mul_f64 v[4:5], v[218:219], v[84:85]
	v_fma_f64 v[24:25], v[216:217], v[86:87], -v[4:5]
	buffer_load_dword v217, off, s[0:3], 0 offset:828
	buffer_load_dword v216, off, s[0:3], 0 offset:824
	;; [unrolled: 1-line block ×4, first 2 shown]
	ds_read_b128 v[46:49], v1 offset:1472
	v_mul_f64 v[50:51], v[222:223], v[50:51]
	v_fma_f64 v[218:219], v[220:221], v[52:53], -v[50:51]
	ds_read_b128 v[50:53], v1 offset:1488
	ds_read_b128 v[220:223], v1 offset:1504
	v_mul_f64 v[54:55], v[232:233], v[54:55]
	v_mul_f64 v[70:71], v[236:237], v[100:101]
	v_fma_f64 v[54:55], v[230:231], v[168:169], -v[54:55]
	v_fma_f64 v[168:169], v[234:235], v[102:103], -v[70:71]
	ds_read_b128 v[94:97], v1 offset:1664
	v_add_f64 v[26:27], v[26:27], 0
	v_add_f64 v[26:27], v[26:27], v[228:229]
	v_add_f64 v[26:27], v[26:27], v[78:79]
	v_add_f64 v[26:27], v[26:27], v[212:213]
	v_add_f64 v[22:23], v[26:27], v[22:23]
	v_add_f64 v[18:19], v[22:23], v[18:19]
	v_add_f64 v[14:15], v[18:19], v[14:15]
	ds_read_b128 v[70:73], v1 offset:1568
	v_add_f64 v[10:11], v[14:15], v[10:11]
	v_add_f64 v[10:11], v[10:11], v[16:17]
	;; [unrolled: 1-line block ×7, first 2 shown]
	ds_read_b128 v[82:85], v1 offset:1616
	s_waitcnt vmcnt(57) lgkmcnt(6)
	v_mul_f64 v[58:59], v[38:39], v[164:165]
	s_waitcnt vmcnt(55)
	v_fmac_f64_e32 v[58:59], v[40:41], v[166:167]
	v_add_f64 v[12:13], v[12:13], v[58:59]
	s_waitcnt vmcnt(53) lgkmcnt(5)
	v_mul_f64 v[58:59], v[46:47], v[160:161]
	s_waitcnt vmcnt(52)
	v_fmac_f64_e32 v[58:59], v[48:49], v[56:57]
	v_add_f64 v[12:13], v[12:13], v[58:59]
	v_mul_f64 v[58:59], v[226:227], v[250:251]
	v_fma_f64 v[162:163], v[224:225], v[162:163], -v[58:59]
	ds_read_b128 v[58:61], v1 offset:1520
	s_waitcnt vmcnt(48) lgkmcnt(5)
	v_mul_f64 v[62:63], v[50:51], v[176:177]
	s_waitcnt vmcnt(46)
	v_fmac_f64_e32 v[62:63], v[52:53], v[178:179]
	v_add_f64 v[12:13], v[12:13], v[62:63]
	ds_read_b128 v[62:65], v1 offset:1536
	s_waitcnt lgkmcnt(5)
	v_mul_f64 v[66:67], v[220:221], v[118:119]
	s_waitcnt vmcnt(44)
	v_fmac_f64_e32 v[66:67], v[222:223], v[174:175]
	v_add_f64 v[12:13], v[12:13], v[66:67]
	s_waitcnt vmcnt(40) lgkmcnt(1)
	v_mul_f64 v[66:67], v[58:59], v[180:181]
	s_waitcnt vmcnt(38)
	v_fmac_f64_e32 v[66:67], v[60:61], v[182:183]
	v_add_f64 v[12:13], v[12:13], v[66:67]
	s_waitcnt vmcnt(37) lgkmcnt(0)
	v_mul_f64 v[66:67], v[62:63], v[170:171]
	s_waitcnt vmcnt(36)
	v_fmac_f64_e32 v[66:67], v[64:65], v[172:173]
	v_add_f64 v[12:13], v[12:13], v[66:67]
	ds_read_b128 v[66:69], v1 offset:1552
	ds_read_b128 v[224:227], v1 offset:1600
	s_waitcnt vmcnt(29)
	v_mul_f64 v[28:29], v[70:71], v[190:191]
	s_waitcnt vmcnt(28)
	v_fmac_f64_e32 v[28:29], v[72:73], v[192:193]
	v_add_f64 v[6:7], v[6:7], v[162:163]
	s_waitcnt lgkmcnt(1)
	v_mul_f64 v[74:75], v[66:67], v[184:185]
	v_fmac_f64_e32 v[74:75], v[68:69], v[186:187]
	v_add_f64 v[12:13], v[12:13], v[74:75]
	v_mul_f64 v[74:75], v[240:241], v[104:105]
	v_fma_f64 v[2:3], v[238:239], v[106:107], -v[74:75]
	ds_read_b128 v[74:77], v1 offset:1584
	v_add_f64 v[12:13], v[12:13], v[28:29]
	v_mul_f64 v[28:29], v[244:245], v[88:89]
	v_fma_f64 v[28:29], v[242:243], v[92:93], -v[28:29]
	v_mul_f64 v[88:89], v[248:249], v[90:91]
	s_waitcnt vmcnt(25) lgkmcnt(0)
	v_mul_f64 v[86:87], v[74:75], v[194:195]
	s_waitcnt vmcnt(23)
	v_fmac_f64_e32 v[86:87], v[76:77], v[200:201]
	v_add_f64 v[12:13], v[12:13], v[86:87]
	s_waitcnt vmcnt(22)
	v_mul_f64 v[86:87], v[224:225], v[188:189]
	s_waitcnt vmcnt(20)
	v_fmac_f64_e32 v[86:87], v[226:227], v[198:199]
	v_add_f64 v[12:13], v[12:13], v[86:87]
	s_waitcnt vmcnt(18)
	v_mul_f64 v[86:87], v[82:83], v[196:197]
	ds_read_b128 v[90:93], v1 offset:1632
	s_waitcnt vmcnt(16)
	v_fmac_f64_e32 v[86:87], v[84:85], v[202:203]
	v_fma_f64 v[250:251], v[246:247], v[98:99], -v[88:89]
	v_add_f64 v[12:13], v[12:13], v[86:87]
	ds_read_b128 v[86:89], v1 offset:1648
	s_waitcnt vmcnt(13) lgkmcnt(1)
	v_mul_f64 v[98:99], v[90:91], v[206:207]
	s_waitcnt vmcnt(12)
	v_fmac_f64_e32 v[98:99], v[92:93], v[208:209]
	v_add_f64 v[12:13], v[12:13], v[98:99]
	v_add_f64 v[6:7], v[6:7], v[54:55]
	s_waitcnt vmcnt(9) lgkmcnt(0)
	v_mul_f64 v[98:99], v[86:87], v[80:81]
	s_waitcnt vmcnt(7)
	v_fmac_f64_e32 v[98:99], v[88:89], v[214:215]
	v_add_f64 v[12:13], v[12:13], v[98:99]
	s_waitcnt vmcnt(5)
	v_mul_f64 v[98:99], v[94:95], v[204:205]
	s_waitcnt vmcnt(4)
	v_fmac_f64_e32 v[98:99], v[96:97], v[210:211]
	v_add_f64 v[12:13], v[12:13], v[98:99]
	ds_read_b128 v[98:101], v1 offset:1680
	buffer_load_dword v230, off, s[0:3], 0 offset:840
	buffer_load_dword v231, off, s[0:3], 0 offset:844
	;; [unrolled: 1-line block ×4, first 2 shown]
	v_add_f64 v[6:7], v[6:7], v[168:169]
	v_add_f64 v[2:3], v[6:7], v[2:3]
	;; [unrolled: 1-line block ×3, first 2 shown]
	s_waitcnt vmcnt(6) lgkmcnt(0)
	v_mul_f64 v[102:103], v[98:99], v[216:217]
	s_waitcnt vmcnt(4)
	v_fmac_f64_e32 v[102:103], v[100:101], v[4:5]
	v_add_f64 v[12:13], v[12:13], v[102:103]
	ds_read_b128 v[102:105], v1 offset:1696
	v_add_f64 v[2:3], v[254:255], v[250:251]
	v_add_f64 v[2:3], v[2:3], v[252:253]
	s_waitcnt vmcnt(2) lgkmcnt(0)
	v_mul_f64 v[106:107], v[102:103], v[230:231]
	s_waitcnt vmcnt(0)
	v_fmac_f64_e32 v[106:107], v[104:105], v[232:233]
	v_add_f64 v[110:111], v[12:13], v[106:107]
	buffer_load_dword v13, off, s[0:3], 0 offset:860
	buffer_load_dword v12, off, s[0:3], 0 offset:856
	;; [unrolled: 1-line block ×4, first 2 shown]
	ds_read_b128 v[106:109], v1 offset:1712
	buffer_load_dword v236, off, s[0:3], 0 offset:872
	buffer_load_dword v237, off, s[0:3], 0 offset:876
	;; [unrolled: 1-line block ×4, first 2 shown]
	s_waitcnt vmcnt(6) lgkmcnt(0)
	v_mul_f64 v[112:113], v[106:107], v[12:13]
	s_waitcnt vmcnt(4)
	v_fmac_f64_e32 v[112:113], v[108:109], v[234:235]
	v_add_f64 v[114:115], v[110:111], v[112:113]
	ds_read_b128 v[110:113], v1 offset:1728
	buffer_load_dword v243, off, s[0:3], 0 offset:892
	buffer_load_dword v242, off, s[0:3], 0 offset:888
	;; [unrolled: 1-line block ×4, first 2 shown]
	s_waitcnt vmcnt(6) lgkmcnt(0)
	v_mul_f64 v[116:117], v[110:111], v[236:237]
	s_waitcnt vmcnt(4)
	v_fmac_f64_e32 v[116:117], v[112:113], v[238:239]
	v_add_f64 v[240:241], v[114:115], v[116:117]
	ds_read_b128 v[114:117], v1 offset:1744
	v_accvgpr_read_b32 v0, a166
	v_accvgpr_read_b32 v1, a167
	v_mul_f64 v[6:7], v[150:151], v[0:1]
	v_accvgpr_read_b32 v0, a168
	v_accvgpr_read_b32 v1, a169
	v_fma_f64 v[6:7], v[148:149], v[0:1], -v[6:7]
	v_accvgpr_read_b32 v0, a170
	v_accvgpr_read_b32 v1, a171
	v_add_f64 v[2:3], v[2:3], v[6:7]
	v_mul_f64 v[6:7], v[146:147], v[0:1]
	v_accvgpr_read_b32 v0, a172
	v_accvgpr_read_b32 v1, a173
	v_fma_f64 v[6:7], v[144:145], v[0:1], -v[6:7]
	v_accvgpr_read_b32 v0, a174
	v_accvgpr_read_b32 v1, a175
	v_add_f64 v[2:3], v[2:3], v[6:7]
	v_mul_f64 v[6:7], v[142:143], v[0:1]
	v_accvgpr_read_b32 v0, a176
	v_accvgpr_read_b32 v1, a177
	v_fma_f64 v[6:7], v[140:141], v[0:1], -v[6:7]
	v_accvgpr_read_b32 v0, a178
	v_accvgpr_read_b32 v1, a179
	v_add_f64 v[2:3], v[2:3], v[6:7]
	v_mul_f64 v[6:7], v[138:139], v[0:1]
	v_accvgpr_read_b32 v0, a180
	v_accvgpr_read_b32 v1, a181
	v_fma_f64 v[6:7], v[136:137], v[0:1], -v[6:7]
	v_accvgpr_read_b32 v0, a182
	v_accvgpr_read_b32 v1, a183
	v_add_f64 v[2:3], v[2:3], v[6:7]
	v_mul_f64 v[6:7], v[134:135], v[0:1]
	v_accvgpr_read_b32 v0, a184
	v_accvgpr_read_b32 v1, a185
	v_fma_f64 v[6:7], v[132:133], v[0:1], -v[6:7]
	v_accvgpr_read_b32 v0, a186
	v_accvgpr_read_b32 v1, a187
	v_add_f64 v[2:3], v[2:3], v[6:7]
	v_mul_f64 v[6:7], v[130:131], v[0:1]
	v_accvgpr_read_b32 v0, a188
	v_accvgpr_read_b32 v1, a189
	v_fma_f64 v[6:7], v[128:129], v[0:1], -v[6:7]
	v_add_f64 v[2:3], v[2:3], v[6:7]
	v_mul_f64 v[6:7], v[126:127], v[152:153]
	v_fma_f64 v[6:7], v[124:125], v[154:155], -v[6:7]
	v_accvgpr_read_b32 v0, a190
	v_add_f64 v[2:3], v[2:3], v[6:7]
	v_mul_f64 v[6:7], v[122:123], v[36:37]
	v_accvgpr_read_b32 v1, a191
	v_fma_f64 v[6:7], v[120:121], v[0:1], -v[6:7]
	v_add_f64 v[2:3], v[2:3], v[6:7]
	v_mul_f64 v[6:7], v[32:33], v[156:157]
	v_accvgpr_read_b32 v0, a192
	v_fma_f64 v[6:7], v[30:31], v[158:159], -v[6:7]
	v_accvgpr_read_b32 v1, a193
	v_add_f64 v[2:3], v[2:3], v[6:7]
	v_mul_f64 v[6:7], v[44:45], v[0:1]
	v_fma_f64 v[6:7], v[42:43], v[34:35], -v[6:7]
	v_add_f64 v[2:3], v[2:3], v[6:7]
	v_mul_f64 v[6:7], v[40:41], v[164:165]
	v_fma_f64 v[6:7], v[38:39], v[166:167], -v[6:7]
	;; [unrolled: 3-line block ×5, first 2 shown]
	v_add_f64 v[2:3], v[2:3], v[6:7]
	s_waitcnt vmcnt(2) lgkmcnt(0)
	v_mul_f64 v[246:247], v[114:115], v[242:243]
	v_mul_f64 v[6:7], v[60:61], v[180:181]
	s_waitcnt vmcnt(0)
	v_fmac_f64_e32 v[246:247], v[116:117], v[244:245]
	v_add_f64 v[240:241], v[240:241], v[246:247]
	buffer_load_dword v248, off, s[0:3], 0 offset:80
	buffer_load_dword v249, off, s[0:3], 0 offset:84
	;; [unrolled: 1-line block ×4, first 2 shown]
	v_fma_f64 v[6:7], v[58:59], v[182:183], -v[6:7]
	v_add_f64 v[2:3], v[2:3], v[6:7]
	v_mul_f64 v[6:7], v[64:65], v[170:171]
	v_fma_f64 v[6:7], v[62:63], v[172:173], -v[6:7]
	v_add_f64 v[2:3], v[2:3], v[6:7]
	v_mul_f64 v[6:7], v[68:69], v[184:185]
	;; [unrolled: 3-line block ×14, first 2 shown]
	v_fma_f64 v[4:5], v[114:115], v[244:245], -v[4:5]
	v_add_f64 v[2:3], v[2:3], v[4:5]
	v_accvgpr_read_b32 v0, a164
	v_cmp_lt_u32_e32 vcc, 3, v0
	s_waitcnt vmcnt(2)
	v_add_f64 v[2:3], v[248:249], -v[2:3]
	s_waitcnt vmcnt(0)
	v_add_f64 v[4:5], v[246:247], -v[240:241]
	buffer_store_dword v3, off, s[0:3], 0 offset:84
	buffer_store_dword v2, off, s[0:3], 0 offset:80
	buffer_store_dword v5, off, s[0:3], 0 offset:92
	buffer_store_dword v4, off, s[0:3], 0 offset:88
	s_and_saveexec_b64 s[4:5], vcc
	s_cbranch_execz .LBB118_337
; %bb.336:
	v_accvgpr_read_b32 v0, a161
	buffer_load_dword v2, v0, s[0:3], 0 offen
	buffer_load_dword v3, v0, s[0:3], 0 offen offset:4
	buffer_load_dword v4, v0, s[0:3], 0 offen offset:8
	;; [unrolled: 1-line block ×3, first 2 shown]
	v_mov_b32_e32 v0, 0
	v_accvgpr_read_b32 v1, a165
	buffer_store_dword v0, off, s[0:3], 0 offset:64
	buffer_store_dword v0, off, s[0:3], 0 offset:68
	;; [unrolled: 1-line block ×4, first 2 shown]
	s_waitcnt vmcnt(4)
	ds_write_b128 v1, v[2:5]
.LBB118_337:
	s_or_b64 exec, exec, s[4:5]
	v_mov_b32_e32 v144, 0
	s_waitcnt lgkmcnt(0)
	; wave barrier
	s_waitcnt lgkmcnt(0)
	buffer_load_dword v30, off, s[0:3], 0 offset:80
	buffer_load_dword v31, off, s[0:3], 0 offset:84
	;; [unrolled: 1-line block ×54, first 2 shown]
	ds_read_b128 v[114:117], v144 offset:944
	ds_read_b128 v[158:161], v144 offset:960
	;; [unrolled: 1-line block ×9, first 2 shown]
	buffer_load_dword v109, off, s[0:3], 0 offset:308
	buffer_load_dword v108, off, s[0:3], 0 offset:304
	;; [unrolled: 1-line block ×32, first 2 shown]
	s_waitcnt vmcnt(62) lgkmcnt(8)
	v_mul_f64 v[2:3], v[114:115], v[32:33]
	v_fmac_f64_e32 v[2:3], v[116:117], v[30:31]
	v_add_f64 v[2:3], v[2:3], 0
	v_mul_f64 v[32:33], v[116:117], v[32:33]
	s_waitcnt lgkmcnt(7)
	v_mul_f64 v[4:5], v[158:159], v[38:39]
	v_fmac_f64_e32 v[4:5], v[160:161], v[36:37]
	s_waitcnt lgkmcnt(6)
	v_mul_f64 v[6:7], v[168:169], v[34:35]
	v_add_f64 v[2:3], v[2:3], v[4:5]
	s_waitcnt lgkmcnt(4)
	v_mul_f64 v[10:11], v[176:177], v[40:41]
	v_fma_f64 v[254:255], v[114:115], v[30:31], -v[32:33]
	v_fmac_f64_e32 v[10:11], v[178:179], v[42:43]
	v_mul_f64 v[38:39], v[160:161], v[38:39]
	v_mul_f64 v[8:9], v[172:173], v[44:45]
	s_waitcnt lgkmcnt(2)
	v_mul_f64 v[14:15], v[184:185], v[48:49]
	v_fmac_f64_e32 v[14:15], v[186:187], v[50:51]
	v_mul_f64 v[12:13], v[180:181], v[56:57]
	s_waitcnt lgkmcnt(1)
	v_mul_f64 v[16:17], v[188:189], v[52:53]
	s_waitcnt vmcnt(60)
	v_fmac_f64_e32 v[6:7], v[170:171], v[62:63]
	v_add_f64 v[2:3], v[2:3], v[6:7]
	s_waitcnt vmcnt(58)
	v_fmac_f64_e32 v[8:9], v[174:175], v[60:61]
	v_add_f64 v[2:3], v[2:3], v[8:9]
	;; [unrolled: 3-line block ×3, first 2 shown]
	v_add_f64 v[2:3], v[2:3], v[12:13]
	v_add_f64 v[2:3], v[2:3], v[14:15]
	s_waitcnt vmcnt(54)
	v_fmac_f64_e32 v[16:17], v[190:191], v[54:55]
	v_add_f64 v[2:3], v[2:3], v[16:17]
	s_waitcnt vmcnt(50) lgkmcnt(0)
	v_mul_f64 v[4:5], v[192:193], v[46:47]
	v_fmac_f64_e32 v[4:5], v[194:195], v[64:65]
	v_add_f64 v[2:3], v[2:3], v[4:5]
	s_waitcnt vmcnt(0)
	v_pk_mov_b32 v[14:15], v[0:1], v[0:1] op_sel:[0,1]
	buffer_load_dword v1, off, s[0:3], 0 offset:436
	buffer_load_dword v0, off, s[0:3], 0 offset:432
	v_accvgpr_write_b32 a167, v15
	v_accvgpr_write_b32 a166, v14
	s_waitcnt vmcnt(0)
	v_pk_mov_b32 v[18:19], v[0:1], v[0:1] op_sel:[0,1]
	buffer_load_dword v95, off, s[0:3], 0 offset:428
	buffer_load_dword v94, off, s[0:3], 0 offset:424
	buffer_load_dword v97, off, s[0:3], 0 offset:420
	buffer_load_dword v96, off, s[0:3], 0 offset:416
	buffer_load_dword v1, off, s[0:3], 0 offset:476
	buffer_load_dword v0, off, s[0:3], 0 offset:472
	v_accvgpr_write_b32 a169, v19
	v_accvgpr_write_b32 a168, v18
	s_waitcnt vmcnt(0)
	v_pk_mov_b32 v[22:23], v[0:1], v[0:1] op_sel:[0,1]
	buffer_load_dword v1, off, s[0:3], 0 offset:468
	buffer_load_dword v0, off, s[0:3], 0 offset:464
	v_accvgpr_write_b32 a175, v23
	v_accvgpr_write_b32 a174, v22
	s_waitcnt vmcnt(0)
	v_pk_mov_b32 v[24:25], v[0:1], v[0:1] op_sel:[0,1]
	buffer_load_dword v1, off, s[0:3], 0 offset:460
	buffer_load_dword v0, off, s[0:3], 0 offset:456
	;; [unrolled: 6-line block ×11, first 2 shown]
	ds_read_b128 v[196:199], v144 offset:1088
	ds_read_b128 v[200:203], v144 offset:1104
	;; [unrolled: 1-line block ×8, first 2 shown]
	s_waitcnt lgkmcnt(7)
	v_mul_f64 v[4:5], v[196:197], v[70:71]
	v_fmac_f64_e32 v[4:5], v[198:199], v[72:73]
	v_add_f64 v[2:3], v[2:3], v[4:5]
	s_waitcnt lgkmcnt(6)
	v_mul_f64 v[4:5], v[200:201], v[66:67]
	v_fmac_f64_e32 v[4:5], v[202:203], v[68:69]
	v_add_f64 v[2:3], v[2:3], v[4:5]
	;; [unrolled: 4-line block ×8, first 2 shown]
	v_accvgpr_write_b32 a187, v157
	v_accvgpr_write_b32 a186, v156
	s_waitcnt vmcnt(0)
	v_pk_mov_b32 v[166:167], v[0:1], v[0:1] op_sel:[0,1]
	buffer_load_dword v1, off, s[0:3], 0 offset:572
	buffer_load_dword v155, off, s[0:3], 0 offset:556
	buffer_load_dword v154, off, s[0:3], 0 offset:552
	buffer_load_dword v153, off, s[0:3], 0 offset:548
	buffer_load_dword v152, off, s[0:3], 0 offset:544
	buffer_load_dword v0, off, s[0:3], 0 offset:568
	buffer_load_dword v151, off, s[0:3], 0 offset:564
	buffer_load_dword v150, off, s[0:3], 0 offset:560
	ds_read_b128 v[232:235], v144 offset:1216
	ds_read_b128 v[236:239], v144 offset:1232
	;; [unrolled: 1-line block ×6, first 2 shown]
	s_waitcnt lgkmcnt(5)
	v_mul_f64 v[4:5], v[232:233], v[102:103]
	v_fmac_f64_e32 v[4:5], v[234:235], v[106:107]
	v_add_f64 v[2:3], v[2:3], v[4:5]
	s_waitcnt lgkmcnt(4)
	v_mul_f64 v[4:5], v[236:237], v[78:79]
	v_fmac_f64_e32 v[4:5], v[238:239], v[80:81]
	v_add_f64 v[2:3], v[2:3], v[4:5]
	s_waitcnt lgkmcnt(3)
	v_mul_f64 v[4:5], v[240:241], v[82:83]
	ds_read_b128 v[136:139], v144 offset:1312
	ds_read_b128 v[132:135], v144 offset:1328
	v_fmac_f64_e32 v[4:5], v[242:243], v[84:85]
	v_add_f64 v[2:3], v[2:3], v[4:5]
	s_waitcnt lgkmcnt(4)
	v_mul_f64 v[4:5], v[244:245], v[86:87]
	ds_read_b128 v[128:131], v144 offset:1344
	ds_read_b128 v[124:127], v144 offset:1360
	v_fmac_f64_e32 v[4:5], v[246:247], v[88:89]
	s_waitcnt lgkmcnt(5)
	v_mul_f64 v[8:9], v[248:249], v[94:95]
	v_add_f64 v[6:7], v[2:3], v[4:5]
	v_fmac_f64_e32 v[8:9], v[250:251], v[96:97]
	s_waitcnt lgkmcnt(4)
	v_mul_f64 v[12:13], v[146:147], v[14:15]
	v_add_f64 v[10:11], v[6:7], v[8:9]
	v_fmac_f64_e32 v[12:13], v[148:149], v[18:19]
	s_waitcnt lgkmcnt(3)
	v_mul_f64 v[16:17], v[136:137], v[20:21]
	v_add_f64 v[14:15], v[10:11], v[12:13]
	v_fmac_f64_e32 v[16:17], v[138:139], v[26:27]
	s_waitcnt lgkmcnt(2)
	v_mul_f64 v[20:21], v[132:133], v[22:23]
	v_add_f64 v[18:19], v[14:15], v[16:17]
	v_fmac_f64_e32 v[20:21], v[134:135], v[24:25]
	s_waitcnt lgkmcnt(1)
	v_mul_f64 v[28:29], v[128:129], v[140:141]
	v_add_f64 v[26:27], v[18:19], v[20:21]
	v_fmac_f64_e32 v[28:29], v[130:131], v[142:143]
	ds_read_b128 v[140:143], v144 offset:1376
	v_add_f64 v[26:27], v[26:27], v[28:29]
	s_waitcnt lgkmcnt(1)
	v_mul_f64 v[28:29], v[124:125], v[120:121]
	v_fmac_f64_e32 v[28:29], v[126:127], v[122:123]
	ds_read_b128 v[120:123], v144 offset:1392
	v_add_f64 v[26:27], v[26:27], v[28:29]
	s_waitcnt lgkmcnt(1)
	v_mul_f64 v[28:29], v[140:141], v[156:157]
	v_fmac_f64_e32 v[28:29], v[142:143], v[166:167]
	v_accvgpr_write_b32 a189, v167
	s_waitcnt lgkmcnt(0)
	v_mul_f64 v[114:115], v[120:121], v[162:163]
	v_add_f64 v[156:157], v[26:27], v[28:29]
	v_fmac_f64_e32 v[114:115], v[122:123], v[164:165]
	v_accvgpr_write_b32 a188, v166
	ds_read_b128 v[30:33], v144 offset:1408
	v_add_f64 v[114:115], v[156:157], v[114:115]
	buffer_load_dword v157, off, s[0:3], 0 offset:604
	buffer_load_dword v156, off, s[0:3], 0 offset:600
	v_fma_f64 v[26:27], v[158:159], v[36:37], -v[38:39]
	buffer_load_dword v159, off, s[0:3], 0 offset:596
	buffer_load_dword v158, off, s[0:3], 0 offset:592
	;; [unrolled: 1-line block ×6, first 2 shown]
	v_mul_f64 v[4:5], v[170:171], v[34:35]
	v_fma_f64 v[24:25], v[168:169], v[62:63], -v[4:5]
	buffer_load_dword v160, off, s[0:3], 0 offset:632
	buffer_load_dword v165, off, s[0:3], 0 offset:620
	;; [unrolled: 1-line block ×5, first 2 shown]
	v_mul_f64 v[34:35], v[174:175], v[44:45]
	v_fma_f64 v[60:61], v[172:173], v[60:61], -v[34:35]
	ds_read_b128 v[34:37], v144 offset:1424
	buffer_load_dword v170, off, s[0:3], 0 offset:624
	buffer_load_dword v161, off, s[0:3], 0 offset:636
	;; [unrolled: 1-line block ×3, first 2 shown]
	v_mul_f64 v[8:9], v[194:195], v[46:47]
	v_fma_f64 v[18:19], v[192:193], v[64:65], -v[8:9]
	v_mul_f64 v[12:13], v[202:203], v[66:67]
	v_mul_f64 v[16:17], v[210:211], v[92:93]
	v_fma_f64 v[12:13], v[200:201], v[68:69], -v[12:13]
	v_fma_f64 v[16:17], v[208:209], v[76:77], -v[16:17]
	v_mul_f64 v[46:47], v[218:219], v[118:119]
	v_fma_f64 v[118:119], v[216:217], v[252:253], -v[46:47]
	v_mul_f64 v[66:67], v[226:227], v[110:111]
	;; [unrolled: 2-line block ×3, first 2 shown]
	v_fma_f64 v[252:253], v[228:229], v[98:99], -v[66:67]
	s_waitcnt vmcnt(21) lgkmcnt(1)
	v_mul_f64 v[38:39], v[30:31], v[154:155]
	v_mul_f64 v[78:79], v[238:239], v[78:79]
	s_waitcnt vmcnt(19)
	v_fmac_f64_e32 v[38:39], v[32:33], v[152:153]
	s_waitcnt vmcnt(18) lgkmcnt(0)
	v_mul_f64 v[44:45], v[34:35], v[0:1]
	v_add_f64 v[38:39], v[114:115], v[38:39]
	s_waitcnt vmcnt(16)
	v_fmac_f64_e32 v[44:45], v[36:37], v[150:151]
	v_add_f64 v[62:63], v[38:39], v[44:45]
	v_mul_f64 v[38:39], v[178:179], v[40:41]
	v_fma_f64 v[172:173], v[176:177], v[42:43], -v[38:39]
	v_mul_f64 v[38:39], v[182:183], v[56:57]
	v_fma_f64 v[114:115], v[180:181], v[58:59], -v[38:39]
	buffer_load_dword v59, off, s[0:3], 0 offset:668
	buffer_load_dword v175, off, s[0:3], 0 offset:652
	buffer_load_dword v174, off, s[0:3], 0 offset:648
	buffer_load_dword v179, off, s[0:3], 0 offset:644
	buffer_load_dword v178, off, s[0:3], 0 offset:640
	buffer_load_dword v58, off, s[0:3], 0 offset:664
	buffer_load_dword v177, off, s[0:3], 0 offset:660
	buffer_load_dword v176, off, s[0:3], 0 offset:656
	ds_read_b128 v[38:41], v144 offset:1440
	buffer_load_dword v181, off, s[0:3], 0 offset:684
	buffer_load_dword v180, off, s[0:3], 0 offset:680
	;; [unrolled: 1-line block ×4, first 2 shown]
	v_mul_f64 v[42:43], v[186:187], v[48:49]
	v_fma_f64 v[116:117], v[184:185], v[50:51], -v[42:43]
	v_mul_f64 v[42:43], v[190:191], v[52:53]
	v_fma_f64 v[22:23], v[188:189], v[54:55], -v[42:43]
	buffer_load_dword v185, off, s[0:3], 0 offset:700
	buffer_load_dword v184, off, s[0:3], 0 offset:696
	;; [unrolled: 1-line block ×9, first 2 shown]
	v_mul_f64 v[42:43], v[198:199], v[70:71]
	buffer_load_dword v194, off, s[0:3], 0 offset:720
	buffer_load_dword v193, off, s[0:3], 0 offset:732
	;; [unrolled: 1-line block ×3, first 2 shown]
	v_fma_f64 v[14:15], v[196:197], v[72:73], -v[42:43]
	buffer_load_dword v197, off, s[0:3], 0 offset:748
	buffer_load_dword v196, off, s[0:3], 0 offset:744
	buffer_load_dword v199, off, s[0:3], 0 offset:740
	buffer_load_dword v198, off, s[0:3], 0 offset:736
	v_mul_f64 v[42:43], v[206:207], v[100:101]
	v_fma_f64 v[10:11], v[204:205], v[104:105], -v[42:43]
	buffer_load_dword v203, off, s[0:3], 0 offset:764
	buffer_load_dword v202, off, s[0:3], 0 offset:760
	;; [unrolled: 1-line block ×16, first 2 shown]
	ds_read_b128 v[42:45], v144 offset:1456
	ds_read_b128 v[46:49], v144 offset:1472
	v_mul_f64 v[54:55], v[222:223], v[74:75]
	v_fma_f64 v[218:219], v[220:221], v[108:109], -v[54:55]
	ds_read_b128 v[54:57], v144 offset:1504
	ds_read_b128 v[220:223], v144 offset:1520
	;; [unrolled: 1-line block ×3, first 2 shown]
	v_mul_f64 v[70:71], v[234:235], v[102:103]
	v_fma_f64 v[6:7], v[232:233], v[106:107], -v[70:71]
	v_fma_f64 v[4:5], v[236:237], v[80:81], -v[78:79]
	v_mul_f64 v[82:83], v[242:243], v[82:83]
	v_fma_f64 v[2:3], v[240:241], v[84:85], -v[82:83]
	ds_read_b128 v[82:85], v144 offset:1616
	buffer_load_dword v216, off, s[0:3], 0 offset:824
	ds_read_b128 v[70:73], v144 offset:1568
	ds_read_b128 v[78:81], v144 offset:1600
	s_waitcnt vmcnt(55) lgkmcnt(8)
	v_mul_f64 v[50:51], v[38:39], v[162:163]
	s_waitcnt lgkmcnt(7)
	v_mul_f64 v[52:53], v[42:43], v[156:157]
	s_waitcnt vmcnt(53)
	v_fmac_f64_e32 v[50:51], v[40:41], v[166:167]
	v_add_f64 v[50:51], v[62:63], v[50:51]
	v_fmac_f64_e32 v[52:53], v[44:45], v[158:159]
	v_add_f64 v[50:51], v[50:51], v[52:53]
	s_waitcnt vmcnt(50) lgkmcnt(6)
	v_mul_f64 v[52:53], v[46:47], v[164:165]
	s_waitcnt vmcnt(48)
	v_fmac_f64_e32 v[52:53], v[48:49], v[168:169]
	v_add_f64 v[62:63], v[50:51], v[52:53]
	ds_read_b128 v[50:53], v144 offset:1488
	s_waitcnt vmcnt(46) lgkmcnt(0)
	v_mul_f64 v[64:65], v[50:51], v[160:161]
	s_waitcnt vmcnt(45)
	v_fmac_f64_e32 v[64:65], v[52:53], v[170:171]
	v_add_f64 v[20:21], v[62:63], v[64:65]
	s_waitcnt vmcnt(42)
	v_mul_f64 v[62:63], v[54:55], v[174:175]
	s_waitcnt vmcnt(40)
	v_fmac_f64_e32 v[62:63], v[56:57], v[178:179]
	v_add_f64 v[20:21], v[20:21], v[62:63]
	s_waitcnt vmcnt(39)
	v_mul_f64 v[62:63], v[220:221], v[58:59]
	s_waitcnt vmcnt(37)
	v_fmac_f64_e32 v[62:63], v[222:223], v[176:177]
	v_add_f64 v[20:21], v[20:21], v[62:63]
	ds_read_b128 v[62:65], v144 offset:1536
	s_waitcnt vmcnt(35) lgkmcnt(0)
	v_mul_f64 v[74:75], v[62:63], v[180:181]
	s_waitcnt vmcnt(33)
	v_fmac_f64_e32 v[74:75], v[64:65], v[182:183]
	v_add_f64 v[20:21], v[20:21], v[74:75]
	s_waitcnt vmcnt(31)
	v_mul_f64 v[74:75], v[66:67], v[184:185]
	s_waitcnt vmcnt(29)
	v_fmac_f64_e32 v[74:75], v[68:69], v[188:189]
	v_add_f64 v[20:21], v[20:21], v[74:75]
	s_waitcnt vmcnt(27)
	v_mul_f64 v[74:75], v[70:71], v[186:187]
	s_waitcnt vmcnt(25)
	v_fmac_f64_e32 v[74:75], v[72:73], v[190:191]
	v_add_f64 v[20:21], v[20:21], v[74:75]
	ds_read_b128 v[74:77], v144 offset:1584
	s_waitcnt vmcnt(19)
	v_mul_f64 v[28:29], v[78:79], v[196:197]
	s_waitcnt vmcnt(17)
	v_fmac_f64_e32 v[28:29], v[80:81], v[198:199]
	s_waitcnt lgkmcnt(0)
	v_mul_f64 v[90:91], v[74:75], v[192:193]
	v_fmac_f64_e32 v[90:91], v[76:77], v[194:195]
	v_add_f64 v[20:21], v[20:21], v[90:91]
	v_add_f64 v[20:21], v[20:21], v[28:29]
	v_mul_f64 v[28:29], v[246:247], v[86:87]
	v_fma_f64 v[28:29], v[244:245], v[88:89], -v[28:29]
	ds_read_b128 v[86:89], v144 offset:1632
	s_waitcnt vmcnt(15)
	v_mul_f64 v[90:91], v[82:83], v[202:203]
	s_waitcnt vmcnt(13)
	v_fmac_f64_e32 v[90:91], v[84:85], v[204:205]
	v_add_f64 v[98:99], v[20:21], v[90:91]
	v_mul_f64 v[20:21], v[250:251], v[94:95]
	ds_read_b128 v[90:93], v144 offset:1648
	v_fma_f64 v[20:21], v[248:249], v[96:97], -v[20:21]
	ds_read_b128 v[94:97], v144 offset:1664
	buffer_load_dword v228, off, s[0:3], 0 offset:816
	buffer_load_dword v217, off, s[0:3], 0 offset:828
	;; [unrolled: 1-line block ×3, first 2 shown]
	s_waitcnt vmcnt(13) lgkmcnt(2)
	v_mul_f64 v[100:101], v[86:87], v[206:207]
	s_waitcnt vmcnt(11)
	v_fmac_f64_e32 v[100:101], v[88:89], v[212:213]
	v_add_f64 v[98:99], v[98:99], v[100:101]
	s_waitcnt vmcnt(10) lgkmcnt(1)
	v_mul_f64 v[100:101], v[90:91], v[200:201]
	s_waitcnt vmcnt(8)
	v_fmac_f64_e32 v[100:101], v[92:93], v[210:211]
	v_add_f64 v[98:99], v[98:99], v[100:101]
	;; [unrolled: 5-line block ×3, first 2 shown]
	ds_read_b128 v[98:101], v144 offset:1680
	buffer_load_dword v231, off, s[0:3], 0 offset:844
	buffer_load_dword v230, off, s[0:3], 0 offset:840
	buffer_load_dword v233, off, s[0:3], 0 offset:836
	buffer_load_dword v232, off, s[0:3], 0 offset:832
	s_waitcnt vmcnt(5) lgkmcnt(0)
	v_mul_f64 v[104:105], v[98:99], v[216:217]
	s_waitcnt vmcnt(4)
	v_fmac_f64_e32 v[104:105], v[100:101], v[228:229]
	v_add_f64 v[106:107], v[102:103], v[104:105]
	ds_read_b128 v[102:105], v144 offset:1696
	buffer_load_dword v234, off, s[0:3], 0 offset:856
	buffer_load_dword v235, off, s[0:3], 0 offset:860
	buffer_load_dword v236, off, s[0:3], 0 offset:848
	buffer_load_dword v237, off, s[0:3], 0 offset:852
	s_waitcnt vmcnt(6) lgkmcnt(0)
	v_mul_f64 v[108:109], v[102:103], v[230:231]
	s_waitcnt vmcnt(4)
	v_fmac_f64_e32 v[108:109], v[104:105], v[232:233]
	v_add_f64 v[110:111], v[106:107], v[108:109]
	;; [unrolled: 10-line block ×4, first 2 shown]
	ds_read_b128 v[224:227], v144 offset:1744
	buffer_load_dword v250, off, s[0:3], 0 offset:64
	buffer_load_dword v251, off, s[0:3], 0 offset:68
	s_waitcnt vmcnt(4) lgkmcnt(0)
	v_mul_f64 v[248:249], v[224:225], v[244:245]
	s_waitcnt vmcnt(2)
	v_fmac_f64_e32 v[248:249], v[226:227], v[246:247]
	v_add_f64 v[242:243], v[242:243], v[248:249]
	v_add_f64 v[248:249], v[254:255], 0
	;; [unrolled: 1-line block ×15, first 2 shown]
	buffer_load_dword v248, off, s[0:3], 0 offset:72
	buffer_load_dword v249, off, s[0:3], 0 offset:76
	v_add_f64 v[10:11], v[10:11], v[218:219]
	v_add_f64 v[8:9], v[10:11], v[8:9]
	v_add_f64 v[8:9], v[8:9], v[252:253]
	v_add_f64 v[6:7], v[8:9], v[6:7]
	v_add_f64 v[4:5], v[6:7], v[4:5]
	v_add_f64 v[2:3], v[4:5], v[2:3]
	v_accvgpr_read_b32 v4, a166
	v_accvgpr_read_b32 v5, a167
	;; [unrolled: 1-line block ×3, first 2 shown]
	v_add_f64 v[218:219], v[2:3], v[28:29]
	v_mul_f64 v[4:5], v[148:149], v[4:5]
	v_accvgpr_read_b32 v7, a169
	v_add_f64 v[2:3], v[218:219], v[20:21]
	v_fma_f64 v[4:5], v[146:147], v[6:7], -v[4:5]
	v_add_f64 v[2:3], v[2:3], v[4:5]
	v_accvgpr_read_b32 v4, a170
	v_accvgpr_read_b32 v5, a171
	v_accvgpr_read_b32 v6, a172
	v_mul_f64 v[4:5], v[138:139], v[4:5]
	v_accvgpr_read_b32 v7, a173
	v_fma_f64 v[4:5], v[136:137], v[6:7], -v[4:5]
	v_add_f64 v[2:3], v[2:3], v[4:5]
	v_accvgpr_read_b32 v4, a174
	v_accvgpr_read_b32 v5, a175
	v_accvgpr_read_b32 v6, a176
	v_mul_f64 v[4:5], v[134:135], v[4:5]
	v_accvgpr_read_b32 v7, a177
	;; [unrolled: 7-line block ×6, first 2 shown]
	v_fma_f64 v[4:5], v[120:121], v[6:7], -v[4:5]
	v_add_f64 v[2:3], v[2:3], v[4:5]
	v_mul_f64 v[4:5], v[32:33], v[154:155]
	v_fma_f64 v[4:5], v[30:31], v[152:153], -v[4:5]
	v_add_f64 v[2:3], v[2:3], v[4:5]
	v_mul_f64 v[4:5], v[36:37], v[0:1]
	;; [unrolled: 3-line block ×22, first 2 shown]
	v_fma_f64 v[4:5], v[224:225], v[246:247], -v[4:5]
	v_add_f64 v[2:3], v[2:3], v[4:5]
	v_accvgpr_read_b32 v0, a164
	s_waitcnt vmcnt(2)
	v_add_f64 v[2:3], v[250:251], -v[2:3]
	v_cmp_lt_u32_e32 vcc, 2, v0
	s_waitcnt vmcnt(0)
	v_add_f64 v[4:5], v[248:249], -v[242:243]
	buffer_store_dword v3, off, s[0:3], 0 offset:68
	buffer_store_dword v2, off, s[0:3], 0 offset:64
	buffer_store_dword v5, off, s[0:3], 0 offset:76
	buffer_store_dword v4, off, s[0:3], 0 offset:72
	s_and_saveexec_b64 s[4:5], vcc
	s_cbranch_execz .LBB118_339
; %bb.338:
	v_accvgpr_read_b32 v0, a162
	buffer_load_dword v2, v0, s[0:3], 0 offen
	buffer_load_dword v3, v0, s[0:3], 0 offen offset:4
	buffer_load_dword v4, v0, s[0:3], 0 offen offset:8
	;; [unrolled: 1-line block ×3, first 2 shown]
	v_accvgpr_read_b32 v0, a165
	buffer_store_dword v144, off, s[0:3], 0 offset:48
	buffer_store_dword v144, off, s[0:3], 0 offset:52
	buffer_store_dword v144, off, s[0:3], 0 offset:56
	buffer_store_dword v144, off, s[0:3], 0 offset:60
	s_waitcnt vmcnt(4)
	ds_write_b128 v0, v[2:5]
.LBB118_339:
	s_or_b64 exec, exec, s[4:5]
	s_waitcnt lgkmcnt(0)
	; wave barrier
	s_waitcnt lgkmcnt(0)
	buffer_load_dword v22, off, s[0:3], 0 offset:64
	buffer_load_dword v23, off, s[0:3], 0 offset:68
	buffer_load_dword v24, off, s[0:3], 0 offset:72
	buffer_load_dword v25, off, s[0:3], 0 offset:76
	buffer_load_dword v160, off, s[0:3], 0 offset:80
	buffer_load_dword v161, off, s[0:3], 0 offset:84
	buffer_load_dword v162, off, s[0:3], 0 offset:88
	buffer_load_dword v163, off, s[0:3], 0 offset:92
	buffer_load_dword v158, off, s[0:3], 0 offset:104
	buffer_load_dword v159, off, s[0:3], 0 offset:108
	buffer_load_dword v169, off, s[0:3], 0 offset:140
	buffer_load_dword v168, off, s[0:3], 0 offset:136
	buffer_load_dword v171, off, s[0:3], 0 offset:132
	buffer_load_dword v170, off, s[0:3], 0 offset:128
	buffer_load_dword v167, off, s[0:3], 0 offset:124
	buffer_load_dword v166, off, s[0:3], 0 offset:120
	buffer_load_dword v75, off, s[0:3], 0 offset:172
	buffer_load_dword v74, off, s[0:3], 0 offset:168
	buffer_load_dword v77, off, s[0:3], 0 offset:164
	buffer_load_dword v76, off, s[0:3], 0 offset:160
	buffer_load_dword v81, off, s[0:3], 0 offset:156
	buffer_load_dword v80, off, s[0:3], 0 offset:152
	buffer_load_dword v73, off, s[0:3], 0 offset:188
	buffer_load_dword v72, off, s[0:3], 0 offset:184
	buffer_load_dword v86, off, s[0:3], 0 offset:96
	buffer_load_dword v87, off, s[0:3], 0 offset:100
	buffer_load_dword v85, off, s[0:3], 0 offset:116
	buffer_load_dword v84, off, s[0:3], 0 offset:112
	buffer_load_dword v83, off, s[0:3], 0 offset:148
	buffer_load_dword v82, off, s[0:3], 0 offset:144
	buffer_load_dword v79, off, s[0:3], 0 offset:180
	buffer_load_dword v78, off, s[0:3], 0 offset:176
	buffer_load_dword v70, off, s[0:3], 0 offset:200
	buffer_load_dword v88, off, s[0:3], 0 offset:192
	buffer_load_dword v89, off, s[0:3], 0 offset:196
	buffer_load_dword v71, off, s[0:3], 0 offset:204
	ds_read_b128 v[18:21], v144 offset:928
	ds_read_b128 v[26:29], v144 offset:944
	ds_read_b128 v[54:57], v144 offset:960
	ds_read_b128 v[30:33], v144 offset:976
	ds_read_b128 v[34:37], v144 offset:992
	ds_read_b128 v[38:41], v144 offset:1008
	ds_read_b128 v[50:53], v144 offset:1024
	ds_read_b128 v[46:49], v144 offset:1040
	ds_read_b128 v[42:45], v144 offset:1056
	buffer_load_dword v91, off, s[0:3], 0 offset:236
	buffer_load_dword v90, off, s[0:3], 0 offset:232
	;; [unrolled: 1-line block ×19, first 2 shown]
	s_waitcnt vmcnt(51) lgkmcnt(8)
	v_mul_f64 v[2:3], v[18:19], v[24:25]
	v_fmac_f64_e32 v[2:3], v[20:21], v[22:23]
	v_add_f64 v[2:3], v[2:3], 0
	v_mul_f64 v[20:21], v[20:21], v[24:25]
	s_waitcnt vmcnt(47) lgkmcnt(7)
	v_mul_f64 v[4:5], v[26:27], v[162:163]
	v_fmac_f64_e32 v[4:5], v[28:29], v[160:161]
	v_add_f64 v[2:3], v[2:3], v[4:5]
	buffer_load_dword v104, off, s[0:3], 0 offset:288
	buffer_load_dword v67, off, s[0:3], 0 offset:284
	;; [unrolled: 1-line block ×39, first 2 shown]
	s_waitcnt vmcnt(62) lgkmcnt(6)
	v_mul_f64 v[6:7], v[54:55], v[158:159]
	s_waitcnt lgkmcnt(4)
	v_mul_f64 v[10:11], v[34:35], v[168:169]
	v_fmac_f64_e32 v[10:11], v[36:37], v[170:171]
	v_fma_f64 v[24:25], v[18:19], v[22:23], -v[20:21]
	v_mul_f64 v[8:9], v[30:31], v[166:167]
	v_mul_f64 v[28:29], v[28:29], v[162:163]
	s_waitcnt lgkmcnt(2)
	v_mul_f64 v[14:15], v[50:51], v[74:75]
	v_fma_f64 v[160:161], v[26:27], v[160:161], -v[28:29]
	v_fmac_f64_e32 v[14:15], v[52:53], v[76:77]
	v_mul_f64 v[36:37], v[36:37], v[168:169]
	v_mul_f64 v[12:13], v[38:39], v[80:81]
	;; [unrolled: 1-line block ×3, first 2 shown]
	s_waitcnt lgkmcnt(1)
	v_mul_f64 v[16:17], v[46:47], v[72:73]
	v_fma_f64 v[20:21], v[50:51], v[76:77], -v[52:53]
	v_fmac_f64_e32 v[6:7], v[56:57], v[86:87]
	v_add_f64 v[2:3], v[2:3], v[6:7]
	v_fmac_f64_e32 v[8:9], v[32:33], v[84:85]
	v_add_f64 v[2:3], v[2:3], v[8:9]
	;; [unrolled: 2-line block ×3, first 2 shown]
	v_add_f64 v[2:3], v[2:3], v[12:13]
	v_add_f64 v[2:3], v[2:3], v[14:15]
	v_fmac_f64_e32 v[16:17], v[48:49], v[78:79]
	v_add_f64 v[2:3], v[2:3], v[16:17]
	v_mul_f64 v[32:33], v[32:33], v[166:167]
	v_mul_f64 v[40:41], v[40:41], v[80:81]
	v_fma_f64 v[82:83], v[38:39], v[82:83], -v[40:41]
	v_add_f64 v[24:25], v[24:25], 0
	v_add_f64 v[24:25], v[24:25], v[160:161]
	s_waitcnt vmcnt(0)
	v_pk_mov_b32 v[122:123], v[4:5], v[4:5] op_sel:[0,1]
	buffer_load_dword v5, off, s[0:3], 0 offset:452
	buffer_load_dword v4, off, s[0:3], 0 offset:448
	v_accvgpr_write_b32 a173, v123
	v_accvgpr_write_b32 a172, v122
	s_waitcnt vmcnt(0)
	v_pk_mov_b32 v[124:125], v[4:5], v[4:5] op_sel:[0,1]
	buffer_load_dword v5, off, s[0:3], 0 offset:444
	buffer_load_dword v4, off, s[0:3], 0 offset:440
	v_accvgpr_write_b32 a175, v125
	v_accvgpr_write_b32 a174, v124
	s_waitcnt vmcnt(0)
	v_pk_mov_b32 v[14:15], v[4:5], v[4:5] op_sel:[0,1]
	buffer_load_dword v5, off, s[0:3], 0 offset:436
	buffer_load_dword v4, off, s[0:3], 0 offset:432
	v_pk_mov_b32 v[142:143], v[14:15], v[14:15] op_sel:[0,1]
	s_waitcnt vmcnt(0)
	v_pk_mov_b32 v[126:127], v[4:5], v[4:5] op_sel:[0,1]
	buffer_load_dword v5, off, s[0:3], 0 offset:492
	buffer_load_dword v4, off, s[0:3], 0 offset:488
	v_accvgpr_write_b32 a171, v127
	v_accvgpr_write_b32 a170, v126
	s_waitcnt vmcnt(0)
	v_pk_mov_b32 v[174:175], v[4:5], v[4:5] op_sel:[0,1]
	buffer_load_dword v5, off, s[0:3], 0 offset:484
	buffer_load_dword v4, off, s[0:3], 0 offset:480
	v_accvgpr_write_b32 a181, v175
	v_accvgpr_write_b32 a180, v174
	;; [unrolled: 6-line block ×7, first 2 shown]
	s_waitcnt vmcnt(0)
	v_pk_mov_b32 v[188:189], v[4:5], v[4:5] op_sel:[0,1]
	buffer_load_dword v5, off, s[0:3], 0 offset:500
	buffer_load_dword v4, off, s[0:3], 0 offset:496
	ds_read_b128 v[184:187], v144 offset:1072
	ds_read_b128 v[196:199], v144 offset:1088
	;; [unrolled: 1-line block ×9, first 2 shown]
	buffer_load_dword v1, off, s[0:3], 0 offset:540
	buffer_load_dword v0, off, s[0:3], 0 offset:536
	;; [unrolled: 1-line block ×4, first 2 shown]
	ds_read_b128 v[248:251], v144 offset:1216
	buffer_load_dword v151, off, s[0:3], 0 offset:556
	buffer_load_dword v150, off, s[0:3], 0 offset:552
	buffer_load_dword v153, off, s[0:3], 0 offset:548
	buffer_load_dword v152, off, s[0:3], 0 offset:544
	buffer_load_dword v155, off, s[0:3], 0 offset:572
	buffer_load_dword v154, off, s[0:3], 0 offset:568
	buffer_load_dword v147, off, s[0:3], 0 offset:564
	buffer_load_dword v146, off, s[0:3], 0 offset:560
	ds_read_b128 v[252:255], v144 offset:1232
	ds_read_b128 v[118:121], v144 offset:1248
	;; [unrolled: 1-line block ×4, first 2 shown]
	v_accvgpr_write_b32 a184, v188
	v_accvgpr_write_b32 a185, v189
	s_waitcnt lgkmcnt(7)
	v_mul_f64 v[50:51], v[226:227], v[236:237]
	ds_read_b128 v[134:137], v144 offset:1312
	s_waitcnt lgkmcnt(1)
	v_mul_f64 v[8:9], v[62:63], v[96:97]
	v_fmac_f64_e32 v[8:9], v[64:65], v[100:101]
	v_mul_f64 v[64:65], v[64:65], v[96:97]
	s_waitcnt lgkmcnt(0)
	v_mul_f64 v[16:17], v[134:135], v[122:123]
	v_fmac_f64_e32 v[16:17], v[136:137], v[124:125]
	s_waitcnt vmcnt(12)
	v_pk_mov_b32 v[190:191], v[4:5], v[4:5] op_sel:[0,1]
	v_mul_f64 v[4:5], v[42:43], v[70:71]
	v_fmac_f64_e32 v[4:5], v[44:45], v[88:89]
	v_add_f64 v[2:3], v[2:3], v[4:5]
	v_mul_f64 v[4:5], v[184:185], v[94:95]
	v_fmac_f64_e32 v[4:5], v[186:187], v[98:99]
	v_add_f64 v[2:3], v[2:3], v[4:5]
	;; [unrolled: 3-line block ×14, first 2 shown]
	ds_read_b128 v[2:5], v144 offset:1296
	buffer_load_dword v157, off, s[0:3], 0 offset:588
	buffer_load_dword v156, off, s[0:3], 0 offset:584
	ds_read_b128 v[130:133], v144 offset:1328
	ds_read_b128 v[138:141], v144 offset:1344
	v_add_f64 v[10:11], v[6:7], v[8:9]
	s_waitcnt lgkmcnt(2)
	v_mul_f64 v[12:13], v[2:3], v[14:15]
	v_fmac_f64_e32 v[12:13], v[4:5], v[126:127]
	s_waitcnt lgkmcnt(1)
	v_mul_f64 v[172:173], v[130:131], v[128:129]
	ds_read_b128 v[126:129], v144 offset:1360
	ds_read_b128 v[122:125], v144 offset:1376
	v_add_f64 v[14:15], v[10:11], v[12:13]
	v_accvgpr_write_b32 a169, v5
	v_add_f64 v[164:165], v[14:15], v[16:17]
	v_fmac_f64_e32 v[172:173], v[132:133], v[182:183]
	s_waitcnt lgkmcnt(2)
	v_mul_f64 v[22:23], v[138:139], v[174:175]
	v_accvgpr_write_b32 a168, v4
	v_accvgpr_write_b32 a167, v3
	;; [unrolled: 1-line block ×3, first 2 shown]
	v_add_f64 v[4:5], v[164:165], v[172:173]
	v_fmac_f64_e32 v[22:23], v[140:141], v[176:177]
	v_add_f64 v[4:5], v[4:5], v[22:23]
	s_waitcnt lgkmcnt(1)
	v_mul_f64 v[22:23], v[126:127], v[188:189]
	v_fmac_f64_e32 v[22:23], v[128:129], v[190:191]
	s_waitcnt lgkmcnt(0)
	v_mul_f64 v[162:163], v[122:123], v[178:179]
	v_add_f64 v[4:5], v[4:5], v[22:23]
	ds_read_b128 v[26:29], v144 offset:1392
	v_fmac_f64_e32 v[162:163], v[124:125], v[180:181]
	v_add_f64 v[172:173], v[4:5], v[162:163]
	buffer_load_dword v163, off, s[0:3], 0 offset:580
	buffer_load_dword v162, off, s[0:3], 0 offset:576
	v_mul_f64 v[4:5], v[56:57], v[158:159]
	buffer_load_dword v158, off, s[0:3], 0 offset:616
	buffer_load_dword v22, off, s[0:3], 0 offset:608
	;; [unrolled: 1-line block ×7, first 2 shown]
	v_fma_f64 v[188:189], v[30:31], v[84:85], -v[32:33]
	s_waitcnt vmcnt(21) lgkmcnt(0)
	v_mul_f64 v[30:31], v[26:27], v[0:1]
	buffer_load_dword v23, off, s[0:3], 0 offset:612
	s_waitcnt vmcnt(20)
	v_fmac_f64_e32 v[30:31], v[28:29], v[148:149]
	v_fma_f64 v[86:87], v[54:55], v[86:87], -v[4:5]
	v_add_f64 v[54:55], v[172:173], v[30:31]
	ds_read_b128 v[30:33], v144 offset:1408
	v_fma_f64 v[84:85], v[34:35], v[170:171], -v[36:37]
	ds_read_b128 v[34:37], v144 offset:1424
	ds_read_b128 v[38:41], v144 offset:1440
	buffer_load_dword v169, off, s[0:3], 0 offset:636
	buffer_load_dword v168, off, s[0:3], 0 offset:632
	;; [unrolled: 1-line block ×16, first 2 shown]
	v_mul_f64 v[44:45], v[44:45], v[70:71]
	v_accvgpr_write_b32 a186, v190
	v_fma_f64 v[14:15], v[42:43], v[88:89], -v[44:45]
	v_mul_f64 v[42:43], v[186:187], v[94:95]
	v_accvgpr_write_b32 a187, v191
	v_fma_f64 v[94:95], v[184:185], v[98:99], -v[42:43]
	buffer_load_dword v185, off, s[0:3], 0 offset:700
	buffer_load_dword v184, off, s[0:3], 0 offset:696
	buffer_load_dword v191, off, s[0:3], 0 offset:692
	buffer_load_dword v190, off, s[0:3], 0 offset:688
	buffer_load_dword v186, off, s[0:3], 0 offset:712
	buffer_load_dword v88, off, s[0:3], 0 offset:704
	buffer_load_dword v187, off, s[0:3], 0 offset:716
	buffer_load_dword v89, off, s[0:3], 0 offset:708
	v_mul_f64 v[42:43], v[198:199], v[90:91]
	v_mul_f64 v[16:17], v[202:203], v[192:193]
	v_fma_f64 v[10:11], v[196:197], v[92:93], -v[42:43]
	v_fma_f64 v[16:17], v[200:201], v[194:195], -v[16:17]
	buffer_load_dword v193, off, s[0:3], 0 offset:748
	buffer_load_dword v195, off, s[0:3], 0 offset:732
	;; [unrolled: 1-line block ×12, first 2 shown]
	v_mul_f64 v[8:9], v[48:49], v[72:73]
	v_mul_f64 v[42:43], v[210:211], v[204:205]
	v_fma_f64 v[18:19], v[46:47], v[78:79], -v[8:9]
	v_fma_f64 v[8:9], v[208:209], v[206:207], -v[42:43]
	v_mul_f64 v[42:43], v[214:215], v[66:67]
	s_waitcnt vmcnt(54) lgkmcnt(2)
	v_mul_f64 v[56:57], v[30:31], v[150:151]
	v_fma_f64 v[6:7], v[212:213], v[68:69], -v[42:43]
	buffer_load_dword v207, off, s[0:3], 0 offset:780
	buffer_load_dword v206, off, s[0:3], 0 offset:776
	;; [unrolled: 1-line block ×12, first 2 shown]
	ds_read_b128 v[42:45], v144 offset:1456
	s_waitcnt vmcnt(62)
	v_fmac_f64_e32 v[56:57], v[32:33], v[152:153]
	v_mul_f64 v[46:47], v[222:223], v[102:103]
	v_add_f64 v[54:55], v[54:55], v[56:57]
	s_waitcnt lgkmcnt(2)
	v_mul_f64 v[56:57], v[34:35], v[154:155]
	v_fma_f64 v[4:5], v[220:221], v[104:105], -v[46:47]
	ds_read_b128 v[46:49], v144 offset:1472
	s_waitcnt vmcnt(60)
	v_fmac_f64_e32 v[56:57], v[36:37], v[146:147]
	v_add_f64 v[54:55], v[54:55], v[56:57]
	v_fma_f64 v[236:237], v[224:225], v[238:239], -v[50:51]
	ds_read_b128 v[50:53], v144 offset:1488
	ds_read_b128 v[220:223], v144 offset:1520
	v_mul_f64 v[66:67], v[242:243], v[228:229]
	ds_read_b128 v[224:227], v144 offset:1536
	v_fma_f64 v[242:243], v[240:241], v[230:231], -v[66:67]
	v_mul_f64 v[68:69], v[246:247], v[232:233]
	s_waitcnt vmcnt(58) lgkmcnt(5)
	v_mul_f64 v[12:13], v[38:39], v[156:157]
	v_fma_f64 v[2:3], v[244:245], v[234:235], -v[68:69]
	v_mul_f64 v[70:71], v[250:251], v[114:115]
	v_fma_f64 v[248:249], v[248:249], v[116:117], -v[70:71]
	ds_read_b128 v[70:73], v144 offset:1568
	v_mul_f64 v[90:91], v[120:121], v[106:107]
	v_fma_f64 v[250:251], v[118:119], v[110:111], -v[90:91]
	ds_read_b128 v[118:121], v144 offset:1616
	v_mul_f64 v[60:61], v[60:61], v[108:109]
	v_fma_f64 v[58:59], v[58:59], v[112:113], -v[60:61]
	v_accvgpr_write_b32 a193, v59
	v_accvgpr_write_b32 a192, v58
	ds_read_b128 v[58:61], v144 offset:1648
	v_add_f64 v[24:25], v[24:25], v[86:87]
	v_add_f64 v[24:25], v[24:25], v[188:189]
	;; [unrolled: 1-line block ×14, first 2 shown]
	s_waitcnt vmcnt(56)
	v_fmac_f64_e32 v[12:13], v[40:41], v[162:163]
	v_add_f64 v[12:13], v[54:55], v[12:13]
	s_waitcnt vmcnt(52) lgkmcnt(7)
	v_mul_f64 v[54:55], v[42:43], v[164:165]
	s_waitcnt vmcnt(50)
	v_fmac_f64_e32 v[54:55], v[44:45], v[166:167]
	v_add_f64 v[12:13], v[12:13], v[54:55]
	s_waitcnt vmcnt(49) lgkmcnt(6)
	v_mul_f64 v[54:55], v[46:47], v[158:159]
	s_waitcnt vmcnt(48)
	v_fmac_f64_e32 v[54:55], v[48:49], v[22:23]
	v_add_f64 v[12:13], v[12:13], v[54:55]
	v_add_f64 v[4:5], v[4:5], v[242:243]
	;; [unrolled: 1-line block ×4, first 2 shown]
	v_accvgpr_read_b32 v6, a166
	s_waitcnt vmcnt(46) lgkmcnt(5)
	v_mul_f64 v[54:55], v[50:51], v[168:169]
	v_accvgpr_read_b32 v8, a168
	s_waitcnt vmcnt(44)
	v_fmac_f64_e32 v[54:55], v[52:53], v[170:171]
	v_add_f64 v[12:13], v[12:13], v[54:55]
	ds_read_b128 v[54:57], v144 offset:1504
	v_accvgpr_read_b32 v9, a169
	v_mul_f64 v[4:5], v[8:9], v[142:143]
	v_accvgpr_read_b32 v8, a170
	v_accvgpr_read_b32 v7, a167
	s_waitcnt vmcnt(42) lgkmcnt(0)
	v_mul_f64 v[66:67], v[54:55], v[174:175]
	s_waitcnt vmcnt(40)
	v_fmac_f64_e32 v[66:67], v[56:57], v[176:177]
	v_add_f64 v[12:13], v[12:13], v[66:67]
	s_waitcnt vmcnt(36)
	v_mul_f64 v[66:67], v[220:221], v[180:181]
	s_waitcnt vmcnt(34)
	v_fmac_f64_e32 v[66:67], v[222:223], v[182:183]
	v_add_f64 v[12:13], v[12:13], v[66:67]
	v_mul_f64 v[66:67], v[224:225], v[172:173]
	s_waitcnt vmcnt(32)
	v_fmac_f64_e32 v[66:67], v[226:227], v[178:179]
	v_add_f64 v[12:13], v[12:13], v[66:67]
	ds_read_b128 v[66:69], v144 offset:1552
	s_waitcnt vmcnt(25)
	v_mul_f64 v[78:79], v[70:71], v[186:187]
	s_waitcnt vmcnt(24)
	v_fmac_f64_e32 v[78:79], v[72:73], v[88:89]
	v_accvgpr_read_b32 v9, a171
	v_fma_f64 v[4:5], v[6:7], v[8:9], -v[4:5]
	s_waitcnt lgkmcnt(0)
	v_mul_f64 v[74:75], v[66:67], v[184:185]
	v_fmac_f64_e32 v[74:75], v[68:69], v[190:191]
	v_add_f64 v[12:13], v[12:13], v[74:75]
	v_mul_f64 v[74:75], v[254:255], v[216:217]
	v_fma_f64 v[218:219], v[252:253], v[218:219], -v[74:75]
	ds_read_b128 v[74:77], v144 offset:1584
	v_add_f64 v[12:13], v[12:13], v[78:79]
	ds_read_b128 v[78:81], v144 offset:1600
	v_fma_f64 v[254:255], v[62:63], v[100:101], -v[64:65]
	ds_read_b128 v[62:65], v144 offset:1664
	s_waitcnt vmcnt(21) lgkmcnt(2)
	v_mul_f64 v[90:91], v[74:75], v[194:195]
	s_waitcnt vmcnt(19)
	v_fmac_f64_e32 v[90:91], v[76:77], v[200:201]
	v_add_f64 v[12:13], v[12:13], v[90:91]
	s_waitcnt vmcnt(18) lgkmcnt(1)
	v_mul_f64 v[90:91], v[78:79], v[192:193]
	s_waitcnt vmcnt(16)
	v_fmac_f64_e32 v[90:91], v[80:81], v[198:199]
	v_add_f64 v[12:13], v[12:13], v[90:91]
	ds_read_b128 v[90:93], v144 offset:1632
	s_waitcnt vmcnt(14)
	v_mul_f64 v[98:99], v[118:119], v[196:197]
	buffer_load_dword v229, off, s[0:3], 0 offset:828
	buffer_load_dword v228, off, s[0:3], 0 offset:824
	;; [unrolled: 1-line block ×4, first 2 shown]
	s_waitcnt vmcnt(16)
	v_fmac_f64_e32 v[98:99], v[120:121], v[202:203]
	v_add_f64 v[12:13], v[12:13], v[98:99]
	ds_read_b128 v[98:101], v144 offset:1680
	buffer_load_dword v216, off, s[0:3], 0 offset:840
	buffer_load_dword v217, off, s[0:3], 0 offset:844
	;; [unrolled: 1-line block ×4, first 2 shown]
	s_waitcnt vmcnt(18) lgkmcnt(1)
	v_mul_f64 v[96:97], v[90:91], v[206:207]
	s_waitcnt vmcnt(16)
	v_fmac_f64_e32 v[96:97], v[92:93], v[208:209]
	v_add_f64 v[12:13], v[12:13], v[96:97]
	s_waitcnt vmcnt(13)
	v_mul_f64 v[96:97], v[58:59], v[212:213]
	s_waitcnt vmcnt(11)
	v_fmac_f64_e32 v[96:97], v[60:61], v[214:215]
	ds_read_b128 v[102:105], v144 offset:1696
	v_add_f64 v[12:13], v[12:13], v[96:97]
	s_waitcnt vmcnt(9)
	v_mul_f64 v[96:97], v[62:63], v[204:205]
	s_waitcnt vmcnt(8)
	v_fmac_f64_e32 v[96:97], v[64:65], v[210:211]
	v_add_f64 v[12:13], v[12:13], v[96:97]
	v_add_f64 v[2:3], v[2:3], v[218:219]
	;; [unrolled: 1-line block ×3, first 2 shown]
	v_accvgpr_read_b32 v2, a192
	v_accvgpr_read_b32 v3, a193
	v_add_f64 v[2:3], v[218:219], v[2:3]
	v_add_f64 v[2:3], v[2:3], v[254:255]
	;; [unrolled: 1-line block ×3, first 2 shown]
	v_accvgpr_read_b32 v4, a172
	v_accvgpr_read_b32 v5, a173
	v_accvgpr_read_b32 v6, a174
	v_mul_f64 v[4:5], v[136:137], v[4:5]
	v_accvgpr_read_b32 v7, a175
	v_fma_f64 v[4:5], v[134:135], v[6:7], -v[4:5]
	v_add_f64 v[2:3], v[2:3], v[4:5]
	v_accvgpr_read_b32 v4, a176
	v_accvgpr_read_b32 v5, a177
	v_accvgpr_read_b32 v6, a178
	v_mul_f64 v[4:5], v[132:133], v[4:5]
	v_accvgpr_read_b32 v7, a179
	v_fma_f64 v[4:5], v[130:131], v[6:7], -v[4:5]
	v_add_f64 v[2:3], v[2:3], v[4:5]
	;; [unrolled: 7-line block ×5, first 2 shown]
	v_mul_f64 v[4:5], v[28:29], v[0:1]
	v_fma_f64 v[4:5], v[26:27], v[148:149], -v[4:5]
	v_add_f64 v[2:3], v[2:3], v[4:5]
	v_mul_f64 v[4:5], v[32:33], v[150:151]
	v_fma_f64 v[4:5], v[30:31], v[152:153], -v[4:5]
	v_add_f64 v[2:3], v[2:3], v[4:5]
	;; [unrolled: 3-line block ×7, first 2 shown]
	s_waitcnt vmcnt(6) lgkmcnt(1)
	v_mul_f64 v[96:97], v[98:99], v[228:229]
	v_mul_f64 v[4:5], v[56:57], v[174:175]
	s_waitcnt vmcnt(4)
	v_fmac_f64_e32 v[96:97], v[100:101], v[230:231]
	v_add_f64 v[12:13], v[12:13], v[96:97]
	s_waitcnt vmcnt(2) lgkmcnt(0)
	v_mul_f64 v[96:97], v[102:103], v[216:217]
	v_fma_f64 v[4:5], v[54:55], v[176:177], -v[4:5]
	s_waitcnt vmcnt(0)
	v_fmac_f64_e32 v[96:97], v[104:105], v[232:233]
	v_add_f64 v[96:97], v[12:13], v[96:97]
	buffer_load_dword v235, off, s[0:3], 0 offset:860
	buffer_load_dword v234, off, s[0:3], 0 offset:856
	;; [unrolled: 1-line block ×4, first 2 shown]
	ds_read_b128 v[106:109], v144 offset:1712
	buffer_load_dword v238, off, s[0:3], 0 offset:872
	buffer_load_dword v239, off, s[0:3], 0 offset:876
	;; [unrolled: 1-line block ×4, first 2 shown]
	v_add_f64 v[2:3], v[2:3], v[4:5]
	v_mul_f64 v[4:5], v[222:223], v[180:181]
	v_fma_f64 v[4:5], v[220:221], v[182:183], -v[4:5]
	v_add_f64 v[2:3], v[2:3], v[4:5]
	v_mul_f64 v[4:5], v[226:227], v[172:173]
	v_fma_f64 v[4:5], v[224:225], v[178:179], -v[4:5]
	;; [unrolled: 3-line block ×12, first 2 shown]
	v_add_f64 v[2:3], v[2:3], v[4:5]
	v_accvgpr_read_b32 v0, a164
	v_cmp_lt_u32_e32 vcc, 1, v0
	s_waitcnt vmcnt(6) lgkmcnt(0)
	v_mul_f64 v[110:111], v[106:107], v[234:235]
	v_mul_f64 v[4:5], v[108:109], v[234:235]
	s_waitcnt vmcnt(4)
	v_fmac_f64_e32 v[110:111], v[108:109], v[12:13]
	v_add_f64 v[96:97], v[96:97], v[110:111]
	ds_read_b128 v[110:113], v144 offset:1728
	buffer_load_dword v245, off, s[0:3], 0 offset:892
	buffer_load_dword v244, off, s[0:3], 0 offset:888
	buffer_load_dword v247, off, s[0:3], 0 offset:884
	buffer_load_dword v246, off, s[0:3], 0 offset:880
	v_fma_f64 v[4:5], v[106:107], v[12:13], -v[4:5]
	v_add_f64 v[2:3], v[2:3], v[4:5]
	s_waitcnt vmcnt(6) lgkmcnt(0)
	v_mul_f64 v[114:115], v[110:111], v[238:239]
	s_waitcnt vmcnt(4)
	v_fmac_f64_e32 v[114:115], v[112:113], v[240:241]
	v_add_f64 v[96:97], v[96:97], v[114:115]
	ds_read_b128 v[114:117], v144 offset:1744
	buffer_load_dword v250, off, s[0:3], 0 offset:48
	buffer_load_dword v251, off, s[0:3], 0 offset:52
	;; [unrolled: 1-line block ×4, first 2 shown]
	v_mul_f64 v[4:5], v[112:113], v[238:239]
	v_fma_f64 v[4:5], v[110:111], v[240:241], -v[4:5]
	v_add_f64 v[2:3], v[2:3], v[4:5]
	s_waitcnt vmcnt(6) lgkmcnt(0)
	v_mul_f64 v[4:5], v[116:117], v[244:245]
	v_mul_f64 v[252:253], v[114:115], v[244:245]
	s_waitcnt vmcnt(4)
	v_fma_f64 v[4:5], v[114:115], v[246:247], -v[4:5]
	v_fmac_f64_e32 v[252:253], v[116:117], v[246:247]
	v_add_f64 v[2:3], v[2:3], v[4:5]
	v_add_f64 v[96:97], v[96:97], v[252:253]
	s_waitcnt vmcnt(2)
	v_add_f64 v[2:3], v[250:251], -v[2:3]
	s_waitcnt vmcnt(0)
	v_add_f64 v[4:5], v[248:249], -v[96:97]
	buffer_store_dword v3, off, s[0:3], 0 offset:52
	buffer_store_dword v2, off, s[0:3], 0 offset:48
	;; [unrolled: 1-line block ×4, first 2 shown]
	s_and_saveexec_b64 s[4:5], vcc
	s_cbranch_execz .LBB118_341
; %bb.340:
	v_accvgpr_read_b32 v0, a163
	buffer_load_dword v2, v0, s[0:3], 0 offen
	buffer_load_dword v3, v0, s[0:3], 0 offen offset:4
	buffer_load_dword v4, v0, s[0:3], 0 offen offset:8
	;; [unrolled: 1-line block ×3, first 2 shown]
	v_mov_b32_e32 v0, 0
	v_accvgpr_read_b32 v1, a165
	buffer_store_dword v0, off, s[0:3], 0 offset:32
	buffer_store_dword v0, off, s[0:3], 0 offset:36
	;; [unrolled: 1-line block ×4, first 2 shown]
	s_waitcnt vmcnt(4)
	ds_write_b128 v1, v[2:5]
.LBB118_341:
	s_or_b64 exec, exec, s[4:5]
	s_waitcnt lgkmcnt(0)
	; wave barrier
	s_waitcnt lgkmcnt(0)
	buffer_load_dword v136, off, s[0:3], 0 offset:48
	buffer_load_dword v137, off, s[0:3], 0 offset:52
	;; [unrolled: 1-line block ×36, first 2 shown]
	v_mov_b32_e32 v232, 0
	buffer_load_dword v55, off, s[0:3], 0 offset:220
	buffer_load_dword v54, off, s[0:3], 0 offset:216
	;; [unrolled: 1-line block ×18, first 2 shown]
	ds_read_b128 v[22:25], v232 offset:912
	ds_read_b128 v[110:113], v232 offset:928
	ds_read_b128 v[114:117], v232 offset:944
	ds_read_b128 v[148:151], v232 offset:960
	ds_read_b128 v[152:155], v232 offset:976
	ds_read_b128 v[156:159], v232 offset:992
	ds_read_b128 v[160:163], v232 offset:1008
	ds_read_b128 v[164:167], v232 offset:1024
	ds_read_b128 v[168:171], v232 offset:1040
	s_waitcnt vmcnt(50) lgkmcnt(8)
	v_mul_f64 v[2:3], v[22:23], v[16:17]
	v_fmac_f64_e32 v[2:3], v[24:25], v[136:137]
	v_add_f64 v[2:3], v[2:3], 0
	v_mul_f64 v[16:17], v[24:25], v[16:17]
	s_waitcnt vmcnt(46) lgkmcnt(7)
	v_mul_f64 v[4:5], v[110:111], v[20:21]
	v_fmac_f64_e32 v[4:5], v[112:113], v[142:143]
	s_waitcnt vmcnt(44) lgkmcnt(6)
	v_mul_f64 v[6:7], v[114:115], v[26:27]
	v_add_f64 v[2:3], v[2:3], v[4:5]
	s_waitcnt vmcnt(42) lgkmcnt(4)
	v_mul_f64 v[10:11], v[152:153], v[30:31]
	v_mul_f64 v[20:21], v[112:113], v[20:21]
	s_waitcnt vmcnt(40)
	v_fmac_f64_e32 v[10:11], v[154:155], v[32:33]
	v_mul_f64 v[26:27], v[116:117], v[26:27]
	s_waitcnt vmcnt(38)
	v_mul_f64 v[8:9], v[148:149], v[28:29]
	v_mul_f64 v[28:29], v[150:151], v[28:29]
	s_waitcnt vmcnt(36) lgkmcnt(2)
	v_mul_f64 v[68:69], v[160:161], v[44:45]
	v_mul_f64 v[30:31], v[154:155], v[30:31]
	s_waitcnt vmcnt(34)
	v_fmac_f64_e32 v[68:69], v[162:163], v[46:47]
	v_mul_f64 v[44:45], v[162:163], v[44:45]
	s_waitcnt vmcnt(32)
	v_mul_f64 v[12:13], v[156:157], v[34:35]
	v_mul_f64 v[34:35], v[158:159], v[34:35]
	s_waitcnt vmcnt(30) lgkmcnt(1)
	v_mul_f64 v[118:119], v[164:165], v[42:43]
	s_waitcnt vmcnt(28)
	v_fmac_f64_e32 v[6:7], v[116:117], v[40:41]
	v_add_f64 v[2:3], v[2:3], v[6:7]
	s_waitcnt vmcnt(26)
	v_fmac_f64_e32 v[8:9], v[150:151], v[38:39]
	v_add_f64 v[2:3], v[2:3], v[8:9]
	;; [unrolled: 3-line block ×3, first 2 shown]
	v_add_f64 v[2:3], v[2:3], v[12:13]
	v_add_f64 v[2:3], v[2:3], v[68:69]
	buffer_load_dword v109, off, s[0:3], 0 offset:276
	buffer_load_dword v108, off, s[0:3], 0 offset:272
	;; [unrolled: 1-line block ×40, first 2 shown]
	s_waitcnt vmcnt(62)
	v_fmac_f64_e32 v[118:119], v[166:167], v[50:51]
	v_add_f64 v[2:3], v[2:3], v[118:119]
	v_fma_f64 v[112:113], v[114:115], v[40:41], -v[26:27]
	v_fma_f64 v[116:117], v[156:157], v[36:37], -v[34:35]
	;; [unrolled: 1-line block ×4, first 2 shown]
	s_waitcnt vmcnt(0)
	v_pk_mov_b32 v[6:7], v[0:1], v[0:1] op_sel:[0,1]
	buffer_load_dword v1, off, s[0:3], 0 offset:436
	buffer_load_dword v0, off, s[0:3], 0 offset:432
	v_pk_mov_b32 v[238:239], v[6:7], v[6:7] op_sel:[0,1]
	s_waitcnt vmcnt(0)
	v_pk_mov_b32 v[8:9], v[0:1], v[0:1] op_sel:[0,1]
	buffer_load_dword v91, off, s[0:3], 0 offset:428
	buffer_load_dword v90, off, s[0:3], 0 offset:424
	buffer_load_dword v93, off, s[0:3], 0 offset:420
	buffer_load_dword v92, off, s[0:3], 0 offset:416
	buffer_load_dword v1, off, s[0:3], 0 offset:476
	buffer_load_dword v0, off, s[0:3], 0 offset:472
	v_accvgpr_write_b32 a175, v9
	v_accvgpr_write_b32 a174, v8
	s_waitcnt vmcnt(0)
	v_pk_mov_b32 v[120:121], v[0:1], v[0:1] op_sel:[0,1]
	buffer_load_dword v1, off, s[0:3], 0 offset:468
	buffer_load_dword v0, off, s[0:3], 0 offset:464
	v_accvgpr_write_b32 a181, v121
	v_accvgpr_write_b32 a180, v120
	s_waitcnt vmcnt(0)
	v_pk_mov_b32 v[122:123], v[0:1], v[0:1] op_sel:[0,1]
	buffer_load_dword v1, off, s[0:3], 0 offset:460
	buffer_load_dword v0, off, s[0:3], 0 offset:456
	;; [unrolled: 6-line block ×5, first 2 shown]
	buffer_load_dword v5, off, s[0:3], 0 offset:492
	buffer_load_dword v4, off, s[0:3], 0 offset:488
	v_accvgpr_write_b32 a189, v125
	v_accvgpr_write_b32 a188, v124
	s_waitcnt vmcnt(2)
	v_accvgpr_write_b32 a191, v1
	v_accvgpr_write_b32 a190, v0
	s_waitcnt vmcnt(0)
	v_pk_mov_b32 v[130:131], v[4:5], v[4:5] op_sel:[0,1]
	buffer_load_dword v5, off, s[0:3], 0 offset:484
	buffer_load_dword v4, off, s[0:3], 0 offset:480
	ds_read_b128 v[172:175], v232 offset:1056
	ds_read_b128 v[176:179], v232 offset:1072
	;; [unrolled: 1-line block ×9, first 2 shown]
	buffer_load_dword v11, off, s[0:3], 0 offset:524
	buffer_load_dword v10, off, s[0:3], 0 offset:520
	v_accvgpr_write_b32 a185, v131
	v_accvgpr_write_b32 a184, v130
	s_waitcnt lgkmcnt(2)
	v_mul_f64 v[46:47], v[198:199], v[104:105]
	s_waitcnt vmcnt(2)
	v_pk_mov_b32 v[140:141], v[4:5], v[4:5] op_sel:[0,1]
	v_mul_f64 v[4:5], v[168:169], v[48:49]
	v_fmac_f64_e32 v[4:5], v[170:171], v[52:53]
	v_add_f64 v[2:3], v[2:3], v[4:5]
	v_mul_f64 v[4:5], v[172:173], v[58:59]
	v_fmac_f64_e32 v[4:5], v[174:175], v[60:61]
	v_add_f64 v[2:3], v[2:3], v[4:5]
	v_mul_f64 v[4:5], v[176:177], v[54:55]
	v_fmac_f64_e32 v[4:5], v[178:179], v[56:57]
	v_add_f64 v[2:3], v[2:3], v[4:5]
	s_waitcnt vmcnt(0)
	v_pk_mov_b32 v[230:231], v[10:11], v[10:11] op_sel:[0,1]
	buffer_load_dword v11, off, s[0:3], 0 offset:516
	buffer_load_dword v10, off, s[0:3], 0 offset:512
	ds_read_b128 v[208:211], v232 offset:1200
	buffer_load_dword v19, off, s[0:3], 0 offset:540
	buffer_load_dword v18, off, s[0:3], 0 offset:536
	;; [unrolled: 1-line block ×12, first 2 shown]
	v_mul_f64 v[4:5], v[180:181], v[96:97]
	v_fmac_f64_e32 v[4:5], v[182:183], v[98:99]
	v_add_f64 v[2:3], v[2:3], v[4:5]
	v_mul_f64 v[4:5], v[184:185], v[64:65]
	v_fmac_f64_e32 v[4:5], v[186:187], v[66:67]
	v_add_f64 v[2:3], v[2:3], v[4:5]
	;; [unrolled: 3-line block ×5, first 2 shown]
	s_waitcnt lgkmcnt(2)
	v_mul_f64 v[4:5], v[200:201], v[84:85]
	v_fmac_f64_e32 v[4:5], v[202:203], v[94:95]
	ds_read_b128 v[212:215], v232 offset:1216
	ds_read_b128 v[220:223], v232 offset:1232
	v_add_f64 v[2:3], v[2:3], v[4:5]
	s_waitcnt lgkmcnt(3)
	v_mul_f64 v[4:5], v[204:205], v[100:101]
	v_fmac_f64_e32 v[4:5], v[206:207], v[102:103]
	v_add_f64 v[2:3], v[2:3], v[4:5]
	s_waitcnt lgkmcnt(2)
	v_mul_f64 v[4:5], v[208:209], v[68:69]
	v_fmac_f64_e32 v[4:5], v[210:211], v[70:71]
	ds_read_b128 v[224:227], v232 offset:1248
	ds_read_b128 v[246:249], v232 offset:1264
	v_add_f64 v[2:3], v[2:3], v[4:5]
	s_waitcnt lgkmcnt(3)
	v_mul_f64 v[4:5], v[212:213], v[72:73]
	v_fmac_f64_e32 v[4:5], v[214:215], v[82:83]
	v_add_f64 v[2:3], v[2:3], v[4:5]
	s_waitcnt lgkmcnt(2)
	v_mul_f64 v[4:5], v[220:221], v[74:75]
	v_fmac_f64_e32 v[4:5], v[222:223], v[76:77]
	;; [unrolled: 4-line block ×3, first 2 shown]
	v_add_f64 v[2:3], v[2:3], v[4:5]
	ds_read_b128 v[250:253], v232 offset:1280
	s_waitcnt lgkmcnt(1)
	v_mul_f64 v[4:5], v[246:247], v[86:87]
	v_fmac_f64_e32 v[4:5], v[248:249], v[88:89]
	ds_read_b128 v[132:135], v232 offset:1312
	ds_read_b128 v[234:237], v232 offset:1328
	v_accvgpr_write_b32 a187, v141
	v_accvgpr_write_b32 a186, v140
	v_fma_f64 v[198:199], v[196:197], v[106:107], -v[46:47]
	s_waitcnt lgkmcnt(1)
	v_accvgpr_write_b32 a173, v135
	v_accvgpr_write_b32 a172, v134
	;; [unrolled: 1-line block ×4, first 2 shown]
	v_mul_f64 v[78:79], v[226:227], v[78:79]
	v_accvgpr_write_b32 a192, v230
	v_accvgpr_write_b32 a193, v231
	s_waitcnt vmcnt(10)
	v_accvgpr_write_b32 a197, v19
	v_pk_mov_b32 v[240:241], v[10:11], v[10:11] op_sel:[0,1]
	v_add_f64 v[10:11], v[2:3], v[4:5]
	ds_read_b128 v[2:5], v232 offset:1296
	v_mul_f64 v[12:13], v[250:251], v[90:91]
	v_fmac_f64_e32 v[12:13], v[252:253], v[92:93]
	v_add_f64 v[10:11], v[10:11], v[12:13]
	s_waitcnt vmcnt(2)
	v_accvgpr_write_b32 a199, v15
	s_waitcnt lgkmcnt(0)
	v_mul_f64 v[12:13], v[2:3], v[6:7]
	v_fmac_f64_e32 v[12:13], v[4:5], v[8:9]
	v_add_f64 v[10:11], v[10:11], v[12:13]
	v_mul_f64 v[12:13], v[132:133], v[126:127]
	v_fmac_f64_e32 v[12:13], v[134:135], v[128:129]
	v_fma_f64 v[126:127], v[22:23], v[136:137], -v[16:17]
	v_mul_f64 v[22:23], v[234:235], v[120:121]
	v_add_f64 v[118:119], v[10:11], v[12:13]
	ds_read_b128 v[136:139], v232 offset:1344
	v_fmac_f64_e32 v[22:23], v[236:237], v[122:123]
	v_add_f64 v[22:23], v[118:119], v[22:23]
	v_fma_f64 v[118:119], v[110:111], v[142:143], -v[20:21]
	ds_read_b128 v[142:145], v232 offset:1360
	s_waitcnt lgkmcnt(1)
	v_mul_f64 v[24:25], v[136:137], v[130:131]
	v_fmac_f64_e32 v[24:25], v[138:139], v[140:141]
	v_add_f64 v[110:111], v[22:23], v[24:25]
	ds_read_b128 v[132:135], v232 offset:1376
	s_waitcnt lgkmcnt(1)
	v_mul_f64 v[26:27], v[142:143], v[124:125]
	v_fmac_f64_e32 v[26:27], v[144:145], v[0:1]
	buffer_load_dword v125, off, s[0:3], 0 offset:588
	buffer_load_dword v124, off, s[0:3], 0 offset:584
	v_add_f64 v[26:27], v[110:111], v[26:27]
	buffer_load_dword v140, off, s[0:3], 0 offset:600
	buffer_load_dword v228, off, s[0:3], 0 offset:592
	v_fma_f64 v[110:111], v[148:149], v[38:39], -v[28:29]
	buffer_load_dword v149, off, s[0:3], 0 offset:580
	buffer_load_dword v148, off, s[0:3], 0 offset:576
	buffer_load_dword v141, off, s[0:3], 0 offset:604
	ds_read_b128 v[128:131], v232 offset:1392
	ds_read_b128 v[120:123], v232 offset:1408
	s_waitcnt lgkmcnt(2)
	v_mul_f64 v[28:29], v[132:133], v[230:231]
	ds_read_b128 v[34:37], v232 offset:1424
	v_fmac_f64_e32 v[28:29], v[134:135], v[240:241]
	s_waitcnt lgkmcnt(2)
	v_mul_f64 v[40:41], v[128:129], v[18:19]
	v_add_f64 v[38:39], v[26:27], v[28:29]
	buffer_load_dword v229, off, s[0:3], 0 offset:596
	v_fmac_f64_e32 v[40:41], v[130:131], v[146:147]
	v_add_f64 v[38:39], v[38:39], v[40:41]
	s_waitcnt lgkmcnt(1)
	v_mul_f64 v[40:41], v[120:121], v[218:219]
	v_fmac_f64_e32 v[40:41], v[122:123], v[254:255]
	v_add_f64 v[38:39], v[38:39], v[40:41]
	s_waitcnt lgkmcnt(0)
	v_mul_f64 v[40:41], v[34:35], v[14:15]
	s_waitcnt vmcnt(8)
	v_fmac_f64_e32 v[40:41], v[36:37], v[244:245]
	v_add_f64 v[0:1], v[38:39], v[40:41]
	ds_read_b128 v[38:41], v232 offset:1440
	buffer_load_dword v151, off, s[0:3], 0 offset:620
	buffer_load_dword v150, off, s[0:3], 0 offset:616
	;; [unrolled: 1-line block ×9, first 2 shown]
	v_accvgpr_write_b32 a169, v5
	v_accvgpr_write_b32 a168, v4
	;; [unrolled: 1-line block ×4, first 2 shown]
	v_mul_f64 v[4:5], v[166:167], v[42:43]
	v_fma_f64 v[26:27], v[164:165], v[50:51], -v[4:5]
	buffer_load_dword v163, off, s[0:3], 0 offset:652
	buffer_load_dword v162, off, s[0:3], 0 offset:648
	;; [unrolled: 1-line block ×8, first 2 shown]
	v_mul_f64 v[42:43], v[170:171], v[48:49]
	v_fma_f64 v[24:25], v[168:169], v[52:53], -v[42:43]
	v_mul_f64 v[42:43], v[174:175], v[58:59]
	v_fma_f64 v[22:23], v[172:173], v[60:61], -v[42:43]
	buffer_load_dword v171, off, s[0:3], 0 offset:684
	buffer_load_dword v170, off, s[0:3], 0 offset:680
	;; [unrolled: 1-line block ×7, first 2 shown]
	v_mul_f64 v[42:43], v[178:179], v[54:55]
	v_fma_f64 v[20:21], v[176:177], v[56:57], -v[42:43]
	buffer_load_dword v175, off, s[0:3], 0 offset:716
	buffer_load_dword v174, off, s[0:3], 0 offset:712
	;; [unrolled: 1-line block ×4, first 2 shown]
	v_mul_f64 v[12:13], v[182:183], v[96:97]
	v_mul_f64 v[42:43], v[186:187], v[64:65]
	v_accvgpr_write_b32 a196, v18
	v_accvgpr_write_b32 a198, v14
	v_fma_f64 v[18:19], v[180:181], v[98:99], -v[12:13]
	v_fma_f64 v[14:15], v[184:185], v[66:67], -v[42:43]
	buffer_load_dword v179, off, s[0:3], 0 offset:732
	buffer_load_dword v178, off, s[0:3], 0 offset:728
	;; [unrolled: 1-line block ×8, first 2 shown]
	v_mul_f64 v[42:43], v[190:191], v[216:217]
	v_fma_f64 v[216:217], v[188:189], v[242:243], -v[42:43]
	buffer_load_dword v189, off, s[0:3], 0 offset:764
	buffer_load_dword v188, off, s[0:3], 0 offset:760
	;; [unrolled: 1-line block ×4, first 2 shown]
	v_accvgpr_write_b32 a194, v240
	v_mul_f64 v[42:43], v[194:195], v[62:63]
	v_accvgpr_write_b32 a195, v241
	v_fma_f64 v[12:13], v[192:193], v[108:109], -v[42:43]
	buffer_load_dword v186, off, s[0:3], 0 offset:792
	buffer_load_dword v241, off, s[0:3], 0 offset:780
	;; [unrolled: 1-line block ×8, first 2 shown]
	ds_read_b128 v[42:45], v232 offset:1456
	buffer_load_dword v195, off, s[0:3], 0 offset:812
	buffer_load_dword v194, off, s[0:3], 0 offset:808
	;; [unrolled: 1-line block ×4, first 2 shown]
	ds_read_b128 v[46:49], v232 offset:1472
	ds_read_b128 v[50:53], v232 offset:1488
	;; [unrolled: 1-line block ×5, first 2 shown]
	v_mul_f64 v[66:67], v[214:215], v[72:73]
	v_fma_f64 v[4:5], v[212:213], v[82:83], -v[66:67]
	v_fma_f64 v[2:3], v[224:225], v[80:81], -v[78:79]
	ds_read_b128 v[78:81], v232 offset:1600
	s_waitcnt vmcnt(58) lgkmcnt(7)
	v_mul_f64 v[16:17], v[38:39], v[124:125]
	s_waitcnt vmcnt(54)
	v_fmac_f64_e32 v[16:17], v[40:41], v[148:149]
	v_add_f64 v[0:1], v[0:1], v[16:17]
	s_waitcnt vmcnt(53) lgkmcnt(6)
	v_mul_f64 v[16:17], v[42:43], v[140:141]
	s_waitcnt vmcnt(52)
	v_fmac_f64_e32 v[16:17], v[44:45], v[228:229]
	v_add_f64 v[0:1], v[0:1], v[16:17]
	v_mul_f64 v[16:17], v[202:203], v[84:85]
	ds_read_b128 v[82:85], v232 offset:1616
	v_fma_f64 v[10:11], v[200:201], v[94:95], -v[16:17]
	s_waitcnt vmcnt(50) lgkmcnt(6)
	v_mul_f64 v[16:17], v[46:47], v[150:151]
	s_waitcnt vmcnt(48)
	v_fmac_f64_e32 v[16:17], v[48:49], v[156:157]
	v_add_f64 v[0:1], v[0:1], v[16:17]
	v_mul_f64 v[16:17], v[206:207], v[100:101]
	v_fma_f64 v[8:9], v[204:205], v[102:103], -v[16:17]
	s_waitcnt vmcnt(46) lgkmcnt(5)
	v_mul_f64 v[16:17], v[50:51], v[154:155]
	s_waitcnt vmcnt(44)
	v_fmac_f64_e32 v[16:17], v[52:53], v[158:159]
	v_add_f64 v[0:1], v[0:1], v[16:17]
	v_mul_f64 v[16:17], v[210:211], v[68:69]
	v_fma_f64 v[6:7], v[208:209], v[70:71], -v[16:17]
	s_waitcnt vmcnt(41) lgkmcnt(4)
	v_mul_f64 v[16:17], v[54:55], v[162:163]
	s_waitcnt vmcnt(39)
	v_fmac_f64_e32 v[16:17], v[56:57], v[166:167]
	ds_read_b128 v[66:69], v232 offset:1552
	v_add_f64 v[0:1], v[0:1], v[16:17]
	s_waitcnt vmcnt(38) lgkmcnt(4)
	v_mul_f64 v[16:17], v[58:59], v[152:153]
	s_waitcnt vmcnt(36)
	v_fmac_f64_e32 v[16:17], v[60:61], v[164:165]
	v_add_f64 v[0:1], v[0:1], v[16:17]
	s_waitcnt vmcnt(33) lgkmcnt(3)
	v_mul_f64 v[16:17], v[62:63], v[170:171]
	s_waitcnt vmcnt(31)
	v_fmac_f64_e32 v[16:17], v[64:65], v[172:173]
	;; [unrolled: 5-line block ×3, first 2 shown]
	ds_read_b128 v[70:73], v232 offset:1568
	v_add_f64 v[0:1], v[0:1], v[16:17]
	v_mul_f64 v[16:17], v[222:223], v[74:75]
	v_fma_f64 v[28:29], v[220:221], v[76:77], -v[16:17]
	ds_read_b128 v[74:77], v232 offset:1584
	s_waitcnt vmcnt(26) lgkmcnt(1)
	v_mul_f64 v[16:17], v[70:71], v[174:175]
	s_waitcnt vmcnt(24)
	v_fmac_f64_e32 v[16:17], v[72:73], v[176:177]
	v_add_f64 v[0:1], v[0:1], v[16:17]
	s_waitcnt vmcnt(14)
	v_mul_f64 v[94:95], v[82:83], v[188:189]
	s_waitcnt lgkmcnt(0)
	v_mul_f64 v[16:17], v[74:75], v[178:179]
	v_fmac_f64_e32 v[16:17], v[76:77], v[182:183]
	v_add_f64 v[0:1], v[0:1], v[16:17]
	v_mul_f64 v[16:17], v[78:79], v[180:181]
	v_fmac_f64_e32 v[16:17], v[80:81], v[184:185]
	v_add_f64 v[16:17], v[0:1], v[16:17]
	v_mul_f64 v[0:1], v[248:249], v[86:87]
	v_fma_f64 v[32:33], v[246:247], v[88:89], -v[0:1]
	ds_read_b128 v[86:89], v232 offset:1632
	v_mul_f64 v[0:1], v[252:253], v[90:91]
	v_fma_f64 v[0:1], v[250:251], v[92:93], -v[0:1]
	ds_read_b128 v[90:93], v232 offset:1648
	s_waitcnt vmcnt(12)
	v_fmac_f64_e32 v[94:95], v[84:85], v[242:243]
	v_add_f64 v[16:17], v[16:17], v[94:95]
	s_waitcnt vmcnt(9) lgkmcnt(1)
	v_mul_f64 v[94:95], v[86:87], v[240:241]
	s_waitcnt vmcnt(7)
	v_fmac_f64_e32 v[94:95], v[88:89], v[192:193]
	v_add_f64 v[16:17], v[16:17], v[94:95]
	s_waitcnt vmcnt(5) lgkmcnt(0)
	v_mul_f64 v[94:95], v[90:91], v[186:187]
	s_waitcnt vmcnt(4)
	v_fmac_f64_e32 v[94:95], v[92:93], v[190:191]
	v_add_f64 v[16:17], v[16:17], v[94:95]
	ds_read_b128 v[94:97], v232 offset:1664
	s_waitcnt vmcnt(2) lgkmcnt(0)
	v_mul_f64 v[98:99], v[94:95], v[194:195]
	s_waitcnt vmcnt(0)
	v_fmac_f64_e32 v[98:99], v[96:97], v[196:197]
	v_add_f64 v[102:103], v[16:17], v[98:99]
	buffer_load_dword v16, off, s[0:3], 0 offset:824
	buffer_load_dword v17, off, s[0:3], 0 offset:828
	;; [unrolled: 1-line block ×4, first 2 shown]
	ds_read_b128 v[98:101], v232 offset:1680
	buffer_load_dword v203, off, s[0:3], 0 offset:844
	buffer_load_dword v202, off, s[0:3], 0 offset:840
	;; [unrolled: 1-line block ×4, first 2 shown]
	s_waitcnt vmcnt(6) lgkmcnt(0)
	v_mul_f64 v[104:105], v[98:99], v[16:17]
	s_waitcnt vmcnt(4)
	v_fmac_f64_e32 v[104:105], v[100:101], v[200:201]
	v_add_f64 v[106:107], v[102:103], v[104:105]
	ds_read_b128 v[102:105], v232 offset:1696
	buffer_load_dword v206, off, s[0:3], 0 offset:856
	buffer_load_dword v207, off, s[0:3], 0 offset:860
	;; [unrolled: 1-line block ×4, first 2 shown]
	s_waitcnt vmcnt(6) lgkmcnt(0)
	v_mul_f64 v[108:109], v[102:103], v[202:203]
	s_waitcnt vmcnt(4)
	v_fmac_f64_e32 v[108:109], v[104:105], v[204:205]
	v_add_f64 v[210:211], v[106:107], v[108:109]
	ds_read_b128 v[106:109], v232 offset:1712
	s_waitcnt vmcnt(2) lgkmcnt(0)
	v_mul_f64 v[212:213], v[106:107], v[206:207]
	s_waitcnt vmcnt(0)
	v_fmac_f64_e32 v[212:213], v[108:109], v[208:209]
	v_add_f64 v[214:215], v[210:211], v[212:213]
	buffer_load_dword v211, off, s[0:3], 0 offset:876
	buffer_load_dword v210, off, s[0:3], 0 offset:872
	;; [unrolled: 1-line block ×4, first 2 shown]
	ds_read_b128 v[220:223], v232 offset:1728
	buffer_load_dword v246, off, s[0:3], 0 offset:888
	buffer_load_dword v247, off, s[0:3], 0 offset:892
	;; [unrolled: 1-line block ×4, first 2 shown]
	s_waitcnt vmcnt(6) lgkmcnt(0)
	v_mul_f64 v[224:225], v[220:221], v[210:211]
	s_waitcnt vmcnt(4)
	v_fmac_f64_e32 v[224:225], v[222:223], v[212:213]
	v_add_f64 v[214:215], v[214:215], v[224:225]
	ds_read_b128 v[224:227], v232 offset:1744
	buffer_load_dword v252, off, s[0:3], 0 offset:32
	buffer_load_dword v253, off, s[0:3], 0 offset:36
	;; [unrolled: 1-line block ×4, first 2 shown]
	s_waitcnt vmcnt(6) lgkmcnt(0)
	v_mul_f64 v[230:231], v[224:225], v[246:247]
	s_waitcnt vmcnt(4)
	v_fmac_f64_e32 v[230:231], v[226:227], v[248:249]
	v_add_f64 v[214:215], v[214:215], v[230:231]
	v_add_f64 v[230:231], v[126:127], 0
	;; [unrolled: 1-line block ×23, first 2 shown]
	v_accvgpr_read_b32 v4, a166
	v_add_f64 v[2:3], v[2:3], v[32:33]
	v_accvgpr_read_b32 v6, a168
	v_accvgpr_read_b32 v7, a169
	v_add_f64 v[0:1], v[2:3], v[0:1]
	v_mul_f64 v[2:3], v[6:7], v[238:239]
	v_accvgpr_read_b32 v6, a174
	v_accvgpr_read_b32 v5, a167
	;; [unrolled: 1-line block ×3, first 2 shown]
	v_fma_f64 v[2:3], v[4:5], v[6:7], -v[2:3]
	v_add_f64 v[0:1], v[0:1], v[2:3]
	v_accvgpr_read_b32 v4, a170
	v_accvgpr_read_b32 v2, a176
	;; [unrolled: 1-line block ×5, first 2 shown]
	v_mul_f64 v[2:3], v[6:7], v[2:3]
	v_accvgpr_read_b32 v6, a178
	v_accvgpr_read_b32 v5, a171
	;; [unrolled: 1-line block ×3, first 2 shown]
	v_fma_f64 v[2:3], v[4:5], v[6:7], -v[2:3]
	v_add_f64 v[0:1], v[0:1], v[2:3]
	v_accvgpr_read_b32 v2, a180
	v_accvgpr_read_b32 v3, a181
	v_accvgpr_read_b32 v4, a182
	v_mul_f64 v[2:3], v[236:237], v[2:3]
	v_accvgpr_read_b32 v5, a183
	v_fma_f64 v[2:3], v[234:235], v[4:5], -v[2:3]
	v_add_f64 v[0:1], v[0:1], v[2:3]
	v_accvgpr_read_b32 v2, a184
	v_accvgpr_read_b32 v3, a185
	v_accvgpr_read_b32 v4, a186
	v_mul_f64 v[2:3], v[138:139], v[2:3]
	v_accvgpr_read_b32 v5, a187
	;; [unrolled: 7-line block ×4, first 2 shown]
	v_fma_f64 v[2:3], v[132:133], v[4:5], -v[2:3]
	v_add_f64 v[0:1], v[0:1], v[2:3]
	v_accvgpr_read_b32 v2, a196
	v_accvgpr_read_b32 v3, a197
	v_mul_f64 v[2:3], v[130:131], v[2:3]
	v_fma_f64 v[2:3], v[128:129], v[146:147], -v[2:3]
	v_add_f64 v[0:1], v[0:1], v[2:3]
	v_mul_f64 v[2:3], v[122:123], v[218:219]
	v_fma_f64 v[2:3], v[120:121], v[254:255], -v[2:3]
	v_add_f64 v[0:1], v[0:1], v[2:3]
	v_accvgpr_read_b32 v2, a198
	v_accvgpr_read_b32 v3, a199
	v_mul_f64 v[2:3], v[36:37], v[2:3]
	v_fma_f64 v[2:3], v[34:35], v[244:245], -v[2:3]
	v_add_f64 v[0:1], v[0:1], v[2:3]
	v_mul_f64 v[2:3], v[40:41], v[124:125]
	v_fma_f64 v[2:3], v[38:39], v[148:149], -v[2:3]
	v_add_f64 v[0:1], v[0:1], v[2:3]
	;; [unrolled: 3-line block ×21, first 2 shown]
	s_waitcnt vmcnt(2)
	v_add_f64 v[0:1], v[252:253], -v[0:1]
	s_waitcnt vmcnt(0)
	v_add_f64 v[2:3], v[250:251], -v[214:215]
	buffer_store_dword v1, off, s[0:3], 0 offset:36
	buffer_store_dword v0, off, s[0:3], 0 offset:32
	;; [unrolled: 1-line block ×4, first 2 shown]
	v_accvgpr_read_b32 v0, a164
	v_cmp_ne_u32_e32 vcc, 0, v0
	s_and_saveexec_b64 s[4:5], vcc
	s_cbranch_execz .LBB118_343
; %bb.342:
	buffer_load_dword v0, off, s[0:3], 0 offset:16
	buffer_load_dword v1, off, s[0:3], 0 offset:20
	;; [unrolled: 1-line block ×4, first 2 shown]
	v_accvgpr_read_b32 v4, a165
	buffer_store_dword v232, off, s[0:3], 0 offset:16
	buffer_store_dword v232, off, s[0:3], 0 offset:20
	buffer_store_dword v232, off, s[0:3], 0 offset:24
	buffer_store_dword v232, off, s[0:3], 0 offset:28
	s_waitcnt vmcnt(4)
	ds_write_b128 v4, v[0:3]
.LBB118_343:
	s_or_b64 exec, exec, s[4:5]
	s_waitcnt lgkmcnt(0)
	; wave barrier
	s_waitcnt lgkmcnt(0)
	buffer_load_dword v224, off, s[0:3], 0 offset:32
	buffer_load_dword v225, off, s[0:3], 0 offset:36
	;; [unrolled: 1-line block ×42, first 2 shown]
	ds_read_b128 v[8:11], v232 offset:896
	ds_read_b128 v[20:23], v232 offset:912
	;; [unrolled: 1-line block ×10, first 2 shown]
	buffer_load_dword v105, off, s[0:3], 0 offset:180
	buffer_load_dword v104, off, s[0:3], 0 offset:176
	ds_read_b128 v[40:43], v232 offset:1056
	buffer_load_dword v63, off, s[0:3], 0 offset:236
	buffer_load_dword v62, off, s[0:3], 0 offset:232
	;; [unrolled: 1-line block ×6, first 2 shown]
	s_and_b64 vcc, exec, s[16:17]
	s_waitcnt vmcnt(46) lgkmcnt(10)
	v_mul_f64 v[0:1], v[8:9], v[6:7]
	v_fmac_f64_e32 v[0:1], v[10:11], v[224:225]
	v_add_f64 v[0:1], v[0:1], 0
	v_mul_f64 v[6:7], v[10:11], v[6:7]
	s_waitcnt vmcnt(42) lgkmcnt(9)
	v_mul_f64 v[2:3], v[20:21], v[14:15]
	v_fmac_f64_e32 v[2:3], v[22:23], v[242:243]
	s_waitcnt vmcnt(40) lgkmcnt(8)
	v_mul_f64 v[64:65], v[106:107], v[16:17]
	v_add_f64 v[0:1], v[0:1], v[2:3]
	s_waitcnt vmcnt(38) lgkmcnt(6)
	v_mul_f64 v[68:69], v[128:129], v[28:29]
	v_fma_f64 v[224:225], v[8:9], v[224:225], -v[6:7]
	s_waitcnt vmcnt(36)
	v_fmac_f64_e32 v[68:69], v[130:131], v[30:31]
	v_mul_f64 v[14:15], v[22:23], v[14:15]
	s_waitcnt vmcnt(34)
	v_mul_f64 v[66:67], v[110:111], v[24:25]
	v_mul_f64 v[24:25], v[112:113], v[24:25]
	s_waitcnt vmcnt(32) lgkmcnt(4)
	v_mul_f64 v[74:75], v[136:137], v[44:45]
	v_mul_f64 v[16:17], v[108:109], v[16:17]
	s_waitcnt vmcnt(30)
	v_fmac_f64_e32 v[74:75], v[138:139], v[46:47]
	v_mul_f64 v[28:29], v[130:131], v[28:29]
	s_waitcnt vmcnt(28)
	v_mul_f64 v[72:73], v[132:133], v[32:33]
	v_mul_f64 v[32:33], v[134:135], v[32:33]
	s_waitcnt vmcnt(26) lgkmcnt(2)
	v_mul_f64 v[78:79], v[144:145], v[48:49]
	s_waitcnt vmcnt(23)
	v_mul_f64 v[76:77], v[140:141], v[54:55]
	s_waitcnt vmcnt(21) lgkmcnt(1)
	v_mul_f64 v[114:115], v[36:37], v[52:53]
	s_waitcnt vmcnt(19)
	v_fmac_f64_e32 v[64:65], v[108:109], v[234:235]
	v_add_f64 v[0:1], v[0:1], v[64:65]
	s_waitcnt vmcnt(17)
	v_fmac_f64_e32 v[66:67], v[112:113], v[26:27]
	v_add_f64 v[0:1], v[0:1], v[66:67]
	;; [unrolled: 3-line block ×3, first 2 shown]
	v_add_f64 v[0:1], v[0:1], v[72:73]
	s_waitcnt vmcnt(13)
	v_fmac_f64_e32 v[76:77], v[142:143], v[56:57]
	v_add_f64 v[0:1], v[0:1], v[74:75]
	s_waitcnt vmcnt(12)
	v_fmac_f64_e32 v[78:79], v[146:147], v[50:51]
	v_add_f64 v[0:1], v[0:1], v[76:77]
	v_add_f64 v[0:1], v[0:1], v[78:79]
	buffer_load_dword v119, off, s[0:3], 0 offset:212
	buffer_load_dword v118, off, s[0:3], 0 offset:208
	;; [unrolled: 1-line block ×52, first 2 shown]
	s_waitcnt vmcnt(58)
	v_fmac_f64_e32 v[114:115], v[38:39], v[104:105]
	v_add_f64 v[0:1], v[0:1], v[114:115]
	s_waitcnt vmcnt(0)
	v_pk_mov_b32 v[116:117], v[2:3], v[2:3] op_sel:[0,1]
	buffer_load_dword v3, off, s[0:3], 0 offset:452
	buffer_load_dword v2, off, s[0:3], 0 offset:448
	v_accvgpr_write_b32 a199, v117
	v_accvgpr_write_b32 a198, v116
	s_waitcnt vmcnt(0)
	v_pk_mov_b32 v[120:121], v[2:3], v[2:3] op_sel:[0,1]
	buffer_load_dword v3, off, s[0:3], 0 offset:444
	buffer_load_dword v2, off, s[0:3], 0 offset:440
	v_accvgpr_write_b32 a173, v121
	v_accvgpr_write_b32 a172, v120
	;; [unrolled: 6-line block ×9, first 2 shown]
	s_waitcnt vmcnt(0)
	v_pk_mov_b32 v[156:157], v[2:3], v[2:3] op_sel:[0,1]
	buffer_load_dword v3, off, s[0:3], 0 offset:508
	buffer_load_dword v2, off, s[0:3], 0 offset:504
	;; [unrolled: 1-line block ×4, first 2 shown]
	ds_read_b128 v[150:153], v232 offset:1072
	ds_read_b128 v[158:161], v232 offset:1088
	;; [unrolled: 1-line block ×8, first 2 shown]
	buffer_load_dword v5, off, s[0:3], 0 offset:540
	buffer_load_dword v4, off, s[0:3], 0 offset:536
	;; [unrolled: 1-line block ×4, first 2 shown]
	ds_read_b128 v[194:197], v232 offset:1200
	buffer_load_dword v218, off, s[0:3], 0 offset:552
	buffer_load_dword v219, off, s[0:3], 0 offset:556
	;; [unrolled: 1-line block ×4, first 2 shown]
	ds_read_b128 v[198:201], v232 offset:1216
	ds_read_b128 v[202:205], v232 offset:1232
	;; [unrolled: 1-line block ×3, first 2 shown]
	buffer_load_dword v239, off, s[0:3], 0 offset:572
	buffer_load_dword v238, off, s[0:3], 0 offset:568
	;; [unrolled: 1-line block ×4, first 2 shown]
	ds_read_b128 v[210:213], v232 offset:1264
	ds_read_b128 v[214:217], v232 offset:1280
	v_accvgpr_write_b32 a193, v157
	v_accvgpr_write_b32 a192, v156
	ds_read_b128 v[246:249], v232 offset:1312
	ds_read_b128 v[250:253], v232 offset:1344
	s_waitcnt lgkmcnt(2)
	v_mul_f64 v[126:127], v[214:215], v[88:89]
	v_fmac_f64_e32 v[126:127], v[216:217], v[90:91]
	v_mul_f64 v[88:89], v[216:217], v[88:89]
	s_waitcnt lgkmcnt(1)
	v_accvgpr_write_b32 a168, v246
	v_accvgpr_write_b32 a169, v247
	;; [unrolled: 1-line block ×4, first 2 shown]
	v_fma_f64 v[214:215], v[214:215], v[90:91], -v[88:89]
	s_waitcnt vmcnt(14)
	v_pk_mov_b32 v[236:237], v[2:3], v[2:3] op_sel:[0,1]
	v_mul_f64 v[2:3], v[40:41], v[58:59]
	v_fmac_f64_e32 v[2:3], v[42:43], v[60:61]
	v_add_f64 v[0:1], v[0:1], v[2:3]
	v_mul_f64 v[2:3], v[150:151], v[102:103]
	v_fmac_f64_e32 v[2:3], v[152:153], v[118:119]
	v_add_f64 v[0:1], v[0:1], v[2:3]
	;; [unrolled: 3-line block ×14, first 2 shown]
	ds_read_b128 v[0:3], v232 offset:1296
	v_add_f64 v[8:9], v[114:115], v[126:127]
	v_accvgpr_write_b32 a186, v236
	v_accvgpr_write_b32 a187, v237
	s_waitcnt vmcnt(8)
	v_accvgpr_write_b32 a197, v19
	s_waitcnt lgkmcnt(0)
	v_mul_f64 v[10:11], v[0:1], v[148:149]
	v_fmac_f64_e32 v[10:11], v[2:3], v[226:227]
	v_add_f64 v[8:9], v[8:9], v[10:11]
	v_mul_f64 v[10:11], v[246:247], v[116:117]
	v_fmac_f64_e32 v[10:11], v[248:249], v[120:121]
	ds_read_b128 v[246:249], v232 offset:1328
	v_fma_f64 v[226:227], v[20:21], v[242:243], -v[14:15]
	ds_read_b128 v[242:245], v232 offset:1360
	v_accvgpr_write_b32 a167, v3
	v_add_f64 v[114:115], v[8:9], v[10:11]
	s_waitcnt lgkmcnt(1)
	v_mul_f64 v[20:21], v[246:247], v[228:229]
	v_fmac_f64_e32 v[20:21], v[248:249], v[230:231]
	ds_read_b128 v[228:231], v232 offset:1376
	v_accvgpr_write_b32 a166, v2
	v_accvgpr_write_b32 a165, v1
	;; [unrolled: 1-line block ×3, first 2 shown]
	v_add_f64 v[2:3], v[114:115], v[20:21]
	v_mul_f64 v[20:21], v[250:251], v[122:123]
	v_fmac_f64_e32 v[20:21], v[252:253], v[124:125]
	v_add_f64 v[2:3], v[2:3], v[20:21]
	s_waitcnt lgkmcnt(1)
	v_mul_f64 v[20:21], v[242:243], v[236:237]
	buffer_load_dword v237, off, s[0:3], 0 offset:588
	buffer_load_dword v236, off, s[0:3], 0 offset:584
	ds_read_b128 v[124:127], v232 offset:1392
	ds_read_b128 v[120:123], v232 offset:1408
	v_fmac_f64_e32 v[20:21], v[244:245], v[12:13]
	v_fma_f64 v[148:149], v[110:111], v[26:27], -v[24:25]
	s_waitcnt lgkmcnt(2)
	v_mul_f64 v[24:25], v[228:229], v[154:155]
	v_fma_f64 v[116:117], v[106:107], v[234:235], -v[16:17]
	v_add_f64 v[2:3], v[2:3], v[20:21]
	v_fmac_f64_e32 v[24:25], v[230:231], v[156:157]
	s_waitcnt lgkmcnt(1)
	v_mul_f64 v[106:107], v[124:125], v[4:5]
	v_add_f64 v[2:3], v[2:3], v[24:25]
	v_fmac_f64_e32 v[106:107], v[126:127], v[18:19]
	v_add_f64 v[2:3], v[2:3], v[106:107]
	v_fma_f64 v[106:107], v[132:133], v[34:35], -v[32:33]
	ds_read_b128 v[32:35], v232 offset:1424
	buffer_load_dword v131, off, s[0:3], 0 offset:580
	buffer_load_dword v130, off, s[0:3], 0 offset:576
	s_waitcnt vmcnt(10) lgkmcnt(1)
	v_mul_f64 v[108:109], v[120:121], v[218:219]
	s_waitcnt vmcnt(8)
	v_fmac_f64_e32 v[108:109], v[122:123], v[240:241]
	v_add_f64 v[108:109], v[2:3], v[108:109]
	v_mul_f64 v[2:3], v[138:139], v[44:45]
	v_fma_f64 v[154:155], v[128:129], v[30:31], -v[28:29]
	buffer_load_dword v128, off, s[0:3], 0 offset:616
	v_fma_f64 v[28:29], v[136:137], v[46:47], -v[2:3]
	buffer_load_dword v132, off, s[0:3], 0 offset:608
	buffer_load_dword v135, off, s[0:3], 0 offset:604
	;; [unrolled: 1-line block ×7, first 2 shown]
	v_mul_f64 v[44:45], v[142:143], v[54:55]
	v_fma_f64 v[26:27], v[140:141], v[56:57], -v[44:45]
	v_mul_f64 v[44:45], v[146:147], v[48:49]
	buffer_load_dword v138, off, s[0:3], 0 offset:648
	v_fma_f64 v[24:25], v[144:145], v[50:51], -v[44:45]
	buffer_load_dword v143, off, s[0:3], 0 offset:636
	buffer_load_dword v142, off, s[0:3], 0 offset:632
	;; [unrolled: 1-line block ×7, first 2 shown]
	v_mul_f64 v[10:11], v[38:39], v[52:53]
	v_fma_f64 v[22:23], v[36:37], v[104:105], -v[10:11]
	ds_read_b128 v[36:39], v232 offset:1440
	buffer_load_dword v147, off, s[0:3], 0 offset:668
	buffer_load_dword v146, off, s[0:3], 0 offset:664
	;; [unrolled: 1-line block ×4, first 2 shown]
	v_mul_f64 v[14:15], v[152:153], v[102:103]
	v_fma_f64 v[16:17], v[150:151], v[118:119], -v[14:15]
	buffer_load_dword v151, off, s[0:3], 0 offset:684
	buffer_load_dword v150, off, s[0:3], 0 offset:680
	;; [unrolled: 1-line block ×8, first 2 shown]
	v_mul_f64 v[42:43], v[42:43], v[58:59]
	v_mul_f64 v[44:45], v[160:161], v[62:63]
	buffer_load_dword v160, off, s[0:3], 0 offset:712
	v_accvgpr_write_b32 a196, v18
	v_fma_f64 v[20:21], v[40:41], v[60:61], -v[42:43]
	ds_read_b128 v[40:43], v232 offset:1456
	v_mul_f64 v[18:19], v[166:167], v[162:163]
	buffer_load_dword v162, off, s[0:3], 0 offset:704
	buffer_load_dword v161, off, s[0:3], 0 offset:716
	;; [unrolled: 1-line block ×3, first 2 shown]
	v_fma_f64 v[14:15], v[158:159], v[70:71], -v[44:45]
	v_fma_f64 v[18:19], v[164:165], v[168:169], -v[18:19]
	buffer_load_dword v158, off, s[0:3], 0 offset:744
	buffer_load_dword v167, off, s[0:3], 0 offset:732
	;; [unrolled: 1-line block ×8, first 2 shown]
	v_accvgpr_write_b32 a189, v13
	v_mul_f64 v[46:47], v[172:173], v[178:179]
	v_accvgpr_write_b32 a188, v12
	v_fma_f64 v[12:13], v[170:171], v[180:181], -v[46:47]
	buffer_load_dword v171, off, s[0:3], 0 offset:764
	buffer_load_dword v170, off, s[0:3], 0 offset:760
	;; [unrolled: 1-line block ×4, first 2 shown]
	v_mul_f64 v[46:47], v[176:177], v[220:221]
	v_fma_f64 v[10:11], v[174:175], v[222:223], -v[46:47]
	buffer_load_dword v175, off, s[0:3], 0 offset:780
	buffer_load_dword v174, off, s[0:3], 0 offset:776
	;; [unrolled: 1-line block ×8, first 2 shown]
	s_waitcnt vmcnt(58) lgkmcnt(2)
	v_mul_f64 v[6:7], v[32:33], v[238:239]
	s_waitcnt vmcnt(56)
	v_fmac_f64_e32 v[6:7], v[34:35], v[254:255]
	v_add_f64 v[6:7], v[108:109], v[6:7]
	v_mul_f64 v[48:49], v[188:189], v[98:99]
	v_fma_f64 v[186:187], v[186:187], v[100:101], -v[48:49]
	v_accvgpr_write_b32 a195, v5
	v_mul_f64 v[52:53], v[192:193], v[68:69]
	v_accvgpr_write_b32 a194, v4
	v_fma_f64 v[4:5], v[190:191], v[82:83], -v[52:53]
	v_mul_f64 v[60:61], v[196:197], v[80:81]
	v_fma_f64 v[2:3], v[194:195], v[92:93], -v[60:61]
	v_mul_f64 v[64:65], v[200:201], v[64:65]
	;; [unrolled: 2-line block ×4, first 2 shown]
	v_fma_f64 v[212:213], v[210:211], v[86:87], -v[84:85]
	s_waitcnt vmcnt(54) lgkmcnt(1)
	v_mul_f64 v[44:45], v[36:37], v[236:237]
	s_waitcnt vmcnt(52)
	v_fmac_f64_e32 v[44:45], v[38:39], v[130:131]
	v_add_f64 v[6:7], v[6:7], v[44:45]
	v_mul_f64 v[44:45], v[184:185], v[94:95]
	v_fma_f64 v[8:9], v[182:183], v[96:97], -v[44:45]
	buffer_load_dword v182, off, s[0:3], 0 offset:808
	buffer_load_dword v184, off, s[0:3], 0 offset:800
	;; [unrolled: 1-line block ×4, first 2 shown]
	s_waitcnt vmcnt(52) lgkmcnt(0)
	v_mul_f64 v[44:45], v[40:41], v[134:135]
	s_waitcnt vmcnt(50)
	v_fmac_f64_e32 v[44:45], v[42:43], v[136:137]
	v_add_f64 v[6:7], v[6:7], v[44:45]
	ds_read_b128 v[44:47], v232 offset:1472
	ds_read_b128 v[48:51], v232 offset:1488
	;; [unrolled: 1-line block ×5, first 2 shown]
	s_waitcnt vmcnt(49) lgkmcnt(4)
	v_mul_f64 v[56:57], v[44:45], v[128:129]
	s_waitcnt vmcnt(48)
	v_fmac_f64_e32 v[56:57], v[46:47], v[132:133]
	v_add_f64 v[6:7], v[6:7], v[56:57]
	s_waitcnt vmcnt(45) lgkmcnt(3)
	v_mul_f64 v[56:57], v[48:49], v[142:143]
	s_waitcnt vmcnt(43)
	v_fmac_f64_e32 v[56:57], v[50:51], v[144:145]
	v_add_f64 v[6:7], v[6:7], v[56:57]
	;; [unrolled: 5-line block ×3, first 2 shown]
	ds_read_b128 v[56:59], v232 offset:1520
	s_waitcnt vmcnt(34) lgkmcnt(2)
	v_mul_f64 v[30:31], v[60:61], v[150:151]
	s_waitcnt vmcnt(32)
	v_fmac_f64_e32 v[30:31], v[62:63], v[118:119]
	ds_read_b128 v[76:79], v232 offset:1600
	ds_read_b128 v[84:87], v232 offset:1632
	s_waitcnt lgkmcnt(2)
	v_mul_f64 v[68:69], v[56:57], v[146:147]
	v_fmac_f64_e32 v[68:69], v[58:59], v[104:105]
	v_add_f64 v[6:7], v[6:7], v[68:69]
	v_add_f64 v[6:7], v[6:7], v[30:31]
	s_waitcnt vmcnt(30)
	v_mul_f64 v[30:31], v[64:65], v[152:153]
	s_waitcnt vmcnt(28)
	v_fmac_f64_e32 v[30:31], v[66:67], v[156:157]
	ds_read_b128 v[68:71], v232 offset:1568
	v_add_f64 v[6:7], v[6:7], v[30:31]
	v_mul_f64 v[30:31], v[204:205], v[72:73]
	v_fma_f64 v[30:31], v[202:203], v[74:75], -v[30:31]
	ds_read_b128 v[72:75], v232 offset:1584
	s_waitcnt vmcnt(25) lgkmcnt(1)
	v_mul_f64 v[80:81], v[68:69], v[160:161]
	s_waitcnt vmcnt(24)
	v_fmac_f64_e32 v[80:81], v[70:71], v[162:163]
	v_add_f64 v[6:7], v[6:7], v[80:81]
	ds_read_b128 v[88:91], v232 offset:1648
	s_waitcnt vmcnt(21) lgkmcnt(1)
	v_mul_f64 v[80:81], v[72:73], v[166:167]
	s_waitcnt vmcnt(19)
	v_fmac_f64_e32 v[80:81], v[74:75], v[168:169]
	v_add_f64 v[6:7], v[6:7], v[80:81]
	s_waitcnt vmcnt(17)
	v_mul_f64 v[80:81], v[76:77], v[158:159]
	s_waitcnt vmcnt(16)
	v_fmac_f64_e32 v[80:81], v[78:79], v[164:165]
	v_add_f64 v[6:7], v[6:7], v[80:81]
	ds_read_b128 v[80:83], v232 offset:1616
	s_waitcnt vmcnt(14) lgkmcnt(0)
	v_mul_f64 v[92:93], v[80:81], v[170:171]
	s_waitcnt vmcnt(12)
	v_fmac_f64_e32 v[92:93], v[82:83], v[172:173]
	v_add_f64 v[6:7], v[6:7], v[92:93]
	s_waitcnt vmcnt(10)
	v_mul_f64 v[92:93], v[84:85], v[174:175]
	s_waitcnt vmcnt(8)
	v_fmac_f64_e32 v[92:93], v[86:87], v[178:179]
	v_add_f64 v[6:7], v[6:7], v[92:93]
	s_waitcnt vmcnt(6)
	v_mul_f64 v[92:93], v[88:89], v[176:177]
	s_waitcnt vmcnt(4)
	v_fmac_f64_e32 v[92:93], v[90:91], v[180:181]
	v_add_f64 v[6:7], v[6:7], v[92:93]
	ds_read_b128 v[92:95], v232 offset:1664
	s_waitcnt vmcnt(1) lgkmcnt(0)
	v_mul_f64 v[96:97], v[92:93], v[182:183]
	s_waitcnt vmcnt(0)
	v_fmac_f64_e32 v[96:97], v[94:95], v[184:185]
	v_add_f64 v[100:101], v[6:7], v[96:97]
	buffer_load_dword v7, off, s[0:3], 0 offset:828
	buffer_load_dword v6, off, s[0:3], 0 offset:824
	;; [unrolled: 1-line block ×4, first 2 shown]
	ds_read_b128 v[96:99], v232 offset:1680
	buffer_load_dword v190, off, s[0:3], 0 offset:840
	buffer_load_dword v191, off, s[0:3], 0 offset:844
	;; [unrolled: 1-line block ×4, first 2 shown]
	s_waitcnt vmcnt(6) lgkmcnt(0)
	v_mul_f64 v[102:103], v[96:97], v[6:7]
	s_waitcnt vmcnt(4)
	v_fmac_f64_e32 v[102:103], v[98:99], v[188:189]
	v_add_f64 v[108:109], v[100:101], v[102:103]
	ds_read_b128 v[100:103], v232 offset:1696
	buffer_load_dword v195, off, s[0:3], 0 offset:860
	buffer_load_dword v194, off, s[0:3], 0 offset:856
	;; [unrolled: 1-line block ×4, first 2 shown]
	ds_read_b128 v[220:223], v232 offset:1712
	buffer_load_dword v198, off, s[0:3], 0 offset:872
	buffer_load_dword v199, off, s[0:3], 0 offset:876
	;; [unrolled: 1-line block ×4, first 2 shown]
	s_waitcnt vmcnt(10) lgkmcnt(1)
	v_mul_f64 v[110:111], v[100:101], v[190:191]
	s_waitcnt vmcnt(8)
	v_fmac_f64_e32 v[110:111], v[102:103], v[192:193]
	v_add_f64 v[108:109], v[108:109], v[110:111]
	s_waitcnt vmcnt(6) lgkmcnt(0)
	v_mul_f64 v[110:111], v[220:221], v[194:195]
	s_waitcnt vmcnt(4)
	v_fmac_f64_e32 v[110:111], v[222:223], v[196:197]
	v_add_f64 v[112:113], v[108:109], v[110:111]
	ds_read_b128 v[108:111], v232 offset:1728
	buffer_load_dword v205, off, s[0:3], 0 offset:892
	buffer_load_dword v204, off, s[0:3], 0 offset:888
	;; [unrolled: 1-line block ×4, first 2 shown]
	s_waitcnt vmcnt(6) lgkmcnt(0)
	v_mul_f64 v[114:115], v[108:109], v[198:199]
	s_waitcnt vmcnt(4)
	v_fmac_f64_e32 v[114:115], v[110:111], v[200:201]
	v_add_f64 v[202:203], v[112:113], v[114:115]
	ds_read_b128 v[112:115], v232 offset:1744
	s_waitcnt vmcnt(2) lgkmcnt(0)
	v_mul_f64 v[210:211], v[112:113], v[204:205]
	s_waitcnt vmcnt(0)
	v_fmac_f64_e32 v[210:211], v[114:115], v[206:207]
	v_add_f64 v[202:203], v[202:203], v[210:211]
	v_add_f64 v[210:211], v[224:225], 0
	;; [unrolled: 1-line block ×23, first 2 shown]
	buffer_load_dword v210, off, s[0:3], 0 offset:16
	buffer_load_dword v211, off, s[0:3], 0 offset:20
	v_add_f64 v[216:217], v[0:1], v[208:209]
	buffer_load_dword v208, off, s[0:3], 0 offset:24
	buffer_load_dword v209, off, s[0:3], 0 offset:28
	v_accvgpr_read_b32 v8, a164
	v_accvgpr_read_b32 v2, a174
	;; [unrolled: 1-line block ×6, first 2 shown]
	v_add_f64 v[0:1], v[216:217], v[212:213]
	v_accvgpr_read_b32 v9, a165
	v_mul_f64 v[2:3], v[10:11], v[2:3]
	v_accvgpr_read_b32 v5, a177
	v_add_f64 v[0:1], v[0:1], v[214:215]
	v_fma_f64 v[2:3], v[8:9], v[4:5], -v[2:3]
	v_add_f64 v[0:1], v[0:1], v[2:3]
	v_accvgpr_read_b32 v8, a168
	v_accvgpr_read_b32 v2, a198
	v_accvgpr_read_b32 v10, a170
	v_accvgpr_read_b32 v11, a171
	v_accvgpr_read_b32 v3, a199
	v_accvgpr_read_b32 v4, a172
	v_accvgpr_read_b32 v9, a169
	v_mul_f64 v[2:3], v[10:11], v[2:3]
	v_accvgpr_read_b32 v5, a173
	v_fma_f64 v[2:3], v[8:9], v[4:5], -v[2:3]
	v_add_f64 v[0:1], v[0:1], v[2:3]
	v_accvgpr_read_b32 v2, a178
	v_accvgpr_read_b32 v3, a179
	v_accvgpr_read_b32 v4, a180
	v_mul_f64 v[2:3], v[248:249], v[2:3]
	v_accvgpr_read_b32 v5, a181
	v_fma_f64 v[2:3], v[246:247], v[4:5], -v[2:3]
	v_add_f64 v[0:1], v[0:1], v[2:3]
	v_accvgpr_read_b32 v2, a182
	v_accvgpr_read_b32 v3, a183
	v_accvgpr_read_b32 v4, a184
	;; [unrolled: 7-line block ×5, first 2 shown]
	v_mul_f64 v[2:3], v[126:127], v[2:3]
	v_accvgpr_read_b32 v5, a197
	v_fma_f64 v[2:3], v[124:125], v[4:5], -v[2:3]
	v_add_f64 v[0:1], v[0:1], v[2:3]
	v_mul_f64 v[2:3], v[122:123], v[218:219]
	v_fma_f64 v[2:3], v[120:121], v[240:241], -v[2:3]
	v_add_f64 v[0:1], v[0:1], v[2:3]
	v_mul_f64 v[2:3], v[34:35], v[238:239]
	;; [unrolled: 3-line block ×22, first 2 shown]
	v_fma_f64 v[2:3], v[112:113], v[206:207], -v[2:3]
	v_add_f64 v[0:1], v[0:1], v[2:3]
	s_waitcnt vmcnt(2)
	v_add_f64 v[0:1], v[210:211], -v[0:1]
	s_waitcnt vmcnt(0)
	v_add_f64 v[2:3], v[208:209], -v[202:203]
	buffer_store_dword v1, off, s[0:3], 0 offset:20
	buffer_store_dword v0, off, s[0:3], 0 offset:16
	;; [unrolled: 1-line block ×4, first 2 shown]
	s_cbranch_vccz .LBB118_453
; %bb.344:
	v_pk_mov_b32 v[0:1], s[10:11], s[10:11] op_sel:[0,1]
	flat_load_dword v0, v[0:1] offset:212
	s_waitcnt vmcnt(0) lgkmcnt(0)
	v_add_u32_e32 v0, -1, v0
	v_cmp_ne_u32_e32 vcc, 53, v0
	s_and_saveexec_b64 s[4:5], vcc
	s_cbranch_execz .LBB118_346
; %bb.345:
	v_mov_b32_e32 v1, 16
	v_accvgpr_read_b32 v9, a111
	v_lshl_add_u32 v0, v0, 4, v1
	buffer_load_dword v1, v9, s[0:3], 0 offen offset:4
	buffer_load_dword v2, v9, s[0:3], 0 offen offset:8
	buffer_load_dword v3, v9, s[0:3], 0 offen offset:12
	buffer_load_dword v4, v0, s[0:3], 0 offen
	buffer_load_dword v5, v0, s[0:3], 0 offen offset:4
	buffer_load_dword v6, v0, s[0:3], 0 offen offset:8
	buffer_load_dword v7, v0, s[0:3], 0 offen offset:12
	buffer_load_dword v8, v9, s[0:3], 0 offen
	s_waitcnt vmcnt(4)
	buffer_store_dword v4, v9, s[0:3], 0 offen
	s_waitcnt vmcnt(4)
	buffer_store_dword v5, v9, s[0:3], 0 offen offset:4
	s_waitcnt vmcnt(4)
	buffer_store_dword v6, v9, s[0:3], 0 offen offset:8
	s_waitcnt vmcnt(4)
	buffer_store_dword v7, v9, s[0:3], 0 offen offset:12
	buffer_store_dword v3, v0, s[0:3], 0 offen offset:12
	buffer_store_dword v2, v0, s[0:3], 0 offen offset:8
	buffer_store_dword v1, v0, s[0:3], 0 offen offset:4
	s_waitcnt vmcnt(7)
	buffer_store_dword v8, v0, s[0:3], 0 offen
.LBB118_346:
	s_or_b64 exec, exec, s[4:5]
	v_pk_mov_b32 v[0:1], s[10:11], s[10:11] op_sel:[0,1]
	flat_load_dword v0, v[0:1] offset:208
	s_waitcnt vmcnt(0) lgkmcnt(0)
	v_add_u32_e32 v0, -1, v0
	v_cmp_ne_u32_e32 vcc, 52, v0
	s_and_saveexec_b64 s[4:5], vcc
	s_cbranch_execz .LBB118_348
; %bb.347:
	v_mov_b32_e32 v1, 16
	v_accvgpr_read_b32 v9, a112
	v_lshl_add_u32 v0, v0, 4, v1
	buffer_load_dword v1, v9, s[0:3], 0 offen offset:4
	buffer_load_dword v2, v9, s[0:3], 0 offen offset:8
	buffer_load_dword v3, v9, s[0:3], 0 offen offset:12
	buffer_load_dword v4, v0, s[0:3], 0 offen
	buffer_load_dword v5, v0, s[0:3], 0 offen offset:4
	buffer_load_dword v6, v0, s[0:3], 0 offen offset:8
	buffer_load_dword v7, v0, s[0:3], 0 offen offset:12
	buffer_load_dword v8, v9, s[0:3], 0 offen
	s_waitcnt vmcnt(4)
	buffer_store_dword v4, v9, s[0:3], 0 offen
	s_waitcnt vmcnt(4)
	buffer_store_dword v5, v9, s[0:3], 0 offen offset:4
	s_waitcnt vmcnt(4)
	buffer_store_dword v6, v9, s[0:3], 0 offen offset:8
	s_waitcnt vmcnt(4)
	buffer_store_dword v7, v9, s[0:3], 0 offen offset:12
	buffer_store_dword v3, v0, s[0:3], 0 offen offset:12
	buffer_store_dword v2, v0, s[0:3], 0 offen offset:8
	buffer_store_dword v1, v0, s[0:3], 0 offen offset:4
	s_waitcnt vmcnt(7)
	buffer_store_dword v8, v0, s[0:3], 0 offen
.LBB118_348:
	s_or_b64 exec, exec, s[4:5]
	v_pk_mov_b32 v[0:1], s[10:11], s[10:11] op_sel:[0,1]
	flat_load_dword v0, v[0:1] offset:204
	s_waitcnt vmcnt(0) lgkmcnt(0)
	v_add_u32_e32 v0, -1, v0
	v_cmp_ne_u32_e32 vcc, 51, v0
	s_and_saveexec_b64 s[4:5], vcc
	s_cbranch_execz .LBB118_350
; %bb.349:
	v_mov_b32_e32 v1, 16
	v_accvgpr_read_b32 v9, a113
	v_lshl_add_u32 v0, v0, 4, v1
	buffer_load_dword v1, v9, s[0:3], 0 offen offset:4
	buffer_load_dword v2, v9, s[0:3], 0 offen offset:8
	buffer_load_dword v3, v9, s[0:3], 0 offen offset:12
	buffer_load_dword v4, v0, s[0:3], 0 offen
	buffer_load_dword v5, v0, s[0:3], 0 offen offset:4
	buffer_load_dword v6, v0, s[0:3], 0 offen offset:8
	buffer_load_dword v7, v0, s[0:3], 0 offen offset:12
	buffer_load_dword v8, v9, s[0:3], 0 offen
	s_waitcnt vmcnt(4)
	buffer_store_dword v4, v9, s[0:3], 0 offen
	s_waitcnt vmcnt(4)
	buffer_store_dword v5, v9, s[0:3], 0 offen offset:4
	s_waitcnt vmcnt(4)
	buffer_store_dword v6, v9, s[0:3], 0 offen offset:8
	s_waitcnt vmcnt(4)
	buffer_store_dword v7, v9, s[0:3], 0 offen offset:12
	buffer_store_dword v3, v0, s[0:3], 0 offen offset:12
	buffer_store_dword v2, v0, s[0:3], 0 offen offset:8
	buffer_store_dword v1, v0, s[0:3], 0 offen offset:4
	s_waitcnt vmcnt(7)
	buffer_store_dword v8, v0, s[0:3], 0 offen
.LBB118_350:
	s_or_b64 exec, exec, s[4:5]
	v_pk_mov_b32 v[0:1], s[10:11], s[10:11] op_sel:[0,1]
	flat_load_dword v0, v[0:1] offset:200
	s_waitcnt vmcnt(0) lgkmcnt(0)
	v_add_u32_e32 v0, -1, v0
	v_cmp_ne_u32_e32 vcc, 50, v0
	s_and_saveexec_b64 s[4:5], vcc
	s_cbranch_execz .LBB118_352
; %bb.351:
	v_mov_b32_e32 v1, 16
	v_accvgpr_read_b32 v9, a114
	v_lshl_add_u32 v0, v0, 4, v1
	buffer_load_dword v1, v9, s[0:3], 0 offen offset:4
	buffer_load_dword v2, v9, s[0:3], 0 offen offset:8
	buffer_load_dword v3, v9, s[0:3], 0 offen offset:12
	buffer_load_dword v4, v0, s[0:3], 0 offen
	buffer_load_dword v5, v0, s[0:3], 0 offen offset:4
	buffer_load_dword v6, v0, s[0:3], 0 offen offset:8
	buffer_load_dword v7, v0, s[0:3], 0 offen offset:12
	buffer_load_dword v8, v9, s[0:3], 0 offen
	s_waitcnt vmcnt(4)
	buffer_store_dword v4, v9, s[0:3], 0 offen
	s_waitcnt vmcnt(4)
	buffer_store_dword v5, v9, s[0:3], 0 offen offset:4
	s_waitcnt vmcnt(4)
	buffer_store_dword v6, v9, s[0:3], 0 offen offset:8
	s_waitcnt vmcnt(4)
	buffer_store_dword v7, v9, s[0:3], 0 offen offset:12
	buffer_store_dword v3, v0, s[0:3], 0 offen offset:12
	buffer_store_dword v2, v0, s[0:3], 0 offen offset:8
	buffer_store_dword v1, v0, s[0:3], 0 offen offset:4
	s_waitcnt vmcnt(7)
	buffer_store_dword v8, v0, s[0:3], 0 offen
.LBB118_352:
	s_or_b64 exec, exec, s[4:5]
	v_pk_mov_b32 v[0:1], s[10:11], s[10:11] op_sel:[0,1]
	flat_load_dword v0, v[0:1] offset:196
	s_waitcnt vmcnt(0) lgkmcnt(0)
	v_add_u32_e32 v0, -1, v0
	v_cmp_ne_u32_e32 vcc, 49, v0
	s_and_saveexec_b64 s[4:5], vcc
	s_cbranch_execz .LBB118_354
; %bb.353:
	v_mov_b32_e32 v1, 16
	v_accvgpr_read_b32 v9, a115
	v_lshl_add_u32 v0, v0, 4, v1
	buffer_load_dword v1, v9, s[0:3], 0 offen offset:4
	buffer_load_dword v2, v9, s[0:3], 0 offen offset:8
	buffer_load_dword v3, v9, s[0:3], 0 offen offset:12
	buffer_load_dword v4, v0, s[0:3], 0 offen
	buffer_load_dword v5, v0, s[0:3], 0 offen offset:4
	buffer_load_dword v6, v0, s[0:3], 0 offen offset:8
	buffer_load_dword v7, v0, s[0:3], 0 offen offset:12
	buffer_load_dword v8, v9, s[0:3], 0 offen
	s_waitcnt vmcnt(4)
	buffer_store_dword v4, v9, s[0:3], 0 offen
	s_waitcnt vmcnt(4)
	buffer_store_dword v5, v9, s[0:3], 0 offen offset:4
	s_waitcnt vmcnt(4)
	buffer_store_dword v6, v9, s[0:3], 0 offen offset:8
	s_waitcnt vmcnt(4)
	buffer_store_dword v7, v9, s[0:3], 0 offen offset:12
	buffer_store_dword v3, v0, s[0:3], 0 offen offset:12
	buffer_store_dword v2, v0, s[0:3], 0 offen offset:8
	buffer_store_dword v1, v0, s[0:3], 0 offen offset:4
	s_waitcnt vmcnt(7)
	buffer_store_dword v8, v0, s[0:3], 0 offen
.LBB118_354:
	s_or_b64 exec, exec, s[4:5]
	v_pk_mov_b32 v[0:1], s[10:11], s[10:11] op_sel:[0,1]
	flat_load_dword v0, v[0:1] offset:192
	s_waitcnt vmcnt(0) lgkmcnt(0)
	v_add_u32_e32 v0, -1, v0
	v_cmp_ne_u32_e32 vcc, 48, v0
	s_and_saveexec_b64 s[4:5], vcc
	s_cbranch_execz .LBB118_356
; %bb.355:
	v_mov_b32_e32 v1, 16
	v_accvgpr_read_b32 v9, a116
	v_lshl_add_u32 v0, v0, 4, v1
	buffer_load_dword v1, v9, s[0:3], 0 offen offset:4
	buffer_load_dword v2, v9, s[0:3], 0 offen offset:8
	buffer_load_dword v3, v9, s[0:3], 0 offen offset:12
	buffer_load_dword v4, v0, s[0:3], 0 offen
	buffer_load_dword v5, v0, s[0:3], 0 offen offset:4
	buffer_load_dword v6, v0, s[0:3], 0 offen offset:8
	buffer_load_dword v7, v0, s[0:3], 0 offen offset:12
	buffer_load_dword v8, v9, s[0:3], 0 offen
	s_waitcnt vmcnt(4)
	buffer_store_dword v4, v9, s[0:3], 0 offen
	s_waitcnt vmcnt(4)
	buffer_store_dword v5, v9, s[0:3], 0 offen offset:4
	s_waitcnt vmcnt(4)
	buffer_store_dword v6, v9, s[0:3], 0 offen offset:8
	s_waitcnt vmcnt(4)
	buffer_store_dword v7, v9, s[0:3], 0 offen offset:12
	buffer_store_dword v3, v0, s[0:3], 0 offen offset:12
	buffer_store_dword v2, v0, s[0:3], 0 offen offset:8
	buffer_store_dword v1, v0, s[0:3], 0 offen offset:4
	s_waitcnt vmcnt(7)
	buffer_store_dword v8, v0, s[0:3], 0 offen
.LBB118_356:
	s_or_b64 exec, exec, s[4:5]
	v_pk_mov_b32 v[0:1], s[10:11], s[10:11] op_sel:[0,1]
	flat_load_dword v0, v[0:1] offset:188
	s_waitcnt vmcnt(0) lgkmcnt(0)
	v_add_u32_e32 v0, -1, v0
	v_cmp_ne_u32_e32 vcc, 47, v0
	s_and_saveexec_b64 s[4:5], vcc
	s_cbranch_execz .LBB118_358
; %bb.357:
	v_mov_b32_e32 v1, 16
	v_accvgpr_read_b32 v9, a117
	v_lshl_add_u32 v0, v0, 4, v1
	buffer_load_dword v1, v9, s[0:3], 0 offen offset:4
	buffer_load_dword v2, v9, s[0:3], 0 offen offset:8
	buffer_load_dword v3, v9, s[0:3], 0 offen offset:12
	buffer_load_dword v4, v0, s[0:3], 0 offen
	buffer_load_dword v5, v0, s[0:3], 0 offen offset:4
	buffer_load_dword v6, v0, s[0:3], 0 offen offset:8
	buffer_load_dword v7, v0, s[0:3], 0 offen offset:12
	buffer_load_dword v8, v9, s[0:3], 0 offen
	s_waitcnt vmcnt(4)
	buffer_store_dword v4, v9, s[0:3], 0 offen
	s_waitcnt vmcnt(4)
	buffer_store_dword v5, v9, s[0:3], 0 offen offset:4
	s_waitcnt vmcnt(4)
	buffer_store_dword v6, v9, s[0:3], 0 offen offset:8
	s_waitcnt vmcnt(4)
	buffer_store_dword v7, v9, s[0:3], 0 offen offset:12
	buffer_store_dword v3, v0, s[0:3], 0 offen offset:12
	buffer_store_dword v2, v0, s[0:3], 0 offen offset:8
	buffer_store_dword v1, v0, s[0:3], 0 offen offset:4
	s_waitcnt vmcnt(7)
	buffer_store_dword v8, v0, s[0:3], 0 offen
.LBB118_358:
	s_or_b64 exec, exec, s[4:5]
	v_pk_mov_b32 v[0:1], s[10:11], s[10:11] op_sel:[0,1]
	flat_load_dword v0, v[0:1] offset:184
	s_waitcnt vmcnt(0) lgkmcnt(0)
	v_add_u32_e32 v0, -1, v0
	v_cmp_ne_u32_e32 vcc, 46, v0
	s_and_saveexec_b64 s[4:5], vcc
	s_cbranch_execz .LBB118_360
; %bb.359:
	v_mov_b32_e32 v1, 16
	v_accvgpr_read_b32 v9, a118
	v_lshl_add_u32 v0, v0, 4, v1
	buffer_load_dword v1, v9, s[0:3], 0 offen offset:4
	buffer_load_dword v2, v9, s[0:3], 0 offen offset:8
	buffer_load_dword v3, v9, s[0:3], 0 offen offset:12
	buffer_load_dword v4, v0, s[0:3], 0 offen
	buffer_load_dword v5, v0, s[0:3], 0 offen offset:4
	buffer_load_dword v6, v0, s[0:3], 0 offen offset:8
	buffer_load_dword v7, v0, s[0:3], 0 offen offset:12
	buffer_load_dword v8, v9, s[0:3], 0 offen
	s_waitcnt vmcnt(4)
	buffer_store_dword v4, v9, s[0:3], 0 offen
	s_waitcnt vmcnt(4)
	buffer_store_dword v5, v9, s[0:3], 0 offen offset:4
	s_waitcnt vmcnt(4)
	buffer_store_dword v6, v9, s[0:3], 0 offen offset:8
	s_waitcnt vmcnt(4)
	buffer_store_dword v7, v9, s[0:3], 0 offen offset:12
	buffer_store_dword v3, v0, s[0:3], 0 offen offset:12
	buffer_store_dword v2, v0, s[0:3], 0 offen offset:8
	buffer_store_dword v1, v0, s[0:3], 0 offen offset:4
	s_waitcnt vmcnt(7)
	buffer_store_dword v8, v0, s[0:3], 0 offen
.LBB118_360:
	s_or_b64 exec, exec, s[4:5]
	v_pk_mov_b32 v[0:1], s[10:11], s[10:11] op_sel:[0,1]
	flat_load_dword v0, v[0:1] offset:180
	s_waitcnt vmcnt(0) lgkmcnt(0)
	v_add_u32_e32 v0, -1, v0
	v_cmp_ne_u32_e32 vcc, 45, v0
	s_and_saveexec_b64 s[4:5], vcc
	s_cbranch_execz .LBB118_362
; %bb.361:
	v_mov_b32_e32 v1, 16
	v_accvgpr_read_b32 v9, a119
	v_lshl_add_u32 v0, v0, 4, v1
	buffer_load_dword v1, v9, s[0:3], 0 offen offset:4
	buffer_load_dword v2, v9, s[0:3], 0 offen offset:8
	buffer_load_dword v3, v9, s[0:3], 0 offen offset:12
	buffer_load_dword v4, v0, s[0:3], 0 offen
	buffer_load_dword v5, v0, s[0:3], 0 offen offset:4
	buffer_load_dword v6, v0, s[0:3], 0 offen offset:8
	buffer_load_dword v7, v0, s[0:3], 0 offen offset:12
	buffer_load_dword v8, v9, s[0:3], 0 offen
	s_waitcnt vmcnt(4)
	buffer_store_dword v4, v9, s[0:3], 0 offen
	s_waitcnt vmcnt(4)
	buffer_store_dword v5, v9, s[0:3], 0 offen offset:4
	s_waitcnt vmcnt(4)
	buffer_store_dword v6, v9, s[0:3], 0 offen offset:8
	s_waitcnt vmcnt(4)
	buffer_store_dword v7, v9, s[0:3], 0 offen offset:12
	buffer_store_dword v3, v0, s[0:3], 0 offen offset:12
	buffer_store_dword v2, v0, s[0:3], 0 offen offset:8
	buffer_store_dword v1, v0, s[0:3], 0 offen offset:4
	s_waitcnt vmcnt(7)
	buffer_store_dword v8, v0, s[0:3], 0 offen
.LBB118_362:
	s_or_b64 exec, exec, s[4:5]
	v_pk_mov_b32 v[0:1], s[10:11], s[10:11] op_sel:[0,1]
	flat_load_dword v0, v[0:1] offset:176
	s_waitcnt vmcnt(0) lgkmcnt(0)
	v_add_u32_e32 v0, -1, v0
	v_cmp_ne_u32_e32 vcc, 44, v0
	s_and_saveexec_b64 s[4:5], vcc
	s_cbranch_execz .LBB118_364
; %bb.363:
	v_mov_b32_e32 v1, 16
	v_accvgpr_read_b32 v9, a120
	v_lshl_add_u32 v0, v0, 4, v1
	buffer_load_dword v1, v9, s[0:3], 0 offen offset:4
	buffer_load_dword v2, v9, s[0:3], 0 offen offset:8
	buffer_load_dword v3, v9, s[0:3], 0 offen offset:12
	buffer_load_dword v4, v0, s[0:3], 0 offen
	buffer_load_dword v5, v0, s[0:3], 0 offen offset:4
	buffer_load_dword v6, v0, s[0:3], 0 offen offset:8
	buffer_load_dword v7, v0, s[0:3], 0 offen offset:12
	buffer_load_dword v8, v9, s[0:3], 0 offen
	s_waitcnt vmcnt(4)
	buffer_store_dword v4, v9, s[0:3], 0 offen
	s_waitcnt vmcnt(4)
	buffer_store_dword v5, v9, s[0:3], 0 offen offset:4
	s_waitcnt vmcnt(4)
	buffer_store_dword v6, v9, s[0:3], 0 offen offset:8
	s_waitcnt vmcnt(4)
	buffer_store_dword v7, v9, s[0:3], 0 offen offset:12
	buffer_store_dword v3, v0, s[0:3], 0 offen offset:12
	buffer_store_dword v2, v0, s[0:3], 0 offen offset:8
	buffer_store_dword v1, v0, s[0:3], 0 offen offset:4
	s_waitcnt vmcnt(7)
	buffer_store_dword v8, v0, s[0:3], 0 offen
.LBB118_364:
	s_or_b64 exec, exec, s[4:5]
	v_pk_mov_b32 v[0:1], s[10:11], s[10:11] op_sel:[0,1]
	flat_load_dword v0, v[0:1] offset:172
	s_waitcnt vmcnt(0) lgkmcnt(0)
	v_add_u32_e32 v0, -1, v0
	v_cmp_ne_u32_e32 vcc, 43, v0
	s_and_saveexec_b64 s[4:5], vcc
	s_cbranch_execz .LBB118_366
; %bb.365:
	v_mov_b32_e32 v1, 16
	v_accvgpr_read_b32 v9, a121
	v_lshl_add_u32 v0, v0, 4, v1
	buffer_load_dword v1, v9, s[0:3], 0 offen offset:4
	buffer_load_dword v2, v9, s[0:3], 0 offen offset:8
	buffer_load_dword v3, v9, s[0:3], 0 offen offset:12
	buffer_load_dword v4, v0, s[0:3], 0 offen
	buffer_load_dword v5, v0, s[0:3], 0 offen offset:4
	buffer_load_dword v6, v0, s[0:3], 0 offen offset:8
	buffer_load_dword v7, v0, s[0:3], 0 offen offset:12
	buffer_load_dword v8, v9, s[0:3], 0 offen
	s_waitcnt vmcnt(4)
	buffer_store_dword v4, v9, s[0:3], 0 offen
	s_waitcnt vmcnt(4)
	buffer_store_dword v5, v9, s[0:3], 0 offen offset:4
	s_waitcnt vmcnt(4)
	buffer_store_dword v6, v9, s[0:3], 0 offen offset:8
	s_waitcnt vmcnt(4)
	buffer_store_dword v7, v9, s[0:3], 0 offen offset:12
	buffer_store_dword v3, v0, s[0:3], 0 offen offset:12
	buffer_store_dword v2, v0, s[0:3], 0 offen offset:8
	buffer_store_dword v1, v0, s[0:3], 0 offen offset:4
	s_waitcnt vmcnt(7)
	buffer_store_dword v8, v0, s[0:3], 0 offen
.LBB118_366:
	s_or_b64 exec, exec, s[4:5]
	v_pk_mov_b32 v[0:1], s[10:11], s[10:11] op_sel:[0,1]
	flat_load_dword v0, v[0:1] offset:168
	s_waitcnt vmcnt(0) lgkmcnt(0)
	v_add_u32_e32 v0, -1, v0
	v_cmp_ne_u32_e32 vcc, 42, v0
	s_and_saveexec_b64 s[4:5], vcc
	s_cbranch_execz .LBB118_368
; %bb.367:
	v_mov_b32_e32 v1, 16
	v_accvgpr_read_b32 v9, a122
	v_lshl_add_u32 v0, v0, 4, v1
	buffer_load_dword v1, v9, s[0:3], 0 offen offset:4
	buffer_load_dword v2, v9, s[0:3], 0 offen offset:8
	buffer_load_dword v3, v9, s[0:3], 0 offen offset:12
	buffer_load_dword v4, v0, s[0:3], 0 offen
	buffer_load_dword v5, v0, s[0:3], 0 offen offset:4
	buffer_load_dword v6, v0, s[0:3], 0 offen offset:8
	buffer_load_dword v7, v0, s[0:3], 0 offen offset:12
	buffer_load_dword v8, v9, s[0:3], 0 offen
	s_waitcnt vmcnt(4)
	buffer_store_dword v4, v9, s[0:3], 0 offen
	s_waitcnt vmcnt(4)
	buffer_store_dword v5, v9, s[0:3], 0 offen offset:4
	s_waitcnt vmcnt(4)
	buffer_store_dword v6, v9, s[0:3], 0 offen offset:8
	s_waitcnt vmcnt(4)
	buffer_store_dword v7, v9, s[0:3], 0 offen offset:12
	buffer_store_dword v3, v0, s[0:3], 0 offen offset:12
	buffer_store_dword v2, v0, s[0:3], 0 offen offset:8
	buffer_store_dword v1, v0, s[0:3], 0 offen offset:4
	s_waitcnt vmcnt(7)
	buffer_store_dword v8, v0, s[0:3], 0 offen
.LBB118_368:
	s_or_b64 exec, exec, s[4:5]
	v_pk_mov_b32 v[0:1], s[10:11], s[10:11] op_sel:[0,1]
	flat_load_dword v0, v[0:1] offset:164
	s_waitcnt vmcnt(0) lgkmcnt(0)
	v_add_u32_e32 v0, -1, v0
	v_cmp_ne_u32_e32 vcc, 41, v0
	s_and_saveexec_b64 s[4:5], vcc
	s_cbranch_execz .LBB118_370
; %bb.369:
	v_mov_b32_e32 v1, 16
	v_accvgpr_read_b32 v9, a123
	v_lshl_add_u32 v0, v0, 4, v1
	buffer_load_dword v1, v9, s[0:3], 0 offen offset:4
	buffer_load_dword v2, v9, s[0:3], 0 offen offset:8
	buffer_load_dword v3, v9, s[0:3], 0 offen offset:12
	buffer_load_dword v4, v0, s[0:3], 0 offen
	buffer_load_dword v5, v0, s[0:3], 0 offen offset:4
	buffer_load_dword v6, v0, s[0:3], 0 offen offset:8
	buffer_load_dword v7, v0, s[0:3], 0 offen offset:12
	buffer_load_dword v8, v9, s[0:3], 0 offen
	s_waitcnt vmcnt(4)
	buffer_store_dword v4, v9, s[0:3], 0 offen
	s_waitcnt vmcnt(4)
	buffer_store_dword v5, v9, s[0:3], 0 offen offset:4
	s_waitcnt vmcnt(4)
	buffer_store_dword v6, v9, s[0:3], 0 offen offset:8
	s_waitcnt vmcnt(4)
	buffer_store_dword v7, v9, s[0:3], 0 offen offset:12
	buffer_store_dword v3, v0, s[0:3], 0 offen offset:12
	buffer_store_dword v2, v0, s[0:3], 0 offen offset:8
	buffer_store_dword v1, v0, s[0:3], 0 offen offset:4
	s_waitcnt vmcnt(7)
	buffer_store_dword v8, v0, s[0:3], 0 offen
.LBB118_370:
	s_or_b64 exec, exec, s[4:5]
	v_pk_mov_b32 v[0:1], s[10:11], s[10:11] op_sel:[0,1]
	flat_load_dword v0, v[0:1] offset:160
	s_waitcnt vmcnt(0) lgkmcnt(0)
	v_add_u32_e32 v0, -1, v0
	v_cmp_ne_u32_e32 vcc, 40, v0
	s_and_saveexec_b64 s[4:5], vcc
	s_cbranch_execz .LBB118_372
; %bb.371:
	v_mov_b32_e32 v1, 16
	v_accvgpr_read_b32 v9, a124
	v_lshl_add_u32 v0, v0, 4, v1
	buffer_load_dword v1, v9, s[0:3], 0 offen offset:4
	buffer_load_dword v2, v9, s[0:3], 0 offen offset:8
	buffer_load_dword v3, v9, s[0:3], 0 offen offset:12
	buffer_load_dword v4, v0, s[0:3], 0 offen
	buffer_load_dword v5, v0, s[0:3], 0 offen offset:4
	buffer_load_dword v6, v0, s[0:3], 0 offen offset:8
	buffer_load_dword v7, v0, s[0:3], 0 offen offset:12
	buffer_load_dword v8, v9, s[0:3], 0 offen
	s_waitcnt vmcnt(4)
	buffer_store_dword v4, v9, s[0:3], 0 offen
	s_waitcnt vmcnt(4)
	buffer_store_dword v5, v9, s[0:3], 0 offen offset:4
	s_waitcnt vmcnt(4)
	buffer_store_dword v6, v9, s[0:3], 0 offen offset:8
	s_waitcnt vmcnt(4)
	buffer_store_dword v7, v9, s[0:3], 0 offen offset:12
	buffer_store_dword v3, v0, s[0:3], 0 offen offset:12
	buffer_store_dword v2, v0, s[0:3], 0 offen offset:8
	buffer_store_dword v1, v0, s[0:3], 0 offen offset:4
	s_waitcnt vmcnt(7)
	buffer_store_dword v8, v0, s[0:3], 0 offen
.LBB118_372:
	s_or_b64 exec, exec, s[4:5]
	v_pk_mov_b32 v[0:1], s[10:11], s[10:11] op_sel:[0,1]
	flat_load_dword v0, v[0:1] offset:156
	s_waitcnt vmcnt(0) lgkmcnt(0)
	v_add_u32_e32 v0, -1, v0
	v_cmp_ne_u32_e32 vcc, 39, v0
	s_and_saveexec_b64 s[4:5], vcc
	s_cbranch_execz .LBB118_374
; %bb.373:
	v_mov_b32_e32 v1, 16
	v_accvgpr_read_b32 v9, a125
	v_lshl_add_u32 v0, v0, 4, v1
	buffer_load_dword v1, v9, s[0:3], 0 offen offset:4
	buffer_load_dword v2, v9, s[0:3], 0 offen offset:8
	buffer_load_dword v3, v9, s[0:3], 0 offen offset:12
	buffer_load_dword v4, v0, s[0:3], 0 offen
	buffer_load_dword v5, v0, s[0:3], 0 offen offset:4
	buffer_load_dword v6, v0, s[0:3], 0 offen offset:8
	buffer_load_dword v7, v0, s[0:3], 0 offen offset:12
	buffer_load_dword v8, v9, s[0:3], 0 offen
	s_waitcnt vmcnt(4)
	buffer_store_dword v4, v9, s[0:3], 0 offen
	s_waitcnt vmcnt(4)
	buffer_store_dword v5, v9, s[0:3], 0 offen offset:4
	s_waitcnt vmcnt(4)
	buffer_store_dword v6, v9, s[0:3], 0 offen offset:8
	s_waitcnt vmcnt(4)
	buffer_store_dword v7, v9, s[0:3], 0 offen offset:12
	buffer_store_dword v3, v0, s[0:3], 0 offen offset:12
	buffer_store_dword v2, v0, s[0:3], 0 offen offset:8
	buffer_store_dword v1, v0, s[0:3], 0 offen offset:4
	s_waitcnt vmcnt(7)
	buffer_store_dword v8, v0, s[0:3], 0 offen
.LBB118_374:
	s_or_b64 exec, exec, s[4:5]
	v_pk_mov_b32 v[0:1], s[10:11], s[10:11] op_sel:[0,1]
	flat_load_dword v0, v[0:1] offset:152
	s_waitcnt vmcnt(0) lgkmcnt(0)
	v_add_u32_e32 v0, -1, v0
	v_cmp_ne_u32_e32 vcc, 38, v0
	s_and_saveexec_b64 s[4:5], vcc
	s_cbranch_execz .LBB118_376
; %bb.375:
	v_mov_b32_e32 v1, 16
	v_accvgpr_read_b32 v9, a126
	v_lshl_add_u32 v0, v0, 4, v1
	buffer_load_dword v1, v9, s[0:3], 0 offen offset:4
	buffer_load_dword v2, v9, s[0:3], 0 offen offset:8
	buffer_load_dword v3, v9, s[0:3], 0 offen offset:12
	buffer_load_dword v4, v0, s[0:3], 0 offen
	buffer_load_dword v5, v0, s[0:3], 0 offen offset:4
	buffer_load_dword v6, v0, s[0:3], 0 offen offset:8
	buffer_load_dword v7, v0, s[0:3], 0 offen offset:12
	buffer_load_dword v8, v9, s[0:3], 0 offen
	s_waitcnt vmcnt(4)
	buffer_store_dword v4, v9, s[0:3], 0 offen
	s_waitcnt vmcnt(4)
	buffer_store_dword v5, v9, s[0:3], 0 offen offset:4
	s_waitcnt vmcnt(4)
	buffer_store_dword v6, v9, s[0:3], 0 offen offset:8
	s_waitcnt vmcnt(4)
	buffer_store_dword v7, v9, s[0:3], 0 offen offset:12
	buffer_store_dword v3, v0, s[0:3], 0 offen offset:12
	buffer_store_dword v2, v0, s[0:3], 0 offen offset:8
	buffer_store_dword v1, v0, s[0:3], 0 offen offset:4
	s_waitcnt vmcnt(7)
	buffer_store_dword v8, v0, s[0:3], 0 offen
.LBB118_376:
	s_or_b64 exec, exec, s[4:5]
	v_pk_mov_b32 v[0:1], s[10:11], s[10:11] op_sel:[0,1]
	flat_load_dword v0, v[0:1] offset:148
	s_waitcnt vmcnt(0) lgkmcnt(0)
	v_add_u32_e32 v0, -1, v0
	v_cmp_ne_u32_e32 vcc, 37, v0
	s_and_saveexec_b64 s[4:5], vcc
	s_cbranch_execz .LBB118_378
; %bb.377:
	v_mov_b32_e32 v1, 16
	v_accvgpr_read_b32 v9, a127
	v_lshl_add_u32 v0, v0, 4, v1
	buffer_load_dword v1, v9, s[0:3], 0 offen offset:4
	buffer_load_dword v2, v9, s[0:3], 0 offen offset:8
	buffer_load_dword v3, v9, s[0:3], 0 offen offset:12
	buffer_load_dword v4, v0, s[0:3], 0 offen
	buffer_load_dword v5, v0, s[0:3], 0 offen offset:4
	buffer_load_dword v6, v0, s[0:3], 0 offen offset:8
	buffer_load_dword v7, v0, s[0:3], 0 offen offset:12
	buffer_load_dword v8, v9, s[0:3], 0 offen
	s_waitcnt vmcnt(4)
	buffer_store_dword v4, v9, s[0:3], 0 offen
	s_waitcnt vmcnt(4)
	buffer_store_dword v5, v9, s[0:3], 0 offen offset:4
	s_waitcnt vmcnt(4)
	buffer_store_dword v6, v9, s[0:3], 0 offen offset:8
	s_waitcnt vmcnt(4)
	buffer_store_dword v7, v9, s[0:3], 0 offen offset:12
	buffer_store_dword v3, v0, s[0:3], 0 offen offset:12
	buffer_store_dword v2, v0, s[0:3], 0 offen offset:8
	buffer_store_dword v1, v0, s[0:3], 0 offen offset:4
	s_waitcnt vmcnt(7)
	buffer_store_dword v8, v0, s[0:3], 0 offen
.LBB118_378:
	s_or_b64 exec, exec, s[4:5]
	v_pk_mov_b32 v[0:1], s[10:11], s[10:11] op_sel:[0,1]
	flat_load_dword v0, v[0:1] offset:144
	s_waitcnt vmcnt(0) lgkmcnt(0)
	v_add_u32_e32 v0, -1, v0
	v_cmp_ne_u32_e32 vcc, 36, v0
	s_and_saveexec_b64 s[4:5], vcc
	s_cbranch_execz .LBB118_380
; %bb.379:
	v_mov_b32_e32 v1, 16
	v_accvgpr_read_b32 v9, a128
	v_lshl_add_u32 v0, v0, 4, v1
	buffer_load_dword v1, v9, s[0:3], 0 offen offset:4
	buffer_load_dword v2, v9, s[0:3], 0 offen offset:8
	buffer_load_dword v3, v9, s[0:3], 0 offen offset:12
	buffer_load_dword v4, v0, s[0:3], 0 offen
	buffer_load_dword v5, v0, s[0:3], 0 offen offset:4
	buffer_load_dword v6, v0, s[0:3], 0 offen offset:8
	buffer_load_dword v7, v0, s[0:3], 0 offen offset:12
	buffer_load_dword v8, v9, s[0:3], 0 offen
	s_waitcnt vmcnt(4)
	buffer_store_dword v4, v9, s[0:3], 0 offen
	s_waitcnt vmcnt(4)
	buffer_store_dword v5, v9, s[0:3], 0 offen offset:4
	s_waitcnt vmcnt(4)
	buffer_store_dword v6, v9, s[0:3], 0 offen offset:8
	s_waitcnt vmcnt(4)
	buffer_store_dword v7, v9, s[0:3], 0 offen offset:12
	buffer_store_dword v3, v0, s[0:3], 0 offen offset:12
	buffer_store_dword v2, v0, s[0:3], 0 offen offset:8
	buffer_store_dword v1, v0, s[0:3], 0 offen offset:4
	s_waitcnt vmcnt(7)
	buffer_store_dword v8, v0, s[0:3], 0 offen
.LBB118_380:
	s_or_b64 exec, exec, s[4:5]
	v_pk_mov_b32 v[0:1], s[10:11], s[10:11] op_sel:[0,1]
	flat_load_dword v0, v[0:1] offset:140
	s_waitcnt vmcnt(0) lgkmcnt(0)
	v_add_u32_e32 v0, -1, v0
	v_cmp_ne_u32_e32 vcc, 35, v0
	s_and_saveexec_b64 s[4:5], vcc
	s_cbranch_execz .LBB118_382
; %bb.381:
	v_mov_b32_e32 v1, 16
	v_accvgpr_read_b32 v9, a129
	v_lshl_add_u32 v0, v0, 4, v1
	buffer_load_dword v1, v9, s[0:3], 0 offen offset:4
	buffer_load_dword v2, v9, s[0:3], 0 offen offset:8
	buffer_load_dword v3, v9, s[0:3], 0 offen offset:12
	buffer_load_dword v4, v0, s[0:3], 0 offen
	buffer_load_dword v5, v0, s[0:3], 0 offen offset:4
	buffer_load_dword v6, v0, s[0:3], 0 offen offset:8
	buffer_load_dword v7, v0, s[0:3], 0 offen offset:12
	buffer_load_dword v8, v9, s[0:3], 0 offen
	s_waitcnt vmcnt(4)
	buffer_store_dword v4, v9, s[0:3], 0 offen
	s_waitcnt vmcnt(4)
	buffer_store_dword v5, v9, s[0:3], 0 offen offset:4
	s_waitcnt vmcnt(4)
	buffer_store_dword v6, v9, s[0:3], 0 offen offset:8
	s_waitcnt vmcnt(4)
	buffer_store_dword v7, v9, s[0:3], 0 offen offset:12
	buffer_store_dword v3, v0, s[0:3], 0 offen offset:12
	buffer_store_dword v2, v0, s[0:3], 0 offen offset:8
	buffer_store_dword v1, v0, s[0:3], 0 offen offset:4
	s_waitcnt vmcnt(7)
	buffer_store_dword v8, v0, s[0:3], 0 offen
.LBB118_382:
	s_or_b64 exec, exec, s[4:5]
	v_pk_mov_b32 v[0:1], s[10:11], s[10:11] op_sel:[0,1]
	flat_load_dword v0, v[0:1] offset:136
	s_waitcnt vmcnt(0) lgkmcnt(0)
	v_add_u32_e32 v0, -1, v0
	v_cmp_ne_u32_e32 vcc, 34, v0
	s_and_saveexec_b64 s[4:5], vcc
	s_cbranch_execz .LBB118_384
; %bb.383:
	v_mov_b32_e32 v1, 16
	v_accvgpr_read_b32 v9, a130
	v_lshl_add_u32 v0, v0, 4, v1
	buffer_load_dword v1, v9, s[0:3], 0 offen offset:4
	buffer_load_dword v2, v9, s[0:3], 0 offen offset:8
	buffer_load_dword v3, v9, s[0:3], 0 offen offset:12
	buffer_load_dword v4, v0, s[0:3], 0 offen
	buffer_load_dword v5, v0, s[0:3], 0 offen offset:4
	buffer_load_dword v6, v0, s[0:3], 0 offen offset:8
	buffer_load_dword v7, v0, s[0:3], 0 offen offset:12
	buffer_load_dword v8, v9, s[0:3], 0 offen
	s_waitcnt vmcnt(4)
	buffer_store_dword v4, v9, s[0:3], 0 offen
	s_waitcnt vmcnt(4)
	buffer_store_dword v5, v9, s[0:3], 0 offen offset:4
	s_waitcnt vmcnt(4)
	buffer_store_dword v6, v9, s[0:3], 0 offen offset:8
	s_waitcnt vmcnt(4)
	buffer_store_dword v7, v9, s[0:3], 0 offen offset:12
	buffer_store_dword v3, v0, s[0:3], 0 offen offset:12
	buffer_store_dword v2, v0, s[0:3], 0 offen offset:8
	buffer_store_dword v1, v0, s[0:3], 0 offen offset:4
	s_waitcnt vmcnt(7)
	buffer_store_dword v8, v0, s[0:3], 0 offen
.LBB118_384:
	s_or_b64 exec, exec, s[4:5]
	v_pk_mov_b32 v[0:1], s[10:11], s[10:11] op_sel:[0,1]
	flat_load_dword v0, v[0:1] offset:132
	s_waitcnt vmcnt(0) lgkmcnt(0)
	v_add_u32_e32 v0, -1, v0
	v_cmp_ne_u32_e32 vcc, 33, v0
	s_and_saveexec_b64 s[4:5], vcc
	s_cbranch_execz .LBB118_386
; %bb.385:
	v_mov_b32_e32 v1, 16
	v_accvgpr_read_b32 v9, a131
	v_lshl_add_u32 v0, v0, 4, v1
	buffer_load_dword v1, v9, s[0:3], 0 offen offset:4
	buffer_load_dword v2, v9, s[0:3], 0 offen offset:8
	buffer_load_dword v3, v9, s[0:3], 0 offen offset:12
	buffer_load_dword v4, v0, s[0:3], 0 offen
	buffer_load_dword v5, v0, s[0:3], 0 offen offset:4
	buffer_load_dword v6, v0, s[0:3], 0 offen offset:8
	buffer_load_dword v7, v0, s[0:3], 0 offen offset:12
	buffer_load_dword v8, v9, s[0:3], 0 offen
	s_waitcnt vmcnt(4)
	buffer_store_dword v4, v9, s[0:3], 0 offen
	s_waitcnt vmcnt(4)
	buffer_store_dword v5, v9, s[0:3], 0 offen offset:4
	s_waitcnt vmcnt(4)
	buffer_store_dword v6, v9, s[0:3], 0 offen offset:8
	s_waitcnt vmcnt(4)
	buffer_store_dword v7, v9, s[0:3], 0 offen offset:12
	buffer_store_dword v3, v0, s[0:3], 0 offen offset:12
	buffer_store_dword v2, v0, s[0:3], 0 offen offset:8
	buffer_store_dword v1, v0, s[0:3], 0 offen offset:4
	s_waitcnt vmcnt(7)
	buffer_store_dword v8, v0, s[0:3], 0 offen
.LBB118_386:
	s_or_b64 exec, exec, s[4:5]
	v_pk_mov_b32 v[0:1], s[10:11], s[10:11] op_sel:[0,1]
	flat_load_dword v0, v[0:1] offset:128
	s_waitcnt vmcnt(0) lgkmcnt(0)
	v_add_u32_e32 v0, -1, v0
	v_cmp_ne_u32_e32 vcc, 32, v0
	s_and_saveexec_b64 s[4:5], vcc
	s_cbranch_execz .LBB118_388
; %bb.387:
	v_mov_b32_e32 v1, 16
	v_accvgpr_read_b32 v9, a132
	v_lshl_add_u32 v0, v0, 4, v1
	buffer_load_dword v1, v9, s[0:3], 0 offen offset:4
	buffer_load_dword v2, v9, s[0:3], 0 offen offset:8
	buffer_load_dword v3, v9, s[0:3], 0 offen offset:12
	buffer_load_dword v4, v0, s[0:3], 0 offen
	buffer_load_dword v5, v0, s[0:3], 0 offen offset:4
	buffer_load_dword v6, v0, s[0:3], 0 offen offset:8
	buffer_load_dword v7, v0, s[0:3], 0 offen offset:12
	buffer_load_dword v8, v9, s[0:3], 0 offen
	s_waitcnt vmcnt(4)
	buffer_store_dword v4, v9, s[0:3], 0 offen
	s_waitcnt vmcnt(4)
	buffer_store_dword v5, v9, s[0:3], 0 offen offset:4
	s_waitcnt vmcnt(4)
	buffer_store_dword v6, v9, s[0:3], 0 offen offset:8
	s_waitcnt vmcnt(4)
	buffer_store_dword v7, v9, s[0:3], 0 offen offset:12
	buffer_store_dword v3, v0, s[0:3], 0 offen offset:12
	buffer_store_dword v2, v0, s[0:3], 0 offen offset:8
	buffer_store_dword v1, v0, s[0:3], 0 offen offset:4
	s_waitcnt vmcnt(7)
	buffer_store_dword v8, v0, s[0:3], 0 offen
.LBB118_388:
	s_or_b64 exec, exec, s[4:5]
	v_pk_mov_b32 v[0:1], s[10:11], s[10:11] op_sel:[0,1]
	flat_load_dword v0, v[0:1] offset:124
	s_waitcnt vmcnt(0) lgkmcnt(0)
	v_add_u32_e32 v0, -1, v0
	v_cmp_ne_u32_e32 vcc, 31, v0
	s_and_saveexec_b64 s[4:5], vcc
	s_cbranch_execz .LBB118_390
; %bb.389:
	v_mov_b32_e32 v1, 16
	v_accvgpr_read_b32 v9, a133
	v_lshl_add_u32 v0, v0, 4, v1
	buffer_load_dword v1, v9, s[0:3], 0 offen offset:4
	buffer_load_dword v2, v9, s[0:3], 0 offen offset:8
	buffer_load_dword v3, v9, s[0:3], 0 offen offset:12
	buffer_load_dword v4, v0, s[0:3], 0 offen
	buffer_load_dword v5, v0, s[0:3], 0 offen offset:4
	buffer_load_dword v6, v0, s[0:3], 0 offen offset:8
	buffer_load_dword v7, v0, s[0:3], 0 offen offset:12
	buffer_load_dword v8, v9, s[0:3], 0 offen
	s_waitcnt vmcnt(4)
	buffer_store_dword v4, v9, s[0:3], 0 offen
	s_waitcnt vmcnt(4)
	buffer_store_dword v5, v9, s[0:3], 0 offen offset:4
	s_waitcnt vmcnt(4)
	buffer_store_dword v6, v9, s[0:3], 0 offen offset:8
	s_waitcnt vmcnt(4)
	buffer_store_dword v7, v9, s[0:3], 0 offen offset:12
	buffer_store_dword v3, v0, s[0:3], 0 offen offset:12
	buffer_store_dword v2, v0, s[0:3], 0 offen offset:8
	buffer_store_dword v1, v0, s[0:3], 0 offen offset:4
	s_waitcnt vmcnt(7)
	buffer_store_dword v8, v0, s[0:3], 0 offen
.LBB118_390:
	s_or_b64 exec, exec, s[4:5]
	v_pk_mov_b32 v[0:1], s[10:11], s[10:11] op_sel:[0,1]
	flat_load_dword v0, v[0:1] offset:120
	s_waitcnt vmcnt(0) lgkmcnt(0)
	v_add_u32_e32 v0, -1, v0
	v_cmp_ne_u32_e32 vcc, 30, v0
	s_and_saveexec_b64 s[4:5], vcc
	s_cbranch_execz .LBB118_392
; %bb.391:
	v_mov_b32_e32 v1, 16
	v_accvgpr_read_b32 v9, a134
	v_lshl_add_u32 v0, v0, 4, v1
	buffer_load_dword v1, v9, s[0:3], 0 offen offset:4
	buffer_load_dword v2, v9, s[0:3], 0 offen offset:8
	buffer_load_dword v3, v9, s[0:3], 0 offen offset:12
	buffer_load_dword v4, v0, s[0:3], 0 offen
	buffer_load_dword v5, v0, s[0:3], 0 offen offset:4
	buffer_load_dword v6, v0, s[0:3], 0 offen offset:8
	buffer_load_dword v7, v0, s[0:3], 0 offen offset:12
	buffer_load_dword v8, v9, s[0:3], 0 offen
	s_waitcnt vmcnt(4)
	buffer_store_dword v4, v9, s[0:3], 0 offen
	s_waitcnt vmcnt(4)
	buffer_store_dword v5, v9, s[0:3], 0 offen offset:4
	s_waitcnt vmcnt(4)
	buffer_store_dword v6, v9, s[0:3], 0 offen offset:8
	s_waitcnt vmcnt(4)
	buffer_store_dword v7, v9, s[0:3], 0 offen offset:12
	buffer_store_dword v3, v0, s[0:3], 0 offen offset:12
	buffer_store_dword v2, v0, s[0:3], 0 offen offset:8
	buffer_store_dword v1, v0, s[0:3], 0 offen offset:4
	s_waitcnt vmcnt(7)
	buffer_store_dword v8, v0, s[0:3], 0 offen
.LBB118_392:
	s_or_b64 exec, exec, s[4:5]
	v_pk_mov_b32 v[0:1], s[10:11], s[10:11] op_sel:[0,1]
	flat_load_dword v0, v[0:1] offset:116
	s_waitcnt vmcnt(0) lgkmcnt(0)
	v_add_u32_e32 v0, -1, v0
	v_cmp_ne_u32_e32 vcc, 29, v0
	s_and_saveexec_b64 s[4:5], vcc
	s_cbranch_execz .LBB118_394
; %bb.393:
	v_mov_b32_e32 v1, 16
	v_accvgpr_read_b32 v9, a135
	v_lshl_add_u32 v0, v0, 4, v1
	buffer_load_dword v1, v9, s[0:3], 0 offen offset:4
	buffer_load_dword v2, v9, s[0:3], 0 offen offset:8
	buffer_load_dword v3, v9, s[0:3], 0 offen offset:12
	buffer_load_dword v4, v0, s[0:3], 0 offen
	buffer_load_dword v5, v0, s[0:3], 0 offen offset:4
	buffer_load_dword v6, v0, s[0:3], 0 offen offset:8
	buffer_load_dword v7, v0, s[0:3], 0 offen offset:12
	buffer_load_dword v8, v9, s[0:3], 0 offen
	s_waitcnt vmcnt(4)
	buffer_store_dword v4, v9, s[0:3], 0 offen
	s_waitcnt vmcnt(4)
	buffer_store_dword v5, v9, s[0:3], 0 offen offset:4
	s_waitcnt vmcnt(4)
	buffer_store_dword v6, v9, s[0:3], 0 offen offset:8
	s_waitcnt vmcnt(4)
	buffer_store_dword v7, v9, s[0:3], 0 offen offset:12
	buffer_store_dword v3, v0, s[0:3], 0 offen offset:12
	buffer_store_dword v2, v0, s[0:3], 0 offen offset:8
	buffer_store_dword v1, v0, s[0:3], 0 offen offset:4
	s_waitcnt vmcnt(7)
	buffer_store_dword v8, v0, s[0:3], 0 offen
.LBB118_394:
	s_or_b64 exec, exec, s[4:5]
	v_pk_mov_b32 v[0:1], s[10:11], s[10:11] op_sel:[0,1]
	flat_load_dword v0, v[0:1] offset:112
	s_waitcnt vmcnt(0) lgkmcnt(0)
	v_add_u32_e32 v0, -1, v0
	v_cmp_ne_u32_e32 vcc, 28, v0
	s_and_saveexec_b64 s[4:5], vcc
	s_cbranch_execz .LBB118_396
; %bb.395:
	v_mov_b32_e32 v1, 16
	v_accvgpr_read_b32 v9, a136
	v_lshl_add_u32 v0, v0, 4, v1
	buffer_load_dword v1, v9, s[0:3], 0 offen offset:4
	buffer_load_dword v2, v9, s[0:3], 0 offen offset:8
	buffer_load_dword v3, v9, s[0:3], 0 offen offset:12
	buffer_load_dword v4, v0, s[0:3], 0 offen
	buffer_load_dword v5, v0, s[0:3], 0 offen offset:4
	buffer_load_dword v6, v0, s[0:3], 0 offen offset:8
	buffer_load_dword v7, v0, s[0:3], 0 offen offset:12
	buffer_load_dword v8, v9, s[0:3], 0 offen
	s_waitcnt vmcnt(4)
	buffer_store_dword v4, v9, s[0:3], 0 offen
	s_waitcnt vmcnt(4)
	buffer_store_dword v5, v9, s[0:3], 0 offen offset:4
	s_waitcnt vmcnt(4)
	buffer_store_dword v6, v9, s[0:3], 0 offen offset:8
	s_waitcnt vmcnt(4)
	buffer_store_dword v7, v9, s[0:3], 0 offen offset:12
	buffer_store_dword v3, v0, s[0:3], 0 offen offset:12
	buffer_store_dword v2, v0, s[0:3], 0 offen offset:8
	buffer_store_dword v1, v0, s[0:3], 0 offen offset:4
	s_waitcnt vmcnt(7)
	buffer_store_dword v8, v0, s[0:3], 0 offen
.LBB118_396:
	s_or_b64 exec, exec, s[4:5]
	v_pk_mov_b32 v[0:1], s[10:11], s[10:11] op_sel:[0,1]
	flat_load_dword v0, v[0:1] offset:108
	s_waitcnt vmcnt(0) lgkmcnt(0)
	v_add_u32_e32 v0, -1, v0
	v_cmp_ne_u32_e32 vcc, 27, v0
	s_and_saveexec_b64 s[4:5], vcc
	s_cbranch_execz .LBB118_398
; %bb.397:
	v_mov_b32_e32 v1, 16
	v_accvgpr_read_b32 v9, a137
	v_lshl_add_u32 v0, v0, 4, v1
	buffer_load_dword v1, v9, s[0:3], 0 offen offset:4
	buffer_load_dword v2, v9, s[0:3], 0 offen offset:8
	buffer_load_dword v3, v9, s[0:3], 0 offen offset:12
	buffer_load_dword v4, v0, s[0:3], 0 offen
	buffer_load_dword v5, v0, s[0:3], 0 offen offset:4
	buffer_load_dword v6, v0, s[0:3], 0 offen offset:8
	buffer_load_dword v7, v0, s[0:3], 0 offen offset:12
	buffer_load_dword v8, v9, s[0:3], 0 offen
	s_waitcnt vmcnt(4)
	buffer_store_dword v4, v9, s[0:3], 0 offen
	s_waitcnt vmcnt(4)
	buffer_store_dword v5, v9, s[0:3], 0 offen offset:4
	s_waitcnt vmcnt(4)
	buffer_store_dword v6, v9, s[0:3], 0 offen offset:8
	s_waitcnt vmcnt(4)
	buffer_store_dword v7, v9, s[0:3], 0 offen offset:12
	buffer_store_dword v3, v0, s[0:3], 0 offen offset:12
	buffer_store_dword v2, v0, s[0:3], 0 offen offset:8
	buffer_store_dword v1, v0, s[0:3], 0 offen offset:4
	s_waitcnt vmcnt(7)
	buffer_store_dword v8, v0, s[0:3], 0 offen
.LBB118_398:
	s_or_b64 exec, exec, s[4:5]
	v_pk_mov_b32 v[0:1], s[10:11], s[10:11] op_sel:[0,1]
	flat_load_dword v0, v[0:1] offset:104
	s_waitcnt vmcnt(0) lgkmcnt(0)
	v_add_u32_e32 v0, -1, v0
	v_cmp_ne_u32_e32 vcc, 26, v0
	s_and_saveexec_b64 s[4:5], vcc
	s_cbranch_execz .LBB118_400
; %bb.399:
	v_mov_b32_e32 v1, 16
	v_accvgpr_read_b32 v9, a138
	v_lshl_add_u32 v0, v0, 4, v1
	buffer_load_dword v1, v9, s[0:3], 0 offen offset:4
	buffer_load_dword v2, v9, s[0:3], 0 offen offset:8
	buffer_load_dword v3, v9, s[0:3], 0 offen offset:12
	buffer_load_dword v4, v0, s[0:3], 0 offen
	buffer_load_dword v5, v0, s[0:3], 0 offen offset:4
	buffer_load_dword v6, v0, s[0:3], 0 offen offset:8
	buffer_load_dword v7, v0, s[0:3], 0 offen offset:12
	buffer_load_dword v8, v9, s[0:3], 0 offen
	s_waitcnt vmcnt(4)
	buffer_store_dword v4, v9, s[0:3], 0 offen
	s_waitcnt vmcnt(4)
	buffer_store_dword v5, v9, s[0:3], 0 offen offset:4
	s_waitcnt vmcnt(4)
	buffer_store_dword v6, v9, s[0:3], 0 offen offset:8
	s_waitcnt vmcnt(4)
	buffer_store_dword v7, v9, s[0:3], 0 offen offset:12
	buffer_store_dword v3, v0, s[0:3], 0 offen offset:12
	buffer_store_dword v2, v0, s[0:3], 0 offen offset:8
	buffer_store_dword v1, v0, s[0:3], 0 offen offset:4
	s_waitcnt vmcnt(7)
	buffer_store_dword v8, v0, s[0:3], 0 offen
.LBB118_400:
	s_or_b64 exec, exec, s[4:5]
	v_pk_mov_b32 v[0:1], s[10:11], s[10:11] op_sel:[0,1]
	flat_load_dword v0, v[0:1] offset:100
	s_waitcnt vmcnt(0) lgkmcnt(0)
	v_add_u32_e32 v0, -1, v0
	v_cmp_ne_u32_e32 vcc, 25, v0
	s_and_saveexec_b64 s[4:5], vcc
	s_cbranch_execz .LBB118_402
; %bb.401:
	v_mov_b32_e32 v1, 16
	v_accvgpr_read_b32 v9, a139
	v_lshl_add_u32 v0, v0, 4, v1
	buffer_load_dword v1, v9, s[0:3], 0 offen offset:4
	buffer_load_dword v2, v9, s[0:3], 0 offen offset:8
	buffer_load_dword v3, v9, s[0:3], 0 offen offset:12
	buffer_load_dword v4, v0, s[0:3], 0 offen
	buffer_load_dword v5, v0, s[0:3], 0 offen offset:4
	buffer_load_dword v6, v0, s[0:3], 0 offen offset:8
	buffer_load_dword v7, v0, s[0:3], 0 offen offset:12
	buffer_load_dword v8, v9, s[0:3], 0 offen
	s_waitcnt vmcnt(4)
	buffer_store_dword v4, v9, s[0:3], 0 offen
	s_waitcnt vmcnt(4)
	buffer_store_dword v5, v9, s[0:3], 0 offen offset:4
	s_waitcnt vmcnt(4)
	buffer_store_dword v6, v9, s[0:3], 0 offen offset:8
	s_waitcnt vmcnt(4)
	buffer_store_dword v7, v9, s[0:3], 0 offen offset:12
	buffer_store_dword v3, v0, s[0:3], 0 offen offset:12
	buffer_store_dword v2, v0, s[0:3], 0 offen offset:8
	buffer_store_dword v1, v0, s[0:3], 0 offen offset:4
	s_waitcnt vmcnt(7)
	buffer_store_dword v8, v0, s[0:3], 0 offen
.LBB118_402:
	s_or_b64 exec, exec, s[4:5]
	v_pk_mov_b32 v[0:1], s[10:11], s[10:11] op_sel:[0,1]
	flat_load_dword v0, v[0:1] offset:96
	s_waitcnt vmcnt(0) lgkmcnt(0)
	v_add_u32_e32 v0, -1, v0
	v_cmp_ne_u32_e32 vcc, 24, v0
	s_and_saveexec_b64 s[4:5], vcc
	s_cbranch_execz .LBB118_404
; %bb.403:
	v_mov_b32_e32 v1, 16
	v_accvgpr_read_b32 v9, a140
	v_lshl_add_u32 v0, v0, 4, v1
	buffer_load_dword v1, v9, s[0:3], 0 offen offset:4
	buffer_load_dword v2, v9, s[0:3], 0 offen offset:8
	buffer_load_dword v3, v9, s[0:3], 0 offen offset:12
	buffer_load_dword v4, v0, s[0:3], 0 offen
	buffer_load_dword v5, v0, s[0:3], 0 offen offset:4
	buffer_load_dword v6, v0, s[0:3], 0 offen offset:8
	buffer_load_dword v7, v0, s[0:3], 0 offen offset:12
	buffer_load_dword v8, v9, s[0:3], 0 offen
	s_waitcnt vmcnt(4)
	buffer_store_dword v4, v9, s[0:3], 0 offen
	s_waitcnt vmcnt(4)
	buffer_store_dword v5, v9, s[0:3], 0 offen offset:4
	s_waitcnt vmcnt(4)
	buffer_store_dword v6, v9, s[0:3], 0 offen offset:8
	s_waitcnt vmcnt(4)
	buffer_store_dword v7, v9, s[0:3], 0 offen offset:12
	buffer_store_dword v3, v0, s[0:3], 0 offen offset:12
	buffer_store_dword v2, v0, s[0:3], 0 offen offset:8
	buffer_store_dword v1, v0, s[0:3], 0 offen offset:4
	s_waitcnt vmcnt(7)
	buffer_store_dword v8, v0, s[0:3], 0 offen
.LBB118_404:
	s_or_b64 exec, exec, s[4:5]
	v_pk_mov_b32 v[0:1], s[10:11], s[10:11] op_sel:[0,1]
	flat_load_dword v0, v[0:1] offset:92
	s_waitcnt vmcnt(0) lgkmcnt(0)
	v_add_u32_e32 v0, -1, v0
	v_cmp_ne_u32_e32 vcc, 23, v0
	s_and_saveexec_b64 s[4:5], vcc
	s_cbranch_execz .LBB118_406
; %bb.405:
	v_mov_b32_e32 v1, 16
	v_accvgpr_read_b32 v9, a141
	v_lshl_add_u32 v0, v0, 4, v1
	buffer_load_dword v1, v9, s[0:3], 0 offen offset:4
	buffer_load_dword v2, v9, s[0:3], 0 offen offset:8
	buffer_load_dword v3, v9, s[0:3], 0 offen offset:12
	buffer_load_dword v4, v0, s[0:3], 0 offen
	buffer_load_dword v5, v0, s[0:3], 0 offen offset:4
	buffer_load_dword v6, v0, s[0:3], 0 offen offset:8
	buffer_load_dword v7, v0, s[0:3], 0 offen offset:12
	buffer_load_dword v8, v9, s[0:3], 0 offen
	s_waitcnt vmcnt(4)
	buffer_store_dword v4, v9, s[0:3], 0 offen
	s_waitcnt vmcnt(4)
	buffer_store_dword v5, v9, s[0:3], 0 offen offset:4
	s_waitcnt vmcnt(4)
	buffer_store_dword v6, v9, s[0:3], 0 offen offset:8
	s_waitcnt vmcnt(4)
	buffer_store_dword v7, v9, s[0:3], 0 offen offset:12
	buffer_store_dword v3, v0, s[0:3], 0 offen offset:12
	buffer_store_dword v2, v0, s[0:3], 0 offen offset:8
	buffer_store_dword v1, v0, s[0:3], 0 offen offset:4
	s_waitcnt vmcnt(7)
	buffer_store_dword v8, v0, s[0:3], 0 offen
.LBB118_406:
	s_or_b64 exec, exec, s[4:5]
	v_pk_mov_b32 v[0:1], s[10:11], s[10:11] op_sel:[0,1]
	flat_load_dword v0, v[0:1] offset:88
	s_waitcnt vmcnt(0) lgkmcnt(0)
	v_add_u32_e32 v0, -1, v0
	v_cmp_ne_u32_e32 vcc, 22, v0
	s_and_saveexec_b64 s[4:5], vcc
	s_cbranch_execz .LBB118_408
; %bb.407:
	v_mov_b32_e32 v1, 16
	v_accvgpr_read_b32 v9, a142
	v_lshl_add_u32 v0, v0, 4, v1
	buffer_load_dword v1, v9, s[0:3], 0 offen offset:4
	buffer_load_dword v2, v9, s[0:3], 0 offen offset:8
	buffer_load_dword v3, v9, s[0:3], 0 offen offset:12
	buffer_load_dword v4, v0, s[0:3], 0 offen
	buffer_load_dword v5, v0, s[0:3], 0 offen offset:4
	buffer_load_dword v6, v0, s[0:3], 0 offen offset:8
	buffer_load_dword v7, v0, s[0:3], 0 offen offset:12
	buffer_load_dword v8, v9, s[0:3], 0 offen
	s_waitcnt vmcnt(4)
	buffer_store_dword v4, v9, s[0:3], 0 offen
	s_waitcnt vmcnt(4)
	buffer_store_dword v5, v9, s[0:3], 0 offen offset:4
	s_waitcnt vmcnt(4)
	buffer_store_dword v6, v9, s[0:3], 0 offen offset:8
	s_waitcnt vmcnt(4)
	buffer_store_dword v7, v9, s[0:3], 0 offen offset:12
	buffer_store_dword v3, v0, s[0:3], 0 offen offset:12
	buffer_store_dword v2, v0, s[0:3], 0 offen offset:8
	buffer_store_dword v1, v0, s[0:3], 0 offen offset:4
	s_waitcnt vmcnt(7)
	buffer_store_dword v8, v0, s[0:3], 0 offen
.LBB118_408:
	s_or_b64 exec, exec, s[4:5]
	v_pk_mov_b32 v[0:1], s[10:11], s[10:11] op_sel:[0,1]
	flat_load_dword v0, v[0:1] offset:84
	s_waitcnt vmcnt(0) lgkmcnt(0)
	v_add_u32_e32 v0, -1, v0
	v_cmp_ne_u32_e32 vcc, 21, v0
	s_and_saveexec_b64 s[4:5], vcc
	s_cbranch_execz .LBB118_410
; %bb.409:
	v_mov_b32_e32 v1, 16
	v_accvgpr_read_b32 v9, a143
	v_lshl_add_u32 v0, v0, 4, v1
	buffer_load_dword v1, v9, s[0:3], 0 offen offset:4
	buffer_load_dword v2, v9, s[0:3], 0 offen offset:8
	buffer_load_dword v3, v9, s[0:3], 0 offen offset:12
	buffer_load_dword v4, v0, s[0:3], 0 offen
	buffer_load_dword v5, v0, s[0:3], 0 offen offset:4
	buffer_load_dword v6, v0, s[0:3], 0 offen offset:8
	buffer_load_dword v7, v0, s[0:3], 0 offen offset:12
	buffer_load_dword v8, v9, s[0:3], 0 offen
	s_waitcnt vmcnt(4)
	buffer_store_dword v4, v9, s[0:3], 0 offen
	s_waitcnt vmcnt(4)
	buffer_store_dword v5, v9, s[0:3], 0 offen offset:4
	s_waitcnt vmcnt(4)
	buffer_store_dword v6, v9, s[0:3], 0 offen offset:8
	s_waitcnt vmcnt(4)
	buffer_store_dword v7, v9, s[0:3], 0 offen offset:12
	buffer_store_dword v3, v0, s[0:3], 0 offen offset:12
	buffer_store_dword v2, v0, s[0:3], 0 offen offset:8
	buffer_store_dword v1, v0, s[0:3], 0 offen offset:4
	s_waitcnt vmcnt(7)
	buffer_store_dword v8, v0, s[0:3], 0 offen
.LBB118_410:
	s_or_b64 exec, exec, s[4:5]
	v_pk_mov_b32 v[0:1], s[10:11], s[10:11] op_sel:[0,1]
	flat_load_dword v0, v[0:1] offset:80
	s_waitcnt vmcnt(0) lgkmcnt(0)
	v_add_u32_e32 v0, -1, v0
	v_cmp_ne_u32_e32 vcc, 20, v0
	s_and_saveexec_b64 s[4:5], vcc
	s_cbranch_execz .LBB118_412
; %bb.411:
	v_mov_b32_e32 v1, 16
	v_accvgpr_read_b32 v9, a144
	v_lshl_add_u32 v0, v0, 4, v1
	buffer_load_dword v1, v9, s[0:3], 0 offen offset:4
	buffer_load_dword v2, v9, s[0:3], 0 offen offset:8
	buffer_load_dword v3, v9, s[0:3], 0 offen offset:12
	buffer_load_dword v4, v0, s[0:3], 0 offen
	buffer_load_dword v5, v0, s[0:3], 0 offen offset:4
	buffer_load_dword v6, v0, s[0:3], 0 offen offset:8
	buffer_load_dword v7, v0, s[0:3], 0 offen offset:12
	buffer_load_dword v8, v9, s[0:3], 0 offen
	s_waitcnt vmcnt(4)
	buffer_store_dword v4, v9, s[0:3], 0 offen
	s_waitcnt vmcnt(4)
	buffer_store_dword v5, v9, s[0:3], 0 offen offset:4
	s_waitcnt vmcnt(4)
	buffer_store_dword v6, v9, s[0:3], 0 offen offset:8
	s_waitcnt vmcnt(4)
	buffer_store_dword v7, v9, s[0:3], 0 offen offset:12
	buffer_store_dword v3, v0, s[0:3], 0 offen offset:12
	buffer_store_dword v2, v0, s[0:3], 0 offen offset:8
	buffer_store_dword v1, v0, s[0:3], 0 offen offset:4
	s_waitcnt vmcnt(7)
	buffer_store_dword v8, v0, s[0:3], 0 offen
.LBB118_412:
	s_or_b64 exec, exec, s[4:5]
	v_pk_mov_b32 v[0:1], s[10:11], s[10:11] op_sel:[0,1]
	flat_load_dword v0, v[0:1] offset:76
	s_waitcnt vmcnt(0) lgkmcnt(0)
	v_add_u32_e32 v0, -1, v0
	v_cmp_ne_u32_e32 vcc, 19, v0
	s_and_saveexec_b64 s[4:5], vcc
	s_cbranch_execz .LBB118_414
; %bb.413:
	v_mov_b32_e32 v1, 16
	v_accvgpr_read_b32 v9, a145
	v_lshl_add_u32 v0, v0, 4, v1
	buffer_load_dword v1, v9, s[0:3], 0 offen offset:4
	buffer_load_dword v2, v9, s[0:3], 0 offen offset:8
	buffer_load_dword v3, v9, s[0:3], 0 offen offset:12
	buffer_load_dword v4, v0, s[0:3], 0 offen
	buffer_load_dword v5, v0, s[0:3], 0 offen offset:4
	buffer_load_dword v6, v0, s[0:3], 0 offen offset:8
	buffer_load_dword v7, v0, s[0:3], 0 offen offset:12
	buffer_load_dword v8, v9, s[0:3], 0 offen
	s_waitcnt vmcnt(4)
	buffer_store_dword v4, v9, s[0:3], 0 offen
	s_waitcnt vmcnt(4)
	buffer_store_dword v5, v9, s[0:3], 0 offen offset:4
	s_waitcnt vmcnt(4)
	buffer_store_dword v6, v9, s[0:3], 0 offen offset:8
	s_waitcnt vmcnt(4)
	buffer_store_dword v7, v9, s[0:3], 0 offen offset:12
	buffer_store_dword v3, v0, s[0:3], 0 offen offset:12
	buffer_store_dword v2, v0, s[0:3], 0 offen offset:8
	buffer_store_dword v1, v0, s[0:3], 0 offen offset:4
	s_waitcnt vmcnt(7)
	buffer_store_dword v8, v0, s[0:3], 0 offen
.LBB118_414:
	s_or_b64 exec, exec, s[4:5]
	v_pk_mov_b32 v[0:1], s[10:11], s[10:11] op_sel:[0,1]
	flat_load_dword v0, v[0:1] offset:72
	s_waitcnt vmcnt(0) lgkmcnt(0)
	v_add_u32_e32 v0, -1, v0
	v_cmp_ne_u32_e32 vcc, 18, v0
	s_and_saveexec_b64 s[4:5], vcc
	s_cbranch_execz .LBB118_416
; %bb.415:
	v_mov_b32_e32 v1, 16
	v_accvgpr_read_b32 v9, a146
	v_lshl_add_u32 v0, v0, 4, v1
	buffer_load_dword v1, v9, s[0:3], 0 offen offset:4
	buffer_load_dword v2, v9, s[0:3], 0 offen offset:8
	buffer_load_dword v3, v9, s[0:3], 0 offen offset:12
	buffer_load_dword v4, v0, s[0:3], 0 offen
	buffer_load_dword v5, v0, s[0:3], 0 offen offset:4
	buffer_load_dword v6, v0, s[0:3], 0 offen offset:8
	buffer_load_dword v7, v0, s[0:3], 0 offen offset:12
	buffer_load_dword v8, v9, s[0:3], 0 offen
	s_waitcnt vmcnt(4)
	buffer_store_dword v4, v9, s[0:3], 0 offen
	s_waitcnt vmcnt(4)
	buffer_store_dword v5, v9, s[0:3], 0 offen offset:4
	s_waitcnt vmcnt(4)
	buffer_store_dword v6, v9, s[0:3], 0 offen offset:8
	s_waitcnt vmcnt(4)
	buffer_store_dword v7, v9, s[0:3], 0 offen offset:12
	buffer_store_dword v3, v0, s[0:3], 0 offen offset:12
	buffer_store_dword v2, v0, s[0:3], 0 offen offset:8
	buffer_store_dword v1, v0, s[0:3], 0 offen offset:4
	s_waitcnt vmcnt(7)
	buffer_store_dword v8, v0, s[0:3], 0 offen
.LBB118_416:
	s_or_b64 exec, exec, s[4:5]
	v_pk_mov_b32 v[0:1], s[10:11], s[10:11] op_sel:[0,1]
	flat_load_dword v0, v[0:1] offset:68
	s_waitcnt vmcnt(0) lgkmcnt(0)
	v_add_u32_e32 v0, -1, v0
	v_cmp_ne_u32_e32 vcc, 17, v0
	s_and_saveexec_b64 s[4:5], vcc
	s_cbranch_execz .LBB118_418
; %bb.417:
	v_mov_b32_e32 v1, 16
	v_accvgpr_read_b32 v9, a147
	v_lshl_add_u32 v0, v0, 4, v1
	buffer_load_dword v1, v9, s[0:3], 0 offen offset:4
	buffer_load_dword v2, v9, s[0:3], 0 offen offset:8
	buffer_load_dword v3, v9, s[0:3], 0 offen offset:12
	buffer_load_dword v4, v0, s[0:3], 0 offen
	buffer_load_dword v5, v0, s[0:3], 0 offen offset:4
	buffer_load_dword v6, v0, s[0:3], 0 offen offset:8
	buffer_load_dword v7, v0, s[0:3], 0 offen offset:12
	buffer_load_dword v8, v9, s[0:3], 0 offen
	s_waitcnt vmcnt(4)
	buffer_store_dword v4, v9, s[0:3], 0 offen
	s_waitcnt vmcnt(4)
	buffer_store_dword v5, v9, s[0:3], 0 offen offset:4
	s_waitcnt vmcnt(4)
	buffer_store_dword v6, v9, s[0:3], 0 offen offset:8
	s_waitcnt vmcnt(4)
	buffer_store_dword v7, v9, s[0:3], 0 offen offset:12
	buffer_store_dword v3, v0, s[0:3], 0 offen offset:12
	buffer_store_dword v2, v0, s[0:3], 0 offen offset:8
	buffer_store_dword v1, v0, s[0:3], 0 offen offset:4
	s_waitcnt vmcnt(7)
	buffer_store_dword v8, v0, s[0:3], 0 offen
.LBB118_418:
	s_or_b64 exec, exec, s[4:5]
	v_pk_mov_b32 v[0:1], s[10:11], s[10:11] op_sel:[0,1]
	flat_load_dword v0, v[0:1] offset:64
	s_waitcnt vmcnt(0) lgkmcnt(0)
	v_add_u32_e32 v0, -1, v0
	v_cmp_ne_u32_e32 vcc, 16, v0
	s_and_saveexec_b64 s[4:5], vcc
	s_cbranch_execz .LBB118_420
; %bb.419:
	v_mov_b32_e32 v1, 16
	v_accvgpr_read_b32 v9, a148
	v_lshl_add_u32 v0, v0, 4, v1
	buffer_load_dword v1, v9, s[0:3], 0 offen offset:4
	buffer_load_dword v2, v9, s[0:3], 0 offen offset:8
	buffer_load_dword v3, v9, s[0:3], 0 offen offset:12
	buffer_load_dword v4, v0, s[0:3], 0 offen
	buffer_load_dword v5, v0, s[0:3], 0 offen offset:4
	buffer_load_dword v6, v0, s[0:3], 0 offen offset:8
	buffer_load_dword v7, v0, s[0:3], 0 offen offset:12
	buffer_load_dword v8, v9, s[0:3], 0 offen
	s_waitcnt vmcnt(4)
	buffer_store_dword v4, v9, s[0:3], 0 offen
	s_waitcnt vmcnt(4)
	buffer_store_dword v5, v9, s[0:3], 0 offen offset:4
	s_waitcnt vmcnt(4)
	buffer_store_dword v6, v9, s[0:3], 0 offen offset:8
	s_waitcnt vmcnt(4)
	buffer_store_dword v7, v9, s[0:3], 0 offen offset:12
	buffer_store_dword v3, v0, s[0:3], 0 offen offset:12
	buffer_store_dword v2, v0, s[0:3], 0 offen offset:8
	buffer_store_dword v1, v0, s[0:3], 0 offen offset:4
	s_waitcnt vmcnt(7)
	buffer_store_dword v8, v0, s[0:3], 0 offen
.LBB118_420:
	s_or_b64 exec, exec, s[4:5]
	v_pk_mov_b32 v[0:1], s[10:11], s[10:11] op_sel:[0,1]
	flat_load_dword v0, v[0:1] offset:60
	s_waitcnt vmcnt(0) lgkmcnt(0)
	v_add_u32_e32 v0, -1, v0
	v_cmp_ne_u32_e32 vcc, 15, v0
	s_and_saveexec_b64 s[4:5], vcc
	s_cbranch_execz .LBB118_422
; %bb.421:
	v_mov_b32_e32 v1, 16
	v_accvgpr_read_b32 v9, a149
	v_lshl_add_u32 v0, v0, 4, v1
	buffer_load_dword v1, v9, s[0:3], 0 offen offset:4
	buffer_load_dword v2, v9, s[0:3], 0 offen offset:8
	buffer_load_dword v3, v9, s[0:3], 0 offen offset:12
	buffer_load_dword v4, v0, s[0:3], 0 offen
	buffer_load_dword v5, v0, s[0:3], 0 offen offset:4
	buffer_load_dword v6, v0, s[0:3], 0 offen offset:8
	buffer_load_dword v7, v0, s[0:3], 0 offen offset:12
	buffer_load_dword v8, v9, s[0:3], 0 offen
	s_waitcnt vmcnt(4)
	buffer_store_dword v4, v9, s[0:3], 0 offen
	s_waitcnt vmcnt(4)
	buffer_store_dword v5, v9, s[0:3], 0 offen offset:4
	s_waitcnt vmcnt(4)
	buffer_store_dword v6, v9, s[0:3], 0 offen offset:8
	s_waitcnt vmcnt(4)
	buffer_store_dword v7, v9, s[0:3], 0 offen offset:12
	buffer_store_dword v3, v0, s[0:3], 0 offen offset:12
	buffer_store_dword v2, v0, s[0:3], 0 offen offset:8
	buffer_store_dword v1, v0, s[0:3], 0 offen offset:4
	s_waitcnt vmcnt(7)
	buffer_store_dword v8, v0, s[0:3], 0 offen
.LBB118_422:
	s_or_b64 exec, exec, s[4:5]
	v_pk_mov_b32 v[0:1], s[10:11], s[10:11] op_sel:[0,1]
	flat_load_dword v0, v[0:1] offset:56
	s_waitcnt vmcnt(0) lgkmcnt(0)
	v_add_u32_e32 v0, -1, v0
	v_cmp_ne_u32_e32 vcc, 14, v0
	s_and_saveexec_b64 s[4:5], vcc
	s_cbranch_execz .LBB118_424
; %bb.423:
	v_mov_b32_e32 v1, 16
	v_accvgpr_read_b32 v9, a150
	v_lshl_add_u32 v0, v0, 4, v1
	buffer_load_dword v1, v9, s[0:3], 0 offen offset:4
	buffer_load_dword v2, v9, s[0:3], 0 offen offset:8
	buffer_load_dword v3, v9, s[0:3], 0 offen offset:12
	buffer_load_dword v4, v0, s[0:3], 0 offen
	buffer_load_dword v5, v0, s[0:3], 0 offen offset:4
	buffer_load_dword v6, v0, s[0:3], 0 offen offset:8
	buffer_load_dword v7, v0, s[0:3], 0 offen offset:12
	buffer_load_dword v8, v9, s[0:3], 0 offen
	s_waitcnt vmcnt(4)
	buffer_store_dword v4, v9, s[0:3], 0 offen
	s_waitcnt vmcnt(4)
	buffer_store_dword v5, v9, s[0:3], 0 offen offset:4
	s_waitcnt vmcnt(4)
	buffer_store_dword v6, v9, s[0:3], 0 offen offset:8
	s_waitcnt vmcnt(4)
	buffer_store_dword v7, v9, s[0:3], 0 offen offset:12
	buffer_store_dword v3, v0, s[0:3], 0 offen offset:12
	buffer_store_dword v2, v0, s[0:3], 0 offen offset:8
	buffer_store_dword v1, v0, s[0:3], 0 offen offset:4
	s_waitcnt vmcnt(7)
	buffer_store_dword v8, v0, s[0:3], 0 offen
.LBB118_424:
	s_or_b64 exec, exec, s[4:5]
	v_pk_mov_b32 v[0:1], s[10:11], s[10:11] op_sel:[0,1]
	flat_load_dword v0, v[0:1] offset:52
	s_waitcnt vmcnt(0) lgkmcnt(0)
	v_add_u32_e32 v0, -1, v0
	v_cmp_ne_u32_e32 vcc, 13, v0
	s_and_saveexec_b64 s[4:5], vcc
	s_cbranch_execz .LBB118_426
; %bb.425:
	v_mov_b32_e32 v1, 16
	v_accvgpr_read_b32 v9, a151
	v_lshl_add_u32 v0, v0, 4, v1
	buffer_load_dword v1, v9, s[0:3], 0 offen offset:4
	buffer_load_dword v2, v9, s[0:3], 0 offen offset:8
	buffer_load_dword v3, v9, s[0:3], 0 offen offset:12
	buffer_load_dword v4, v0, s[0:3], 0 offen
	buffer_load_dword v5, v0, s[0:3], 0 offen offset:4
	buffer_load_dword v6, v0, s[0:3], 0 offen offset:8
	buffer_load_dword v7, v0, s[0:3], 0 offen offset:12
	buffer_load_dword v8, v9, s[0:3], 0 offen
	s_waitcnt vmcnt(4)
	buffer_store_dword v4, v9, s[0:3], 0 offen
	s_waitcnt vmcnt(4)
	buffer_store_dword v5, v9, s[0:3], 0 offen offset:4
	s_waitcnt vmcnt(4)
	buffer_store_dword v6, v9, s[0:3], 0 offen offset:8
	s_waitcnt vmcnt(4)
	buffer_store_dword v7, v9, s[0:3], 0 offen offset:12
	buffer_store_dword v3, v0, s[0:3], 0 offen offset:12
	buffer_store_dword v2, v0, s[0:3], 0 offen offset:8
	buffer_store_dword v1, v0, s[0:3], 0 offen offset:4
	s_waitcnt vmcnt(7)
	buffer_store_dword v8, v0, s[0:3], 0 offen
.LBB118_426:
	s_or_b64 exec, exec, s[4:5]
	v_pk_mov_b32 v[0:1], s[10:11], s[10:11] op_sel:[0,1]
	flat_load_dword v0, v[0:1] offset:48
	s_waitcnt vmcnt(0) lgkmcnt(0)
	v_add_u32_e32 v0, -1, v0
	v_cmp_ne_u32_e32 vcc, 12, v0
	s_and_saveexec_b64 s[4:5], vcc
	s_cbranch_execz .LBB118_428
; %bb.427:
	v_mov_b32_e32 v1, 16
	v_accvgpr_read_b32 v9, a152
	v_lshl_add_u32 v0, v0, 4, v1
	buffer_load_dword v1, v9, s[0:3], 0 offen offset:4
	buffer_load_dword v2, v9, s[0:3], 0 offen offset:8
	buffer_load_dword v3, v9, s[0:3], 0 offen offset:12
	buffer_load_dword v4, v0, s[0:3], 0 offen
	buffer_load_dword v5, v0, s[0:3], 0 offen offset:4
	buffer_load_dword v6, v0, s[0:3], 0 offen offset:8
	buffer_load_dword v7, v0, s[0:3], 0 offen offset:12
	buffer_load_dword v8, v9, s[0:3], 0 offen
	s_waitcnt vmcnt(4)
	buffer_store_dword v4, v9, s[0:3], 0 offen
	s_waitcnt vmcnt(4)
	buffer_store_dword v5, v9, s[0:3], 0 offen offset:4
	s_waitcnt vmcnt(4)
	buffer_store_dword v6, v9, s[0:3], 0 offen offset:8
	s_waitcnt vmcnt(4)
	buffer_store_dword v7, v9, s[0:3], 0 offen offset:12
	buffer_store_dword v3, v0, s[0:3], 0 offen offset:12
	buffer_store_dword v2, v0, s[0:3], 0 offen offset:8
	buffer_store_dword v1, v0, s[0:3], 0 offen offset:4
	s_waitcnt vmcnt(7)
	buffer_store_dword v8, v0, s[0:3], 0 offen
.LBB118_428:
	s_or_b64 exec, exec, s[4:5]
	v_pk_mov_b32 v[0:1], s[10:11], s[10:11] op_sel:[0,1]
	flat_load_dword v0, v[0:1] offset:44
	s_waitcnt vmcnt(0) lgkmcnt(0)
	v_add_u32_e32 v0, -1, v0
	v_cmp_ne_u32_e32 vcc, 11, v0
	s_and_saveexec_b64 s[4:5], vcc
	s_cbranch_execz .LBB118_430
; %bb.429:
	v_mov_b32_e32 v1, 16
	v_accvgpr_read_b32 v9, a153
	v_lshl_add_u32 v0, v0, 4, v1
	buffer_load_dword v1, v9, s[0:3], 0 offen offset:4
	buffer_load_dword v2, v9, s[0:3], 0 offen offset:8
	buffer_load_dword v3, v9, s[0:3], 0 offen offset:12
	buffer_load_dword v4, v0, s[0:3], 0 offen
	buffer_load_dword v5, v0, s[0:3], 0 offen offset:4
	buffer_load_dword v6, v0, s[0:3], 0 offen offset:8
	buffer_load_dword v7, v0, s[0:3], 0 offen offset:12
	buffer_load_dword v8, v9, s[0:3], 0 offen
	s_waitcnt vmcnt(4)
	buffer_store_dword v4, v9, s[0:3], 0 offen
	s_waitcnt vmcnt(4)
	buffer_store_dword v5, v9, s[0:3], 0 offen offset:4
	s_waitcnt vmcnt(4)
	buffer_store_dword v6, v9, s[0:3], 0 offen offset:8
	s_waitcnt vmcnt(4)
	buffer_store_dword v7, v9, s[0:3], 0 offen offset:12
	buffer_store_dword v3, v0, s[0:3], 0 offen offset:12
	buffer_store_dword v2, v0, s[0:3], 0 offen offset:8
	buffer_store_dword v1, v0, s[0:3], 0 offen offset:4
	s_waitcnt vmcnt(7)
	buffer_store_dword v8, v0, s[0:3], 0 offen
.LBB118_430:
	s_or_b64 exec, exec, s[4:5]
	v_pk_mov_b32 v[0:1], s[10:11], s[10:11] op_sel:[0,1]
	flat_load_dword v0, v[0:1] offset:40
	s_waitcnt vmcnt(0) lgkmcnt(0)
	v_add_u32_e32 v0, -1, v0
	v_cmp_ne_u32_e32 vcc, 10, v0
	s_and_saveexec_b64 s[4:5], vcc
	s_cbranch_execz .LBB118_432
; %bb.431:
	v_mov_b32_e32 v1, 16
	v_accvgpr_read_b32 v9, a154
	v_lshl_add_u32 v0, v0, 4, v1
	buffer_load_dword v1, v9, s[0:3], 0 offen offset:4
	buffer_load_dword v2, v9, s[0:3], 0 offen offset:8
	buffer_load_dword v3, v9, s[0:3], 0 offen offset:12
	buffer_load_dword v4, v0, s[0:3], 0 offen
	buffer_load_dword v5, v0, s[0:3], 0 offen offset:4
	buffer_load_dword v6, v0, s[0:3], 0 offen offset:8
	buffer_load_dword v7, v0, s[0:3], 0 offen offset:12
	buffer_load_dword v8, v9, s[0:3], 0 offen
	s_waitcnt vmcnt(4)
	buffer_store_dword v4, v9, s[0:3], 0 offen
	s_waitcnt vmcnt(4)
	buffer_store_dword v5, v9, s[0:3], 0 offen offset:4
	s_waitcnt vmcnt(4)
	buffer_store_dword v6, v9, s[0:3], 0 offen offset:8
	s_waitcnt vmcnt(4)
	buffer_store_dword v7, v9, s[0:3], 0 offen offset:12
	buffer_store_dword v3, v0, s[0:3], 0 offen offset:12
	buffer_store_dword v2, v0, s[0:3], 0 offen offset:8
	buffer_store_dword v1, v0, s[0:3], 0 offen offset:4
	s_waitcnt vmcnt(7)
	buffer_store_dword v8, v0, s[0:3], 0 offen
.LBB118_432:
	s_or_b64 exec, exec, s[4:5]
	v_pk_mov_b32 v[0:1], s[10:11], s[10:11] op_sel:[0,1]
	flat_load_dword v0, v[0:1] offset:36
	s_waitcnt vmcnt(0) lgkmcnt(0)
	v_add_u32_e32 v0, -1, v0
	v_cmp_ne_u32_e32 vcc, 9, v0
	s_and_saveexec_b64 s[4:5], vcc
	s_cbranch_execz .LBB118_434
; %bb.433:
	v_mov_b32_e32 v1, 16
	v_accvgpr_read_b32 v9, a155
	v_lshl_add_u32 v0, v0, 4, v1
	buffer_load_dword v1, v9, s[0:3], 0 offen offset:4
	buffer_load_dword v2, v9, s[0:3], 0 offen offset:8
	buffer_load_dword v3, v9, s[0:3], 0 offen offset:12
	buffer_load_dword v4, v0, s[0:3], 0 offen
	buffer_load_dword v5, v0, s[0:3], 0 offen offset:4
	buffer_load_dword v6, v0, s[0:3], 0 offen offset:8
	buffer_load_dword v7, v0, s[0:3], 0 offen offset:12
	buffer_load_dword v8, v9, s[0:3], 0 offen
	s_waitcnt vmcnt(4)
	buffer_store_dword v4, v9, s[0:3], 0 offen
	s_waitcnt vmcnt(4)
	buffer_store_dword v5, v9, s[0:3], 0 offen offset:4
	s_waitcnt vmcnt(4)
	buffer_store_dword v6, v9, s[0:3], 0 offen offset:8
	s_waitcnt vmcnt(4)
	buffer_store_dword v7, v9, s[0:3], 0 offen offset:12
	buffer_store_dword v3, v0, s[0:3], 0 offen offset:12
	buffer_store_dword v2, v0, s[0:3], 0 offen offset:8
	buffer_store_dword v1, v0, s[0:3], 0 offen offset:4
	s_waitcnt vmcnt(7)
	buffer_store_dword v8, v0, s[0:3], 0 offen
.LBB118_434:
	s_or_b64 exec, exec, s[4:5]
	v_pk_mov_b32 v[0:1], s[10:11], s[10:11] op_sel:[0,1]
	flat_load_dword v0, v[0:1] offset:32
	s_waitcnt vmcnt(0) lgkmcnt(0)
	v_add_u32_e32 v0, -1, v0
	v_cmp_ne_u32_e32 vcc, 8, v0
	s_and_saveexec_b64 s[4:5], vcc
	s_cbranch_execz .LBB118_436
; %bb.435:
	v_mov_b32_e32 v1, 16
	v_accvgpr_read_b32 v9, a156
	v_lshl_add_u32 v0, v0, 4, v1
	buffer_load_dword v1, v9, s[0:3], 0 offen offset:4
	buffer_load_dword v2, v9, s[0:3], 0 offen offset:8
	buffer_load_dword v3, v9, s[0:3], 0 offen offset:12
	buffer_load_dword v4, v0, s[0:3], 0 offen
	buffer_load_dword v5, v0, s[0:3], 0 offen offset:4
	buffer_load_dword v6, v0, s[0:3], 0 offen offset:8
	buffer_load_dword v7, v0, s[0:3], 0 offen offset:12
	buffer_load_dword v8, v9, s[0:3], 0 offen
	s_waitcnt vmcnt(4)
	buffer_store_dword v4, v9, s[0:3], 0 offen
	s_waitcnt vmcnt(4)
	buffer_store_dword v5, v9, s[0:3], 0 offen offset:4
	s_waitcnt vmcnt(4)
	buffer_store_dword v6, v9, s[0:3], 0 offen offset:8
	s_waitcnt vmcnt(4)
	buffer_store_dword v7, v9, s[0:3], 0 offen offset:12
	buffer_store_dword v3, v0, s[0:3], 0 offen offset:12
	buffer_store_dword v2, v0, s[0:3], 0 offen offset:8
	buffer_store_dword v1, v0, s[0:3], 0 offen offset:4
	s_waitcnt vmcnt(7)
	buffer_store_dword v8, v0, s[0:3], 0 offen
.LBB118_436:
	s_or_b64 exec, exec, s[4:5]
	v_pk_mov_b32 v[0:1], s[10:11], s[10:11] op_sel:[0,1]
	flat_load_dword v0, v[0:1] offset:28
	s_waitcnt vmcnt(0) lgkmcnt(0)
	v_add_u32_e32 v0, -1, v0
	v_cmp_ne_u32_e32 vcc, 7, v0
	s_and_saveexec_b64 s[4:5], vcc
	s_cbranch_execz .LBB118_438
; %bb.437:
	v_mov_b32_e32 v1, 16
	v_accvgpr_read_b32 v9, a157
	v_lshl_add_u32 v0, v0, 4, v1
	buffer_load_dword v1, v9, s[0:3], 0 offen offset:4
	buffer_load_dword v2, v9, s[0:3], 0 offen offset:8
	buffer_load_dword v3, v9, s[0:3], 0 offen offset:12
	buffer_load_dword v4, v0, s[0:3], 0 offen
	buffer_load_dword v5, v0, s[0:3], 0 offen offset:4
	buffer_load_dword v6, v0, s[0:3], 0 offen offset:8
	buffer_load_dword v7, v0, s[0:3], 0 offen offset:12
	buffer_load_dword v8, v9, s[0:3], 0 offen
	s_waitcnt vmcnt(4)
	buffer_store_dword v4, v9, s[0:3], 0 offen
	s_waitcnt vmcnt(4)
	buffer_store_dword v5, v9, s[0:3], 0 offen offset:4
	s_waitcnt vmcnt(4)
	buffer_store_dword v6, v9, s[0:3], 0 offen offset:8
	s_waitcnt vmcnt(4)
	buffer_store_dword v7, v9, s[0:3], 0 offen offset:12
	buffer_store_dword v3, v0, s[0:3], 0 offen offset:12
	buffer_store_dword v2, v0, s[0:3], 0 offen offset:8
	buffer_store_dword v1, v0, s[0:3], 0 offen offset:4
	s_waitcnt vmcnt(7)
	buffer_store_dword v8, v0, s[0:3], 0 offen
.LBB118_438:
	s_or_b64 exec, exec, s[4:5]
	v_pk_mov_b32 v[0:1], s[10:11], s[10:11] op_sel:[0,1]
	flat_load_dword v0, v[0:1] offset:24
	s_waitcnt vmcnt(0) lgkmcnt(0)
	v_add_u32_e32 v0, -1, v0
	v_cmp_ne_u32_e32 vcc, 6, v0
	s_and_saveexec_b64 s[4:5], vcc
	s_cbranch_execz .LBB118_440
; %bb.439:
	v_mov_b32_e32 v1, 16
	v_accvgpr_read_b32 v9, a158
	v_lshl_add_u32 v0, v0, 4, v1
	buffer_load_dword v1, v9, s[0:3], 0 offen offset:4
	buffer_load_dword v2, v9, s[0:3], 0 offen offset:8
	buffer_load_dword v3, v9, s[0:3], 0 offen offset:12
	buffer_load_dword v4, v0, s[0:3], 0 offen
	buffer_load_dword v5, v0, s[0:3], 0 offen offset:4
	buffer_load_dword v6, v0, s[0:3], 0 offen offset:8
	buffer_load_dword v7, v0, s[0:3], 0 offen offset:12
	buffer_load_dword v8, v9, s[0:3], 0 offen
	s_waitcnt vmcnt(4)
	buffer_store_dword v4, v9, s[0:3], 0 offen
	s_waitcnt vmcnt(4)
	buffer_store_dword v5, v9, s[0:3], 0 offen offset:4
	s_waitcnt vmcnt(4)
	buffer_store_dword v6, v9, s[0:3], 0 offen offset:8
	s_waitcnt vmcnt(4)
	buffer_store_dword v7, v9, s[0:3], 0 offen offset:12
	buffer_store_dword v3, v0, s[0:3], 0 offen offset:12
	buffer_store_dword v2, v0, s[0:3], 0 offen offset:8
	buffer_store_dword v1, v0, s[0:3], 0 offen offset:4
	s_waitcnt vmcnt(7)
	buffer_store_dword v8, v0, s[0:3], 0 offen
.LBB118_440:
	s_or_b64 exec, exec, s[4:5]
	v_pk_mov_b32 v[0:1], s[10:11], s[10:11] op_sel:[0,1]
	flat_load_dword v0, v[0:1] offset:20
	s_waitcnt vmcnt(0) lgkmcnt(0)
	v_add_u32_e32 v0, -1, v0
	v_cmp_ne_u32_e32 vcc, 5, v0
	s_and_saveexec_b64 s[4:5], vcc
	s_cbranch_execz .LBB118_442
; %bb.441:
	v_mov_b32_e32 v1, 16
	v_accvgpr_read_b32 v9, a159
	v_lshl_add_u32 v0, v0, 4, v1
	buffer_load_dword v1, v9, s[0:3], 0 offen offset:4
	buffer_load_dword v2, v9, s[0:3], 0 offen offset:8
	buffer_load_dword v3, v9, s[0:3], 0 offen offset:12
	buffer_load_dword v4, v0, s[0:3], 0 offen
	buffer_load_dword v5, v0, s[0:3], 0 offen offset:4
	buffer_load_dword v6, v0, s[0:3], 0 offen offset:8
	buffer_load_dword v7, v0, s[0:3], 0 offen offset:12
	buffer_load_dword v8, v9, s[0:3], 0 offen
	s_waitcnt vmcnt(4)
	buffer_store_dword v4, v9, s[0:3], 0 offen
	s_waitcnt vmcnt(4)
	buffer_store_dword v5, v9, s[0:3], 0 offen offset:4
	s_waitcnt vmcnt(4)
	buffer_store_dword v6, v9, s[0:3], 0 offen offset:8
	s_waitcnt vmcnt(4)
	buffer_store_dword v7, v9, s[0:3], 0 offen offset:12
	buffer_store_dword v3, v0, s[0:3], 0 offen offset:12
	buffer_store_dword v2, v0, s[0:3], 0 offen offset:8
	buffer_store_dword v1, v0, s[0:3], 0 offen offset:4
	s_waitcnt vmcnt(7)
	buffer_store_dword v8, v0, s[0:3], 0 offen
.LBB118_442:
	s_or_b64 exec, exec, s[4:5]
	v_pk_mov_b32 v[0:1], s[10:11], s[10:11] op_sel:[0,1]
	flat_load_dword v0, v[0:1] offset:16
	s_waitcnt vmcnt(0) lgkmcnt(0)
	v_add_u32_e32 v0, -1, v0
	v_cmp_ne_u32_e32 vcc, 4, v0
	s_and_saveexec_b64 s[4:5], vcc
	s_cbranch_execz .LBB118_444
; %bb.443:
	v_mov_b32_e32 v1, 16
	v_accvgpr_read_b32 v9, a160
	v_lshl_add_u32 v0, v0, 4, v1
	buffer_load_dword v1, v9, s[0:3], 0 offen offset:4
	buffer_load_dword v2, v9, s[0:3], 0 offen offset:8
	buffer_load_dword v3, v9, s[0:3], 0 offen offset:12
	buffer_load_dword v4, v0, s[0:3], 0 offen
	buffer_load_dword v5, v0, s[0:3], 0 offen offset:4
	buffer_load_dword v6, v0, s[0:3], 0 offen offset:8
	buffer_load_dword v7, v0, s[0:3], 0 offen offset:12
	buffer_load_dword v8, v9, s[0:3], 0 offen
	s_waitcnt vmcnt(4)
	buffer_store_dword v4, v9, s[0:3], 0 offen
	s_waitcnt vmcnt(4)
	buffer_store_dword v5, v9, s[0:3], 0 offen offset:4
	s_waitcnt vmcnt(4)
	buffer_store_dword v6, v9, s[0:3], 0 offen offset:8
	s_waitcnt vmcnt(4)
	buffer_store_dword v7, v9, s[0:3], 0 offen offset:12
	buffer_store_dword v3, v0, s[0:3], 0 offen offset:12
	buffer_store_dword v2, v0, s[0:3], 0 offen offset:8
	buffer_store_dword v1, v0, s[0:3], 0 offen offset:4
	s_waitcnt vmcnt(7)
	buffer_store_dword v8, v0, s[0:3], 0 offen
.LBB118_444:
	s_or_b64 exec, exec, s[4:5]
	v_pk_mov_b32 v[0:1], s[10:11], s[10:11] op_sel:[0,1]
	flat_load_dword v0, v[0:1] offset:12
	s_waitcnt vmcnt(0) lgkmcnt(0)
	v_add_u32_e32 v0, -1, v0
	v_cmp_ne_u32_e32 vcc, 3, v0
	s_and_saveexec_b64 s[4:5], vcc
	s_cbranch_execz .LBB118_446
; %bb.445:
	v_mov_b32_e32 v1, 16
	v_accvgpr_read_b32 v9, a161
	v_lshl_add_u32 v0, v0, 4, v1
	buffer_load_dword v1, v9, s[0:3], 0 offen offset:4
	buffer_load_dword v2, v9, s[0:3], 0 offen offset:8
	buffer_load_dword v3, v9, s[0:3], 0 offen offset:12
	buffer_load_dword v4, v0, s[0:3], 0 offen
	buffer_load_dword v5, v0, s[0:3], 0 offen offset:4
	buffer_load_dword v6, v0, s[0:3], 0 offen offset:8
	buffer_load_dword v7, v0, s[0:3], 0 offen offset:12
	buffer_load_dword v8, v9, s[0:3], 0 offen
	s_waitcnt vmcnt(4)
	buffer_store_dword v4, v9, s[0:3], 0 offen
	s_waitcnt vmcnt(4)
	buffer_store_dword v5, v9, s[0:3], 0 offen offset:4
	s_waitcnt vmcnt(4)
	buffer_store_dword v6, v9, s[0:3], 0 offen offset:8
	s_waitcnt vmcnt(4)
	buffer_store_dword v7, v9, s[0:3], 0 offen offset:12
	buffer_store_dword v3, v0, s[0:3], 0 offen offset:12
	buffer_store_dword v2, v0, s[0:3], 0 offen offset:8
	buffer_store_dword v1, v0, s[0:3], 0 offen offset:4
	s_waitcnt vmcnt(7)
	buffer_store_dword v8, v0, s[0:3], 0 offen
.LBB118_446:
	s_or_b64 exec, exec, s[4:5]
	v_pk_mov_b32 v[0:1], s[10:11], s[10:11] op_sel:[0,1]
	flat_load_dword v0, v[0:1] offset:8
	s_waitcnt vmcnt(0) lgkmcnt(0)
	v_add_u32_e32 v0, -1, v0
	v_cmp_ne_u32_e32 vcc, 2, v0
	s_and_saveexec_b64 s[4:5], vcc
	s_cbranch_execz .LBB118_448
; %bb.447:
	v_mov_b32_e32 v1, 16
	v_accvgpr_read_b32 v9, a162
	v_lshl_add_u32 v0, v0, 4, v1
	buffer_load_dword v1, v9, s[0:3], 0 offen offset:4
	buffer_load_dword v2, v9, s[0:3], 0 offen offset:8
	buffer_load_dword v3, v9, s[0:3], 0 offen offset:12
	buffer_load_dword v4, v0, s[0:3], 0 offen
	buffer_load_dword v5, v0, s[0:3], 0 offen offset:4
	buffer_load_dword v6, v0, s[0:3], 0 offen offset:8
	buffer_load_dword v7, v0, s[0:3], 0 offen offset:12
	buffer_load_dword v8, v9, s[0:3], 0 offen
	s_waitcnt vmcnt(4)
	buffer_store_dword v4, v9, s[0:3], 0 offen
	s_waitcnt vmcnt(4)
	buffer_store_dword v5, v9, s[0:3], 0 offen offset:4
	s_waitcnt vmcnt(4)
	buffer_store_dword v6, v9, s[0:3], 0 offen offset:8
	s_waitcnt vmcnt(4)
	buffer_store_dword v7, v9, s[0:3], 0 offen offset:12
	buffer_store_dword v3, v0, s[0:3], 0 offen offset:12
	buffer_store_dword v2, v0, s[0:3], 0 offen offset:8
	buffer_store_dword v1, v0, s[0:3], 0 offen offset:4
	s_waitcnt vmcnt(7)
	buffer_store_dword v8, v0, s[0:3], 0 offen
.LBB118_448:
	s_or_b64 exec, exec, s[4:5]
	v_pk_mov_b32 v[0:1], s[10:11], s[10:11] op_sel:[0,1]
	flat_load_dword v0, v[0:1] offset:4
	s_waitcnt vmcnt(0) lgkmcnt(0)
	v_add_u32_e32 v0, -1, v0
	v_cmp_ne_u32_e32 vcc, 1, v0
	s_and_saveexec_b64 s[4:5], vcc
	s_cbranch_execz .LBB118_450
; %bb.449:
	v_mov_b32_e32 v1, 16
	v_accvgpr_read_b32 v9, a163
	v_lshl_add_u32 v0, v0, 4, v1
	buffer_load_dword v1, v9, s[0:3], 0 offen offset:4
	buffer_load_dword v2, v9, s[0:3], 0 offen offset:8
	buffer_load_dword v3, v9, s[0:3], 0 offen offset:12
	buffer_load_dword v4, v0, s[0:3], 0 offen
	buffer_load_dword v5, v0, s[0:3], 0 offen offset:4
	buffer_load_dword v6, v0, s[0:3], 0 offen offset:8
	buffer_load_dword v7, v0, s[0:3], 0 offen offset:12
	buffer_load_dword v8, v9, s[0:3], 0 offen
	s_waitcnt vmcnt(4)
	buffer_store_dword v4, v9, s[0:3], 0 offen
	s_waitcnt vmcnt(4)
	buffer_store_dword v5, v9, s[0:3], 0 offen offset:4
	s_waitcnt vmcnt(4)
	buffer_store_dword v6, v9, s[0:3], 0 offen offset:8
	s_waitcnt vmcnt(4)
	buffer_store_dword v7, v9, s[0:3], 0 offen offset:12
	buffer_store_dword v3, v0, s[0:3], 0 offen offset:12
	buffer_store_dword v2, v0, s[0:3], 0 offen offset:8
	buffer_store_dword v1, v0, s[0:3], 0 offen offset:4
	s_waitcnt vmcnt(7)
	buffer_store_dword v8, v0, s[0:3], 0 offen
.LBB118_450:
	s_or_b64 exec, exec, s[4:5]
	v_pk_mov_b32 v[0:1], s[10:11], s[10:11] op_sel:[0,1]
	flat_load_dword v0, v[0:1]
	s_waitcnt vmcnt(0) lgkmcnt(0)
	v_add_u32_e32 v0, -1, v0
	v_cmp_ne_u32_e32 vcc, 0, v0
	s_and_saveexec_b64 s[4:5], vcc
	s_cbranch_execz .LBB118_452
; %bb.451:
	v_mov_b32_e32 v1, 16
	v_lshl_add_u32 v0, v0, 4, v1
	buffer_load_dword v1, v0, s[0:3], 0 offen
	buffer_load_dword v2, v0, s[0:3], 0 offen offset:4
	buffer_load_dword v3, v0, s[0:3], 0 offen offset:8
	;; [unrolled: 1-line block ×3, first 2 shown]
	buffer_load_dword v5, off, s[0:3], 0 offset:28
	buffer_load_dword v6, off, s[0:3], 0 offset:24
	;; [unrolled: 1-line block ×4, first 2 shown]
	s_waitcnt vmcnt(7)
	buffer_store_dword v1, off, s[0:3], 0 offset:16
	s_waitcnt vmcnt(7)
	buffer_store_dword v2, off, s[0:3], 0 offset:20
	;; [unrolled: 2-line block ×4, first 2 shown]
	s_waitcnt vmcnt(7)
	buffer_store_dword v5, v0, s[0:3], 0 offen offset:12
	s_waitcnt vmcnt(7)
	buffer_store_dword v6, v0, s[0:3], 0 offen offset:8
	;; [unrolled: 2-line block ×3, first 2 shown]
	s_waitcnt vmcnt(7)
	buffer_store_dword v8, v0, s[0:3], 0 offen
.LBB118_452:
	s_or_b64 exec, exec, s[4:5]
.LBB118_453:
	buffer_load_dword v0, off, s[0:3], 0 offset:16
	buffer_load_dword v1, off, s[0:3], 0 offset:20
	;; [unrolled: 1-line block ×4, first 2 shown]
	v_accvgpr_read_b32 v5, a1
	v_accvgpr_read_b32 v4, a0
	s_waitcnt vmcnt(0)
	global_store_dwordx4 v[4:5], v[0:3], off
	s_nop 0
	v_accvgpr_read_b32 v3, a163
	buffer_load_dword v0, v3, s[0:3], 0 offen
	buffer_load_dword v1, v3, s[0:3], 0 offen offset:4
	buffer_load_dword v2, v3, s[0:3], 0 offen offset:8
	s_nop 0
	buffer_load_dword v3, v3, s[0:3], 0 offen offset:12
	v_accvgpr_read_b32 v5, a3
	v_accvgpr_read_b32 v4, a2
	s_waitcnt vmcnt(0)
	global_store_dwordx4 v[4:5], v[0:3], off
	s_nop 0
	v_accvgpr_read_b32 v3, a162
	buffer_load_dword v0, v3, s[0:3], 0 offen
	buffer_load_dword v1, v3, s[0:3], 0 offen offset:4
	buffer_load_dword v2, v3, s[0:3], 0 offen offset:8
	s_nop 0
	buffer_load_dword v3, v3, s[0:3], 0 offen offset:12
	;; [unrolled: 11-line block ×13, first 2 shown]
	v_accvgpr_read_b32 v4, a26
	v_accvgpr_read_b32 v5, a27
	s_waitcnt vmcnt(0)
	global_store_dwordx4 v[4:5], v[0:3], off
	v_accvgpr_read_b32 v4, a150
	buffer_load_dword v0, v4, s[0:3], 0 offen
	buffer_load_dword v1, v4, s[0:3], 0 offen offset:4
	buffer_load_dword v2, v4, s[0:3], 0 offen offset:8
	buffer_load_dword v3, v4, s[0:3], 0 offen offset:12
	v_accvgpr_read_b32 v4, a28
	v_accvgpr_read_b32 v5, a29
	s_waitcnt vmcnt(0)
	global_store_dwordx4 v[4:5], v[0:3], off
	v_accvgpr_read_b32 v4, a149
	buffer_load_dword v0, v4, s[0:3], 0 offen
	buffer_load_dword v1, v4, s[0:3], 0 offen offset:4
	buffer_load_dword v2, v4, s[0:3], 0 offen offset:8
	buffer_load_dword v3, v4, s[0:3], 0 offen offset:12
	;; [unrolled: 9-line block ×41, first 2 shown]
	v_accvgpr_read_b32 v4, a70
	v_accvgpr_read_b32 v5, a71
	s_waitcnt vmcnt(0)
	global_store_dwordx4 v[4:5], v[0:3], off
	s_endpgm
	.section	.rodata,"a",@progbits
	.p2align	6, 0x0
	.amdhsa_kernel _ZN9rocsolver6v33100L18getri_kernel_smallILi55E19rocblas_complex_numIdEPKPS3_EEvT1_iilPiilS8_bb
		.amdhsa_group_segment_fixed_size 1768
		.amdhsa_private_segment_fixed_size 912
		.amdhsa_kernarg_size 60
		.amdhsa_user_sgpr_count 8
		.amdhsa_user_sgpr_private_segment_buffer 1
		.amdhsa_user_sgpr_dispatch_ptr 0
		.amdhsa_user_sgpr_queue_ptr 0
		.amdhsa_user_sgpr_kernarg_segment_ptr 1
		.amdhsa_user_sgpr_dispatch_id 0
		.amdhsa_user_sgpr_flat_scratch_init 1
		.amdhsa_user_sgpr_kernarg_preload_length 0
		.amdhsa_user_sgpr_kernarg_preload_offset 0
		.amdhsa_user_sgpr_private_segment_size 0
		.amdhsa_uses_dynamic_stack 0
		.amdhsa_system_sgpr_private_segment_wavefront_offset 1
		.amdhsa_system_sgpr_workgroup_id_x 1
		.amdhsa_system_sgpr_workgroup_id_y 0
		.amdhsa_system_sgpr_workgroup_id_z 0
		.amdhsa_system_sgpr_workgroup_info 0
		.amdhsa_system_vgpr_workitem_id 0
		.amdhsa_next_free_vgpr 456
		.amdhsa_next_free_sgpr 22
		.amdhsa_accum_offset 256
		.amdhsa_reserve_vcc 1
		.amdhsa_reserve_flat_scratch 1
		.amdhsa_float_round_mode_32 0
		.amdhsa_float_round_mode_16_64 0
		.amdhsa_float_denorm_mode_32 3
		.amdhsa_float_denorm_mode_16_64 3
		.amdhsa_dx10_clamp 1
		.amdhsa_ieee_mode 1
		.amdhsa_fp16_overflow 0
		.amdhsa_tg_split 0
		.amdhsa_exception_fp_ieee_invalid_op 0
		.amdhsa_exception_fp_denorm_src 0
		.amdhsa_exception_fp_ieee_div_zero 0
		.amdhsa_exception_fp_ieee_overflow 0
		.amdhsa_exception_fp_ieee_underflow 0
		.amdhsa_exception_fp_ieee_inexact 0
		.amdhsa_exception_int_div_zero 0
	.end_amdhsa_kernel
	.section	.text._ZN9rocsolver6v33100L18getri_kernel_smallILi55E19rocblas_complex_numIdEPKPS3_EEvT1_iilPiilS8_bb,"axG",@progbits,_ZN9rocsolver6v33100L18getri_kernel_smallILi55E19rocblas_complex_numIdEPKPS3_EEvT1_iilPiilS8_bb,comdat
.Lfunc_end118:
	.size	_ZN9rocsolver6v33100L18getri_kernel_smallILi55E19rocblas_complex_numIdEPKPS3_EEvT1_iilPiilS8_bb, .Lfunc_end118-_ZN9rocsolver6v33100L18getri_kernel_smallILi55E19rocblas_complex_numIdEPKPS3_EEvT1_iilPiilS8_bb
                                        ; -- End function
	.section	.AMDGPU.csdata,"",@progbits
; Kernel info:
; codeLenInByte = 189428
; NumSgprs: 28
; NumVgprs: 256
; NumAgprs: 200
; TotalNumVgprs: 456
; ScratchSize: 912
; MemoryBound: 0
; FloatMode: 240
; IeeeMode: 1
; LDSByteSize: 1768 bytes/workgroup (compile time only)
; SGPRBlocks: 3
; VGPRBlocks: 56
; NumSGPRsForWavesPerEU: 28
; NumVGPRsForWavesPerEU: 456
; AccumOffset: 256
; Occupancy: 1
; WaveLimiterHint : 1
; COMPUTE_PGM_RSRC2:SCRATCH_EN: 1
; COMPUTE_PGM_RSRC2:USER_SGPR: 8
; COMPUTE_PGM_RSRC2:TRAP_HANDLER: 0
; COMPUTE_PGM_RSRC2:TGID_X_EN: 1
; COMPUTE_PGM_RSRC2:TGID_Y_EN: 0
; COMPUTE_PGM_RSRC2:TGID_Z_EN: 0
; COMPUTE_PGM_RSRC2:TIDIG_COMP_CNT: 0
; COMPUTE_PGM_RSRC3_GFX90A:ACCUM_OFFSET: 63
; COMPUTE_PGM_RSRC3_GFX90A:TG_SPLIT: 0
	.section	.text._ZN9rocsolver6v33100L18getri_kernel_smallILi56E19rocblas_complex_numIdEPKPS3_EEvT1_iilPiilS8_bb,"axG",@progbits,_ZN9rocsolver6v33100L18getri_kernel_smallILi56E19rocblas_complex_numIdEPKPS3_EEvT1_iilPiilS8_bb,comdat
	.globl	_ZN9rocsolver6v33100L18getri_kernel_smallILi56E19rocblas_complex_numIdEPKPS3_EEvT1_iilPiilS8_bb ; -- Begin function _ZN9rocsolver6v33100L18getri_kernel_smallILi56E19rocblas_complex_numIdEPKPS3_EEvT1_iilPiilS8_bb
	.p2align	8
	.type	_ZN9rocsolver6v33100L18getri_kernel_smallILi56E19rocblas_complex_numIdEPKPS3_EEvT1_iilPiilS8_bb,@function
_ZN9rocsolver6v33100L18getri_kernel_smallILi56E19rocblas_complex_numIdEPKPS3_EEvT1_iilPiilS8_bb: ; @_ZN9rocsolver6v33100L18getri_kernel_smallILi56E19rocblas_complex_numIdEPKPS3_EEvT1_iilPiilS8_bb
; %bb.0:
	s_add_u32 flat_scratch_lo, s6, s9
	s_addc_u32 flat_scratch_hi, s7, 0
	s_add_u32 s0, s0, s9
	s_addc_u32 s1, s1, 0
	v_cmp_gt_u32_e32 vcc, 56, v0
	s_and_saveexec_b64 s[6:7], vcc
	s_cbranch_execz .LBB119_238
; %bb.1:
	s_load_dword s18, s[4:5], 0x38
	s_load_dwordx2 s[6:7], s[4:5], 0x0
	s_load_dwordx4 s[12:15], s[4:5], 0x28
	s_waitcnt lgkmcnt(0)
	s_bitcmp1_b32 s18, 8
	s_cselect_b64 s[16:17], -1, 0
	s_ashr_i32 s9, s8, 31
	s_lshl_b64 s[10:11], s[8:9], 3
	s_add_u32 s6, s6, s10
	s_addc_u32 s7, s7, s11
	s_load_dwordx2 s[6:7], s[6:7], 0x0
	s_bfe_u32 s10, s18, 0x10008
	s_cmp_eq_u32 s10, 0
                                        ; implicit-def: $sgpr10_sgpr11
	s_cbranch_scc1 .LBB119_3
; %bb.2:
	s_load_dword s10, s[4:5], 0x20
	s_load_dwordx2 s[20:21], s[4:5], 0x18
	s_mul_i32 s11, s8, s13
	s_mul_hi_u32 s13, s8, s12
	s_add_i32 s13, s13, s11
	s_mul_i32 s19, s9, s12
	s_add_i32 s13, s13, s19
	s_mul_i32 s12, s8, s12
	s_waitcnt lgkmcnt(0)
	s_ashr_i32 s11, s10, 31
	s_lshl_b64 s[12:13], s[12:13], 2
	s_add_u32 s12, s20, s12
	s_addc_u32 s13, s21, s13
	s_lshl_b64 s[10:11], s[10:11], 2
	s_add_u32 s10, s12, s10
	s_addc_u32 s11, s13, s11
.LBB119_3:
	s_load_dwordx2 s[4:5], s[4:5], 0x8
	v_lshlrev_b32_e32 v1, 4, v0
	s_waitcnt lgkmcnt(0)
	s_ashr_i32 s13, s4, 31
	s_mov_b32 s12, s4
	s_lshl_b64 s[12:13], s[12:13], 4
	s_add_u32 s6, s6, s12
	s_addc_u32 s7, s7, s13
	s_add_i32 s4, s5, s5
	v_add_u32_e32 v2, s4, v0
	v_ashrrev_i32_e32 v3, 31, v2
	v_add_u32_e32 v4, s5, v2
	v_lshlrev_b64 v[2:3], 4, v[2:3]
	v_mov_b32_e32 v5, s7
	v_add_co_u32_e32 v44, vcc, s6, v2
	v_addc_co_u32_e32 v45, vcc, v5, v3, vcc
	global_load_dwordx4 v[88:91], v1, s[6:7]
	v_mov_b32_e32 v2, s7
	v_add_co_u32_e32 v48, vcc, s6, v1
	s_mov_b32 s12, s5
	s_ashr_i32 s13, s5, 31
	v_addc_co_u32_e32 v49, vcc, 0, v2, vcc
	s_lshl_b64 s[12:13], s[12:13], 4
	v_mov_b32_e32 v2, s13
	v_add_co_u32_e32 v46, vcc, s12, v48
	v_addc_co_u32_e32 v47, vcc, v49, v2, vcc
	global_load_dwordx4 v[92:95], v[46:47], off
	global_load_dwordx4 v[96:99], v[44:45], off
	v_ashrrev_i32_e32 v5, 31, v4
	v_accvgpr_write_b32 a81, v45
	v_lshlrev_b64 v[2:3], 4, v[4:5]
	v_add_u32_e32 v10, s5, v4
	v_accvgpr_write_b32 a80, v44
	v_mov_b32_e32 v4, s7
	v_add_co_u32_e32 v44, vcc, s6, v2
	v_addc_co_u32_e32 v45, vcc, v4, v3, vcc
	v_ashrrev_i32_e32 v11, 31, v10
	global_load_dwordx4 v[100:103], v[44:45], off
	v_lshlrev_b64 v[2:3], 4, v[10:11]
	v_add_co_u32_e32 v2, vcc, s6, v2
	v_add_u32_e32 v12, s5, v10
	v_addc_co_u32_e32 v3, vcc, v4, v3, vcc
	v_accvgpr_write_b32 a83, v3
	global_load_dwordx4 v[104:107], v[2:3], off
	v_ashrrev_i32_e32 v13, 31, v12
	v_accvgpr_write_b32 a82, v2
	v_lshlrev_b64 v[2:3], 4, v[12:13]
	v_add_co_u32_e32 v10, vcc, s6, v2
	v_add_u32_e32 v20, s5, v12
	v_addc_co_u32_e32 v11, vcc, v4, v3, vcc
	v_ashrrev_i32_e32 v21, 31, v20
	global_load_dwordx4 v[108:111], v[10:11], off
	v_lshlrev_b64 v[2:3], 4, v[20:21]
	v_add_co_u32_e32 v2, vcc, s6, v2
	v_add_u32_e32 v24, s5, v20
	v_addc_co_u32_e32 v3, vcc, v4, v3, vcc
	global_load_dwordx4 v[112:115], v[2:3], off
	v_accvgpr_write_b32 a69, v3
	v_ashrrev_i32_e32 v25, 31, v24
	v_accvgpr_write_b32 a85, v11
	v_accvgpr_write_b32 a68, v2
	v_lshlrev_b64 v[2:3], 4, v[24:25]
	v_accvgpr_write_b32 a84, v10
	v_add_co_u32_e32 v10, vcc, s6, v2
	v_add_u32_e32 v28, s5, v24
	v_addc_co_u32_e32 v11, vcc, v4, v3, vcc
	v_ashrrev_i32_e32 v29, 31, v28
	global_load_dwordx4 v[116:119], v[10:11], off
	v_add_u32_e32 v32, s5, v28
	v_lshlrev_b64 v[2:3], 4, v[28:29]
	v_add_u32_e32 v34, s5, v32
	v_add_co_u32_e32 v2, vcc, s6, v2
	v_add_u32_e32 v36, s5, v34
	v_addc_co_u32_e32 v3, vcc, v4, v3, vcc
	global_load_dwordx4 v[120:123], v[2:3], off
	v_add_u32_e32 v38, s5, v36
	v_accvgpr_write_b32 a61, v3
	v_ashrrev_i32_e32 v33, 31, v32
	v_add_u32_e32 v40, s5, v38
	v_accvgpr_write_b32 a75, v11
	v_accvgpr_write_b32 a60, v2
	v_lshlrev_b64 v[2:3], 4, v[32:33]
	v_add_u32_e32 v42, s5, v40
	v_accvgpr_write_b32 a74, v10
	v_add_co_u32_e32 v10, vcc, s6, v2
	v_add_u32_e32 v144, s5, v42
	v_addc_co_u32_e32 v11, vcc, v4, v3, vcc
	v_add_u32_e32 v86, s5, v144
	v_ashrrev_i32_e32 v35, 31, v34
	global_load_dwordx4 v[124:127], v[10:11], off
	v_add_u32_e32 v84, s5, v86
	v_lshlrev_b64 v[2:3], 4, v[34:35]
	v_add_u32_e32 v82, s5, v84
	v_add_co_u32_e32 v2, vcc, s6, v2
	v_add_u32_e32 v80, s5, v82
	v_addc_co_u32_e32 v3, vcc, v4, v3, vcc
	global_load_dwordx4 v[128:131], v[2:3], off
	v_add_u32_e32 v78, s5, v80
	v_accvgpr_write_b32 a53, v3
	v_ashrrev_i32_e32 v37, 31, v36
	v_add_u32_e32 v76, s5, v78
	v_accvgpr_write_b32 a63, v11
	v_accvgpr_write_b32 a52, v2
	v_lshlrev_b64 v[2:3], 4, v[36:37]
	v_add_u32_e32 v74, s5, v76
	v_accvgpr_write_b32 a62, v10
	v_add_co_u32_e32 v10, vcc, s6, v2
	v_add_u32_e32 v72, s5, v74
	v_addc_co_u32_e32 v11, vcc, v4, v3, vcc
	v_add_u32_e32 v70, s5, v72
	;; [unrolled: 22-line block ×3, first 2 shown]
	v_ashrrev_i32_e32 v43, 31, v42
	global_load_dwordx4 v[140:143], v[10:11], off
	v_add_u32_e32 v8, s5, v54
	v_lshlrev_b64 v[2:3], 4, v[42:43]
	v_add_u32_e32 v6, s5, v8
	v_add_co_u32_e32 v2, vcc, s6, v2
	v_add_u32_e32 v30, s5, v6
	v_accvgpr_write_b32 a43, v11
	v_addc_co_u32_e32 v3, vcc, v4, v3, vcc
	v_add_u32_e32 v26, s5, v30
	v_accvgpr_write_b32 a42, v10
	global_load_dwordx4 v[10:13], v[2:3], off
	v_add_u32_e32 v22, s5, v26
	v_add_u32_e32 v18, s5, v22
	;; [unrolled: 1-line block ×5, first 2 shown]
	v_accvgpr_write_b32 a109, v49
	v_add_u32_e32 v50, s5, v52
	v_accvgpr_write_b32 a108, v48
	v_accvgpr_write_b32 a103, v47
	v_add_u32_e32 v48, s5, v50
	v_accvgpr_write_b32 a102, v46
	;; [unrolled: 3-line block ×3, first 2 shown]
	v_add_u32_e32 v44, s5, v46
	v_add_u32_e32 v42, s5, v44
	;; [unrolled: 1-line block ×9, first 2 shown]
	v_accvgpr_write_b32 a35, v3
	v_add_u32_e32 v20, s5, v24
	v_accvgpr_write_b32 a34, v2
	v_add_u32_e32 v2, s5, v20
	v_ashrrev_i32_e32 v3, 31, v2
	v_lshlrev_b64 v[2:3], 4, v[2:3]
	v_add_co_u32_e32 v2, vcc, s6, v2
	v_addc_co_u32_e32 v3, vcc, v4, v3, vcc
	v_accvgpr_write_b32 a0, v2
	v_ashrrev_i32_e32 v145, 31, v144
	v_accvgpr_write_b32 a1, v3
	global_load_dwordx4 v[2:5], v[2:3], off
	s_waitcnt vmcnt(15)
	buffer_store_dword v91, off, s[0:3], 0 offset:28
	buffer_store_dword v90, off, s[0:3], 0 offset:24
	buffer_store_dword v89, off, s[0:3], 0 offset:20
	buffer_store_dword v88, off, s[0:3], 0 offset:16
	s_waitcnt vmcnt(18)
	buffer_store_dword v95, off, s[0:3], 0 offset:44
	buffer_store_dword v94, off, s[0:3], 0 offset:40
	buffer_store_dword v93, off, s[0:3], 0 offset:36
	buffer_store_dword v92, off, s[0:3], 0 offset:32
	;; [unrolled: 5-line block ×14, first 2 shown]
	s_waitcnt vmcnt(57)
	buffer_store_dword v13, off, s[0:3], 0 offset:252
	v_lshlrev_b64 v[88:89], 4, v[144:145]
	v_mov_b32_e32 v7, s7
	v_add_co_u32_e32 v88, vcc, s6, v88
	v_ashrrev_i32_e32 v87, 31, v86
	v_addc_co_u32_e32 v89, vcc, v7, v89, vcc
	v_lshlrev_b64 v[86:87], 4, v[86:87]
	v_add_co_u32_e32 v90, vcc, s6, v86
	v_accvgpr_write_b32 a111, v89
	v_addc_co_u32_e32 v91, vcc, v7, v87, vcc
	v_accvgpr_write_b32 a110, v88
	global_load_dwordx4 v[86:89], v[88:89], off
	v_accvgpr_write_b32 a105, v91
	v_ashrrev_i32_e32 v85, 31, v84
	v_accvgpr_write_b32 a104, v90
	global_load_dwordx4 v[90:93], v[90:91], off
	v_lshlrev_b64 v[84:85], 4, v[84:85]
	v_add_co_u32_e32 v84, vcc, s6, v84
	v_ashrrev_i32_e32 v83, 31, v82
	v_addc_co_u32_e32 v85, vcc, v7, v85, vcc
	v_lshlrev_b64 v[82:83], 4, v[82:83]
	v_add_co_u32_e32 v94, vcc, s6, v82
	v_accvgpr_write_b32 a107, v85
	v_addc_co_u32_e32 v95, vcc, v7, v83, vcc
	v_accvgpr_write_b32 a106, v84
	global_load_dwordx4 v[82:85], v[84:85], off
	v_accvgpr_write_b32 a99, v95
	v_ashrrev_i32_e32 v81, 31, v80
	v_accvgpr_write_b32 a98, v94
	global_load_dwordx4 v[94:97], v[94:95], off
	v_lshlrev_b64 v[80:81], 4, v[80:81]
	;; [unrolled: 14-line block ×8, first 2 shown]
	v_add_co_u32_e32 v56, vcc, s6, v56
	v_ashrrev_i32_e32 v55, 31, v54
	v_addc_co_u32_e32 v57, vcc, v7, v57, vcc
	v_lshlrev_b64 v[54:55], 4, v[54:55]
	v_add_co_u32_e32 v122, vcc, s6, v54
	v_accvgpr_write_b32 a28, v56
	v_addc_co_u32_e32 v123, vcc, v7, v55, vcc
	v_accvgpr_write_b32 a29, v57
	global_load_dwordx4 v[54:57], v[56:57], off
	v_accvgpr_write_b32 a18, v122
	v_accvgpr_write_b32 a19, v123
	global_load_dwordx4 v[122:125], v[122:123], off
	v_ashrrev_i32_e32 v9, 31, v8
	v_lshlrev_b64 v[8:9], 4, v[8:9]
	v_add_co_u32_e32 v126, vcc, s6, v8
	v_addc_co_u32_e32 v127, vcc, v7, v9, vcc
	v_ashrrev_i32_e32 v7, 31, v6
	v_accvgpr_write_b32 a20, v126
	v_lshlrev_b64 v[6:7], 4, v[6:7]
	v_accvgpr_write_b32 a21, v127
	global_load_dwordx4 v[126:129], v[126:127], off
	v_mov_b32_e32 v8, s7
	v_add_co_u32_e32 v6, vcc, s6, v6
	v_addc_co_u32_e32 v7, vcc, v8, v7, vcc
	v_accvgpr_write_b32 a13, v7
	v_accvgpr_write_b32 a12, v6
	global_load_dwordx4 v[6:9], v[6:7], off
	v_ashrrev_i32_e32 v31, 31, v30
	buffer_store_dword v12, off, s[0:3], 0 offset:248
	buffer_store_dword v11, off, s[0:3], 0 offset:244
	buffer_store_dword v10, off, s[0:3], 0 offset:240
	s_waitcnt vmcnt(22)
	buffer_store_dword v89, off, s[0:3], 0 offset:268
	buffer_store_dword v88, off, s[0:3], 0 offset:264
	buffer_store_dword v87, off, s[0:3], 0 offset:260
	buffer_store_dword v86, off, s[0:3], 0 offset:256
	s_waitcnt vmcnt(25)
	buffer_store_dword v93, off, s[0:3], 0 offset:284
	;; [unrolled: 5-line block ×15, first 2 shown]
	buffer_store_dword v60, off, s[0:3], 0 offset:488
	buffer_store_dword v59, off, s[0:3], 0 offset:484
	;; [unrolled: 1-line block ×11, first 2 shown]
	s_waitcnt vmcnt(62)
	buffer_store_dword v125, off, s[0:3], 0 offset:540
	buffer_store_dword v124, off, s[0:3], 0 offset:536
	buffer_store_dword v123, off, s[0:3], 0 offset:532
	buffer_store_dword v122, off, s[0:3], 0 offset:528
	buffer_store_dword v129, off, s[0:3], 0 offset:556
	buffer_store_dword v128, off, s[0:3], 0 offset:552
	buffer_store_dword v127, off, s[0:3], 0 offset:548
	buffer_store_dword v126, off, s[0:3], 0 offset:544
	buffer_store_dword v9, off, s[0:3], 0 offset:572
	v_lshlrev_b64 v[10:11], 4, v[30:31]
	v_mov_b32_e32 v9, s7
	v_add_co_u32_e32 v12, vcc, s6, v10
	v_ashrrev_i32_e32 v27, 31, v26
	v_addc_co_u32_e32 v13, vcc, v9, v11, vcc
	v_lshlrev_b64 v[10:11], 4, v[26:27]
	v_add_co_u32_e32 v26, vcc, s6, v10
	v_accvgpr_write_b32 a97, v13
	v_addc_co_u32_e32 v27, vcc, v9, v11, vcc
	v_accvgpr_write_b32 a96, v12
	global_load_dwordx4 v[10:13], v[12:13], off
	v_ashrrev_i32_e32 v23, 31, v22
	global_load_dwordx4 v[54:57], v[26:27], off
	v_lshlrev_b64 v[22:23], 4, v[22:23]
	v_add_co_u32_e32 v22, vcc, s6, v22
	v_addc_co_u32_e32 v23, vcc, v9, v23, vcc
	v_ashrrev_i32_e32 v19, 31, v18
	global_load_dwordx4 v[58:61], v[22:23], off
	v_lshlrev_b64 v[18:19], 4, v[18:19]
	v_add_co_u32_e32 v18, vcc, s6, v18
	v_addc_co_u32_e32 v19, vcc, v9, v19, vcc
	global_load_dwordx4 v[62:65], v[18:19], off
	v_ashrrev_i32_e32 v17, 31, v16
	v_lshlrev_b64 v[16:17], 4, v[16:17]
	v_add_co_u32_e32 v16, vcc, s6, v16
	v_ashrrev_i32_e32 v15, 31, v14
	v_accvgpr_write_b32 a71, v19
	v_addc_co_u32_e32 v17, vcc, v9, v17, vcc
	v_lshlrev_b64 v[14:15], 4, v[14:15]
	v_accvgpr_write_b32 a70, v18
	v_add_co_u32_e32 v18, vcc, s6, v14
	v_accvgpr_write_b32 a73, v17
	v_addc_co_u32_e32 v19, vcc, v9, v15, vcc
	v_accvgpr_write_b32 a72, v16
	global_load_dwordx4 v[14:17], v[16:17], off
	v_accvgpr_write_b32 a57, v19
	global_load_dwordx4 v[66:69], v[18:19], off
	v_ashrrev_i32_e32 v53, 31, v52
	v_accvgpr_write_b32 a89, v23
	v_accvgpr_write_b32 a56, v18
	v_lshlrev_b64 v[18:19], 4, v[52:53]
	v_accvgpr_write_b32 a88, v22
	v_add_co_u32_e32 v22, vcc, s6, v18
	v_addc_co_u32_e32 v23, vcc, v9, v19, vcc
	v_ashrrev_i32_e32 v51, 31, v50
	v_lshlrev_b64 v[18:19], 4, v[50:51]
	global_load_dwordx4 v[50:53], v[22:23], off
	v_add_co_u32_e32 v18, vcc, s6, v18
	v_addc_co_u32_e32 v19, vcc, v9, v19, vcc
	global_load_dwordx4 v[70:73], v[18:19], off
	v_accvgpr_write_b32 a45, v19
	v_ashrrev_i32_e32 v49, 31, v48
	v_accvgpr_write_b32 a59, v23
	v_accvgpr_write_b32 a44, v18
	v_lshlrev_b64 v[18:19], 4, v[48:49]
	v_accvgpr_write_b32 a58, v22
	v_add_co_u32_e32 v22, vcc, s6, v18
	v_addc_co_u32_e32 v23, vcc, v9, v19, vcc
	v_ashrrev_i32_e32 v47, 31, v46
	v_lshlrev_b64 v[18:19], 4, v[46:47]
	global_load_dwordx4 v[46:49], v[22:23], off
	v_add_co_u32_e32 v18, vcc, s6, v18
	v_addc_co_u32_e32 v19, vcc, v9, v19, vcc
	global_load_dwordx4 v[74:77], v[18:19], off
	v_accvgpr_write_b32 a31, v19
	;; [unrolled: 14-line block ×5, first 2 shown]
	v_ashrrev_i32_e32 v33, 31, v32
	v_accvgpr_write_b32 a16, v22
	v_accvgpr_write_b32 a9, v19
	v_lshlrev_b64 v[18:19], 4, v[32:33]
	v_accvgpr_write_b32 a17, v23
	v_add_co_u32_e32 v22, vcc, s6, v18
	v_accvgpr_write_b32 a87, v27
	v_addc_co_u32_e32 v23, vcc, v9, v19, vcc
	v_ashrrev_i32_e32 v29, 31, v28
	v_accvgpr_write_b32 a86, v26
	v_lshlrev_b64 v[18:19], 4, v[28:29]
	global_load_dwordx4 v[26:29], v[22:23], off
	v_add_co_u32_e32 v18, vcc, s6, v18
	v_addc_co_u32_e32 v19, vcc, v9, v19, vcc
	global_load_dwordx4 v[30:33], v[18:19], off
	v_accvgpr_write_b32 a4, v18
	v_ashrrev_i32_e32 v25, 31, v24
	v_accvgpr_write_b32 a5, v19
	v_lshlrev_b64 v[18:19], 4, v[24:25]
	v_add_co_u32_e32 v18, vcc, s6, v18
	v_accvgpr_write_b32 a10, v22
	v_addc_co_u32_e32 v19, vcc, v9, v19, vcc
	v_ashrrev_i32_e32 v21, 31, v20
	v_accvgpr_write_b32 a6, v18
	v_accvgpr_write_b32 a11, v23
	v_lshlrev_b64 v[22:23], 4, v[20:21]
	v_accvgpr_write_b32 a7, v19
	global_load_dwordx4 v[18:21], v[18:19], off
	v_add_co_u32_e32 v22, vcc, s6, v22
	v_addc_co_u32_e32 v23, vcc, v9, v23, vcc
	v_accvgpr_write_b32 a2, v22
	v_accvgpr_write_b32 a3, v23
	global_load_dwordx4 v[22:25], v[22:23], off
	s_nop 0
	buffer_store_dword v8, off, s[0:3], 0 offset:568
	buffer_store_dword v7, off, s[0:3], 0 offset:564
	buffer_store_dword v6, off, s[0:3], 0 offset:560
	s_waitcnt vmcnt(22)
	buffer_store_dword v13, off, s[0:3], 0 offset:588
	buffer_store_dword v12, off, s[0:3], 0 offset:584
	buffer_store_dword v11, off, s[0:3], 0 offset:580
	buffer_store_dword v10, off, s[0:3], 0 offset:576
	s_waitcnt vmcnt(25)
	buffer_store_dword v57, off, s[0:3], 0 offset:604
	;; [unrolled: 5-line block ×15, first 2 shown]
	buffer_store_dword v36, off, s[0:3], 0 offset:808
	buffer_store_dword v35, off, s[0:3], 0 offset:804
	;; [unrolled: 1-line block ×11, first 2 shown]
	s_waitcnt vmcnt(62)
	buffer_store_dword v33, off, s[0:3], 0 offset:860
	buffer_store_dword v32, off, s[0:3], 0 offset:856
	;; [unrolled: 1-line block ×16, first 2 shown]
	v_mov_b32_e32 v2, 16
	v_add_u32_e32 v3, 16, v2
	v_accvgpr_write_b32 a166, v3
	v_add_u32_e32 v3, 32, v2
	v_accvgpr_write_b32 a165, v3
	;; [unrolled: 2-line block ×53, first 2 shown]
	v_add_u32_e32 v3, 0x360, v2
	v_add_u32_e32 v2, 0x370, v2
	s_bitcmp0_b32 s18, 0
	v_accvgpr_write_b32 a113, v3
	v_accvgpr_write_b32 a112, v2
	s_mov_b64 s[6:7], -1
	s_cbranch_scc1 .LBB119_236
; %bb.4:
	v_cmp_eq_u32_e64 s[4:5], 0, v0
	s_and_saveexec_b64 s[6:7], s[4:5]
	s_cbranch_execz .LBB119_6
; %bb.5:
	v_mov_b32_e32 v2, 0
	ds_write_b32 v2, v2 offset:1792
.LBB119_6:
	s_or_b64 exec, exec, s[6:7]
	v_mov_b32_e32 v2, 16
	v_lshl_add_u32 v12, v0, 4, v2
	s_waitcnt lgkmcnt(0)
	; wave barrier
	s_waitcnt lgkmcnt(0)
	buffer_load_dword v2, v12, s[0:3], 0 offen
	buffer_load_dword v3, v12, s[0:3], 0 offen offset:4
	buffer_load_dword v4, v12, s[0:3], 0 offen offset:8
	;; [unrolled: 1-line block ×3, first 2 shown]
	s_waitcnt vmcnt(2)
	v_cmp_eq_f64_e32 vcc, 0, v[2:3]
	s_waitcnt vmcnt(0)
	v_cmp_eq_f64_e64 s[6:7], 0, v[4:5]
	s_and_b64 s[6:7], vcc, s[6:7]
	s_and_saveexec_b64 s[12:13], s[6:7]
	s_cbranch_execz .LBB119_10
; %bb.7:
	v_mov_b32_e32 v2, 0
	ds_read_b32 v4, v2 offset:1792
	v_add_u32_e32 v3, 1, v0
	s_waitcnt lgkmcnt(0)
	v_readfirstlane_b32 s6, v4
	s_cmp_eq_u32 s6, 0
	s_cselect_b64 s[18:19], -1, 0
	v_cmp_gt_i32_e32 vcc, s6, v3
	s_or_b64 s[18:19], s[18:19], vcc
	s_and_b64 exec, exec, s[18:19]
	s_cbranch_execz .LBB119_10
; %bb.8:
	s_mov_b64 s[18:19], 0
	v_mov_b32_e32 v4, s6
.LBB119_9:                              ; =>This Inner Loop Header: Depth=1
	ds_cmpst_rtn_b32 v4, v2, v4, v3 offset:1792
	s_waitcnt lgkmcnt(0)
	v_cmp_ne_u32_e32 vcc, 0, v4
	v_cmp_le_i32_e64 s[6:7], v4, v3
	s_and_b64 s[6:7], vcc, s[6:7]
	s_and_b64 s[6:7], exec, s[6:7]
	s_or_b64 s[18:19], s[6:7], s[18:19]
	s_andn2_b64 exec, exec, s[18:19]
	s_cbranch_execnz .LBB119_9
.LBB119_10:
	s_or_b64 exec, exec, s[12:13]
	v_mov_b32_e32 v3, 0
	s_waitcnt lgkmcnt(0)
	; wave barrier
	ds_read_b32 v2, v3 offset:1792
	s_and_saveexec_b64 s[6:7], s[4:5]
	s_cbranch_execz .LBB119_12
; %bb.11:
	s_lshl_b64 s[12:13], s[8:9], 2
	s_add_u32 s12, s14, s12
	s_addc_u32 s13, s15, s13
	s_waitcnt lgkmcnt(0)
	global_store_dword v3, v2, s[12:13]
.LBB119_12:
	s_or_b64 exec, exec, s[6:7]
	s_waitcnt lgkmcnt(0)
	v_cmp_ne_u32_e32 vcc, 0, v2
	s_mov_b64 s[6:7], 0
	s_cbranch_vccnz .LBB119_236
; %bb.13:
	buffer_load_dword v7, v12, s[0:3], 0 offen offset:4
	buffer_load_dword v6, v12, s[0:3], 0 offen
	buffer_load_dword v9, v12, s[0:3], 0 offen offset:12
	buffer_load_dword v8, v12, s[0:3], 0 offen offset:8
                                        ; implicit-def: $vgpr10_vgpr11
	s_waitcnt vmcnt(3)
	v_xor_b32_e32 v3, 0x80000000, v7
	s_waitcnt vmcnt(2)
	v_cmp_gt_f64_e32 vcc, 0, v[6:7]
	s_waitcnt vmcnt(1)
	v_xor_b32_e32 v4, 0x80000000, v9
	v_cndmask_b32_e32 v3, v7, v3, vcc
	s_waitcnt vmcnt(0)
	v_cmp_gt_f64_e32 vcc, 0, v[8:9]
	v_mov_b32_e32 v2, v6
	v_cndmask_b32_e32 v5, v9, v4, vcc
	v_mov_b32_e32 v4, v8
	v_cmp_ngt_f64_e32 vcc, v[2:3], v[4:5]
                                        ; implicit-def: $vgpr4_vgpr5
	s_and_saveexec_b64 s[6:7], vcc
	s_xor_b64 s[6:7], exec, s[6:7]
	s_cbranch_execz .LBB119_15
; %bb.14:
	v_div_scale_f64 v[2:3], s[12:13], v[8:9], v[8:9], v[6:7]
	v_rcp_f64_e32 v[4:5], v[2:3]
	v_div_scale_f64 v[10:11], vcc, v[6:7], v[8:9], v[6:7]
	v_fma_f64 v[14:15], -v[2:3], v[4:5], 1.0
	v_fmac_f64_e32 v[4:5], v[4:5], v[14:15]
	v_fma_f64 v[14:15], -v[2:3], v[4:5], 1.0
	v_fmac_f64_e32 v[4:5], v[4:5], v[14:15]
	v_mul_f64 v[14:15], v[10:11], v[4:5]
	v_fma_f64 v[2:3], -v[2:3], v[14:15], v[10:11]
	v_div_fmas_f64 v[2:3], v[2:3], v[4:5], v[14:15]
	v_div_fixup_f64 v[2:3], v[2:3], v[8:9], v[6:7]
	v_fmac_f64_e32 v[8:9], v[6:7], v[2:3]
	v_div_scale_f64 v[4:5], s[12:13], v[8:9], v[8:9], 1.0
	v_rcp_f64_e32 v[6:7], v[4:5]
	v_fma_f64 v[10:11], -v[4:5], v[6:7], 1.0
	v_fmac_f64_e32 v[6:7], v[6:7], v[10:11]
	v_fma_f64 v[10:11], -v[4:5], v[6:7], 1.0
	v_fmac_f64_e32 v[6:7], v[6:7], v[10:11]
	v_div_scale_f64 v[10:11], vcc, 1.0, v[8:9], 1.0
	v_mul_f64 v[14:15], v[10:11], v[6:7]
	v_fma_f64 v[4:5], -v[4:5], v[14:15], v[10:11]
	s_nop 1
	v_div_fmas_f64 v[4:5], v[4:5], v[6:7], v[14:15]
	v_div_fixup_f64 v[4:5], v[4:5], v[8:9], 1.0
	v_mul_f64 v[10:11], v[2:3], v[4:5]
	v_xor_b32_e32 v5, 0x80000000, v5
	v_xor_b32_e32 v3, 0x80000000, v11
	v_mov_b32_e32 v2, v10
                                        ; implicit-def: $vgpr6_vgpr7
                                        ; implicit-def: $vgpr8_vgpr9
.LBB119_15:
	s_andn2_saveexec_b64 s[6:7], s[6:7]
	s_cbranch_execz .LBB119_17
; %bb.16:
	v_div_scale_f64 v[2:3], s[12:13], v[6:7], v[6:7], v[8:9]
	v_rcp_f64_e32 v[4:5], v[2:3]
	v_div_scale_f64 v[10:11], vcc, v[8:9], v[6:7], v[8:9]
	v_fma_f64 v[14:15], -v[2:3], v[4:5], 1.0
	v_fmac_f64_e32 v[4:5], v[4:5], v[14:15]
	v_fma_f64 v[14:15], -v[2:3], v[4:5], 1.0
	v_fmac_f64_e32 v[4:5], v[4:5], v[14:15]
	v_mul_f64 v[14:15], v[10:11], v[4:5]
	v_fma_f64 v[2:3], -v[2:3], v[14:15], v[10:11]
	v_div_fmas_f64 v[2:3], v[2:3], v[4:5], v[14:15]
	v_div_fixup_f64 v[4:5], v[2:3], v[6:7], v[8:9]
	v_fmac_f64_e32 v[6:7], v[8:9], v[4:5]
	v_div_scale_f64 v[2:3], s[12:13], v[6:7], v[6:7], 1.0
	v_rcp_f64_e32 v[8:9], v[2:3]
	v_fma_f64 v[10:11], -v[2:3], v[8:9], 1.0
	v_fmac_f64_e32 v[8:9], v[8:9], v[10:11]
	v_fma_f64 v[10:11], -v[2:3], v[8:9], 1.0
	v_fmac_f64_e32 v[8:9], v[8:9], v[10:11]
	v_div_scale_f64 v[10:11], vcc, 1.0, v[6:7], 1.0
	v_mul_f64 v[14:15], v[10:11], v[8:9]
	v_fma_f64 v[2:3], -v[2:3], v[14:15], v[10:11]
	s_nop 1
	v_div_fmas_f64 v[2:3], v[2:3], v[8:9], v[14:15]
	v_div_fixup_f64 v[10:11], v[2:3], v[6:7], 1.0
	v_xor_b32_e32 v3, 0x80000000, v11
	v_mov_b32_e32 v2, v10
	v_mul_f64 v[4:5], v[4:5], -v[10:11]
.LBB119_17:
	s_or_b64 exec, exec, s[6:7]
	buffer_store_dword v11, v12, s[0:3], 0 offen offset:4
	buffer_store_dword v10, v12, s[0:3], 0 offen
	buffer_store_dword v5, v12, s[0:3], 0 offen offset:12
	buffer_store_dword v4, v12, s[0:3], 0 offen offset:8
	v_accvgpr_read_b32 v6, a166
	buffer_load_dword v11, v6, s[0:3], 0 offen offset:12
	buffer_load_dword v10, v6, s[0:3], 0 offen offset:8
	;; [unrolled: 1-line block ×3, first 2 shown]
	buffer_load_dword v8, v6, s[0:3], 0 offen
	v_xor_b32_e32 v5, 0x80000000, v5
	v_add_u32_e32 v6, 0x380, v1
	ds_write_b128 v1, v[2:5]
	s_waitcnt vmcnt(0)
	ds_write_b128 v1, v[8:11] offset:896
	s_waitcnt lgkmcnt(0)
	; wave barrier
	s_waitcnt lgkmcnt(0)
	s_and_saveexec_b64 s[6:7], s[4:5]
	s_cbranch_execz .LBB119_19
; %bb.18:
	buffer_load_dword v14, v12, s[0:3], 0 offen offset:8
	buffer_load_dword v15, v12, s[0:3], 0 offen offset:12
	buffer_load_dword v16, v12, s[0:3], 0 offen
	buffer_load_dword v17, v12, s[0:3], 0 offen offset:4
	ds_read_b128 v[2:5], v6
	v_mov_b32_e32 v7, 0
	ds_read_b128 v[8:11], v7 offset:16
	s_waitcnt vmcnt(2) lgkmcnt(1)
	v_mul_f64 v[18:19], v[4:5], v[14:15]
	v_mul_f64 v[14:15], v[2:3], v[14:15]
	s_waitcnt vmcnt(0)
	v_fmac_f64_e32 v[14:15], v[4:5], v[16:17]
	v_fma_f64 v[2:3], v[2:3], v[16:17], -v[18:19]
	v_add_f64 v[4:5], v[14:15], 0
	v_add_f64 v[2:3], v[2:3], 0
	s_waitcnt lgkmcnt(0)
	v_mul_f64 v[14:15], v[4:5], v[10:11]
	v_mul_f64 v[10:11], v[2:3], v[10:11]
	v_fma_f64 v[2:3], v[2:3], v[8:9], -v[14:15]
	v_fmac_f64_e32 v[10:11], v[4:5], v[8:9]
	buffer_store_dword v2, off, s[0:3], 0 offset:32
	buffer_store_dword v3, off, s[0:3], 0 offset:36
	;; [unrolled: 1-line block ×4, first 2 shown]
.LBB119_19:
	s_or_b64 exec, exec, s[6:7]
	v_accvgpr_read_b32 v5, a165
	s_waitcnt lgkmcnt(0)
	; wave barrier
	buffer_load_dword v2, v5, s[0:3], 0 offen
	buffer_load_dword v3, v5, s[0:3], 0 offen offset:4
	buffer_load_dword v4, v5, s[0:3], 0 offen offset:8
	s_nop 0
	buffer_load_dword v5, v5, s[0:3], 0 offen offset:12
	v_cmp_gt_u32_e32 vcc, 2, v0
	s_waitcnt vmcnt(0)
	ds_write_b128 v6, v[2:5]
	s_waitcnt lgkmcnt(0)
	; wave barrier
	s_waitcnt lgkmcnt(0)
	s_and_saveexec_b64 s[6:7], vcc
	s_cbranch_execz .LBB119_23
; %bb.20:
	buffer_load_dword v8, v12, s[0:3], 0 offen offset:8
	buffer_load_dword v9, v12, s[0:3], 0 offen offset:12
	buffer_load_dword v10, v12, s[0:3], 0 offen
	buffer_load_dword v11, v12, s[0:3], 0 offen offset:4
	ds_read_b128 v[2:5], v6
	s_waitcnt vmcnt(2) lgkmcnt(0)
	v_mul_f64 v[12:13], v[4:5], v[8:9]
	v_mul_f64 v[8:9], v[2:3], v[8:9]
	s_waitcnt vmcnt(0)
	v_fma_f64 v[2:3], v[2:3], v[10:11], -v[12:13]
	v_fmac_f64_e32 v[8:9], v[4:5], v[10:11]
	v_add_f64 v[4:5], v[2:3], 0
	v_add_f64 v[2:3], v[8:9], 0
	s_and_saveexec_b64 s[12:13], s[4:5]
	s_cbranch_execz .LBB119_22
; %bb.21:
	buffer_load_dword v12, off, s[0:3], 0 offset:40
	buffer_load_dword v13, off, s[0:3], 0 offset:44
	;; [unrolled: 1-line block ×4, first 2 shown]
	v_mov_b32_e32 v7, 0
	ds_read_b128 v[8:11], v7 offset:912
	s_waitcnt vmcnt(2) lgkmcnt(0)
	v_mul_f64 v[16:17], v[8:9], v[12:13]
	v_mul_f64 v[12:13], v[10:11], v[12:13]
	s_waitcnt vmcnt(0)
	v_fmac_f64_e32 v[16:17], v[10:11], v[14:15]
	v_fma_f64 v[8:9], v[8:9], v[14:15], -v[12:13]
	v_add_f64 v[2:3], v[2:3], v[16:17]
	v_add_f64 v[4:5], v[4:5], v[8:9]
.LBB119_22:
	s_or_b64 exec, exec, s[12:13]
	v_mov_b32_e32 v7, 0
	ds_read_b128 v[8:11], v7 offset:32
	s_waitcnt lgkmcnt(0)
	v_mul_f64 v[12:13], v[2:3], v[10:11]
	v_mul_f64 v[10:11], v[4:5], v[10:11]
	v_fma_f64 v[4:5], v[4:5], v[8:9], -v[12:13]
	v_fmac_f64_e32 v[10:11], v[2:3], v[8:9]
	buffer_store_dword v5, off, s[0:3], 0 offset:52
	buffer_store_dword v4, off, s[0:3], 0 offset:48
	;; [unrolled: 1-line block ×4, first 2 shown]
.LBB119_23:
	s_or_b64 exec, exec, s[6:7]
	v_accvgpr_read_b32 v5, a164
	s_waitcnt lgkmcnt(0)
	; wave barrier
	buffer_load_dword v2, v5, s[0:3], 0 offen
	buffer_load_dword v3, v5, s[0:3], 0 offen offset:4
	buffer_load_dword v4, v5, s[0:3], 0 offen offset:8
	s_nop 0
	buffer_load_dword v5, v5, s[0:3], 0 offen offset:12
	v_cmp_gt_u32_e32 vcc, 3, v0
	v_add_u32_e32 v7, -1, v0
	s_waitcnt vmcnt(0)
	ds_write_b128 v6, v[2:5]
	s_waitcnt lgkmcnt(0)
	; wave barrier
	s_waitcnt lgkmcnt(0)
	s_and_saveexec_b64 s[4:5], vcc
	s_cbranch_execz .LBB119_27
; %bb.24:
	v_pk_mov_b32 v[2:3], 0, 0
	v_add_u32_e32 v8, -1, v0
	v_add_u32_e32 v9, 0x380, v1
	v_add_u32_e32 v10, 16, v1
	s_mov_b64 s[6:7], 0
	v_pk_mov_b32 v[4:5], v[2:3], v[2:3] op_sel:[0,1]
.LBB119_25:                             ; =>This Inner Loop Header: Depth=1
	buffer_load_dword v16, v10, s[0:3], 0 offen offset:8
	buffer_load_dword v17, v10, s[0:3], 0 offen offset:12
	buffer_load_dword v18, v10, s[0:3], 0 offen
	buffer_load_dword v19, v10, s[0:3], 0 offen offset:4
	ds_read_b128 v[12:15], v9
	v_add_u32_e32 v8, 1, v8
	v_cmp_lt_u32_e32 vcc, 1, v8
	v_add_u32_e32 v9, 16, v9
	v_add_u32_e32 v10, 16, v10
	s_or_b64 s[6:7], vcc, s[6:7]
	s_waitcnt vmcnt(2) lgkmcnt(0)
	v_mul_f64 v[20:21], v[14:15], v[16:17]
	v_mul_f64 v[16:17], v[12:13], v[16:17]
	s_waitcnt vmcnt(0)
	v_fma_f64 v[12:13], v[12:13], v[18:19], -v[20:21]
	v_fmac_f64_e32 v[16:17], v[14:15], v[18:19]
	v_add_f64 v[4:5], v[4:5], v[12:13]
	v_add_f64 v[2:3], v[2:3], v[16:17]
	s_andn2_b64 exec, exec, s[6:7]
	s_cbranch_execnz .LBB119_25
; %bb.26:
	s_or_b64 exec, exec, s[6:7]
	v_mov_b32_e32 v8, 0
	ds_read_b128 v[8:11], v8 offset:48
	s_waitcnt lgkmcnt(0)
	v_mul_f64 v[12:13], v[2:3], v[10:11]
	v_mul_f64 v[10:11], v[4:5], v[10:11]
	v_fma_f64 v[4:5], v[4:5], v[8:9], -v[12:13]
	v_fmac_f64_e32 v[10:11], v[2:3], v[8:9]
	buffer_store_dword v5, off, s[0:3], 0 offset:68
	buffer_store_dword v4, off, s[0:3], 0 offset:64
	buffer_store_dword v11, off, s[0:3], 0 offset:76
	buffer_store_dword v10, off, s[0:3], 0 offset:72
.LBB119_27:
	s_or_b64 exec, exec, s[4:5]
	v_accvgpr_read_b32 v5, a163
	s_waitcnt lgkmcnt(0)
	; wave barrier
	buffer_load_dword v2, v5, s[0:3], 0 offen
	buffer_load_dword v3, v5, s[0:3], 0 offen offset:4
	buffer_load_dword v4, v5, s[0:3], 0 offen offset:8
	s_nop 0
	buffer_load_dword v5, v5, s[0:3], 0 offen offset:12
	v_cmp_gt_u32_e32 vcc, 4, v0
	s_waitcnt vmcnt(0)
	ds_write_b128 v6, v[2:5]
	s_waitcnt lgkmcnt(0)
	; wave barrier
	s_waitcnt lgkmcnt(0)
	s_and_saveexec_b64 s[4:5], vcc
	s_cbranch_execz .LBB119_31
; %bb.28:
	v_pk_mov_b32 v[2:3], 0, 0
	v_add_u32_e32 v8, -1, v0
	v_add_u32_e32 v9, 0x380, v1
	v_add_u32_e32 v10, 16, v1
	s_mov_b64 s[6:7], 0
	v_pk_mov_b32 v[4:5], v[2:3], v[2:3] op_sel:[0,1]
.LBB119_29:                             ; =>This Inner Loop Header: Depth=1
	buffer_load_dword v16, v10, s[0:3], 0 offen offset:8
	buffer_load_dword v17, v10, s[0:3], 0 offen offset:12
	buffer_load_dword v18, v10, s[0:3], 0 offen
	buffer_load_dword v19, v10, s[0:3], 0 offen offset:4
	ds_read_b128 v[12:15], v9
	v_add_u32_e32 v8, 1, v8
	v_cmp_lt_u32_e32 vcc, 2, v8
	v_add_u32_e32 v9, 16, v9
	v_add_u32_e32 v10, 16, v10
	s_or_b64 s[6:7], vcc, s[6:7]
	s_waitcnt vmcnt(2) lgkmcnt(0)
	v_mul_f64 v[20:21], v[14:15], v[16:17]
	v_mul_f64 v[16:17], v[12:13], v[16:17]
	s_waitcnt vmcnt(0)
	v_fma_f64 v[12:13], v[12:13], v[18:19], -v[20:21]
	v_fmac_f64_e32 v[16:17], v[14:15], v[18:19]
	v_add_f64 v[4:5], v[4:5], v[12:13]
	v_add_f64 v[2:3], v[2:3], v[16:17]
	s_andn2_b64 exec, exec, s[6:7]
	s_cbranch_execnz .LBB119_29
; %bb.30:
	s_or_b64 exec, exec, s[6:7]
	v_mov_b32_e32 v8, 0
	ds_read_b128 v[8:11], v8 offset:64
	s_waitcnt lgkmcnt(0)
	v_mul_f64 v[12:13], v[2:3], v[10:11]
	v_mul_f64 v[10:11], v[4:5], v[10:11]
	v_fma_f64 v[4:5], v[4:5], v[8:9], -v[12:13]
	v_fmac_f64_e32 v[10:11], v[2:3], v[8:9]
	buffer_store_dword v5, off, s[0:3], 0 offset:84
	buffer_store_dword v4, off, s[0:3], 0 offset:80
	buffer_store_dword v11, off, s[0:3], 0 offset:92
	buffer_store_dword v10, off, s[0:3], 0 offset:88
.LBB119_31:
	s_or_b64 exec, exec, s[4:5]
	v_accvgpr_read_b32 v5, a162
	s_waitcnt lgkmcnt(0)
	; wave barrier
	buffer_load_dword v2, v5, s[0:3], 0 offen
	buffer_load_dword v3, v5, s[0:3], 0 offen offset:4
	buffer_load_dword v4, v5, s[0:3], 0 offen offset:8
	s_nop 0
	buffer_load_dword v5, v5, s[0:3], 0 offen offset:12
	v_cmp_gt_u32_e32 vcc, 5, v0
	;; [unrolled: 59-line block ×19, first 2 shown]
	s_waitcnt vmcnt(0)
	ds_write_b128 v6, v[2:5]
	s_waitcnt lgkmcnt(0)
	; wave barrier
	s_waitcnt lgkmcnt(0)
	s_and_saveexec_b64 s[4:5], vcc
	s_cbranch_execz .LBB119_103
; %bb.100:
	v_pk_mov_b32 v[2:3], 0, 0
	v_add_u32_e32 v8, -1, v0
	v_add_u32_e32 v9, 0x380, v1
	v_add_u32_e32 v10, 16, v1
	s_mov_b64 s[6:7], 0
	v_pk_mov_b32 v[4:5], v[2:3], v[2:3] op_sel:[0,1]
.LBB119_101:                            ; =>This Inner Loop Header: Depth=1
	buffer_load_dword v16, v10, s[0:3], 0 offen offset:8
	buffer_load_dword v17, v10, s[0:3], 0 offen offset:12
	buffer_load_dword v18, v10, s[0:3], 0 offen
	buffer_load_dword v19, v10, s[0:3], 0 offen offset:4
	ds_read_b128 v[12:15], v9
	v_add_u32_e32 v8, 1, v8
	v_cmp_lt_u32_e32 vcc, 20, v8
	v_add_u32_e32 v9, 16, v9
	v_add_u32_e32 v10, 16, v10
	s_or_b64 s[6:7], vcc, s[6:7]
	s_waitcnt vmcnt(2) lgkmcnt(0)
	v_mul_f64 v[20:21], v[14:15], v[16:17]
	v_mul_f64 v[16:17], v[12:13], v[16:17]
	s_waitcnt vmcnt(0)
	v_fma_f64 v[12:13], v[12:13], v[18:19], -v[20:21]
	v_fmac_f64_e32 v[16:17], v[14:15], v[18:19]
	v_add_f64 v[4:5], v[4:5], v[12:13]
	v_add_f64 v[2:3], v[2:3], v[16:17]
	s_andn2_b64 exec, exec, s[6:7]
	s_cbranch_execnz .LBB119_101
; %bb.102:
	s_or_b64 exec, exec, s[6:7]
	v_mov_b32_e32 v8, 0
	ds_read_b128 v[8:11], v8 offset:352
	s_waitcnt lgkmcnt(0)
	v_mul_f64 v[12:13], v[2:3], v[10:11]
	v_mul_f64 v[10:11], v[4:5], v[10:11]
	v_fma_f64 v[4:5], v[4:5], v[8:9], -v[12:13]
	v_fmac_f64_e32 v[10:11], v[2:3], v[8:9]
	buffer_store_dword v5, off, s[0:3], 0 offset:372
	buffer_store_dword v4, off, s[0:3], 0 offset:368
	buffer_store_dword v11, off, s[0:3], 0 offset:380
	buffer_store_dword v10, off, s[0:3], 0 offset:376
.LBB119_103:
	s_or_b64 exec, exec, s[4:5]
	v_accvgpr_read_b32 v5, a144
	s_waitcnt lgkmcnt(0)
	; wave barrier
	buffer_load_dword v2, v5, s[0:3], 0 offen
	buffer_load_dword v3, v5, s[0:3], 0 offen offset:4
	buffer_load_dword v4, v5, s[0:3], 0 offen offset:8
	s_nop 0
	buffer_load_dword v5, v5, s[0:3], 0 offen offset:12
	v_cmp_gt_u32_e32 vcc, 23, v0
	s_waitcnt vmcnt(0)
	ds_write_b128 v6, v[2:5]
	s_waitcnt lgkmcnt(0)
	; wave barrier
	s_waitcnt lgkmcnt(0)
	s_and_saveexec_b64 s[4:5], vcc
	s_cbranch_execz .LBB119_107
; %bb.104:
	v_pk_mov_b32 v[2:3], 0, 0
	v_add_u32_e32 v8, -1, v0
	v_add_u32_e32 v9, 0x380, v1
	v_add_u32_e32 v10, 16, v1
	s_mov_b64 s[6:7], 0
	v_pk_mov_b32 v[4:5], v[2:3], v[2:3] op_sel:[0,1]
.LBB119_105:                            ; =>This Inner Loop Header: Depth=1
	buffer_load_dword v16, v10, s[0:3], 0 offen offset:8
	buffer_load_dword v17, v10, s[0:3], 0 offen offset:12
	buffer_load_dword v18, v10, s[0:3], 0 offen
	buffer_load_dword v19, v10, s[0:3], 0 offen offset:4
	ds_read_b128 v[12:15], v9
	v_add_u32_e32 v8, 1, v8
	v_cmp_lt_u32_e32 vcc, 21, v8
	v_add_u32_e32 v9, 16, v9
	v_add_u32_e32 v10, 16, v10
	s_or_b64 s[6:7], vcc, s[6:7]
	s_waitcnt vmcnt(2) lgkmcnt(0)
	v_mul_f64 v[20:21], v[14:15], v[16:17]
	v_mul_f64 v[16:17], v[12:13], v[16:17]
	s_waitcnt vmcnt(0)
	v_fma_f64 v[12:13], v[12:13], v[18:19], -v[20:21]
	v_fmac_f64_e32 v[16:17], v[14:15], v[18:19]
	v_add_f64 v[4:5], v[4:5], v[12:13]
	v_add_f64 v[2:3], v[2:3], v[16:17]
	s_andn2_b64 exec, exec, s[6:7]
	s_cbranch_execnz .LBB119_105
; %bb.106:
	s_or_b64 exec, exec, s[6:7]
	v_mov_b32_e32 v8, 0
	ds_read_b128 v[8:11], v8 offset:368
	s_waitcnt lgkmcnt(0)
	v_mul_f64 v[12:13], v[2:3], v[10:11]
	v_mul_f64 v[10:11], v[4:5], v[10:11]
	v_fma_f64 v[4:5], v[4:5], v[8:9], -v[12:13]
	v_fmac_f64_e32 v[10:11], v[2:3], v[8:9]
	buffer_store_dword v5, off, s[0:3], 0 offset:388
	buffer_store_dword v4, off, s[0:3], 0 offset:384
	buffer_store_dword v11, off, s[0:3], 0 offset:396
	buffer_store_dword v10, off, s[0:3], 0 offset:392
.LBB119_107:
	s_or_b64 exec, exec, s[4:5]
	v_accvgpr_read_b32 v5, a143
	s_waitcnt lgkmcnt(0)
	; wave barrier
	buffer_load_dword v2, v5, s[0:3], 0 offen
	buffer_load_dword v3, v5, s[0:3], 0 offen offset:4
	buffer_load_dword v4, v5, s[0:3], 0 offen offset:8
	s_nop 0
	buffer_load_dword v5, v5, s[0:3], 0 offen offset:12
	v_cmp_gt_u32_e32 vcc, 24, v0
	;; [unrolled: 59-line block ×32, first 2 shown]
	s_waitcnt vmcnt(0)
	ds_write_b128 v6, v[2:5]
	s_waitcnt lgkmcnt(0)
	; wave barrier
	s_waitcnt lgkmcnt(0)
	s_and_saveexec_b64 s[4:5], vcc
	s_cbranch_execz .LBB119_231
; %bb.228:
	v_pk_mov_b32 v[2:3], 0, 0
	v_add_u32_e32 v8, -1, v0
	v_add_u32_e32 v9, 0x380, v1
	v_add_u32_e32 v10, 16, v1
	s_mov_b64 s[6:7], 0
	v_pk_mov_b32 v[4:5], v[2:3], v[2:3] op_sel:[0,1]
.LBB119_229:                            ; =>This Inner Loop Header: Depth=1
	buffer_load_dword v16, v10, s[0:3], 0 offen offset:8
	buffer_load_dword v17, v10, s[0:3], 0 offen offset:12
	buffer_load_dword v18, v10, s[0:3], 0 offen
	buffer_load_dword v19, v10, s[0:3], 0 offen offset:4
	ds_read_b128 v[12:15], v9
	v_add_u32_e32 v8, 1, v8
	v_cmp_lt_u32_e32 vcc, 52, v8
	v_add_u32_e32 v9, 16, v9
	v_add_u32_e32 v10, 16, v10
	s_or_b64 s[6:7], vcc, s[6:7]
	s_waitcnt vmcnt(2) lgkmcnt(0)
	v_mul_f64 v[20:21], v[14:15], v[16:17]
	v_mul_f64 v[16:17], v[12:13], v[16:17]
	s_waitcnt vmcnt(0)
	v_fma_f64 v[12:13], v[12:13], v[18:19], -v[20:21]
	v_fmac_f64_e32 v[16:17], v[14:15], v[18:19]
	v_add_f64 v[4:5], v[4:5], v[12:13]
	v_add_f64 v[2:3], v[2:3], v[16:17]
	s_andn2_b64 exec, exec, s[6:7]
	s_cbranch_execnz .LBB119_229
; %bb.230:
	s_or_b64 exec, exec, s[6:7]
	v_mov_b32_e32 v8, 0
	ds_read_b128 v[8:11], v8 offset:864
	s_waitcnt lgkmcnt(0)
	v_mul_f64 v[12:13], v[2:3], v[10:11]
	v_mul_f64 v[10:11], v[4:5], v[10:11]
	v_fma_f64 v[4:5], v[4:5], v[8:9], -v[12:13]
	v_fmac_f64_e32 v[10:11], v[2:3], v[8:9]
	buffer_store_dword v5, off, s[0:3], 0 offset:884
	buffer_store_dword v4, off, s[0:3], 0 offset:880
	;; [unrolled: 1-line block ×4, first 2 shown]
.LBB119_231:
	s_or_b64 exec, exec, s[4:5]
	v_accvgpr_read_b32 v5, a112
	s_waitcnt lgkmcnt(0)
	; wave barrier
	buffer_load_dword v2, v5, s[0:3], 0 offen
	buffer_load_dword v3, v5, s[0:3], 0 offen offset:4
	buffer_load_dword v4, v5, s[0:3], 0 offen offset:8
	s_nop 0
	buffer_load_dword v5, v5, s[0:3], 0 offen offset:12
	v_cmp_ne_u32_e32 vcc, 55, v0
	s_waitcnt vmcnt(0)
	ds_write_b128 v6, v[2:5]
	s_waitcnt lgkmcnt(0)
	; wave barrier
	s_waitcnt lgkmcnt(0)
	s_and_saveexec_b64 s[4:5], vcc
	s_cbranch_execz .LBB119_235
; %bb.232:
	v_pk_mov_b32 v[2:3], 0, 0
	v_add_u32_e32 v6, 0x380, v1
	v_add_u32_e32 v1, 16, v1
	s_mov_b64 s[6:7], 0
	v_pk_mov_b32 v[4:5], v[2:3], v[2:3] op_sel:[0,1]
.LBB119_233:                            ; =>This Inner Loop Header: Depth=1
	buffer_load_dword v12, v1, s[0:3], 0 offen offset:8
	buffer_load_dword v13, v1, s[0:3], 0 offen offset:12
	buffer_load_dword v14, v1, s[0:3], 0 offen
	buffer_load_dword v15, v1, s[0:3], 0 offen offset:4
	ds_read_b128 v[8:11], v6
	v_add_u32_e32 v7, 1, v7
	v_cmp_lt_u32_e32 vcc, 53, v7
	v_add_u32_e32 v6, 16, v6
	v_add_u32_e32 v1, 16, v1
	s_or_b64 s[6:7], vcc, s[6:7]
	s_waitcnt vmcnt(2) lgkmcnt(0)
	v_mul_f64 v[16:17], v[10:11], v[12:13]
	v_mul_f64 v[12:13], v[8:9], v[12:13]
	s_waitcnt vmcnt(0)
	v_fma_f64 v[8:9], v[8:9], v[14:15], -v[16:17]
	v_fmac_f64_e32 v[12:13], v[10:11], v[14:15]
	v_add_f64 v[4:5], v[4:5], v[8:9]
	v_add_f64 v[2:3], v[2:3], v[12:13]
	s_andn2_b64 exec, exec, s[6:7]
	s_cbranch_execnz .LBB119_233
; %bb.234:
	s_or_b64 exec, exec, s[6:7]
	v_mov_b32_e32 v1, 0
	ds_read_b128 v[6:9], v1 offset:880
	s_waitcnt lgkmcnt(0)
	v_mul_f64 v[10:11], v[2:3], v[8:9]
	v_mul_f64 v[8:9], v[4:5], v[8:9]
	v_fma_f64 v[4:5], v[4:5], v[6:7], -v[10:11]
	v_fmac_f64_e32 v[8:9], v[2:3], v[6:7]
	buffer_store_dword v5, off, s[0:3], 0 offset:900
	buffer_store_dword v4, off, s[0:3], 0 offset:896
	;; [unrolled: 1-line block ×4, first 2 shown]
.LBB119_235:
	s_or_b64 exec, exec, s[4:5]
	s_mov_b64 s[6:7], -1
	s_waitcnt lgkmcnt(0)
	; wave barrier
.LBB119_236:
	s_and_b64 vcc, exec, s[6:7]
	s_cbranch_vccz .LBB119_238
; %bb.237:
	s_lshl_b64 s[4:5], s[8:9], 2
	s_add_u32 s4, s14, s4
	s_addc_u32 s5, s15, s5
	v_mov_b32_e32 v1, 0
	global_load_dword v1, v1, s[4:5]
	s_waitcnt vmcnt(0)
	v_cmp_ne_u32_e32 vcc, 0, v1
	s_cbranch_vccz .LBB119_239
.LBB119_238:
	s_endpgm
.LBB119_239:
	v_mov_b32_e32 v1, 0x380
	v_lshl_add_u32 v1, v0, 4, v1
	v_accvgpr_write_b32 a167, v1
	v_cmp_eq_u32_e32 vcc, 55, v0
	s_and_saveexec_b64 s[4:5], vcc
	s_cbranch_execz .LBB119_241
; %bb.240:
	v_accvgpr_read_b32 v1, a113
	buffer_load_dword v2, v1, s[0:3], 0 offen
	buffer_load_dword v3, v1, s[0:3], 0 offen offset:4
	buffer_load_dword v4, v1, s[0:3], 0 offen offset:8
	;; [unrolled: 1-line block ×3, first 2 shown]
	v_mov_b32_e32 v1, 0
	v_accvgpr_read_b32 v6, a167
	buffer_store_dword v1, off, s[0:3], 0 offset:880
	buffer_store_dword v1, off, s[0:3], 0 offset:884
	;; [unrolled: 1-line block ×4, first 2 shown]
	s_waitcnt vmcnt(4)
	ds_write_b128 v6, v[2:5]
.LBB119_241:
	s_or_b64 exec, exec, s[4:5]
	s_waitcnt lgkmcnt(0)
	; wave barrier
	s_waitcnt lgkmcnt(0)
	buffer_load_dword v6, off, s[0:3], 0 offset:904
	buffer_load_dword v7, off, s[0:3], 0 offset:908
	;; [unrolled: 1-line block ×8, first 2 shown]
	v_mov_b32_e32 v1, 0
	ds_read_b128 v[2:5], v1 offset:1776
	v_cmp_lt_u32_e32 vcc, 53, v0
	s_waitcnt vmcnt(6) lgkmcnt(0)
	v_mul_f64 v[14:15], v[2:3], v[6:7]
	v_mul_f64 v[6:7], v[4:5], v[6:7]
	s_waitcnt vmcnt(4)
	v_fma_f64 v[2:3], v[2:3], v[8:9], -v[6:7]
	v_fmac_f64_e32 v[14:15], v[4:5], v[8:9]
	v_add_f64 v[2:3], v[2:3], 0
	v_add_f64 v[4:5], v[14:15], 0
	s_waitcnt vmcnt(2)
	v_add_f64 v[2:3], v[10:11], -v[2:3]
	s_waitcnt vmcnt(0)
	v_add_f64 v[4:5], v[12:13], -v[4:5]
	buffer_store_dword v2, off, s[0:3], 0 offset:880
	buffer_store_dword v3, off, s[0:3], 0 offset:884
	;; [unrolled: 1-line block ×4, first 2 shown]
	s_and_saveexec_b64 s[4:5], vcc
	s_cbranch_execz .LBB119_243
; %bb.242:
	v_accvgpr_read_b32 v5, a114
	buffer_load_dword v2, v5, s[0:3], 0 offen
	buffer_load_dword v3, v5, s[0:3], 0 offen offset:4
	buffer_load_dword v4, v5, s[0:3], 0 offen offset:8
	s_nop 0
	buffer_load_dword v5, v5, s[0:3], 0 offen offset:12
	v_accvgpr_read_b32 v6, a167
	buffer_store_dword v1, off, s[0:3], 0 offset:864
	buffer_store_dword v1, off, s[0:3], 0 offset:868
	;; [unrolled: 1-line block ×4, first 2 shown]
	s_waitcnt vmcnt(4)
	ds_write_b128 v6, v[2:5]
.LBB119_243:
	s_or_b64 exec, exec, s[4:5]
	s_waitcnt lgkmcnt(0)
	; wave barrier
	s_waitcnt lgkmcnt(0)
	buffer_load_dword v10, off, s[0:3], 0 offset:888
	buffer_load_dword v11, off, s[0:3], 0 offset:892
	;; [unrolled: 1-line block ×12, first 2 shown]
	ds_read_b128 v[2:5], v1 offset:1760
	ds_read_b128 v[6:9], v1 offset:1776
	v_cmp_lt_u32_e32 vcc, 52, v0
	s_waitcnt vmcnt(10) lgkmcnt(1)
	v_mul_f64 v[22:23], v[2:3], v[10:11]
	v_mul_f64 v[10:11], v[4:5], v[10:11]
	s_waitcnt vmcnt(8) lgkmcnt(0)
	v_mul_f64 v[24:25], v[6:7], v[12:13]
	v_mul_f64 v[12:13], v[8:9], v[12:13]
	s_waitcnt vmcnt(6)
	v_fma_f64 v[2:3], v[2:3], v[14:15], -v[10:11]
	v_fmac_f64_e32 v[22:23], v[4:5], v[14:15]
	s_waitcnt vmcnt(4)
	v_fma_f64 v[4:5], v[6:7], v[16:17], -v[12:13]
	v_add_f64 v[2:3], v[2:3], 0
	v_fmac_f64_e32 v[24:25], v[8:9], v[16:17]
	v_add_f64 v[6:7], v[22:23], 0
	v_add_f64 v[2:3], v[2:3], v[4:5]
	;; [unrolled: 1-line block ×3, first 2 shown]
	s_waitcnt vmcnt(2)
	v_add_f64 v[2:3], v[18:19], -v[2:3]
	s_waitcnt vmcnt(0)
	v_add_f64 v[4:5], v[20:21], -v[6:7]
	buffer_store_dword v2, off, s[0:3], 0 offset:864
	buffer_store_dword v3, off, s[0:3], 0 offset:868
	;; [unrolled: 1-line block ×4, first 2 shown]
	s_and_saveexec_b64 s[4:5], vcc
	s_cbranch_execz .LBB119_245
; %bb.244:
	v_accvgpr_read_b32 v1, a115
	buffer_load_dword v2, v1, s[0:3], 0 offen
	buffer_load_dword v3, v1, s[0:3], 0 offen offset:4
	buffer_load_dword v4, v1, s[0:3], 0 offen offset:8
	;; [unrolled: 1-line block ×3, first 2 shown]
	v_mov_b32_e32 v1, 0
	v_accvgpr_read_b32 v6, a167
	buffer_store_dword v1, off, s[0:3], 0 offset:848
	buffer_store_dword v1, off, s[0:3], 0 offset:852
	;; [unrolled: 1-line block ×4, first 2 shown]
	s_waitcnt vmcnt(4)
	ds_write_b128 v6, v[2:5]
.LBB119_245:
	s_or_b64 exec, exec, s[4:5]
	s_waitcnt lgkmcnt(0)
	; wave barrier
	s_waitcnt lgkmcnt(0)
	buffer_load_dword v14, off, s[0:3], 0 offset:872
	buffer_load_dword v15, off, s[0:3], 0 offset:876
	;; [unrolled: 1-line block ×16, first 2 shown]
	v_mov_b32_e32 v1, 0
	ds_read_b128 v[2:5], v1 offset:1744
	ds_read_b128 v[6:9], v1 offset:1760
	;; [unrolled: 1-line block ×3, first 2 shown]
	v_cmp_lt_u32_e32 vcc, 51, v0
	s_waitcnt vmcnt(14) lgkmcnt(2)
	v_mul_f64 v[30:31], v[2:3], v[14:15]
	v_mul_f64 v[14:15], v[4:5], v[14:15]
	s_waitcnt vmcnt(12) lgkmcnt(1)
	v_mul_f64 v[32:33], v[6:7], v[16:17]
	v_mul_f64 v[16:17], v[8:9], v[16:17]
	;; [unrolled: 3-line block ×3, first 2 shown]
	s_waitcnt vmcnt(8)
	v_fma_f64 v[2:3], v[2:3], v[20:21], -v[14:15]
	v_fmac_f64_e32 v[30:31], v[4:5], v[20:21]
	s_waitcnt vmcnt(6)
	v_fma_f64 v[4:5], v[6:7], v[22:23], -v[16:17]
	v_add_f64 v[2:3], v[2:3], 0
	v_fmac_f64_e32 v[32:33], v[8:9], v[22:23]
	s_waitcnt vmcnt(4)
	v_fma_f64 v[6:7], v[10:11], v[24:25], -v[18:19]
	v_add_f64 v[8:9], v[30:31], 0
	v_add_f64 v[2:3], v[2:3], v[4:5]
	v_fmac_f64_e32 v[34:35], v[12:13], v[24:25]
	v_add_f64 v[8:9], v[8:9], v[32:33]
	v_add_f64 v[2:3], v[2:3], v[6:7]
	;; [unrolled: 1-line block ×3, first 2 shown]
	s_waitcnt vmcnt(2)
	v_add_f64 v[2:3], v[26:27], -v[2:3]
	s_waitcnt vmcnt(0)
	v_add_f64 v[4:5], v[28:29], -v[4:5]
	buffer_store_dword v2, off, s[0:3], 0 offset:848
	buffer_store_dword v3, off, s[0:3], 0 offset:852
	;; [unrolled: 1-line block ×4, first 2 shown]
	s_and_saveexec_b64 s[4:5], vcc
	s_cbranch_execz .LBB119_247
; %bb.246:
	v_accvgpr_read_b32 v5, a116
	buffer_load_dword v2, v5, s[0:3], 0 offen
	buffer_load_dword v3, v5, s[0:3], 0 offen offset:4
	buffer_load_dword v4, v5, s[0:3], 0 offen offset:8
	s_nop 0
	buffer_load_dword v5, v5, s[0:3], 0 offen offset:12
	v_accvgpr_read_b32 v6, a167
	buffer_store_dword v1, off, s[0:3], 0 offset:832
	buffer_store_dword v1, off, s[0:3], 0 offset:836
	;; [unrolled: 1-line block ×4, first 2 shown]
	s_waitcnt vmcnt(4)
	ds_write_b128 v6, v[2:5]
.LBB119_247:
	s_or_b64 exec, exec, s[4:5]
	s_waitcnt lgkmcnt(0)
	; wave barrier
	s_waitcnt lgkmcnt(0)
	buffer_load_dword v18, off, s[0:3], 0 offset:856
	buffer_load_dword v19, off, s[0:3], 0 offset:860
	;; [unrolled: 1-line block ×20, first 2 shown]
	ds_read_b128 v[2:5], v1 offset:1728
	ds_read_b128 v[6:9], v1 offset:1744
	;; [unrolled: 1-line block ×4, first 2 shown]
	v_cmp_lt_u32_e32 vcc, 50, v0
	s_waitcnt vmcnt(18) lgkmcnt(3)
	v_mul_f64 v[38:39], v[2:3], v[18:19]
	v_mul_f64 v[18:19], v[4:5], v[18:19]
	s_waitcnt vmcnt(16) lgkmcnt(2)
	v_mul_f64 v[40:41], v[6:7], v[20:21]
	v_mul_f64 v[20:21], v[8:9], v[20:21]
	;; [unrolled: 3-line block ×4, first 2 shown]
	s_waitcnt vmcnt(10)
	v_fma_f64 v[2:3], v[2:3], v[26:27], -v[18:19]
	v_fmac_f64_e32 v[38:39], v[4:5], v[26:27]
	s_waitcnt vmcnt(8)
	v_fma_f64 v[4:5], v[6:7], v[28:29], -v[20:21]
	v_add_f64 v[2:3], v[2:3], 0
	v_fmac_f64_e32 v[40:41], v[8:9], v[28:29]
	s_waitcnt vmcnt(6)
	v_fma_f64 v[6:7], v[10:11], v[30:31], -v[22:23]
	v_add_f64 v[10:11], v[38:39], 0
	v_add_f64 v[2:3], v[2:3], v[4:5]
	v_fmac_f64_e32 v[42:43], v[12:13], v[30:31]
	s_waitcnt vmcnt(4)
	v_fma_f64 v[8:9], v[14:15], v[32:33], -v[24:25]
	v_add_f64 v[10:11], v[10:11], v[40:41]
	v_add_f64 v[2:3], v[2:3], v[6:7]
	v_fmac_f64_e32 v[44:45], v[16:17], v[32:33]
	v_add_f64 v[4:5], v[10:11], v[42:43]
	v_add_f64 v[2:3], v[2:3], v[8:9]
	;; [unrolled: 1-line block ×3, first 2 shown]
	s_waitcnt vmcnt(2)
	v_add_f64 v[2:3], v[34:35], -v[2:3]
	s_waitcnt vmcnt(0)
	v_add_f64 v[4:5], v[36:37], -v[4:5]
	buffer_store_dword v2, off, s[0:3], 0 offset:832
	buffer_store_dword v3, off, s[0:3], 0 offset:836
	;; [unrolled: 1-line block ×4, first 2 shown]
	s_and_saveexec_b64 s[4:5], vcc
	s_cbranch_execz .LBB119_249
; %bb.248:
	v_accvgpr_read_b32 v1, a117
	buffer_load_dword v2, v1, s[0:3], 0 offen
	buffer_load_dword v3, v1, s[0:3], 0 offen offset:4
	buffer_load_dword v4, v1, s[0:3], 0 offen offset:8
	;; [unrolled: 1-line block ×3, first 2 shown]
	v_mov_b32_e32 v1, 0
	v_accvgpr_read_b32 v6, a167
	buffer_store_dword v1, off, s[0:3], 0 offset:816
	buffer_store_dword v1, off, s[0:3], 0 offset:820
	;; [unrolled: 1-line block ×4, first 2 shown]
	s_waitcnt vmcnt(4)
	ds_write_b128 v6, v[2:5]
.LBB119_249:
	s_or_b64 exec, exec, s[4:5]
	s_waitcnt lgkmcnt(0)
	; wave barrier
	s_waitcnt lgkmcnt(0)
	buffer_load_dword v22, off, s[0:3], 0 offset:840
	buffer_load_dword v23, off, s[0:3], 0 offset:844
	;; [unrolled: 1-line block ×24, first 2 shown]
	v_mov_b32_e32 v1, 0
	ds_read_b128 v[2:5], v1 offset:1712
	ds_read_b128 v[6:9], v1 offset:1728
	;; [unrolled: 1-line block ×5, first 2 shown]
	v_cmp_lt_u32_e32 vcc, 49, v0
	s_waitcnt vmcnt(22) lgkmcnt(4)
	v_mul_f64 v[46:47], v[2:3], v[22:23]
	v_mul_f64 v[22:23], v[4:5], v[22:23]
	s_waitcnt vmcnt(20) lgkmcnt(3)
	v_mul_f64 v[48:49], v[6:7], v[24:25]
	v_mul_f64 v[24:25], v[8:9], v[24:25]
	;; [unrolled: 3-line block ×4, first 2 shown]
	s_waitcnt vmcnt(13) lgkmcnt(0)
	v_mul_f64 v[54:55], v[18:19], v[28:29]
	s_waitcnt vmcnt(11)
	v_fma_f64 v[2:3], v[2:3], v[34:35], -v[22:23]
	v_fmac_f64_e32 v[46:47], v[4:5], v[34:35]
	s_waitcnt vmcnt(9)
	v_fma_f64 v[4:5], v[6:7], v[36:37], -v[24:25]
	v_add_f64 v[2:3], v[2:3], 0
	v_fmac_f64_e32 v[48:49], v[8:9], v[36:37]
	s_waitcnt vmcnt(7)
	v_fmac_f64_e32 v[50:51], v[12:13], v[38:39]
	v_fma_f64 v[6:7], v[10:11], v[38:39], -v[26:27]
	v_add_f64 v[12:13], v[46:47], 0
	v_add_f64 v[2:3], v[2:3], v[4:5]
	v_mul_f64 v[28:29], v[20:21], v[28:29]
	s_waitcnt vmcnt(5)
	v_fma_f64 v[8:9], v[14:15], v[40:41], -v[32:33]
	v_add_f64 v[12:13], v[12:13], v[48:49]
	v_add_f64 v[2:3], v[2:3], v[6:7]
	v_fmac_f64_e32 v[52:53], v[16:17], v[40:41]
	s_waitcnt vmcnt(4)
	v_fma_f64 v[10:11], v[18:19], v[30:31], -v[28:29]
	v_add_f64 v[4:5], v[12:13], v[50:51]
	v_add_f64 v[2:3], v[2:3], v[8:9]
	v_fmac_f64_e32 v[54:55], v[20:21], v[30:31]
	v_add_f64 v[4:5], v[4:5], v[52:53]
	v_add_f64 v[2:3], v[2:3], v[10:11]
	;; [unrolled: 1-line block ×3, first 2 shown]
	s_waitcnt vmcnt(2)
	v_add_f64 v[2:3], v[42:43], -v[2:3]
	s_waitcnt vmcnt(0)
	v_add_f64 v[4:5], v[44:45], -v[4:5]
	buffer_store_dword v3, off, s[0:3], 0 offset:820
	buffer_store_dword v2, off, s[0:3], 0 offset:816
	;; [unrolled: 1-line block ×4, first 2 shown]
	s_and_saveexec_b64 s[4:5], vcc
	s_cbranch_execz .LBB119_251
; %bb.250:
	v_accvgpr_read_b32 v5, a118
	buffer_load_dword v2, v5, s[0:3], 0 offen
	buffer_load_dword v3, v5, s[0:3], 0 offen offset:4
	buffer_load_dword v4, v5, s[0:3], 0 offen offset:8
	s_nop 0
	buffer_load_dword v5, v5, s[0:3], 0 offen offset:12
	v_accvgpr_read_b32 v6, a167
	buffer_store_dword v1, off, s[0:3], 0 offset:800
	buffer_store_dword v1, off, s[0:3], 0 offset:804
	;; [unrolled: 1-line block ×4, first 2 shown]
	s_waitcnt vmcnt(4)
	ds_write_b128 v6, v[2:5]
.LBB119_251:
	s_or_b64 exec, exec, s[4:5]
	s_waitcnt lgkmcnt(0)
	; wave barrier
	s_waitcnt lgkmcnt(0)
	buffer_load_dword v26, off, s[0:3], 0 offset:824
	buffer_load_dword v27, off, s[0:3], 0 offset:828
	;; [unrolled: 1-line block ×28, first 2 shown]
	ds_read_b128 v[2:5], v1 offset:1696
	ds_read_b128 v[6:9], v1 offset:1712
	;; [unrolled: 1-line block ×6, first 2 shown]
	v_cmp_lt_u32_e32 vcc, 48, v0
	s_waitcnt vmcnt(26) lgkmcnt(5)
	v_mul_f64 v[54:55], v[2:3], v[26:27]
	v_mul_f64 v[26:27], v[4:5], v[26:27]
	s_waitcnt vmcnt(24) lgkmcnt(4)
	v_mul_f64 v[56:57], v[6:7], v[28:29]
	v_mul_f64 v[28:29], v[8:9], v[28:29]
	;; [unrolled: 3-line block ×4, first 2 shown]
	s_waitcnt vmcnt(17)
	v_mul_f64 v[60:61], v[14:15], v[36:37]
	v_mul_f64 v[36:37], v[16:17], v[36:37]
	s_waitcnt vmcnt(15) lgkmcnt(0)
	v_mul_f64 v[64:65], v[22:23], v[38:39]
	v_mul_f64 v[38:39], v[24:25], v[38:39]
	s_waitcnt vmcnt(14)
	v_fmac_f64_e32 v[62:63], v[20:21], v[34:35]
	s_waitcnt vmcnt(12)
	v_fma_f64 v[2:3], v[2:3], v[40:41], -v[26:27]
	v_fmac_f64_e32 v[54:55], v[4:5], v[40:41]
	s_waitcnt vmcnt(10)
	v_fma_f64 v[4:5], v[6:7], v[42:43], -v[28:29]
	v_add_f64 v[2:3], v[2:3], 0
	v_fmac_f64_e32 v[56:57], v[8:9], v[42:43]
	s_waitcnt vmcnt(8)
	v_fma_f64 v[6:7], v[10:11], v[44:45], -v[30:31]
	s_waitcnt vmcnt(6)
	v_fma_f64 v[8:9], v[14:15], v[46:47], -v[36:37]
	v_add_f64 v[14:15], v[54:55], 0
	v_add_f64 v[2:3], v[2:3], v[4:5]
	v_fmac_f64_e32 v[58:59], v[12:13], v[44:45]
	v_add_f64 v[14:15], v[14:15], v[56:57]
	v_add_f64 v[2:3], v[2:3], v[6:7]
	v_fmac_f64_e32 v[60:61], v[16:17], v[46:47]
	v_fma_f64 v[10:11], v[18:19], v[34:35], -v[32:33]
	v_add_f64 v[4:5], v[14:15], v[58:59]
	v_add_f64 v[2:3], v[2:3], v[8:9]
	s_waitcnt vmcnt(4)
	v_fma_f64 v[12:13], v[22:23], v[48:49], -v[38:39]
	v_add_f64 v[4:5], v[4:5], v[60:61]
	v_add_f64 v[2:3], v[2:3], v[10:11]
	v_fmac_f64_e32 v[64:65], v[24:25], v[48:49]
	v_add_f64 v[4:5], v[4:5], v[62:63]
	v_add_f64 v[2:3], v[2:3], v[12:13]
	;; [unrolled: 1-line block ×3, first 2 shown]
	s_waitcnt vmcnt(2)
	v_add_f64 v[2:3], v[50:51], -v[2:3]
	s_waitcnt vmcnt(0)
	v_add_f64 v[4:5], v[52:53], -v[4:5]
	buffer_store_dword v3, off, s[0:3], 0 offset:804
	buffer_store_dword v2, off, s[0:3], 0 offset:800
	;; [unrolled: 1-line block ×4, first 2 shown]
	s_and_saveexec_b64 s[4:5], vcc
	s_cbranch_execz .LBB119_253
; %bb.252:
	v_accvgpr_read_b32 v1, a119
	buffer_load_dword v2, v1, s[0:3], 0 offen
	buffer_load_dword v3, v1, s[0:3], 0 offen offset:4
	buffer_load_dword v4, v1, s[0:3], 0 offen offset:8
	;; [unrolled: 1-line block ×3, first 2 shown]
	v_mov_b32_e32 v1, 0
	v_accvgpr_read_b32 v6, a167
	buffer_store_dword v1, off, s[0:3], 0 offset:784
	buffer_store_dword v1, off, s[0:3], 0 offset:788
	;; [unrolled: 1-line block ×4, first 2 shown]
	s_waitcnt vmcnt(4)
	ds_write_b128 v6, v[2:5]
.LBB119_253:
	s_or_b64 exec, exec, s[4:5]
	s_waitcnt lgkmcnt(0)
	; wave barrier
	s_waitcnt lgkmcnt(0)
	buffer_load_dword v30, off, s[0:3], 0 offset:808
	buffer_load_dword v31, off, s[0:3], 0 offset:812
	;; [unrolled: 1-line block ×32, first 2 shown]
	v_mov_b32_e32 v1, 0
	ds_read_b128 v[2:5], v1 offset:1680
	ds_read_b128 v[6:9], v1 offset:1696
	ds_read_b128 v[10:13], v1 offset:1712
	ds_read_b128 v[14:17], v1 offset:1728
	ds_read_b128 v[18:21], v1 offset:1744
	ds_read_b128 v[22:25], v1 offset:1760
	ds_read_b128 v[26:29], v1 offset:1776
	v_cmp_lt_u32_e32 vcc, 47, v0
	s_waitcnt vmcnt(30) lgkmcnt(6)
	v_mul_f64 v[62:63], v[2:3], v[30:31]
	v_mul_f64 v[30:31], v[4:5], v[30:31]
	s_waitcnt vmcnt(28) lgkmcnt(5)
	v_mul_f64 v[64:65], v[6:7], v[32:33]
	v_mul_f64 v[32:33], v[8:9], v[32:33]
	;; [unrolled: 3-line block ×4, first 2 shown]
	s_waitcnt vmcnt(21)
	v_mul_f64 v[68:69], v[14:15], v[40:41]
	v_mul_f64 v[40:41], v[16:17], v[40:41]
	s_waitcnt vmcnt(17) lgkmcnt(1)
	v_mul_f64 v[72:73], v[22:23], v[46:47]
	v_mul_f64 v[46:47], v[24:25], v[46:47]
	s_waitcnt vmcnt(16) lgkmcnt(0)
	v_mul_f64 v[74:75], v[26:27], v[42:43]
	v_mul_f64 v[42:43], v[28:29], v[42:43]
	s_waitcnt vmcnt(13)
	v_fma_f64 v[2:3], v[2:3], v[48:49], -v[30:31]
	v_fmac_f64_e32 v[62:63], v[4:5], v[48:49]
	s_waitcnt vmcnt(11)
	v_fma_f64 v[4:5], v[6:7], v[50:51], -v[32:33]
	v_add_f64 v[2:3], v[2:3], 0
	v_fmac_f64_e32 v[64:65], v[8:9], v[50:51]
	s_waitcnt vmcnt(9)
	v_fma_f64 v[6:7], v[10:11], v[52:53], -v[34:35]
	s_waitcnt vmcnt(7)
	v_fmac_f64_e32 v[68:69], v[16:17], v[54:55]
	v_add_f64 v[16:17], v[62:63], 0
	v_add_f64 v[2:3], v[2:3], v[4:5]
	v_fmac_f64_e32 v[66:67], v[12:13], v[52:53]
	v_fma_f64 v[8:9], v[14:15], v[54:55], -v[40:41]
	v_add_f64 v[16:17], v[16:17], v[64:65]
	v_add_f64 v[2:3], v[2:3], v[6:7]
	v_fma_f64 v[10:11], v[18:19], v[38:39], -v[36:37]
	v_add_f64 v[4:5], v[16:17], v[66:67]
	v_add_f64 v[2:3], v[2:3], v[8:9]
	v_fmac_f64_e32 v[70:71], v[20:21], v[38:39]
	s_waitcnt vmcnt(5)
	v_fma_f64 v[12:13], v[22:23], v[56:57], -v[46:47]
	v_add_f64 v[4:5], v[4:5], v[68:69]
	v_add_f64 v[2:3], v[2:3], v[10:11]
	v_fmac_f64_e32 v[72:73], v[24:25], v[56:57]
	s_waitcnt vmcnt(4)
	v_fma_f64 v[14:15], v[26:27], v[44:45], -v[42:43]
	v_add_f64 v[4:5], v[4:5], v[70:71]
	v_add_f64 v[2:3], v[2:3], v[12:13]
	v_fmac_f64_e32 v[74:75], v[28:29], v[44:45]
	v_add_f64 v[4:5], v[4:5], v[72:73]
	v_add_f64 v[2:3], v[2:3], v[14:15]
	;; [unrolled: 1-line block ×3, first 2 shown]
	s_waitcnt vmcnt(2)
	v_add_f64 v[2:3], v[58:59], -v[2:3]
	s_waitcnt vmcnt(0)
	v_add_f64 v[4:5], v[60:61], -v[4:5]
	buffer_store_dword v3, off, s[0:3], 0 offset:788
	buffer_store_dword v2, off, s[0:3], 0 offset:784
	;; [unrolled: 1-line block ×4, first 2 shown]
	s_and_saveexec_b64 s[4:5], vcc
	s_cbranch_execz .LBB119_255
; %bb.254:
	v_accvgpr_read_b32 v5, a120
	buffer_load_dword v2, v5, s[0:3], 0 offen
	buffer_load_dword v3, v5, s[0:3], 0 offen offset:4
	buffer_load_dword v4, v5, s[0:3], 0 offen offset:8
	s_nop 0
	buffer_load_dword v5, v5, s[0:3], 0 offen offset:12
	v_accvgpr_read_b32 v6, a167
	buffer_store_dword v1, off, s[0:3], 0 offset:768
	buffer_store_dword v1, off, s[0:3], 0 offset:772
	buffer_store_dword v1, off, s[0:3], 0 offset:776
	buffer_store_dword v1, off, s[0:3], 0 offset:780
	s_waitcnt vmcnt(4)
	ds_write_b128 v6, v[2:5]
.LBB119_255:
	s_or_b64 exec, exec, s[4:5]
	s_waitcnt lgkmcnt(0)
	; wave barrier
	s_waitcnt lgkmcnt(0)
	buffer_load_dword v34, off, s[0:3], 0 offset:792
	buffer_load_dword v35, off, s[0:3], 0 offset:796
	;; [unrolled: 1-line block ×36, first 2 shown]
	ds_read_b128 v[2:5], v1 offset:1664
	ds_read_b128 v[6:9], v1 offset:1680
	;; [unrolled: 1-line block ×8, first 2 shown]
	v_cmp_lt_u32_e32 vcc, 46, v0
	s_waitcnt vmcnt(34) lgkmcnt(7)
	v_mul_f64 v[70:71], v[2:3], v[34:35]
	v_mul_f64 v[34:35], v[4:5], v[34:35]
	s_waitcnt vmcnt(32) lgkmcnt(6)
	v_mul_f64 v[72:73], v[6:7], v[36:37]
	v_mul_f64 v[36:37], v[8:9], v[36:37]
	;; [unrolled: 3-line block ×4, first 2 shown]
	s_waitcnt vmcnt(25)
	v_mul_f64 v[76:77], v[14:15], v[44:45]
	v_mul_f64 v[44:45], v[16:17], v[44:45]
	s_waitcnt vmcnt(23) lgkmcnt(1)
	v_mul_f64 v[82:83], v[26:27], v[46:47]
	v_mul_f64 v[46:47], v[28:29], v[46:47]
	s_waitcnt vmcnt(20)
	v_mul_f64 v[80:81], v[22:23], v[50:51]
	v_mul_f64 v[50:51], v[24:25], v[50:51]
	s_waitcnt vmcnt(18) lgkmcnt(0)
	v_mul_f64 v[84:85], v[30:31], v[52:53]
	s_waitcnt vmcnt(17)
	v_fmac_f64_e32 v[78:79], v[20:21], v[42:43]
	s_waitcnt vmcnt(16)
	v_fmac_f64_e32 v[82:83], v[28:29], v[48:49]
	s_waitcnt vmcnt(14)
	v_fma_f64 v[2:3], v[2:3], v[54:55], -v[34:35]
	v_fmac_f64_e32 v[70:71], v[4:5], v[54:55]
	s_waitcnt vmcnt(12)
	v_fma_f64 v[4:5], v[6:7], v[56:57], -v[36:37]
	v_add_f64 v[2:3], v[2:3], 0
	v_fmac_f64_e32 v[72:73], v[8:9], v[56:57]
	s_waitcnt vmcnt(10)
	v_fma_f64 v[6:7], v[10:11], v[58:59], -v[38:39]
	s_waitcnt vmcnt(8)
	v_fmac_f64_e32 v[76:77], v[16:17], v[60:61]
	v_add_f64 v[16:17], v[70:71], 0
	v_add_f64 v[2:3], v[2:3], v[4:5]
	v_fmac_f64_e32 v[74:75], v[12:13], v[58:59]
	v_fma_f64 v[8:9], v[14:15], v[60:61], -v[44:45]
	v_add_f64 v[16:17], v[16:17], v[72:73]
	v_add_f64 v[2:3], v[2:3], v[6:7]
	v_fma_f64 v[10:11], v[18:19], v[42:43], -v[40:41]
	v_add_f64 v[4:5], v[16:17], v[74:75]
	v_add_f64 v[2:3], v[2:3], v[8:9]
	s_waitcnt vmcnt(6)
	v_fma_f64 v[12:13], v[22:23], v[62:63], -v[50:51]
	v_add_f64 v[4:5], v[4:5], v[76:77]
	v_add_f64 v[2:3], v[2:3], v[10:11]
	v_fmac_f64_e32 v[80:81], v[24:25], v[62:63]
	v_fma_f64 v[14:15], v[26:27], v[48:49], -v[46:47]
	v_add_f64 v[4:5], v[4:5], v[78:79]
	v_add_f64 v[2:3], v[2:3], v[12:13]
	v_mul_f64 v[6:7], v[32:33], v[52:53]
	v_add_f64 v[4:5], v[4:5], v[80:81]
	v_add_f64 v[2:3], v[2:3], v[14:15]
	s_waitcnt vmcnt(4)
	v_fma_f64 v[6:7], v[30:31], v[64:65], -v[6:7]
	v_fmac_f64_e32 v[84:85], v[32:33], v[64:65]
	v_add_f64 v[4:5], v[4:5], v[82:83]
	v_add_f64 v[2:3], v[2:3], v[6:7]
	;; [unrolled: 1-line block ×3, first 2 shown]
	s_waitcnt vmcnt(2)
	v_add_f64 v[2:3], v[66:67], -v[2:3]
	s_waitcnt vmcnt(0)
	v_add_f64 v[4:5], v[68:69], -v[4:5]
	buffer_store_dword v3, off, s[0:3], 0 offset:772
	buffer_store_dword v2, off, s[0:3], 0 offset:768
	;; [unrolled: 1-line block ×4, first 2 shown]
	s_and_saveexec_b64 s[4:5], vcc
	s_cbranch_execz .LBB119_257
; %bb.256:
	v_accvgpr_read_b32 v1, a121
	buffer_load_dword v2, v1, s[0:3], 0 offen
	buffer_load_dword v3, v1, s[0:3], 0 offen offset:4
	buffer_load_dword v4, v1, s[0:3], 0 offen offset:8
	buffer_load_dword v5, v1, s[0:3], 0 offen offset:12
	v_mov_b32_e32 v1, 0
	v_accvgpr_read_b32 v6, a167
	buffer_store_dword v1, off, s[0:3], 0 offset:752
	buffer_store_dword v1, off, s[0:3], 0 offset:756
	buffer_store_dword v1, off, s[0:3], 0 offset:760
	buffer_store_dword v1, off, s[0:3], 0 offset:764
	s_waitcnt vmcnt(4)
	ds_write_b128 v6, v[2:5]
.LBB119_257:
	s_or_b64 exec, exec, s[4:5]
	v_mov_b32_e32 v1, 0
	s_waitcnt lgkmcnt(0)
	; wave barrier
	s_waitcnt lgkmcnt(0)
	ds_read_b128 v[18:21], v1 offset:1648
	ds_read_b128 v[14:17], v1 offset:1664
	;; [unrolled: 1-line block ×4, first 2 shown]
	buffer_load_dword v40, off, s[0:3], 0 offset:752
	buffer_load_dword v41, off, s[0:3], 0 offset:756
	;; [unrolled: 1-line block ×20, first 2 shown]
	v_cmp_lt_u32_e32 vcc, 45, v0
	s_waitcnt vmcnt(12) lgkmcnt(3)
	v_mul_f64 v[6:7], v[18:19], v[56:57]
	v_fmac_f64_e32 v[6:7], v[20:21], v[44:45]
	v_add_f64 v[6:7], v[6:7], 0
	v_mul_f64 v[20:21], v[20:21], v[56:57]
	s_waitcnt vmcnt(8) lgkmcnt(2)
	v_mul_f64 v[8:9], v[14:15], v[54:55]
	v_fmac_f64_e32 v[8:9], v[16:17], v[50:51]
	v_add_f64 v[6:7], v[6:7], v[8:9]
	v_fma_f64 v[18:19], v[18:19], v[44:45], -v[20:21]
	s_waitcnt vmcnt(4) lgkmcnt(1)
	v_mul_f64 v[8:9], v[10:11], v[52:53]
	v_fmac_f64_e32 v[8:9], v[12:13], v[48:49]
	v_add_f64 v[6:7], v[6:7], v[8:9]
	s_waitcnt vmcnt(0) lgkmcnt(0)
	v_mul_f64 v[8:9], v[2:3], v[58:59]
	v_fmac_f64_e32 v[8:9], v[4:5], v[46:47]
	v_add_f64 v[22:23], v[6:7], v[8:9]
	ds_read_b128 v[6:9], v1 offset:1712
	buffer_load_dword v43, off, s[0:3], 0 offset:836
	buffer_load_dword v42, off, s[0:3], 0 offset:832
	;; [unrolled: 1-line block ×4, first 2 shown]
	v_mul_f64 v[16:17], v[16:17], v[54:55]
	v_add_f64 v[18:19], v[18:19], 0
	v_fma_f64 v[14:15], v[14:15], v[50:51], -v[16:17]
	v_mul_f64 v[12:13], v[12:13], v[52:53]
	v_add_f64 v[14:15], v[18:19], v[14:15]
	v_fma_f64 v[10:11], v[10:11], v[48:49], -v[12:13]
	;; [unrolled: 3-line block ×3, first 2 shown]
	v_add_f64 v[2:3], v[10:11], v[2:3]
	s_waitcnt vmcnt(0) lgkmcnt(0)
	v_mul_f64 v[24:25], v[6:7], v[60:61]
	v_fmac_f64_e32 v[24:25], v[8:9], v[42:43]
	v_add_f64 v[26:27], v[22:23], v[24:25]
	ds_read_b128 v[22:25], v1 offset:1728
	buffer_load_dword v63, off, s[0:3], 0 offset:852
	buffer_load_dword v62, off, s[0:3], 0 offset:848
	buffer_load_dword v65, off, s[0:3], 0 offset:860
	buffer_load_dword v64, off, s[0:3], 0 offset:856
	v_mul_f64 v[4:5], v[8:9], v[60:61]
	v_fma_f64 v[4:5], v[6:7], v[42:43], -v[4:5]
	v_add_f64 v[2:3], v[2:3], v[4:5]
	s_waitcnt vmcnt(0) lgkmcnt(0)
	v_mul_f64 v[28:29], v[22:23], v[64:65]
	v_fmac_f64_e32 v[28:29], v[24:25], v[62:63]
	v_add_f64 v[30:31], v[26:27], v[28:29]
	ds_read_b128 v[26:29], v1 offset:1744
	buffer_load_dword v67, off, s[0:3], 0 offset:868
	buffer_load_dword v66, off, s[0:3], 0 offset:864
	buffer_load_dword v69, off, s[0:3], 0 offset:876
	buffer_load_dword v68, off, s[0:3], 0 offset:872
	v_mul_f64 v[4:5], v[24:25], v[64:65]
	v_fma_f64 v[4:5], v[22:23], v[62:63], -v[4:5]
	;; [unrolled: 12-line block ×4, first 2 shown]
	v_add_f64 v[2:3], v[2:3], v[4:5]
	s_waitcnt vmcnt(0) lgkmcnt(0)
	v_mul_f64 v[4:5], v[36:37], v[76:77]
	v_mul_f64 v[80:81], v[34:35], v[76:77]
	v_fma_f64 v[4:5], v[34:35], v[74:75], -v[4:5]
	v_fmac_f64_e32 v[80:81], v[36:37], v[74:75]
	v_add_f64 v[2:3], v[2:3], v[4:5]
	v_add_f64 v[78:79], v[78:79], v[80:81]
	v_add_f64 v[2:3], v[40:41], -v[2:3]
	v_add_f64 v[4:5], v[38:39], -v[78:79]
	buffer_store_dword v3, off, s[0:3], 0 offset:756
	buffer_store_dword v2, off, s[0:3], 0 offset:752
	buffer_store_dword v5, off, s[0:3], 0 offset:764
	buffer_store_dword v4, off, s[0:3], 0 offset:760
	s_and_saveexec_b64 s[4:5], vcc
	s_cbranch_execz .LBB119_259
; %bb.258:
	v_accvgpr_read_b32 v5, a122
	buffer_load_dword v2, v5, s[0:3], 0 offen
	buffer_load_dword v3, v5, s[0:3], 0 offen offset:4
	buffer_load_dword v4, v5, s[0:3], 0 offen offset:8
	s_nop 0
	buffer_load_dword v5, v5, s[0:3], 0 offen offset:12
	v_accvgpr_read_b32 v6, a167
	buffer_store_dword v1, off, s[0:3], 0 offset:736
	buffer_store_dword v1, off, s[0:3], 0 offset:740
	;; [unrolled: 1-line block ×4, first 2 shown]
	s_waitcnt vmcnt(4)
	ds_write_b128 v6, v[2:5]
.LBB119_259:
	s_or_b64 exec, exec, s[4:5]
	s_waitcnt lgkmcnt(0)
	; wave barrier
	s_waitcnt lgkmcnt(0)
	ds_read_b128 v[18:21], v1 offset:1632
	ds_read_b128 v[10:13], v1 offset:1648
	;; [unrolled: 1-line block ×4, first 2 shown]
	buffer_load_dword v44, off, s[0:3], 0 offset:736
	buffer_load_dword v45, off, s[0:3], 0 offset:740
	buffer_load_dword v42, off, s[0:3], 0 offset:744
	buffer_load_dword v43, off, s[0:3], 0 offset:748
	buffer_load_dword v58, off, s[0:3], 0 offset:752
	buffer_load_dword v59, off, s[0:3], 0 offset:756
	buffer_load_dword v62, off, s[0:3], 0 offset:760
	buffer_load_dword v63, off, s[0:3], 0 offset:764
	buffer_load_dword v56, off, s[0:3], 0 offset:768
	buffer_load_dword v57, off, s[0:3], 0 offset:772
	buffer_load_dword v60, off, s[0:3], 0 offset:776
	buffer_load_dword v61, off, s[0:3], 0 offset:780
	buffer_load_dword v46, off, s[0:3], 0 offset:784
	buffer_load_dword v47, off, s[0:3], 0 offset:788
	buffer_load_dword v48, off, s[0:3], 0 offset:792
	buffer_load_dword v49, off, s[0:3], 0 offset:796
	buffer_load_dword v51, off, s[0:3], 0 offset:804
	buffer_load_dword v50, off, s[0:3], 0 offset:800
	buffer_load_dword v53, off, s[0:3], 0 offset:812
	buffer_load_dword v52, off, s[0:3], 0 offset:808
	v_cmp_lt_u32_e32 vcc, 44, v0
	s_waitcnt vmcnt(12) lgkmcnt(3)
	v_mul_f64 v[14:15], v[18:19], v[62:63]
	v_fmac_f64_e32 v[14:15], v[20:21], v[58:59]
	v_add_f64 v[14:15], v[14:15], 0
	v_mul_f64 v[20:21], v[20:21], v[62:63]
	s_waitcnt vmcnt(8) lgkmcnt(2)
	v_mul_f64 v[16:17], v[10:11], v[60:61]
	v_fmac_f64_e32 v[16:17], v[12:13], v[56:57]
	v_add_f64 v[14:15], v[14:15], v[16:17]
	v_fma_f64 v[18:19], v[18:19], v[58:59], -v[20:21]
	s_waitcnt vmcnt(4) lgkmcnt(1)
	v_mul_f64 v[16:17], v[6:7], v[48:49]
	v_fmac_f64_e32 v[16:17], v[8:9], v[46:47]
	v_add_f64 v[14:15], v[14:15], v[16:17]
	s_waitcnt vmcnt(0) lgkmcnt(0)
	v_mul_f64 v[16:17], v[2:3], v[52:53]
	v_fmac_f64_e32 v[16:17], v[4:5], v[50:51]
	v_add_f64 v[22:23], v[14:15], v[16:17]
	ds_read_b128 v[14:17], v1 offset:1696
	buffer_load_dword v55, off, s[0:3], 0 offset:820
	buffer_load_dword v54, off, s[0:3], 0 offset:816
	;; [unrolled: 1-line block ×4, first 2 shown]
	v_mul_f64 v[12:13], v[12:13], v[60:61]
	v_add_f64 v[18:19], v[18:19], 0
	v_fma_f64 v[10:11], v[10:11], v[56:57], -v[12:13]
	v_mul_f64 v[8:9], v[8:9], v[48:49]
	v_add_f64 v[10:11], v[18:19], v[10:11]
	v_fma_f64 v[6:7], v[6:7], v[46:47], -v[8:9]
	;; [unrolled: 3-line block ×3, first 2 shown]
	v_add_f64 v[2:3], v[6:7], v[2:3]
	s_waitcnt vmcnt(0) lgkmcnt(0)
	v_mul_f64 v[24:25], v[14:15], v[64:65]
	v_fmac_f64_e32 v[24:25], v[16:17], v[54:55]
	v_add_f64 v[26:27], v[22:23], v[24:25]
	ds_read_b128 v[22:25], v1 offset:1712
	buffer_load_dword v67, off, s[0:3], 0 offset:836
	buffer_load_dword v66, off, s[0:3], 0 offset:832
	buffer_load_dword v69, off, s[0:3], 0 offset:844
	buffer_load_dword v68, off, s[0:3], 0 offset:840
	v_mul_f64 v[4:5], v[16:17], v[64:65]
	v_fma_f64 v[4:5], v[14:15], v[54:55], -v[4:5]
	v_add_f64 v[2:3], v[2:3], v[4:5]
	s_waitcnt vmcnt(0) lgkmcnt(0)
	v_mul_f64 v[28:29], v[22:23], v[68:69]
	v_fmac_f64_e32 v[28:29], v[24:25], v[66:67]
	v_add_f64 v[30:31], v[26:27], v[28:29]
	ds_read_b128 v[26:29], v1 offset:1728
	buffer_load_dword v71, off, s[0:3], 0 offset:852
	buffer_load_dword v70, off, s[0:3], 0 offset:848
	buffer_load_dword v73, off, s[0:3], 0 offset:860
	buffer_load_dword v72, off, s[0:3], 0 offset:856
	v_mul_f64 v[4:5], v[24:25], v[68:69]
	v_fma_f64 v[4:5], v[22:23], v[66:67], -v[4:5]
	;; [unrolled: 12-line block ×5, first 2 shown]
	v_add_f64 v[2:3], v[2:3], v[4:5]
	s_waitcnt vmcnt(0) lgkmcnt(0)
	v_mul_f64 v[4:5], v[40:41], v[86:87]
	v_mul_f64 v[88:89], v[38:39], v[86:87]
	v_fma_f64 v[4:5], v[38:39], v[82:83], -v[4:5]
	v_fmac_f64_e32 v[88:89], v[40:41], v[82:83]
	v_add_f64 v[2:3], v[2:3], v[4:5]
	v_add_f64 v[84:85], v[84:85], v[88:89]
	v_add_f64 v[2:3], v[44:45], -v[2:3]
	v_add_f64 v[4:5], v[42:43], -v[84:85]
	buffer_store_dword v3, off, s[0:3], 0 offset:740
	buffer_store_dword v2, off, s[0:3], 0 offset:736
	;; [unrolled: 1-line block ×4, first 2 shown]
	s_and_saveexec_b64 s[4:5], vcc
	s_cbranch_execz .LBB119_261
; %bb.260:
	v_accvgpr_read_b32 v1, a123
	buffer_load_dword v2, v1, s[0:3], 0 offen
	buffer_load_dword v3, v1, s[0:3], 0 offen offset:4
	buffer_load_dword v4, v1, s[0:3], 0 offen offset:8
	;; [unrolled: 1-line block ×3, first 2 shown]
	v_mov_b32_e32 v1, 0
	v_accvgpr_read_b32 v6, a167
	buffer_store_dword v1, off, s[0:3], 0 offset:720
	buffer_store_dword v1, off, s[0:3], 0 offset:724
	;; [unrolled: 1-line block ×4, first 2 shown]
	s_waitcnt vmcnt(4)
	ds_write_b128 v6, v[2:5]
.LBB119_261:
	s_or_b64 exec, exec, s[4:5]
	v_mov_b32_e32 v1, 0
	s_waitcnt lgkmcnt(0)
	; wave barrier
	s_waitcnt lgkmcnt(0)
	ds_read_b128 v[14:17], v1 offset:1616
	ds_read_b128 v[10:13], v1 offset:1632
	;; [unrolled: 1-line block ×4, first 2 shown]
	buffer_load_dword v48, off, s[0:3], 0 offset:720
	buffer_load_dword v49, off, s[0:3], 0 offset:724
	;; [unrolled: 1-line block ×20, first 2 shown]
	v_cmp_lt_u32_e32 vcc, 43, v0
	s_waitcnt vmcnt(12) lgkmcnt(3)
	v_mul_f64 v[18:19], v[14:15], v[56:57]
	v_fmac_f64_e32 v[18:19], v[16:17], v[50:51]
	v_add_f64 v[18:19], v[18:19], 0
	v_mul_f64 v[16:17], v[16:17], v[56:57]
	s_waitcnt vmcnt(8) lgkmcnt(2)
	v_mul_f64 v[20:21], v[10:11], v[58:59]
	v_fmac_f64_e32 v[20:21], v[12:13], v[52:53]
	v_add_f64 v[18:19], v[18:19], v[20:21]
	v_fma_f64 v[14:15], v[14:15], v[50:51], -v[16:17]
	s_waitcnt vmcnt(4) lgkmcnt(1)
	v_mul_f64 v[20:21], v[6:7], v[60:61]
	v_fmac_f64_e32 v[20:21], v[8:9], v[54:55]
	v_add_f64 v[18:19], v[18:19], v[20:21]
	s_waitcnt vmcnt(0) lgkmcnt(0)
	v_mul_f64 v[20:21], v[2:3], v[64:65]
	v_fmac_f64_e32 v[20:21], v[4:5], v[62:63]
	v_add_f64 v[22:23], v[18:19], v[20:21]
	ds_read_b128 v[18:21], v1 offset:1680
	buffer_load_dword v67, off, s[0:3], 0 offset:804
	buffer_load_dword v66, off, s[0:3], 0 offset:800
	;; [unrolled: 1-line block ×4, first 2 shown]
	v_mul_f64 v[12:13], v[12:13], v[58:59]
	v_add_f64 v[14:15], v[14:15], 0
	v_fma_f64 v[10:11], v[10:11], v[52:53], -v[12:13]
	v_mul_f64 v[8:9], v[8:9], v[60:61]
	v_add_f64 v[10:11], v[14:15], v[10:11]
	v_fma_f64 v[6:7], v[6:7], v[54:55], -v[8:9]
	;; [unrolled: 3-line block ×3, first 2 shown]
	v_add_f64 v[2:3], v[6:7], v[2:3]
	s_waitcnt vmcnt(0) lgkmcnt(0)
	v_mul_f64 v[24:25], v[18:19], v[68:69]
	v_fmac_f64_e32 v[24:25], v[20:21], v[66:67]
	v_add_f64 v[26:27], v[22:23], v[24:25]
	ds_read_b128 v[22:25], v1 offset:1696
	buffer_load_dword v71, off, s[0:3], 0 offset:820
	buffer_load_dword v70, off, s[0:3], 0 offset:816
	buffer_load_dword v73, off, s[0:3], 0 offset:828
	buffer_load_dword v72, off, s[0:3], 0 offset:824
	v_mul_f64 v[4:5], v[20:21], v[68:69]
	v_fma_f64 v[4:5], v[18:19], v[66:67], -v[4:5]
	v_add_f64 v[2:3], v[2:3], v[4:5]
	s_waitcnt vmcnt(0) lgkmcnt(0)
	v_mul_f64 v[28:29], v[22:23], v[72:73]
	v_fmac_f64_e32 v[28:29], v[24:25], v[70:71]
	v_add_f64 v[30:31], v[26:27], v[28:29]
	ds_read_b128 v[26:29], v1 offset:1712
	buffer_load_dword v75, off, s[0:3], 0 offset:836
	buffer_load_dword v74, off, s[0:3], 0 offset:832
	buffer_load_dword v77, off, s[0:3], 0 offset:844
	buffer_load_dword v76, off, s[0:3], 0 offset:840
	v_mul_f64 v[4:5], v[24:25], v[72:73]
	v_fma_f64 v[4:5], v[22:23], v[70:71], -v[4:5]
	;; [unrolled: 12-line block ×6, first 2 shown]
	v_add_f64 v[2:3], v[2:3], v[4:5]
	s_waitcnt vmcnt(0) lgkmcnt(0)
	v_mul_f64 v[4:5], v[44:45], v[92:93]
	v_mul_f64 v[96:97], v[42:43], v[92:93]
	v_fma_f64 v[4:5], v[42:43], v[90:91], -v[4:5]
	v_fmac_f64_e32 v[96:97], v[44:45], v[90:91]
	v_add_f64 v[2:3], v[2:3], v[4:5]
	v_add_f64 v[94:95], v[94:95], v[96:97]
	v_add_f64 v[2:3], v[48:49], -v[2:3]
	v_add_f64 v[4:5], v[46:47], -v[94:95]
	buffer_store_dword v3, off, s[0:3], 0 offset:724
	buffer_store_dword v2, off, s[0:3], 0 offset:720
	;; [unrolled: 1-line block ×4, first 2 shown]
	s_and_saveexec_b64 s[4:5], vcc
	s_cbranch_execz .LBB119_263
; %bb.262:
	v_accvgpr_read_b32 v5, a124
	buffer_load_dword v2, v5, s[0:3], 0 offen
	buffer_load_dword v3, v5, s[0:3], 0 offen offset:4
	buffer_load_dword v4, v5, s[0:3], 0 offen offset:8
	s_nop 0
	buffer_load_dword v5, v5, s[0:3], 0 offen offset:12
	v_accvgpr_read_b32 v6, a167
	buffer_store_dword v1, off, s[0:3], 0 offset:704
	buffer_store_dword v1, off, s[0:3], 0 offset:708
	;; [unrolled: 1-line block ×4, first 2 shown]
	s_waitcnt vmcnt(4)
	ds_write_b128 v6, v[2:5]
.LBB119_263:
	s_or_b64 exec, exec, s[4:5]
	s_waitcnt lgkmcnt(0)
	; wave barrier
	s_waitcnt lgkmcnt(0)
	ds_read_b128 v[14:17], v1 offset:1600
	ds_read_b128 v[10:13], v1 offset:1616
	ds_read_b128 v[6:9], v1 offset:1632
	ds_read_b128 v[2:5], v1 offset:1648
	buffer_load_dword v48, off, s[0:3], 0 offset:704
	buffer_load_dword v49, off, s[0:3], 0 offset:708
	;; [unrolled: 1-line block ×20, first 2 shown]
	v_cmp_lt_u32_e32 vcc, 42, v0
	s_waitcnt vmcnt(12) lgkmcnt(3)
	v_mul_f64 v[18:19], v[14:15], v[56:57]
	v_fmac_f64_e32 v[18:19], v[16:17], v[50:51]
	v_add_f64 v[18:19], v[18:19], 0
	v_mul_f64 v[16:17], v[16:17], v[56:57]
	s_waitcnt vmcnt(8) lgkmcnt(2)
	v_mul_f64 v[20:21], v[10:11], v[58:59]
	v_fmac_f64_e32 v[20:21], v[12:13], v[52:53]
	v_add_f64 v[18:19], v[18:19], v[20:21]
	v_fma_f64 v[14:15], v[14:15], v[50:51], -v[16:17]
	s_waitcnt vmcnt(4) lgkmcnt(1)
	v_mul_f64 v[20:21], v[6:7], v[60:61]
	v_fmac_f64_e32 v[20:21], v[8:9], v[54:55]
	v_add_f64 v[18:19], v[18:19], v[20:21]
	s_waitcnt vmcnt(0) lgkmcnt(0)
	v_mul_f64 v[20:21], v[2:3], v[64:65]
	v_fmac_f64_e32 v[20:21], v[4:5], v[62:63]
	v_add_f64 v[22:23], v[18:19], v[20:21]
	ds_read_b128 v[18:21], v1 offset:1664
	buffer_load_dword v67, off, s[0:3], 0 offset:788
	buffer_load_dword v66, off, s[0:3], 0 offset:784
	;; [unrolled: 1-line block ×4, first 2 shown]
	v_mul_f64 v[12:13], v[12:13], v[58:59]
	v_add_f64 v[14:15], v[14:15], 0
	v_fma_f64 v[10:11], v[10:11], v[52:53], -v[12:13]
	v_mul_f64 v[8:9], v[8:9], v[60:61]
	v_add_f64 v[10:11], v[14:15], v[10:11]
	v_fma_f64 v[6:7], v[6:7], v[54:55], -v[8:9]
	;; [unrolled: 3-line block ×3, first 2 shown]
	v_add_f64 v[2:3], v[6:7], v[2:3]
	s_waitcnt vmcnt(0) lgkmcnt(0)
	v_mul_f64 v[24:25], v[18:19], v[68:69]
	v_fmac_f64_e32 v[24:25], v[20:21], v[66:67]
	v_add_f64 v[26:27], v[22:23], v[24:25]
	ds_read_b128 v[22:25], v1 offset:1680
	buffer_load_dword v71, off, s[0:3], 0 offset:804
	buffer_load_dword v70, off, s[0:3], 0 offset:800
	buffer_load_dword v73, off, s[0:3], 0 offset:812
	buffer_load_dword v72, off, s[0:3], 0 offset:808
	v_mul_f64 v[4:5], v[20:21], v[68:69]
	v_fma_f64 v[4:5], v[18:19], v[66:67], -v[4:5]
	v_add_f64 v[2:3], v[2:3], v[4:5]
	s_waitcnt vmcnt(0) lgkmcnt(0)
	v_mul_f64 v[28:29], v[22:23], v[72:73]
	v_fmac_f64_e32 v[28:29], v[24:25], v[70:71]
	v_add_f64 v[30:31], v[26:27], v[28:29]
	ds_read_b128 v[26:29], v1 offset:1696
	buffer_load_dword v75, off, s[0:3], 0 offset:820
	buffer_load_dword v74, off, s[0:3], 0 offset:816
	buffer_load_dword v77, off, s[0:3], 0 offset:828
	buffer_load_dword v76, off, s[0:3], 0 offset:824
	v_mul_f64 v[4:5], v[24:25], v[72:73]
	v_fma_f64 v[4:5], v[22:23], v[70:71], -v[4:5]
	;; [unrolled: 12-line block ×7, first 2 shown]
	v_add_f64 v[2:3], v[2:3], v[4:5]
	s_waitcnt vmcnt(0) lgkmcnt(0)
	v_mul_f64 v[4:5], v[96:97], v[102:103]
	v_mul_f64 v[104:105], v[94:95], v[102:103]
	v_fma_f64 v[4:5], v[94:95], v[100:101], -v[4:5]
	v_fmac_f64_e32 v[104:105], v[96:97], v[100:101]
	v_add_f64 v[2:3], v[2:3], v[4:5]
	v_add_f64 v[98:99], v[98:99], v[104:105]
	v_add_f64 v[2:3], v[48:49], -v[2:3]
	v_add_f64 v[4:5], v[46:47], -v[98:99]
	buffer_store_dword v3, off, s[0:3], 0 offset:708
	buffer_store_dword v2, off, s[0:3], 0 offset:704
	;; [unrolled: 1-line block ×4, first 2 shown]
	s_and_saveexec_b64 s[4:5], vcc
	s_cbranch_execz .LBB119_265
; %bb.264:
	v_accvgpr_read_b32 v1, a125
	buffer_load_dword v2, v1, s[0:3], 0 offen
	buffer_load_dword v3, v1, s[0:3], 0 offen offset:4
	buffer_load_dword v4, v1, s[0:3], 0 offen offset:8
	;; [unrolled: 1-line block ×3, first 2 shown]
	v_mov_b32_e32 v1, 0
	v_accvgpr_read_b32 v6, a167
	buffer_store_dword v1, off, s[0:3], 0 offset:688
	buffer_store_dword v1, off, s[0:3], 0 offset:692
	;; [unrolled: 1-line block ×4, first 2 shown]
	s_waitcnt vmcnt(4)
	ds_write_b128 v6, v[2:5]
.LBB119_265:
	s_or_b64 exec, exec, s[4:5]
	s_waitcnt lgkmcnt(0)
	; wave barrier
	s_waitcnt lgkmcnt(0)
	buffer_load_dword v2, off, s[0:3], 0 offset:704
	buffer_load_dword v3, off, s[0:3], 0 offset:708
	;; [unrolled: 1-line block ×56, first 2 shown]
	v_mov_b32_e32 v1, 0
	ds_read_b128 v[30:33], v1 offset:1584
	ds_read_b128 v[34:37], v1 offset:1600
	;; [unrolled: 1-line block ×9, first 2 shown]
	v_cmp_lt_u32_e32 vcc, 41, v0
	s_waitcnt vmcnt(52) lgkmcnt(8)
	v_mul_f64 v[62:63], v[30:31], v[6:7]
	v_fmac_f64_e32 v[62:63], v[32:33], v[2:3]
	v_mul_f64 v[6:7], v[32:33], v[6:7]
	v_add_f64 v[62:63], v[62:63], 0
	s_waitcnt vmcnt(48) lgkmcnt(7)
	v_mul_f64 v[64:65], v[34:35], v[8:9]
	v_fmac_f64_e32 v[64:65], v[36:37], v[4:5]
	s_waitcnt vmcnt(46) lgkmcnt(6)
	v_mul_f64 v[66:67], v[38:39], v[10:11]
	v_fma_f64 v[2:3], v[30:31], v[2:3], -v[6:7]
	v_mul_f64 v[6:7], v[36:37], v[8:9]
	s_waitcnt vmcnt(44) lgkmcnt(5)
	v_mul_f64 v[68:69], v[42:43], v[12:13]
	v_add_f64 v[62:63], v[62:63], v[64:65]
	v_add_f64 v[2:3], v[2:3], 0
	v_fma_f64 v[4:5], v[34:35], v[4:5], -v[6:7]
	v_add_f64 v[2:3], v[2:3], v[4:5]
	v_mul_f64 v[4:5], v[40:41], v[10:11]
	s_waitcnt vmcnt(37) lgkmcnt(4)
	v_mul_f64 v[70:71], v[46:47], v[20:21]
	s_waitcnt lgkmcnt(3)
	v_mul_f64 v[72:73], v[50:51], v[18:19]
	s_waitcnt vmcnt(35)
	v_fmac_f64_e32 v[70:71], v[48:49], v[22:23]
	s_waitcnt lgkmcnt(2)
	v_mul_f64 v[74:75], v[54:55], v[14:15]
	s_waitcnt vmcnt(33)
	v_fmac_f64_e32 v[66:67], v[40:41], v[28:29]
	v_add_f64 v[62:63], v[62:63], v[66:67]
	s_waitcnt vmcnt(31)
	v_fmac_f64_e32 v[68:69], v[44:45], v[26:27]
	v_add_f64 v[62:63], v[62:63], v[68:69]
	v_fma_f64 v[4:5], v[38:39], v[28:29], -v[4:5]
	s_waitcnt vmcnt(29)
	v_fmac_f64_e32 v[72:73], v[52:53], v[24:25]
	v_add_f64 v[62:63], v[62:63], v[70:71]
	v_add_f64 v[2:3], v[2:3], v[4:5]
	v_mul_f64 v[4:5], v[44:45], v[12:13]
	s_waitcnt vmcnt(28)
	v_fmac_f64_e32 v[74:75], v[56:57], v[16:17]
	v_add_f64 v[62:63], v[62:63], v[72:73]
	v_fma_f64 v[4:5], v[42:43], v[26:27], -v[4:5]
	v_add_f64 v[66:67], v[62:63], v[74:75]
	ds_read_b128 v[62:65], v1 offset:1712
	s_waitcnt vmcnt(24) lgkmcnt(2)
	v_mul_f64 v[68:69], v[58:59], v[86:87]
	v_add_f64 v[2:3], v[2:3], v[4:5]
	v_mul_f64 v[4:5], v[48:49], v[20:21]
	s_waitcnt vmcnt(22)
	v_fmac_f64_e32 v[68:69], v[60:61], v[88:89]
	v_fma_f64 v[4:5], v[46:47], v[22:23], -v[4:5]
	v_add_f64 v[70:71], v[66:67], v[68:69]
	ds_read_b128 v[66:69], v1 offset:1728
	v_add_f64 v[2:3], v[2:3], v[4:5]
	v_mul_f64 v[4:5], v[52:53], v[18:19]
	v_fma_f64 v[4:5], v[50:51], v[24:25], -v[4:5]
	v_add_f64 v[2:3], v[2:3], v[4:5]
	v_mul_f64 v[4:5], v[56:57], v[14:15]
	s_waitcnt vmcnt(21) lgkmcnt(1)
	v_mul_f64 v[72:73], v[62:63], v[82:83]
	v_fma_f64 v[4:5], v[54:55], v[16:17], -v[4:5]
	s_waitcnt vmcnt(20)
	v_fmac_f64_e32 v[72:73], v[64:65], v[84:85]
	v_add_f64 v[2:3], v[2:3], v[4:5]
	v_mul_f64 v[4:5], v[60:61], v[86:87]
	v_add_f64 v[74:75], v[70:71], v[72:73]
	ds_read_b128 v[70:73], v1 offset:1744
	s_waitcnt vmcnt(16) lgkmcnt(1)
	v_mul_f64 v[76:77], v[66:67], v[94:95]
	v_fma_f64 v[4:5], v[58:59], v[88:89], -v[4:5]
	s_waitcnt vmcnt(14)
	v_fmac_f64_e32 v[76:77], v[68:69], v[96:97]
	v_add_f64 v[2:3], v[2:3], v[4:5]
	v_mul_f64 v[4:5], v[64:65], v[82:83]
	v_add_f64 v[110:111], v[74:75], v[76:77]
	ds_read_b128 v[74:77], v1 offset:1760
	v_fma_f64 v[4:5], v[62:63], v[84:85], -v[4:5]
	v_add_f64 v[2:3], v[2:3], v[4:5]
	v_mul_f64 v[4:5], v[68:69], v[94:95]
	v_fma_f64 v[4:5], v[66:67], v[96:97], -v[4:5]
	v_add_f64 v[2:3], v[2:3], v[4:5]
	s_waitcnt vmcnt(13) lgkmcnt(1)
	v_mul_f64 v[4:5], v[72:73], v[90:91]
	v_mul_f64 v[112:113], v[70:71], v[90:91]
	s_waitcnt vmcnt(12)
	v_fma_f64 v[4:5], v[70:71], v[92:93], -v[4:5]
	v_fmac_f64_e32 v[112:113], v[72:73], v[92:93]
	v_add_f64 v[2:3], v[2:3], v[4:5]
	s_waitcnt vmcnt(8) lgkmcnt(0)
	v_mul_f64 v[4:5], v[76:77], v[102:103]
	v_add_f64 v[110:111], v[110:111], v[112:113]
	v_mul_f64 v[112:113], v[74:75], v[102:103]
	s_waitcnt vmcnt(6)
	v_fma_f64 v[4:5], v[74:75], v[104:105], -v[4:5]
	v_fmac_f64_e32 v[112:113], v[76:77], v[104:105]
	v_add_f64 v[2:3], v[2:3], v[4:5]
	s_waitcnt vmcnt(5)
	v_mul_f64 v[4:5], v[80:81], v[98:99]
	v_add_f64 v[110:111], v[110:111], v[112:113]
	v_mul_f64 v[112:113], v[78:79], v[98:99]
	s_waitcnt vmcnt(4)
	v_fma_f64 v[4:5], v[78:79], v[100:101], -v[4:5]
	v_fmac_f64_e32 v[112:113], v[80:81], v[100:101]
	v_add_f64 v[2:3], v[2:3], v[4:5]
	v_add_f64 v[110:111], v[110:111], v[112:113]
	s_waitcnt vmcnt(2)
	v_add_f64 v[2:3], v[106:107], -v[2:3]
	s_waitcnt vmcnt(0)
	v_add_f64 v[4:5], v[108:109], -v[110:111]
	buffer_store_dword v3, off, s[0:3], 0 offset:692
	buffer_store_dword v2, off, s[0:3], 0 offset:688
	buffer_store_dword v5, off, s[0:3], 0 offset:700
	buffer_store_dword v4, off, s[0:3], 0 offset:696
	s_and_saveexec_b64 s[4:5], vcc
	s_cbranch_execz .LBB119_267
; %bb.266:
	v_accvgpr_read_b32 v5, a126
	buffer_load_dword v2, v5, s[0:3], 0 offen
	buffer_load_dword v3, v5, s[0:3], 0 offen offset:4
	buffer_load_dword v4, v5, s[0:3], 0 offen offset:8
	s_nop 0
	buffer_load_dword v5, v5, s[0:3], 0 offen offset:12
	v_accvgpr_read_b32 v6, a167
	buffer_store_dword v1, off, s[0:3], 0 offset:672
	buffer_store_dword v1, off, s[0:3], 0 offset:676
	buffer_store_dword v1, off, s[0:3], 0 offset:680
	buffer_store_dword v1, off, s[0:3], 0 offset:684
	s_waitcnt vmcnt(4)
	ds_write_b128 v6, v[2:5]
.LBB119_267:
	s_or_b64 exec, exec, s[4:5]
	s_waitcnt lgkmcnt(0)
	; wave barrier
	s_waitcnt lgkmcnt(0)
	buffer_load_dword v2, off, s[0:3], 0 offset:688
	buffer_load_dword v3, off, s[0:3], 0 offset:692
	;; [unrolled: 1-line block ×60, first 2 shown]
	ds_read_b128 v[30:33], v1 offset:1568
	ds_read_b128 v[34:37], v1 offset:1584
	;; [unrolled: 1-line block ×8, first 2 shown]
	v_cmp_lt_u32_e32 vcc, 40, v0
	ds_read_b128 v[82:85], v1 offset:1776
	s_waitcnt vmcnt(56) lgkmcnt(8)
	v_mul_f64 v[62:63], v[30:31], v[6:7]
	v_fmac_f64_e32 v[62:63], v[32:33], v[2:3]
	v_add_f64 v[62:63], v[62:63], 0
	v_mul_f64 v[6:7], v[32:33], v[6:7]
	s_waitcnt vmcnt(52) lgkmcnt(7)
	v_mul_f64 v[64:65], v[34:35], v[8:9]
	v_fmac_f64_e32 v[64:65], v[36:37], v[4:5]
	s_waitcnt vmcnt(50) lgkmcnt(6)
	v_mul_f64 v[66:67], v[38:39], v[10:11]
	v_add_f64 v[62:63], v[62:63], v[64:65]
	s_waitcnt vmcnt(48) lgkmcnt(4)
	v_mul_f64 v[70:71], v[46:47], v[12:13]
	v_fma_f64 v[2:3], v[30:31], v[2:3], -v[6:7]
	s_waitcnt vmcnt(46)
	v_fmac_f64_e32 v[70:71], v[48:49], v[14:15]
	v_mul_f64 v[6:7], v[36:37], v[8:9]
	s_waitcnt vmcnt(44)
	v_mul_f64 v[68:69], v[42:43], v[16:17]
	v_add_f64 v[2:3], v[2:3], 0
	v_fma_f64 v[4:5], v[34:35], v[4:5], -v[6:7]
	v_add_f64 v[2:3], v[2:3], v[4:5]
	s_waitcnt vmcnt(40) lgkmcnt(3)
	v_mul_f64 v[72:73], v[50:51], v[22:23]
	v_mul_f64 v[4:5], v[40:41], v[10:11]
	s_waitcnt vmcnt(38)
	v_fmac_f64_e32 v[66:67], v[40:41], v[28:29]
	v_add_f64 v[62:63], v[62:63], v[66:67]
	s_waitcnt vmcnt(36)
	v_fmac_f64_e32 v[68:69], v[44:45], v[26:27]
	v_add_f64 v[62:63], v[62:63], v[68:69]
	;; [unrolled: 3-line block ×3, first 2 shown]
	s_waitcnt vmcnt(33) lgkmcnt(2)
	v_mul_f64 v[64:65], v[54:55], v[18:19]
	v_add_f64 v[62:63], v[62:63], v[72:73]
	s_waitcnt vmcnt(32)
	v_fmac_f64_e32 v[64:65], v[56:57], v[20:21]
	v_add_f64 v[66:67], v[62:63], v[64:65]
	ds_read_b128 v[62:65], v1 offset:1696
	v_fma_f64 v[4:5], v[38:39], v[28:29], -v[4:5]
	v_add_f64 v[2:3], v[2:3], v[4:5]
	v_mul_f64 v[4:5], v[44:45], v[16:17]
	v_fma_f64 v[4:5], v[42:43], v[26:27], -v[4:5]
	s_waitcnt vmcnt(28) lgkmcnt(2)
	v_mul_f64 v[68:69], v[58:59], v[90:91]
	v_add_f64 v[2:3], v[2:3], v[4:5]
	v_mul_f64 v[4:5], v[48:49], v[12:13]
	s_waitcnt vmcnt(26)
	v_fmac_f64_e32 v[68:69], v[60:61], v[92:93]
	v_fma_f64 v[4:5], v[46:47], v[14:15], -v[4:5]
	v_add_f64 v[70:71], v[66:67], v[68:69]
	ds_read_b128 v[66:69], v1 offset:1712
	s_waitcnt vmcnt(25) lgkmcnt(1)
	v_mul_f64 v[72:73], v[62:63], v[86:87]
	v_add_f64 v[2:3], v[2:3], v[4:5]
	v_mul_f64 v[4:5], v[52:53], v[22:23]
	s_waitcnt vmcnt(24)
	v_fmac_f64_e32 v[72:73], v[64:65], v[88:89]
	v_fma_f64 v[4:5], v[50:51], v[24:25], -v[4:5]
	v_add_f64 v[74:75], v[70:71], v[72:73]
	ds_read_b128 v[70:73], v1 offset:1728
	v_add_f64 v[2:3], v[2:3], v[4:5]
	v_mul_f64 v[4:5], v[56:57], v[18:19]
	v_fma_f64 v[4:5], v[54:55], v[20:21], -v[4:5]
	v_add_f64 v[2:3], v[2:3], v[4:5]
	v_mul_f64 v[4:5], v[60:61], v[90:91]
	s_waitcnt vmcnt(20) lgkmcnt(1)
	v_mul_f64 v[76:77], v[66:67], v[98:99]
	v_fma_f64 v[4:5], v[58:59], v[92:93], -v[4:5]
	s_waitcnt vmcnt(18)
	v_fmac_f64_e32 v[76:77], v[68:69], v[100:101]
	v_add_f64 v[2:3], v[2:3], v[4:5]
	v_mul_f64 v[4:5], v[64:65], v[86:87]
	v_add_f64 v[78:79], v[74:75], v[76:77]
	ds_read_b128 v[74:77], v1 offset:1744
	s_waitcnt vmcnt(17) lgkmcnt(1)
	v_mul_f64 v[80:81], v[70:71], v[94:95]
	v_fma_f64 v[4:5], v[62:63], v[88:89], -v[4:5]
	s_waitcnt vmcnt(16)
	v_fmac_f64_e32 v[80:81], v[72:73], v[96:97]
	v_add_f64 v[2:3], v[2:3], v[4:5]
	v_mul_f64 v[4:5], v[68:69], v[98:99]
	v_add_f64 v[118:119], v[78:79], v[80:81]
	ds_read_b128 v[78:81], v1 offset:1760
	v_fma_f64 v[4:5], v[66:67], v[100:101], -v[4:5]
	v_add_f64 v[2:3], v[2:3], v[4:5]
	v_mul_f64 v[4:5], v[72:73], v[94:95]
	v_fma_f64 v[4:5], v[70:71], v[96:97], -v[4:5]
	v_add_f64 v[2:3], v[2:3], v[4:5]
	s_waitcnt vmcnt(12) lgkmcnt(1)
	v_mul_f64 v[4:5], v[76:77], v[106:107]
	v_mul_f64 v[120:121], v[74:75], v[106:107]
	s_waitcnt vmcnt(10)
	v_fma_f64 v[4:5], v[74:75], v[108:109], -v[4:5]
	v_fmac_f64_e32 v[120:121], v[76:77], v[108:109]
	v_add_f64 v[2:3], v[2:3], v[4:5]
	s_waitcnt vmcnt(9) lgkmcnt(0)
	v_mul_f64 v[4:5], v[80:81], v[102:103]
	v_add_f64 v[118:119], v[118:119], v[120:121]
	v_mul_f64 v[120:121], v[78:79], v[102:103]
	s_waitcnt vmcnt(8)
	v_fma_f64 v[4:5], v[78:79], v[104:105], -v[4:5]
	v_fmac_f64_e32 v[120:121], v[80:81], v[104:105]
	v_add_f64 v[2:3], v[2:3], v[4:5]
	s_waitcnt vmcnt(6)
	v_mul_f64 v[4:5], v[84:85], v[110:111]
	v_add_f64 v[118:119], v[118:119], v[120:121]
	v_mul_f64 v[120:121], v[82:83], v[110:111]
	s_waitcnt vmcnt(4)
	v_fma_f64 v[4:5], v[82:83], v[112:113], -v[4:5]
	v_fmac_f64_e32 v[120:121], v[84:85], v[112:113]
	v_add_f64 v[2:3], v[2:3], v[4:5]
	v_add_f64 v[118:119], v[118:119], v[120:121]
	s_waitcnt vmcnt(2)
	v_add_f64 v[2:3], v[114:115], -v[2:3]
	s_waitcnt vmcnt(0)
	v_add_f64 v[4:5], v[116:117], -v[118:119]
	buffer_store_dword v3, off, s[0:3], 0 offset:676
	buffer_store_dword v2, off, s[0:3], 0 offset:672
	;; [unrolled: 1-line block ×4, first 2 shown]
	s_and_saveexec_b64 s[4:5], vcc
	s_cbranch_execz .LBB119_269
; %bb.268:
	v_accvgpr_read_b32 v1, a127
	buffer_load_dword v2, v1, s[0:3], 0 offen
	buffer_load_dword v3, v1, s[0:3], 0 offen offset:4
	buffer_load_dword v4, v1, s[0:3], 0 offen offset:8
	;; [unrolled: 1-line block ×3, first 2 shown]
	v_mov_b32_e32 v1, 0
	v_accvgpr_read_b32 v6, a167
	buffer_store_dword v1, off, s[0:3], 0 offset:656
	buffer_store_dword v1, off, s[0:3], 0 offset:660
	buffer_store_dword v1, off, s[0:3], 0 offset:664
	buffer_store_dword v1, off, s[0:3], 0 offset:668
	s_waitcnt vmcnt(4)
	ds_write_b128 v6, v[2:5]
.LBB119_269:
	s_or_b64 exec, exec, s[4:5]
	s_waitcnt lgkmcnt(0)
	; wave barrier
	s_waitcnt lgkmcnt(0)
	buffer_load_dword v2, off, s[0:3], 0 offset:672
	buffer_load_dword v3, off, s[0:3], 0 offset:676
	;; [unrolled: 1-line block ×64, first 2 shown]
	v_mov_b32_e32 v1, 0
	ds_read_b128 v[38:41], v1 offset:1552
	ds_read_b128 v[42:45], v1 offset:1568
	;; [unrolled: 1-line block ×7, first 2 shown]
	v_cmp_lt_u32_e32 vcc, 39, v0
	s_waitcnt vmcnt(60) lgkmcnt(6)
	v_mul_f64 v[62:63], v[38:39], v[4:5]
	v_fmac_f64_e32 v[62:63], v[40:41], v[2:3]
	s_waitcnt vmcnt(58) lgkmcnt(5)
	v_mul_f64 v[64:65], v[42:43], v[6:7]
	v_add_f64 v[62:63], v[62:63], 0
	s_waitcnt vmcnt(56) lgkmcnt(4)
	v_mul_f64 v[66:67], v[46:47], v[8:9]
	v_mul_f64 v[4:5], v[40:41], v[4:5]
	s_waitcnt vmcnt(54) lgkmcnt(2)
	v_mul_f64 v[70:71], v[54:55], v[10:11]
	v_fma_f64 v[2:3], v[38:39], v[2:3], -v[4:5]
	v_mul_f64 v[4:5], v[44:45], v[6:7]
	s_waitcnt vmcnt(51)
	v_mul_f64 v[68:69], v[50:51], v[14:15]
	v_add_f64 v[2:3], v[2:3], 0
	s_waitcnt vmcnt(49)
	v_fmac_f64_e32 v[64:65], v[44:45], v[20:21]
	v_add_f64 v[62:63], v[62:63], v[64:65]
	s_waitcnt vmcnt(47)
	v_fmac_f64_e32 v[66:67], v[48:49], v[18:19]
	;; [unrolled: 3-line block ×4, first 2 shown]
	v_add_f64 v[66:67], v[62:63], v[70:71]
	ds_read_b128 v[62:65], v1 offset:1648
	s_waitcnt vmcnt(40) lgkmcnt(2)
	v_mul_f64 v[68:69], v[58:59], v[26:27]
	v_fma_f64 v[4:5], v[42:43], v[20:21], -v[4:5]
	s_waitcnt vmcnt(38)
	v_fmac_f64_e32 v[68:69], v[60:61], v[28:29]
	v_add_f64 v[70:71], v[66:67], v[68:69]
	ds_read_b128 v[66:69], v1 offset:1664
	s_waitcnt vmcnt(37) lgkmcnt(1)
	v_mul_f64 v[72:73], v[62:63], v[22:23]
	s_waitcnt vmcnt(36)
	v_fmac_f64_e32 v[72:73], v[64:65], v[24:25]
	v_add_f64 v[2:3], v[2:3], v[4:5]
	v_mul_f64 v[4:5], v[48:49], v[8:9]
	v_add_f64 v[74:75], v[70:71], v[72:73]
	ds_read_b128 v[70:73], v1 offset:1680
	s_waitcnt vmcnt(32) lgkmcnt(1)
	v_mul_f64 v[76:77], v[66:67], v[34:35]
	v_fma_f64 v[4:5], v[46:47], v[18:19], -v[4:5]
	s_waitcnt vmcnt(30)
	v_fmac_f64_e32 v[76:77], v[68:69], v[36:37]
	v_add_f64 v[2:3], v[2:3], v[4:5]
	v_mul_f64 v[4:5], v[52:53], v[14:15]
	v_add_f64 v[78:79], v[74:75], v[76:77]
	ds_read_b128 v[74:77], v1 offset:1696
	v_fma_f64 v[4:5], v[50:51], v[16:17], -v[4:5]
	v_add_f64 v[2:3], v[2:3], v[4:5]
	v_mul_f64 v[4:5], v[56:57], v[10:11]
	v_fma_f64 v[4:5], v[54:55], v[12:13], -v[4:5]
	s_waitcnt vmcnt(29) lgkmcnt(1)
	v_mul_f64 v[80:81], v[70:71], v[30:31]
	v_add_f64 v[2:3], v[2:3], v[4:5]
	v_mul_f64 v[4:5], v[60:61], v[26:27]
	s_waitcnt vmcnt(28)
	v_fmac_f64_e32 v[80:81], v[72:73], v[32:33]
	v_fma_f64 v[4:5], v[58:59], v[28:29], -v[4:5]
	v_add_f64 v[82:83], v[78:79], v[80:81]
	ds_read_b128 v[78:81], v1 offset:1712
	s_waitcnt vmcnt(24) lgkmcnt(1)
	v_mul_f64 v[84:85], v[74:75], v[102:103]
	v_add_f64 v[2:3], v[2:3], v[4:5]
	v_mul_f64 v[4:5], v[64:65], v[22:23]
	s_waitcnt vmcnt(22)
	v_fmac_f64_e32 v[84:85], v[76:77], v[104:105]
	v_fma_f64 v[4:5], v[62:63], v[24:25], -v[4:5]
	v_add_f64 v[86:87], v[82:83], v[84:85]
	ds_read_b128 v[82:85], v1 offset:1728
	v_add_f64 v[2:3], v[2:3], v[4:5]
	v_mul_f64 v[4:5], v[68:69], v[34:35]
	v_fma_f64 v[4:5], v[66:67], v[36:37], -v[4:5]
	v_add_f64 v[2:3], v[2:3], v[4:5]
	v_mul_f64 v[4:5], v[72:73], v[30:31]
	s_waitcnt vmcnt(21) lgkmcnt(1)
	v_mul_f64 v[88:89], v[78:79], v[98:99]
	v_fma_f64 v[4:5], v[70:71], v[32:33], -v[4:5]
	s_waitcnt vmcnt(20)
	v_fmac_f64_e32 v[88:89], v[80:81], v[100:101]
	v_add_f64 v[2:3], v[2:3], v[4:5]
	v_mul_f64 v[4:5], v[76:77], v[102:103]
	v_add_f64 v[90:91], v[86:87], v[88:89]
	ds_read_b128 v[86:89], v1 offset:1744
	s_waitcnt vmcnt(16) lgkmcnt(1)
	v_mul_f64 v[92:93], v[82:83], v[110:111]
	v_fma_f64 v[4:5], v[74:75], v[104:105], -v[4:5]
	s_waitcnt vmcnt(14)
	v_fmac_f64_e32 v[92:93], v[84:85], v[112:113]
	v_add_f64 v[2:3], v[2:3], v[4:5]
	v_mul_f64 v[4:5], v[80:81], v[98:99]
	v_add_f64 v[126:127], v[90:91], v[92:93]
	ds_read_b128 v[90:93], v1 offset:1760
	v_fma_f64 v[4:5], v[78:79], v[100:101], -v[4:5]
	v_add_f64 v[2:3], v[2:3], v[4:5]
	v_mul_f64 v[4:5], v[84:85], v[110:111]
	v_fma_f64 v[4:5], v[82:83], v[112:113], -v[4:5]
	v_add_f64 v[2:3], v[2:3], v[4:5]
	s_waitcnt vmcnt(13) lgkmcnt(1)
	v_mul_f64 v[4:5], v[88:89], v[106:107]
	v_mul_f64 v[128:129], v[86:87], v[106:107]
	s_waitcnt vmcnt(12)
	v_fma_f64 v[4:5], v[86:87], v[108:109], -v[4:5]
	v_fmac_f64_e32 v[128:129], v[88:89], v[108:109]
	v_add_f64 v[2:3], v[2:3], v[4:5]
	s_waitcnt vmcnt(8) lgkmcnt(0)
	v_mul_f64 v[4:5], v[92:93], v[118:119]
	v_add_f64 v[126:127], v[126:127], v[128:129]
	v_mul_f64 v[128:129], v[90:91], v[118:119]
	s_waitcnt vmcnt(6)
	v_fma_f64 v[4:5], v[90:91], v[120:121], -v[4:5]
	v_fmac_f64_e32 v[128:129], v[92:93], v[120:121]
	v_add_f64 v[2:3], v[2:3], v[4:5]
	s_waitcnt vmcnt(5)
	v_mul_f64 v[4:5], v[96:97], v[114:115]
	v_add_f64 v[126:127], v[126:127], v[128:129]
	v_mul_f64 v[128:129], v[94:95], v[114:115]
	s_waitcnt vmcnt(4)
	v_fma_f64 v[4:5], v[94:95], v[116:117], -v[4:5]
	v_fmac_f64_e32 v[128:129], v[96:97], v[116:117]
	v_add_f64 v[2:3], v[2:3], v[4:5]
	v_add_f64 v[126:127], v[126:127], v[128:129]
	s_waitcnt vmcnt(2)
	v_add_f64 v[2:3], v[122:123], -v[2:3]
	s_waitcnt vmcnt(0)
	v_add_f64 v[4:5], v[124:125], -v[126:127]
	buffer_store_dword v3, off, s[0:3], 0 offset:660
	buffer_store_dword v2, off, s[0:3], 0 offset:656
	;; [unrolled: 1-line block ×4, first 2 shown]
	s_and_saveexec_b64 s[4:5], vcc
	s_cbranch_execz .LBB119_271
; %bb.270:
	v_accvgpr_read_b32 v5, a128
	buffer_load_dword v2, v5, s[0:3], 0 offen
	buffer_load_dword v3, v5, s[0:3], 0 offen offset:4
	buffer_load_dword v4, v5, s[0:3], 0 offen offset:8
	s_nop 0
	buffer_load_dword v5, v5, s[0:3], 0 offen offset:12
	v_accvgpr_read_b32 v6, a167
	buffer_store_dword v1, off, s[0:3], 0 offset:640
	buffer_store_dword v1, off, s[0:3], 0 offset:644
	;; [unrolled: 1-line block ×4, first 2 shown]
	s_waitcnt vmcnt(4)
	ds_write_b128 v6, v[2:5]
.LBB119_271:
	s_or_b64 exec, exec, s[4:5]
	s_waitcnt lgkmcnt(0)
	; wave barrier
	s_waitcnt lgkmcnt(0)
	buffer_load_dword v2, off, s[0:3], 0 offset:656
	buffer_load_dword v3, off, s[0:3], 0 offset:660
	;; [unrolled: 1-line block ×64, first 2 shown]
	ds_read_b128 v[46:49], v1 offset:1536
	ds_read_b128 v[50:53], v1 offset:1552
	;; [unrolled: 1-line block ×4, first 2 shown]
	buffer_load_dword v130, off, s[0:3], 0 offset:640
	buffer_load_dword v131, off, s[0:3], 0 offset:644
	;; [unrolled: 1-line block ×4, first 2 shown]
	v_cmp_lt_u32_e32 vcc, 38, v0
	ds_read_b128 v[106:109], v1 offset:1776
	s_waitcnt vmcnt(62) lgkmcnt(4)
	v_mul_f64 v[62:63], v[46:47], v[4:5]
	v_fmac_f64_e32 v[62:63], v[48:49], v[2:3]
	v_add_f64 v[62:63], v[62:63], 0
	s_waitcnt lgkmcnt(2)
	v_mul_f64 v[66:67], v[54:55], v[6:7]
	v_mul_f64 v[4:5], v[48:49], v[4:5]
	v_fma_f64 v[2:3], v[46:47], v[2:3], -v[4:5]
	s_waitcnt vmcnt(58) lgkmcnt(1)
	v_mul_f64 v[68:69], v[58:59], v[12:13]
	v_add_f64 v[2:3], v[2:3], 0
	s_waitcnt vmcnt(56)
	v_mul_f64 v[64:65], v[50:51], v[18:19]
	v_mul_f64 v[4:5], v[52:53], v[18:19]
	s_waitcnt vmcnt(53)
	v_fmac_f64_e32 v[66:67], v[56:57], v[16:17]
	s_waitcnt vmcnt(52)
	v_fmac_f64_e32 v[64:65], v[52:53], v[20:21]
	v_add_f64 v[70:71], v[62:63], v[64:65]
	ds_read_b128 v[62:65], v1 offset:1600
	v_add_f64 v[66:67], v[70:71], v[66:67]
	s_waitcnt vmcnt(50)
	v_fmac_f64_e32 v[68:69], v[60:61], v[14:15]
	v_add_f64 v[70:71], v[66:67], v[68:69]
	ds_read_b128 v[66:69], v1 offset:1616
	s_waitcnt vmcnt(49) lgkmcnt(1)
	v_mul_f64 v[72:73], v[62:63], v[8:9]
	s_waitcnt vmcnt(48)
	v_fmac_f64_e32 v[72:73], v[64:65], v[10:11]
	v_add_f64 v[74:75], v[70:71], v[72:73]
	ds_read_b128 v[70:73], v1 offset:1632
	s_waitcnt vmcnt(44) lgkmcnt(1)
	v_mul_f64 v[76:77], v[66:67], v[26:27]
	;; [unrolled: 6-line block ×3, first 2 shown]
	s_waitcnt vmcnt(40)
	v_fmac_f64_e32 v[80:81], v[72:73], v[24:25]
	v_add_f64 v[82:83], v[78:79], v[80:81]
	ds_read_b128 v[78:81], v1 offset:1664
	v_fma_f64 v[4:5], v[50:51], v[20:21], -v[4:5]
	v_add_f64 v[2:3], v[2:3], v[4:5]
	v_mul_f64 v[4:5], v[56:57], v[6:7]
	s_waitcnt vmcnt(36) lgkmcnt(1)
	v_mul_f64 v[84:85], v[74:75], v[34:35]
	v_fma_f64 v[4:5], v[54:55], v[16:17], -v[4:5]
	s_waitcnt vmcnt(34)
	v_fmac_f64_e32 v[84:85], v[76:77], v[36:37]
	v_add_f64 v[2:3], v[2:3], v[4:5]
	v_mul_f64 v[4:5], v[60:61], v[12:13]
	v_add_f64 v[86:87], v[82:83], v[84:85]
	ds_read_b128 v[82:85], v1 offset:1680
	s_waitcnt vmcnt(33) lgkmcnt(1)
	v_mul_f64 v[88:89], v[78:79], v[30:31]
	v_fma_f64 v[4:5], v[58:59], v[14:15], -v[4:5]
	s_waitcnt vmcnt(32)
	v_fmac_f64_e32 v[88:89], v[80:81], v[32:33]
	v_add_f64 v[2:3], v[2:3], v[4:5]
	v_mul_f64 v[4:5], v[64:65], v[8:9]
	v_add_f64 v[90:91], v[86:87], v[88:89]
	ds_read_b128 v[86:89], v1 offset:1696
	v_fma_f64 v[4:5], v[62:63], v[10:11], -v[4:5]
	v_add_f64 v[2:3], v[2:3], v[4:5]
	v_mul_f64 v[4:5], v[68:69], v[26:27]
	v_fma_f64 v[4:5], v[66:67], v[28:29], -v[4:5]
	s_waitcnt vmcnt(28) lgkmcnt(1)
	v_mul_f64 v[92:93], v[82:83], v[42:43]
	v_add_f64 v[2:3], v[2:3], v[4:5]
	v_mul_f64 v[4:5], v[72:73], v[22:23]
	s_waitcnt vmcnt(26)
	v_fmac_f64_e32 v[92:93], v[84:85], v[44:45]
	v_fma_f64 v[4:5], v[70:71], v[24:25], -v[4:5]
	v_add_f64 v[94:95], v[90:91], v[92:93]
	ds_read_b128 v[90:93], v1 offset:1712
	s_waitcnt vmcnt(25) lgkmcnt(1)
	v_mul_f64 v[96:97], v[86:87], v[38:39]
	v_add_f64 v[2:3], v[2:3], v[4:5]
	v_mul_f64 v[4:5], v[76:77], v[34:35]
	s_waitcnt vmcnt(24)
	v_fmac_f64_e32 v[96:97], v[88:89], v[40:41]
	v_fma_f64 v[4:5], v[74:75], v[36:37], -v[4:5]
	v_add_f64 v[98:99], v[94:95], v[96:97]
	ds_read_b128 v[94:97], v1 offset:1728
	v_add_f64 v[2:3], v[2:3], v[4:5]
	v_mul_f64 v[4:5], v[80:81], v[30:31]
	v_fma_f64 v[4:5], v[78:79], v[32:33], -v[4:5]
	v_add_f64 v[2:3], v[2:3], v[4:5]
	v_mul_f64 v[4:5], v[84:85], v[42:43]
	s_waitcnt vmcnt(20) lgkmcnt(1)
	v_mul_f64 v[100:101], v[90:91], v[114:115]
	v_fma_f64 v[4:5], v[82:83], v[44:45], -v[4:5]
	s_waitcnt vmcnt(18)
	v_fmac_f64_e32 v[100:101], v[92:93], v[116:117]
	v_add_f64 v[2:3], v[2:3], v[4:5]
	v_mul_f64 v[4:5], v[88:89], v[38:39]
	v_add_f64 v[102:103], v[98:99], v[100:101]
	ds_read_b128 v[98:101], v1 offset:1744
	s_waitcnt vmcnt(17) lgkmcnt(1)
	v_mul_f64 v[104:105], v[94:95], v[110:111]
	v_fma_f64 v[4:5], v[86:87], v[40:41], -v[4:5]
	s_waitcnt vmcnt(16)
	v_fmac_f64_e32 v[104:105], v[96:97], v[112:113]
	v_add_f64 v[2:3], v[2:3], v[4:5]
	v_mul_f64 v[4:5], v[92:93], v[114:115]
	v_add_f64 v[134:135], v[102:103], v[104:105]
	ds_read_b128 v[102:105], v1 offset:1760
	v_fma_f64 v[4:5], v[90:91], v[116:117], -v[4:5]
	v_add_f64 v[2:3], v[2:3], v[4:5]
	v_mul_f64 v[4:5], v[96:97], v[110:111]
	v_fma_f64 v[4:5], v[94:95], v[112:113], -v[4:5]
	v_add_f64 v[2:3], v[2:3], v[4:5]
	s_waitcnt vmcnt(12) lgkmcnt(1)
	v_mul_f64 v[4:5], v[100:101], v[122:123]
	v_mul_f64 v[136:137], v[98:99], v[122:123]
	s_waitcnt vmcnt(10)
	v_fma_f64 v[4:5], v[98:99], v[124:125], -v[4:5]
	v_fmac_f64_e32 v[136:137], v[100:101], v[124:125]
	v_add_f64 v[2:3], v[2:3], v[4:5]
	s_waitcnt vmcnt(9) lgkmcnt(0)
	v_mul_f64 v[4:5], v[104:105], v[118:119]
	v_add_f64 v[134:135], v[134:135], v[136:137]
	v_mul_f64 v[136:137], v[102:103], v[118:119]
	s_waitcnt vmcnt(8)
	v_fma_f64 v[4:5], v[102:103], v[120:121], -v[4:5]
	v_fmac_f64_e32 v[136:137], v[104:105], v[120:121]
	v_add_f64 v[2:3], v[2:3], v[4:5]
	s_waitcnt vmcnt(6)
	v_mul_f64 v[4:5], v[108:109], v[126:127]
	v_add_f64 v[134:135], v[134:135], v[136:137]
	v_mul_f64 v[136:137], v[106:107], v[126:127]
	s_waitcnt vmcnt(4)
	v_fma_f64 v[4:5], v[106:107], v[128:129], -v[4:5]
	v_fmac_f64_e32 v[136:137], v[108:109], v[128:129]
	v_add_f64 v[2:3], v[2:3], v[4:5]
	v_add_f64 v[134:135], v[134:135], v[136:137]
	s_waitcnt vmcnt(2)
	v_add_f64 v[2:3], v[130:131], -v[2:3]
	s_waitcnt vmcnt(0)
	v_add_f64 v[4:5], v[132:133], -v[134:135]
	buffer_store_dword v3, off, s[0:3], 0 offset:644
	buffer_store_dword v2, off, s[0:3], 0 offset:640
	buffer_store_dword v5, off, s[0:3], 0 offset:652
	buffer_store_dword v4, off, s[0:3], 0 offset:648
	s_and_saveexec_b64 s[4:5], vcc
	s_cbranch_execz .LBB119_273
; %bb.272:
	v_accvgpr_read_b32 v1, a129
	buffer_load_dword v2, v1, s[0:3], 0 offen
	buffer_load_dword v3, v1, s[0:3], 0 offen offset:4
	buffer_load_dword v4, v1, s[0:3], 0 offen offset:8
	;; [unrolled: 1-line block ×3, first 2 shown]
	v_mov_b32_e32 v1, 0
	v_accvgpr_read_b32 v6, a167
	buffer_store_dword v1, off, s[0:3], 0 offset:624
	buffer_store_dword v1, off, s[0:3], 0 offset:628
	;; [unrolled: 1-line block ×4, first 2 shown]
	s_waitcnt vmcnt(4)
	ds_write_b128 v6, v[2:5]
.LBB119_273:
	s_or_b64 exec, exec, s[4:5]
	s_waitcnt lgkmcnt(0)
	; wave barrier
	s_waitcnt lgkmcnt(0)
	buffer_load_dword v2, off, s[0:3], 0 offset:640
	buffer_load_dword v3, off, s[0:3], 0 offset:644
	;; [unrolled: 1-line block ×68, first 2 shown]
	v_mov_b32_e32 v1, 0
	buffer_load_dword v138, off, s[0:3], 0 offset:624
	buffer_load_dword v139, off, s[0:3], 0 offset:628
	;; [unrolled: 1-line block ×3, first 2 shown]
	ds_read_b128 v[46:49], v1 offset:1520
	ds_read_b128 v[50:53], v1 offset:1536
	buffer_load_dword v141, off, s[0:3], 0 offset:636
	ds_read_b128 v[54:57], v1 offset:1552
	ds_read_b128 v[58:61], v1 offset:1568
	;; [unrolled: 1-line block ×3, first 2 shown]
	v_cmp_lt_u32_e32 vcc, 37, v0
	s_waitcnt vmcnt(62) lgkmcnt(4)
	v_mul_f64 v[62:63], v[46:47], v[6:7]
	v_fmac_f64_e32 v[62:63], v[48:49], v[2:3]
	v_add_f64 v[62:63], v[62:63], 0
	v_mul_f64 v[6:7], v[48:49], v[6:7]
	s_waitcnt lgkmcnt(3)
	v_mul_f64 v[64:65], v[50:51], v[10:11]
	v_fmac_f64_e32 v[64:65], v[52:53], v[4:5]
	v_add_f64 v[62:63], v[62:63], v[64:65]
	v_fma_f64 v[2:3], v[46:47], v[2:3], -v[6:7]
	s_waitcnt vmcnt(60) lgkmcnt(2)
	v_mul_f64 v[64:65], v[54:55], v[12:13]
	v_fmac_f64_e32 v[64:65], v[56:57], v[8:9]
	v_add_f64 v[66:67], v[62:63], v[64:65]
	ds_read_b128 v[62:65], v1 offset:1584
	s_waitcnt vmcnt(56) lgkmcnt(2)
	v_mul_f64 v[68:69], v[58:59], v[18:19]
	v_mul_f64 v[6:7], v[52:53], v[10:11]
	s_waitcnt vmcnt(54)
	v_fmac_f64_e32 v[68:69], v[60:61], v[20:21]
	v_add_f64 v[70:71], v[66:67], v[68:69]
	ds_read_b128 v[66:69], v1 offset:1600
	s_waitcnt vmcnt(53) lgkmcnt(1)
	v_mul_f64 v[72:73], v[62:63], v[14:15]
	s_waitcnt vmcnt(52)
	v_fmac_f64_e32 v[72:73], v[64:65], v[16:17]
	v_add_f64 v[74:75], v[70:71], v[72:73]
	ds_read_b128 v[70:73], v1 offset:1616
	s_waitcnt vmcnt(48) lgkmcnt(1)
	;; [unrolled: 6-line block ×4, first 2 shown]
	v_mul_f64 v[84:85], v[74:75], v[34:35]
	s_waitcnt vmcnt(38)
	v_fmac_f64_e32 v[84:85], v[76:77], v[36:37]
	v_add_f64 v[2:3], v[2:3], 0
	v_fma_f64 v[4:5], v[50:51], v[4:5], -v[6:7]
	v_add_f64 v[86:87], v[82:83], v[84:85]
	ds_read_b128 v[82:85], v1 offset:1664
	v_add_f64 v[2:3], v[2:3], v[4:5]
	v_mul_f64 v[4:5], v[56:57], v[12:13]
	v_fma_f64 v[4:5], v[54:55], v[8:9], -v[4:5]
	v_add_f64 v[2:3], v[2:3], v[4:5]
	v_mul_f64 v[4:5], v[60:61], v[18:19]
	s_waitcnt vmcnt(37) lgkmcnt(1)
	v_mul_f64 v[88:89], v[78:79], v[30:31]
	v_fma_f64 v[4:5], v[58:59], v[20:21], -v[4:5]
	s_waitcnt vmcnt(36)
	v_fmac_f64_e32 v[88:89], v[80:81], v[32:33]
	v_add_f64 v[2:3], v[2:3], v[4:5]
	v_mul_f64 v[4:5], v[64:65], v[14:15]
	v_add_f64 v[90:91], v[86:87], v[88:89]
	ds_read_b128 v[86:89], v1 offset:1680
	s_waitcnt vmcnt(32) lgkmcnt(1)
	v_mul_f64 v[92:93], v[82:83], v[42:43]
	v_fma_f64 v[4:5], v[62:63], v[16:17], -v[4:5]
	s_waitcnt vmcnt(30)
	v_fmac_f64_e32 v[92:93], v[84:85], v[44:45]
	v_add_f64 v[2:3], v[2:3], v[4:5]
	v_mul_f64 v[4:5], v[68:69], v[26:27]
	v_add_f64 v[94:95], v[90:91], v[92:93]
	ds_read_b128 v[90:93], v1 offset:1696
	v_fma_f64 v[4:5], v[66:67], v[28:29], -v[4:5]
	v_add_f64 v[2:3], v[2:3], v[4:5]
	v_mul_f64 v[4:5], v[72:73], v[22:23]
	v_fma_f64 v[4:5], v[70:71], v[24:25], -v[4:5]
	s_waitcnt vmcnt(29) lgkmcnt(1)
	v_mul_f64 v[96:97], v[86:87], v[38:39]
	v_add_f64 v[2:3], v[2:3], v[4:5]
	v_mul_f64 v[4:5], v[76:77], v[34:35]
	s_waitcnt vmcnt(28)
	v_fmac_f64_e32 v[96:97], v[88:89], v[40:41]
	v_fma_f64 v[4:5], v[74:75], v[36:37], -v[4:5]
	v_add_f64 v[98:99], v[94:95], v[96:97]
	ds_read_b128 v[94:97], v1 offset:1712
	s_waitcnt vmcnt(24) lgkmcnt(1)
	v_mul_f64 v[100:101], v[90:91], v[118:119]
	v_add_f64 v[2:3], v[2:3], v[4:5]
	v_mul_f64 v[4:5], v[80:81], v[30:31]
	s_waitcnt vmcnt(22)
	v_fmac_f64_e32 v[100:101], v[92:93], v[120:121]
	v_fma_f64 v[4:5], v[78:79], v[32:33], -v[4:5]
	v_add_f64 v[102:103], v[98:99], v[100:101]
	ds_read_b128 v[98:101], v1 offset:1728
	v_add_f64 v[2:3], v[2:3], v[4:5]
	v_mul_f64 v[4:5], v[84:85], v[42:43]
	v_fma_f64 v[4:5], v[82:83], v[44:45], -v[4:5]
	v_add_f64 v[2:3], v[2:3], v[4:5]
	v_mul_f64 v[4:5], v[88:89], v[38:39]
	s_waitcnt vmcnt(21) lgkmcnt(1)
	v_mul_f64 v[104:105], v[94:95], v[114:115]
	v_fma_f64 v[4:5], v[86:87], v[40:41], -v[4:5]
	s_waitcnt vmcnt(20)
	v_fmac_f64_e32 v[104:105], v[96:97], v[116:117]
	v_add_f64 v[2:3], v[2:3], v[4:5]
	v_mul_f64 v[4:5], v[92:93], v[118:119]
	v_add_f64 v[106:107], v[102:103], v[104:105]
	ds_read_b128 v[102:105], v1 offset:1744
	s_waitcnt vmcnt(16) lgkmcnt(1)
	v_mul_f64 v[108:109], v[98:99], v[126:127]
	v_fma_f64 v[4:5], v[90:91], v[120:121], -v[4:5]
	s_waitcnt vmcnt(14)
	v_fmac_f64_e32 v[108:109], v[100:101], v[128:129]
	v_add_f64 v[2:3], v[2:3], v[4:5]
	v_mul_f64 v[4:5], v[96:97], v[114:115]
	v_add_f64 v[142:143], v[106:107], v[108:109]
	ds_read_b128 v[106:109], v1 offset:1760
	v_fma_f64 v[4:5], v[94:95], v[116:117], -v[4:5]
	v_add_f64 v[2:3], v[2:3], v[4:5]
	v_mul_f64 v[4:5], v[100:101], v[126:127]
	v_fma_f64 v[4:5], v[98:99], v[128:129], -v[4:5]
	v_add_f64 v[2:3], v[2:3], v[4:5]
	s_waitcnt vmcnt(13) lgkmcnt(1)
	v_mul_f64 v[4:5], v[104:105], v[122:123]
	v_mul_f64 v[144:145], v[102:103], v[122:123]
	s_waitcnt vmcnt(12)
	v_fma_f64 v[4:5], v[102:103], v[124:125], -v[4:5]
	v_fmac_f64_e32 v[144:145], v[104:105], v[124:125]
	v_add_f64 v[2:3], v[2:3], v[4:5]
	s_waitcnt vmcnt(8) lgkmcnt(0)
	v_mul_f64 v[4:5], v[108:109], v[134:135]
	v_add_f64 v[142:143], v[142:143], v[144:145]
	v_mul_f64 v[144:145], v[106:107], v[134:135]
	s_waitcnt vmcnt(6)
	v_fma_f64 v[4:5], v[106:107], v[136:137], -v[4:5]
	v_fmac_f64_e32 v[144:145], v[108:109], v[136:137]
	v_add_f64 v[2:3], v[2:3], v[4:5]
	s_waitcnt vmcnt(5)
	v_mul_f64 v[4:5], v[112:113], v[130:131]
	v_add_f64 v[142:143], v[142:143], v[144:145]
	v_mul_f64 v[144:145], v[110:111], v[130:131]
	s_waitcnt vmcnt(4)
	v_fma_f64 v[4:5], v[110:111], v[132:133], -v[4:5]
	v_fmac_f64_e32 v[144:145], v[112:113], v[132:133]
	v_add_f64 v[2:3], v[2:3], v[4:5]
	v_add_f64 v[142:143], v[142:143], v[144:145]
	s_waitcnt vmcnt(2)
	v_add_f64 v[2:3], v[138:139], -v[2:3]
	s_waitcnt vmcnt(0)
	v_add_f64 v[4:5], v[140:141], -v[142:143]
	buffer_store_dword v3, off, s[0:3], 0 offset:628
	buffer_store_dword v2, off, s[0:3], 0 offset:624
	;; [unrolled: 1-line block ×4, first 2 shown]
	s_and_saveexec_b64 s[4:5], vcc
	s_cbranch_execz .LBB119_275
; %bb.274:
	v_accvgpr_read_b32 v5, a130
	buffer_load_dword v2, v5, s[0:3], 0 offen
	buffer_load_dword v3, v5, s[0:3], 0 offen offset:4
	buffer_load_dword v4, v5, s[0:3], 0 offen offset:8
	s_nop 0
	buffer_load_dword v5, v5, s[0:3], 0 offen offset:12
	v_accvgpr_read_b32 v6, a167
	buffer_store_dword v1, off, s[0:3], 0 offset:608
	buffer_store_dword v1, off, s[0:3], 0 offset:612
	;; [unrolled: 1-line block ×4, first 2 shown]
	s_waitcnt vmcnt(4)
	ds_write_b128 v6, v[2:5]
.LBB119_275:
	s_or_b64 exec, exec, s[4:5]
	s_waitcnt lgkmcnt(0)
	; wave barrier
	s_waitcnt lgkmcnt(0)
	buffer_load_dword v2, off, s[0:3], 0 offset:624
	buffer_load_dword v3, off, s[0:3], 0 offset:628
	;; [unrolled: 1-line block ×72, first 2 shown]
	ds_read_b128 v[52:55], v1 offset:1504
	buffer_load_dword v146, off, s[0:3], 0 offset:608
	buffer_load_dword v147, off, s[0:3], 0 offset:612
	;; [unrolled: 1-line block ×4, first 2 shown]
	ds_read_b128 v[56:59], v1 offset:1520
	ds_read_b128 v[60:63], v1 offset:1536
	ds_read_b128 v[64:67], v1 offset:1552
	v_cmp_lt_u32_e32 vcc, 36, v0
	ds_read_b128 v[120:123], v1 offset:1776
	s_waitcnt vmcnt(62) lgkmcnt(4)
	v_mul_f64 v[68:69], v[52:53], v[8:9]
	v_fmac_f64_e32 v[68:69], v[54:55], v[2:3]
	v_add_f64 v[68:69], v[68:69], 0
	v_mul_f64 v[8:9], v[54:55], v[8:9]
	s_waitcnt lgkmcnt(3)
	v_mul_f64 v[70:71], v[56:57], v[10:11]
	v_fmac_f64_e32 v[70:71], v[58:59], v[4:5]
	v_add_f64 v[68:69], v[68:69], v[70:71]
	v_fma_f64 v[2:3], v[52:53], v[2:3], -v[8:9]
	s_waitcnt lgkmcnt(2)
	v_mul_f64 v[70:71], v[60:61], v[12:13]
	v_fmac_f64_e32 v[70:71], v[62:63], v[6:7]
	v_add_f64 v[72:73], v[68:69], v[70:71]
	ds_read_b128 v[68:71], v1 offset:1568
	s_waitcnt vmcnt(60) lgkmcnt(2)
	v_mul_f64 v[74:75], v[64:65], v[18:19]
	v_mul_f64 v[8:9], v[58:59], v[10:11]
	s_waitcnt vmcnt(58)
	v_fmac_f64_e32 v[74:75], v[66:67], v[20:21]
	v_add_f64 v[76:77], v[72:73], v[74:75]
	ds_read_b128 v[72:75], v1 offset:1584
	s_waitcnt vmcnt(57) lgkmcnt(1)
	v_mul_f64 v[78:79], v[68:69], v[14:15]
	s_waitcnt vmcnt(56)
	v_fmac_f64_e32 v[78:79], v[70:71], v[16:17]
	v_add_f64 v[80:81], v[76:77], v[78:79]
	ds_read_b128 v[76:79], v1 offset:1600
	s_waitcnt vmcnt(52) lgkmcnt(1)
	;; [unrolled: 6-line block ×4, first 2 shown]
	v_mul_f64 v[90:91], v[80:81], v[34:35]
	s_waitcnt vmcnt(42)
	v_fmac_f64_e32 v[90:91], v[82:83], v[36:37]
	v_add_f64 v[2:3], v[2:3], 0
	v_fma_f64 v[4:5], v[56:57], v[4:5], -v[8:9]
	v_add_f64 v[92:93], v[88:89], v[90:91]
	ds_read_b128 v[88:91], v1 offset:1648
	s_waitcnt vmcnt(41) lgkmcnt(1)
	v_mul_f64 v[94:95], v[84:85], v[30:31]
	v_add_f64 v[2:3], v[2:3], v[4:5]
	v_mul_f64 v[4:5], v[62:63], v[12:13]
	s_waitcnt vmcnt(40)
	v_fmac_f64_e32 v[94:95], v[86:87], v[32:33]
	v_fma_f64 v[4:5], v[60:61], v[6:7], -v[4:5]
	v_add_f64 v[96:97], v[92:93], v[94:95]
	ds_read_b128 v[92:95], v1 offset:1664
	v_add_f64 v[2:3], v[2:3], v[4:5]
	v_mul_f64 v[4:5], v[66:67], v[18:19]
	v_fma_f64 v[4:5], v[64:65], v[20:21], -v[4:5]
	v_add_f64 v[2:3], v[2:3], v[4:5]
	v_mul_f64 v[4:5], v[70:71], v[14:15]
	s_waitcnt vmcnt(36) lgkmcnt(1)
	v_mul_f64 v[98:99], v[88:89], v[42:43]
	v_fma_f64 v[4:5], v[68:69], v[16:17], -v[4:5]
	s_waitcnt vmcnt(34)
	v_fmac_f64_e32 v[98:99], v[90:91], v[44:45]
	v_add_f64 v[2:3], v[2:3], v[4:5]
	v_mul_f64 v[4:5], v[74:75], v[26:27]
	v_add_f64 v[100:101], v[96:97], v[98:99]
	ds_read_b128 v[96:99], v1 offset:1680
	s_waitcnt vmcnt(33) lgkmcnt(1)
	v_mul_f64 v[102:103], v[92:93], v[38:39]
	v_fma_f64 v[4:5], v[72:73], v[28:29], -v[4:5]
	s_waitcnt vmcnt(32)
	v_fmac_f64_e32 v[102:103], v[94:95], v[40:41]
	v_add_f64 v[2:3], v[2:3], v[4:5]
	v_mul_f64 v[4:5], v[78:79], v[22:23]
	v_add_f64 v[104:105], v[100:101], v[102:103]
	ds_read_b128 v[100:103], v1 offset:1696
	v_fma_f64 v[4:5], v[76:77], v[24:25], -v[4:5]
	v_add_f64 v[2:3], v[2:3], v[4:5]
	v_mul_f64 v[4:5], v[82:83], v[34:35]
	v_fma_f64 v[4:5], v[80:81], v[36:37], -v[4:5]
	s_waitcnt vmcnt(28) lgkmcnt(1)
	v_mul_f64 v[106:107], v[96:97], v[50:51]
	v_add_f64 v[2:3], v[2:3], v[4:5]
	v_mul_f64 v[4:5], v[86:87], v[30:31]
	s_waitcnt vmcnt(26)
	v_fmac_f64_e32 v[106:107], v[98:99], v[124:125]
	v_fma_f64 v[4:5], v[84:85], v[32:33], -v[4:5]
	v_add_f64 v[108:109], v[104:105], v[106:107]
	ds_read_b128 v[104:107], v1 offset:1712
	s_waitcnt vmcnt(25) lgkmcnt(1)
	v_mul_f64 v[110:111], v[100:101], v[46:47]
	v_add_f64 v[2:3], v[2:3], v[4:5]
	v_mul_f64 v[4:5], v[90:91], v[42:43]
	s_waitcnt vmcnt(24)
	v_fmac_f64_e32 v[110:111], v[102:103], v[48:49]
	v_fma_f64 v[4:5], v[88:89], v[44:45], -v[4:5]
	v_add_f64 v[112:113], v[108:109], v[110:111]
	ds_read_b128 v[108:111], v1 offset:1728
	v_add_f64 v[2:3], v[2:3], v[4:5]
	v_mul_f64 v[4:5], v[94:95], v[38:39]
	v_fma_f64 v[4:5], v[92:93], v[40:41], -v[4:5]
	v_add_f64 v[2:3], v[2:3], v[4:5]
	v_mul_f64 v[4:5], v[98:99], v[50:51]
	s_waitcnt vmcnt(20) lgkmcnt(1)
	v_mul_f64 v[114:115], v[104:105], v[130:131]
	v_fma_f64 v[4:5], v[96:97], v[124:125], -v[4:5]
	s_waitcnt vmcnt(18)
	v_fmac_f64_e32 v[114:115], v[106:107], v[132:133]
	v_add_f64 v[2:3], v[2:3], v[4:5]
	v_mul_f64 v[4:5], v[102:103], v[46:47]
	v_add_f64 v[116:117], v[112:113], v[114:115]
	ds_read_b128 v[112:115], v1 offset:1744
	s_waitcnt vmcnt(17) lgkmcnt(1)
	v_mul_f64 v[118:119], v[108:109], v[126:127]
	v_fma_f64 v[4:5], v[100:101], v[48:49], -v[4:5]
	s_waitcnt vmcnt(16)
	v_fmac_f64_e32 v[118:119], v[110:111], v[128:129]
	v_add_f64 v[2:3], v[2:3], v[4:5]
	v_mul_f64 v[4:5], v[106:107], v[130:131]
	v_add_f64 v[150:151], v[116:117], v[118:119]
	ds_read_b128 v[116:119], v1 offset:1760
	v_fma_f64 v[4:5], v[104:105], v[132:133], -v[4:5]
	v_add_f64 v[2:3], v[2:3], v[4:5]
	v_mul_f64 v[4:5], v[110:111], v[126:127]
	v_fma_f64 v[4:5], v[108:109], v[128:129], -v[4:5]
	v_add_f64 v[2:3], v[2:3], v[4:5]
	s_waitcnt vmcnt(12) lgkmcnt(1)
	v_mul_f64 v[4:5], v[114:115], v[138:139]
	v_mul_f64 v[152:153], v[112:113], v[138:139]
	s_waitcnt vmcnt(10)
	v_fma_f64 v[4:5], v[112:113], v[140:141], -v[4:5]
	v_fmac_f64_e32 v[152:153], v[114:115], v[140:141]
	v_add_f64 v[2:3], v[2:3], v[4:5]
	s_waitcnt vmcnt(9) lgkmcnt(0)
	v_mul_f64 v[4:5], v[118:119], v[134:135]
	v_add_f64 v[150:151], v[150:151], v[152:153]
	v_mul_f64 v[152:153], v[116:117], v[134:135]
	s_waitcnt vmcnt(8)
	v_fma_f64 v[4:5], v[116:117], v[136:137], -v[4:5]
	v_fmac_f64_e32 v[152:153], v[118:119], v[136:137]
	v_add_f64 v[2:3], v[2:3], v[4:5]
	s_waitcnt vmcnt(6)
	v_mul_f64 v[4:5], v[122:123], v[142:143]
	v_add_f64 v[150:151], v[150:151], v[152:153]
	v_mul_f64 v[152:153], v[120:121], v[142:143]
	s_waitcnt vmcnt(4)
	v_fma_f64 v[4:5], v[120:121], v[144:145], -v[4:5]
	v_fmac_f64_e32 v[152:153], v[122:123], v[144:145]
	v_add_f64 v[2:3], v[2:3], v[4:5]
	v_add_f64 v[150:151], v[150:151], v[152:153]
	s_waitcnt vmcnt(2)
	v_add_f64 v[2:3], v[146:147], -v[2:3]
	s_waitcnt vmcnt(0)
	v_add_f64 v[4:5], v[148:149], -v[150:151]
	buffer_store_dword v3, off, s[0:3], 0 offset:612
	buffer_store_dword v2, off, s[0:3], 0 offset:608
	;; [unrolled: 1-line block ×4, first 2 shown]
	s_and_saveexec_b64 s[4:5], vcc
	s_cbranch_execz .LBB119_277
; %bb.276:
	v_accvgpr_read_b32 v1, a131
	buffer_load_dword v2, v1, s[0:3], 0 offen
	buffer_load_dword v3, v1, s[0:3], 0 offen offset:4
	buffer_load_dword v4, v1, s[0:3], 0 offen offset:8
	;; [unrolled: 1-line block ×3, first 2 shown]
	v_mov_b32_e32 v1, 0
	v_accvgpr_read_b32 v6, a167
	buffer_store_dword v1, off, s[0:3], 0 offset:592
	buffer_store_dword v1, off, s[0:3], 0 offset:596
	;; [unrolled: 1-line block ×4, first 2 shown]
	s_waitcnt vmcnt(4)
	ds_write_b128 v6, v[2:5]
.LBB119_277:
	s_or_b64 exec, exec, s[4:5]
	s_waitcnt lgkmcnt(0)
	; wave barrier
	s_waitcnt lgkmcnt(0)
	buffer_load_dword v2, off, s[0:3], 0 offset:608
	buffer_load_dword v3, off, s[0:3], 0 offset:612
	;; [unrolled: 1-line block ×76, first 2 shown]
	v_mov_b32_e32 v1, 0
	ds_read_b128 v[54:57], v1 offset:1488
	buffer_load_dword v154, off, s[0:3], 0 offset:592
	buffer_load_dword v155, off, s[0:3], 0 offset:596
	;; [unrolled: 1-line block ×4, first 2 shown]
	ds_read_b128 v[58:61], v1 offset:1504
	ds_read_b128 v[62:65], v1 offset:1520
	;; [unrolled: 1-line block ×4, first 2 shown]
	v_cmp_lt_u32_e32 vcc, 35, v0
	s_waitcnt vmcnt(62) lgkmcnt(4)
	v_mul_f64 v[70:71], v[54:55], v[8:9]
	v_fmac_f64_e32 v[70:71], v[56:57], v[2:3]
	v_add_f64 v[70:71], v[70:71], 0
	v_mul_f64 v[8:9], v[56:57], v[8:9]
	s_waitcnt lgkmcnt(3)
	v_mul_f64 v[72:73], v[58:59], v[10:11]
	v_fmac_f64_e32 v[72:73], v[60:61], v[4:5]
	v_add_f64 v[70:71], v[70:71], v[72:73]
	v_fma_f64 v[2:3], v[54:55], v[2:3], -v[8:9]
	s_waitcnt lgkmcnt(2)
	v_mul_f64 v[72:73], v[62:63], v[12:13]
	v_fmac_f64_e32 v[72:73], v[64:65], v[6:7]
	v_add_f64 v[74:75], v[70:71], v[72:73]
	ds_read_b128 v[70:73], v1 offset:1552
	s_waitcnt lgkmcnt(2)
	v_mul_f64 v[76:77], v[66:67], v[18:19]
	v_mul_f64 v[8:9], v[60:61], v[10:11]
	v_fmac_f64_e32 v[76:77], v[68:69], v[20:21]
	v_add_f64 v[78:79], v[74:75], v[76:77]
	ds_read_b128 v[74:77], v1 offset:1568
	s_waitcnt vmcnt(61) lgkmcnt(1)
	v_mul_f64 v[80:81], v[70:71], v[14:15]
	s_waitcnt vmcnt(60)
	v_fmac_f64_e32 v[80:81], v[72:73], v[16:17]
	v_add_f64 v[82:83], v[78:79], v[80:81]
	ds_read_b128 v[78:81], v1 offset:1584
	s_waitcnt vmcnt(56) lgkmcnt(1)
	v_mul_f64 v[84:85], v[74:75], v[26:27]
	s_waitcnt vmcnt(54)
	;; [unrolled: 6-line block ×4, first 2 shown]
	v_fmac_f64_e32 v[92:93], v[84:85], v[36:37]
	v_add_f64 v[94:95], v[90:91], v[92:93]
	ds_read_b128 v[90:93], v1 offset:1632
	v_add_f64 v[2:3], v[2:3], 0
	v_fma_f64 v[4:5], v[58:59], v[4:5], -v[8:9]
	s_waitcnt vmcnt(45) lgkmcnt(1)
	v_mul_f64 v[96:97], v[86:87], v[30:31]
	v_add_f64 v[2:3], v[2:3], v[4:5]
	v_mul_f64 v[4:5], v[64:65], v[12:13]
	s_waitcnt vmcnt(44)
	v_fmac_f64_e32 v[96:97], v[88:89], v[32:33]
	v_fma_f64 v[4:5], v[62:63], v[6:7], -v[4:5]
	v_add_f64 v[98:99], v[94:95], v[96:97]
	ds_read_b128 v[94:97], v1 offset:1648
	s_waitcnt vmcnt(40) lgkmcnt(1)
	v_mul_f64 v[100:101], v[90:91], v[42:43]
	v_add_f64 v[2:3], v[2:3], v[4:5]
	v_mul_f64 v[4:5], v[68:69], v[18:19]
	s_waitcnt vmcnt(38)
	v_fmac_f64_e32 v[100:101], v[92:93], v[44:45]
	v_fma_f64 v[4:5], v[66:67], v[20:21], -v[4:5]
	v_add_f64 v[102:103], v[98:99], v[100:101]
	ds_read_b128 v[98:101], v1 offset:1664
	v_add_f64 v[2:3], v[2:3], v[4:5]
	v_mul_f64 v[4:5], v[72:73], v[14:15]
	v_fma_f64 v[4:5], v[70:71], v[16:17], -v[4:5]
	v_add_f64 v[2:3], v[2:3], v[4:5]
	v_mul_f64 v[4:5], v[76:77], v[26:27]
	s_waitcnt vmcnt(37) lgkmcnt(1)
	v_mul_f64 v[104:105], v[94:95], v[38:39]
	v_fma_f64 v[4:5], v[74:75], v[28:29], -v[4:5]
	s_waitcnt vmcnt(36)
	v_fmac_f64_e32 v[104:105], v[96:97], v[40:41]
	v_add_f64 v[2:3], v[2:3], v[4:5]
	v_mul_f64 v[4:5], v[80:81], v[22:23]
	v_add_f64 v[106:107], v[102:103], v[104:105]
	ds_read_b128 v[102:105], v1 offset:1680
	s_waitcnt vmcnt(32) lgkmcnt(1)
	v_mul_f64 v[108:109], v[98:99], v[50:51]
	v_fma_f64 v[4:5], v[78:79], v[24:25], -v[4:5]
	s_waitcnt vmcnt(30)
	v_fmac_f64_e32 v[108:109], v[100:101], v[52:53]
	v_add_f64 v[2:3], v[2:3], v[4:5]
	v_mul_f64 v[4:5], v[84:85], v[34:35]
	v_add_f64 v[110:111], v[106:107], v[108:109]
	ds_read_b128 v[106:109], v1 offset:1696
	v_fma_f64 v[4:5], v[82:83], v[36:37], -v[4:5]
	v_add_f64 v[2:3], v[2:3], v[4:5]
	v_mul_f64 v[4:5], v[88:89], v[30:31]
	v_fma_f64 v[4:5], v[86:87], v[32:33], -v[4:5]
	s_waitcnt vmcnt(29) lgkmcnt(1)
	v_mul_f64 v[112:113], v[102:103], v[46:47]
	v_add_f64 v[2:3], v[2:3], v[4:5]
	v_mul_f64 v[4:5], v[92:93], v[42:43]
	s_waitcnt vmcnt(28)
	v_fmac_f64_e32 v[112:113], v[104:105], v[48:49]
	v_fma_f64 v[4:5], v[90:91], v[44:45], -v[4:5]
	v_add_f64 v[114:115], v[110:111], v[112:113]
	ds_read_b128 v[110:113], v1 offset:1712
	s_waitcnt vmcnt(24) lgkmcnt(1)
	v_mul_f64 v[116:117], v[106:107], v[134:135]
	v_add_f64 v[2:3], v[2:3], v[4:5]
	v_mul_f64 v[4:5], v[96:97], v[38:39]
	s_waitcnt vmcnt(22)
	v_fmac_f64_e32 v[116:117], v[108:109], v[136:137]
	v_fma_f64 v[4:5], v[94:95], v[40:41], -v[4:5]
	v_add_f64 v[118:119], v[114:115], v[116:117]
	ds_read_b128 v[114:117], v1 offset:1728
	v_add_f64 v[2:3], v[2:3], v[4:5]
	v_mul_f64 v[4:5], v[100:101], v[50:51]
	v_fma_f64 v[4:5], v[98:99], v[52:53], -v[4:5]
	v_add_f64 v[2:3], v[2:3], v[4:5]
	v_mul_f64 v[4:5], v[104:105], v[46:47]
	s_waitcnt vmcnt(21) lgkmcnt(1)
	v_mul_f64 v[120:121], v[110:111], v[130:131]
	v_fma_f64 v[4:5], v[102:103], v[48:49], -v[4:5]
	s_waitcnt vmcnt(20)
	v_fmac_f64_e32 v[120:121], v[112:113], v[132:133]
	v_add_f64 v[2:3], v[2:3], v[4:5]
	v_mul_f64 v[4:5], v[108:109], v[134:135]
	v_add_f64 v[122:123], v[118:119], v[120:121]
	ds_read_b128 v[118:121], v1 offset:1744
	s_waitcnt vmcnt(16) lgkmcnt(1)
	v_mul_f64 v[124:125], v[114:115], v[142:143]
	v_fma_f64 v[4:5], v[106:107], v[136:137], -v[4:5]
	s_waitcnt vmcnt(14)
	v_fmac_f64_e32 v[124:125], v[116:117], v[144:145]
	v_add_f64 v[2:3], v[2:3], v[4:5]
	v_mul_f64 v[4:5], v[112:113], v[130:131]
	v_add_f64 v[158:159], v[122:123], v[124:125]
	ds_read_b128 v[122:125], v1 offset:1760
	v_fma_f64 v[4:5], v[110:111], v[132:133], -v[4:5]
	v_add_f64 v[2:3], v[2:3], v[4:5]
	v_mul_f64 v[4:5], v[116:117], v[142:143]
	v_fma_f64 v[4:5], v[114:115], v[144:145], -v[4:5]
	v_add_f64 v[2:3], v[2:3], v[4:5]
	s_waitcnt vmcnt(13) lgkmcnt(1)
	v_mul_f64 v[4:5], v[120:121], v[138:139]
	v_mul_f64 v[160:161], v[118:119], v[138:139]
	s_waitcnt vmcnt(12)
	v_fma_f64 v[4:5], v[118:119], v[140:141], -v[4:5]
	v_fmac_f64_e32 v[160:161], v[120:121], v[140:141]
	v_add_f64 v[2:3], v[2:3], v[4:5]
	s_waitcnt vmcnt(8) lgkmcnt(0)
	v_mul_f64 v[4:5], v[124:125], v[150:151]
	v_add_f64 v[158:159], v[158:159], v[160:161]
	v_mul_f64 v[160:161], v[122:123], v[150:151]
	s_waitcnt vmcnt(6)
	v_fma_f64 v[4:5], v[122:123], v[152:153], -v[4:5]
	v_fmac_f64_e32 v[160:161], v[124:125], v[152:153]
	v_add_f64 v[2:3], v[2:3], v[4:5]
	s_waitcnt vmcnt(5)
	v_mul_f64 v[4:5], v[128:129], v[146:147]
	v_add_f64 v[158:159], v[158:159], v[160:161]
	v_mul_f64 v[160:161], v[126:127], v[146:147]
	s_waitcnt vmcnt(4)
	v_fma_f64 v[4:5], v[126:127], v[148:149], -v[4:5]
	v_fmac_f64_e32 v[160:161], v[128:129], v[148:149]
	v_add_f64 v[2:3], v[2:3], v[4:5]
	v_add_f64 v[158:159], v[158:159], v[160:161]
	s_waitcnt vmcnt(2)
	v_add_f64 v[2:3], v[154:155], -v[2:3]
	s_waitcnt vmcnt(0)
	v_add_f64 v[4:5], v[156:157], -v[158:159]
	buffer_store_dword v3, off, s[0:3], 0 offset:596
	buffer_store_dword v2, off, s[0:3], 0 offset:592
	;; [unrolled: 1-line block ×4, first 2 shown]
	s_and_saveexec_b64 s[4:5], vcc
	s_cbranch_execz .LBB119_279
; %bb.278:
	v_accvgpr_read_b32 v5, a132
	buffer_load_dword v2, v5, s[0:3], 0 offen
	buffer_load_dword v3, v5, s[0:3], 0 offen offset:4
	buffer_load_dword v4, v5, s[0:3], 0 offen offset:8
	s_nop 0
	buffer_load_dword v5, v5, s[0:3], 0 offen offset:12
	v_accvgpr_read_b32 v6, a167
	buffer_store_dword v1, off, s[0:3], 0 offset:576
	buffer_store_dword v1, off, s[0:3], 0 offset:580
	buffer_store_dword v1, off, s[0:3], 0 offset:584
	buffer_store_dword v1, off, s[0:3], 0 offset:588
	s_waitcnt vmcnt(4)
	ds_write_b128 v6, v[2:5]
.LBB119_279:
	s_or_b64 exec, exec, s[4:5]
	s_waitcnt lgkmcnt(0)
	; wave barrier
	s_waitcnt lgkmcnt(0)
	buffer_load_dword v2, off, s[0:3], 0 offset:592
	buffer_load_dword v3, off, s[0:3], 0 offset:596
	;; [unrolled: 1-line block ×76, first 2 shown]
	ds_read_b128 v[54:57], v1 offset:1472
	buffer_load_dword v159, off, s[0:3], 0 offset:908
	buffer_load_dword v158, off, s[0:3], 0 offset:904
	;; [unrolled: 1-line block ×8, first 2 shown]
	ds_read_b128 v[58:61], v1 offset:1488
	ds_read_b128 v[62:65], v1 offset:1504
	;; [unrolled: 1-line block ×3, first 2 shown]
	v_cmp_lt_u32_e32 vcc, 34, v0
	ds_read_b128 v[130:133], v1 offset:1776
	s_waitcnt vmcnt(62) lgkmcnt(4)
	v_mul_f64 v[70:71], v[54:55], v[8:9]
	v_fmac_f64_e32 v[70:71], v[56:57], v[2:3]
	v_add_f64 v[70:71], v[70:71], 0
	v_mul_f64 v[8:9], v[56:57], v[8:9]
	s_waitcnt lgkmcnt(3)
	v_mul_f64 v[72:73], v[58:59], v[10:11]
	v_fmac_f64_e32 v[72:73], v[60:61], v[4:5]
	v_add_f64 v[70:71], v[70:71], v[72:73]
	v_fma_f64 v[2:3], v[54:55], v[2:3], -v[8:9]
	s_waitcnt lgkmcnt(2)
	v_mul_f64 v[72:73], v[62:63], v[12:13]
	v_fmac_f64_e32 v[72:73], v[64:65], v[6:7]
	v_add_f64 v[74:75], v[70:71], v[72:73]
	ds_read_b128 v[70:73], v1 offset:1536
	v_mul_f64 v[8:9], v[60:61], v[10:11]
	v_add_f64 v[2:3], v[2:3], 0
	s_waitcnt lgkmcnt(2)
	v_mul_f64 v[76:77], v[66:67], v[18:19]
	v_fma_f64 v[4:5], v[58:59], v[4:5], -v[8:9]
	v_fmac_f64_e32 v[76:77], v[68:69], v[20:21]
	v_add_f64 v[78:79], v[74:75], v[76:77]
	ds_read_b128 v[74:77], v1 offset:1552
	s_waitcnt lgkmcnt(1)
	v_mul_f64 v[80:81], v[70:71], v[14:15]
	v_fmac_f64_e32 v[80:81], v[72:73], v[16:17]
	v_add_f64 v[82:83], v[78:79], v[80:81]
	ds_read_b128 v[78:81], v1 offset:1568
	s_waitcnt vmcnt(58) lgkmcnt(1)
	v_mul_f64 v[84:85], v[74:75], v[26:27]
	s_waitcnt vmcnt(56)
	v_fmac_f64_e32 v[84:85], v[76:77], v[28:29]
	v_add_f64 v[86:87], v[82:83], v[84:85]
	ds_read_b128 v[82:85], v1 offset:1584
	s_waitcnt lgkmcnt(1)
	v_mul_f64 v[88:89], v[78:79], v[22:23]
	v_fmac_f64_e32 v[88:89], v[80:81], v[24:25]
	v_add_f64 v[90:91], v[86:87], v[88:89]
	ds_read_b128 v[86:89], v1 offset:1600
	s_waitcnt vmcnt(50) lgkmcnt(1)
	v_mul_f64 v[92:93], v[82:83], v[34:35]
	s_waitcnt vmcnt(48)
	v_fmac_f64_e32 v[92:93], v[84:85], v[36:37]
	v_add_f64 v[94:95], v[90:91], v[92:93]
	ds_read_b128 v[90:93], v1 offset:1616
	s_waitcnt lgkmcnt(1)
	v_mul_f64 v[96:97], v[86:87], v[30:31]
	v_fmac_f64_e32 v[96:97], v[88:89], v[32:33]
	v_add_f64 v[98:99], v[94:95], v[96:97]
	ds_read_b128 v[94:97], v1 offset:1632
	v_add_f64 v[2:3], v[2:3], v[4:5]
	v_mul_f64 v[4:5], v[64:65], v[12:13]
	v_fma_f64 v[4:5], v[62:63], v[6:7], -v[4:5]
	s_waitcnt vmcnt(42) lgkmcnt(1)
	v_mul_f64 v[100:101], v[90:91], v[42:43]
	v_add_f64 v[2:3], v[2:3], v[4:5]
	v_mul_f64 v[4:5], v[68:69], v[18:19]
	s_waitcnt vmcnt(40)
	v_fmac_f64_e32 v[100:101], v[92:93], v[44:45]
	v_fma_f64 v[4:5], v[66:67], v[20:21], -v[4:5]
	v_add_f64 v[102:103], v[98:99], v[100:101]
	ds_read_b128 v[98:101], v1 offset:1648
	s_waitcnt lgkmcnt(1)
	v_mul_f64 v[104:105], v[94:95], v[38:39]
	v_add_f64 v[2:3], v[2:3], v[4:5]
	v_mul_f64 v[4:5], v[72:73], v[14:15]
	v_fmac_f64_e32 v[104:105], v[96:97], v[40:41]
	v_fma_f64 v[4:5], v[70:71], v[16:17], -v[4:5]
	v_add_f64 v[106:107], v[102:103], v[104:105]
	ds_read_b128 v[102:105], v1 offset:1664
	v_add_f64 v[2:3], v[2:3], v[4:5]
	v_mul_f64 v[4:5], v[76:77], v[26:27]
	v_fma_f64 v[4:5], v[74:75], v[28:29], -v[4:5]
	v_add_f64 v[2:3], v[2:3], v[4:5]
	v_mul_f64 v[4:5], v[80:81], v[22:23]
	s_waitcnt vmcnt(34) lgkmcnt(1)
	v_mul_f64 v[108:109], v[98:99], v[50:51]
	v_fma_f64 v[4:5], v[78:79], v[24:25], -v[4:5]
	s_waitcnt vmcnt(32)
	v_fmac_f64_e32 v[108:109], v[100:101], v[52:53]
	v_add_f64 v[2:3], v[2:3], v[4:5]
	v_mul_f64 v[4:5], v[84:85], v[34:35]
	v_add_f64 v[110:111], v[106:107], v[108:109]
	ds_read_b128 v[106:109], v1 offset:1680
	s_waitcnt lgkmcnt(1)
	v_mul_f64 v[112:113], v[102:103], v[46:47]
	v_fma_f64 v[4:5], v[82:83], v[36:37], -v[4:5]
	v_fmac_f64_e32 v[112:113], v[104:105], v[48:49]
	v_add_f64 v[2:3], v[2:3], v[4:5]
	v_mul_f64 v[4:5], v[88:89], v[30:31]
	v_add_f64 v[114:115], v[110:111], v[112:113]
	ds_read_b128 v[110:113], v1 offset:1696
	v_fma_f64 v[4:5], v[86:87], v[32:33], -v[4:5]
	v_add_f64 v[2:3], v[2:3], v[4:5]
	v_mul_f64 v[4:5], v[92:93], v[42:43]
	v_fma_f64 v[4:5], v[90:91], v[44:45], -v[4:5]
	s_waitcnt vmcnt(26) lgkmcnt(1)
	v_mul_f64 v[116:117], v[106:107], v[138:139]
	v_add_f64 v[2:3], v[2:3], v[4:5]
	v_mul_f64 v[4:5], v[96:97], v[38:39]
	s_waitcnt vmcnt(24)
	v_fmac_f64_e32 v[116:117], v[108:109], v[140:141]
	v_fma_f64 v[4:5], v[94:95], v[40:41], -v[4:5]
	v_add_f64 v[118:119], v[114:115], v[116:117]
	ds_read_b128 v[114:117], v1 offset:1712
	s_waitcnt lgkmcnt(1)
	v_mul_f64 v[120:121], v[110:111], v[134:135]
	v_add_f64 v[2:3], v[2:3], v[4:5]
	v_mul_f64 v[4:5], v[100:101], v[50:51]
	v_fmac_f64_e32 v[120:121], v[112:113], v[136:137]
	v_fma_f64 v[4:5], v[98:99], v[52:53], -v[4:5]
	v_add_f64 v[122:123], v[118:119], v[120:121]
	ds_read_b128 v[118:121], v1 offset:1728
	v_add_f64 v[2:3], v[2:3], v[4:5]
	v_mul_f64 v[4:5], v[104:105], v[46:47]
	v_fma_f64 v[4:5], v[102:103], v[48:49], -v[4:5]
	v_add_f64 v[2:3], v[2:3], v[4:5]
	v_mul_f64 v[4:5], v[108:109], v[138:139]
	s_waitcnt vmcnt(18) lgkmcnt(1)
	v_mul_f64 v[124:125], v[114:115], v[146:147]
	v_fma_f64 v[4:5], v[106:107], v[140:141], -v[4:5]
	s_waitcnt vmcnt(16)
	v_fmac_f64_e32 v[124:125], v[116:117], v[148:149]
	v_add_f64 v[2:3], v[2:3], v[4:5]
	v_mul_f64 v[4:5], v[112:113], v[134:135]
	v_add_f64 v[126:127], v[122:123], v[124:125]
	ds_read_b128 v[122:125], v1 offset:1744
	s_waitcnt lgkmcnt(1)
	v_mul_f64 v[128:129], v[118:119], v[142:143]
	v_fma_f64 v[4:5], v[110:111], v[136:137], -v[4:5]
	v_fmac_f64_e32 v[128:129], v[120:121], v[144:145]
	v_add_f64 v[2:3], v[2:3], v[4:5]
	v_mul_f64 v[4:5], v[116:117], v[146:147]
	v_add_f64 v[166:167], v[126:127], v[128:129]
	ds_read_b128 v[126:129], v1 offset:1760
	v_fma_f64 v[4:5], v[114:115], v[148:149], -v[4:5]
	v_add_f64 v[2:3], v[2:3], v[4:5]
	v_mul_f64 v[4:5], v[120:121], v[142:143]
	v_fma_f64 v[4:5], v[118:119], v[144:145], -v[4:5]
	v_add_f64 v[2:3], v[2:3], v[4:5]
	s_waitcnt vmcnt(10) lgkmcnt(1)
	v_mul_f64 v[4:5], v[124:125], v[154:155]
	v_mul_f64 v[168:169], v[122:123], v[154:155]
	s_waitcnt vmcnt(8)
	v_fma_f64 v[4:5], v[122:123], v[156:157], -v[4:5]
	v_fmac_f64_e32 v[168:169], v[124:125], v[156:157]
	v_add_f64 v[2:3], v[2:3], v[4:5]
	s_waitcnt lgkmcnt(0)
	v_mul_f64 v[4:5], v[128:129], v[150:151]
	v_add_f64 v[166:167], v[166:167], v[168:169]
	v_mul_f64 v[168:169], v[126:127], v[150:151]
	v_fma_f64 v[4:5], v[126:127], v[152:153], -v[4:5]
	v_fmac_f64_e32 v[168:169], v[128:129], v[152:153]
	v_add_f64 v[2:3], v[2:3], v[4:5]
	s_waitcnt vmcnt(6)
	v_mul_f64 v[4:5], v[132:133], v[158:159]
	v_add_f64 v[166:167], v[166:167], v[168:169]
	v_mul_f64 v[168:169], v[130:131], v[158:159]
	s_waitcnt vmcnt(4)
	v_fma_f64 v[4:5], v[130:131], v[160:161], -v[4:5]
	v_fmac_f64_e32 v[168:169], v[132:133], v[160:161]
	v_add_f64 v[2:3], v[2:3], v[4:5]
	v_add_f64 v[166:167], v[166:167], v[168:169]
	s_waitcnt vmcnt(2)
	v_add_f64 v[2:3], v[162:163], -v[2:3]
	s_waitcnt vmcnt(0)
	v_add_f64 v[4:5], v[164:165], -v[166:167]
	buffer_store_dword v3, off, s[0:3], 0 offset:580
	buffer_store_dword v2, off, s[0:3], 0 offset:576
	;; [unrolled: 1-line block ×4, first 2 shown]
	s_and_saveexec_b64 s[4:5], vcc
	s_cbranch_execz .LBB119_281
; %bb.280:
	v_accvgpr_read_b32 v1, a133
	buffer_load_dword v2, v1, s[0:3], 0 offen
	buffer_load_dword v3, v1, s[0:3], 0 offen offset:4
	buffer_load_dword v4, v1, s[0:3], 0 offen offset:8
	;; [unrolled: 1-line block ×3, first 2 shown]
	v_mov_b32_e32 v1, 0
	v_accvgpr_read_b32 v6, a167
	buffer_store_dword v1, off, s[0:3], 0 offset:560
	buffer_store_dword v1, off, s[0:3], 0 offset:564
	;; [unrolled: 1-line block ×4, first 2 shown]
	s_waitcnt vmcnt(4)
	ds_write_b128 v6, v[2:5]
.LBB119_281:
	s_or_b64 exec, exec, s[4:5]
	s_waitcnt lgkmcnt(0)
	; wave barrier
	s_waitcnt lgkmcnt(0)
	buffer_load_dword v4, off, s[0:3], 0 offset:560
	buffer_load_dword v5, off, s[0:3], 0 offset:564
	;; [unrolled: 1-line block ×84, first 2 shown]
	v_mov_b32_e32 v1, 0
	ds_read_b128 v[66:69], v1 offset:1456
	buffer_load_dword v171, off, s[0:3], 0 offset:908
	buffer_load_dword v170, off, s[0:3], 0 offset:904
	;; [unrolled: 1-line block ×4, first 2 shown]
	ds_read_b128 v[70:73], v1 offset:1472
	ds_read_b128 v[74:77], v1 offset:1488
	;; [unrolled: 1-line block ×4, first 2 shown]
	v_cmp_lt_u32_e32 vcc, 33, v0
	s_waitcnt vmcnt(62) lgkmcnt(4)
	v_mul_f64 v[82:83], v[66:67], v[12:13]
	v_fmac_f64_e32 v[82:83], v[68:69], v[6:7]
	s_waitcnt lgkmcnt(3)
	v_mul_f64 v[84:85], v[70:71], v[14:15]
	v_add_f64 v[82:83], v[82:83], 0
	v_fmac_f64_e32 v[84:85], v[72:73], v[8:9]
	v_add_f64 v[82:83], v[82:83], v[84:85]
	s_waitcnt lgkmcnt(2)
	v_mul_f64 v[84:85], v[74:75], v[16:17]
	v_fmac_f64_e32 v[84:85], v[76:77], v[10:11]
	v_add_f64 v[86:87], v[82:83], v[84:85]
	ds_read_b128 v[82:85], v1 offset:1520
	v_mul_f64 v[12:13], v[68:69], v[12:13]
	s_waitcnt lgkmcnt(2)
	v_mul_f64 v[88:89], v[78:79], v[22:23]
	v_fma_f64 v[6:7], v[66:67], v[6:7], -v[12:13]
	v_fmac_f64_e32 v[88:89], v[80:81], v[24:25]
	v_add_f64 v[90:91], v[86:87], v[88:89]
	ds_read_b128 v[86:89], v1 offset:1536
	s_waitcnt lgkmcnt(1)
	v_mul_f64 v[92:93], v[82:83], v[18:19]
	v_fmac_f64_e32 v[92:93], v[84:85], v[20:21]
	v_add_f64 v[94:95], v[90:91], v[92:93]
	ds_read_b128 v[90:93], v1 offset:1552
	s_waitcnt vmcnt(58) lgkmcnt(1)
	v_mul_f64 v[96:97], v[86:87], v[30:31]
	s_waitcnt vmcnt(56)
	v_fmac_f64_e32 v[96:97], v[88:89], v[32:33]
	v_add_f64 v[98:99], v[94:95], v[96:97]
	ds_read_b128 v[94:97], v1 offset:1568
	s_waitcnt lgkmcnt(1)
	v_mul_f64 v[100:101], v[90:91], v[26:27]
	v_fmac_f64_e32 v[100:101], v[92:93], v[28:29]
	v_add_f64 v[102:103], v[98:99], v[100:101]
	ds_read_b128 v[98:101], v1 offset:1584
	s_waitcnt vmcnt(50) lgkmcnt(1)
	v_mul_f64 v[104:105], v[94:95], v[38:39]
	s_waitcnt vmcnt(48)
	v_fmac_f64_e32 v[104:105], v[96:97], v[40:41]
	v_add_f64 v[106:107], v[102:103], v[104:105]
	ds_read_b128 v[102:105], v1 offset:1600
	s_waitcnt lgkmcnt(1)
	v_mul_f64 v[108:109], v[98:99], v[34:35]
	v_fmac_f64_e32 v[108:109], v[100:101], v[36:37]
	v_mul_f64 v[12:13], v[72:73], v[14:15]
	v_add_f64 v[110:111], v[106:107], v[108:109]
	ds_read_b128 v[106:109], v1 offset:1616
	s_waitcnt vmcnt(42) lgkmcnt(1)
	v_mul_f64 v[112:113], v[102:103], v[46:47]
	v_add_f64 v[6:7], v[6:7], 0
	v_fma_f64 v[8:9], v[70:71], v[8:9], -v[12:13]
	s_waitcnt vmcnt(40)
	v_fmac_f64_e32 v[112:113], v[104:105], v[48:49]
	v_add_f64 v[6:7], v[6:7], v[8:9]
	v_mul_f64 v[8:9], v[76:77], v[16:17]
	v_add_f64 v[114:115], v[110:111], v[112:113]
	ds_read_b128 v[110:113], v1 offset:1632
	v_fma_f64 v[8:9], v[74:75], v[10:11], -v[8:9]
	v_add_f64 v[6:7], v[6:7], v[8:9]
	v_mul_f64 v[8:9], v[80:81], v[22:23]
	v_fma_f64 v[8:9], v[78:79], v[24:25], -v[8:9]
	s_waitcnt lgkmcnt(1)
	v_mul_f64 v[116:117], v[106:107], v[42:43]
	v_add_f64 v[6:7], v[6:7], v[8:9]
	v_mul_f64 v[8:9], v[84:85], v[18:19]
	v_fmac_f64_e32 v[116:117], v[108:109], v[44:45]
	v_fma_f64 v[8:9], v[82:83], v[20:21], -v[8:9]
	v_add_f64 v[118:119], v[114:115], v[116:117]
	ds_read_b128 v[114:117], v1 offset:1648
	s_waitcnt vmcnt(34) lgkmcnt(1)
	v_mul_f64 v[120:121], v[110:111], v[54:55]
	v_add_f64 v[6:7], v[6:7], v[8:9]
	v_mul_f64 v[8:9], v[88:89], v[30:31]
	s_waitcnt vmcnt(32)
	v_fmac_f64_e32 v[120:121], v[112:113], v[56:57]
	v_fma_f64 v[8:9], v[86:87], v[32:33], -v[8:9]
	v_add_f64 v[122:123], v[118:119], v[120:121]
	ds_read_b128 v[118:121], v1 offset:1664
	v_add_f64 v[6:7], v[6:7], v[8:9]
	v_mul_f64 v[8:9], v[92:93], v[26:27]
	v_fma_f64 v[8:9], v[90:91], v[28:29], -v[8:9]
	v_add_f64 v[6:7], v[6:7], v[8:9]
	v_mul_f64 v[8:9], v[96:97], v[38:39]
	s_waitcnt lgkmcnt(1)
	v_mul_f64 v[124:125], v[114:115], v[50:51]
	v_fma_f64 v[8:9], v[94:95], v[40:41], -v[8:9]
	v_fmac_f64_e32 v[124:125], v[116:117], v[52:53]
	v_add_f64 v[6:7], v[6:7], v[8:9]
	v_mul_f64 v[8:9], v[100:101], v[34:35]
	v_add_f64 v[126:127], v[122:123], v[124:125]
	ds_read_b128 v[122:125], v1 offset:1680
	s_waitcnt vmcnt(26) lgkmcnt(1)
	v_mul_f64 v[128:129], v[118:119], v[62:63]
	v_fma_f64 v[8:9], v[98:99], v[36:37], -v[8:9]
	s_waitcnt vmcnt(24)
	v_fmac_f64_e32 v[128:129], v[120:121], v[64:65]
	v_add_f64 v[6:7], v[6:7], v[8:9]
	v_mul_f64 v[8:9], v[104:105], v[46:47]
	v_add_f64 v[130:131], v[126:127], v[128:129]
	ds_read_b128 v[126:129], v1 offset:1696
	v_fma_f64 v[8:9], v[102:103], v[48:49], -v[8:9]
	v_add_f64 v[6:7], v[6:7], v[8:9]
	v_mul_f64 v[8:9], v[108:109], v[42:43]
	v_fma_f64 v[8:9], v[106:107], v[44:45], -v[8:9]
	s_waitcnt lgkmcnt(1)
	v_mul_f64 v[132:133], v[122:123], v[58:59]
	v_add_f64 v[6:7], v[6:7], v[8:9]
	v_mul_f64 v[8:9], v[112:113], v[54:55]
	v_fmac_f64_e32 v[132:133], v[124:125], v[60:61]
	v_fma_f64 v[8:9], v[110:111], v[56:57], -v[8:9]
	v_add_f64 v[134:135], v[130:131], v[132:133]
	ds_read_b128 v[130:133], v1 offset:1712
	s_waitcnt vmcnt(18) lgkmcnt(1)
	v_mul_f64 v[136:137], v[126:127], v[154:155]
	v_add_f64 v[6:7], v[6:7], v[8:9]
	v_mul_f64 v[8:9], v[116:117], v[50:51]
	s_waitcnt vmcnt(16)
	v_fmac_f64_e32 v[136:137], v[128:129], v[156:157]
	v_fma_f64 v[8:9], v[114:115], v[52:53], -v[8:9]
	v_add_f64 v[138:139], v[134:135], v[136:137]
	ds_read_b128 v[134:137], v1 offset:1728
	v_add_f64 v[6:7], v[6:7], v[8:9]
	v_mul_f64 v[8:9], v[120:121], v[62:63]
	v_fma_f64 v[8:9], v[118:119], v[64:65], -v[8:9]
	v_add_f64 v[6:7], v[6:7], v[8:9]
	v_mul_f64 v[8:9], v[124:125], v[58:59]
	s_waitcnt lgkmcnt(1)
	v_mul_f64 v[140:141], v[130:131], v[150:151]
	v_fma_f64 v[8:9], v[122:123], v[60:61], -v[8:9]
	v_fmac_f64_e32 v[140:141], v[132:133], v[152:153]
	v_add_f64 v[6:7], v[6:7], v[8:9]
	v_mul_f64 v[8:9], v[128:129], v[154:155]
	v_add_f64 v[142:143], v[138:139], v[140:141]
	ds_read_b128 v[138:141], v1 offset:1744
	s_waitcnt vmcnt(10) lgkmcnt(1)
	v_mul_f64 v[144:145], v[134:135], v[162:163]
	v_fma_f64 v[8:9], v[126:127], v[156:157], -v[8:9]
	s_waitcnt vmcnt(8)
	v_fmac_f64_e32 v[144:145], v[136:137], v[164:165]
	v_add_f64 v[6:7], v[6:7], v[8:9]
	v_mul_f64 v[8:9], v[132:133], v[150:151]
	v_add_f64 v[174:175], v[142:143], v[144:145]
	ds_read_b128 v[142:145], v1 offset:1760
	v_fma_f64 v[8:9], v[130:131], v[152:153], -v[8:9]
	v_add_f64 v[6:7], v[6:7], v[8:9]
	v_mul_f64 v[8:9], v[136:137], v[162:163]
	v_fma_f64 v[8:9], v[134:135], v[164:165], -v[8:9]
	v_add_f64 v[6:7], v[6:7], v[8:9]
	s_waitcnt lgkmcnt(1)
	v_mul_f64 v[8:9], v[140:141], v[158:159]
	v_mul_f64 v[176:177], v[138:139], v[158:159]
	v_fma_f64 v[8:9], v[138:139], v[160:161], -v[8:9]
	v_fmac_f64_e32 v[176:177], v[140:141], v[160:161]
	v_add_f64 v[6:7], v[6:7], v[8:9]
	s_waitcnt vmcnt(6) lgkmcnt(0)
	v_mul_f64 v[8:9], v[144:145], v[166:167]
	v_add_f64 v[174:175], v[174:175], v[176:177]
	v_mul_f64 v[176:177], v[142:143], v[166:167]
	s_waitcnt vmcnt(4)
	v_fma_f64 v[8:9], v[142:143], v[168:169], -v[8:9]
	v_fmac_f64_e32 v[176:177], v[144:145], v[168:169]
	v_add_f64 v[6:7], v[6:7], v[8:9]
	s_waitcnt vmcnt(2)
	v_mul_f64 v[8:9], v[148:149], v[170:171]
	v_add_f64 v[174:175], v[174:175], v[176:177]
	v_mul_f64 v[176:177], v[146:147], v[170:171]
	s_waitcnt vmcnt(0)
	v_fma_f64 v[8:9], v[146:147], v[172:173], -v[8:9]
	v_fmac_f64_e32 v[176:177], v[148:149], v[172:173]
	v_add_f64 v[6:7], v[6:7], v[8:9]
	v_add_f64 v[174:175], v[174:175], v[176:177]
	v_add_f64 v[4:5], v[4:5], -v[6:7]
	v_add_f64 v[2:3], v[2:3], -v[174:175]
	buffer_store_dword v5, off, s[0:3], 0 offset:564
	buffer_store_dword v4, off, s[0:3], 0 offset:560
	buffer_store_dword v3, off, s[0:3], 0 offset:572
	buffer_store_dword v2, off, s[0:3], 0 offset:568
	s_and_saveexec_b64 s[4:5], vcc
	s_cbranch_execz .LBB119_283
; %bb.282:
	v_accvgpr_read_b32 v5, a134
	buffer_load_dword v2, v5, s[0:3], 0 offen
	buffer_load_dword v3, v5, s[0:3], 0 offen offset:4
	buffer_load_dword v4, v5, s[0:3], 0 offen offset:8
	s_nop 0
	buffer_load_dword v5, v5, s[0:3], 0 offen offset:12
	v_accvgpr_read_b32 v6, a167
	buffer_store_dword v1, off, s[0:3], 0 offset:544
	buffer_store_dword v1, off, s[0:3], 0 offset:548
	;; [unrolled: 1-line block ×4, first 2 shown]
	s_waitcnt vmcnt(4)
	ds_write_b128 v6, v[2:5]
.LBB119_283:
	s_or_b64 exec, exec, s[4:5]
	s_waitcnt lgkmcnt(0)
	; wave barrier
	s_waitcnt lgkmcnt(0)
	ds_read_b128 v[14:17], v1 offset:1440
	ds_read_b128 v[10:13], v1 offset:1456
	;; [unrolled: 1-line block ×4, first 2 shown]
	buffer_load_dword v20, off, s[0:3], 0 offset:544
	buffer_load_dword v21, off, s[0:3], 0 offset:548
	;; [unrolled: 1-line block ×92, first 2 shown]
	s_waitcnt vmcnt(62) lgkmcnt(3)
	v_mul_f64 v[86:87], v[14:15], v[28:29]
	v_fmac_f64_e32 v[86:87], v[16:17], v[22:23]
	s_waitcnt lgkmcnt(2)
	v_mul_f64 v[88:89], v[10:11], v[30:31]
	v_add_f64 v[86:87], v[86:87], 0
	v_fmac_f64_e32 v[88:89], v[12:13], v[24:25]
	v_add_f64 v[86:87], v[86:87], v[88:89]
	s_waitcnt lgkmcnt(1)
	v_mul_f64 v[88:89], v[6:7], v[32:33]
	v_fmac_f64_e32 v[88:89], v[8:9], v[26:27]
	v_add_f64 v[90:91], v[86:87], v[88:89]
	ds_read_b128 v[86:89], v1 offset:1504
	v_mul_f64 v[16:17], v[16:17], v[28:29]
	v_fma_f64 v[14:15], v[14:15], v[22:23], -v[16:17]
	s_waitcnt lgkmcnt(1)
	v_mul_f64 v[92:93], v[2:3], v[38:39]
	v_mul_f64 v[12:13], v[12:13], v[30:31]
	v_fmac_f64_e32 v[92:93], v[4:5], v[40:41]
	v_add_f64 v[94:95], v[90:91], v[92:93]
	ds_read_b128 v[90:93], v1 offset:1520
	s_waitcnt lgkmcnt(1)
	v_mul_f64 v[96:97], v[86:87], v[34:35]
	v_fmac_f64_e32 v[96:97], v[88:89], v[36:37]
	v_add_f64 v[98:99], v[94:95], v[96:97]
	ds_read_b128 v[94:97], v1 offset:1536
	s_waitcnt lgkmcnt(1)
	v_mul_f64 v[100:101], v[90:91], v[46:47]
	s_waitcnt vmcnt(60)
	v_fmac_f64_e32 v[100:101], v[92:93], v[48:49]
	v_add_f64 v[102:103], v[98:99], v[100:101]
	ds_read_b128 v[98:101], v1 offset:1552
	s_waitcnt lgkmcnt(1)
	v_mul_f64 v[104:105], v[94:95], v[42:43]
	v_fmac_f64_e32 v[104:105], v[96:97], v[44:45]
	v_add_f64 v[106:107], v[102:103], v[104:105]
	ds_read_b128 v[102:105], v1 offset:1568
	s_waitcnt vmcnt(54) lgkmcnt(1)
	v_mul_f64 v[108:109], v[98:99], v[54:55]
	s_waitcnt vmcnt(52)
	v_fmac_f64_e32 v[108:109], v[100:101], v[56:57]
	v_add_f64 v[110:111], v[106:107], v[108:109]
	ds_read_b128 v[106:109], v1 offset:1584
	s_waitcnt lgkmcnt(1)
	v_mul_f64 v[112:113], v[102:103], v[50:51]
	v_fmac_f64_e32 v[112:113], v[104:105], v[52:53]
	v_add_f64 v[114:115], v[110:111], v[112:113]
	ds_read_b128 v[110:113], v1 offset:1600
	s_waitcnt vmcnt(46) lgkmcnt(1)
	v_mul_f64 v[116:117], v[106:107], v[62:63]
	s_waitcnt vmcnt(44)
	v_fmac_f64_e32 v[116:117], v[108:109], v[64:65]
	v_add_f64 v[118:119], v[114:115], v[116:117]
	ds_read_b128 v[114:117], v1 offset:1616
	s_waitcnt lgkmcnt(1)
	v_mul_f64 v[120:121], v[110:111], v[58:59]
	v_fmac_f64_e32 v[120:121], v[112:113], v[60:61]
	v_add_f64 v[14:15], v[14:15], 0
	v_fma_f64 v[10:11], v[10:11], v[24:25], -v[12:13]
	v_mul_f64 v[8:9], v[8:9], v[32:33]
	v_add_f64 v[122:123], v[118:119], v[120:121]
	ds_read_b128 v[118:121], v1 offset:1632
	v_add_f64 v[10:11], v[14:15], v[10:11]
	v_fma_f64 v[6:7], v[6:7], v[26:27], -v[8:9]
	v_mul_f64 v[4:5], v[4:5], v[38:39]
	v_add_f64 v[6:7], v[10:11], v[6:7]
	v_fma_f64 v[2:3], v[2:3], v[40:41], -v[4:5]
	v_mul_f64 v[4:5], v[88:89], v[34:35]
	v_add_f64 v[2:3], v[6:7], v[2:3]
	v_fma_f64 v[4:5], v[86:87], v[36:37], -v[4:5]
	s_waitcnt vmcnt(38) lgkmcnt(1)
	v_mul_f64 v[124:125], v[114:115], v[70:71]
	v_add_f64 v[2:3], v[2:3], v[4:5]
	v_mul_f64 v[4:5], v[92:93], v[46:47]
	s_waitcnt vmcnt(36)
	v_fmac_f64_e32 v[124:125], v[116:117], v[72:73]
	v_fma_f64 v[4:5], v[90:91], v[48:49], -v[4:5]
	v_add_f64 v[126:127], v[122:123], v[124:125]
	ds_read_b128 v[122:125], v1 offset:1648
	s_waitcnt lgkmcnt(1)
	v_mul_f64 v[128:129], v[118:119], v[66:67]
	v_add_f64 v[2:3], v[2:3], v[4:5]
	v_mul_f64 v[4:5], v[96:97], v[42:43]
	v_fmac_f64_e32 v[128:129], v[120:121], v[68:69]
	v_fma_f64 v[4:5], v[94:95], v[44:45], -v[4:5]
	v_add_f64 v[130:131], v[126:127], v[128:129]
	ds_read_b128 v[126:129], v1 offset:1664
	v_add_f64 v[2:3], v[2:3], v[4:5]
	v_mul_f64 v[4:5], v[100:101], v[54:55]
	v_fma_f64 v[4:5], v[98:99], v[56:57], -v[4:5]
	v_add_f64 v[2:3], v[2:3], v[4:5]
	v_mul_f64 v[4:5], v[104:105], v[50:51]
	s_waitcnt vmcnt(30) lgkmcnt(1)
	v_mul_f64 v[132:133], v[122:123], v[78:79]
	v_fma_f64 v[4:5], v[102:103], v[52:53], -v[4:5]
	s_waitcnt vmcnt(28)
	v_fmac_f64_e32 v[132:133], v[124:125], v[80:81]
	v_add_f64 v[2:3], v[2:3], v[4:5]
	v_mul_f64 v[4:5], v[108:109], v[62:63]
	v_add_f64 v[134:135], v[130:131], v[132:133]
	ds_read_b128 v[130:133], v1 offset:1680
	s_waitcnt lgkmcnt(1)
	v_mul_f64 v[136:137], v[126:127], v[74:75]
	v_fma_f64 v[4:5], v[106:107], v[64:65], -v[4:5]
	v_fmac_f64_e32 v[136:137], v[128:129], v[76:77]
	v_add_f64 v[2:3], v[2:3], v[4:5]
	v_mul_f64 v[4:5], v[112:113], v[58:59]
	v_add_f64 v[138:139], v[134:135], v[136:137]
	ds_read_b128 v[134:137], v1 offset:1696
	v_fma_f64 v[4:5], v[110:111], v[60:61], -v[4:5]
	v_add_f64 v[2:3], v[2:3], v[4:5]
	v_mul_f64 v[4:5], v[116:117], v[70:71]
	v_fma_f64 v[4:5], v[114:115], v[72:73], -v[4:5]
	s_waitcnt vmcnt(22) lgkmcnt(1)
	v_mul_f64 v[140:141], v[130:131], v[158:159]
	v_add_f64 v[2:3], v[2:3], v[4:5]
	v_mul_f64 v[4:5], v[120:121], v[66:67]
	s_waitcnt vmcnt(20)
	v_fmac_f64_e32 v[140:141], v[132:133], v[160:161]
	v_fma_f64 v[4:5], v[118:119], v[68:69], -v[4:5]
	v_add_f64 v[142:143], v[138:139], v[140:141]
	ds_read_b128 v[138:141], v1 offset:1712
	s_waitcnt lgkmcnt(1)
	v_mul_f64 v[144:145], v[134:135], v[82:83]
	v_add_f64 v[2:3], v[2:3], v[4:5]
	v_mul_f64 v[4:5], v[124:125], v[78:79]
	v_fmac_f64_e32 v[144:145], v[136:137], v[84:85]
	v_fma_f64 v[4:5], v[122:123], v[80:81], -v[4:5]
	v_add_f64 v[146:147], v[142:143], v[144:145]
	ds_read_b128 v[142:145], v1 offset:1728
	v_add_f64 v[2:3], v[2:3], v[4:5]
	v_mul_f64 v[4:5], v[128:129], v[74:75]
	v_fma_f64 v[4:5], v[126:127], v[76:77], -v[4:5]
	v_add_f64 v[2:3], v[2:3], v[4:5]
	v_mul_f64 v[4:5], v[132:133], v[158:159]
	s_waitcnt vmcnt(14) lgkmcnt(1)
	v_mul_f64 v[148:149], v[138:139], v[166:167]
	v_fma_f64 v[4:5], v[130:131], v[160:161], -v[4:5]
	s_waitcnt vmcnt(12)
	v_fmac_f64_e32 v[148:149], v[140:141], v[168:169]
	v_add_f64 v[2:3], v[2:3], v[4:5]
	v_mul_f64 v[4:5], v[136:137], v[82:83]
	v_add_f64 v[150:151], v[146:147], v[148:149]
	ds_read_b128 v[146:149], v1 offset:1744
	s_waitcnt lgkmcnt(1)
	v_mul_f64 v[152:153], v[142:143], v[162:163]
	v_fma_f64 v[4:5], v[134:135], v[84:85], -v[4:5]
	v_fmac_f64_e32 v[152:153], v[144:145], v[164:165]
	v_add_f64 v[2:3], v[2:3], v[4:5]
	v_mul_f64 v[4:5], v[140:141], v[166:167]
	v_add_f64 v[182:183], v[150:151], v[152:153]
	ds_read_b128 v[150:153], v1 offset:1760
	ds_read_b128 v[154:157], v1 offset:1776
	v_fma_f64 v[4:5], v[138:139], v[168:169], -v[4:5]
	v_add_f64 v[2:3], v[2:3], v[4:5]
	v_mul_f64 v[4:5], v[144:145], v[162:163]
	v_fma_f64 v[4:5], v[142:143], v[164:165], -v[4:5]
	v_add_f64 v[2:3], v[2:3], v[4:5]
	s_waitcnt vmcnt(6) lgkmcnt(2)
	v_mul_f64 v[4:5], v[148:149], v[174:175]
	v_mul_f64 v[184:185], v[146:147], v[174:175]
	s_waitcnt vmcnt(4)
	v_fma_f64 v[4:5], v[146:147], v[176:177], -v[4:5]
	v_fmac_f64_e32 v[184:185], v[148:149], v[176:177]
	v_add_f64 v[2:3], v[2:3], v[4:5]
	s_waitcnt lgkmcnt(1)
	v_mul_f64 v[4:5], v[152:153], v[170:171]
	v_add_f64 v[182:183], v[182:183], v[184:185]
	v_mul_f64 v[184:185], v[150:151], v[170:171]
	v_fma_f64 v[4:5], v[150:151], v[172:173], -v[4:5]
	v_fmac_f64_e32 v[184:185], v[152:153], v[172:173]
	v_add_f64 v[2:3], v[2:3], v[4:5]
	s_waitcnt vmcnt(2) lgkmcnt(0)
	v_mul_f64 v[4:5], v[156:157], v[178:179]
	v_add_f64 v[182:183], v[182:183], v[184:185]
	v_mul_f64 v[184:185], v[154:155], v[178:179]
	s_waitcnt vmcnt(0)
	v_fma_f64 v[4:5], v[154:155], v[180:181], -v[4:5]
	v_fmac_f64_e32 v[184:185], v[156:157], v[180:181]
	v_add_f64 v[2:3], v[2:3], v[4:5]
	v_add_f64 v[182:183], v[182:183], v[184:185]
	v_add_f64 v[2:3], v[20:21], -v[2:3]
	v_cmp_lt_u32_e32 vcc, 32, v0
	v_add_f64 v[4:5], v[18:19], -v[182:183]
	buffer_store_dword v3, off, s[0:3], 0 offset:548
	buffer_store_dword v2, off, s[0:3], 0 offset:544
	;; [unrolled: 1-line block ×4, first 2 shown]
	s_and_saveexec_b64 s[4:5], vcc
	s_cbranch_execz .LBB119_285
; %bb.284:
	v_accvgpr_read_b32 v1, a135
	buffer_load_dword v2, v1, s[0:3], 0 offen
	buffer_load_dword v3, v1, s[0:3], 0 offen offset:4
	buffer_load_dword v4, v1, s[0:3], 0 offen offset:8
	;; [unrolled: 1-line block ×3, first 2 shown]
	v_mov_b32_e32 v1, 0
	v_accvgpr_read_b32 v6, a167
	buffer_store_dword v1, off, s[0:3], 0 offset:528
	buffer_store_dword v1, off, s[0:3], 0 offset:532
	;; [unrolled: 1-line block ×4, first 2 shown]
	s_waitcnt vmcnt(4)
	ds_write_b128 v6, v[2:5]
.LBB119_285:
	s_or_b64 exec, exec, s[4:5]
	s_waitcnt lgkmcnt(0)
	; wave barrier
	s_waitcnt lgkmcnt(0)
	buffer_load_dword v9, off, s[0:3], 0 offset:556
	buffer_load_dword v6, off, s[0:3], 0 offset:568
	buffer_load_dword v7, off, s[0:3], 0 offset:572
	buffer_load_dword v8, off, s[0:3], 0 offset:552
	buffer_load_dword v10, off, s[0:3], 0 offset:544
	buffer_load_dword v11, off, s[0:3], 0 offset:548
	buffer_load_dword v4, off, s[0:3], 0 offset:528
	buffer_load_dword v5, off, s[0:3], 0 offset:532
	buffer_load_dword v2, off, s[0:3], 0 offset:536
	buffer_load_dword v3, off, s[0:3], 0 offset:540
	buffer_load_dword v14, off, s[0:3], 0 offset:560
	buffer_load_dword v12, off, s[0:3], 0 offset:576
	buffer_load_dword v13, off, s[0:3], 0 offset:580
	buffer_load_dword v16, off, s[0:3], 0 offset:584
	buffer_load_dword v17, off, s[0:3], 0 offset:588
	buffer_load_dword v15, off, s[0:3], 0 offset:564
	buffer_load_dword v19, off, s[0:3], 0 offset:620
	buffer_load_dword v18, off, s[0:3], 0 offset:616
	buffer_load_dword v21, off, s[0:3], 0 offset:612
	buffer_load_dword v20, off, s[0:3], 0 offset:608
	buffer_load_dword v23, off, s[0:3], 0 offset:604
	buffer_load_dword v22, off, s[0:3], 0 offset:600
	buffer_load_dword v25, off, s[0:3], 0 offset:596
	buffer_load_dword v24, off, s[0:3], 0 offset:592
	buffer_load_dword v27, off, s[0:3], 0 offset:652
	buffer_load_dword v26, off, s[0:3], 0 offset:648
	buffer_load_dword v29, off, s[0:3], 0 offset:644
	buffer_load_dword v28, off, s[0:3], 0 offset:640
	buffer_load_dword v31, off, s[0:3], 0 offset:636
	buffer_load_dword v30, off, s[0:3], 0 offset:632
	buffer_load_dword v33, off, s[0:3], 0 offset:628
	buffer_load_dword v32, off, s[0:3], 0 offset:624
	buffer_load_dword v35, off, s[0:3], 0 offset:684
	buffer_load_dword v34, off, s[0:3], 0 offset:680
	buffer_load_dword v37, off, s[0:3], 0 offset:676
	buffer_load_dword v36, off, s[0:3], 0 offset:672
	buffer_load_dword v39, off, s[0:3], 0 offset:668
	buffer_load_dword v38, off, s[0:3], 0 offset:664
	buffer_load_dword v41, off, s[0:3], 0 offset:660
	buffer_load_dword v40, off, s[0:3], 0 offset:656
	buffer_load_dword v43, off, s[0:3], 0 offset:716
	buffer_load_dword v42, off, s[0:3], 0 offset:712
	buffer_load_dword v45, off, s[0:3], 0 offset:708
	buffer_load_dword v44, off, s[0:3], 0 offset:704
	buffer_load_dword v47, off, s[0:3], 0 offset:700
	buffer_load_dword v46, off, s[0:3], 0 offset:696
	buffer_load_dword v49, off, s[0:3], 0 offset:692
	buffer_load_dword v48, off, s[0:3], 0 offset:688
	buffer_load_dword v51, off, s[0:3], 0 offset:748
	buffer_load_dword v50, off, s[0:3], 0 offset:744
	buffer_load_dword v53, off, s[0:3], 0 offset:740
	buffer_load_dword v52, off, s[0:3], 0 offset:736
	buffer_load_dword v55, off, s[0:3], 0 offset:732
	buffer_load_dword v54, off, s[0:3], 0 offset:728
	buffer_load_dword v57, off, s[0:3], 0 offset:724
	buffer_load_dword v56, off, s[0:3], 0 offset:720
	buffer_load_dword v59, off, s[0:3], 0 offset:780
	buffer_load_dword v58, off, s[0:3], 0 offset:776
	buffer_load_dword v61, off, s[0:3], 0 offset:772
	buffer_load_dword v60, off, s[0:3], 0 offset:768
	buffer_load_dword v63, off, s[0:3], 0 offset:764
	buffer_load_dword v62, off, s[0:3], 0 offset:760
	buffer_load_dword v65, off, s[0:3], 0 offset:756
	buffer_load_dword v64, off, s[0:3], 0 offset:752
	v_mov_b32_e32 v1, 0
	ds_read_b128 v[74:77], v1 offset:1424
	ds_read_b128 v[78:81], v1 offset:1440
	buffer_load_dword v67, off, s[0:3], 0 offset:812
	buffer_load_dword v66, off, s[0:3], 0 offset:808
	;; [unrolled: 1-line block ×8, first 2 shown]
	ds_read_b128 v[82:85], v1 offset:1456
	ds_read_b128 v[86:89], v1 offset:1472
	buffer_load_dword v167, off, s[0:3], 0 offset:844
	buffer_load_dword v166, off, s[0:3], 0 offset:840
	;; [unrolled: 1-line block ×24, first 2 shown]
	ds_read_b128 v[162:165], v1 offset:1776
	v_cmp_lt_u32_e32 vcc, 31, v0
	s_waitcnt vmcnt(62) lgkmcnt(1)
	v_mul_f64 v[96:97], v[86:87], v[22:23]
	v_fmac_f64_e32 v[96:97], v[88:89], v[24:25]
	v_mul_f64 v[92:93], v[78:79], v[6:7]
	v_mul_f64 v[90:91], v[74:75], v[8:9]
	;; [unrolled: 1-line block ×3, first 2 shown]
	v_fmac_f64_e32 v[90:91], v[76:77], v[10:11]
	v_add_f64 v[90:91], v[90:91], 0
	v_fma_f64 v[8:9], v[74:75], v[10:11], -v[8:9]
	v_mul_f64 v[6:7], v[80:81], v[6:7]
	v_add_f64 v[8:9], v[8:9], 0
	v_fmac_f64_e32 v[92:93], v[80:81], v[14:15]
	v_add_f64 v[90:91], v[90:91], v[92:93]
	v_mul_f64 v[92:93], v[82:83], v[16:17]
	v_fmac_f64_e32 v[92:93], v[84:85], v[12:13]
	v_add_f64 v[94:95], v[90:91], v[92:93]
	ds_read_b128 v[90:93], v1 offset:1488
	v_add_f64 v[98:99], v[94:95], v[96:97]
	ds_read_b128 v[94:97], v1 offset:1504
	v_fma_f64 v[6:7], v[78:79], v[14:15], -v[6:7]
	v_add_f64 v[6:7], v[8:9], v[6:7]
	s_waitcnt lgkmcnt(1)
	v_mul_f64 v[100:101], v[90:91], v[18:19]
	v_fmac_f64_e32 v[100:101], v[92:93], v[20:21]
	v_add_f64 v[102:103], v[98:99], v[100:101]
	ds_read_b128 v[98:101], v1 offset:1520
	s_waitcnt lgkmcnt(1)
	v_mul_f64 v[104:105], v[94:95], v[30:31]
	v_fmac_f64_e32 v[104:105], v[96:97], v[32:33]
	v_add_f64 v[106:107], v[102:103], v[104:105]
	ds_read_b128 v[102:105], v1 offset:1536
	;; [unrolled: 5-line block ×3, first 2 shown]
	s_waitcnt vmcnt(58) lgkmcnt(1)
	v_mul_f64 v[112:113], v[102:103], v[38:39]
	s_waitcnt vmcnt(56)
	v_fmac_f64_e32 v[112:113], v[104:105], v[40:41]
	v_add_f64 v[114:115], v[110:111], v[112:113]
	ds_read_b128 v[110:113], v1 offset:1568
	s_waitcnt lgkmcnt(1)
	v_mul_f64 v[116:117], v[106:107], v[34:35]
	v_fmac_f64_e32 v[116:117], v[108:109], v[36:37]
	v_add_f64 v[118:119], v[114:115], v[116:117]
	ds_read_b128 v[114:117], v1 offset:1584
	s_waitcnt vmcnt(50) lgkmcnt(1)
	v_mul_f64 v[120:121], v[110:111], v[46:47]
	s_waitcnt vmcnt(48)
	v_fmac_f64_e32 v[120:121], v[112:113], v[48:49]
	v_add_f64 v[122:123], v[118:119], v[120:121]
	ds_read_b128 v[118:121], v1 offset:1600
	v_mul_f64 v[8:9], v[84:85], v[16:17]
	s_waitcnt lgkmcnt(1)
	v_mul_f64 v[124:125], v[114:115], v[42:43]
	v_fma_f64 v[8:9], v[82:83], v[12:13], -v[8:9]
	v_fmac_f64_e32 v[124:125], v[116:117], v[44:45]
	v_add_f64 v[6:7], v[6:7], v[8:9]
	v_mul_f64 v[8:9], v[88:89], v[22:23]
	v_add_f64 v[126:127], v[122:123], v[124:125]
	ds_read_b128 v[122:125], v1 offset:1616
	s_waitcnt vmcnt(42) lgkmcnt(1)
	v_mul_f64 v[128:129], v[118:119], v[54:55]
	v_fma_f64 v[8:9], v[86:87], v[24:25], -v[8:9]
	s_waitcnt vmcnt(40)
	v_fmac_f64_e32 v[128:129], v[120:121], v[56:57]
	v_add_f64 v[6:7], v[6:7], v[8:9]
	v_mul_f64 v[8:9], v[92:93], v[18:19]
	v_add_f64 v[130:131], v[126:127], v[128:129]
	ds_read_b128 v[126:129], v1 offset:1632
	v_fma_f64 v[8:9], v[90:91], v[20:21], -v[8:9]
	v_add_f64 v[6:7], v[6:7], v[8:9]
	v_mul_f64 v[8:9], v[96:97], v[30:31]
	v_fma_f64 v[8:9], v[94:95], v[32:33], -v[8:9]
	s_waitcnt lgkmcnt(1)
	v_mul_f64 v[132:133], v[122:123], v[50:51]
	v_add_f64 v[6:7], v[6:7], v[8:9]
	v_mul_f64 v[8:9], v[100:101], v[26:27]
	v_fmac_f64_e32 v[132:133], v[124:125], v[52:53]
	v_fma_f64 v[8:9], v[98:99], v[28:29], -v[8:9]
	v_add_f64 v[134:135], v[130:131], v[132:133]
	ds_read_b128 v[130:133], v1 offset:1648
	s_waitcnt vmcnt(34) lgkmcnt(1)
	v_mul_f64 v[136:137], v[126:127], v[62:63]
	v_add_f64 v[6:7], v[6:7], v[8:9]
	v_mul_f64 v[8:9], v[104:105], v[38:39]
	s_waitcnt vmcnt(32)
	v_fmac_f64_e32 v[136:137], v[128:129], v[64:65]
	v_fma_f64 v[8:9], v[102:103], v[40:41], -v[8:9]
	v_add_f64 v[138:139], v[134:135], v[136:137]
	ds_read_b128 v[134:137], v1 offset:1664
	v_add_f64 v[6:7], v[6:7], v[8:9]
	v_mul_f64 v[8:9], v[108:109], v[34:35]
	v_fma_f64 v[8:9], v[106:107], v[36:37], -v[8:9]
	v_add_f64 v[6:7], v[6:7], v[8:9]
	v_mul_f64 v[8:9], v[112:113], v[46:47]
	s_waitcnt lgkmcnt(1)
	v_mul_f64 v[140:141], v[130:131], v[58:59]
	v_fma_f64 v[8:9], v[110:111], v[48:49], -v[8:9]
	v_fmac_f64_e32 v[140:141], v[132:133], v[60:61]
	v_add_f64 v[6:7], v[6:7], v[8:9]
	v_mul_f64 v[8:9], v[116:117], v[42:43]
	v_add_f64 v[142:143], v[138:139], v[140:141]
	ds_read_b128 v[138:141], v1 offset:1680
	s_waitcnt vmcnt(26) lgkmcnt(1)
	v_mul_f64 v[144:145], v[134:135], v[70:71]
	v_fma_f64 v[8:9], v[114:115], v[44:45], -v[8:9]
	s_waitcnt vmcnt(24)
	v_fmac_f64_e32 v[144:145], v[136:137], v[72:73]
	v_add_f64 v[6:7], v[6:7], v[8:9]
	v_mul_f64 v[8:9], v[120:121], v[54:55]
	v_add_f64 v[146:147], v[142:143], v[144:145]
	ds_read_b128 v[142:145], v1 offset:1696
	v_fma_f64 v[8:9], v[118:119], v[56:57], -v[8:9]
	v_add_f64 v[6:7], v[6:7], v[8:9]
	v_mul_f64 v[8:9], v[124:125], v[50:51]
	v_fma_f64 v[8:9], v[122:123], v[52:53], -v[8:9]
	s_waitcnt lgkmcnt(1)
	v_mul_f64 v[148:149], v[138:139], v[66:67]
	v_add_f64 v[6:7], v[6:7], v[8:9]
	v_mul_f64 v[8:9], v[128:129], v[62:63]
	v_fmac_f64_e32 v[148:149], v[140:141], v[68:69]
	v_fma_f64 v[8:9], v[126:127], v[64:65], -v[8:9]
	v_add_f64 v[150:151], v[146:147], v[148:149]
	ds_read_b128 v[146:149], v1 offset:1712
	s_waitcnt vmcnt(18) lgkmcnt(1)
	v_mul_f64 v[152:153], v[142:143], v[170:171]
	v_add_f64 v[6:7], v[6:7], v[8:9]
	v_mul_f64 v[8:9], v[132:133], v[58:59]
	s_waitcnt vmcnt(16)
	v_fmac_f64_e32 v[152:153], v[144:145], v[172:173]
	v_fma_f64 v[8:9], v[130:131], v[60:61], -v[8:9]
	v_add_f64 v[154:155], v[150:151], v[152:153]
	ds_read_b128 v[150:153], v1 offset:1728
	v_add_f64 v[6:7], v[6:7], v[8:9]
	v_mul_f64 v[8:9], v[136:137], v[70:71]
	v_fma_f64 v[8:9], v[134:135], v[72:73], -v[8:9]
	v_add_f64 v[6:7], v[6:7], v[8:9]
	v_mul_f64 v[8:9], v[140:141], v[66:67]
	s_waitcnt lgkmcnt(1)
	v_mul_f64 v[156:157], v[146:147], v[166:167]
	v_fma_f64 v[8:9], v[138:139], v[68:69], -v[8:9]
	v_fmac_f64_e32 v[156:157], v[148:149], v[168:169]
	v_add_f64 v[6:7], v[6:7], v[8:9]
	v_mul_f64 v[8:9], v[144:145], v[170:171]
	v_add_f64 v[158:159], v[154:155], v[156:157]
	ds_read_b128 v[154:157], v1 offset:1744
	s_waitcnt vmcnt(10) lgkmcnt(1)
	v_mul_f64 v[160:161], v[150:151], v[178:179]
	v_fma_f64 v[8:9], v[142:143], v[172:173], -v[8:9]
	s_waitcnt vmcnt(8)
	v_fmac_f64_e32 v[160:161], v[152:153], v[180:181]
	v_add_f64 v[6:7], v[6:7], v[8:9]
	v_mul_f64 v[8:9], v[148:149], v[166:167]
	v_add_f64 v[190:191], v[158:159], v[160:161]
	ds_read_b128 v[158:161], v1 offset:1760
	v_fma_f64 v[8:9], v[146:147], v[168:169], -v[8:9]
	v_add_f64 v[6:7], v[6:7], v[8:9]
	v_mul_f64 v[8:9], v[152:153], v[178:179]
	v_fma_f64 v[8:9], v[150:151], v[180:181], -v[8:9]
	v_add_f64 v[6:7], v[6:7], v[8:9]
	s_waitcnt lgkmcnt(1)
	v_mul_f64 v[8:9], v[156:157], v[174:175]
	v_mul_f64 v[192:193], v[154:155], v[174:175]
	v_fma_f64 v[8:9], v[154:155], v[176:177], -v[8:9]
	v_fmac_f64_e32 v[192:193], v[156:157], v[176:177]
	v_add_f64 v[6:7], v[6:7], v[8:9]
	s_waitcnt vmcnt(2) lgkmcnt(0)
	v_mul_f64 v[8:9], v[160:161], v[186:187]
	v_add_f64 v[190:191], v[190:191], v[192:193]
	v_mul_f64 v[192:193], v[158:159], v[186:187]
	s_waitcnt vmcnt(0)
	v_fma_f64 v[8:9], v[158:159], v[188:189], -v[8:9]
	v_fmac_f64_e32 v[192:193], v[160:161], v[188:189]
	v_add_f64 v[6:7], v[6:7], v[8:9]
	v_mul_f64 v[8:9], v[164:165], v[182:183]
	v_add_f64 v[190:191], v[190:191], v[192:193]
	v_mul_f64 v[192:193], v[162:163], v[182:183]
	v_fma_f64 v[8:9], v[162:163], v[184:185], -v[8:9]
	v_fmac_f64_e32 v[192:193], v[164:165], v[184:185]
	v_add_f64 v[6:7], v[6:7], v[8:9]
	v_add_f64 v[190:191], v[190:191], v[192:193]
	v_add_f64 v[4:5], v[4:5], -v[6:7]
	v_add_f64 v[2:3], v[2:3], -v[190:191]
	buffer_store_dword v5, off, s[0:3], 0 offset:532
	buffer_store_dword v4, off, s[0:3], 0 offset:528
	;; [unrolled: 1-line block ×4, first 2 shown]
	s_and_saveexec_b64 s[4:5], vcc
	s_cbranch_execz .LBB119_287
; %bb.286:
	v_accvgpr_read_b32 v5, a136
	buffer_load_dword v2, v5, s[0:3], 0 offen
	buffer_load_dword v3, v5, s[0:3], 0 offen offset:4
	buffer_load_dword v4, v5, s[0:3], 0 offen offset:8
	s_nop 0
	buffer_load_dword v5, v5, s[0:3], 0 offen offset:12
	v_accvgpr_read_b32 v6, a167
	buffer_store_dword v1, off, s[0:3], 0 offset:512
	buffer_store_dword v1, off, s[0:3], 0 offset:516
	;; [unrolled: 1-line block ×4, first 2 shown]
	s_waitcnt vmcnt(4)
	ds_write_b128 v6, v[2:5]
.LBB119_287:
	s_or_b64 exec, exec, s[4:5]
	s_waitcnt lgkmcnt(0)
	; wave barrier
	s_waitcnt lgkmcnt(0)
	buffer_load_dword v22, off, s[0:3], 0 offset:528
	buffer_load_dword v23, off, s[0:3], 0 offset:532
	;; [unrolled: 1-line block ×16, first 2 shown]
	ds_read_b128 v[2:5], v1 offset:1408
	ds_read_b128 v[6:9], v1 offset:1424
	ds_read_b128 v[10:13], v1 offset:1440
	ds_read_b128 v[14:17], v1 offset:1456
	buffer_load_dword v35, off, s[0:3], 0 offset:604
	buffer_load_dword v34, off, s[0:3], 0 offset:600
	;; [unrolled: 1-line block ×48, first 2 shown]
	v_cmp_lt_u32_e32 vcc, 30, v0
	s_waitcnt vmcnt(42) lgkmcnt(0)
	v_mul_f64 v[104:105], v[14:15], v[38:39]
	s_waitcnt vmcnt(40)
	v_fmac_f64_e32 v[104:105], v[16:17], v[40:41]
	v_mul_f64 v[82:83], v[2:3], v[24:25]
	v_fmac_f64_e32 v[82:83], v[4:5], v[22:23]
	v_add_f64 v[82:83], v[82:83], 0
	v_mul_f64 v[4:5], v[4:5], v[24:25]
	v_mul_f64 v[84:85], v[6:7], v[32:33]
	v_fma_f64 v[2:3], v[2:3], v[22:23], -v[4:5]
	v_mul_f64 v[98:99], v[10:11], v[26:27]
	v_fmac_f64_e32 v[98:99], v[12:13], v[30:31]
	v_fmac_f64_e32 v[84:85], v[8:9], v[28:29]
	v_add_f64 v[100:101], v[82:83], v[84:85]
	buffer_load_dword v83, off, s[0:3], 0 offset:796
	buffer_load_dword v82, off, s[0:3], 0 offset:792
	;; [unrolled: 1-line block ×32, first 2 shown]
	v_add_f64 v[102:103], v[100:101], v[98:99]
	ds_read_b128 v[98:101], v1 offset:1472
	buffer_load_dword v195, off, s[0:3], 0 offset:908
	buffer_load_dword v194, off, s[0:3], 0 offset:904
	;; [unrolled: 1-line block ×4, first 2 shown]
	v_add_f64 v[106:107], v[102:103], v[104:105]
	ds_read_b128 v[102:105], v1 offset:1488
	v_mul_f64 v[4:5], v[8:9], v[32:33]
	s_waitcnt lgkmcnt(1)
	v_mul_f64 v[108:109], v[98:99], v[34:35]
	v_fmac_f64_e32 v[108:109], v[100:101], v[36:37]
	v_add_f64 v[110:111], v[106:107], v[108:109]
	ds_read_b128 v[106:109], v1 offset:1504
	s_waitcnt vmcnt(62) lgkmcnt(1)
	v_mul_f64 v[112:113], v[102:103], v[46:47]
	v_fmac_f64_e32 v[112:113], v[104:105], v[48:49]
	v_add_f64 v[114:115], v[110:111], v[112:113]
	ds_read_b128 v[110:113], v1 offset:1520
	s_waitcnt lgkmcnt(1)
	v_mul_f64 v[116:117], v[106:107], v[42:43]
	v_fmac_f64_e32 v[116:117], v[108:109], v[44:45]
	v_add_f64 v[118:119], v[114:115], v[116:117]
	ds_read_b128 v[114:117], v1 offset:1536
	s_waitcnt lgkmcnt(1)
	v_mul_f64 v[120:121], v[110:111], v[54:55]
	s_waitcnt vmcnt(60)
	v_fmac_f64_e32 v[120:121], v[112:113], v[56:57]
	v_add_f64 v[122:123], v[118:119], v[120:121]
	ds_read_b128 v[118:121], v1 offset:1552
	s_waitcnt lgkmcnt(1)
	v_mul_f64 v[124:125], v[114:115], v[50:51]
	v_fmac_f64_e32 v[124:125], v[116:117], v[52:53]
	v_add_f64 v[126:127], v[122:123], v[124:125]
	ds_read_b128 v[122:125], v1 offset:1568
	s_waitcnt vmcnt(54) lgkmcnt(1)
	v_mul_f64 v[128:129], v[118:119], v[62:63]
	s_waitcnt vmcnt(52)
	v_fmac_f64_e32 v[128:129], v[120:121], v[64:65]
	v_add_f64 v[130:131], v[126:127], v[128:129]
	ds_read_b128 v[126:129], v1 offset:1584
	s_waitcnt lgkmcnt(1)
	v_mul_f64 v[132:133], v[122:123], v[58:59]
	v_fmac_f64_e32 v[132:133], v[124:125], v[60:61]
	v_add_f64 v[2:3], v[2:3], 0
	v_fma_f64 v[4:5], v[6:7], v[28:29], -v[4:5]
	v_add_f64 v[134:135], v[130:131], v[132:133]
	ds_read_b128 v[130:133], v1 offset:1600
	v_add_f64 v[2:3], v[2:3], v[4:5]
	v_mul_f64 v[4:5], v[12:13], v[26:27]
	v_fma_f64 v[4:5], v[10:11], v[30:31], -v[4:5]
	v_add_f64 v[2:3], v[2:3], v[4:5]
	v_mul_f64 v[4:5], v[16:17], v[38:39]
	s_waitcnt vmcnt(46) lgkmcnt(1)
	v_mul_f64 v[136:137], v[126:127], v[70:71]
	v_fma_f64 v[4:5], v[14:15], v[40:41], -v[4:5]
	s_waitcnt vmcnt(44)
	v_fmac_f64_e32 v[136:137], v[128:129], v[72:73]
	v_add_f64 v[2:3], v[2:3], v[4:5]
	v_mul_f64 v[4:5], v[100:101], v[34:35]
	v_add_f64 v[138:139], v[134:135], v[136:137]
	ds_read_b128 v[134:137], v1 offset:1616
	s_waitcnt lgkmcnt(1)
	v_mul_f64 v[140:141], v[130:131], v[66:67]
	v_fma_f64 v[4:5], v[98:99], v[36:37], -v[4:5]
	v_fmac_f64_e32 v[140:141], v[132:133], v[68:69]
	v_add_f64 v[2:3], v[2:3], v[4:5]
	v_mul_f64 v[4:5], v[104:105], v[46:47]
	v_add_f64 v[142:143], v[138:139], v[140:141]
	ds_read_b128 v[138:141], v1 offset:1632
	v_fma_f64 v[4:5], v[102:103], v[48:49], -v[4:5]
	v_add_f64 v[2:3], v[2:3], v[4:5]
	v_mul_f64 v[4:5], v[108:109], v[42:43]
	v_fma_f64 v[4:5], v[106:107], v[44:45], -v[4:5]
	s_waitcnt vmcnt(38) lgkmcnt(1)
	v_mul_f64 v[144:145], v[134:135], v[78:79]
	v_add_f64 v[2:3], v[2:3], v[4:5]
	v_mul_f64 v[4:5], v[112:113], v[54:55]
	s_waitcnt vmcnt(36)
	v_fmac_f64_e32 v[144:145], v[136:137], v[80:81]
	v_fma_f64 v[4:5], v[110:111], v[56:57], -v[4:5]
	v_add_f64 v[146:147], v[142:143], v[144:145]
	ds_read_b128 v[142:145], v1 offset:1648
	s_waitcnt lgkmcnt(1)
	v_mul_f64 v[148:149], v[138:139], v[74:75]
	v_add_f64 v[2:3], v[2:3], v[4:5]
	v_mul_f64 v[4:5], v[116:117], v[50:51]
	v_fmac_f64_e32 v[148:149], v[140:141], v[76:77]
	v_fma_f64 v[4:5], v[114:115], v[52:53], -v[4:5]
	v_add_f64 v[150:151], v[146:147], v[148:149]
	ds_read_b128 v[146:149], v1 offset:1664
	v_add_f64 v[2:3], v[2:3], v[4:5]
	v_mul_f64 v[4:5], v[120:121], v[62:63]
	v_fma_f64 v[4:5], v[118:119], v[64:65], -v[4:5]
	v_add_f64 v[2:3], v[2:3], v[4:5]
	v_mul_f64 v[4:5], v[124:125], v[58:59]
	s_waitcnt vmcnt(30) lgkmcnt(1)
	v_mul_f64 v[152:153], v[142:143], v[86:87]
	v_fma_f64 v[4:5], v[122:123], v[60:61], -v[4:5]
	s_waitcnt vmcnt(28)
	v_fmac_f64_e32 v[152:153], v[144:145], v[88:89]
	v_add_f64 v[2:3], v[2:3], v[4:5]
	v_mul_f64 v[4:5], v[128:129], v[70:71]
	v_add_f64 v[154:155], v[150:151], v[152:153]
	ds_read_b128 v[150:153], v1 offset:1680
	s_waitcnt lgkmcnt(1)
	v_mul_f64 v[156:157], v[146:147], v[82:83]
	v_fma_f64 v[4:5], v[126:127], v[72:73], -v[4:5]
	v_fmac_f64_e32 v[156:157], v[148:149], v[84:85]
	v_add_f64 v[2:3], v[2:3], v[4:5]
	v_mul_f64 v[4:5], v[132:133], v[66:67]
	v_add_f64 v[158:159], v[154:155], v[156:157]
	ds_read_b128 v[154:157], v1 offset:1696
	v_fma_f64 v[4:5], v[130:131], v[68:69], -v[4:5]
	v_add_f64 v[2:3], v[2:3], v[4:5]
	v_mul_f64 v[4:5], v[136:137], v[78:79]
	v_fma_f64 v[4:5], v[134:135], v[80:81], -v[4:5]
	s_waitcnt vmcnt(22) lgkmcnt(1)
	v_mul_f64 v[160:161], v[150:151], v[94:95]
	v_add_f64 v[2:3], v[2:3], v[4:5]
	v_mul_f64 v[4:5], v[140:141], v[74:75]
	s_waitcnt vmcnt(20)
	v_fmac_f64_e32 v[160:161], v[152:153], v[96:97]
	v_fma_f64 v[4:5], v[138:139], v[76:77], -v[4:5]
	v_add_f64 v[162:163], v[158:159], v[160:161]
	ds_read_b128 v[158:161], v1 offset:1712
	s_waitcnt lgkmcnt(1)
	v_mul_f64 v[164:165], v[154:155], v[90:91]
	v_add_f64 v[2:3], v[2:3], v[4:5]
	v_mul_f64 v[4:5], v[144:145], v[86:87]
	v_fmac_f64_e32 v[164:165], v[156:157], v[92:93]
	v_fma_f64 v[4:5], v[142:143], v[88:89], -v[4:5]
	v_add_f64 v[166:167], v[162:163], v[164:165]
	ds_read_b128 v[162:165], v1 offset:1728
	v_add_f64 v[2:3], v[2:3], v[4:5]
	v_mul_f64 v[4:5], v[148:149], v[82:83]
	v_fma_f64 v[4:5], v[146:147], v[84:85], -v[4:5]
	v_add_f64 v[2:3], v[2:3], v[4:5]
	v_mul_f64 v[4:5], v[152:153], v[94:95]
	s_waitcnt vmcnt(14) lgkmcnt(1)
	v_mul_f64 v[168:169], v[158:159], v[182:183]
	v_fma_f64 v[4:5], v[150:151], v[96:97], -v[4:5]
	s_waitcnt vmcnt(12)
	v_fmac_f64_e32 v[168:169], v[160:161], v[184:185]
	v_add_f64 v[2:3], v[2:3], v[4:5]
	v_mul_f64 v[4:5], v[156:157], v[90:91]
	v_add_f64 v[170:171], v[166:167], v[168:169]
	ds_read_b128 v[166:169], v1 offset:1744
	s_waitcnt lgkmcnt(1)
	v_mul_f64 v[172:173], v[162:163], v[178:179]
	v_fma_f64 v[4:5], v[154:155], v[92:93], -v[4:5]
	v_fmac_f64_e32 v[172:173], v[164:165], v[180:181]
	v_add_f64 v[2:3], v[2:3], v[4:5]
	v_mul_f64 v[4:5], v[160:161], v[182:183]
	v_add_f64 v[198:199], v[170:171], v[172:173]
	ds_read_b128 v[170:173], v1 offset:1760
	v_fma_f64 v[4:5], v[158:159], v[184:185], -v[4:5]
	v_add_f64 v[2:3], v[2:3], v[4:5]
	v_mul_f64 v[4:5], v[164:165], v[178:179]
	ds_read_b128 v[174:177], v1 offset:1776
	v_fma_f64 v[4:5], v[162:163], v[180:181], -v[4:5]
	v_add_f64 v[2:3], v[2:3], v[4:5]
	s_waitcnt vmcnt(6) lgkmcnt(2)
	v_mul_f64 v[4:5], v[168:169], v[190:191]
	v_mul_f64 v[200:201], v[166:167], v[190:191]
	s_waitcnt vmcnt(4)
	v_fma_f64 v[4:5], v[166:167], v[192:193], -v[4:5]
	v_fmac_f64_e32 v[200:201], v[168:169], v[192:193]
	v_add_f64 v[2:3], v[2:3], v[4:5]
	s_waitcnt lgkmcnt(1)
	v_mul_f64 v[4:5], v[172:173], v[186:187]
	v_add_f64 v[198:199], v[198:199], v[200:201]
	v_mul_f64 v[200:201], v[170:171], v[186:187]
	v_fma_f64 v[4:5], v[170:171], v[188:189], -v[4:5]
	v_fmac_f64_e32 v[200:201], v[172:173], v[188:189]
	v_add_f64 v[2:3], v[2:3], v[4:5]
	s_waitcnt vmcnt(2) lgkmcnt(0)
	v_mul_f64 v[4:5], v[176:177], v[194:195]
	v_add_f64 v[198:199], v[198:199], v[200:201]
	v_mul_f64 v[200:201], v[174:175], v[194:195]
	s_waitcnt vmcnt(0)
	v_fma_f64 v[4:5], v[174:175], v[196:197], -v[4:5]
	v_fmac_f64_e32 v[200:201], v[176:177], v[196:197]
	v_add_f64 v[2:3], v[2:3], v[4:5]
	v_add_f64 v[198:199], v[198:199], v[200:201]
	v_add_f64 v[2:3], v[20:21], -v[2:3]
	v_add_f64 v[4:5], v[18:19], -v[198:199]
	buffer_store_dword v3, off, s[0:3], 0 offset:516
	buffer_store_dword v2, off, s[0:3], 0 offset:512
	;; [unrolled: 1-line block ×4, first 2 shown]
	s_and_saveexec_b64 s[4:5], vcc
	s_cbranch_execz .LBB119_289
; %bb.288:
	v_accvgpr_read_b32 v1, a137
	buffer_load_dword v2, v1, s[0:3], 0 offen
	buffer_load_dword v3, v1, s[0:3], 0 offen offset:4
	buffer_load_dword v4, v1, s[0:3], 0 offen offset:8
	buffer_load_dword v5, v1, s[0:3], 0 offen offset:12
	v_mov_b32_e32 v1, 0
	v_accvgpr_read_b32 v6, a167
	buffer_store_dword v1, off, s[0:3], 0 offset:496
	buffer_store_dword v1, off, s[0:3], 0 offset:500
	;; [unrolled: 1-line block ×4, first 2 shown]
	s_waitcnt vmcnt(4)
	ds_write_b128 v6, v[2:5]
.LBB119_289:
	s_or_b64 exec, exec, s[4:5]
	s_waitcnt lgkmcnt(0)
	; wave barrier
	s_waitcnt lgkmcnt(0)
	buffer_load_dword v22, off, s[0:3], 0 offset:512
	buffer_load_dword v23, off, s[0:3], 0 offset:516
	;; [unrolled: 1-line block ×64, first 2 shown]
	v_mov_b32_e32 v1, 0
	ds_read_b128 v[18:21], v1 offset:1392
	ds_read_b128 v[14:17], v1 offset:1408
	;; [unrolled: 1-line block ×5, first 2 shown]
	v_cmp_lt_u32_e32 vcc, 29, v0
	s_waitcnt vmcnt(60) lgkmcnt(4)
	v_mul_f64 v[86:87], v[18:19], v[26:27]
	v_fmac_f64_e32 v[86:87], v[20:21], v[22:23]
	v_add_f64 v[86:87], v[86:87], 0
	v_mul_f64 v[20:21], v[20:21], v[26:27]
	s_waitcnt vmcnt(56) lgkmcnt(3)
	v_mul_f64 v[88:89], v[14:15], v[28:29]
	v_fmac_f64_e32 v[88:89], v[16:17], v[24:25]
	s_waitcnt vmcnt(54) lgkmcnt(2)
	v_mul_f64 v[90:91], v[10:11], v[30:31]
	v_add_f64 v[86:87], v[86:87], v[88:89]
	v_fma_f64 v[18:19], v[18:19], v[22:23], -v[20:21]
	v_mul_f64 v[16:17], v[16:17], v[28:29]
	s_waitcnt vmcnt(50) lgkmcnt(1)
	v_mul_f64 v[102:103], v[6:7], v[40:41]
	v_add_f64 v[18:19], v[18:19], 0
	s_waitcnt vmcnt(48)
	v_fmac_f64_e32 v[90:91], v[12:13], v[44:45]
	v_add_f64 v[104:105], v[86:87], v[90:91]
	buffer_load_dword v87, off, s[0:3], 0 offset:780
	buffer_load_dword v86, off, s[0:3], 0 offset:776
	buffer_load_dword v89, off, s[0:3], 0 offset:772
	buffer_load_dword v88, off, s[0:3], 0 offset:768
	buffer_load_dword v91, off, s[0:3], 0 offset:764
	buffer_load_dword v90, off, s[0:3], 0 offset:760
	buffer_load_dword v93, off, s[0:3], 0 offset:756
	buffer_load_dword v92, off, s[0:3], 0 offset:752
	buffer_load_dword v95, off, s[0:3], 0 offset:812
	buffer_load_dword v94, off, s[0:3], 0 offset:808
	buffer_load_dword v97, off, s[0:3], 0 offset:804
	buffer_load_dword v96, off, s[0:3], 0 offset:800
	buffer_load_dword v99, off, s[0:3], 0 offset:796
	buffer_load_dword v98, off, s[0:3], 0 offset:792
	buffer_load_dword v101, off, s[0:3], 0 offset:788
	buffer_load_dword v100, off, s[0:3], 0 offset:784
	buffer_load_dword v183, off, s[0:3], 0 offset:844
	buffer_load_dword v182, off, s[0:3], 0 offset:840
	buffer_load_dword v185, off, s[0:3], 0 offset:836
	buffer_load_dword v184, off, s[0:3], 0 offset:832
	buffer_load_dword v187, off, s[0:3], 0 offset:828
	buffer_load_dword v186, off, s[0:3], 0 offset:824
	buffer_load_dword v189, off, s[0:3], 0 offset:820
	buffer_load_dword v188, off, s[0:3], 0 offset:816
	buffer_load_dword v191, off, s[0:3], 0 offset:876
	buffer_load_dword v190, off, s[0:3], 0 offset:872
	buffer_load_dword v193, off, s[0:3], 0 offset:868
	buffer_load_dword v192, off, s[0:3], 0 offset:864
	buffer_load_dword v195, off, s[0:3], 0 offset:860
	buffer_load_dword v194, off, s[0:3], 0 offset:856
	buffer_load_dword v197, off, s[0:3], 0 offset:852
	buffer_load_dword v196, off, s[0:3], 0 offset:848
	buffer_load_dword v199, off, s[0:3], 0 offset:908
	buffer_load_dword v198, off, s[0:3], 0 offset:904
	buffer_load_dword v201, off, s[0:3], 0 offset:900
	buffer_load_dword v200, off, s[0:3], 0 offset:896
	buffer_load_dword v203, off, s[0:3], 0 offset:892
	buffer_load_dword v202, off, s[0:3], 0 offset:888
	buffer_load_dword v205, off, s[0:3], 0 offset:884
	buffer_load_dword v204, off, s[0:3], 0 offset:880
	s_waitcnt vmcnt(62)
	v_fmac_f64_e32 v[102:103], v[8:9], v[42:43]
	v_add_f64 v[106:107], v[104:105], v[102:103]
	ds_read_b128 v[102:105], v1 offset:1472
	s_waitcnt lgkmcnt(1)
	v_mul_f64 v[108:109], v[2:3], v[36:37]
	v_fmac_f64_e32 v[108:109], v[4:5], v[38:39]
	v_add_f64 v[110:111], v[106:107], v[108:109]
	ds_read_b128 v[106:109], v1 offset:1488
	s_waitcnt lgkmcnt(1)
	v_mul_f64 v[112:113], v[102:103], v[50:51]
	;; [unrolled: 5-line block ×5, first 2 shown]
	v_fmac_f64_e32 v[124:125], v[116:117], v[56:57]
	v_add_f64 v[126:127], v[122:123], v[124:125]
	ds_read_b128 v[122:125], v1 offset:1552
	s_waitcnt vmcnt(58) lgkmcnt(1)
	v_mul_f64 v[128:129], v[118:119], v[66:67]
	s_waitcnt vmcnt(56)
	v_fmac_f64_e32 v[128:129], v[120:121], v[68:69]
	v_add_f64 v[130:131], v[126:127], v[128:129]
	ds_read_b128 v[126:129], v1 offset:1568
	s_waitcnt lgkmcnt(1)
	v_mul_f64 v[132:133], v[122:123], v[62:63]
	v_fmac_f64_e32 v[132:133], v[124:125], v[64:65]
	v_add_f64 v[134:135], v[130:131], v[132:133]
	ds_read_b128 v[130:133], v1 offset:1584
	s_waitcnt vmcnt(50) lgkmcnt(1)
	v_mul_f64 v[136:137], v[126:127], v[74:75]
	s_waitcnt vmcnt(48)
	v_fmac_f64_e32 v[136:137], v[128:129], v[76:77]
	v_add_f64 v[138:139], v[134:135], v[136:137]
	ds_read_b128 v[134:137], v1 offset:1600
	v_fma_f64 v[14:15], v[14:15], v[24:25], -v[16:17]
	v_mul_f64 v[12:13], v[12:13], v[30:31]
	v_add_f64 v[14:15], v[18:19], v[14:15]
	v_fma_f64 v[10:11], v[10:11], v[44:45], -v[12:13]
	v_mul_f64 v[8:9], v[8:9], v[40:41]
	s_waitcnt lgkmcnt(1)
	v_mul_f64 v[140:141], v[130:131], v[70:71]
	v_add_f64 v[10:11], v[14:15], v[10:11]
	v_fma_f64 v[6:7], v[6:7], v[42:43], -v[8:9]
	v_mul_f64 v[4:5], v[4:5], v[36:37]
	v_fmac_f64_e32 v[140:141], v[132:133], v[72:73]
	v_add_f64 v[6:7], v[10:11], v[6:7]
	v_fma_f64 v[2:3], v[2:3], v[38:39], -v[4:5]
	v_mul_f64 v[4:5], v[104:105], v[50:51]
	v_add_f64 v[142:143], v[138:139], v[140:141]
	ds_read_b128 v[138:141], v1 offset:1616
	s_waitcnt vmcnt(42) lgkmcnt(1)
	v_mul_f64 v[144:145], v[134:135], v[82:83]
	v_add_f64 v[2:3], v[6:7], v[2:3]
	v_fma_f64 v[4:5], v[102:103], v[52:53], -v[4:5]
	s_waitcnt vmcnt(40)
	v_fmac_f64_e32 v[144:145], v[136:137], v[84:85]
	v_add_f64 v[2:3], v[2:3], v[4:5]
	v_mul_f64 v[4:5], v[108:109], v[46:47]
	v_add_f64 v[146:147], v[142:143], v[144:145]
	ds_read_b128 v[142:145], v1 offset:1632
	v_fma_f64 v[4:5], v[106:107], v[48:49], -v[4:5]
	v_add_f64 v[2:3], v[2:3], v[4:5]
	v_mul_f64 v[4:5], v[112:113], v[58:59]
	v_fma_f64 v[4:5], v[110:111], v[60:61], -v[4:5]
	s_waitcnt lgkmcnt(1)
	v_mul_f64 v[148:149], v[138:139], v[78:79]
	v_add_f64 v[2:3], v[2:3], v[4:5]
	v_mul_f64 v[4:5], v[116:117], v[54:55]
	v_fmac_f64_e32 v[148:149], v[140:141], v[80:81]
	v_fma_f64 v[4:5], v[114:115], v[56:57], -v[4:5]
	v_add_f64 v[150:151], v[146:147], v[148:149]
	ds_read_b128 v[146:149], v1 offset:1648
	s_waitcnt vmcnt(34) lgkmcnt(1)
	v_mul_f64 v[152:153], v[142:143], v[90:91]
	v_add_f64 v[2:3], v[2:3], v[4:5]
	v_mul_f64 v[4:5], v[120:121], v[66:67]
	s_waitcnt vmcnt(32)
	v_fmac_f64_e32 v[152:153], v[144:145], v[92:93]
	v_fma_f64 v[4:5], v[118:119], v[68:69], -v[4:5]
	v_add_f64 v[154:155], v[150:151], v[152:153]
	ds_read_b128 v[150:153], v1 offset:1664
	v_add_f64 v[2:3], v[2:3], v[4:5]
	v_mul_f64 v[4:5], v[124:125], v[62:63]
	v_fma_f64 v[4:5], v[122:123], v[64:65], -v[4:5]
	v_add_f64 v[2:3], v[2:3], v[4:5]
	v_mul_f64 v[4:5], v[128:129], v[74:75]
	s_waitcnt lgkmcnt(1)
	v_mul_f64 v[156:157], v[146:147], v[86:87]
	v_fma_f64 v[4:5], v[126:127], v[76:77], -v[4:5]
	v_fmac_f64_e32 v[156:157], v[148:149], v[88:89]
	v_add_f64 v[2:3], v[2:3], v[4:5]
	v_mul_f64 v[4:5], v[132:133], v[70:71]
	v_add_f64 v[158:159], v[154:155], v[156:157]
	ds_read_b128 v[154:157], v1 offset:1680
	s_waitcnt vmcnt(26) lgkmcnt(1)
	v_mul_f64 v[160:161], v[150:151], v[98:99]
	v_fma_f64 v[4:5], v[130:131], v[72:73], -v[4:5]
	s_waitcnt vmcnt(24)
	v_fmac_f64_e32 v[160:161], v[152:153], v[100:101]
	v_add_f64 v[2:3], v[2:3], v[4:5]
	v_mul_f64 v[4:5], v[136:137], v[82:83]
	v_add_f64 v[162:163], v[158:159], v[160:161]
	ds_read_b128 v[158:161], v1 offset:1696
	v_fma_f64 v[4:5], v[134:135], v[84:85], -v[4:5]
	v_add_f64 v[2:3], v[2:3], v[4:5]
	v_mul_f64 v[4:5], v[140:141], v[78:79]
	v_fma_f64 v[4:5], v[138:139], v[80:81], -v[4:5]
	s_waitcnt lgkmcnt(1)
	v_mul_f64 v[164:165], v[154:155], v[94:95]
	v_add_f64 v[2:3], v[2:3], v[4:5]
	v_mul_f64 v[4:5], v[144:145], v[90:91]
	v_fmac_f64_e32 v[164:165], v[156:157], v[96:97]
	v_fma_f64 v[4:5], v[142:143], v[92:93], -v[4:5]
	v_add_f64 v[166:167], v[162:163], v[164:165]
	ds_read_b128 v[162:165], v1 offset:1712
	s_waitcnt vmcnt(18) lgkmcnt(1)
	v_mul_f64 v[168:169], v[158:159], v[186:187]
	v_add_f64 v[2:3], v[2:3], v[4:5]
	v_mul_f64 v[4:5], v[148:149], v[86:87]
	s_waitcnt vmcnt(16)
	v_fmac_f64_e32 v[168:169], v[160:161], v[188:189]
	v_fma_f64 v[4:5], v[146:147], v[88:89], -v[4:5]
	v_add_f64 v[170:171], v[166:167], v[168:169]
	ds_read_b128 v[166:169], v1 offset:1728
	v_add_f64 v[2:3], v[2:3], v[4:5]
	v_mul_f64 v[4:5], v[152:153], v[98:99]
	v_fma_f64 v[4:5], v[150:151], v[100:101], -v[4:5]
	v_add_f64 v[2:3], v[2:3], v[4:5]
	v_mul_f64 v[4:5], v[156:157], v[94:95]
	s_waitcnt lgkmcnt(1)
	v_mul_f64 v[172:173], v[162:163], v[182:183]
	v_fma_f64 v[4:5], v[154:155], v[96:97], -v[4:5]
	v_fmac_f64_e32 v[172:173], v[164:165], v[184:185]
	v_add_f64 v[2:3], v[2:3], v[4:5]
	v_mul_f64 v[4:5], v[160:161], v[186:187]
	v_add_f64 v[174:175], v[170:171], v[172:173]
	ds_read_b128 v[170:173], v1 offset:1744
	s_waitcnt vmcnt(10) lgkmcnt(1)
	v_mul_f64 v[176:177], v[166:167], v[194:195]
	v_fma_f64 v[4:5], v[158:159], v[188:189], -v[4:5]
	s_waitcnt vmcnt(8)
	v_fmac_f64_e32 v[176:177], v[168:169], v[196:197]
	v_add_f64 v[2:3], v[2:3], v[4:5]
	v_mul_f64 v[4:5], v[164:165], v[182:183]
	v_add_f64 v[206:207], v[174:175], v[176:177]
	ds_read_b128 v[174:177], v1 offset:1760
	ds_read_b128 v[178:181], v1 offset:1776
	v_fma_f64 v[4:5], v[162:163], v[184:185], -v[4:5]
	v_add_f64 v[2:3], v[2:3], v[4:5]
	v_mul_f64 v[4:5], v[168:169], v[194:195]
	v_fma_f64 v[4:5], v[166:167], v[196:197], -v[4:5]
	v_add_f64 v[2:3], v[2:3], v[4:5]
	s_waitcnt lgkmcnt(2)
	v_mul_f64 v[4:5], v[172:173], v[190:191]
	v_mul_f64 v[208:209], v[170:171], v[190:191]
	v_fma_f64 v[4:5], v[170:171], v[192:193], -v[4:5]
	v_fmac_f64_e32 v[208:209], v[172:173], v[192:193]
	v_add_f64 v[2:3], v[2:3], v[4:5]
	s_waitcnt vmcnt(2) lgkmcnt(1)
	v_mul_f64 v[4:5], v[176:177], v[202:203]
	v_add_f64 v[206:207], v[206:207], v[208:209]
	v_mul_f64 v[208:209], v[174:175], v[202:203]
	s_waitcnt vmcnt(0)
	v_fma_f64 v[4:5], v[174:175], v[204:205], -v[4:5]
	v_fmac_f64_e32 v[208:209], v[176:177], v[204:205]
	v_add_f64 v[2:3], v[2:3], v[4:5]
	s_waitcnt lgkmcnt(0)
	v_mul_f64 v[4:5], v[180:181], v[198:199]
	v_add_f64 v[206:207], v[206:207], v[208:209]
	v_mul_f64 v[208:209], v[178:179], v[198:199]
	v_fma_f64 v[4:5], v[178:179], v[200:201], -v[4:5]
	v_fmac_f64_e32 v[208:209], v[180:181], v[200:201]
	v_add_f64 v[2:3], v[2:3], v[4:5]
	v_add_f64 v[206:207], v[206:207], v[208:209]
	v_add_f64 v[2:3], v[34:35], -v[2:3]
	v_add_f64 v[4:5], v[32:33], -v[206:207]
	buffer_store_dword v3, off, s[0:3], 0 offset:500
	buffer_store_dword v2, off, s[0:3], 0 offset:496
	buffer_store_dword v5, off, s[0:3], 0 offset:508
	buffer_store_dword v4, off, s[0:3], 0 offset:504
	s_and_saveexec_b64 s[4:5], vcc
	s_cbranch_execz .LBB119_291
; %bb.290:
	v_accvgpr_read_b32 v5, a138
	buffer_load_dword v2, v5, s[0:3], 0 offen
	buffer_load_dword v3, v5, s[0:3], 0 offen offset:4
	buffer_load_dword v4, v5, s[0:3], 0 offen offset:8
	s_nop 0
	buffer_load_dword v5, v5, s[0:3], 0 offen offset:12
	v_accvgpr_read_b32 v6, a167
	buffer_store_dword v1, off, s[0:3], 0 offset:480
	buffer_store_dword v1, off, s[0:3], 0 offset:484
	;; [unrolled: 1-line block ×4, first 2 shown]
	s_waitcnt vmcnt(4)
	ds_write_b128 v6, v[2:5]
.LBB119_291:
	s_or_b64 exec, exec, s[4:5]
	s_waitcnt lgkmcnt(0)
	; wave barrier
	s_waitcnt lgkmcnt(0)
	buffer_load_dword v26, off, s[0:3], 0 offset:496
	buffer_load_dword v27, off, s[0:3], 0 offset:500
	;; [unrolled: 1-line block ×24, first 2 shown]
	ds_read_b128 v[22:25], v1 offset:1376
	ds_read_b128 v[18:21], v1 offset:1392
	;; [unrolled: 1-line block ×6, first 2 shown]
	buffer_load_dword v51, off, s[0:3], 0 offset:604
	buffer_load_dword v50, off, s[0:3], 0 offset:600
	;; [unrolled: 1-line block ×40, first 2 shown]
	v_cmp_lt_u32_e32 vcc, 28, v0
	s_waitcnt vmcnt(34) lgkmcnt(0)
	v_mul_f64 v[120:121], v[14:15], v[54:55]
	s_waitcnt vmcnt(32)
	v_fmac_f64_e32 v[120:121], v[16:17], v[56:57]
	v_mul_f64 v[90:91], v[22:23], v[28:29]
	v_fmac_f64_e32 v[90:91], v[24:25], v[26:27]
	v_mul_f64 v[92:93], v[18:19], v[30:31]
	v_add_f64 v[90:91], v[90:91], 0
	v_mul_f64 v[94:95], v[10:11], v[32:33]
	v_mul_f64 v[24:25], v[24:25], v[28:29]
	;; [unrolled: 1-line block ×3, first 2 shown]
	v_fma_f64 v[22:23], v[22:23], v[26:27], -v[24:25]
	v_add_f64 v[22:23], v[22:23], 0
	v_mul_f64 v[96:97], v[6:7], v[42:43]
	v_fmac_f64_e32 v[92:93], v[20:21], v[48:49]
	v_add_f64 v[90:91], v[90:91], v[92:93]
	v_fmac_f64_e32 v[94:95], v[12:13], v[46:47]
	v_add_f64 v[90:91], v[90:91], v[94:95]
	;; [unrolled: 2-line block ×3, first 2 shown]
	buffer_load_dword v91, off, s[0:3], 0 offset:764
	buffer_load_dword v90, off, s[0:3], 0 offset:760
	buffer_load_dword v93, off, s[0:3], 0 offset:756
	buffer_load_dword v92, off, s[0:3], 0 offset:752
	buffer_load_dword v95, off, s[0:3], 0 offset:748
	buffer_load_dword v94, off, s[0:3], 0 offset:744
	buffer_load_dword v97, off, s[0:3], 0 offset:740
	buffer_load_dword v96, off, s[0:3], 0 offset:736
	buffer_load_dword v99, off, s[0:3], 0 offset:796
	buffer_load_dword v98, off, s[0:3], 0 offset:792
	buffer_load_dword v101, off, s[0:3], 0 offset:788
	buffer_load_dword v100, off, s[0:3], 0 offset:784
	buffer_load_dword v103, off, s[0:3], 0 offset:780
	buffer_load_dword v102, off, s[0:3], 0 offset:776
	buffer_load_dword v105, off, s[0:3], 0 offset:772
	buffer_load_dword v104, off, s[0:3], 0 offset:768
	buffer_load_dword v107, off, s[0:3], 0 offset:828
	buffer_load_dword v106, off, s[0:3], 0 offset:824
	buffer_load_dword v109, off, s[0:3], 0 offset:820
	buffer_load_dword v108, off, s[0:3], 0 offset:816
	buffer_load_dword v111, off, s[0:3], 0 offset:812
	buffer_load_dword v110, off, s[0:3], 0 offset:808
	buffer_load_dword v113, off, s[0:3], 0 offset:804
	buffer_load_dword v112, off, s[0:3], 0 offset:800
	buffer_load_dword v195, off, s[0:3], 0 offset:860
	buffer_load_dword v194, off, s[0:3], 0 offset:856
	buffer_load_dword v197, off, s[0:3], 0 offset:852
	buffer_load_dword v196, off, s[0:3], 0 offset:848
	buffer_load_dword v199, off, s[0:3], 0 offset:844
	buffer_load_dword v198, off, s[0:3], 0 offset:840
	buffer_load_dword v201, off, s[0:3], 0 offset:836
	buffer_load_dword v200, off, s[0:3], 0 offset:832
	buffer_load_dword v203, off, s[0:3], 0 offset:892
	buffer_load_dword v202, off, s[0:3], 0 offset:888
	buffer_load_dword v205, off, s[0:3], 0 offset:884
	buffer_load_dword v204, off, s[0:3], 0 offset:880
	buffer_load_dword v207, off, s[0:3], 0 offset:876
	buffer_load_dword v206, off, s[0:3], 0 offset:872
	buffer_load_dword v209, off, s[0:3], 0 offset:868
	buffer_load_dword v208, off, s[0:3], 0 offset:864
	v_fmac_f64_e32 v[114:115], v[4:5], v[40:41]
	v_add_f64 v[118:119], v[116:117], v[114:115]
	ds_read_b128 v[114:117], v1 offset:1472
	buffer_load_dword v211, off, s[0:3], 0 offset:908
	buffer_load_dword v210, off, s[0:3], 0 offset:904
	;; [unrolled: 1-line block ×4, first 2 shown]
	v_add_f64 v[122:123], v[118:119], v[120:121]
	ds_read_b128 v[118:121], v1 offset:1488
	v_mul_f64 v[20:21], v[20:21], v[30:31]
	s_waitcnt lgkmcnt(1)
	v_mul_f64 v[124:125], v[114:115], v[50:51]
	v_fmac_f64_e32 v[124:125], v[116:117], v[52:53]
	v_add_f64 v[126:127], v[122:123], v[124:125]
	ds_read_b128 v[122:125], v1 offset:1504
	s_waitcnt vmcnt(62) lgkmcnt(1)
	v_mul_f64 v[128:129], v[118:119], v[62:63]
	v_fmac_f64_e32 v[128:129], v[120:121], v[64:65]
	v_add_f64 v[130:131], v[126:127], v[128:129]
	ds_read_b128 v[126:129], v1 offset:1520
	s_waitcnt lgkmcnt(1)
	v_mul_f64 v[132:133], v[122:123], v[58:59]
	v_fmac_f64_e32 v[132:133], v[124:125], v[60:61]
	v_add_f64 v[134:135], v[130:131], v[132:133]
	ds_read_b128 v[130:133], v1 offset:1536
	s_waitcnt lgkmcnt(1)
	v_mul_f64 v[136:137], v[126:127], v[70:71]
	s_waitcnt vmcnt(60)
	v_fmac_f64_e32 v[136:137], v[128:129], v[72:73]
	v_add_f64 v[138:139], v[134:135], v[136:137]
	ds_read_b128 v[134:137], v1 offset:1552
	s_waitcnt lgkmcnt(1)
	v_mul_f64 v[140:141], v[130:131], v[66:67]
	v_fmac_f64_e32 v[140:141], v[132:133], v[68:69]
	v_add_f64 v[142:143], v[138:139], v[140:141]
	ds_read_b128 v[138:141], v1 offset:1568
	s_waitcnt vmcnt(54) lgkmcnt(1)
	v_mul_f64 v[144:145], v[134:135], v[78:79]
	s_waitcnt vmcnt(52)
	v_fmac_f64_e32 v[144:145], v[136:137], v[80:81]
	v_add_f64 v[146:147], v[142:143], v[144:145]
	ds_read_b128 v[142:145], v1 offset:1584
	s_waitcnt lgkmcnt(1)
	v_mul_f64 v[148:149], v[138:139], v[74:75]
	v_fmac_f64_e32 v[148:149], v[140:141], v[76:77]
	v_fma_f64 v[18:19], v[18:19], v[48:49], -v[20:21]
	v_mul_f64 v[12:13], v[12:13], v[32:33]
	v_add_f64 v[150:151], v[146:147], v[148:149]
	ds_read_b128 v[146:149], v1 offset:1600
	v_add_f64 v[18:19], v[22:23], v[18:19]
	v_fma_f64 v[10:11], v[10:11], v[46:47], -v[12:13]
	v_mul_f64 v[8:9], v[8:9], v[42:43]
	v_add_f64 v[10:11], v[18:19], v[10:11]
	v_fma_f64 v[6:7], v[6:7], v[44:45], -v[8:9]
	v_mul_f64 v[4:5], v[4:5], v[38:39]
	;; [unrolled: 3-line block ×3, first 2 shown]
	s_waitcnt vmcnt(46) lgkmcnt(1)
	v_mul_f64 v[152:153], v[142:143], v[86:87]
	v_add_f64 v[2:3], v[6:7], v[2:3]
	v_fma_f64 v[4:5], v[14:15], v[56:57], -v[4:5]
	s_waitcnt vmcnt(44)
	v_fmac_f64_e32 v[152:153], v[144:145], v[88:89]
	v_add_f64 v[2:3], v[2:3], v[4:5]
	v_mul_f64 v[4:5], v[116:117], v[50:51]
	v_add_f64 v[154:155], v[150:151], v[152:153]
	ds_read_b128 v[150:153], v1 offset:1616
	s_waitcnt lgkmcnt(1)
	v_mul_f64 v[156:157], v[146:147], v[82:83]
	v_fma_f64 v[4:5], v[114:115], v[52:53], -v[4:5]
	v_fmac_f64_e32 v[156:157], v[148:149], v[84:85]
	v_add_f64 v[2:3], v[2:3], v[4:5]
	v_mul_f64 v[4:5], v[120:121], v[62:63]
	v_add_f64 v[158:159], v[154:155], v[156:157]
	ds_read_b128 v[154:157], v1 offset:1632
	v_fma_f64 v[4:5], v[118:119], v[64:65], -v[4:5]
	v_add_f64 v[2:3], v[2:3], v[4:5]
	v_mul_f64 v[4:5], v[124:125], v[58:59]
	v_fma_f64 v[4:5], v[122:123], v[60:61], -v[4:5]
	s_waitcnt vmcnt(38) lgkmcnt(1)
	v_mul_f64 v[160:161], v[150:151], v[94:95]
	v_add_f64 v[2:3], v[2:3], v[4:5]
	v_mul_f64 v[4:5], v[128:129], v[70:71]
	s_waitcnt vmcnt(36)
	v_fmac_f64_e32 v[160:161], v[152:153], v[96:97]
	v_fma_f64 v[4:5], v[126:127], v[72:73], -v[4:5]
	v_add_f64 v[162:163], v[158:159], v[160:161]
	ds_read_b128 v[158:161], v1 offset:1648
	s_waitcnt lgkmcnt(1)
	v_mul_f64 v[164:165], v[154:155], v[90:91]
	v_add_f64 v[2:3], v[2:3], v[4:5]
	v_mul_f64 v[4:5], v[132:133], v[66:67]
	v_fmac_f64_e32 v[164:165], v[156:157], v[92:93]
	v_fma_f64 v[4:5], v[130:131], v[68:69], -v[4:5]
	v_add_f64 v[166:167], v[162:163], v[164:165]
	ds_read_b128 v[162:165], v1 offset:1664
	v_add_f64 v[2:3], v[2:3], v[4:5]
	v_mul_f64 v[4:5], v[136:137], v[78:79]
	v_fma_f64 v[4:5], v[134:135], v[80:81], -v[4:5]
	v_add_f64 v[2:3], v[2:3], v[4:5]
	v_mul_f64 v[4:5], v[140:141], v[74:75]
	s_waitcnt vmcnt(30) lgkmcnt(1)
	v_mul_f64 v[168:169], v[158:159], v[102:103]
	v_fma_f64 v[4:5], v[138:139], v[76:77], -v[4:5]
	s_waitcnt vmcnt(28)
	v_fmac_f64_e32 v[168:169], v[160:161], v[104:105]
	v_add_f64 v[2:3], v[2:3], v[4:5]
	v_mul_f64 v[4:5], v[144:145], v[86:87]
	v_add_f64 v[170:171], v[166:167], v[168:169]
	ds_read_b128 v[166:169], v1 offset:1680
	s_waitcnt lgkmcnt(1)
	v_mul_f64 v[172:173], v[162:163], v[98:99]
	v_fma_f64 v[4:5], v[142:143], v[88:89], -v[4:5]
	v_fmac_f64_e32 v[172:173], v[164:165], v[100:101]
	v_add_f64 v[2:3], v[2:3], v[4:5]
	v_mul_f64 v[4:5], v[148:149], v[82:83]
	v_add_f64 v[174:175], v[170:171], v[172:173]
	ds_read_b128 v[170:173], v1 offset:1696
	v_fma_f64 v[4:5], v[146:147], v[84:85], -v[4:5]
	v_add_f64 v[2:3], v[2:3], v[4:5]
	v_mul_f64 v[4:5], v[152:153], v[94:95]
	v_fma_f64 v[4:5], v[150:151], v[96:97], -v[4:5]
	s_waitcnt vmcnt(22) lgkmcnt(1)
	v_mul_f64 v[176:177], v[166:167], v[110:111]
	v_add_f64 v[2:3], v[2:3], v[4:5]
	v_mul_f64 v[4:5], v[156:157], v[90:91]
	s_waitcnt vmcnt(20)
	v_fmac_f64_e32 v[176:177], v[168:169], v[112:113]
	v_fma_f64 v[4:5], v[154:155], v[92:93], -v[4:5]
	v_add_f64 v[178:179], v[174:175], v[176:177]
	ds_read_b128 v[174:177], v1 offset:1712
	s_waitcnt lgkmcnt(1)
	v_mul_f64 v[180:181], v[170:171], v[106:107]
	v_add_f64 v[2:3], v[2:3], v[4:5]
	v_mul_f64 v[4:5], v[160:161], v[102:103]
	v_fmac_f64_e32 v[180:181], v[172:173], v[108:109]
	v_fma_f64 v[4:5], v[158:159], v[104:105], -v[4:5]
	v_add_f64 v[182:183], v[178:179], v[180:181]
	ds_read_b128 v[178:181], v1 offset:1728
	v_add_f64 v[2:3], v[2:3], v[4:5]
	v_mul_f64 v[4:5], v[164:165], v[98:99]
	v_fma_f64 v[4:5], v[162:163], v[100:101], -v[4:5]
	v_add_f64 v[2:3], v[2:3], v[4:5]
	v_mul_f64 v[4:5], v[168:169], v[110:111]
	s_waitcnt vmcnt(14) lgkmcnt(1)
	v_mul_f64 v[184:185], v[174:175], v[198:199]
	v_fma_f64 v[4:5], v[166:167], v[112:113], -v[4:5]
	s_waitcnt vmcnt(12)
	v_fmac_f64_e32 v[184:185], v[176:177], v[200:201]
	v_add_f64 v[2:3], v[2:3], v[4:5]
	v_mul_f64 v[4:5], v[172:173], v[106:107]
	v_add_f64 v[186:187], v[182:183], v[184:185]
	ds_read_b128 v[182:185], v1 offset:1744
	s_waitcnt lgkmcnt(1)
	v_mul_f64 v[188:189], v[178:179], v[194:195]
	v_fma_f64 v[4:5], v[170:171], v[108:109], -v[4:5]
	v_fmac_f64_e32 v[188:189], v[180:181], v[196:197]
	v_add_f64 v[2:3], v[2:3], v[4:5]
	v_mul_f64 v[4:5], v[176:177], v[198:199]
	v_add_f64 v[214:215], v[186:187], v[188:189]
	ds_read_b128 v[186:189], v1 offset:1760
	v_fma_f64 v[4:5], v[174:175], v[200:201], -v[4:5]
	v_add_f64 v[2:3], v[2:3], v[4:5]
	v_mul_f64 v[4:5], v[180:181], v[194:195]
	ds_read_b128 v[190:193], v1 offset:1776
	v_fma_f64 v[4:5], v[178:179], v[196:197], -v[4:5]
	v_add_f64 v[2:3], v[2:3], v[4:5]
	s_waitcnt vmcnt(6) lgkmcnt(2)
	v_mul_f64 v[4:5], v[184:185], v[206:207]
	v_mul_f64 v[216:217], v[182:183], v[206:207]
	s_waitcnt vmcnt(4)
	v_fma_f64 v[4:5], v[182:183], v[208:209], -v[4:5]
	v_fmac_f64_e32 v[216:217], v[184:185], v[208:209]
	v_add_f64 v[2:3], v[2:3], v[4:5]
	s_waitcnt lgkmcnt(1)
	v_mul_f64 v[4:5], v[188:189], v[202:203]
	v_add_f64 v[214:215], v[214:215], v[216:217]
	v_mul_f64 v[216:217], v[186:187], v[202:203]
	v_fma_f64 v[4:5], v[186:187], v[204:205], -v[4:5]
	v_fmac_f64_e32 v[216:217], v[188:189], v[204:205]
	v_add_f64 v[2:3], v[2:3], v[4:5]
	s_waitcnt vmcnt(2) lgkmcnt(0)
	v_mul_f64 v[4:5], v[192:193], v[210:211]
	v_add_f64 v[214:215], v[214:215], v[216:217]
	v_mul_f64 v[216:217], v[190:191], v[210:211]
	s_waitcnt vmcnt(0)
	v_fma_f64 v[4:5], v[190:191], v[212:213], -v[4:5]
	v_fmac_f64_e32 v[216:217], v[192:193], v[212:213]
	v_add_f64 v[2:3], v[2:3], v[4:5]
	v_add_f64 v[214:215], v[214:215], v[216:217]
	v_add_f64 v[2:3], v[36:37], -v[2:3]
	v_add_f64 v[4:5], v[34:35], -v[214:215]
	buffer_store_dword v3, off, s[0:3], 0 offset:484
	buffer_store_dword v2, off, s[0:3], 0 offset:480
	;; [unrolled: 1-line block ×4, first 2 shown]
	s_and_saveexec_b64 s[4:5], vcc
	s_cbranch_execz .LBB119_293
; %bb.292:
	v_accvgpr_read_b32 v1, a139
	buffer_load_dword v2, v1, s[0:3], 0 offen
	buffer_load_dword v3, v1, s[0:3], 0 offen offset:4
	buffer_load_dword v4, v1, s[0:3], 0 offen offset:8
	buffer_load_dword v5, v1, s[0:3], 0 offen offset:12
	v_mov_b32_e32 v1, 0
	v_accvgpr_read_b32 v6, a167
	buffer_store_dword v1, off, s[0:3], 0 offset:464
	buffer_store_dword v1, off, s[0:3], 0 offset:468
	;; [unrolled: 1-line block ×4, first 2 shown]
	s_waitcnt vmcnt(4)
	ds_write_b128 v6, v[2:5]
.LBB119_293:
	s_or_b64 exec, exec, s[4:5]
	s_waitcnt lgkmcnt(0)
	; wave barrier
	s_waitcnt lgkmcnt(0)
	buffer_load_dword v30, off, s[0:3], 0 offset:480
	buffer_load_dword v31, off, s[0:3], 0 offset:484
	;; [unrolled: 1-line block ×56, first 2 shown]
	v_mov_b32_e32 v1, 0
	ds_read_b128 v[26:29], v1 offset:1360
	ds_read_b128 v[22:25], v1 offset:1376
	;; [unrolled: 1-line block ×7, first 2 shown]
	v_cmp_lt_u32_e32 vcc, 27, v0
	s_waitcnt vmcnt(52) lgkmcnt(6)
	v_mul_f64 v[86:87], v[26:27], v[34:35]
	v_fmac_f64_e32 v[86:87], v[28:29], v[30:31]
	v_add_f64 v[86:87], v[86:87], 0
	v_mul_f64 v[28:29], v[28:29], v[34:35]
	s_waitcnt vmcnt(48) lgkmcnt(5)
	v_mul_f64 v[88:89], v[22:23], v[36:37]
	v_fmac_f64_e32 v[88:89], v[24:25], v[32:33]
	s_waitcnt vmcnt(46) lgkmcnt(4)
	v_mul_f64 v[90:91], v[18:19], v[38:39]
	v_add_f64 v[86:87], v[86:87], v[88:89]
	s_waitcnt vmcnt(44) lgkmcnt(2)
	v_mul_f64 v[94:95], v[10:11], v[40:41]
	v_fma_f64 v[26:27], v[26:27], v[30:31], -v[28:29]
	s_waitcnt vmcnt(42)
	v_fmac_f64_e32 v[94:95], v[12:13], v[42:43]
	v_mul_f64 v[24:25], v[24:25], v[36:37]
	s_waitcnt vmcnt(40)
	v_mul_f64 v[92:93], v[14:15], v[48:49]
	v_add_f64 v[26:27], v[26:27], 0
	v_fma_f64 v[22:23], v[22:23], v[32:33], -v[24:25]
	v_add_f64 v[22:23], v[26:27], v[22:23]
	s_waitcnt vmcnt(36) lgkmcnt(1)
	v_mul_f64 v[110:111], v[6:7], v[54:55]
	v_mul_f64 v[12:13], v[12:13], v[40:41]
	s_waitcnt vmcnt(34)
	v_fmac_f64_e32 v[90:91], v[20:21], v[60:61]
	v_add_f64 v[86:87], v[86:87], v[90:91]
	s_waitcnt vmcnt(32)
	v_fmac_f64_e32 v[92:93], v[16:17], v[58:59]
	v_add_f64 v[86:87], v[86:87], v[92:93]
	v_add_f64 v[116:117], v[86:87], v[94:95]
	buffer_load_dword v87, off, s[0:3], 0 offset:716
	buffer_load_dword v86, off, s[0:3], 0 offset:712
	;; [unrolled: 1-line block ×56, first 2 shown]
	ds_read_b128 v[124:127], v1 offset:1472
	ds_read_b128 v[128:131], v1 offset:1488
	v_mul_f64 v[20:21], v[20:21], v[38:39]
	v_fma_f64 v[18:19], v[18:19], v[60:61], -v[20:21]
	v_mul_f64 v[16:17], v[16:17], v[48:49]
	s_waitcnt vmcnt(62)
	v_fmac_f64_e32 v[110:111], v[8:9], v[56:57]
	v_add_f64 v[18:19], v[22:23], v[18:19]
	v_fma_f64 v[14:15], v[14:15], v[58:59], -v[16:17]
	v_add_f64 v[110:111], v[116:117], v[110:111]
	s_waitcnt lgkmcnt(2)
	v_mul_f64 v[116:117], v[2:3], v[50:51]
	v_add_f64 v[14:15], v[18:19], v[14:15]
	v_fma_f64 v[10:11], v[10:11], v[42:43], -v[12:13]
	v_mul_f64 v[8:9], v[8:9], v[54:55]
	v_fmac_f64_e32 v[116:117], v[4:5], v[52:53]
	ds_read_b128 v[132:135], v1 offset:1504
	ds_read_b128 v[136:139], v1 offset:1520
	v_add_f64 v[10:11], v[14:15], v[10:11]
	v_fma_f64 v[6:7], v[6:7], v[56:57], -v[8:9]
	v_mul_f64 v[4:5], v[4:5], v[50:51]
	v_add_f64 v[6:7], v[10:11], v[6:7]
	v_fma_f64 v[2:3], v[2:3], v[52:53], -v[4:5]
	s_waitcnt lgkmcnt(3)
	v_mul_f64 v[4:5], v[126:127], v[66:67]
	v_add_f64 v[110:111], v[110:111], v[116:117]
	v_mul_f64 v[116:117], v[124:125], v[66:67]
	v_add_f64 v[2:3], v[6:7], v[2:3]
	v_fma_f64 v[4:5], v[124:125], v[68:69], -v[4:5]
	v_fmac_f64_e32 v[116:117], v[126:127], v[68:69]
	v_add_f64 v[2:3], v[2:3], v[4:5]
	s_waitcnt lgkmcnt(2)
	v_mul_f64 v[4:5], v[130:131], v[62:63]
	v_add_f64 v[110:111], v[110:111], v[116:117]
	v_mul_f64 v[116:117], v[128:129], v[62:63]
	ds_read_b128 v[140:143], v1 offset:1536
	ds_read_b128 v[144:147], v1 offset:1552
	v_fma_f64 v[4:5], v[128:129], v[64:65], -v[4:5]
	v_fmac_f64_e32 v[116:117], v[130:131], v[64:65]
	v_add_f64 v[2:3], v[2:3], v[4:5]
	s_waitcnt lgkmcnt(3)
	v_mul_f64 v[4:5], v[134:135], v[74:75]
	v_add_f64 v[110:111], v[110:111], v[116:117]
	v_mul_f64 v[116:117], v[132:133], v[74:75]
	v_fma_f64 v[4:5], v[132:133], v[76:77], -v[4:5]
	v_fmac_f64_e32 v[116:117], v[134:135], v[76:77]
	v_add_f64 v[2:3], v[2:3], v[4:5]
	s_waitcnt lgkmcnt(2)
	v_mul_f64 v[4:5], v[138:139], v[70:71]
	v_add_f64 v[110:111], v[110:111], v[116:117]
	v_mul_f64 v[116:117], v[136:137], v[70:71]
	ds_read_b128 v[148:151], v1 offset:1568
	ds_read_b128 v[152:155], v1 offset:1584
	v_fma_f64 v[4:5], v[136:137], v[72:73], -v[4:5]
	v_fmac_f64_e32 v[116:117], v[138:139], v[72:73]
	v_add_f64 v[2:3], v[2:3], v[4:5]
	s_waitcnt vmcnt(58) lgkmcnt(3)
	v_mul_f64 v[4:5], v[142:143], v[82:83]
	v_add_f64 v[110:111], v[110:111], v[116:117]
	v_mul_f64 v[116:117], v[140:141], v[82:83]
	s_waitcnt vmcnt(56)
	v_fma_f64 v[4:5], v[140:141], v[84:85], -v[4:5]
	v_fmac_f64_e32 v[116:117], v[142:143], v[84:85]
	v_add_f64 v[2:3], v[2:3], v[4:5]
	s_waitcnt lgkmcnt(2)
	v_mul_f64 v[4:5], v[146:147], v[78:79]
	v_add_f64 v[110:111], v[110:111], v[116:117]
	v_mul_f64 v[116:117], v[144:145], v[78:79]
	ds_read_b128 v[156:159], v1 offset:1600
	ds_read_b128 v[160:163], v1 offset:1616
	v_fma_f64 v[4:5], v[144:145], v[80:81], -v[4:5]
	v_fmac_f64_e32 v[116:117], v[146:147], v[80:81]
	v_add_f64 v[2:3], v[2:3], v[4:5]
	s_waitcnt vmcnt(50) lgkmcnt(3)
	v_mul_f64 v[4:5], v[150:151], v[90:91]
	v_add_f64 v[110:111], v[110:111], v[116:117]
	v_mul_f64 v[116:117], v[148:149], v[90:91]
	s_waitcnt vmcnt(48)
	;; [unrolled: 17-line block ×7, first 2 shown]
	v_fma_f64 v[4:5], v[188:189], v[216:217], -v[4:5]
	v_fmac_f64_e32 v[116:117], v[190:191], v[216:217]
	v_add_f64 v[2:3], v[2:3], v[4:5]
	s_waitcnt lgkmcnt(2)
	v_mul_f64 v[4:5], v[194:195], v[210:211]
	v_add_f64 v[110:111], v[110:111], v[116:117]
	v_mul_f64 v[116:117], v[192:193], v[210:211]
	v_fma_f64 v[4:5], v[192:193], v[212:213], -v[4:5]
	v_fmac_f64_e32 v[116:117], v[194:195], v[212:213]
	v_add_f64 v[2:3], v[2:3], v[4:5]
	s_waitcnt vmcnt(2) lgkmcnt(1)
	v_mul_f64 v[4:5], v[198:199], v[222:223]
	v_add_f64 v[110:111], v[110:111], v[116:117]
	v_mul_f64 v[116:117], v[196:197], v[222:223]
	s_waitcnt vmcnt(0)
	v_fma_f64 v[4:5], v[196:197], v[224:225], -v[4:5]
	v_fmac_f64_e32 v[116:117], v[198:199], v[224:225]
	v_add_f64 v[2:3], v[2:3], v[4:5]
	s_waitcnt lgkmcnt(0)
	v_mul_f64 v[4:5], v[202:203], v[218:219]
	v_add_f64 v[110:111], v[110:111], v[116:117]
	v_mul_f64 v[116:117], v[200:201], v[218:219]
	v_fma_f64 v[4:5], v[200:201], v[220:221], -v[4:5]
	v_fmac_f64_e32 v[116:117], v[202:203], v[220:221]
	v_add_f64 v[2:3], v[2:3], v[4:5]
	v_add_f64 v[110:111], v[110:111], v[116:117]
	v_add_f64 v[2:3], v[46:47], -v[2:3]
	v_add_f64 v[4:5], v[44:45], -v[110:111]
	buffer_store_dword v3, off, s[0:3], 0 offset:468
	buffer_store_dword v2, off, s[0:3], 0 offset:464
	;; [unrolled: 1-line block ×4, first 2 shown]
	s_and_saveexec_b64 s[4:5], vcc
	s_cbranch_execz .LBB119_295
; %bb.294:
	v_accvgpr_read_b32 v5, a140
	buffer_load_dword v2, v5, s[0:3], 0 offen
	buffer_load_dword v3, v5, s[0:3], 0 offen offset:4
	buffer_load_dword v4, v5, s[0:3], 0 offen offset:8
	s_nop 0
	buffer_load_dword v5, v5, s[0:3], 0 offen offset:12
	v_accvgpr_read_b32 v6, a167
	buffer_store_dword v1, off, s[0:3], 0 offset:448
	buffer_store_dword v1, off, s[0:3], 0 offset:452
	;; [unrolled: 1-line block ×4, first 2 shown]
	s_waitcnt vmcnt(4)
	ds_write_b128 v6, v[2:5]
.LBB119_295:
	s_or_b64 exec, exec, s[4:5]
	s_waitcnt lgkmcnt(0)
	; wave barrier
	s_waitcnt lgkmcnt(0)
	buffer_load_dword v34, off, s[0:3], 0 offset:464
	buffer_load_dword v35, off, s[0:3], 0 offset:468
	;; [unrolled: 1-line block ×32, first 2 shown]
	ds_read_b128 v[30:33], v1 offset:1344
	ds_read_b128 v[26:29], v1 offset:1360
	;; [unrolled: 1-line block ×8, first 2 shown]
	buffer_load_dword v67, off, s[0:3], 0 offset:604
	buffer_load_dword v66, off, s[0:3], 0 offset:600
	;; [unrolled: 1-line block ×24, first 2 shown]
	v_cmp_lt_u32_e32 vcc, 26, v0
	s_waitcnt vmcnt(52) lgkmcnt(7)
	v_mul_f64 v[90:91], v[30:31], v[38:39]
	v_fmac_f64_e32 v[90:91], v[32:33], v[34:35]
	v_add_f64 v[90:91], v[90:91], 0
	v_mul_f64 v[32:33], v[32:33], v[38:39]
	s_waitcnt vmcnt(48) lgkmcnt(6)
	v_mul_f64 v[92:93], v[26:27], v[40:41]
	v_fmac_f64_e32 v[92:93], v[28:29], v[36:37]
	s_waitcnt vmcnt(46) lgkmcnt(5)
	v_mul_f64 v[94:95], v[22:23], v[42:43]
	v_add_f64 v[90:91], v[90:91], v[92:93]
	s_waitcnt vmcnt(44) lgkmcnt(4)
	v_mul_f64 v[96:97], v[18:19], v[48:49]
	v_fma_f64 v[30:31], v[30:31], v[34:35], -v[32:33]
	s_waitcnt vmcnt(42) lgkmcnt(1)
	v_mul_f64 v[122:123], v[2:3], v[50:51]
	v_mul_f64 v[28:29], v[28:29], v[40:41]
	s_waitcnt vmcnt(18) lgkmcnt(0)
	v_mul_f64 v[136:137], v[14:15], v[70:71]
	v_mul_f64 v[100:101], v[6:7], v[54:55]
	s_waitcnt vmcnt(16)
	v_fmac_f64_e32 v[136:137], v[16:17], v[72:73]
	v_mul_f64 v[98:99], v[10:11], v[56:57]
	v_add_f64 v[30:31], v[30:31], 0
	v_fmac_f64_e32 v[98:99], v[12:13], v[58:59]
	v_fma_f64 v[26:27], v[26:27], v[36:37], -v[28:29]
	v_fmac_f64_e32 v[94:95], v[24:25], v[64:65]
	v_add_f64 v[90:91], v[90:91], v[94:95]
	v_fmac_f64_e32 v[96:97], v[20:21], v[62:63]
	v_add_f64 v[90:91], v[90:91], v[96:97]
	;; [unrolled: 2-line block ×3, first 2 shown]
	v_add_f64 v[124:125], v[90:91], v[100:101]
	buffer_load_dword v91, off, s[0:3], 0 offset:700
	buffer_load_dword v90, off, s[0:3], 0 offset:696
	;; [unrolled: 1-line block ×56, first 2 shown]
	v_fmac_f64_e32 v[122:123], v[4:5], v[52:53]
	v_add_f64 v[134:135], v[124:125], v[122:123]
	ds_read_b128 v[122:125], v1 offset:1472
	buffer_load_dword v227, off, s[0:3], 0 offset:908
	buffer_load_dword v226, off, s[0:3], 0 offset:904
	;; [unrolled: 1-line block ×4, first 2 shown]
	v_add_f64 v[138:139], v[134:135], v[136:137]
	ds_read_b128 v[134:137], v1 offset:1488
	v_mul_f64 v[24:25], v[24:25], v[42:43]
	s_waitcnt lgkmcnt(1)
	v_mul_f64 v[140:141], v[122:123], v[66:67]
	v_fmac_f64_e32 v[140:141], v[124:125], v[68:69]
	v_add_f64 v[142:143], v[138:139], v[140:141]
	ds_read_b128 v[138:141], v1 offset:1504
	s_waitcnt vmcnt(62) lgkmcnt(1)
	v_mul_f64 v[144:145], v[134:135], v[78:79]
	v_fmac_f64_e32 v[144:145], v[136:137], v[80:81]
	v_add_f64 v[146:147], v[142:143], v[144:145]
	ds_read_b128 v[142:145], v1 offset:1520
	s_waitcnt lgkmcnt(1)
	v_mul_f64 v[148:149], v[138:139], v[74:75]
	v_fmac_f64_e32 v[148:149], v[140:141], v[76:77]
	v_add_f64 v[150:151], v[146:147], v[148:149]
	ds_read_b128 v[146:149], v1 offset:1536
	s_waitcnt lgkmcnt(1)
	v_mul_f64 v[152:153], v[142:143], v[86:87]
	s_waitcnt vmcnt(60)
	v_fmac_f64_e32 v[152:153], v[144:145], v[88:89]
	v_add_f64 v[154:155], v[150:151], v[152:153]
	ds_read_b128 v[150:153], v1 offset:1552
	s_waitcnt lgkmcnt(1)
	v_mul_f64 v[156:157], v[146:147], v[82:83]
	v_fmac_f64_e32 v[156:157], v[148:149], v[84:85]
	v_add_f64 v[158:159], v[154:155], v[156:157]
	ds_read_b128 v[154:157], v1 offset:1568
	v_add_f64 v[26:27], v[30:31], v[26:27]
	v_fma_f64 v[22:23], v[22:23], v[64:65], -v[24:25]
	s_waitcnt vmcnt(54) lgkmcnt(1)
	v_mul_f64 v[160:161], v[150:151], v[94:95]
	v_mul_f64 v[20:21], v[20:21], v[48:49]
	s_waitcnt vmcnt(52)
	v_fmac_f64_e32 v[160:161], v[152:153], v[96:97]
	v_add_f64 v[162:163], v[158:159], v[160:161]
	ds_read_b128 v[158:161], v1 offset:1584
	s_waitcnt lgkmcnt(1)
	v_mul_f64 v[164:165], v[154:155], v[90:91]
	v_fmac_f64_e32 v[164:165], v[156:157], v[92:93]
	v_add_f64 v[22:23], v[26:27], v[22:23]
	v_fma_f64 v[18:19], v[18:19], v[62:63], -v[20:21]
	v_mul_f64 v[12:13], v[12:13], v[56:57]
	v_add_f64 v[166:167], v[162:163], v[164:165]
	ds_read_b128 v[162:165], v1 offset:1600
	v_add_f64 v[18:19], v[22:23], v[18:19]
	v_fma_f64 v[10:11], v[10:11], v[58:59], -v[12:13]
	v_mul_f64 v[8:9], v[8:9], v[54:55]
	v_add_f64 v[10:11], v[18:19], v[10:11]
	v_fma_f64 v[6:7], v[6:7], v[60:61], -v[8:9]
	v_mul_f64 v[4:5], v[4:5], v[50:51]
	;; [unrolled: 3-line block ×3, first 2 shown]
	s_waitcnt vmcnt(46) lgkmcnt(1)
	v_mul_f64 v[168:169], v[158:159], v[102:103]
	v_add_f64 v[2:3], v[6:7], v[2:3]
	v_fma_f64 v[4:5], v[14:15], v[72:73], -v[4:5]
	s_waitcnt vmcnt(44)
	v_fmac_f64_e32 v[168:169], v[160:161], v[104:105]
	v_add_f64 v[2:3], v[2:3], v[4:5]
	v_mul_f64 v[4:5], v[124:125], v[66:67]
	v_add_f64 v[170:171], v[166:167], v[168:169]
	ds_read_b128 v[166:169], v1 offset:1616
	s_waitcnt lgkmcnt(1)
	v_mul_f64 v[172:173], v[162:163], v[98:99]
	v_fma_f64 v[4:5], v[122:123], v[68:69], -v[4:5]
	v_fmac_f64_e32 v[172:173], v[164:165], v[100:101]
	v_add_f64 v[2:3], v[2:3], v[4:5]
	v_mul_f64 v[4:5], v[136:137], v[78:79]
	v_add_f64 v[174:175], v[170:171], v[172:173]
	ds_read_b128 v[170:173], v1 offset:1632
	v_fma_f64 v[4:5], v[134:135], v[80:81], -v[4:5]
	v_add_f64 v[2:3], v[2:3], v[4:5]
	v_mul_f64 v[4:5], v[140:141], v[74:75]
	v_fma_f64 v[4:5], v[138:139], v[76:77], -v[4:5]
	s_waitcnt vmcnt(38) lgkmcnt(1)
	v_mul_f64 v[176:177], v[166:167], v[110:111]
	v_add_f64 v[2:3], v[2:3], v[4:5]
	v_mul_f64 v[4:5], v[144:145], v[86:87]
	s_waitcnt vmcnt(36)
	v_fmac_f64_e32 v[176:177], v[168:169], v[112:113]
	v_fma_f64 v[4:5], v[142:143], v[88:89], -v[4:5]
	v_add_f64 v[178:179], v[174:175], v[176:177]
	ds_read_b128 v[174:177], v1 offset:1648
	s_waitcnt lgkmcnt(1)
	v_mul_f64 v[180:181], v[170:171], v[106:107]
	v_add_f64 v[2:3], v[2:3], v[4:5]
	v_mul_f64 v[4:5], v[148:149], v[82:83]
	v_fmac_f64_e32 v[180:181], v[172:173], v[108:109]
	v_fma_f64 v[4:5], v[146:147], v[84:85], -v[4:5]
	v_add_f64 v[182:183], v[178:179], v[180:181]
	ds_read_b128 v[178:181], v1 offset:1664
	v_add_f64 v[2:3], v[2:3], v[4:5]
	v_mul_f64 v[4:5], v[152:153], v[94:95]
	v_fma_f64 v[4:5], v[150:151], v[96:97], -v[4:5]
	v_add_f64 v[2:3], v[2:3], v[4:5]
	v_mul_f64 v[4:5], v[156:157], v[90:91]
	s_waitcnt vmcnt(30) lgkmcnt(1)
	v_mul_f64 v[184:185], v[174:175], v[118:119]
	v_fma_f64 v[4:5], v[154:155], v[92:93], -v[4:5]
	s_waitcnt vmcnt(28)
	v_fmac_f64_e32 v[184:185], v[176:177], v[120:121]
	v_add_f64 v[2:3], v[2:3], v[4:5]
	v_mul_f64 v[4:5], v[160:161], v[102:103]
	v_add_f64 v[186:187], v[182:183], v[184:185]
	ds_read_b128 v[182:185], v1 offset:1680
	s_waitcnt lgkmcnt(1)
	v_mul_f64 v[188:189], v[178:179], v[114:115]
	v_fma_f64 v[4:5], v[158:159], v[104:105], -v[4:5]
	v_fmac_f64_e32 v[188:189], v[180:181], v[116:117]
	v_add_f64 v[2:3], v[2:3], v[4:5]
	v_mul_f64 v[4:5], v[164:165], v[98:99]
	v_add_f64 v[190:191], v[186:187], v[188:189]
	ds_read_b128 v[186:189], v1 offset:1696
	v_fma_f64 v[4:5], v[162:163], v[100:101], -v[4:5]
	v_add_f64 v[2:3], v[2:3], v[4:5]
	v_mul_f64 v[4:5], v[168:169], v[110:111]
	v_fma_f64 v[4:5], v[166:167], v[112:113], -v[4:5]
	s_waitcnt vmcnt(22) lgkmcnt(1)
	v_mul_f64 v[192:193], v[182:183], v[130:131]
	v_add_f64 v[2:3], v[2:3], v[4:5]
	v_mul_f64 v[4:5], v[172:173], v[106:107]
	s_waitcnt vmcnt(20)
	v_fmac_f64_e32 v[192:193], v[184:185], v[132:133]
	v_fma_f64 v[4:5], v[170:171], v[108:109], -v[4:5]
	v_add_f64 v[194:195], v[190:191], v[192:193]
	ds_read_b128 v[190:193], v1 offset:1712
	s_waitcnt lgkmcnt(1)
	v_mul_f64 v[196:197], v[186:187], v[126:127]
	v_add_f64 v[2:3], v[2:3], v[4:5]
	v_mul_f64 v[4:5], v[176:177], v[118:119]
	v_fmac_f64_e32 v[196:197], v[188:189], v[128:129]
	v_fma_f64 v[4:5], v[174:175], v[120:121], -v[4:5]
	v_add_f64 v[198:199], v[194:195], v[196:197]
	ds_read_b128 v[194:197], v1 offset:1728
	v_add_f64 v[2:3], v[2:3], v[4:5]
	v_mul_f64 v[4:5], v[180:181], v[114:115]
	v_fma_f64 v[4:5], v[178:179], v[116:117], -v[4:5]
	v_add_f64 v[2:3], v[2:3], v[4:5]
	v_mul_f64 v[4:5], v[184:185], v[130:131]
	s_waitcnt vmcnt(14) lgkmcnt(1)
	v_mul_f64 v[200:201], v[190:191], v[214:215]
	v_fma_f64 v[4:5], v[182:183], v[132:133], -v[4:5]
	s_waitcnt vmcnt(12)
	v_fmac_f64_e32 v[200:201], v[192:193], v[216:217]
	v_add_f64 v[2:3], v[2:3], v[4:5]
	v_mul_f64 v[4:5], v[188:189], v[126:127]
	v_add_f64 v[202:203], v[198:199], v[200:201]
	ds_read_b128 v[198:201], v1 offset:1744
	s_waitcnt lgkmcnt(1)
	v_mul_f64 v[204:205], v[194:195], v[210:211]
	v_fma_f64 v[4:5], v[186:187], v[128:129], -v[4:5]
	v_fmac_f64_e32 v[204:205], v[196:197], v[212:213]
	v_add_f64 v[2:3], v[2:3], v[4:5]
	v_mul_f64 v[4:5], v[192:193], v[214:215]
	v_add_f64 v[230:231], v[202:203], v[204:205]
	ds_read_b128 v[202:205], v1 offset:1760
	v_fma_f64 v[4:5], v[190:191], v[216:217], -v[4:5]
	v_add_f64 v[2:3], v[2:3], v[4:5]
	v_mul_f64 v[4:5], v[196:197], v[210:211]
	ds_read_b128 v[206:209], v1 offset:1776
	v_fma_f64 v[4:5], v[194:195], v[212:213], -v[4:5]
	v_add_f64 v[2:3], v[2:3], v[4:5]
	s_waitcnt vmcnt(6) lgkmcnt(2)
	v_mul_f64 v[4:5], v[200:201], v[222:223]
	v_mul_f64 v[232:233], v[198:199], v[222:223]
	s_waitcnt vmcnt(4)
	v_fma_f64 v[4:5], v[198:199], v[224:225], -v[4:5]
	v_fmac_f64_e32 v[232:233], v[200:201], v[224:225]
	v_add_f64 v[2:3], v[2:3], v[4:5]
	s_waitcnt lgkmcnt(1)
	v_mul_f64 v[4:5], v[204:205], v[218:219]
	v_add_f64 v[230:231], v[230:231], v[232:233]
	v_mul_f64 v[232:233], v[202:203], v[218:219]
	v_fma_f64 v[4:5], v[202:203], v[220:221], -v[4:5]
	v_fmac_f64_e32 v[232:233], v[204:205], v[220:221]
	v_add_f64 v[2:3], v[2:3], v[4:5]
	s_waitcnt vmcnt(2) lgkmcnt(0)
	v_mul_f64 v[4:5], v[208:209], v[226:227]
	v_add_f64 v[230:231], v[230:231], v[232:233]
	v_mul_f64 v[232:233], v[206:207], v[226:227]
	s_waitcnt vmcnt(0)
	v_fma_f64 v[4:5], v[206:207], v[228:229], -v[4:5]
	v_fmac_f64_e32 v[232:233], v[208:209], v[228:229]
	v_add_f64 v[2:3], v[2:3], v[4:5]
	v_add_f64 v[230:231], v[230:231], v[232:233]
	v_add_f64 v[2:3], v[46:47], -v[2:3]
	v_add_f64 v[4:5], v[44:45], -v[230:231]
	buffer_store_dword v3, off, s[0:3], 0 offset:452
	buffer_store_dword v2, off, s[0:3], 0 offset:448
	;; [unrolled: 1-line block ×4, first 2 shown]
	s_and_saveexec_b64 s[4:5], vcc
	s_cbranch_execz .LBB119_297
; %bb.296:
	v_accvgpr_read_b32 v1, a141
	buffer_load_dword v2, v1, s[0:3], 0 offen
	buffer_load_dword v3, v1, s[0:3], 0 offen offset:4
	buffer_load_dword v4, v1, s[0:3], 0 offen offset:8
	buffer_load_dword v5, v1, s[0:3], 0 offen offset:12
	v_mov_b32_e32 v1, 0
	v_accvgpr_read_b32 v6, a167
	buffer_store_dword v1, off, s[0:3], 0 offset:432
	buffer_store_dword v1, off, s[0:3], 0 offset:436
	;; [unrolled: 1-line block ×4, first 2 shown]
	s_waitcnt vmcnt(4)
	ds_write_b128 v6, v[2:5]
.LBB119_297:
	s_or_b64 exec, exec, s[4:5]
	s_waitcnt lgkmcnt(0)
	; wave barrier
	s_waitcnt lgkmcnt(0)
	buffer_load_dword v38, off, s[0:3], 0 offset:448
	buffer_load_dword v39, off, s[0:3], 0 offset:452
	;; [unrolled: 1-line block ×48, first 2 shown]
	v_mov_b32_e32 v1, 0
	ds_read_b128 v[34:37], v1 offset:1328
	ds_read_b128 v[30:33], v1 offset:1344
	;; [unrolled: 1-line block ×9, first 2 shown]
	v_cmp_lt_u32_e32 vcc, 25, v0
	s_waitcnt vmcnt(44) lgkmcnt(8)
	v_mul_f64 v[86:87], v[34:35], v[42:43]
	v_fmac_f64_e32 v[86:87], v[36:37], v[38:39]
	v_add_f64 v[86:87], v[86:87], 0
	v_mul_f64 v[36:37], v[36:37], v[42:43]
	s_waitcnt vmcnt(40) lgkmcnt(7)
	v_mul_f64 v[88:89], v[30:31], v[44:45]
	v_fmac_f64_e32 v[88:89], v[32:33], v[40:41]
	s_waitcnt vmcnt(38) lgkmcnt(6)
	v_mul_f64 v[90:91], v[26:27], v[46:47]
	v_add_f64 v[86:87], v[86:87], v[88:89]
	s_waitcnt vmcnt(36) lgkmcnt(4)
	v_mul_f64 v[94:95], v[18:19], v[48:49]
	v_fma_f64 v[34:35], v[34:35], v[38:39], -v[36:37]
	s_waitcnt vmcnt(34)
	v_fmac_f64_e32 v[94:95], v[20:21], v[50:51]
	v_mul_f64 v[32:33], v[32:33], v[44:45]
	s_waitcnt vmcnt(32)
	v_mul_f64 v[92:93], v[22:23], v[52:53]
	v_add_f64 v[34:35], v[34:35], 0
	s_waitcnt vmcnt(30) lgkmcnt(2)
	v_mul_f64 v[98:99], v[10:11], v[54:55]
	v_fma_f64 v[30:31], v[30:31], v[40:41], -v[32:33]
	s_waitcnt vmcnt(28)
	v_fmac_f64_e32 v[98:99], v[12:13], v[56:57]
	v_add_f64 v[30:31], v[34:35], v[30:31]
	s_waitcnt vmcnt(26)
	v_mul_f64 v[96:97], v[14:15], v[58:59]
	v_mul_f64 v[20:21], v[20:21], v[48:49]
	v_fma_f64 v[18:19], v[18:19], v[50:51], -v[20:21]
	v_mul_f64 v[12:13], v[12:13], v[54:55]
	s_waitcnt vmcnt(22) lgkmcnt(1)
	v_mul_f64 v[110:111], v[6:7], v[68:69]
	v_fma_f64 v[10:11], v[10:11], v[56:57], -v[12:13]
	s_waitcnt vmcnt(20)
	v_fmac_f64_e32 v[90:91], v[28:29], v[76:77]
	v_add_f64 v[86:87], v[86:87], v[90:91]
	s_waitcnt vmcnt(18)
	v_fmac_f64_e32 v[92:93], v[24:25], v[74:75]
	v_add_f64 v[86:87], v[86:87], v[92:93]
	;; [unrolled: 3-line block ×3, first 2 shown]
	v_add_f64 v[86:87], v[86:87], v[96:97]
	v_add_f64 v[112:113], v[86:87], v[98:99]
	buffer_load_dword v87, off, s[0:3], 0 offset:652
	buffer_load_dword v86, off, s[0:3], 0 offset:648
	;; [unrolled: 1-line block ×72, first 2 shown]
	s_waitcnt vmcnt(62)
	v_fmac_f64_e32 v[110:111], v[8:9], v[70:71]
	v_add_f64 v[142:143], v[112:113], v[110:111]
	ds_read_b128 v[110:113], v1 offset:1472
	s_waitcnt lgkmcnt(1)
	v_mul_f64 v[144:145], v[2:3], v[64:65]
	v_fmac_f64_e32 v[144:145], v[4:5], v[66:67]
	v_add_f64 v[146:147], v[142:143], v[144:145]
	ds_read_b128 v[142:145], v1 offset:1488
	s_waitcnt lgkmcnt(1)
	v_mul_f64 v[148:149], v[110:111], v[82:83]
	;; [unrolled: 5-line block ×5, first 2 shown]
	v_fmac_f64_e32 v[160:161], v[152:153], v[88:89]
	v_add_f64 v[162:163], v[158:159], v[160:161]
	ds_read_b128 v[158:161], v1 offset:1552
	s_waitcnt vmcnt(58) lgkmcnt(1)
	v_mul_f64 v[164:165], v[154:155], v[98:99]
	s_waitcnt vmcnt(56)
	v_fmac_f64_e32 v[164:165], v[156:157], v[100:101]
	v_add_f64 v[166:167], v[162:163], v[164:165]
	ds_read_b128 v[162:165], v1 offset:1568
	s_waitcnt lgkmcnt(1)
	v_mul_f64 v[168:169], v[158:159], v[94:95]
	v_fmac_f64_e32 v[168:169], v[160:161], v[96:97]
	v_mul_f64 v[28:29], v[28:29], v[46:47]
	v_add_f64 v[170:171], v[166:167], v[168:169]
	ds_read_b128 v[166:169], v1 offset:1584
	s_waitcnt vmcnt(50) lgkmcnt(1)
	v_mul_f64 v[172:173], v[162:163], v[106:107]
	v_fma_f64 v[26:27], v[26:27], v[76:77], -v[28:29]
	v_mul_f64 v[24:25], v[24:25], v[52:53]
	s_waitcnt vmcnt(48)
	v_fmac_f64_e32 v[172:173], v[164:165], v[108:109]
	v_add_f64 v[26:27], v[30:31], v[26:27]
	v_fma_f64 v[22:23], v[22:23], v[74:75], -v[24:25]
	v_add_f64 v[174:175], v[170:171], v[172:173]
	ds_read_b128 v[170:173], v1 offset:1600
	v_add_f64 v[22:23], v[26:27], v[22:23]
	v_mul_f64 v[16:17], v[16:17], v[58:59]
	v_add_f64 v[18:19], v[22:23], v[18:19]
	v_fma_f64 v[14:15], v[14:15], v[72:73], -v[16:17]
	v_add_f64 v[14:15], v[18:19], v[14:15]
	v_mul_f64 v[8:9], v[8:9], v[68:69]
	s_waitcnt lgkmcnt(1)
	v_mul_f64 v[176:177], v[166:167], v[102:103]
	v_add_f64 v[10:11], v[14:15], v[10:11]
	v_fma_f64 v[6:7], v[6:7], v[70:71], -v[8:9]
	v_mul_f64 v[4:5], v[4:5], v[64:65]
	v_fmac_f64_e32 v[176:177], v[168:169], v[104:105]
	v_add_f64 v[6:7], v[10:11], v[6:7]
	v_fma_f64 v[2:3], v[2:3], v[66:67], -v[4:5]
	v_mul_f64 v[4:5], v[112:113], v[82:83]
	v_add_f64 v[178:179], v[174:175], v[176:177]
	ds_read_b128 v[174:177], v1 offset:1616
	s_waitcnt vmcnt(42) lgkmcnt(1)
	v_mul_f64 v[180:181], v[170:171], v[118:119]
	v_add_f64 v[2:3], v[6:7], v[2:3]
	v_fma_f64 v[4:5], v[110:111], v[84:85], -v[4:5]
	s_waitcnt vmcnt(40)
	v_fmac_f64_e32 v[180:181], v[172:173], v[120:121]
	v_add_f64 v[2:3], v[2:3], v[4:5]
	v_mul_f64 v[4:5], v[144:145], v[78:79]
	v_add_f64 v[182:183], v[178:179], v[180:181]
	ds_read_b128 v[178:181], v1 offset:1632
	v_fma_f64 v[4:5], v[142:143], v[80:81], -v[4:5]
	v_add_f64 v[2:3], v[2:3], v[4:5]
	v_mul_f64 v[4:5], v[148:149], v[90:91]
	v_fma_f64 v[4:5], v[146:147], v[92:93], -v[4:5]
	s_waitcnt lgkmcnt(1)
	v_mul_f64 v[184:185], v[174:175], v[114:115]
	v_add_f64 v[2:3], v[2:3], v[4:5]
	v_mul_f64 v[4:5], v[152:153], v[86:87]
	v_fmac_f64_e32 v[184:185], v[176:177], v[116:117]
	v_fma_f64 v[4:5], v[150:151], v[88:89], -v[4:5]
	v_add_f64 v[186:187], v[182:183], v[184:185]
	ds_read_b128 v[182:185], v1 offset:1648
	s_waitcnt vmcnt(34) lgkmcnt(1)
	v_mul_f64 v[188:189], v[178:179], v[126:127]
	v_add_f64 v[2:3], v[2:3], v[4:5]
	v_mul_f64 v[4:5], v[156:157], v[98:99]
	s_waitcnt vmcnt(32)
	v_fmac_f64_e32 v[188:189], v[180:181], v[128:129]
	v_fma_f64 v[4:5], v[154:155], v[100:101], -v[4:5]
	v_add_f64 v[190:191], v[186:187], v[188:189]
	ds_read_b128 v[186:189], v1 offset:1664
	v_add_f64 v[2:3], v[2:3], v[4:5]
	v_mul_f64 v[4:5], v[160:161], v[94:95]
	v_fma_f64 v[4:5], v[158:159], v[96:97], -v[4:5]
	v_add_f64 v[2:3], v[2:3], v[4:5]
	v_mul_f64 v[4:5], v[164:165], v[106:107]
	s_waitcnt lgkmcnt(1)
	v_mul_f64 v[192:193], v[182:183], v[122:123]
	v_fma_f64 v[4:5], v[162:163], v[108:109], -v[4:5]
	v_fmac_f64_e32 v[192:193], v[184:185], v[124:125]
	v_add_f64 v[2:3], v[2:3], v[4:5]
	v_mul_f64 v[4:5], v[168:169], v[102:103]
	v_add_f64 v[194:195], v[190:191], v[192:193]
	ds_read_b128 v[190:193], v1 offset:1680
	s_waitcnt vmcnt(26) lgkmcnt(1)
	v_mul_f64 v[196:197], v[186:187], v[134:135]
	v_fma_f64 v[4:5], v[166:167], v[104:105], -v[4:5]
	s_waitcnt vmcnt(24)
	v_fmac_f64_e32 v[196:197], v[188:189], v[136:137]
	v_add_f64 v[2:3], v[2:3], v[4:5]
	v_mul_f64 v[4:5], v[172:173], v[118:119]
	v_add_f64 v[198:199], v[194:195], v[196:197]
	ds_read_b128 v[194:197], v1 offset:1696
	v_fma_f64 v[4:5], v[170:171], v[120:121], -v[4:5]
	v_add_f64 v[2:3], v[2:3], v[4:5]
	v_mul_f64 v[4:5], v[176:177], v[114:115]
	v_fma_f64 v[4:5], v[174:175], v[116:117], -v[4:5]
	s_waitcnt lgkmcnt(1)
	v_mul_f64 v[200:201], v[190:191], v[130:131]
	v_add_f64 v[2:3], v[2:3], v[4:5]
	v_mul_f64 v[4:5], v[180:181], v[126:127]
	v_fmac_f64_e32 v[200:201], v[192:193], v[132:133]
	v_fma_f64 v[4:5], v[178:179], v[128:129], -v[4:5]
	v_add_f64 v[202:203], v[198:199], v[200:201]
	ds_read_b128 v[198:201], v1 offset:1712
	s_waitcnt vmcnt(18) lgkmcnt(1)
	v_mul_f64 v[204:205], v[194:195], v[218:219]
	v_add_f64 v[2:3], v[2:3], v[4:5]
	v_mul_f64 v[4:5], v[184:185], v[122:123]
	s_waitcnt vmcnt(16)
	v_fmac_f64_e32 v[204:205], v[196:197], v[220:221]
	v_fma_f64 v[4:5], v[182:183], v[124:125], -v[4:5]
	v_add_f64 v[206:207], v[202:203], v[204:205]
	ds_read_b128 v[202:205], v1 offset:1728
	v_add_f64 v[2:3], v[2:3], v[4:5]
	v_mul_f64 v[4:5], v[188:189], v[134:135]
	v_fma_f64 v[4:5], v[186:187], v[136:137], -v[4:5]
	v_add_f64 v[2:3], v[2:3], v[4:5]
	v_mul_f64 v[4:5], v[192:193], v[130:131]
	s_waitcnt lgkmcnt(1)
	v_mul_f64 v[208:209], v[198:199], v[138:139]
	v_fma_f64 v[4:5], v[190:191], v[132:133], -v[4:5]
	v_fmac_f64_e32 v[208:209], v[200:201], v[140:141]
	v_add_f64 v[2:3], v[2:3], v[4:5]
	v_mul_f64 v[4:5], v[196:197], v[218:219]
	v_add_f64 v[210:211], v[206:207], v[208:209]
	ds_read_b128 v[206:209], v1 offset:1744
	s_waitcnt vmcnt(10) lgkmcnt(1)
	v_mul_f64 v[212:213], v[202:203], v[226:227]
	v_fma_f64 v[4:5], v[194:195], v[220:221], -v[4:5]
	s_waitcnt vmcnt(8)
	v_fmac_f64_e32 v[212:213], v[204:205], v[228:229]
	v_add_f64 v[2:3], v[2:3], v[4:5]
	v_mul_f64 v[4:5], v[200:201], v[138:139]
	v_add_f64 v[238:239], v[210:211], v[212:213]
	ds_read_b128 v[210:213], v1 offset:1760
	ds_read_b128 v[214:217], v1 offset:1776
	v_fma_f64 v[4:5], v[198:199], v[140:141], -v[4:5]
	v_add_f64 v[2:3], v[2:3], v[4:5]
	v_mul_f64 v[4:5], v[204:205], v[226:227]
	v_fma_f64 v[4:5], v[202:203], v[228:229], -v[4:5]
	v_add_f64 v[2:3], v[2:3], v[4:5]
	s_waitcnt lgkmcnt(2)
	v_mul_f64 v[4:5], v[208:209], v[222:223]
	v_mul_f64 v[240:241], v[206:207], v[222:223]
	v_fma_f64 v[4:5], v[206:207], v[224:225], -v[4:5]
	v_fmac_f64_e32 v[240:241], v[208:209], v[224:225]
	v_add_f64 v[2:3], v[2:3], v[4:5]
	s_waitcnt vmcnt(2) lgkmcnt(1)
	v_mul_f64 v[4:5], v[212:213], v[234:235]
	v_add_f64 v[238:239], v[238:239], v[240:241]
	v_mul_f64 v[240:241], v[210:211], v[234:235]
	s_waitcnt vmcnt(0)
	v_fma_f64 v[4:5], v[210:211], v[236:237], -v[4:5]
	v_fmac_f64_e32 v[240:241], v[212:213], v[236:237]
	v_add_f64 v[2:3], v[2:3], v[4:5]
	s_waitcnt lgkmcnt(0)
	v_mul_f64 v[4:5], v[216:217], v[230:231]
	v_add_f64 v[238:239], v[238:239], v[240:241]
	v_mul_f64 v[240:241], v[214:215], v[230:231]
	v_fma_f64 v[4:5], v[214:215], v[232:233], -v[4:5]
	v_fmac_f64_e32 v[240:241], v[216:217], v[232:233]
	v_add_f64 v[2:3], v[2:3], v[4:5]
	v_add_f64 v[238:239], v[238:239], v[240:241]
	v_add_f64 v[2:3], v[62:63], -v[2:3]
	v_add_f64 v[4:5], v[60:61], -v[238:239]
	buffer_store_dword v3, off, s[0:3], 0 offset:436
	buffer_store_dword v2, off, s[0:3], 0 offset:432
	;; [unrolled: 1-line block ×4, first 2 shown]
	s_and_saveexec_b64 s[4:5], vcc
	s_cbranch_execz .LBB119_299
; %bb.298:
	v_accvgpr_read_b32 v5, a142
	buffer_load_dword v2, v5, s[0:3], 0 offen
	buffer_load_dword v3, v5, s[0:3], 0 offen offset:4
	buffer_load_dword v4, v5, s[0:3], 0 offen offset:8
	s_nop 0
	buffer_load_dword v5, v5, s[0:3], 0 offen offset:12
	v_accvgpr_read_b32 v6, a167
	buffer_store_dword v1, off, s[0:3], 0 offset:416
	buffer_store_dword v1, off, s[0:3], 0 offset:420
	;; [unrolled: 1-line block ×4, first 2 shown]
	s_waitcnt vmcnt(4)
	ds_write_b128 v6, v[2:5]
.LBB119_299:
	s_or_b64 exec, exec, s[4:5]
	s_waitcnt lgkmcnt(0)
	; wave barrier
	s_waitcnt lgkmcnt(0)
	buffer_load_dword v48, off, s[0:3], 0 offset:432
	buffer_load_dword v49, off, s[0:3], 0 offset:436
	;; [unrolled: 1-line block ×40, first 2 shown]
	ds_read_b128 v[38:41], v1 offset:1312
	ds_read_b128 v[34:37], v1 offset:1328
	ds_read_b128 v[30:33], v1 offset:1344
	ds_read_b128 v[26:29], v1 offset:1360
	ds_read_b128 v[22:25], v1 offset:1376
	ds_read_b128 v[18:21], v1 offset:1392
	ds_read_b128 v[10:13], v1 offset:1408
	ds_read_b128 v[6:9], v1 offset:1424
	ds_read_b128 v[2:5], v1 offset:1440
	ds_read_b128 v[14:17], v1 offset:1456
	buffer_load_dword v83, off, s[0:3], 0 offset:604
	buffer_load_dword v82, off, s[0:3], 0 offset:600
	buffer_load_dword v85, off, s[0:3], 0 offset:596
	buffer_load_dword v84, off, s[0:3], 0 offset:592
	buffer_load_dword v87, off, s[0:3], 0 offset:588
	buffer_load_dword v86, off, s[0:3], 0 offset:584
	buffer_load_dword v89, off, s[0:3], 0 offset:580
	buffer_load_dword v88, off, s[0:3], 0 offset:576
	v_cmp_lt_u32_e32 vcc, 24, v0
	s_waitcnt vmcnt(44) lgkmcnt(9)
	v_mul_f64 v[90:91], v[38:39], v[50:51]
	v_fmac_f64_e32 v[90:91], v[40:41], v[48:49]
	v_add_f64 v[90:91], v[90:91], 0
	v_mul_f64 v[40:41], v[40:41], v[50:51]
	s_waitcnt vmcnt(40) lgkmcnt(8)
	v_mul_f64 v[92:93], v[34:35], v[44:45]
	v_fmac_f64_e32 v[92:93], v[36:37], v[42:43]
	s_waitcnt vmcnt(38) lgkmcnt(7)
	v_mul_f64 v[94:95], v[30:31], v[46:47]
	v_add_f64 v[90:91], v[90:91], v[92:93]
	s_waitcnt vmcnt(36) lgkmcnt(5)
	v_mul_f64 v[98:99], v[22:23], v[52:53]
	v_mul_f64 v[36:37], v[36:37], v[44:45]
	s_waitcnt vmcnt(34)
	v_fmac_f64_e32 v[98:99], v[24:25], v[54:55]
	v_fma_f64 v[34:35], v[34:35], v[42:43], -v[36:37]
	s_waitcnt vmcnt(32)
	v_mul_f64 v[96:97], v[26:27], v[56:57]
	v_mul_f64 v[24:25], v[24:25], v[52:53]
	s_waitcnt vmcnt(30) lgkmcnt(4)
	v_mul_f64 v[100:101], v[18:19], v[62:63]
	v_fma_f64 v[22:23], v[22:23], v[54:55], -v[24:25]
	s_waitcnt vmcnt(28) lgkmcnt(1)
	v_mul_f64 v[122:123], v[2:3], v[64:65]
	s_waitcnt vmcnt(25)
	v_mul_f64 v[104:105], v[6:7], v[68:69]
	s_waitcnt vmcnt(23)
	;; [unrolled: 2-line block ×3, first 2 shown]
	v_fmac_f64_e32 v[102:103], v[12:13], v[72:73]
	v_mul_f64 v[12:13], v[12:13], v[70:71]
	s_waitcnt vmcnt(19)
	v_fmac_f64_e32 v[94:95], v[32:33], v[80:81]
	v_add_f64 v[90:91], v[90:91], v[94:95]
	s_waitcnt vmcnt(17)
	v_fmac_f64_e32 v[96:97], v[28:29], v[78:79]
	v_add_f64 v[90:91], v[90:91], v[96:97]
	;; [unrolled: 3-line block ×3, first 2 shown]
	v_add_f64 v[90:91], v[90:91], v[100:101]
	s_waitcnt vmcnt(13)
	v_fmac_f64_e32 v[104:105], v[8:9], v[74:75]
	v_add_f64 v[90:91], v[90:91], v[102:103]
	v_add_f64 v[124:125], v[90:91], v[104:105]
	buffer_load_dword v91, off, s[0:3], 0 offset:636
	buffer_load_dword v90, off, s[0:3], 0 offset:632
	;; [unrolled: 1-line block ×72, first 2 shown]
	s_waitcnt vmcnt(62)
	v_fmac_f64_e32 v[122:123], v[4:5], v[66:67]
	v_add_f64 v[150:151], v[124:125], v[122:123]
	ds_read_b128 v[122:125], v1 offset:1472
	s_waitcnt lgkmcnt(1)
	v_mul_f64 v[152:153], v[14:15], v[86:87]
	v_fmac_f64_e32 v[152:153], v[16:17], v[88:89]
	buffer_load_dword v235, off, s[0:3], 0 offset:908
	buffer_load_dword v234, off, s[0:3], 0 offset:904
	;; [unrolled: 1-line block ×4, first 2 shown]
	v_add_f64 v[154:155], v[150:151], v[152:153]
	s_waitcnt lgkmcnt(0)
	v_mul_f64 v[156:157], v[122:123], v[82:83]
	ds_read_b128 v[150:153], v1 offset:1488
	v_fmac_f64_e32 v[156:157], v[124:125], v[84:85]
	v_add_f64 v[158:159], v[154:155], v[156:157]
	ds_read_b128 v[154:157], v1 offset:1504
	v_mul_f64 v[32:33], v[32:33], v[46:47]
	s_waitcnt lgkmcnt(1)
	v_mul_f64 v[160:161], v[150:151], v[94:95]
	v_fma_f64 v[30:31], v[30:31], v[80:81], -v[32:33]
	v_fmac_f64_e32 v[160:161], v[152:153], v[96:97]
	s_waitcnt lgkmcnt(0)
	v_mul_f64 v[164:165], v[154:155], v[90:91]
	v_add_f64 v[162:163], v[158:159], v[160:161]
	ds_read_b128 v[158:161], v1 offset:1520
	v_fmac_f64_e32 v[164:165], v[156:157], v[92:93]
	v_add_f64 v[166:167], v[162:163], v[164:165]
	ds_read_b128 v[162:165], v1 offset:1536
	v_mul_f64 v[28:29], v[28:29], v[56:57]
	s_waitcnt vmcnt(62) lgkmcnt(1)
	v_mul_f64 v[168:169], v[158:159], v[102:103]
	s_waitcnt vmcnt(60)
	v_fmac_f64_e32 v[168:169], v[160:161], v[104:105]
	v_add_f64 v[170:171], v[166:167], v[168:169]
	s_waitcnt lgkmcnt(0)
	v_mul_f64 v[172:173], v[162:163], v[98:99]
	ds_read_b128 v[166:169], v1 offset:1552
	v_fmac_f64_e32 v[172:173], v[164:165], v[100:101]
	v_add_f64 v[174:175], v[170:171], v[172:173]
	ds_read_b128 v[170:173], v1 offset:1568
	v_fma_f64 v[26:27], v[26:27], v[78:79], -v[28:29]
	s_waitcnt vmcnt(54) lgkmcnt(1)
	v_mul_f64 v[176:177], v[166:167], v[110:111]
	s_waitcnt vmcnt(52)
	v_fmac_f64_e32 v[176:177], v[168:169], v[112:113]
	v_add_f64 v[178:179], v[174:175], v[176:177]
	s_waitcnt lgkmcnt(0)
	v_mul_f64 v[180:181], v[170:171], v[106:107]
	ds_read_b128 v[174:177], v1 offset:1584
	v_fmac_f64_e32 v[180:181], v[172:173], v[108:109]
	v_add_f64 v[182:183], v[178:179], v[180:181]
	ds_read_b128 v[178:181], v1 offset:1600
	v_mul_f64 v[20:21], v[20:21], v[62:63]
	s_waitcnt vmcnt(46) lgkmcnt(1)
	v_mul_f64 v[184:185], v[174:175], v[118:119]
	s_waitcnt vmcnt(44)
	v_fmac_f64_e32 v[184:185], v[176:177], v[120:121]
	v_add_f64 v[186:187], v[182:183], v[184:185]
	s_waitcnt lgkmcnt(0)
	v_mul_f64 v[188:189], v[178:179], v[114:115]
	ds_read_b128 v[182:185], v1 offset:1616
	v_fmac_f64_e32 v[188:189], v[180:181], v[116:117]
	v_add_f64 v[190:191], v[186:187], v[188:189]
	ds_read_b128 v[186:189], v1 offset:1632
	v_fma_f64 v[18:19], v[18:19], v[76:77], -v[20:21]
	s_waitcnt vmcnt(38) lgkmcnt(1)
	v_mul_f64 v[192:193], v[182:183], v[130:131]
	s_waitcnt vmcnt(36)
	v_fmac_f64_e32 v[192:193], v[184:185], v[132:133]
	v_add_f64 v[194:195], v[190:191], v[192:193]
	s_waitcnt lgkmcnt(0)
	v_mul_f64 v[196:197], v[186:187], v[126:127]
	ds_read_b128 v[190:193], v1 offset:1648
	v_fmac_f64_e32 v[196:197], v[188:189], v[128:129]
	v_add_f64 v[198:199], v[194:195], v[196:197]
	ds_read_b128 v[194:197], v1 offset:1664
	v_fma_f64 v[10:11], v[10:11], v[72:73], -v[12:13]
	s_waitcnt vmcnt(30) lgkmcnt(1)
	v_mul_f64 v[200:201], v[190:191], v[138:139]
	s_waitcnt vmcnt(28)
	v_fmac_f64_e32 v[200:201], v[192:193], v[140:141]
	v_add_f64 v[202:203], v[198:199], v[200:201]
	s_waitcnt lgkmcnt(0)
	v_mul_f64 v[204:205], v[194:195], v[134:135]
	ds_read_b128 v[198:201], v1 offset:1680
	v_fmac_f64_e32 v[204:205], v[196:197], v[136:137]
	v_add_f64 v[206:207], v[202:203], v[204:205]
	ds_read_b128 v[202:205], v1 offset:1696
	v_mul_f64 v[8:9], v[8:9], v[68:69]
	s_waitcnt vmcnt(22) lgkmcnt(1)
	v_mul_f64 v[208:209], v[198:199], v[146:147]
	s_waitcnt vmcnt(20)
	v_fmac_f64_e32 v[208:209], v[200:201], v[148:149]
	v_add_f64 v[210:211], v[206:207], v[208:209]
	s_waitcnt lgkmcnt(0)
	v_mul_f64 v[212:213], v[202:203], v[142:143]
	ds_read_b128 v[206:209], v1 offset:1712
	v_fmac_f64_e32 v[212:213], v[204:205], v[144:145]
	v_add_f64 v[214:215], v[210:211], v[212:213]
	ds_read_b128 v[210:213], v1 offset:1728
	v_fma_f64 v[6:7], v[6:7], v[74:75], -v[8:9]
	s_waitcnt vmcnt(14) lgkmcnt(1)
	v_mul_f64 v[216:217], v[206:207], v[222:223]
	s_waitcnt vmcnt(12)
	v_fmac_f64_e32 v[216:217], v[208:209], v[224:225]
	v_add_f64 v[238:239], v[214:215], v[216:217]
	s_waitcnt lgkmcnt(0)
	v_mul_f64 v[240:241], v[210:211], v[218:219]
	v_fmac_f64_e32 v[240:241], v[212:213], v[220:221]
	v_add_f64 v[238:239], v[238:239], v[240:241]
	v_fma_f64 v[240:241], v[38:39], v[48:49], -v[40:41]
	v_add_f64 v[240:241], v[240:241], 0
	v_add_f64 v[34:35], v[240:241], v[34:35]
	;; [unrolled: 1-line block ×7, first 2 shown]
	v_mul_f64 v[4:5], v[4:5], v[64:65]
	v_add_f64 v[6:7], v[10:11], v[6:7]
	v_fma_f64 v[2:3], v[2:3], v[66:67], -v[4:5]
	v_mul_f64 v[4:5], v[16:17], v[86:87]
	v_add_f64 v[2:3], v[6:7], v[2:3]
	v_fma_f64 v[4:5], v[14:15], v[88:89], -v[4:5]
	v_add_f64 v[2:3], v[2:3], v[4:5]
	v_mul_f64 v[4:5], v[124:125], v[82:83]
	v_fma_f64 v[4:5], v[122:123], v[84:85], -v[4:5]
	v_add_f64 v[2:3], v[2:3], v[4:5]
	v_mul_f64 v[4:5], v[152:153], v[94:95]
	;; [unrolled: 3-line block ×15, first 2 shown]
	ds_read_b128 v[214:217], v1 offset:1744
	ds_read_b128 v[38:41], v1 offset:1760
	v_fma_f64 v[4:5], v[202:203], v[144:145], -v[4:5]
	v_add_f64 v[2:3], v[2:3], v[4:5]
	v_mul_f64 v[4:5], v[208:209], v[222:223]
	v_fma_f64 v[4:5], v[206:207], v[224:225], -v[4:5]
	v_add_f64 v[2:3], v[2:3], v[4:5]
	v_mul_f64 v[4:5], v[212:213], v[218:219]
	ds_read_b128 v[48:51], v1 offset:1776
	v_fma_f64 v[4:5], v[210:211], v[220:221], -v[4:5]
	v_add_f64 v[2:3], v[2:3], v[4:5]
	s_waitcnt vmcnt(6) lgkmcnt(2)
	v_mul_f64 v[4:5], v[216:217], v[230:231]
	v_mul_f64 v[242:243], v[214:215], v[230:231]
	s_waitcnt vmcnt(4)
	v_fma_f64 v[4:5], v[214:215], v[232:233], -v[4:5]
	v_fmac_f64_e32 v[242:243], v[216:217], v[232:233]
	v_add_f64 v[2:3], v[2:3], v[4:5]
	s_waitcnt lgkmcnt(1)
	v_mul_f64 v[4:5], v[40:41], v[226:227]
	v_add_f64 v[238:239], v[238:239], v[242:243]
	v_mul_f64 v[242:243], v[38:39], v[226:227]
	v_fma_f64 v[4:5], v[38:39], v[228:229], -v[4:5]
	v_fmac_f64_e32 v[242:243], v[40:41], v[228:229]
	v_add_f64 v[2:3], v[2:3], v[4:5]
	s_waitcnt vmcnt(2) lgkmcnt(0)
	v_mul_f64 v[4:5], v[50:51], v[234:235]
	v_add_f64 v[238:239], v[238:239], v[242:243]
	v_mul_f64 v[242:243], v[48:49], v[234:235]
	s_waitcnt vmcnt(0)
	v_fma_f64 v[4:5], v[48:49], v[236:237], -v[4:5]
	v_fmac_f64_e32 v[242:243], v[50:51], v[236:237]
	v_add_f64 v[2:3], v[2:3], v[4:5]
	v_add_f64 v[238:239], v[238:239], v[242:243]
	v_add_f64 v[2:3], v[60:61], -v[2:3]
	v_add_f64 v[4:5], v[58:59], -v[238:239]
	buffer_store_dword v3, off, s[0:3], 0 offset:420
	buffer_store_dword v2, off, s[0:3], 0 offset:416
	;; [unrolled: 1-line block ×4, first 2 shown]
	s_and_saveexec_b64 s[4:5], vcc
	s_cbranch_execz .LBB119_301
; %bb.300:
	v_accvgpr_read_b32 v1, a143
	buffer_load_dword v2, v1, s[0:3], 0 offen
	buffer_load_dword v3, v1, s[0:3], 0 offen offset:4
	buffer_load_dword v4, v1, s[0:3], 0 offen offset:8
	;; [unrolled: 1-line block ×3, first 2 shown]
	v_mov_b32_e32 v1, 0
	v_accvgpr_read_b32 v6, a167
	buffer_store_dword v1, off, s[0:3], 0 offset:400
	buffer_store_dword v1, off, s[0:3], 0 offset:404
	buffer_store_dword v1, off, s[0:3], 0 offset:408
	buffer_store_dword v1, off, s[0:3], 0 offset:412
	s_waitcnt vmcnt(4)
	ds_write_b128 v6, v[2:5]
.LBB119_301:
	s_or_b64 exec, exec, s[4:5]
	s_waitcnt lgkmcnt(0)
	; wave barrier
	s_waitcnt lgkmcnt(0)
	buffer_load_dword v106, off, s[0:3], 0 offset:416
	buffer_load_dword v107, off, s[0:3], 0 offset:420
	;; [unrolled: 1-line block ×49, first 2 shown]
	v_mov_b32_e32 v1, 0
	ds_read_b128 v[110:113], v1 offset:1296
	ds_read_b128 v[250:253], v1 offset:1312
	;; [unrolled: 1-line block ×10, first 2 shown]
	buffer_load_dword v158, off, s[0:3], 0 offset:608
	buffer_load_dword v173, off, s[0:3], 0 offset:604
	;; [unrolled: 1-line block ×69, first 2 shown]
	v_cmp_lt_u32_e32 vcc, 23, v0
	s_waitcnt vmcnt(62) lgkmcnt(9)
	v_mul_f64 v[34:35], v[110:111], v[108:109]
	v_fmac_f64_e32 v[34:35], v[112:113], v[106:107]
	v_add_f64 v[34:35], v[34:35], 0
	v_mul_f64 v[108:109], v[112:113], v[108:109]
	s_waitcnt lgkmcnt(8)
	v_mul_f64 v[36:37], v[250:251], v[116:117]
	v_fmac_f64_e32 v[36:37], v[252:253], v[114:115]
	s_waitcnt lgkmcnt(7)
	v_mul_f64 v[38:39], v[30:31], v[118:119]
	v_add_f64 v[34:35], v[34:35], v[36:37]
	s_waitcnt lgkmcnt(5)
	v_mul_f64 v[42:43], v[22:23], v[120:121]
	v_mul_f64 v[116:117], v[252:253], v[116:117]
	v_fmac_f64_e32 v[42:43], v[24:25], v[122:123]
	v_fma_f64 v[248:249], v[110:111], v[106:107], -v[108:109]
	v_mul_f64 v[40:41], v[26:27], v[124:125]
	v_fma_f64 v[250:251], v[250:251], v[114:115], -v[116:117]
	s_waitcnt lgkmcnt(3)
	v_mul_f64 v[46:47], v[14:15], v[126:127]
	v_mul_f64 v[24:25], v[24:25], v[120:121]
	v_fmac_f64_e32 v[46:47], v[16:17], v[128:129]
	v_fma_f64 v[22:23], v[22:23], v[122:123], -v[24:25]
	v_mul_f64 v[44:45], v[18:19], v[130:131]
	v_mul_f64 v[16:17], v[16:17], v[126:127]
	s_waitcnt lgkmcnt(1)
	v_mul_f64 v[50:51], v[6:7], v[132:133]
	v_fma_f64 v[14:15], v[14:15], v[128:129], -v[16:17]
	v_fmac_f64_e32 v[50:51], v[8:9], v[134:135]
	v_mul_f64 v[8:9], v[8:9], v[132:133]
	v_mul_f64 v[48:49], v[10:11], v[140:141]
	v_fma_f64 v[6:7], v[6:7], v[134:135], -v[8:9]
	s_waitcnt lgkmcnt(0)
	v_mul_f64 v[52:53], v[2:3], v[136:137]
	v_fmac_f64_e32 v[38:39], v[32:33], v[152:153]
	v_add_f64 v[34:35], v[34:35], v[38:39]
	v_fmac_f64_e32 v[40:41], v[28:29], v[150:151]
	v_add_f64 v[34:35], v[34:35], v[40:41]
	;; [unrolled: 2-line block ×3, first 2 shown]
	v_add_f64 v[34:35], v[34:35], v[44:45]
	v_fmac_f64_e32 v[48:49], v[12:13], v[146:147]
	v_add_f64 v[34:35], v[34:35], v[46:47]
	v_add_f64 v[34:35], v[34:35], v[48:49]
	v_fmac_f64_e32 v[52:53], v[4:5], v[144:145]
	v_add_f64 v[34:35], v[34:35], v[50:51]
	v_add_f64 v[42:43], v[34:35], v[52:53]
	ds_read_b128 v[38:41], v1 offset:1456
	ds_read_b128 v[34:37], v1 offset:1472
	buffer_load_dword v231, off, s[0:3], 0 offset:908
	buffer_load_dword v230, off, s[0:3], 0 offset:904
	;; [unrolled: 1-line block ×8, first 2 shown]
	ds_read_b128 v[110:113], v1 offset:1744
	ds_read_b128 v[106:109], v1 offset:1760
	s_waitcnt lgkmcnt(3)
	v_mul_f64 v[44:45], v[38:39], v[142:143]
	v_fmac_f64_e32 v[44:45], v[40:41], v[154:155]
	v_add_f64 v[46:47], v[42:43], v[44:45]
	ds_read_b128 v[42:45], v1 offset:1488
	s_waitcnt lgkmcnt(3)
	v_mul_f64 v[48:49], v[34:35], v[172:173]
	v_fmac_f64_e32 v[48:49], v[36:37], v[176:177]
	v_add_f64 v[50:51], v[46:47], v[48:49]
	;; [unrolled: 5-line block ×3, first 2 shown]
	ds_read_b128 v[50:53], v1 offset:1520
	s_waitcnt vmcnt(62) lgkmcnt(1)
	v_mul_f64 v[56:57], v[46:47], v[180:181]
	v_fmac_f64_e32 v[56:57], v[48:49], v[184:185]
	v_add_f64 v[58:59], v[54:55], v[56:57]
	ds_read_b128 v[54:57], v1 offset:1536
	s_waitcnt lgkmcnt(1)
	v_mul_f64 v[60:61], v[50:51], v[160:161]
	v_fmac_f64_e32 v[60:61], v[52:53], v[162:163]
	v_add_f64 v[62:63], v[58:59], v[60:61]
	ds_read_b128 v[58:61], v1 offset:1552
	s_waitcnt vmcnt(58) lgkmcnt(1)
	v_mul_f64 v[64:65], v[54:55], v[188:189]
	s_waitcnt vmcnt(56)
	v_fmac_f64_e32 v[64:65], v[56:57], v[192:193]
	v_add_f64 v[66:67], v[62:63], v[64:65]
	ds_read_b128 v[62:65], v1 offset:1568
	s_waitcnt lgkmcnt(1)
	v_mul_f64 v[68:69], v[58:59], v[164:165]
	v_fmac_f64_e32 v[68:69], v[60:61], v[166:167]
	v_add_f64 v[70:71], v[66:67], v[68:69]
	ds_read_b128 v[66:69], v1 offset:1584
	s_waitcnt vmcnt(50) lgkmcnt(1)
	v_mul_f64 v[72:73], v[62:63], v[196:197]
	s_waitcnt vmcnt(48)
	;; [unrolled: 11-line block ×5, first 2 shown]
	v_fmac_f64_e32 v[96:97], v[88:89], v[218:219]
	v_add_f64 v[98:99], v[94:95], v[96:97]
	ds_read_b128 v[94:97], v1 offset:1696
	s_waitcnt lgkmcnt(1)
	v_mul_f64 v[100:101], v[90:91], v[190:191]
	v_fmac_f64_e32 v[100:101], v[92:93], v[194:195]
	v_add_f64 v[220:221], v[98:99], v[100:101]
	ds_read_b128 v[98:101], v1 offset:1712
	ds_read_b128 v[102:105], v1 offset:1728
	;; [unrolled: 1-line block ×3, first 2 shown]
	buffer_load_dword v252, off, s[0:3], 0 offset:408
	buffer_load_dword v253, off, s[0:3], 0 offset:412
	s_waitcnt vmcnt(20) lgkmcnt(3)
	v_mul_f64 v[222:223], v[94:95], v[232:233]
	s_waitcnt vmcnt(18)
	v_fmac_f64_e32 v[222:223], v[96:97], v[236:237]
	v_add_f64 v[220:221], v[220:221], v[222:223]
	s_waitcnt lgkmcnt(2)
	v_mul_f64 v[222:223], v[98:99], v[198:199]
	v_fmac_f64_e32 v[222:223], v[100:101], v[202:203]
	v_add_f64 v[220:221], v[220:221], v[222:223]
	s_waitcnt vmcnt(12) lgkmcnt(1)
	v_mul_f64 v[222:223], v[102:103], v[238:239]
	s_waitcnt vmcnt(10)
	v_fmac_f64_e32 v[222:223], v[104:105], v[240:241]
	v_add_f64 v[220:221], v[220:221], v[222:223]
	v_mul_f64 v[222:223], v[110:111], v[206:207]
	v_fmac_f64_e32 v[222:223], v[112:113], v[210:211]
	v_add_f64 v[220:221], v[220:221], v[222:223]
	s_waitcnt vmcnt(4)
	v_mul_f64 v[222:223], v[106:107], v[242:243]
	v_mul_f64 v[32:33], v[32:33], v[118:119]
	s_waitcnt vmcnt(2)
	v_fmac_f64_e32 v[222:223], v[108:109], v[244:245]
	v_add_f64 v[220:221], v[220:221], v[222:223]
	s_waitcnt lgkmcnt(0)
	v_mul_f64 v[222:223], v[114:115], v[230:231]
	v_fmac_f64_e32 v[222:223], v[116:117], v[234:235]
	v_add_f64 v[246:247], v[220:221], v[222:223]
	v_add_f64 v[220:221], v[248:249], 0
	;; [unrolled: 1-line block ×3, first 2 shown]
	v_fma_f64 v[30:31], v[30:31], v[152:153], -v[32:33]
	v_mul_f64 v[28:29], v[28:29], v[124:125]
	v_add_f64 v[30:31], v[220:221], v[30:31]
	v_fma_f64 v[26:27], v[26:27], v[150:151], -v[28:29]
	v_add_f64 v[26:27], v[30:31], v[26:27]
	v_mul_f64 v[20:21], v[20:21], v[130:131]
	v_add_f64 v[22:23], v[26:27], v[22:23]
	v_fma_f64 v[18:19], v[18:19], v[148:149], -v[20:21]
	v_add_f64 v[18:19], v[22:23], v[18:19]
	;; [unrolled: 4-line block ×3, first 2 shown]
	v_mul_f64 v[4:5], v[4:5], v[136:137]
	v_add_f64 v[6:7], v[10:11], v[6:7]
	v_fma_f64 v[2:3], v[2:3], v[144:145], -v[4:5]
	v_mul_f64 v[4:5], v[40:41], v[142:143]
	v_add_f64 v[2:3], v[6:7], v[2:3]
	v_fma_f64 v[4:5], v[38:39], v[154:155], -v[4:5]
	v_add_f64 v[2:3], v[2:3], v[4:5]
	v_mul_f64 v[4:5], v[36:37], v[172:173]
	v_fma_f64 v[4:5], v[34:35], v[176:177], -v[4:5]
	v_add_f64 v[2:3], v[2:3], v[4:5]
	v_mul_f64 v[4:5], v[44:45], v[156:157]
	;; [unrolled: 3-line block ×20, first 2 shown]
	v_fma_f64 v[4:5], v[114:115], v[234:235], -v[4:5]
	v_add_f64 v[2:3], v[2:3], v[4:5]
	v_add_f64 v[2:3], v[138:139], -v[2:3]
	s_waitcnt vmcnt(0)
	v_add_f64 v[4:5], v[252:253], -v[246:247]
	buffer_store_dword v3, off, s[0:3], 0 offset:404
	buffer_store_dword v2, off, s[0:3], 0 offset:400
	buffer_store_dword v5, off, s[0:3], 0 offset:412
	buffer_store_dword v4, off, s[0:3], 0 offset:408
	s_and_saveexec_b64 s[4:5], vcc
	s_cbranch_execz .LBB119_303
; %bb.302:
	v_accvgpr_read_b32 v5, a144
	buffer_load_dword v2, v5, s[0:3], 0 offen
	buffer_load_dword v3, v5, s[0:3], 0 offen offset:4
	buffer_load_dword v4, v5, s[0:3], 0 offen offset:8
	s_nop 0
	buffer_load_dword v5, v5, s[0:3], 0 offen offset:12
	v_accvgpr_read_b32 v6, a167
	buffer_store_dword v1, off, s[0:3], 0 offset:384
	buffer_store_dword v1, off, s[0:3], 0 offset:388
	;; [unrolled: 1-line block ×4, first 2 shown]
	s_waitcnt vmcnt(4)
	ds_write_b128 v6, v[2:5]
.LBB119_303:
	s_or_b64 exec, exec, s[4:5]
	s_waitcnt lgkmcnt(0)
	; wave barrier
	s_waitcnt lgkmcnt(0)
	buffer_load_dword v112, off, s[0:3], 0 offset:400
	buffer_load_dword v113, off, s[0:3], 0 offset:404
	;; [unrolled: 1-line block ×36, first 2 shown]
	ds_read_b128 v[102:105], v1 offset:1280
	ds_read_b128 v[106:109], v1 offset:1296
	;; [unrolled: 1-line block ×9, first 2 shown]
	buffer_load_dword v143, off, s[0:3], 0 offset:572
	buffer_load_dword v142, off, s[0:3], 0 offset:568
	;; [unrolled: 1-line block ×78, first 2 shown]
	v_cmp_lt_u32_e32 vcc, 22, v0
	s_waitcnt vmcnt(62) lgkmcnt(8)
	v_mul_f64 v[26:27], v[102:103], v[246:247]
	v_fmac_f64_e32 v[26:27], v[104:105], v[112:113]
	v_add_f64 v[26:27], v[26:27], 0
	v_mul_f64 v[104:105], v[104:105], v[246:247]
	s_waitcnt lgkmcnt(7)
	v_mul_f64 v[28:29], v[106:107], v[248:249]
	v_fmac_f64_e32 v[28:29], v[108:109], v[110:111]
	s_waitcnt lgkmcnt(6)
	v_mul_f64 v[30:31], v[114:115], v[244:245]
	v_add_f64 v[26:27], v[26:27], v[28:29]
	s_waitcnt lgkmcnt(4)
	v_mul_f64 v[34:35], v[18:19], v[118:119]
	v_fma_f64 v[246:247], v[102:103], v[112:113], -v[104:105]
	v_fmac_f64_e32 v[34:35], v[20:21], v[120:121]
	v_mul_f64 v[108:109], v[108:109], v[248:249]
	v_mul_f64 v[32:33], v[22:23], v[122:123]
	v_fma_f64 v[248:249], v[106:107], v[110:111], -v[108:109]
	s_waitcnt lgkmcnt(2)
	v_mul_f64 v[38:39], v[10:11], v[124:125]
	v_mul_f64 v[20:21], v[20:21], v[118:119]
	v_fmac_f64_e32 v[38:39], v[12:13], v[126:127]
	v_fma_f64 v[18:19], v[18:19], v[120:121], -v[20:21]
	v_mul_f64 v[36:37], v[14:15], v[130:131]
	v_mul_f64 v[12:13], v[12:13], v[124:125]
	s_waitcnt lgkmcnt(1)
	v_mul_f64 v[40:41], v[6:7], v[128:129]
	v_fma_f64 v[10:11], v[10:11], v[126:127], -v[12:13]
	v_fmac_f64_e32 v[30:31], v[116:117], v[250:251]
	v_add_f64 v[26:27], v[26:27], v[30:31]
	v_fmac_f64_e32 v[32:33], v[24:25], v[138:139]
	v_add_f64 v[26:27], v[26:27], v[32:33]
	;; [unrolled: 2-line block ×3, first 2 shown]
	v_add_f64 v[26:27], v[26:27], v[36:37]
	v_fmac_f64_e32 v[40:41], v[8:9], v[134:135]
	v_add_f64 v[30:31], v[26:27], v[38:39]
	v_add_f64 v[30:31], v[30:31], v[40:41]
	s_waitcnt lgkmcnt(0)
	v_mul_f64 v[32:33], v[2:3], v[132:133]
	v_fmac_f64_e32 v[32:33], v[4:5], v[140:141]
	ds_read_b128 v[26:29], v1 offset:1424
	v_add_f64 v[34:35], v[30:31], v[32:33]
	ds_read_b128 v[30:33], v1 offset:1440
	buffer_load_dword v231, off, s[0:3], 0 offset:836
	buffer_load_dword v230, off, s[0:3], 0 offset:832
	v_mul_f64 v[116:117], v[116:117], v[244:245]
	s_waitcnt lgkmcnt(1)
	v_mul_f64 v[36:37], v[26:27], v[146:147]
	v_fmac_f64_e32 v[36:37], v[28:29], v[148:149]
	v_add_f64 v[38:39], v[34:35], v[36:37]
	ds_read_b128 v[34:37], v1 offset:1456
	s_waitcnt lgkmcnt(1)
	v_mul_f64 v[40:41], v[30:31], v[142:143]
	v_fmac_f64_e32 v[40:41], v[32:33], v[144:145]
	v_add_f64 v[42:43], v[38:39], v[40:41]
	ds_read_b128 v[38:41], v1 offset:1472
	;; [unrolled: 5-line block ×4, first 2 shown]
	buffer_load_dword v233, off, s[0:3], 0 offset:892
	buffer_load_dword v235, off, s[0:3], 0 offset:876
	;; [unrolled: 1-line block ×12, first 2 shown]
	s_waitcnt vmcnt(62) lgkmcnt(1)
	v_mul_f64 v[52:53], v[42:43], v[174:175]
	v_fmac_f64_e32 v[52:53], v[44:45], v[178:179]
	v_add_f64 v[54:55], v[50:51], v[52:53]
	ds_read_b128 v[50:53], v1 offset:1520
	s_waitcnt lgkmcnt(1)
	v_mul_f64 v[56:57], v[46:47], v[154:155]
	v_fmac_f64_e32 v[56:57], v[48:49], v[156:157]
	v_add_f64 v[58:59], v[54:55], v[56:57]
	ds_read_b128 v[54:57], v1 offset:1536
	s_waitcnt lgkmcnt(1)
	v_mul_f64 v[60:61], v[50:51], v[182:183]
	s_waitcnt vmcnt(60)
	v_fmac_f64_e32 v[60:61], v[52:53], v[186:187]
	v_add_f64 v[62:63], v[58:59], v[60:61]
	ds_read_b128 v[58:61], v1 offset:1552
	s_waitcnt lgkmcnt(1)
	v_mul_f64 v[64:65], v[54:55], v[162:163]
	v_fmac_f64_e32 v[64:65], v[56:57], v[164:165]
	v_add_f64 v[66:67], v[62:63], v[64:65]
	ds_read_b128 v[62:65], v1 offset:1568
	s_waitcnt vmcnt(54) lgkmcnt(1)
	v_mul_f64 v[68:69], v[58:59], v[190:191]
	s_waitcnt vmcnt(52)
	v_fmac_f64_e32 v[68:69], v[60:61], v[194:195]
	v_add_f64 v[70:71], v[66:67], v[68:69]
	ds_read_b128 v[66:69], v1 offset:1584
	s_waitcnt lgkmcnt(1)
	v_mul_f64 v[72:73], v[62:63], v[166:167]
	v_fmac_f64_e32 v[72:73], v[64:65], v[168:169]
	v_add_f64 v[74:75], v[70:71], v[72:73]
	ds_read_b128 v[70:73], v1 offset:1600
	s_waitcnt vmcnt(46) lgkmcnt(1)
	;; [unrolled: 11-line block ×4, first 2 shown]
	v_mul_f64 v[92:93], v[82:83], v[210:211]
	s_waitcnt vmcnt(28)
	v_fmac_f64_e32 v[92:93], v[84:85], v[212:213]
	v_add_f64 v[98:99], v[90:91], v[92:93]
	ds_read_b128 v[90:93], v1 offset:1680
	ds_read_b128 v[94:97], v1 offset:1696
	s_waitcnt lgkmcnt(2)
	v_mul_f64 v[100:101], v[86:87], v[184:185]
	v_fmac_f64_e32 v[100:101], v[88:89], v[188:189]
	v_add_f64 v[98:99], v[98:99], v[100:101]
	s_waitcnt vmcnt(22) lgkmcnt(1)
	v_mul_f64 v[100:101], v[90:91], v[214:215]
	s_waitcnt vmcnt(20)
	v_fmac_f64_e32 v[100:101], v[92:93], v[216:217]
	v_add_f64 v[98:99], v[98:99], v[100:101]
	s_waitcnt lgkmcnt(0)
	v_mul_f64 v[100:101], v[94:95], v[192:193]
	v_fmac_f64_e32 v[100:101], v[96:97], v[196:197]
	v_add_f64 v[220:221], v[98:99], v[100:101]
	ds_read_b128 v[98:101], v1 offset:1712
	ds_read_b128 v[102:105], v1 offset:1728
	;; [unrolled: 1-line block ×3, first 2 shown]
	v_fma_f64 v[250:251], v[114:115], v[250:251], -v[116:117]
	ds_read_b128 v[114:117], v1 offset:1776
	s_waitcnt vmcnt(14) lgkmcnt(3)
	v_mul_f64 v[112:113], v[98:99], v[218:219]
	s_waitcnt lgkmcnt(2)
	v_mul_f64 v[110:111], v[102:103], v[200:201]
	s_waitcnt vmcnt(12)
	v_fmac_f64_e32 v[112:113], v[100:101], v[230:231]
	v_add_f64 v[112:113], v[220:221], v[112:113]
	v_fmac_f64_e32 v[110:111], v[104:105], v[204:205]
	v_add_f64 v[220:221], v[112:113], v[110:111]
	ds_read_b128 v[110:113], v1 offset:1760
	buffer_load_dword v254, off, s[0:3], 0 offset:384
	buffer_load_dword v255, off, s[0:3], 0 offset:388
	;; [unrolled: 1-line block ×4, first 2 shown]
	v_mul_f64 v[24:25], v[24:25], v[122:123]
	v_fma_f64 v[22:23], v[22:23], v[138:139], -v[24:25]
	v_mul_f64 v[16:17], v[16:17], v[130:131]
	s_waitcnt vmcnt(13) lgkmcnt(2)
	v_mul_f64 v[222:223], v[106:107], v[234:235]
	v_fma_f64 v[14:15], v[14:15], v[136:137], -v[16:17]
	s_waitcnt vmcnt(11)
	v_fmac_f64_e32 v[222:223], v[108:109], v[240:241]
	v_add_f64 v[220:221], v[220:221], v[222:223]
	s_waitcnt vmcnt(10) lgkmcnt(0)
	v_mul_f64 v[222:223], v[110:111], v[232:233]
	s_waitcnt vmcnt(8)
	v_fmac_f64_e32 v[222:223], v[112:113], v[238:239]
	v_add_f64 v[220:221], v[220:221], v[222:223]
	s_waitcnt vmcnt(6)
	v_mul_f64 v[222:223], v[114:115], v[236:237]
	v_mul_f64 v[8:9], v[8:9], v[128:129]
	s_waitcnt vmcnt(4)
	v_fmac_f64_e32 v[222:223], v[116:117], v[242:243]
	v_add_f64 v[244:245], v[220:221], v[222:223]
	v_add_f64 v[220:221], v[246:247], 0
	;; [unrolled: 1-line block ×8, first 2 shown]
	v_fma_f64 v[6:7], v[6:7], v[134:135], -v[8:9]
	v_mul_f64 v[4:5], v[4:5], v[132:133]
	v_add_f64 v[6:7], v[10:11], v[6:7]
	v_fma_f64 v[2:3], v[2:3], v[140:141], -v[4:5]
	v_mul_f64 v[4:5], v[28:29], v[146:147]
	v_add_f64 v[2:3], v[6:7], v[2:3]
	v_fma_f64 v[4:5], v[26:27], v[148:149], -v[4:5]
	v_add_f64 v[2:3], v[2:3], v[4:5]
	v_mul_f64 v[4:5], v[32:33], v[142:143]
	v_fma_f64 v[4:5], v[30:31], v[144:145], -v[4:5]
	v_add_f64 v[2:3], v[2:3], v[4:5]
	v_mul_f64 v[4:5], v[36:37], v[158:159]
	v_fma_f64 v[4:5], v[34:35], v[160:161], -v[4:5]
	v_add_f64 v[2:3], v[2:3], v[4:5]
	v_mul_f64 v[4:5], v[40:41], v[150:151]
	v_fma_f64 v[4:5], v[38:39], v[152:153], -v[4:5]
	v_add_f64 v[2:3], v[2:3], v[4:5]
	v_mul_f64 v[4:5], v[44:45], v[174:175]
	v_fma_f64 v[4:5], v[42:43], v[178:179], -v[4:5]
	v_add_f64 v[2:3], v[2:3], v[4:5]
	v_mul_f64 v[4:5], v[48:49], v[154:155]
	v_fma_f64 v[4:5], v[46:47], v[156:157], -v[4:5]
	v_add_f64 v[2:3], v[2:3], v[4:5]
	v_mul_f64 v[4:5], v[52:53], v[182:183]
	v_fma_f64 v[4:5], v[50:51], v[186:187], -v[4:5]
	v_add_f64 v[2:3], v[2:3], v[4:5]
	v_mul_f64 v[4:5], v[56:57], v[162:163]
	v_fma_f64 v[4:5], v[54:55], v[164:165], -v[4:5]
	v_add_f64 v[2:3], v[2:3], v[4:5]
	v_mul_f64 v[4:5], v[60:61], v[190:191]
	v_fma_f64 v[4:5], v[58:59], v[194:195], -v[4:5]
	v_add_f64 v[2:3], v[2:3], v[4:5]
	v_mul_f64 v[4:5], v[64:65], v[166:167]
	v_fma_f64 v[4:5], v[62:63], v[168:169], -v[4:5]
	v_add_f64 v[2:3], v[2:3], v[4:5]
	v_mul_f64 v[4:5], v[68:69], v[198:199]
	v_fma_f64 v[4:5], v[66:67], v[202:203], -v[4:5]
	v_add_f64 v[2:3], v[2:3], v[4:5]
	v_mul_f64 v[4:5], v[72:73], v[170:171]
	v_fma_f64 v[4:5], v[70:71], v[172:173], -v[4:5]
	v_add_f64 v[2:3], v[2:3], v[4:5]
	v_mul_f64 v[4:5], v[76:77], v[206:207]
	v_fma_f64 v[4:5], v[74:75], v[208:209], -v[4:5]
	v_add_f64 v[2:3], v[2:3], v[4:5]
	v_mul_f64 v[4:5], v[80:81], v[176:177]
	v_fma_f64 v[4:5], v[78:79], v[180:181], -v[4:5]
	v_add_f64 v[2:3], v[2:3], v[4:5]
	v_mul_f64 v[4:5], v[84:85], v[210:211]
	v_fma_f64 v[4:5], v[82:83], v[212:213], -v[4:5]
	v_add_f64 v[2:3], v[2:3], v[4:5]
	v_mul_f64 v[4:5], v[88:89], v[184:185]
	v_fma_f64 v[4:5], v[86:87], v[188:189], -v[4:5]
	v_add_f64 v[2:3], v[2:3], v[4:5]
	v_mul_f64 v[4:5], v[92:93], v[214:215]
	v_fma_f64 v[4:5], v[90:91], v[216:217], -v[4:5]
	v_add_f64 v[2:3], v[2:3], v[4:5]
	v_mul_f64 v[4:5], v[96:97], v[192:193]
	v_fma_f64 v[4:5], v[94:95], v[196:197], -v[4:5]
	v_add_f64 v[2:3], v[2:3], v[4:5]
	v_mul_f64 v[4:5], v[100:101], v[218:219]
	v_fma_f64 v[4:5], v[98:99], v[230:231], -v[4:5]
	v_add_f64 v[2:3], v[2:3], v[4:5]
	v_mul_f64 v[4:5], v[104:105], v[200:201]
	v_fma_f64 v[4:5], v[102:103], v[204:205], -v[4:5]
	v_add_f64 v[2:3], v[2:3], v[4:5]
	v_mul_f64 v[4:5], v[108:109], v[234:235]
	v_fma_f64 v[4:5], v[106:107], v[240:241], -v[4:5]
	v_add_f64 v[2:3], v[2:3], v[4:5]
	v_mul_f64 v[4:5], v[112:113], v[232:233]
	v_fma_f64 v[4:5], v[110:111], v[238:239], -v[4:5]
	v_add_f64 v[2:3], v[2:3], v[4:5]
	v_mul_f64 v[4:5], v[116:117], v[236:237]
	v_fma_f64 v[4:5], v[114:115], v[242:243], -v[4:5]
	v_add_f64 v[2:3], v[2:3], v[4:5]
	s_waitcnt vmcnt(2)
	v_add_f64 v[2:3], v[254:255], -v[2:3]
	s_waitcnt vmcnt(0)
	v_add_f64 v[4:5], v[252:253], -v[244:245]
	buffer_store_dword v3, off, s[0:3], 0 offset:388
	buffer_store_dword v2, off, s[0:3], 0 offset:384
	;; [unrolled: 1-line block ×4, first 2 shown]
	s_and_saveexec_b64 s[4:5], vcc
	s_cbranch_execz .LBB119_305
; %bb.304:
	v_accvgpr_read_b32 v1, a145
	buffer_load_dword v2, v1, s[0:3], 0 offen
	buffer_load_dword v3, v1, s[0:3], 0 offen offset:4
	buffer_load_dword v4, v1, s[0:3], 0 offen offset:8
	;; [unrolled: 1-line block ×3, first 2 shown]
	v_mov_b32_e32 v1, 0
	v_accvgpr_read_b32 v6, a167
	buffer_store_dword v1, off, s[0:3], 0 offset:368
	buffer_store_dword v1, off, s[0:3], 0 offset:372
	;; [unrolled: 1-line block ×4, first 2 shown]
	s_waitcnt vmcnt(4)
	ds_write_b128 v6, v[2:5]
.LBB119_305:
	s_or_b64 exec, exec, s[4:5]
	s_waitcnt lgkmcnt(0)
	; wave barrier
	s_waitcnt lgkmcnt(0)
	buffer_load_dword v94, off, s[0:3], 0 offset:384
	buffer_load_dword v95, off, s[0:3], 0 offset:388
	buffer_load_dword v96, off, s[0:3], 0 offset:392
	buffer_load_dword v97, off, s[0:3], 0 offset:396
	buffer_load_dword v98, off, s[0:3], 0 offset:400
	buffer_load_dword v99, off, s[0:3], 0 offset:404
	buffer_load_dword v100, off, s[0:3], 0 offset:408
	buffer_load_dword v101, off, s[0:3], 0 offset:412
	buffer_load_dword v106, off, s[0:3], 0 offset:424
	buffer_load_dword v107, off, s[0:3], 0 offset:428
	buffer_load_dword v121, off, s[0:3], 0 offset:460
	buffer_load_dword v120, off, s[0:3], 0 offset:456
	buffer_load_dword v125, off, s[0:3], 0 offset:452
	buffer_load_dword v124, off, s[0:3], 0 offset:448
	buffer_load_dword v111, off, s[0:3], 0 offset:444
	buffer_load_dword v110, off, s[0:3], 0 offset:440
	buffer_load_dword v119, off, s[0:3], 0 offset:492
	buffer_load_dword v118, off, s[0:3], 0 offset:488
	buffer_load_dword v123, off, s[0:3], 0 offset:484
	buffer_load_dword v122, off, s[0:3], 0 offset:480
	buffer_load_dword v131, off, s[0:3], 0 offset:476
	buffer_load_dword v130, off, s[0:3], 0 offset:472
	buffer_load_dword v126, off, s[0:3], 0 offset:520
	buffer_load_dword v129, off, s[0:3], 0 offset:508
	buffer_load_dword v128, off, s[0:3], 0 offset:504
	buffer_load_dword v127, off, s[0:3], 0 offset:524
	buffer_load_dword v108, off, s[0:3], 0 offset:416
	buffer_load_dword v109, off, s[0:3], 0 offset:420
	buffer_load_dword v113, off, s[0:3], 0 offset:436
	buffer_load_dword v112, off, s[0:3], 0 offset:432
	buffer_load_dword v135, off, s[0:3], 0 offset:468
	buffer_load_dword v134, off, s[0:3], 0 offset:464
	buffer_load_dword v133, off, s[0:3], 0 offset:500
	buffer_load_dword v132, off, s[0:3], 0 offset:496
	buffer_load_dword v138, off, s[0:3], 0 offset:512
	buffer_load_dword v139, off, s[0:3], 0 offset:516
	buffer_load_dword v136, off, s[0:3], 0 offset:552
	buffer_load_dword v143, off, s[0:3], 0 offset:540
	buffer_load_dword v142, off, s[0:3], 0 offset:536
	buffer_load_dword v145, off, s[0:3], 0 offset:532
	buffer_load_dword v144, off, s[0:3], 0 offset:528
	buffer_load_dword v141, off, s[0:3], 0 offset:548
	buffer_load_dword v140, off, s[0:3], 0 offset:544
	buffer_load_dword v137, off, s[0:3], 0 offset:556
	buffer_load_dword v147, off, s[0:3], 0 offset:572
	buffer_load_dword v146, off, s[0:3], 0 offset:568
	buffer_load_dword v151, off, s[0:3], 0 offset:564
	buffer_load_dword v150, off, s[0:3], 0 offset:560
	buffer_load_dword v148, off, s[0:3], 0 offset:584
	buffer_load_dword v152, off, s[0:3], 0 offset:576
	buffer_load_dword v153, off, s[0:3], 0 offset:580
	buffer_load_dword v149, off, s[0:3], 0 offset:588
	v_mov_b32_e32 v1, 0
	ds_read_b128 v[102:105], v1 offset:1264
	ds_read_b128 v[114:117], v1 offset:1280
	;; [unrolled: 1-line block ×10, first 2 shown]
	v_cmp_lt_u32_e32 vcc, 21, v0
	s_waitcnt vmcnt(48) lgkmcnt(9)
	v_mul_f64 v[26:27], v[102:103], v[96:97]
	v_fmac_f64_e32 v[26:27], v[104:105], v[94:95]
	v_add_f64 v[26:27], v[26:27], 0
	v_mul_f64 v[96:97], v[104:105], v[96:97]
	s_waitcnt vmcnt(44) lgkmcnt(8)
	v_mul_f64 v[28:29], v[114:115], v[100:101]
	v_fmac_f64_e32 v[28:29], v[116:117], v[98:99]
	s_waitcnt vmcnt(42) lgkmcnt(7)
	v_mul_f64 v[30:31], v[244:245], v[106:107]
	v_add_f64 v[26:27], v[26:27], v[28:29]
	s_waitcnt vmcnt(40) lgkmcnt(5)
	v_mul_f64 v[34:35], v[22:23], v[120:121]
	v_fma_f64 v[222:223], v[102:103], v[94:95], -v[96:97]
	s_waitcnt vmcnt(38)
	v_fmac_f64_e32 v[34:35], v[24:25], v[124:125]
	v_mul_f64 v[100:101], v[116:117], v[100:101]
	s_waitcnt vmcnt(36)
	v_mul_f64 v[32:33], v[250:251], v[110:111]
	v_fma_f64 v[224:225], v[114:115], v[98:99], -v[100:101]
	s_waitcnt vmcnt(34) lgkmcnt(3)
	v_mul_f64 v[38:39], v[14:15], v[118:119]
	v_mul_f64 v[106:107], v[246:247], v[106:107]
	s_waitcnt vmcnt(32)
	v_fmac_f64_e32 v[38:39], v[16:17], v[122:123]
	v_mul_f64 v[110:111], v[252:253], v[110:111]
	s_waitcnt vmcnt(30)
	v_mul_f64 v[36:37], v[18:19], v[130:131]
	v_mul_f64 v[24:25], v[24:25], v[120:121]
	v_fma_f64 v[22:23], v[22:23], v[124:125], -v[24:25]
	s_waitcnt vmcnt(27) lgkmcnt(2)
	v_mul_f64 v[40:41], v[10:11], v[128:129]
	s_waitcnt vmcnt(26) lgkmcnt(1)
	v_mul_f64 v[42:43], v[6:7], v[126:127]
	v_mul_f64 v[16:17], v[16:17], v[118:119]
	s_waitcnt vmcnt(24)
	v_fmac_f64_e32 v[30:31], v[246:247], v[108:109]
	v_add_f64 v[26:27], v[26:27], v[30:31]
	s_waitcnt vmcnt(22)
	v_fmac_f64_e32 v[32:33], v[252:253], v[112:113]
	v_add_f64 v[26:27], v[26:27], v[32:33]
	;; [unrolled: 3-line block ×3, first 2 shown]
	v_add_f64 v[26:27], v[26:27], v[36:37]
	s_waitcnt vmcnt(18)
	v_fmac_f64_e32 v[40:41], v[12:13], v[132:133]
	v_add_f64 v[26:27], v[26:27], v[38:39]
	v_add_f64 v[26:27], v[26:27], v[40:41]
	s_waitcnt vmcnt(16)
	v_fmac_f64_e32 v[42:43], v[8:9], v[138:139]
	v_add_f64 v[34:35], v[26:27], v[42:43]
	ds_read_b128 v[26:29], v1 offset:1424
	ds_read_b128 v[30:33], v1 offset:1440
	buffer_load_dword v155, off, s[0:3], 0 offset:620
	buffer_load_dword v154, off, s[0:3], 0 offset:616
	;; [unrolled: 1-line block ×56, first 2 shown]
	s_waitcnt vmcnt(62) lgkmcnt(2)
	v_mul_f64 v[36:37], v[2:3], v[142:143]
	v_fmac_f64_e32 v[36:37], v[4:5], v[144:145]
	v_add_f64 v[34:35], v[34:35], v[36:37]
	s_waitcnt lgkmcnt(1)
	v_mul_f64 v[36:37], v[26:27], v[136:137]
	v_fmac_f64_e32 v[36:37], v[28:29], v[140:141]
	v_add_f64 v[34:35], v[34:35], v[36:37]
	s_waitcnt lgkmcnt(0)
	v_mul_f64 v[36:37], v[30:31], v[146:147]
	s_waitcnt vmcnt(60)
	v_fmac_f64_e32 v[36:37], v[32:33], v[150:151]
	v_add_f64 v[42:43], v[34:35], v[36:37]
	ds_read_b128 v[34:37], v1 offset:1456
	buffer_load_dword v199, off, s[0:3], 0 offset:844
	buffer_load_dword v198, off, s[0:3], 0 offset:840
	;; [unrolled: 1-line block ×16, first 2 shown]
	ds_read_b128 v[38:41], v1 offset:1472
	buffer_load_dword v231, off, s[0:3], 0 offset:908
	buffer_load_dword v230, off, s[0:3], 0 offset:904
	;; [unrolled: 1-line block ×8, first 2 shown]
	ds_read_b128 v[98:101], v1 offset:1712
	s_waitcnt vmcnt(62) lgkmcnt(2)
	v_mul_f64 v[44:45], v[34:35], v[148:149]
	v_fmac_f64_e32 v[44:45], v[36:37], v[152:153]
	v_add_f64 v[46:47], v[42:43], v[44:45]
	ds_read_b128 v[42:45], v1 offset:1488
	v_fma_f64 v[248:249], v[244:245], v[108:109], -v[106:107]
	ds_read_b128 v[106:109], v1 offset:1744
	v_fma_f64 v[246:247], v[250:251], v[112:113], -v[110:111]
	v_mul_f64 v[20:21], v[20:21], v[130:131]
	v_fma_f64 v[18:19], v[18:19], v[134:135], -v[20:21]
	v_fma_f64 v[14:15], v[14:15], v[122:123], -v[16:17]
	v_mul_f64 v[12:13], v[12:13], v[128:129]
	v_fma_f64 v[10:11], v[10:11], v[132:133], -v[12:13]
	v_mul_f64 v[8:9], v[8:9], v[126:127]
	;; [unrolled: 2-line block ×3, first 2 shown]
	s_waitcnt lgkmcnt(3)
	v_mul_f64 v[48:49], v[38:39], v[170:171]
	v_fma_f64 v[2:3], v[2:3], v[144:145], -v[4:5]
	v_fmac_f64_e32 v[48:49], v[40:41], v[174:175]
	v_add_f64 v[50:51], v[46:47], v[48:49]
	ds_read_b128 v[46:49], v1 offset:1504
	s_waitcnt lgkmcnt(2)
	v_mul_f64 v[52:53], v[42:43], v[154:155]
	v_fmac_f64_e32 v[52:53], v[44:45], v[156:157]
	v_add_f64 v[54:55], v[50:51], v[52:53]
	ds_read_b128 v[50:53], v1 offset:1520
	s_waitcnt lgkmcnt(1)
	v_mul_f64 v[56:57], v[46:47], v[178:179]
	;; [unrolled: 5-line block ×3, first 2 shown]
	v_fmac_f64_e32 v[60:61], v[52:53], v[160:161]
	v_add_f64 v[62:63], v[58:59], v[60:61]
	ds_read_b128 v[58:61], v1 offset:1552
	s_waitcnt vmcnt(58) lgkmcnt(1)
	v_mul_f64 v[64:65], v[54:55], v[186:187]
	s_waitcnt vmcnt(56)
	v_fmac_f64_e32 v[64:65], v[56:57], v[190:191]
	v_add_f64 v[66:67], v[62:63], v[64:65]
	ds_read_b128 v[62:65], v1 offset:1568
	s_waitcnt lgkmcnt(1)
	v_mul_f64 v[68:69], v[58:59], v[162:163]
	v_fmac_f64_e32 v[68:69], v[60:61], v[164:165]
	v_add_f64 v[70:71], v[66:67], v[68:69]
	ds_read_b128 v[66:69], v1 offset:1584
	s_waitcnt vmcnt(50) lgkmcnt(1)
	v_mul_f64 v[72:73], v[62:63], v[194:195]
	s_waitcnt vmcnt(48)
	v_fmac_f64_e32 v[72:73], v[64:65], v[196:197]
	v_add_f64 v[74:75], v[70:71], v[72:73]
	ds_read_b128 v[70:73], v1 offset:1600
	s_waitcnt lgkmcnt(1)
	v_mul_f64 v[76:77], v[66:67], v[166:167]
	;; [unrolled: 11-line block ×3, first 2 shown]
	v_fmac_f64_e32 v[84:85], v[76:77], v[176:177]
	v_add_f64 v[90:91], v[82:83], v[84:85]
	ds_read_b128 v[82:85], v1 offset:1648
	ds_read_b128 v[86:89], v1 offset:1664
	s_waitcnt vmcnt(34) lgkmcnt(2)
	v_mul_f64 v[92:93], v[78:79], v[208:209]
	s_waitcnt vmcnt(32)
	v_fmac_f64_e32 v[92:93], v[80:81], v[214:215]
	v_add_f64 v[90:91], v[90:91], v[92:93]
	s_waitcnt lgkmcnt(1)
	v_mul_f64 v[92:93], v[82:83], v[180:181]
	v_fmac_f64_e32 v[92:93], v[84:85], v[184:185]
	v_add_f64 v[90:91], v[90:91], v[92:93]
	s_waitcnt vmcnt(27) lgkmcnt(0)
	v_mul_f64 v[92:93], v[86:87], v[212:213]
	s_waitcnt vmcnt(25)
	v_fmac_f64_e32 v[92:93], v[88:89], v[216:217]
	v_add_f64 v[220:221], v[90:91], v[92:93]
	ds_read_b128 v[90:93], v1 offset:1680
	ds_read_b128 v[94:97], v1 offset:1696
	;; [unrolled: 1-line block ×3, first 2 shown]
	v_mul_f64 v[4:5], v[28:29], v[136:137]
	v_fma_f64 v[4:5], v[26:27], v[140:141], -v[4:5]
	s_waitcnt lgkmcnt(2)
	v_mul_f64 v[102:103], v[90:91], v[188:189]
	s_waitcnt vmcnt(24)
	v_fmac_f64_e32 v[102:103], v[92:93], v[192:193]
	s_waitcnt vmcnt(18) lgkmcnt(1)
	v_mul_f64 v[104:105], v[94:95], v[218:219]
	v_add_f64 v[102:103], v[220:221], v[102:103]
	s_waitcnt vmcnt(16)
	v_fmac_f64_e32 v[104:105], v[96:97], v[232:233]
	v_add_f64 v[102:103], v[102:103], v[104:105]
	v_mul_f64 v[104:105], v[98:99], v[198:199]
	v_fmac_f64_e32 v[104:105], v[100:101], v[202:203]
	v_add_f64 v[114:115], v[102:103], v[104:105]
	ds_read_b128 v[102:105], v1 offset:1728
	s_waitcnt vmcnt(10) lgkmcnt(0)
	v_mul_f64 v[116:117], v[102:103], v[236:237]
	s_waitcnt vmcnt(8)
	v_fmac_f64_e32 v[116:117], v[104:105], v[238:239]
	v_add_f64 v[114:115], v[114:115], v[116:117]
	v_mul_f64 v[116:117], v[106:107], v[206:207]
	v_fmac_f64_e32 v[116:117], v[108:109], v[210:211]
	v_add_f64 v[114:115], v[114:115], v[116:117]
	s_waitcnt vmcnt(2)
	v_mul_f64 v[116:117], v[110:111], v[240:241]
	s_waitcnt vmcnt(0)
	v_fmac_f64_e32 v[116:117], v[112:113], v[242:243]
	v_add_f64 v[220:221], v[114:115], v[116:117]
	ds_read_b128 v[114:117], v1 offset:1776
	buffer_load_dword v252, off, s[0:3], 0 offset:368
	buffer_load_dword v253, off, s[0:3], 0 offset:372
	s_waitcnt lgkmcnt(0)
	v_mul_f64 v[226:227], v[114:115], v[230:231]
	v_fmac_f64_e32 v[226:227], v[116:117], v[234:235]
	v_add_f64 v[244:245], v[220:221], v[226:227]
	v_add_f64 v[220:221], v[222:223], 0
	;; [unrolled: 1-line block ×4, first 2 shown]
	buffer_load_dword v248, off, s[0:3], 0 offset:376
	buffer_load_dword v249, off, s[0:3], 0 offset:380
	v_add_f64 v[220:221], v[220:221], v[246:247]
	v_add_f64 v[22:23], v[220:221], v[22:23]
	v_add_f64 v[18:19], v[22:23], v[18:19]
	v_add_f64 v[14:15], v[18:19], v[14:15]
	v_add_f64 v[10:11], v[14:15], v[10:11]
	v_add_f64 v[6:7], v[10:11], v[6:7]
	v_add_f64 v[2:3], v[6:7], v[2:3]
	v_add_f64 v[2:3], v[2:3], v[4:5]
	v_mul_f64 v[4:5], v[32:33], v[146:147]
	v_fma_f64 v[4:5], v[30:31], v[150:151], -v[4:5]
	v_add_f64 v[2:3], v[2:3], v[4:5]
	v_mul_f64 v[4:5], v[36:37], v[148:149]
	v_fma_f64 v[4:5], v[34:35], v[152:153], -v[4:5]
	v_add_f64 v[2:3], v[2:3], v[4:5]
	;; [unrolled: 3-line block ×22, first 2 shown]
	s_waitcnt vmcnt(2)
	v_add_f64 v[2:3], v[252:253], -v[2:3]
	s_waitcnt vmcnt(0)
	v_add_f64 v[4:5], v[248:249], -v[244:245]
	buffer_store_dword v3, off, s[0:3], 0 offset:372
	buffer_store_dword v2, off, s[0:3], 0 offset:368
	;; [unrolled: 1-line block ×4, first 2 shown]
	s_and_saveexec_b64 s[4:5], vcc
	s_cbranch_execz .LBB119_307
; %bb.306:
	v_accvgpr_read_b32 v5, a146
	buffer_load_dword v2, v5, s[0:3], 0 offen
	buffer_load_dword v3, v5, s[0:3], 0 offen offset:4
	buffer_load_dword v4, v5, s[0:3], 0 offen offset:8
	s_nop 0
	buffer_load_dword v5, v5, s[0:3], 0 offen offset:12
	v_accvgpr_read_b32 v6, a167
	buffer_store_dword v1, off, s[0:3], 0 offset:352
	buffer_store_dword v1, off, s[0:3], 0 offset:356
	;; [unrolled: 1-line block ×4, first 2 shown]
	s_waitcnt vmcnt(4)
	ds_write_b128 v6, v[2:5]
.LBB119_307:
	s_or_b64 exec, exec, s[4:5]
	s_waitcnt lgkmcnt(0)
	; wave barrier
	s_waitcnt lgkmcnt(0)
	buffer_load_dword v86, off, s[0:3], 0 offset:368
	buffer_load_dword v87, off, s[0:3], 0 offset:372
	;; [unrolled: 1-line block ×42, first 2 shown]
	ds_read_b128 v[94:97], v1 offset:1248
	ds_read_b128 v[106:109], v1 offset:1264
	;; [unrolled: 1-line block ×10, first 2 shown]
	buffer_load_dword v145, off, s[0:3], 0 offset:516
	buffer_load_dword v144, off, s[0:3], 0 offset:512
	ds_read_b128 v[6:9], v1 offset:1408
	buffer_load_dword v141, off, s[0:3], 0 offset:572
	buffer_load_dword v140, off, s[0:3], 0 offset:568
	;; [unrolled: 1-line block ×80, first 2 shown]
	v_cmp_lt_u32_e32 vcc, 20, v0
	s_waitcnt vmcnt(62) lgkmcnt(10)
	v_mul_f64 v[26:27], v[94:95], v[88:89]
	v_fmac_f64_e32 v[26:27], v[96:97], v[86:87]
	v_add_f64 v[26:27], v[26:27], 0
	v_mul_f64 v[88:89], v[96:97], v[88:89]
	s_waitcnt lgkmcnt(9)
	v_mul_f64 v[28:29], v[106:107], v[92:93]
	v_fmac_f64_e32 v[28:29], v[108:109], v[90:91]
	s_waitcnt lgkmcnt(8)
	v_mul_f64 v[30:31], v[114:115], v[98:99]
	v_add_f64 v[26:27], v[26:27], v[28:29]
	s_waitcnt lgkmcnt(6)
	v_mul_f64 v[34:35], v[248:249], v[110:111]
	v_fma_f64 v[222:223], v[94:95], v[86:87], -v[88:89]
	v_fmac_f64_e32 v[34:35], v[250:251], v[112:113]
	v_mul_f64 v[92:93], v[108:109], v[92:93]
	v_mul_f64 v[32:33], v[244:245], v[102:103]
	;; [unrolled: 1-line block ×3, first 2 shown]
	s_waitcnt lgkmcnt(4)
	v_mul_f64 v[38:39], v[18:19], v[118:119]
	v_mul_f64 v[102:103], v[246:247], v[102:103]
	v_fmac_f64_e32 v[38:39], v[20:21], v[120:121]
	v_mul_f64 v[110:111], v[250:251], v[110:111]
	v_mul_f64 v[36:37], v[22:23], v[122:123]
	v_fma_f64 v[248:249], v[248:249], v[112:113], -v[110:111]
	s_waitcnt lgkmcnt(2)
	v_mul_f64 v[42:43], v[10:11], v[124:125]
	v_add_f64 v[222:223], v[222:223], 0
	v_mul_f64 v[20:21], v[20:21], v[118:119]
	v_mul_f64 v[40:41], v[14:15], v[130:131]
	v_fma_f64 v[18:19], v[18:19], v[120:121], -v[20:21]
	s_waitcnt lgkmcnt(1)
	v_mul_f64 v[44:45], v[2:3], v[128:129]
	v_fmac_f64_e32 v[30:31], v[116:117], v[100:101]
	v_add_f64 v[26:27], v[26:27], v[30:31]
	v_fmac_f64_e32 v[32:33], v[246:247], v[104:105]
	v_add_f64 v[26:27], v[26:27], v[32:33]
	;; [unrolled: 2-line block ×3, first 2 shown]
	v_add_f64 v[26:27], v[26:27], v[36:37]
	v_fmac_f64_e32 v[40:41], v[16:17], v[132:133]
	v_add_f64 v[26:27], v[26:27], v[38:39]
	v_fmac_f64_e32 v[42:43], v[12:13], v[126:127]
	v_add_f64 v[26:27], v[26:27], v[40:41]
	v_add_f64 v[26:27], v[26:27], v[42:43]
	s_waitcnt lgkmcnt(0)
	v_mul_f64 v[32:33], v[6:7], v[136:137]
	v_fmac_f64_e32 v[44:45], v[4:5], v[144:145]
	v_add_f64 v[30:31], v[26:27], v[44:45]
	ds_read_b128 v[26:29], v1 offset:1424
	v_fmac_f64_e32 v[32:33], v[8:9], v[138:139]
	v_add_f64 v[34:35], v[30:31], v[32:33]
	ds_read_b128 v[30:33], v1 offset:1440
	v_fma_f64 v[224:225], v[114:115], v[100:101], -v[98:99]
	s_waitcnt lgkmcnt(1)
	v_mul_f64 v[36:37], v[26:27], v[146:147]
	v_fmac_f64_e32 v[36:37], v[28:29], v[162:163]
	v_add_f64 v[38:39], v[34:35], v[36:37]
	ds_read_b128 v[34:37], v1 offset:1456
	s_waitcnt lgkmcnt(1)
	v_mul_f64 v[40:41], v[30:31], v[140:141]
	v_fmac_f64_e32 v[40:41], v[32:33], v[142:143]
	v_add_f64 v[42:43], v[38:39], v[40:41]
	ds_read_b128 v[38:41], v1 offset:1472
	s_waitcnt lgkmcnt(1)
	v_mul_f64 v[44:45], v[34:35], v[166:167]
	v_fmac_f64_e32 v[44:45], v[36:37], v[170:171]
	v_add_f64 v[46:47], v[42:43], v[44:45]
	ds_read_b128 v[42:45], v1 offset:1488
	s_waitcnt lgkmcnt(1)
	v_mul_f64 v[48:49], v[38:39], v[148:149]
	v_fmac_f64_e32 v[48:49], v[40:41], v[150:151]
	v_add_f64 v[50:51], v[46:47], v[48:49]
	ds_read_b128 v[46:49], v1 offset:1504
	s_waitcnt vmcnt(58) lgkmcnt(1)
	v_mul_f64 v[52:53], v[42:43], v[174:175]
	s_waitcnt vmcnt(56)
	v_fmac_f64_e32 v[52:53], v[44:45], v[178:179]
	v_add_f64 v[54:55], v[50:51], v[52:53]
	ds_read_b128 v[50:53], v1 offset:1520
	buffer_load_dword v232, off, s[0:3], 0 offset:888
	buffer_load_dword v237, off, s[0:3], 0 offset:876
	;; [unrolled: 1-line block ×8, first 2 shown]
	s_waitcnt lgkmcnt(1)
	v_mul_f64 v[56:57], v[46:47], v[152:153]
	v_fmac_f64_e32 v[56:57], v[48:49], v[154:155]
	v_add_f64 v[58:59], v[54:55], v[56:57]
	ds_read_b128 v[54:57], v1 offset:1536
	s_waitcnt vmcnt(58) lgkmcnt(1)
	v_mul_f64 v[60:61], v[50:51], v[182:183]
	s_waitcnt vmcnt(56)
	v_fmac_f64_e32 v[60:61], v[52:53], v[186:187]
	buffer_load_dword v241, off, s[0:3], 0 offset:908
	buffer_load_dword v240, off, s[0:3], 0 offset:904
	;; [unrolled: 1-line block ×4, first 2 shown]
	v_add_f64 v[62:63], v[58:59], v[60:61]
	ds_read_b128 v[58:61], v1 offset:1552
	s_waitcnt lgkmcnt(1)
	v_mul_f64 v[64:65], v[54:55], v[156:157]
	v_fmac_f64_e32 v[64:65], v[56:57], v[158:159]
	v_add_f64 v[66:67], v[62:63], v[64:65]
	ds_read_b128 v[62:65], v1 offset:1568
	s_waitcnt vmcnt(54) lgkmcnt(1)
	v_mul_f64 v[68:69], v[58:59], v[190:191]
	s_waitcnt vmcnt(52)
	v_fmac_f64_e32 v[68:69], v[60:61], v[194:195]
	v_add_f64 v[70:71], v[66:67], v[68:69]
	ds_read_b128 v[66:69], v1 offset:1584
	s_waitcnt lgkmcnt(1)
	v_mul_f64 v[72:73], v[62:63], v[160:161]
	v_fmac_f64_e32 v[72:73], v[64:65], v[164:165]
	v_add_f64 v[74:75], v[70:71], v[72:73]
	ds_read_b128 v[70:73], v1 offset:1600
	s_waitcnt vmcnt(46) lgkmcnt(1)
	v_mul_f64 v[76:77], v[66:67], v[198:199]
	s_waitcnt vmcnt(44)
	v_fmac_f64_e32 v[76:77], v[68:69], v[202:203]
	v_add_f64 v[82:83], v[74:75], v[76:77]
	ds_read_b128 v[74:77], v1 offset:1616
	ds_read_b128 v[78:81], v1 offset:1632
	s_waitcnt lgkmcnt(2)
	v_mul_f64 v[84:85], v[70:71], v[168:169]
	v_fmac_f64_e32 v[84:85], v[72:73], v[172:173]
	v_add_f64 v[82:83], v[82:83], v[84:85]
	s_waitcnt vmcnt(38) lgkmcnt(1)
	v_mul_f64 v[84:85], v[74:75], v[206:207]
	s_waitcnt vmcnt(36)
	v_fmac_f64_e32 v[84:85], v[76:77], v[208:209]
	v_add_f64 v[82:83], v[82:83], v[84:85]
	s_waitcnt lgkmcnt(0)
	v_mul_f64 v[84:85], v[78:79], v[176:177]
	v_fmac_f64_e32 v[84:85], v[80:81], v[180:181]
	v_add_f64 v[220:221], v[82:83], v[84:85]
	ds_read_b128 v[82:85], v1 offset:1648
	ds_read_b128 v[86:89], v1 offset:1664
	;; [unrolled: 1-line block ×3, first 2 shown]
	v_fma_f64 v[246:247], v[244:245], v[104:105], -v[102:103]
	ds_read_b128 v[102:105], v1 offset:1744
	ds_read_b128 v[110:113], v1 offset:1760
	s_waitcnt vmcnt(30) lgkmcnt(4)
	v_mul_f64 v[94:95], v[82:83], v[210:211]
	s_waitcnt vmcnt(28)
	v_fmac_f64_e32 v[94:95], v[84:85], v[212:213]
	v_add_f64 v[94:95], v[220:221], v[94:95]
	v_fma_f64 v[220:221], v[106:107], v[90:91], -v[92:93]
	ds_read_b128 v[90:93], v1 offset:1680
	s_waitcnt lgkmcnt(4)
	v_mul_f64 v[96:97], v[86:87], v[184:185]
	v_fmac_f64_e32 v[96:97], v[88:89], v[188:189]
	v_add_f64 v[106:107], v[94:95], v[96:97]
	ds_read_b128 v[94:97], v1 offset:1696
	s_waitcnt vmcnt(22) lgkmcnt(1)
	v_mul_f64 v[108:109], v[90:91], v[214:215]
	s_waitcnt vmcnt(20)
	v_fmac_f64_e32 v[108:109], v[92:93], v[216:217]
	v_add_f64 v[106:107], v[106:107], v[108:109]
	v_add_f64 v[220:221], v[222:223], v[220:221]
	s_waitcnt lgkmcnt(0)
	v_mul_f64 v[108:109], v[94:95], v[192:193]
	v_fmac_f64_e32 v[108:109], v[96:97], v[196:197]
	v_add_f64 v[114:115], v[106:107], v[108:109]
	ds_read_b128 v[106:109], v1 offset:1728
	s_waitcnt vmcnt(14)
	v_mul_f64 v[116:117], v[98:99], v[218:219]
	s_waitcnt vmcnt(12)
	v_fmac_f64_e32 v[116:117], v[100:101], v[230:231]
	v_add_f64 v[114:115], v[114:115], v[116:117]
	v_add_f64 v[250:251], v[220:221], v[224:225]
	s_waitcnt lgkmcnt(0)
	v_mul_f64 v[116:117], v[106:107], v[200:201]
	v_fmac_f64_e32 v[116:117], v[108:109], v[204:205]
	v_add_f64 v[114:115], v[114:115], v[116:117]
	v_add_f64 v[220:221], v[250:251], v[246:247]
	v_mul_f64 v[24:25], v[24:25], v[122:123]
	v_add_f64 v[220:221], v[220:221], v[248:249]
	v_fma_f64 v[22:23], v[22:23], v[134:135], -v[24:25]
	v_add_f64 v[22:23], v[220:221], v[22:23]
	v_mul_f64 v[16:17], v[16:17], v[130:131]
	v_add_f64 v[18:19], v[22:23], v[18:19]
	v_fma_f64 v[14:15], v[14:15], v[132:133], -v[16:17]
	v_mul_f64 v[12:13], v[12:13], v[124:125]
	s_waitcnt vmcnt(9)
	v_mul_f64 v[116:117], v[102:103], v[236:237]
	v_add_f64 v[14:15], v[18:19], v[14:15]
	s_waitcnt vmcnt(7)
	v_fmac_f64_e32 v[116:117], v[104:105], v[238:239]
	v_add_f64 v[114:115], v[114:115], v[116:117]
	s_waitcnt vmcnt(5)
	v_mul_f64 v[116:117], v[110:111], v[232:233]
	s_waitcnt vmcnt(4)
	v_fmac_f64_e32 v[116:117], v[112:113], v[234:235]
	v_add_f64 v[226:227], v[114:115], v[116:117]
	ds_read_b128 v[114:117], v1 offset:1776
	buffer_load_dword v254, off, s[0:3], 0 offset:352
	buffer_load_dword v255, off, s[0:3], 0 offset:356
	;; [unrolled: 1-line block ×4, first 2 shown]
	v_fma_f64 v[10:11], v[10:11], v[126:127], -v[12:13]
	v_mul_f64 v[4:5], v[4:5], v[128:129]
	v_add_f64 v[10:11], v[14:15], v[10:11]
	v_fma_f64 v[2:3], v[2:3], v[144:145], -v[4:5]
	v_mul_f64 v[4:5], v[8:9], v[136:137]
	v_add_f64 v[2:3], v[10:11], v[2:3]
	v_fma_f64 v[4:5], v[6:7], v[138:139], -v[4:5]
	v_add_f64 v[2:3], v[2:3], v[4:5]
	v_mul_f64 v[4:5], v[28:29], v[146:147]
	v_fma_f64 v[4:5], v[26:27], v[162:163], -v[4:5]
	v_add_f64 v[2:3], v[2:3], v[4:5]
	v_mul_f64 v[4:5], v[32:33], v[140:141]
	;; [unrolled: 3-line block ×22, first 2 shown]
	v_fma_f64 v[4:5], v[110:111], v[234:235], -v[4:5]
	v_add_f64 v[2:3], v[2:3], v[4:5]
	s_waitcnt vmcnt(6) lgkmcnt(0)
	v_mul_f64 v[4:5], v[116:117], v[240:241]
	v_mul_f64 v[228:229], v[114:115], v[240:241]
	s_waitcnt vmcnt(4)
	v_fma_f64 v[4:5], v[114:115], v[242:243], -v[4:5]
	v_fmac_f64_e32 v[228:229], v[116:117], v[242:243]
	v_add_f64 v[2:3], v[2:3], v[4:5]
	v_add_f64 v[244:245], v[226:227], v[228:229]
	s_waitcnt vmcnt(2)
	v_add_f64 v[2:3], v[254:255], -v[2:3]
	s_waitcnt vmcnt(0)
	v_add_f64 v[4:5], v[252:253], -v[244:245]
	buffer_store_dword v3, off, s[0:3], 0 offset:356
	buffer_store_dword v2, off, s[0:3], 0 offset:352
	;; [unrolled: 1-line block ×4, first 2 shown]
	s_and_saveexec_b64 s[4:5], vcc
	s_cbranch_execz .LBB119_309
; %bb.308:
	v_accvgpr_read_b32 v1, a147
	buffer_load_dword v2, v1, s[0:3], 0 offen
	buffer_load_dword v3, v1, s[0:3], 0 offen offset:4
	buffer_load_dword v4, v1, s[0:3], 0 offen offset:8
	buffer_load_dword v5, v1, s[0:3], 0 offen offset:12
	v_mov_b32_e32 v1, 0
	v_accvgpr_read_b32 v6, a167
	buffer_store_dword v1, off, s[0:3], 0 offset:336
	buffer_store_dword v1, off, s[0:3], 0 offset:340
	;; [unrolled: 1-line block ×4, first 2 shown]
	s_waitcnt vmcnt(4)
	ds_write_b128 v6, v[2:5]
.LBB119_309:
	s_or_b64 exec, exec, s[4:5]
	s_waitcnt lgkmcnt(0)
	; wave barrier
	s_waitcnt lgkmcnt(0)
	buffer_load_dword v82, off, s[0:3], 0 offset:352
	buffer_load_dword v83, off, s[0:3], 0 offset:356
	buffer_load_dword v84, off, s[0:3], 0 offset:360
	buffer_load_dword v85, off, s[0:3], 0 offset:364
	buffer_load_dword v86, off, s[0:3], 0 offset:368
	buffer_load_dword v87, off, s[0:3], 0 offset:372
	buffer_load_dword v88, off, s[0:3], 0 offset:376
	buffer_load_dword v89, off, s[0:3], 0 offset:380
	buffer_load_dword v94, off, s[0:3], 0 offset:392
	buffer_load_dword v95, off, s[0:3], 0 offset:396
	buffer_load_dword v103, off, s[0:3], 0 offset:428
	buffer_load_dword v102, off, s[0:3], 0 offset:424
	buffer_load_dword v105, off, s[0:3], 0 offset:420
	buffer_load_dword v104, off, s[0:3], 0 offset:416
	buffer_load_dword v99, off, s[0:3], 0 offset:412
	buffer_load_dword v98, off, s[0:3], 0 offset:408
	buffer_load_dword v119, off, s[0:3], 0 offset:460
	buffer_load_dword v118, off, s[0:3], 0 offset:456
	buffer_load_dword v121, off, s[0:3], 0 offset:452
	buffer_load_dword v120, off, s[0:3], 0 offset:448
	buffer_load_dword v111, off, s[0:3], 0 offset:444
	buffer_load_dword v110, off, s[0:3], 0 offset:440
	buffer_load_dword v123, off, s[0:3], 0 offset:476
	buffer_load_dword v122, off, s[0:3], 0 offset:472
	buffer_load_dword v96, off, s[0:3], 0 offset:384
	buffer_load_dword v97, off, s[0:3], 0 offset:388
	buffer_load_dword v101, off, s[0:3], 0 offset:404
	buffer_load_dword v100, off, s[0:3], 0 offset:400
	buffer_load_dword v113, off, s[0:3], 0 offset:436
	buffer_load_dword v112, off, s[0:3], 0 offset:432
	buffer_load_dword v127, off, s[0:3], 0 offset:468
	buffer_load_dword v126, off, s[0:3], 0 offset:464
	buffer_load_dword v124, off, s[0:3], 0 offset:488
	buffer_load_dword v128, off, s[0:3], 0 offset:480
	buffer_load_dword v129, off, s[0:3], 0 offset:484
	buffer_load_dword v125, off, s[0:3], 0 offset:492
	buffer_load_dword v131, off, s[0:3], 0 offset:524
	buffer_load_dword v130, off, s[0:3], 0 offset:520
	buffer_load_dword v133, off, s[0:3], 0 offset:516
	buffer_load_dword v132, off, s[0:3], 0 offset:512
	buffer_load_dword v135, off, s[0:3], 0 offset:508
	buffer_load_dword v134, off, s[0:3], 0 offset:504
	buffer_load_dword v137, off, s[0:3], 0 offset:500
	buffer_load_dword v136, off, s[0:3], 0 offset:496
	buffer_load_dword v139, off, s[0:3], 0 offset:556
	buffer_load_dword v138, off, s[0:3], 0 offset:552
	buffer_load_dword v141, off, s[0:3], 0 offset:548
	buffer_load_dword v140, off, s[0:3], 0 offset:544
	buffer_load_dword v145, off, s[0:3], 0 offset:540
	buffer_load_dword v144, off, s[0:3], 0 offset:536
	buffer_load_dword v147, off, s[0:3], 0 offset:532
	buffer_load_dword v146, off, s[0:3], 0 offset:528
	buffer_load_dword v143, off, s[0:3], 0 offset:588
	buffer_load_dword v142, off, s[0:3], 0 offset:584
	v_mov_b32_e32 v1, 0
	ds_read_b128 v[90:93], v1 offset:1232
	ds_read_b128 v[106:109], v1 offset:1248
	;; [unrolled: 1-line block ×9, first 2 shown]
	buffer_load_dword v149, off, s[0:3], 0 offset:580
	buffer_load_dword v148, off, s[0:3], 0 offset:576
	;; [unrolled: 1-line block ×62, first 2 shown]
	v_cmp_lt_u32_e32 vcc, 19, v0
	s_waitcnt vmcnt(62) lgkmcnt(8)
	v_mul_f64 v[14:15], v[90:91], v[84:85]
	v_fmac_f64_e32 v[14:15], v[92:93], v[82:83]
	v_add_f64 v[14:15], v[14:15], 0
	v_mul_f64 v[84:85], v[92:93], v[84:85]
	s_waitcnt lgkmcnt(7)
	v_mul_f64 v[16:17], v[106:107], v[88:89]
	v_fmac_f64_e32 v[16:17], v[108:109], v[86:87]
	s_waitcnt lgkmcnt(6)
	v_mul_f64 v[18:19], v[114:115], v[94:95]
	v_add_f64 v[14:15], v[14:15], v[16:17]
	s_waitcnt lgkmcnt(4)
	v_mul_f64 v[22:23], v[246:247], v[102:103]
	v_fma_f64 v[222:223], v[90:91], v[82:83], -v[84:85]
	v_fmac_f64_e32 v[22:23], v[248:249], v[104:105]
	v_mul_f64 v[88:89], v[108:109], v[88:89]
	v_mul_f64 v[20:21], v[242:243], v[98:99]
	v_fma_f64 v[224:225], v[106:107], v[86:87], -v[88:89]
	s_waitcnt lgkmcnt(2)
	v_mul_f64 v[26:27], v[10:11], v[118:119]
	v_mul_f64 v[94:95], v[116:117], v[94:95]
	v_fmac_f64_e32 v[26:27], v[12:13], v[120:121]
	v_mul_f64 v[98:99], v[244:245], v[98:99]
	v_mul_f64 v[24:25], v[250:251], v[110:111]
	;; [unrolled: 1-line block ×3, first 2 shown]
	s_waitcnt lgkmcnt(1)
	v_mul_f64 v[28:29], v[6:7], v[122:123]
	v_mul_f64 v[110:111], v[252:253], v[110:111]
	v_fmac_f64_e32 v[18:19], v[116:117], v[96:97]
	v_add_f64 v[14:15], v[14:15], v[18:19]
	v_fmac_f64_e32 v[20:21], v[244:245], v[100:101]
	v_add_f64 v[14:15], v[14:15], v[20:21]
	;; [unrolled: 2-line block ×3, first 2 shown]
	v_add_f64 v[14:15], v[14:15], v[24:25]
	v_fmac_f64_e32 v[28:29], v[8:9], v[126:127]
	v_add_f64 v[14:15], v[14:15], v[26:27]
	v_add_f64 v[18:19], v[14:15], v[28:29]
	ds_read_b128 v[14:17], v1 offset:1376
	s_waitcnt lgkmcnt(1)
	v_mul_f64 v[20:21], v[2:3], v[124:125]
	v_fmac_f64_e32 v[20:21], v[4:5], v[128:129]
	v_add_f64 v[22:23], v[18:19], v[20:21]
	ds_read_b128 v[18:21], v1 offset:1392
	s_waitcnt lgkmcnt(1)
	v_mul_f64 v[24:25], v[14:15], v[134:135]
	v_fmac_f64_e32 v[24:25], v[16:17], v[136:137]
	;; [unrolled: 5-line block ×5, first 2 shown]
	v_add_f64 v[38:39], v[34:35], v[36:37]
	ds_read_b128 v[34:37], v1 offset:1456
	s_waitcnt vmcnt(58) lgkmcnt(1)
	v_mul_f64 v[40:41], v[30:31], v[162:163]
	s_waitcnt vmcnt(56)
	v_fmac_f64_e32 v[40:41], v[32:33], v[166:167]
	v_add_f64 v[42:43], v[38:39], v[40:41]
	ds_read_b128 v[38:41], v1 offset:1472
	s_waitcnt lgkmcnt(1)
	v_mul_f64 v[44:45], v[34:35], v[142:143]
	v_fmac_f64_e32 v[44:45], v[36:37], v[148:149]
	v_add_f64 v[46:47], v[42:43], v[44:45]
	ds_read_b128 v[42:45], v1 offset:1488
	s_waitcnt vmcnt(50) lgkmcnt(1)
	v_mul_f64 v[48:49], v[38:39], v[170:171]
	s_waitcnt vmcnt(48)
	v_fmac_f64_e32 v[48:49], v[40:41], v[174:175]
	v_add_f64 v[50:51], v[46:47], v[48:49]
	ds_read_b128 v[46:49], v1 offset:1504
	buffer_load_dword v211, off, s[0:3], 0 offset:828
	buffer_load_dword v210, off, s[0:3], 0 offset:824
	;; [unrolled: 1-line block ×8, first 2 shown]
	s_waitcnt lgkmcnt(1)
	v_mul_f64 v[52:53], v[42:43], v[150:151]
	v_fmac_f64_e32 v[52:53], v[44:45], v[152:153]
	v_add_f64 v[54:55], v[50:51], v[52:53]
	ds_read_b128 v[50:53], v1 offset:1520
	s_waitcnt vmcnt(50) lgkmcnt(1)
	v_mul_f64 v[56:57], v[46:47], v[178:179]
	s_waitcnt vmcnt(48)
	v_fmac_f64_e32 v[56:57], v[48:49], v[182:183]
	buffer_load_dword v215, off, s[0:3], 0 offset:876
	buffer_load_dword v231, off, s[0:3], 0 offset:860
	;; [unrolled: 1-line block ×12, first 2 shown]
	v_add_f64 v[58:59], v[54:55], v[56:57]
	ds_read_b128 v[54:57], v1 offset:1536
	s_waitcnt lgkmcnt(1)
	v_mul_f64 v[60:61], v[50:51], v[154:155]
	v_fmac_f64_e32 v[60:61], v[52:53], v[156:157]
	v_add_f64 v[62:63], v[58:59], v[60:61]
	ds_read_b128 v[58:61], v1 offset:1552
	s_waitcnt vmcnt(54) lgkmcnt(1)
	v_mul_f64 v[64:65], v[54:55], v[186:187]
	s_waitcnt vmcnt(52)
	v_fmac_f64_e32 v[64:65], v[56:57], v[190:191]
	v_add_f64 v[66:67], v[62:63], v[64:65]
	ds_read_b128 v[62:65], v1 offset:1568
	s_waitcnt lgkmcnt(1)
	v_mul_f64 v[68:69], v[58:59], v[158:159]
	v_fmac_f64_e32 v[68:69], v[60:61], v[160:161]
	v_add_f64 v[70:71], v[66:67], v[68:69]
	ds_read_b128 v[66:69], v1 offset:1584
	s_waitcnt vmcnt(46) lgkmcnt(1)
	v_mul_f64 v[72:73], v[62:63], v[194:195]
	s_waitcnt vmcnt(44)
	v_fmac_f64_e32 v[72:73], v[64:65], v[196:197]
	v_add_f64 v[78:79], v[70:71], v[72:73]
	ds_read_b128 v[70:73], v1 offset:1600
	ds_read_b128 v[74:77], v1 offset:1616
	s_waitcnt lgkmcnt(2)
	v_mul_f64 v[80:81], v[66:67], v[164:165]
	v_fmac_f64_e32 v[80:81], v[68:69], v[168:169]
	v_add_f64 v[78:79], v[78:79], v[80:81]
	s_waitcnt vmcnt(38) lgkmcnt(1)
	v_mul_f64 v[80:81], v[70:71], v[198:199]
	s_waitcnt vmcnt(36)
	v_fmac_f64_e32 v[80:81], v[72:73], v[200:201]
	v_add_f64 v[78:79], v[78:79], v[80:81]
	s_waitcnt lgkmcnt(0)
	v_mul_f64 v[80:81], v[74:75], v[172:173]
	v_fmac_f64_e32 v[80:81], v[76:77], v[176:177]
	v_add_f64 v[220:221], v[78:79], v[80:81]
	ds_read_b128 v[78:81], v1 offset:1632
	ds_read_b128 v[82:85], v1 offset:1648
	;; [unrolled: 1-line block ×3, first 2 shown]
	v_fma_f64 v[226:227], v[242:243], v[100:101], -v[98:99]
	ds_read_b128 v[98:101], v1 offset:1712
	s_waitcnt vmcnt(30) lgkmcnt(3)
	v_mul_f64 v[90:91], v[78:79], v[202:203]
	s_waitcnt vmcnt(28)
	v_fmac_f64_e32 v[90:91], v[80:81], v[204:205]
	s_waitcnt lgkmcnt(2)
	v_mul_f64 v[92:93], v[82:83], v[180:181]
	v_add_f64 v[90:91], v[220:221], v[90:91]
	v_fmac_f64_e32 v[92:93], v[84:85], v[184:185]
	v_add_f64 v[90:91], v[90:91], v[92:93]
	v_fma_f64 v[220:221], v[114:115], v[96:97], -v[94:95]
	ds_read_b128 v[94:97], v1 offset:1696
	s_waitcnt vmcnt(22) lgkmcnt(2)
	v_mul_f64 v[92:93], v[86:87], v[206:207]
	s_waitcnt vmcnt(20)
	v_fmac_f64_e32 v[92:93], v[88:89], v[208:209]
	v_add_f64 v[106:107], v[90:91], v[92:93]
	ds_read_b128 v[90:93], v1 offset:1680
	buffer_load_dword v240, off, s[0:3], 0 offset:904
	v_fma_f64 v[228:229], v[246:247], v[104:105], -v[102:103]
	ds_read_b128 v[102:105], v1 offset:1728
	v_fma_f64 v[250:251], v[250:251], v[112:113], -v[110:111]
	s_waitcnt lgkmcnt(1)
	v_mul_f64 v[108:109], v[90:91], v[188:189]
	v_fmac_f64_e32 v[108:109], v[92:93], v[192:193]
	v_add_f64 v[106:107], v[106:107], v[108:109]
	ds_read_b128 v[110:113], v1 offset:1760
	v_add_f64 v[222:223], v[222:223], 0
	v_add_f64 v[222:223], v[222:223], v[224:225]
	;; [unrolled: 1-line block ×5, first 2 shown]
	v_mul_f64 v[12:13], v[12:13], v[118:119]
	v_add_f64 v[220:221], v[252:253], v[250:251]
	v_fma_f64 v[10:11], v[10:11], v[120:121], -v[12:13]
	v_mul_f64 v[8:9], v[8:9], v[122:123]
	v_add_f64 v[10:11], v[220:221], v[10:11]
	v_fma_f64 v[6:7], v[6:7], v[126:127], -v[8:9]
	;; [unrolled: 3-line block ×3, first 2 shown]
	v_mul_f64 v[4:5], v[16:17], v[134:135]
	v_add_f64 v[2:3], v[6:7], v[2:3]
	s_waitcnt vmcnt(19)
	v_mul_f64 v[108:109], v[94:95], v[210:211]
	v_fma_f64 v[4:5], v[14:15], v[136:137], -v[4:5]
	s_waitcnt vmcnt(17)
	v_fmac_f64_e32 v[108:109], v[96:97], v[212:213]
	v_add_f64 v[106:107], v[106:107], v[108:109]
	s_waitcnt vmcnt(15)
	v_mul_f64 v[108:109], v[98:99], v[216:217]
	s_waitcnt vmcnt(13)
	v_fmac_f64_e32 v[108:109], v[100:101], v[218:219]
	v_add_f64 v[114:115], v[106:107], v[108:109]
	ds_read_b128 v[106:109], v1 offset:1744
	buffer_load_dword v244, off, s[0:3], 0 offset:896
	buffer_load_dword v241, off, s[0:3], 0 offset:908
	;; [unrolled: 1-line block ×3, first 2 shown]
	s_waitcnt vmcnt(13) lgkmcnt(2)
	v_mul_f64 v[116:117], v[102:103], v[230:231]
	s_waitcnt vmcnt(11)
	v_fmac_f64_e32 v[116:117], v[104:105], v[236:237]
	v_add_f64 v[114:115], v[114:115], v[116:117]
	s_waitcnt vmcnt(10) lgkmcnt(0)
	v_mul_f64 v[116:117], v[106:107], v[214:215]
	s_waitcnt vmcnt(8)
	v_fmac_f64_e32 v[116:117], v[108:109], v[234:235]
	v_add_f64 v[114:115], v[114:115], v[116:117]
	s_waitcnt vmcnt(6)
	v_mul_f64 v[116:117], v[110:111], v[232:233]
	s_waitcnt vmcnt(4)
	v_fmac_f64_e32 v[116:117], v[112:113], v[238:239]
	v_add_f64 v[242:243], v[114:115], v[116:117]
	ds_read_b128 v[114:117], v1 offset:1776
	buffer_load_dword v248, off, s[0:3], 0 offset:336
	buffer_load_dword v249, off, s[0:3], 0 offset:340
	v_add_f64 v[2:3], v[2:3], v[4:5]
	v_mul_f64 v[4:5], v[20:21], v[130:131]
	v_fma_f64 v[4:5], v[18:19], v[132:133], -v[4:5]
	v_add_f64 v[2:3], v[2:3], v[4:5]
	v_mul_f64 v[4:5], v[24:25], v[144:145]
	v_fma_f64 v[4:5], v[22:23], v[146:147], -v[4:5]
	v_add_f64 v[2:3], v[2:3], v[4:5]
	v_mul_f64 v[4:5], v[28:29], v[138:139]
	v_fma_f64 v[4:5], v[26:27], v[140:141], -v[4:5]
	v_add_f64 v[2:3], v[2:3], v[4:5]
	v_mul_f64 v[4:5], v[32:33], v[162:163]
	v_fma_f64 v[4:5], v[30:31], v[166:167], -v[4:5]
	v_add_f64 v[2:3], v[2:3], v[4:5]
	v_mul_f64 v[4:5], v[36:37], v[142:143]
	v_fma_f64 v[4:5], v[34:35], v[148:149], -v[4:5]
	v_add_f64 v[2:3], v[2:3], v[4:5]
	v_mul_f64 v[4:5], v[40:41], v[170:171]
	v_fma_f64 v[4:5], v[38:39], v[174:175], -v[4:5]
	v_add_f64 v[2:3], v[2:3], v[4:5]
	v_mul_f64 v[4:5], v[44:45], v[150:151]
	v_fma_f64 v[4:5], v[42:43], v[152:153], -v[4:5]
	v_add_f64 v[2:3], v[2:3], v[4:5]
	v_mul_f64 v[4:5], v[48:49], v[178:179]
	v_fma_f64 v[4:5], v[46:47], v[182:183], -v[4:5]
	v_add_f64 v[2:3], v[2:3], v[4:5]
	v_mul_f64 v[4:5], v[52:53], v[154:155]
	v_fma_f64 v[4:5], v[50:51], v[156:157], -v[4:5]
	v_add_f64 v[2:3], v[2:3], v[4:5]
	v_mul_f64 v[4:5], v[56:57], v[186:187]
	v_fma_f64 v[4:5], v[54:55], v[190:191], -v[4:5]
	v_add_f64 v[2:3], v[2:3], v[4:5]
	v_mul_f64 v[4:5], v[60:61], v[158:159]
	v_fma_f64 v[4:5], v[58:59], v[160:161], -v[4:5]
	v_add_f64 v[2:3], v[2:3], v[4:5]
	v_mul_f64 v[4:5], v[64:65], v[194:195]
	v_fma_f64 v[4:5], v[62:63], v[196:197], -v[4:5]
	v_add_f64 v[2:3], v[2:3], v[4:5]
	v_mul_f64 v[4:5], v[68:69], v[164:165]
	v_fma_f64 v[4:5], v[66:67], v[168:169], -v[4:5]
	v_add_f64 v[2:3], v[2:3], v[4:5]
	v_mul_f64 v[4:5], v[72:73], v[198:199]
	v_fma_f64 v[4:5], v[70:71], v[200:201], -v[4:5]
	v_add_f64 v[2:3], v[2:3], v[4:5]
	v_mul_f64 v[4:5], v[76:77], v[172:173]
	v_fma_f64 v[4:5], v[74:75], v[176:177], -v[4:5]
	v_add_f64 v[2:3], v[2:3], v[4:5]
	v_mul_f64 v[4:5], v[80:81], v[202:203]
	v_fma_f64 v[4:5], v[78:79], v[204:205], -v[4:5]
	v_add_f64 v[2:3], v[2:3], v[4:5]
	v_mul_f64 v[4:5], v[84:85], v[180:181]
	v_fma_f64 v[4:5], v[82:83], v[184:185], -v[4:5]
	v_add_f64 v[2:3], v[2:3], v[4:5]
	v_mul_f64 v[4:5], v[88:89], v[206:207]
	v_fma_f64 v[4:5], v[86:87], v[208:209], -v[4:5]
	v_add_f64 v[2:3], v[2:3], v[4:5]
	v_mul_f64 v[4:5], v[92:93], v[188:189]
	v_fma_f64 v[4:5], v[90:91], v[192:193], -v[4:5]
	v_add_f64 v[2:3], v[2:3], v[4:5]
	v_mul_f64 v[4:5], v[96:97], v[210:211]
	v_fma_f64 v[4:5], v[94:95], v[212:213], -v[4:5]
	v_add_f64 v[2:3], v[2:3], v[4:5]
	v_mul_f64 v[4:5], v[100:101], v[216:217]
	v_fma_f64 v[4:5], v[98:99], v[218:219], -v[4:5]
	v_add_f64 v[2:3], v[2:3], v[4:5]
	v_mul_f64 v[4:5], v[104:105], v[230:231]
	v_fma_f64 v[4:5], v[102:103], v[236:237], -v[4:5]
	v_add_f64 v[2:3], v[2:3], v[4:5]
	s_waitcnt vmcnt(3) lgkmcnt(0)
	v_mul_f64 v[246:247], v[114:115], v[240:241]
	s_waitcnt vmcnt(2)
	v_fmac_f64_e32 v[246:247], v[116:117], v[244:245]
	v_add_f64 v[242:243], v[242:243], v[246:247]
	buffer_load_dword v246, off, s[0:3], 0 offset:344
	buffer_load_dword v247, off, s[0:3], 0 offset:348
	v_mul_f64 v[4:5], v[108:109], v[214:215]
	v_fma_f64 v[4:5], v[106:107], v[234:235], -v[4:5]
	v_add_f64 v[2:3], v[2:3], v[4:5]
	v_mul_f64 v[4:5], v[112:113], v[232:233]
	v_fma_f64 v[4:5], v[110:111], v[238:239], -v[4:5]
	v_add_f64 v[2:3], v[2:3], v[4:5]
	;; [unrolled: 3-line block ×3, first 2 shown]
	s_waitcnt vmcnt(2)
	v_add_f64 v[2:3], v[248:249], -v[2:3]
	s_waitcnt vmcnt(0)
	v_add_f64 v[4:5], v[246:247], -v[242:243]
	buffer_store_dword v3, off, s[0:3], 0 offset:340
	buffer_store_dword v2, off, s[0:3], 0 offset:336
	;; [unrolled: 1-line block ×4, first 2 shown]
	s_and_saveexec_b64 s[4:5], vcc
	s_cbranch_execz .LBB119_311
; %bb.310:
	v_accvgpr_read_b32 v5, a148
	buffer_load_dword v2, v5, s[0:3], 0 offen
	buffer_load_dword v3, v5, s[0:3], 0 offen offset:4
	buffer_load_dword v4, v5, s[0:3], 0 offen offset:8
	s_nop 0
	buffer_load_dword v5, v5, s[0:3], 0 offen offset:12
	v_accvgpr_read_b32 v6, a167
	buffer_store_dword v1, off, s[0:3], 0 offset:320
	buffer_store_dword v1, off, s[0:3], 0 offset:324
	;; [unrolled: 1-line block ×4, first 2 shown]
	s_waitcnt vmcnt(4)
	ds_write_b128 v6, v[2:5]
.LBB119_311:
	s_or_b64 exec, exec, s[4:5]
	s_waitcnt lgkmcnt(0)
	; wave barrier
	s_waitcnt lgkmcnt(0)
	buffer_load_dword v84, off, s[0:3], 0 offset:336
	buffer_load_dword v85, off, s[0:3], 0 offset:340
	;; [unrolled: 1-line block ×34, first 2 shown]
	ds_read_b128 v[74:77], v1 offset:1216
	ds_read_b128 v[78:81], v1 offset:1232
	;; [unrolled: 1-line block ×8, first 2 shown]
	buffer_load_dword v125, off, s[0:3], 0 offset:452
	buffer_load_dword v124, off, s[0:3], 0 offset:448
	ds_read_b128 v[6:9], v1 offset:1344
	buffer_load_dword v127, off, s[0:3], 0 offset:508
	buffer_load_dword v126, off, s[0:3], 0 offset:504
	;; [unrolled: 1-line block ×80, first 2 shown]
	v_cmp_lt_u32_e32 vcc, 18, v0
	s_waitcnt vmcnt(62) lgkmcnt(8)
	v_mul_f64 v[10:11], v[74:75], v[106:107]
	v_fmac_f64_e32 v[10:11], v[76:77], v[84:85]
	v_add_f64 v[10:11], v[10:11], 0
	v_mul_f64 v[76:77], v[76:77], v[106:107]
	s_waitcnt lgkmcnt(7)
	v_mul_f64 v[12:13], v[78:79], v[96:97]
	v_fmac_f64_e32 v[12:13], v[80:81], v[82:83]
	s_waitcnt lgkmcnt(6)
	v_mul_f64 v[14:15], v[86:87], v[94:95]
	v_add_f64 v[10:11], v[10:11], v[12:13]
	s_waitcnt lgkmcnt(4)
	v_mul_f64 v[18:19], v[98:99], v[108:109]
	v_fma_f64 v[222:223], v[74:75], v[84:85], -v[76:77]
	v_fmac_f64_e32 v[18:19], v[100:101], v[114:115]
	v_mul_f64 v[80:81], v[80:81], v[96:97]
	v_mul_f64 v[16:17], v[90:91], v[116:117]
	v_fma_f64 v[224:225], v[78:79], v[82:83], -v[80:81]
	s_waitcnt lgkmcnt(2)
	v_mul_f64 v[22:23], v[110:111], v[240:241]
	v_mul_f64 v[100:101], v[100:101], v[108:109]
	v_fma_f64 v[228:229], v[98:99], v[114:115], -v[100:101]
	v_mul_f64 v[20:21], v[102:103], v[244:245]
	v_add_f64 v[222:223], v[222:223], 0
	s_waitcnt lgkmcnt(1)
	v_mul_f64 v[24:25], v[2:3], v[118:119]
	v_add_f64 v[222:223], v[222:223], v[224:225]
	v_fmac_f64_e32 v[14:15], v[88:89], v[250:251]
	v_add_f64 v[10:11], v[10:11], v[14:15]
	v_fmac_f64_e32 v[16:17], v[92:93], v[248:249]
	;; [unrolled: 2-line block ×4, first 2 shown]
	v_add_f64 v[10:11], v[10:11], v[20:21]
	v_add_f64 v[10:11], v[10:11], v[22:23]
	s_waitcnt lgkmcnt(0)
	v_mul_f64 v[16:17], v[6:7], v[120:121]
	v_fmac_f64_e32 v[16:17], v[8:9], v[122:123]
	v_fmac_f64_e32 v[24:25], v[4:5], v[124:125]
	v_add_f64 v[14:15], v[10:11], v[24:25]
	ds_read_b128 v[10:13], v1 offset:1360
	v_add_f64 v[18:19], v[14:15], v[16:17]
	ds_read_b128 v[14:17], v1 offset:1376
	v_mul_f64 v[88:89], v[88:89], v[94:95]
	v_mul_f64 v[92:93], v[92:93], v[116:117]
	s_waitcnt lgkmcnt(1)
	v_mul_f64 v[20:21], v[10:11], v[130:131]
	v_fmac_f64_e32 v[20:21], v[12:13], v[132:133]
	s_waitcnt lgkmcnt(0)
	v_mul_f64 v[24:25], v[14:15], v[126:127]
	v_add_f64 v[22:23], v[18:19], v[20:21]
	ds_read_b128 v[18:21], v1 offset:1392
	v_fmac_f64_e32 v[24:25], v[16:17], v[128:129]
	v_add_f64 v[26:27], v[22:23], v[24:25]
	ds_read_b128 v[22:25], v1 offset:1408
	v_fma_f64 v[226:227], v[90:91], v[248:249], -v[92:93]
	s_waitcnt lgkmcnt(1)
	v_mul_f64 v[28:29], v[18:19], v[142:143]
	v_fmac_f64_e32 v[28:29], v[20:21], v[144:145]
	v_add_f64 v[30:31], v[26:27], v[28:29]
	s_waitcnt lgkmcnt(0)
	v_mul_f64 v[32:33], v[22:23], v[134:135]
	ds_read_b128 v[26:29], v1 offset:1424
	v_fmac_f64_e32 v[32:33], v[24:25], v[136:137]
	v_add_f64 v[34:35], v[30:31], v[32:33]
	ds_read_b128 v[30:33], v1 offset:1440
	v_mul_f64 v[104:105], v[104:105], v[244:245]
	s_waitcnt vmcnt(58) lgkmcnt(1)
	v_mul_f64 v[36:37], v[26:27], v[158:159]
	s_waitcnt vmcnt(56)
	v_fmac_f64_e32 v[36:37], v[28:29], v[162:163]
	v_add_f64 v[38:39], v[34:35], v[36:37]
	s_waitcnt lgkmcnt(0)
	v_mul_f64 v[40:41], v[30:31], v[138:139]
	ds_read_b128 v[34:37], v1 offset:1456
	v_fmac_f64_e32 v[40:41], v[32:33], v[140:141]
	v_add_f64 v[42:43], v[38:39], v[40:41]
	ds_read_b128 v[38:41], v1 offset:1472
	v_mul_f64 v[112:113], v[112:113], v[240:241]
	s_waitcnt vmcnt(50) lgkmcnt(1)
	v_mul_f64 v[44:45], v[34:35], v[166:167]
	s_waitcnt vmcnt(48)
	v_fmac_f64_e32 v[44:45], v[36:37], v[170:171]
	v_add_f64 v[46:47], v[42:43], v[44:45]
	s_waitcnt lgkmcnt(0)
	v_mul_f64 v[48:49], v[38:39], v[146:147]
	v_fmac_f64_e32 v[48:49], v[40:41], v[148:149]
	ds_read_b128 v[42:45], v1 offset:1488
	v_add_f64 v[50:51], v[46:47], v[48:49]
	ds_read_b128 v[46:49], v1 offset:1504
	buffer_load_dword v207, off, s[0:3], 0 offset:828
	buffer_load_dword v209, off, s[0:3], 0 offset:812
	;; [unrolled: 1-line block ×12, first 2 shown]
	v_fma_f64 v[252:253], v[110:111], v[242:243], -v[112:113]
	s_waitcnt vmcnt(54) lgkmcnt(1)
	v_mul_f64 v[52:53], v[42:43], v[174:175]
	s_waitcnt vmcnt(52)
	v_fmac_f64_e32 v[52:53], v[44:45], v[178:179]
	v_add_f64 v[54:55], v[50:51], v[52:53]
	ds_read_b128 v[50:53], v1 offset:1520
	s_waitcnt lgkmcnt(1)
	v_mul_f64 v[56:57], v[46:47], v[150:151]
	v_fmac_f64_e32 v[56:57], v[48:49], v[152:153]
	buffer_load_dword v231, off, s[0:3], 0 offset:860
	buffer_load_dword v230, off, s[0:3], 0 offset:856
	;; [unrolled: 1-line block ×12, first 2 shown]
	v_add_f64 v[58:59], v[54:55], v[56:57]
	ds_read_b128 v[54:57], v1 offset:1536
	s_waitcnt vmcnt(58) lgkmcnt(1)
	v_mul_f64 v[60:61], v[50:51], v[182:183]
	s_waitcnt vmcnt(56)
	v_fmac_f64_e32 v[60:61], v[52:53], v[186:187]
	v_add_f64 v[62:63], v[58:59], v[60:61]
	ds_read_b128 v[58:61], v1 offset:1552
	s_waitcnt lgkmcnt(1)
	v_mul_f64 v[64:65], v[54:55], v[154:155]
	v_fmac_f64_e32 v[64:65], v[56:57], v[156:157]
	v_add_f64 v[70:71], v[62:63], v[64:65]
	ds_read_b128 v[62:65], v1 offset:1568
	ds_read_b128 v[66:69], v1 offset:1584
	s_waitcnt vmcnt(50) lgkmcnt(2)
	v_mul_f64 v[72:73], v[58:59], v[190:191]
	s_waitcnt vmcnt(48)
	v_fmac_f64_e32 v[72:73], v[60:61], v[192:193]
	v_add_f64 v[70:71], v[70:71], v[72:73]
	s_waitcnt lgkmcnt(1)
	v_mul_f64 v[72:73], v[62:63], v[160:161]
	v_fmac_f64_e32 v[72:73], v[64:65], v[164:165]
	v_add_f64 v[70:71], v[70:71], v[72:73]
	s_waitcnt vmcnt(42) lgkmcnt(0)
	v_mul_f64 v[72:73], v[66:67], v[194:195]
	s_waitcnt vmcnt(40)
	v_fmac_f64_e32 v[72:73], v[68:69], v[196:197]
	v_add_f64 v[220:221], v[70:71], v[72:73]
	ds_read_b128 v[70:73], v1 offset:1600
	ds_read_b128 v[74:77], v1 offset:1616
	;; [unrolled: 1-line block ×5, first 2 shown]
	s_waitcnt lgkmcnt(4)
	v_mul_f64 v[84:85], v[70:71], v[168:169]
	v_fmac_f64_e32 v[84:85], v[72:73], v[172:173]
	v_add_f64 v[82:83], v[220:221], v[84:85]
	s_waitcnt vmcnt(34) lgkmcnt(3)
	v_mul_f64 v[84:85], v[74:75], v[198:199]
	s_waitcnt vmcnt(32)
	v_fmac_f64_e32 v[84:85], v[76:77], v[200:201]
	v_add_f64 v[82:83], v[82:83], v[84:85]
	v_fma_f64 v[220:221], v[86:87], v[250:251], -v[88:89]
	ds_read_b128 v[86:89], v1 offset:1664
	s_waitcnt lgkmcnt(3)
	v_mul_f64 v[84:85], v[78:79], v[176:177]
	v_fmac_f64_e32 v[84:85], v[80:81], v[180:181]
	v_add_f64 v[96:97], v[82:83], v[84:85]
	ds_read_b128 v[82:85], v1 offset:1648
	v_fma_f64 v[250:251], v[102:103], v[246:247], -v[104:105]
	ds_read_b128 v[110:113], v1 offset:1760
	v_add_f64 v[220:221], v[222:223], v[220:221]
	v_add_f64 v[220:221], v[220:221], v[226:227]
	s_waitcnt vmcnt(26) lgkmcnt(1)
	v_mul_f64 v[94:95], v[82:83], v[202:203]
	s_waitcnt vmcnt(24)
	v_fmac_f64_e32 v[94:95], v[84:85], v[204:205]
	v_add_f64 v[94:95], v[96:97], v[94:95]
	v_mul_f64 v[96:97], v[86:87], v[184:185]
	v_fmac_f64_e32 v[96:97], v[88:89], v[188:189]
	v_add_f64 v[106:107], v[94:95], v[96:97]
	ds_read_b128 v[94:97], v1 offset:1696
	v_add_f64 v[254:255], v[220:221], v[228:229]
	v_add_f64 v[220:221], v[254:255], v[250:251]
	v_mul_f64 v[4:5], v[4:5], v[118:119]
	v_add_f64 v[220:221], v[220:221], v[252:253]
	ds_read_b128 v[102:105], v1 offset:1744
	v_fma_f64 v[2:3], v[2:3], v[124:125], -v[4:5]
	v_mul_f64 v[4:5], v[8:9], v[120:121]
	v_add_f64 v[2:3], v[220:221], v[2:3]
	v_fma_f64 v[4:5], v[6:7], v[122:123], -v[4:5]
	v_add_f64 v[2:3], v[2:3], v[4:5]
	v_mul_f64 v[4:5], v[12:13], v[130:131]
	v_fma_f64 v[4:5], v[10:11], v[132:133], -v[4:5]
	v_add_f64 v[2:3], v[2:3], v[4:5]
	v_mul_f64 v[4:5], v[16:17], v[126:127]
	s_waitcnt vmcnt(21)
	v_mul_f64 v[108:109], v[90:91], v[208:209]
	v_fma_f64 v[4:5], v[14:15], v[128:129], -v[4:5]
	s_waitcnt vmcnt(19)
	v_fmac_f64_e32 v[108:109], v[92:93], v[214:215]
	v_add_f64 v[106:107], v[106:107], v[108:109]
	s_waitcnt vmcnt(18) lgkmcnt(1)
	v_mul_f64 v[108:109], v[94:95], v[206:207]
	s_waitcnt vmcnt(16)
	v_fmac_f64_e32 v[108:109], v[96:97], v[212:213]
	v_add_f64 v[114:115], v[106:107], v[108:109]
	ds_read_b128 v[106:109], v1 offset:1728
	buffer_load_dword v243, off, s[0:3], 0 offset:908
	buffer_load_dword v242, off, s[0:3], 0 offset:904
	;; [unrolled: 1-line block ×4, first 2 shown]
	s_waitcnt vmcnt(18)
	v_mul_f64 v[116:117], v[98:99], v[210:211]
	s_waitcnt vmcnt(16)
	v_fmac_f64_e32 v[116:117], v[100:101], v[216:217]
	v_add_f64 v[114:115], v[114:115], v[116:117]
	s_waitcnt vmcnt(14) lgkmcnt(0)
	v_mul_f64 v[116:117], v[106:107], v[230:231]
	s_waitcnt vmcnt(12)
	v_fmac_f64_e32 v[116:117], v[108:109], v[232:233]
	v_add_f64 v[114:115], v[114:115], v[116:117]
	s_waitcnt vmcnt(9)
	v_mul_f64 v[116:117], v[102:103], v[236:237]
	s_waitcnt vmcnt(7)
	v_fmac_f64_e32 v[116:117], v[104:105], v[238:239]
	v_add_f64 v[114:115], v[114:115], v[116:117]
	s_waitcnt vmcnt(5)
	v_mul_f64 v[116:117], v[110:111], v[218:219]
	s_waitcnt vmcnt(4)
	v_fmac_f64_e32 v[116:117], v[112:113], v[234:235]
	v_add_f64 v[240:241], v[114:115], v[116:117]
	ds_read_b128 v[114:117], v1 offset:1776
	v_add_f64 v[2:3], v[2:3], v[4:5]
	v_mul_f64 v[4:5], v[20:21], v[142:143]
	v_fma_f64 v[4:5], v[18:19], v[144:145], -v[4:5]
	v_add_f64 v[2:3], v[2:3], v[4:5]
	v_mul_f64 v[4:5], v[24:25], v[134:135]
	v_fma_f64 v[4:5], v[22:23], v[136:137], -v[4:5]
	;; [unrolled: 3-line block ×21, first 2 shown]
	v_add_f64 v[2:3], v[2:3], v[4:5]
	s_waitcnt vmcnt(2) lgkmcnt(0)
	v_mul_f64 v[246:247], v[114:115], v[242:243]
	v_mul_f64 v[4:5], v[108:109], v[230:231]
	s_waitcnt vmcnt(0)
	v_fmac_f64_e32 v[246:247], v[116:117], v[244:245]
	v_add_f64 v[240:241], v[240:241], v[246:247]
	buffer_load_dword v248, off, s[0:3], 0 offset:320
	buffer_load_dword v249, off, s[0:3], 0 offset:324
	;; [unrolled: 1-line block ×4, first 2 shown]
	v_fma_f64 v[4:5], v[106:107], v[232:233], -v[4:5]
	v_add_f64 v[2:3], v[2:3], v[4:5]
	v_mul_f64 v[4:5], v[104:105], v[236:237]
	v_fma_f64 v[4:5], v[102:103], v[238:239], -v[4:5]
	v_add_f64 v[2:3], v[2:3], v[4:5]
	v_mul_f64 v[4:5], v[112:113], v[218:219]
	;; [unrolled: 3-line block ×3, first 2 shown]
	v_fma_f64 v[4:5], v[114:115], v[244:245], -v[4:5]
	v_add_f64 v[2:3], v[2:3], v[4:5]
	s_waitcnt vmcnt(2)
	v_add_f64 v[2:3], v[248:249], -v[2:3]
	s_waitcnt vmcnt(0)
	v_add_f64 v[4:5], v[246:247], -v[240:241]
	buffer_store_dword v3, off, s[0:3], 0 offset:324
	buffer_store_dword v2, off, s[0:3], 0 offset:320
	;; [unrolled: 1-line block ×4, first 2 shown]
	s_and_saveexec_b64 s[4:5], vcc
	s_cbranch_execz .LBB119_313
; %bb.312:
	v_accvgpr_read_b32 v1, a149
	buffer_load_dword v2, v1, s[0:3], 0 offen
	buffer_load_dword v3, v1, s[0:3], 0 offen offset:4
	buffer_load_dword v4, v1, s[0:3], 0 offen offset:8
	;; [unrolled: 1-line block ×3, first 2 shown]
	v_mov_b32_e32 v1, 0
	v_accvgpr_read_b32 v6, a167
	buffer_store_dword v1, off, s[0:3], 0 offset:304
	buffer_store_dword v1, off, s[0:3], 0 offset:308
	;; [unrolled: 1-line block ×4, first 2 shown]
	s_waitcnt vmcnt(4)
	ds_write_b128 v6, v[2:5]
.LBB119_313:
	s_or_b64 exec, exec, s[4:5]
	s_waitcnt lgkmcnt(0)
	; wave barrier
	s_waitcnt lgkmcnt(0)
	buffer_load_dword v66, off, s[0:3], 0 offset:320
	buffer_load_dword v67, off, s[0:3], 0 offset:324
	;; [unrolled: 1-line block ×55, first 2 shown]
	v_mov_b32_e32 v1, 0
	ds_read_b128 v[74:77], v1 offset:1200
	ds_read_b128 v[86:89], v1 offset:1216
	;; [unrolled: 1-line block ×9, first 2 shown]
	buffer_load_dword v136, off, s[0:3], 0 offset:544
	buffer_load_dword v155, off, s[0:3], 0 offset:540
	;; [unrolled: 1-line block ×61, first 2 shown]
	v_cmp_lt_u32_e32 vcc, 17, v0
	s_waitcnt vmcnt(62) lgkmcnt(8)
	v_mul_f64 v[6:7], v[74:75], v[68:69]
	v_fmac_f64_e32 v[6:7], v[76:77], v[66:67]
	v_add_f64 v[6:7], v[6:7], 0
	v_mul_f64 v[68:69], v[76:77], v[68:69]
	s_waitcnt lgkmcnt(7)
	v_mul_f64 v[8:9], v[86:87], v[72:73]
	v_fmac_f64_e32 v[8:9], v[88:89], v[70:71]
	s_waitcnt lgkmcnt(6)
	v_mul_f64 v[10:11], v[98:99], v[78:79]
	v_add_f64 v[6:7], v[6:7], v[8:9]
	s_waitcnt lgkmcnt(4)
	v_mul_f64 v[14:15], v[114:115], v[90:91]
	v_fma_f64 v[222:223], v[74:75], v[66:67], -v[68:69]
	v_fmac_f64_e32 v[14:15], v[116:117], v[92:93]
	v_mul_f64 v[72:73], v[88:89], v[72:73]
	v_mul_f64 v[12:13], v[110:111], v[82:83]
	v_mul_f64 v[78:79], v[100:101], v[78:79]
	s_waitcnt lgkmcnt(2)
	v_mul_f64 v[18:19], v[244:245], v[102:103]
	v_mul_f64 v[82:83], v[112:113], v[82:83]
	;; [unrolled: 1-line block ×4, first 2 shown]
	v_fma_f64 v[228:229], v[114:115], v[92:93], -v[90:91]
	s_waitcnt lgkmcnt(1)
	v_mul_f64 v[20:21], v[248:249], v[106:107]
	v_fmac_f64_e32 v[20:21], v[250:251], v[108:109]
	v_fmac_f64_e32 v[10:11], v[100:101], v[80:81]
	v_add_f64 v[6:7], v[6:7], v[10:11]
	v_fmac_f64_e32 v[12:13], v[112:113], v[84:85]
	v_add_f64 v[6:7], v[6:7], v[12:13]
	;; [unrolled: 2-line block ×4, first 2 shown]
	v_add_f64 v[6:7], v[6:7], v[18:19]
	v_add_f64 v[10:11], v[6:7], v[20:21]
	ds_read_b128 v[6:9], v1 offset:1344
	s_waitcnt lgkmcnt(1)
	v_mul_f64 v[12:13], v[2:3], v[118:119]
	v_fmac_f64_e32 v[12:13], v[4:5], v[120:121]
	v_add_f64 v[14:15], v[10:11], v[12:13]
	ds_read_b128 v[10:13], v1 offset:1360
	s_waitcnt lgkmcnt(1)
	v_mul_f64 v[16:17], v[6:7], v[126:127]
	v_fmac_f64_e32 v[16:17], v[8:9], v[128:129]
	;; [unrolled: 5-line block ×5, first 2 shown]
	v_add_f64 v[30:31], v[26:27], v[28:29]
	ds_read_b128 v[26:29], v1 offset:1424
	s_waitcnt vmcnt(58) lgkmcnt(1)
	v_mul_f64 v[32:33], v[22:23], v[154:155]
	s_waitcnt vmcnt(56)
	v_fmac_f64_e32 v[32:33], v[24:25], v[158:159]
	v_add_f64 v[34:35], v[30:31], v[32:33]
	ds_read_b128 v[30:33], v1 offset:1440
	s_waitcnt lgkmcnt(1)
	v_mul_f64 v[36:37], v[26:27], v[134:135]
	v_fmac_f64_e32 v[36:37], v[28:29], v[136:137]
	v_add_f64 v[38:39], v[34:35], v[36:37]
	ds_read_b128 v[34:37], v1 offset:1456
	s_waitcnt vmcnt(50) lgkmcnt(1)
	v_mul_f64 v[40:41], v[30:31], v[162:163]
	s_waitcnt vmcnt(48)
	v_fmac_f64_e32 v[40:41], v[32:33], v[166:167]
	v_add_f64 v[42:43], v[38:39], v[40:41]
	ds_read_b128 v[38:41], v1 offset:1472
	s_waitcnt lgkmcnt(1)
	v_mul_f64 v[44:45], v[34:35], v[142:143]
	v_fmac_f64_e32 v[44:45], v[36:37], v[144:145]
	v_add_f64 v[46:47], v[42:43], v[44:45]
	ds_read_b128 v[42:45], v1 offset:1488
	s_waitcnt vmcnt(42) lgkmcnt(1)
	v_mul_f64 v[48:49], v[38:39], v[170:171]
	s_waitcnt vmcnt(40)
	v_fmac_f64_e32 v[48:49], v[40:41], v[174:175]
	v_add_f64 v[50:51], v[46:47], v[48:49]
	ds_read_b128 v[46:49], v1 offset:1504
	buffer_load_dword v203, off, s[0:3], 0 offset:796
	buffer_load_dword v202, off, s[0:3], 0 offset:792
	;; [unrolled: 1-line block ×4, first 2 shown]
	s_waitcnt lgkmcnt(1)
	v_mul_f64 v[52:53], v[42:43], v[146:147]
	v_fmac_f64_e32 v[52:53], v[44:45], v[148:149]
	v_add_f64 v[54:55], v[50:51], v[52:53]
	ds_read_b128 v[50:53], v1 offset:1520
	buffer_load_dword v207, off, s[0:3], 0 offset:812
	buffer_load_dword v206, off, s[0:3], 0 offset:808
	;; [unrolled: 1-line block ×8, first 2 shown]
	s_waitcnt vmcnt(46) lgkmcnt(1)
	v_mul_f64 v[56:57], v[46:47], v[178:179]
	s_waitcnt vmcnt(44)
	v_fmac_f64_e32 v[56:57], v[48:49], v[182:183]
	v_add_f64 v[58:59], v[54:55], v[56:57]
	ds_read_b128 v[54:57], v1 offset:1536
	buffer_load_dword v217, off, s[0:3], 0 offset:844
	buffer_load_dword v216, off, s[0:3], 0 offset:840
	;; [unrolled: 1-line block ×12, first 2 shown]
	s_waitcnt lgkmcnt(1)
	v_mul_f64 v[60:61], v[50:51], v[150:151]
	v_fmac_f64_e32 v[60:61], v[52:53], v[152:153]
	v_add_f64 v[62:63], v[58:59], v[60:61]
	ds_read_b128 v[58:61], v1 offset:1552
	s_waitcnt vmcnt(50) lgkmcnt(1)
	v_mul_f64 v[64:65], v[54:55], v[186:187]
	s_waitcnt vmcnt(48)
	v_fmac_f64_e32 v[64:65], v[56:57], v[188:189]
	v_add_f64 v[62:63], v[62:63], v[64:65]
	buffer_load_dword v237, off, s[0:3], 0 offset:892
	buffer_load_dword v236, off, s[0:3], 0 offset:888
	;; [unrolled: 1-line block ×4, first 2 shown]
	s_waitcnt lgkmcnt(0)
	v_mul_f64 v[64:65], v[58:59], v[156:157]
	v_fmac_f64_e32 v[64:65], v[60:61], v[160:161]
	v_add_f64 v[220:221], v[62:63], v[64:65]
	ds_read_b128 v[62:65], v1 offset:1568
	ds_read_b128 v[66:69], v1 offset:1584
	v_fma_f64 v[224:225], v[98:99], v[80:81], -v[78:79]
	ds_read_b128 v[78:81], v1 offset:1632
	v_fma_f64 v[226:227], v[110:111], v[84:85], -v[82:83]
	ds_read_b128 v[82:85], v1 offset:1648
	s_waitcnt vmcnt(46) lgkmcnt(3)
	v_mul_f64 v[74:75], v[62:63], v[190:191]
	s_waitcnt vmcnt(44)
	v_fmac_f64_e32 v[74:75], v[64:65], v[192:193]
	v_add_f64 v[74:75], v[220:221], v[74:75]
	v_fma_f64 v[220:221], v[86:87], v[70:71], -v[72:73]
	ds_read_b128 v[70:73], v1 offset:1600
	s_waitcnt lgkmcnt(3)
	v_mul_f64 v[76:77], v[66:67], v[164:165]
	v_fmac_f64_e32 v[76:77], v[68:69], v[168:169]
	v_add_f64 v[86:87], v[74:75], v[76:77]
	ds_read_b128 v[74:77], v1 offset:1616
	s_waitcnt vmcnt(38) lgkmcnt(1)
	v_mul_f64 v[88:89], v[70:71], v[194:195]
	s_waitcnt vmcnt(36)
	v_fmac_f64_e32 v[88:89], v[72:73], v[196:197]
	v_add_f64 v[86:87], v[86:87], v[88:89]
	ds_read_b128 v[90:93], v1 offset:1680
	s_waitcnt lgkmcnt(1)
	v_mul_f64 v[88:89], v[74:75], v[172:173]
	v_fmac_f64_e32 v[88:89], v[76:77], v[176:177]
	v_add_f64 v[86:87], v[86:87], v[88:89]
	s_waitcnt vmcnt(30)
	v_mul_f64 v[88:89], v[78:79], v[198:199]
	s_waitcnt vmcnt(28)
	v_fmac_f64_e32 v[88:89], v[80:81], v[200:201]
	v_add_f64 v[86:87], v[86:87], v[88:89]
	v_mul_f64 v[88:89], v[82:83], v[180:181]
	v_fmac_f64_e32 v[88:89], v[84:85], v[184:185]
	v_add_f64 v[98:99], v[86:87], v[88:89]
	ds_read_b128 v[86:89], v1 offset:1664
	v_mul_f64 v[94:95], v[242:243], v[94:95]
	v_fma_f64 v[252:253], v[240:241], v[96:97], -v[94:95]
	ds_read_b128 v[94:97], v1 offset:1696
	v_mul_f64 v[102:103], v[246:247], v[102:103]
	v_fma_f64 v[246:247], v[244:245], v[104:105], -v[102:103]
	ds_read_b128 v[102:105], v1 offset:1728
	v_mul_f64 v[106:107], v[250:251], v[106:107]
	v_fma_f64 v[250:251], v[248:249], v[108:109], -v[106:107]
	v_add_f64 v[222:223], v[222:223], 0
	v_add_f64 v[220:221], v[222:223], v[220:221]
	;; [unrolled: 1-line block ×7, first 2 shown]
	v_mul_f64 v[4:5], v[4:5], v[118:119]
	v_add_f64 v[220:221], v[252:253], v[250:251]
	v_fma_f64 v[2:3], v[2:3], v[120:121], -v[4:5]
	v_mul_f64 v[4:5], v[8:9], v[126:127]
	v_add_f64 v[2:3], v[220:221], v[2:3]
	v_fma_f64 v[4:5], v[6:7], v[128:129], -v[4:5]
	v_add_f64 v[2:3], v[2:3], v[4:5]
	ds_read_b128 v[106:109], v1 offset:1744
	v_mul_f64 v[4:5], v[12:13], v[122:123]
	v_fma_f64 v[4:5], v[10:11], v[124:125], -v[4:5]
	v_add_f64 v[2:3], v[2:3], v[4:5]
	s_waitcnt vmcnt(26) lgkmcnt(3)
	v_mul_f64 v[100:101], v[86:87], v[202:203]
	v_mul_f64 v[4:5], v[16:17], v[138:139]
	s_waitcnt vmcnt(24)
	v_fmac_f64_e32 v[100:101], v[88:89], v[204:205]
	v_add_f64 v[98:99], v[98:99], v[100:101]
	s_waitcnt vmcnt(22)
	v_mul_f64 v[100:101], v[90:91], v[206:207]
	s_waitcnt vmcnt(20)
	v_fmac_f64_e32 v[100:101], v[92:93], v[210:211]
	v_add_f64 v[98:99], v[98:99], v[100:101]
	s_waitcnt vmcnt(18) lgkmcnt(2)
	v_mul_f64 v[100:101], v[94:95], v[208:209]
	s_waitcnt vmcnt(16)
	v_fmac_f64_e32 v[100:101], v[96:97], v[212:213]
	v_add_f64 v[110:111], v[98:99], v[100:101]
	ds_read_b128 v[98:101], v1 offset:1712
	v_fma_f64 v[4:5], v[14:15], v[140:141], -v[4:5]
	v_add_f64 v[2:3], v[2:3], v[4:5]
	v_mul_f64 v[4:5], v[20:21], v[130:131]
	v_fma_f64 v[4:5], v[18:19], v[132:133], -v[4:5]
	s_waitcnt vmcnt(14) lgkmcnt(0)
	v_mul_f64 v[112:113], v[98:99], v[216:217]
	s_waitcnt vmcnt(12)
	v_fmac_f64_e32 v[112:113], v[100:101], v[218:219]
	v_add_f64 v[110:111], v[110:111], v[112:113]
	s_waitcnt vmcnt(9)
	v_mul_f64 v[112:113], v[102:103], v[232:233]
	s_waitcnt vmcnt(7)
	v_fmac_f64_e32 v[112:113], v[104:105], v[234:235]
	v_add_f64 v[110:111], v[110:111], v[112:113]
	s_waitcnt vmcnt(5)
	v_mul_f64 v[112:113], v[106:107], v[214:215]
	s_waitcnt vmcnt(4)
	v_fmac_f64_e32 v[112:113], v[108:109], v[230:231]
	v_add_f64 v[114:115], v[110:111], v[112:113]
	ds_read_b128 v[110:113], v1 offset:1760
	buffer_load_dword v242, off, s[0:3], 0 offset:904
	buffer_load_dword v243, off, s[0:3], 0 offset:908
	;; [unrolled: 1-line block ×4, first 2 shown]
	v_add_f64 v[2:3], v[2:3], v[4:5]
	v_mul_f64 v[4:5], v[24:25], v[154:155]
	v_fma_f64 v[4:5], v[22:23], v[158:159], -v[4:5]
	s_waitcnt vmcnt(6) lgkmcnt(0)
	v_mul_f64 v[116:117], v[110:111], v[236:237]
	s_waitcnt vmcnt(4)
	v_fmac_f64_e32 v[116:117], v[112:113], v[238:239]
	v_add_f64 v[240:241], v[114:115], v[116:117]
	ds_read_b128 v[114:117], v1 offset:1776
	v_add_f64 v[2:3], v[2:3], v[4:5]
	v_mul_f64 v[4:5], v[28:29], v[134:135]
	v_fma_f64 v[4:5], v[26:27], v[136:137], -v[4:5]
	v_add_f64 v[2:3], v[2:3], v[4:5]
	v_mul_f64 v[4:5], v[32:33], v[162:163]
	v_fma_f64 v[4:5], v[30:31], v[166:167], -v[4:5]
	;; [unrolled: 3-line block ×22, first 2 shown]
	v_add_f64 v[2:3], v[2:3], v[4:5]
	s_waitcnt vmcnt(2) lgkmcnt(0)
	v_mul_f64 v[248:249], v[114:115], v[242:243]
	v_mul_f64 v[4:5], v[116:117], v[242:243]
	s_waitcnt vmcnt(0)
	v_fmac_f64_e32 v[248:249], v[116:117], v[244:245]
	v_add_f64 v[240:241], v[240:241], v[248:249]
	buffer_load_dword v248, off, s[0:3], 0 offset:304
	buffer_load_dword v249, off, s[0:3], 0 offset:308
	;; [unrolled: 1-line block ×4, first 2 shown]
	v_fma_f64 v[4:5], v[114:115], v[244:245], -v[4:5]
	v_add_f64 v[2:3], v[2:3], v[4:5]
	s_waitcnt vmcnt(2)
	v_add_f64 v[2:3], v[248:249], -v[2:3]
	s_waitcnt vmcnt(0)
	v_add_f64 v[4:5], v[246:247], -v[240:241]
	buffer_store_dword v3, off, s[0:3], 0 offset:308
	buffer_store_dword v2, off, s[0:3], 0 offset:304
	;; [unrolled: 1-line block ×4, first 2 shown]
	s_and_saveexec_b64 s[4:5], vcc
	s_cbranch_execz .LBB119_315
; %bb.314:
	v_accvgpr_read_b32 v5, a150
	buffer_load_dword v2, v5, s[0:3], 0 offen
	buffer_load_dword v3, v5, s[0:3], 0 offen offset:4
	buffer_load_dword v4, v5, s[0:3], 0 offen offset:8
	s_nop 0
	buffer_load_dword v5, v5, s[0:3], 0 offen offset:12
	v_accvgpr_read_b32 v6, a167
	buffer_store_dword v1, off, s[0:3], 0 offset:288
	buffer_store_dword v1, off, s[0:3], 0 offset:292
	;; [unrolled: 1-line block ×4, first 2 shown]
	s_waitcnt vmcnt(4)
	ds_write_b128 v6, v[2:5]
.LBB119_315:
	s_or_b64 exec, exec, s[4:5]
	s_waitcnt lgkmcnt(0)
	; wave barrier
	s_waitcnt lgkmcnt(0)
	buffer_load_dword v66, off, s[0:3], 0 offset:304
	buffer_load_dword v67, off, s[0:3], 0 offset:308
	;; [unrolled: 1-line block ×42, first 2 shown]
	ds_read_b128 v[78:81], v1 offset:1184
	ds_read_b128 v[90:93], v1 offset:1200
	;; [unrolled: 1-line block ×10, first 2 shown]
	buffer_load_dword v129, off, s[0:3], 0 offset:452
	buffer_load_dword v128, off, s[0:3], 0 offset:448
	ds_read_b128 v[6:9], v1 offset:1344
	buffer_load_dword v125, off, s[0:3], 0 offset:508
	buffer_load_dword v124, off, s[0:3], 0 offset:504
	buffer_load_dword v127, off, s[0:3], 0 offset:500
	buffer_load_dword v126, off, s[0:3], 0 offset:496
	buffer_load_dword v131, off, s[0:3], 0 offset:492
	buffer_load_dword v130, off, s[0:3], 0 offset:488
	buffer_load_dword v147, off, s[0:3], 0 offset:484
	buffer_load_dword v146, off, s[0:3], 0 offset:480
	buffer_load_dword v133, off, s[0:3], 0 offset:540
	buffer_load_dword v132, off, s[0:3], 0 offset:536
	buffer_load_dword v135, off, s[0:3], 0 offset:532
	buffer_load_dword v134, off, s[0:3], 0 offset:528
	buffer_load_dword v151, off, s[0:3], 0 offset:524
	buffer_load_dword v150, off, s[0:3], 0 offset:520
	buffer_load_dword v155, off, s[0:3], 0 offset:516
	buffer_load_dword v154, off, s[0:3], 0 offset:512
	buffer_load_dword v137, off, s[0:3], 0 offset:572
	buffer_load_dword v136, off, s[0:3], 0 offset:568
	buffer_load_dword v139, off, s[0:3], 0 offset:564
	buffer_load_dword v138, off, s[0:3], 0 offset:560
	buffer_load_dword v159, off, s[0:3], 0 offset:556
	buffer_load_dword v158, off, s[0:3], 0 offset:552
	buffer_load_dword v163, off, s[0:3], 0 offset:548
	buffer_load_dword v162, off, s[0:3], 0 offset:544
	buffer_load_dword v141, off, s[0:3], 0 offset:604
	buffer_load_dword v140, off, s[0:3], 0 offset:600
	buffer_load_dword v143, off, s[0:3], 0 offset:596
	buffer_load_dword v142, off, s[0:3], 0 offset:592
	buffer_load_dword v167, off, s[0:3], 0 offset:588
	buffer_load_dword v166, off, s[0:3], 0 offset:584
	buffer_load_dword v171, off, s[0:3], 0 offset:580
	buffer_load_dword v170, off, s[0:3], 0 offset:576
	buffer_load_dword v145, off, s[0:3], 0 offset:636
	buffer_load_dword v144, off, s[0:3], 0 offset:632
	buffer_load_dword v149, off, s[0:3], 0 offset:628
	buffer_load_dword v148, off, s[0:3], 0 offset:624
	buffer_load_dword v175, off, s[0:3], 0 offset:620
	buffer_load_dword v174, off, s[0:3], 0 offset:616
	buffer_load_dword v179, off, s[0:3], 0 offset:612
	buffer_load_dword v178, off, s[0:3], 0 offset:608
	buffer_load_dword v153, off, s[0:3], 0 offset:668
	buffer_load_dword v152, off, s[0:3], 0 offset:664
	buffer_load_dword v157, off, s[0:3], 0 offset:660
	buffer_load_dword v156, off, s[0:3], 0 offset:656
	buffer_load_dword v183, off, s[0:3], 0 offset:652
	buffer_load_dword v182, off, s[0:3], 0 offset:648
	buffer_load_dword v187, off, s[0:3], 0 offset:644
	buffer_load_dword v186, off, s[0:3], 0 offset:640
	buffer_load_dword v161, off, s[0:3], 0 offset:700
	buffer_load_dword v160, off, s[0:3], 0 offset:696
	buffer_load_dword v165, off, s[0:3], 0 offset:692
	buffer_load_dword v164, off, s[0:3], 0 offset:688
	buffer_load_dword v191, off, s[0:3], 0 offset:684
	buffer_load_dword v190, off, s[0:3], 0 offset:680
	buffer_load_dword v193, off, s[0:3], 0 offset:676
	buffer_load_dword v192, off, s[0:3], 0 offset:672
	buffer_load_dword v169, off, s[0:3], 0 offset:732
	buffer_load_dword v168, off, s[0:3], 0 offset:728
	buffer_load_dword v173, off, s[0:3], 0 offset:724
	buffer_load_dword v172, off, s[0:3], 0 offset:720
	buffer_load_dword v195, off, s[0:3], 0 offset:716
	buffer_load_dword v194, off, s[0:3], 0 offset:712
	buffer_load_dword v197, off, s[0:3], 0 offset:708
	buffer_load_dword v196, off, s[0:3], 0 offset:704
	buffer_load_dword v177, off, s[0:3], 0 offset:764
	buffer_load_dword v176, off, s[0:3], 0 offset:760
	buffer_load_dword v181, off, s[0:3], 0 offset:756
	buffer_load_dword v180, off, s[0:3], 0 offset:752
	buffer_load_dword v199, off, s[0:3], 0 offset:748
	buffer_load_dword v198, off, s[0:3], 0 offset:744
	buffer_load_dword v201, off, s[0:3], 0 offset:740
	buffer_load_dword v200, off, s[0:3], 0 offset:736
	buffer_load_dword v185, off, s[0:3], 0 offset:796
	buffer_load_dword v184, off, s[0:3], 0 offset:792
	buffer_load_dword v189, off, s[0:3], 0 offset:788
	buffer_load_dword v188, off, s[0:3], 0 offset:784
	buffer_load_dword v203, off, s[0:3], 0 offset:780
	buffer_load_dword v202, off, s[0:3], 0 offset:776
	buffer_load_dword v205, off, s[0:3], 0 offset:772
	buffer_load_dword v204, off, s[0:3], 0 offset:768
	v_cmp_lt_u32_e32 vcc, 16, v0
	s_waitcnt vmcnt(62) lgkmcnt(10)
	v_mul_f64 v[10:11], v[78:79], v[68:69]
	v_fmac_f64_e32 v[10:11], v[80:81], v[66:67]
	v_add_f64 v[10:11], v[10:11], 0
	v_mul_f64 v[68:69], v[80:81], v[68:69]
	s_waitcnt lgkmcnt(9)
	v_mul_f64 v[12:13], v[90:91], v[64:65]
	v_fmac_f64_e32 v[12:13], v[92:93], v[62:63]
	s_waitcnt lgkmcnt(8)
	v_mul_f64 v[14:15], v[102:103], v[70:71]
	v_add_f64 v[10:11], v[10:11], v[12:13]
	s_waitcnt lgkmcnt(6)
	v_mul_f64 v[18:19], v[114:115], v[82:83]
	v_mul_f64 v[64:65], v[92:93], v[64:65]
	v_fmac_f64_e32 v[18:19], v[116:117], v[84:85]
	v_fma_f64 v[224:225], v[90:91], v[62:63], -v[64:65]
	v_mul_f64 v[16:17], v[110:111], v[74:75]
	v_fma_f64 v[222:223], v[78:79], v[66:67], -v[68:69]
	s_waitcnt lgkmcnt(4)
	v_mul_f64 v[22:23], v[244:245], v[94:95]
	v_mul_f64 v[70:71], v[104:105], v[70:71]
	v_fmac_f64_e32 v[22:23], v[246:247], v[96:97]
	v_mul_f64 v[74:75], v[112:113], v[74:75]
	v_mul_f64 v[20:21], v[240:241], v[86:87]
	;; [unrolled: 1-line block ×3, first 2 shown]
	s_waitcnt lgkmcnt(2)
	v_mul_f64 v[26:27], v[252:253], v[106:107]
	v_fma_f64 v[228:229], v[114:115], v[84:85], -v[82:83]
	v_mul_f64 v[86:87], v[242:243], v[86:87]
	v_mul_f64 v[24:25], v[248:249], v[98:99]
	;; [unrolled: 1-line block ×3, first 2 shown]
	s_waitcnt lgkmcnt(1)
	v_mul_f64 v[28:29], v[118:119], v[4:5]
	v_fma_f64 v[246:247], v[244:245], v[96:97], -v[94:95]
	v_fmac_f64_e32 v[14:15], v[104:105], v[72:73]
	v_add_f64 v[10:11], v[10:11], v[14:15]
	v_fmac_f64_e32 v[16:17], v[112:113], v[76:77]
	v_add_f64 v[10:11], v[10:11], v[16:17]
	v_fmac_f64_e32 v[20:21], v[242:243], v[88:89]
	v_add_f64 v[10:11], v[10:11], v[18:19]
	v_add_f64 v[10:11], v[10:11], v[20:21]
	v_fmac_f64_e32 v[24:25], v[250:251], v[100:101]
	v_add_f64 v[10:11], v[10:11], v[22:23]
	v_fmac_f64_e32 v[26:27], v[254:255], v[108:109]
	v_add_f64 v[10:11], v[10:11], v[24:25]
	v_add_f64 v[10:11], v[10:11], v[26:27]
	s_waitcnt lgkmcnt(0)
	v_mul_f64 v[16:17], v[6:7], v[2:3]
	v_fmac_f64_e32 v[28:29], v[120:121], v[128:129]
	v_add_f64 v[14:15], v[10:11], v[28:29]
	ds_read_b128 v[10:13], v1 offset:1360
	v_fmac_f64_e32 v[16:17], v[8:9], v[122:123]
	v_add_f64 v[18:19], v[14:15], v[16:17]
	ds_read_b128 v[14:17], v1 offset:1376
	v_fma_f64 v[226:227], v[110:111], v[76:77], -v[74:75]
	s_waitcnt lgkmcnt(1)
	v_mul_f64 v[20:21], v[10:11], v[130:131]
	v_fmac_f64_e32 v[20:21], v[12:13], v[146:147]
	v_add_f64 v[22:23], v[18:19], v[20:21]
	ds_read_b128 v[18:21], v1 offset:1392
	s_waitcnt lgkmcnt(1)
	v_mul_f64 v[24:25], v[14:15], v[124:125]
	v_fmac_f64_e32 v[24:25], v[16:17], v[126:127]
	v_add_f64 v[26:27], v[22:23], v[24:25]
	ds_read_b128 v[22:25], v1 offset:1408
	;; [unrolled: 5-line block ×4, first 2 shown]
	s_waitcnt vmcnt(58) lgkmcnt(1)
	v_mul_f64 v[36:37], v[26:27], v[158:159]
	s_waitcnt vmcnt(56)
	v_fmac_f64_e32 v[36:37], v[28:29], v[162:163]
	v_add_f64 v[38:39], v[34:35], v[36:37]
	ds_read_b128 v[34:37], v1 offset:1456
	s_waitcnt lgkmcnt(1)
	v_mul_f64 v[40:41], v[30:31], v[136:137]
	v_fmac_f64_e32 v[40:41], v[32:33], v[138:139]
	v_add_f64 v[42:43], v[38:39], v[40:41]
	ds_read_b128 v[38:41], v1 offset:1472
	s_waitcnt vmcnt(50) lgkmcnt(1)
	v_mul_f64 v[44:45], v[34:35], v[166:167]
	s_waitcnt vmcnt(48)
	v_fmac_f64_e32 v[44:45], v[36:37], v[170:171]
	v_add_f64 v[46:47], v[42:43], v[44:45]
	ds_read_b128 v[42:45], v1 offset:1488
	s_waitcnt lgkmcnt(1)
	v_mul_f64 v[48:49], v[38:39], v[140:141]
	v_fmac_f64_e32 v[48:49], v[40:41], v[142:143]
	v_add_f64 v[50:51], v[46:47], v[48:49]
	ds_read_b128 v[46:49], v1 offset:1504
	s_waitcnt vmcnt(42) lgkmcnt(1)
	v_mul_f64 v[52:53], v[42:43], v[174:175]
	s_waitcnt vmcnt(40)
	v_fmac_f64_e32 v[52:53], v[44:45], v[178:179]
	v_add_f64 v[54:55], v[50:51], v[52:53]
	ds_read_b128 v[50:53], v1 offset:1520
	s_waitcnt lgkmcnt(1)
	v_mul_f64 v[56:57], v[46:47], v[144:145]
	buffer_load_dword v207, off, s[0:3], 0 offset:812
	buffer_load_dword v206, off, s[0:3], 0 offset:808
	;; [unrolled: 1-line block ×4, first 2 shown]
	v_fmac_f64_e32 v[56:57], v[48:49], v[148:149]
	v_add_f64 v[58:59], v[54:55], v[56:57]
	ds_read_b128 v[54:57], v1 offset:1536
	buffer_load_dword v212, off, s[0:3], 0 offset:824
	buffer_load_dword v214, off, s[0:3], 0 offset:816
	;; [unrolled: 1-line block ×16, first 2 shown]
	s_waitcnt vmcnt(54) lgkmcnt(1)
	v_mul_f64 v[60:61], v[50:51], v[182:183]
	s_waitcnt vmcnt(52)
	v_fmac_f64_e32 v[60:61], v[52:53], v[186:187]
	v_add_f64 v[220:221], v[58:59], v[60:61]
	ds_read_b128 v[58:61], v1 offset:1552
	buffer_load_dword v236, off, s[0:3], 0 offset:888
	buffer_load_dword v238, off, s[0:3], 0 offset:880
	;; [unrolled: 1-line block ×4, first 2 shown]
	ds_read_b128 v[62:65], v1 offset:1568
	s_waitcnt lgkmcnt(2)
	v_mul_f64 v[66:67], v[54:55], v[152:153]
	v_fmac_f64_e32 v[66:67], v[56:57], v[156:157]
	s_waitcnt vmcnt(50) lgkmcnt(1)
	v_mul_f64 v[68:69], v[58:59], v[190:191]
	v_add_f64 v[66:67], v[220:221], v[66:67]
	s_waitcnt vmcnt(48)
	v_fmac_f64_e32 v[68:69], v[60:61], v[192:193]
	v_add_f64 v[66:67], v[66:67], v[68:69]
	v_fma_f64 v[220:221], v[102:103], v[72:73], -v[70:71]
	ds_read_b128 v[70:73], v1 offset:1600
	s_waitcnt lgkmcnt(1)
	v_mul_f64 v[68:69], v[62:63], v[160:161]
	v_fmac_f64_e32 v[68:69], v[64:65], v[164:165]
	v_add_f64 v[78:79], v[66:67], v[68:69]
	ds_read_b128 v[66:69], v1 offset:1584
	ds_read_b128 v[74:77], v1 offset:1616
	;; [unrolled: 1-line block ×3, first 2 shown]
	v_accvgpr_write_b32 a169, v3
	v_accvgpr_write_b32 a168, v2
	s_waitcnt vmcnt(42) lgkmcnt(2)
	v_mul_f64 v[80:81], v[66:67], v[194:195]
	s_waitcnt vmcnt(40)
	v_fmac_f64_e32 v[80:81], v[68:69], v[196:197]
	v_add_f64 v[78:79], v[78:79], v[80:81]
	v_mul_f64 v[80:81], v[70:71], v[168:169]
	v_fmac_f64_e32 v[80:81], v[72:73], v[172:173]
	v_add_f64 v[90:91], v[78:79], v[80:81]
	ds_read_b128 v[78:81], v1 offset:1632
	s_waitcnt vmcnt(34) lgkmcnt(2)
	v_mul_f64 v[92:93], v[74:75], v[198:199]
	s_waitcnt vmcnt(32)
	v_fmac_f64_e32 v[92:93], v[76:77], v[200:201]
	v_fma_f64 v[2:3], v[240:241], v[88:89], -v[86:87]
	ds_read_b128 v[86:89], v1 offset:1664
	ds_read_b128 v[94:97], v1 offset:1696
	v_add_f64 v[90:91], v[90:91], v[92:93]
	s_waitcnt lgkmcnt(2)
	v_mul_f64 v[92:93], v[78:79], v[176:177]
	v_fmac_f64_e32 v[92:93], v[80:81], v[180:181]
	v_add_f64 v[90:91], v[90:91], v[92:93]
	s_waitcnt vmcnt(26)
	v_mul_f64 v[92:93], v[82:83], v[202:203]
	s_waitcnt vmcnt(24)
	v_fmac_f64_e32 v[92:93], v[84:85], v[204:205]
	v_add_f64 v[90:91], v[90:91], v[92:93]
	s_waitcnt lgkmcnt(1)
	v_mul_f64 v[92:93], v[86:87], v[184:185]
	v_fmac_f64_e32 v[92:93], v[88:89], v[188:189]
	v_add_f64 v[102:103], v[90:91], v[92:93]
	ds_read_b128 v[90:93], v1 offset:1680
	v_mul_f64 v[98:99], v[250:251], v[98:99]
	v_fma_f64 v[250:251], v[248:249], v[100:101], -v[98:99]
	ds_read_b128 v[98:101], v1 offset:1712
	v_mul_f64 v[106:107], v[254:255], v[106:107]
	v_fma_f64 v[252:253], v[252:253], v[108:109], -v[106:107]
	v_add_f64 v[222:223], v[222:223], 0
	v_add_f64 v[222:223], v[222:223], v[224:225]
	;; [unrolled: 1-line block ×8, first 2 shown]
	v_mul_f64 v[4:5], v[120:121], v[4:5]
	v_add_f64 v[2:3], v[2:3], v[252:253]
	v_fma_f64 v[4:5], v[118:119], v[128:129], -v[4:5]
	v_add_f64 v[2:3], v[2:3], v[4:5]
	v_accvgpr_read_b32 v4, a168
	v_accvgpr_read_b32 v5, a169
	v_mul_f64 v[4:5], v[8:9], v[4:5]
	ds_read_b128 v[106:109], v1 offset:1744
	v_fma_f64 v[4:5], v[6:7], v[122:123], -v[4:5]
	v_add_f64 v[2:3], v[2:3], v[4:5]
	v_mul_f64 v[4:5], v[12:13], v[130:131]
	v_fma_f64 v[4:5], v[10:11], v[146:147], -v[4:5]
	s_waitcnt vmcnt(13) lgkmcnt(1)
	v_mul_f64 v[112:113], v[98:99], v[216:217]
	v_add_f64 v[2:3], v[2:3], v[4:5]
	v_mul_f64 v[104:105], v[90:91], v[206:207]
	s_waitcnt vmcnt(11)
	v_fmac_f64_e32 v[112:113], v[100:101], v[232:233]
	v_fmac_f64_e32 v[104:105], v[92:93], v[208:209]
	v_add_f64 v[102:103], v[102:103], v[104:105]
	v_mul_f64 v[4:5], v[16:17], v[124:125]
	v_mul_f64 v[104:105], v[94:95], v[212:213]
	v_fmac_f64_e32 v[104:105], v[96:97], v[214:215]
	v_add_f64 v[110:111], v[102:103], v[104:105]
	ds_read_b128 v[102:105], v1 offset:1728
	v_add_f64 v[110:111], v[110:111], v[112:113]
	v_fma_f64 v[4:5], v[14:15], v[126:127], -v[4:5]
	v_add_f64 v[2:3], v[2:3], v[4:5]
	v_mul_f64 v[4:5], v[20:21], v[150:151]
	s_waitcnt vmcnt(10) lgkmcnt(0)
	v_mul_f64 v[112:113], v[102:103], v[210:211]
	s_waitcnt vmcnt(8)
	v_fmac_f64_e32 v[112:113], v[104:105], v[230:231]
	v_add_f64 v[110:111], v[110:111], v[112:113]
	s_waitcnt vmcnt(6)
	v_mul_f64 v[112:113], v[106:107], v[218:219]
	s_waitcnt vmcnt(4)
	v_fmac_f64_e32 v[112:113], v[108:109], v[234:235]
	v_add_f64 v[114:115], v[110:111], v[112:113]
	ds_read_b128 v[110:113], v1 offset:1760
	buffer_load_dword v243, off, s[0:3], 0 offset:908
	buffer_load_dword v242, off, s[0:3], 0 offset:904
	;; [unrolled: 1-line block ×4, first 2 shown]
	v_fma_f64 v[4:5], v[18:19], v[154:155], -v[4:5]
	v_add_f64 v[2:3], v[2:3], v[4:5]
	v_mul_f64 v[4:5], v[24:25], v[132:133]
	s_waitcnt vmcnt(5) lgkmcnt(0)
	v_mul_f64 v[116:117], v[110:111], v[236:237]
	s_waitcnt vmcnt(4)
	v_fmac_f64_e32 v[116:117], v[112:113], v[238:239]
	v_add_f64 v[240:241], v[114:115], v[116:117]
	ds_read_b128 v[114:117], v1 offset:1776
	v_fma_f64 v[4:5], v[22:23], v[134:135], -v[4:5]
	v_add_f64 v[2:3], v[2:3], v[4:5]
	v_mul_f64 v[4:5], v[28:29], v[158:159]
	v_fma_f64 v[4:5], v[26:27], v[162:163], -v[4:5]
	v_add_f64 v[2:3], v[2:3], v[4:5]
	v_mul_f64 v[4:5], v[32:33], v[136:137]
	v_fma_f64 v[4:5], v[30:31], v[138:139], -v[4:5]
	v_add_f64 v[2:3], v[2:3], v[4:5]
	v_mul_f64 v[4:5], v[36:37], v[166:167]
	v_fma_f64 v[4:5], v[34:35], v[170:171], -v[4:5]
	v_add_f64 v[2:3], v[2:3], v[4:5]
	v_mul_f64 v[4:5], v[40:41], v[140:141]
	v_fma_f64 v[4:5], v[38:39], v[142:143], -v[4:5]
	v_add_f64 v[2:3], v[2:3], v[4:5]
	v_mul_f64 v[4:5], v[44:45], v[174:175]
	v_fma_f64 v[4:5], v[42:43], v[178:179], -v[4:5]
	v_add_f64 v[2:3], v[2:3], v[4:5]
	v_mul_f64 v[4:5], v[48:49], v[144:145]
	v_fma_f64 v[4:5], v[46:47], v[148:149], -v[4:5]
	v_add_f64 v[2:3], v[2:3], v[4:5]
	v_mul_f64 v[4:5], v[52:53], v[182:183]
	v_fma_f64 v[4:5], v[50:51], v[186:187], -v[4:5]
	v_add_f64 v[2:3], v[2:3], v[4:5]
	v_mul_f64 v[4:5], v[56:57], v[152:153]
	v_fma_f64 v[4:5], v[54:55], v[156:157], -v[4:5]
	v_add_f64 v[2:3], v[2:3], v[4:5]
	v_mul_f64 v[4:5], v[60:61], v[190:191]
	v_fma_f64 v[4:5], v[58:59], v[192:193], -v[4:5]
	v_add_f64 v[2:3], v[2:3], v[4:5]
	v_mul_f64 v[4:5], v[64:65], v[160:161]
	v_fma_f64 v[4:5], v[62:63], v[164:165], -v[4:5]
	v_add_f64 v[2:3], v[2:3], v[4:5]
	v_mul_f64 v[4:5], v[68:69], v[194:195]
	v_fma_f64 v[4:5], v[66:67], v[196:197], -v[4:5]
	v_add_f64 v[2:3], v[2:3], v[4:5]
	v_mul_f64 v[4:5], v[72:73], v[168:169]
	v_fma_f64 v[4:5], v[70:71], v[172:173], -v[4:5]
	v_add_f64 v[2:3], v[2:3], v[4:5]
	v_mul_f64 v[4:5], v[76:77], v[198:199]
	v_fma_f64 v[4:5], v[74:75], v[200:201], -v[4:5]
	v_add_f64 v[2:3], v[2:3], v[4:5]
	v_mul_f64 v[4:5], v[80:81], v[176:177]
	v_fma_f64 v[4:5], v[78:79], v[180:181], -v[4:5]
	v_add_f64 v[2:3], v[2:3], v[4:5]
	v_mul_f64 v[4:5], v[84:85], v[202:203]
	v_fma_f64 v[4:5], v[82:83], v[204:205], -v[4:5]
	v_add_f64 v[2:3], v[2:3], v[4:5]
	v_mul_f64 v[4:5], v[88:89], v[184:185]
	v_fma_f64 v[4:5], v[86:87], v[188:189], -v[4:5]
	v_add_f64 v[2:3], v[2:3], v[4:5]
	v_mul_f64 v[4:5], v[92:93], v[206:207]
	v_fma_f64 v[4:5], v[90:91], v[208:209], -v[4:5]
	v_add_f64 v[2:3], v[2:3], v[4:5]
	v_mul_f64 v[4:5], v[96:97], v[212:213]
	v_fma_f64 v[4:5], v[94:95], v[214:215], -v[4:5]
	v_add_f64 v[2:3], v[2:3], v[4:5]
	v_mul_f64 v[4:5], v[100:101], v[216:217]
	v_fma_f64 v[4:5], v[98:99], v[232:233], -v[4:5]
	v_add_f64 v[2:3], v[2:3], v[4:5]
	v_mul_f64 v[4:5], v[104:105], v[210:211]
	v_fma_f64 v[4:5], v[102:103], v[230:231], -v[4:5]
	v_add_f64 v[2:3], v[2:3], v[4:5]
	v_mul_f64 v[4:5], v[108:109], v[218:219]
	v_fma_f64 v[4:5], v[106:107], v[234:235], -v[4:5]
	v_add_f64 v[2:3], v[2:3], v[4:5]
	v_mul_f64 v[4:5], v[112:113], v[236:237]
	v_fma_f64 v[4:5], v[110:111], v[238:239], -v[4:5]
	v_add_f64 v[2:3], v[2:3], v[4:5]
	s_waitcnt vmcnt(2) lgkmcnt(0)
	v_mul_f64 v[248:249], v[114:115], v[242:243]
	v_mul_f64 v[4:5], v[116:117], v[242:243]
	s_waitcnt vmcnt(0)
	v_fmac_f64_e32 v[248:249], v[116:117], v[244:245]
	v_add_f64 v[240:241], v[240:241], v[248:249]
	buffer_load_dword v248, off, s[0:3], 0 offset:288
	buffer_load_dword v249, off, s[0:3], 0 offset:292
	;; [unrolled: 1-line block ×4, first 2 shown]
	v_fma_f64 v[4:5], v[114:115], v[244:245], -v[4:5]
	v_add_f64 v[2:3], v[2:3], v[4:5]
	s_waitcnt vmcnt(2)
	v_add_f64 v[2:3], v[248:249], -v[2:3]
	s_waitcnt vmcnt(0)
	v_add_f64 v[4:5], v[246:247], -v[240:241]
	buffer_store_dword v3, off, s[0:3], 0 offset:292
	buffer_store_dword v2, off, s[0:3], 0 offset:288
	;; [unrolled: 1-line block ×4, first 2 shown]
	s_and_saveexec_b64 s[4:5], vcc
	s_cbranch_execz .LBB119_317
; %bb.316:
	v_accvgpr_read_b32 v1, a151
	buffer_load_dword v2, v1, s[0:3], 0 offen
	buffer_load_dword v3, v1, s[0:3], 0 offen offset:4
	buffer_load_dword v4, v1, s[0:3], 0 offen offset:8
	;; [unrolled: 1-line block ×3, first 2 shown]
	v_mov_b32_e32 v1, 0
	v_accvgpr_read_b32 v6, a167
	buffer_store_dword v1, off, s[0:3], 0 offset:272
	buffer_store_dword v1, off, s[0:3], 0 offset:276
	;; [unrolled: 1-line block ×4, first 2 shown]
	s_waitcnt vmcnt(4)
	ds_write_b128 v6, v[2:5]
.LBB119_317:
	s_or_b64 exec, exec, s[4:5]
	s_waitcnt lgkmcnt(0)
	; wave barrier
	s_waitcnt lgkmcnt(0)
	buffer_load_dword v54, off, s[0:3], 0 offset:288
	buffer_load_dword v55, off, s[0:3], 0 offset:292
	;; [unrolled: 1-line block ×49, first 2 shown]
	v_mov_b32_e32 v1, 0
	ds_read_b128 v[62:65], v1 offset:1168
	ds_read_b128 v[74:77], v1 offset:1184
	;; [unrolled: 1-line block ×11, first 2 shown]
	buffer_load_dword v126, off, s[0:3], 0 offset:472
	buffer_load_dword v143, off, s[0:3], 0 offset:468
	;; [unrolled: 1-line block ×75, first 2 shown]
	v_cmp_lt_u32_e32 vcc, 15, v0
	s_waitcnt vmcnt(62) lgkmcnt(10)
	v_mul_f64 v[6:7], v[62:63], v[56:57]
	v_fmac_f64_e32 v[6:7], v[64:65], v[54:55]
	v_add_f64 v[6:7], v[6:7], 0
	v_mul_f64 v[56:57], v[64:65], v[56:57]
	s_waitcnt lgkmcnt(9)
	v_mul_f64 v[8:9], v[74:75], v[60:61]
	v_fmac_f64_e32 v[8:9], v[76:77], v[58:59]
	s_waitcnt lgkmcnt(8)
	v_mul_f64 v[10:11], v[86:87], v[66:67]
	v_add_f64 v[6:7], v[6:7], v[8:9]
	s_waitcnt lgkmcnt(6)
	v_mul_f64 v[14:15], v[110:111], v[78:79]
	v_fma_f64 v[222:223], v[62:63], v[54:55], -v[56:57]
	v_fmac_f64_e32 v[14:15], v[112:113], v[80:81]
	v_mul_f64 v[60:61], v[76:77], v[60:61]
	v_mul_f64 v[12:13], v[98:99], v[70:71]
	v_fma_f64 v[224:225], v[74:75], v[58:59], -v[60:61]
	s_waitcnt lgkmcnt(4)
	v_mul_f64 v[18:19], v[236:237], v[90:91]
	v_mul_f64 v[66:67], v[88:89], v[66:67]
	v_fmac_f64_e32 v[18:19], v[238:239], v[92:93]
	v_mul_f64 v[70:71], v[100:101], v[70:71]
	v_mul_f64 v[16:17], v[114:115], v[82:83]
	;; [unrolled: 1-line block ×3, first 2 shown]
	s_waitcnt lgkmcnt(2)
	v_mul_f64 v[22:23], v[244:245], v[102:103]
	v_fma_f64 v[228:229], v[110:111], v[80:81], -v[78:79]
	v_mul_f64 v[82:83], v[116:117], v[82:83]
	v_mul_f64 v[20:21], v[240:241], v[94:95]
	;; [unrolled: 1-line block ×3, first 2 shown]
	s_waitcnt lgkmcnt(1)
	v_mul_f64 v[24:25], v[248:249], v[106:107]
	v_fma_f64 v[254:255], v[236:237], v[92:93], -v[90:91]
	v_fmac_f64_e32 v[10:11], v[88:89], v[68:69]
	v_add_f64 v[6:7], v[6:7], v[10:11]
	v_fmac_f64_e32 v[12:13], v[100:101], v[72:73]
	v_add_f64 v[6:7], v[6:7], v[12:13]
	;; [unrolled: 2-line block ×3, first 2 shown]
	v_add_f64 v[6:7], v[6:7], v[16:17]
	v_fmac_f64_e32 v[20:21], v[242:243], v[96:97]
	v_add_f64 v[6:7], v[6:7], v[18:19]
	v_fmac_f64_e32 v[22:23], v[246:247], v[104:105]
	v_add_f64 v[6:7], v[6:7], v[20:21]
	v_add_f64 v[6:7], v[6:7], v[22:23]
	v_fmac_f64_e32 v[24:25], v[250:251], v[108:109]
	v_add_f64 v[10:11], v[6:7], v[24:25]
	ds_read_b128 v[6:9], v1 offset:1344
	s_waitcnt lgkmcnt(1)
	v_mul_f64 v[12:13], v[118:119], v[4:5]
	v_fmac_f64_e32 v[12:13], v[120:121], v[2:3]
	v_add_f64 v[14:15], v[10:11], v[12:13]
	ds_read_b128 v[10:13], v1 offset:1360
	s_waitcnt lgkmcnt(1)
	v_mul_f64 v[16:17], v[6:7], v[126:127]
	;; [unrolled: 5-line block ×5, first 2 shown]
	v_fmac_f64_e32 v[28:29], v[20:21], v[130:131]
	v_add_f64 v[30:31], v[26:27], v[28:29]
	ds_read_b128 v[26:29], v1 offset:1424
	s_waitcnt vmcnt(58) lgkmcnt(1)
	v_mul_f64 v[32:33], v[22:23], v[154:155]
	s_waitcnt vmcnt(56)
	v_fmac_f64_e32 v[32:33], v[24:25], v[158:159]
	v_add_f64 v[34:35], v[30:31], v[32:33]
	ds_read_b128 v[30:33], v1 offset:1440
	s_waitcnt lgkmcnt(1)
	v_mul_f64 v[36:37], v[26:27], v[132:133]
	v_fmac_f64_e32 v[36:37], v[28:29], v[134:135]
	v_add_f64 v[38:39], v[34:35], v[36:37]
	ds_read_b128 v[34:37], v1 offset:1456
	s_waitcnt vmcnt(50) lgkmcnt(1)
	v_mul_f64 v[40:41], v[30:31], v[162:163]
	s_waitcnt vmcnt(48)
	v_fmac_f64_e32 v[40:41], v[32:33], v[166:167]
	v_add_f64 v[42:43], v[38:39], v[40:41]
	ds_read_b128 v[38:41], v1 offset:1472
	s_waitcnt lgkmcnt(1)
	v_mul_f64 v[44:45], v[34:35], v[136:137]
	;; [unrolled: 11-line block ×3, first 2 shown]
	buffer_load_dword v203, off, s[0:3], 0 offset:796
	buffer_load_dword v202, off, s[0:3], 0 offset:792
	;; [unrolled: 1-line block ×4, first 2 shown]
	v_fmac_f64_e32 v[52:53], v[44:45], v[144:145]
	v_add_f64 v[210:211], v[50:51], v[52:53]
	ds_read_b128 v[50:53], v1 offset:1520
	buffer_load_dword v206, off, s[0:3], 0 offset:808
	buffer_load_dword v208, off, s[0:3], 0 offset:800
	;; [unrolled: 1-line block ×4, first 2 shown]
	s_waitcnt vmcnt(42) lgkmcnt(1)
	v_mul_f64 v[212:213], v[46:47], v[178:179]
	s_waitcnt vmcnt(40)
	v_fmac_f64_e32 v[212:213], v[48:49], v[182:183]
	v_add_f64 v[220:221], v[210:211], v[212:213]
	buffer_load_dword v213, off, s[0:3], 0 offset:828
	buffer_load_dword v212, off, s[0:3], 0 offset:824
	buffer_load_dword v217, off, s[0:3], 0 offset:820
	buffer_load_dword v216, off, s[0:3], 0 offset:816
	buffer_load_dword v215, off, s[0:3], 0 offset:844
	buffer_load_dword v214, off, s[0:3], 0 offset:840
	buffer_load_dword v219, off, s[0:3], 0 offset:836
	buffer_load_dword v218, off, s[0:3], 0 offset:832
	buffer_load_dword v210, off, s[0:3], 0 offset:872
	buffer_load_dword v233, off, s[0:3], 0 offset:860
	buffer_load_dword v232, off, s[0:3], 0 offset:856
	buffer_load_dword v235, off, s[0:3], 0 offset:852
	buffer_load_dword v234, off, s[0:3], 0 offset:848
	buffer_load_dword v230, off, s[0:3], 0 offset:864
	buffer_load_dword v211, off, s[0:3], 0 offset:876
	buffer_load_dword v231, off, s[0:3], 0 offset:868
	ds_read_b128 v[54:57], v1 offset:1536
	ds_read_b128 v[58:61], v1 offset:1552
	s_waitcnt lgkmcnt(2)
	v_mul_f64 v[62:63], v[50:51], v[148:149]
	v_fmac_f64_e32 v[62:63], v[52:53], v[152:153]
	v_add_f64 v[62:63], v[220:221], v[62:63]
	s_waitcnt vmcnt(50) lgkmcnt(1)
	v_mul_f64 v[64:65], v[54:55], v[186:187]
	s_waitcnt vmcnt(48)
	v_fmac_f64_e32 v[64:65], v[56:57], v[188:189]
	v_add_f64 v[62:63], v[62:63], v[64:65]
	s_waitcnt lgkmcnt(0)
	v_mul_f64 v[64:65], v[58:59], v[156:157]
	v_fmac_f64_e32 v[64:65], v[60:61], v[160:161]
	v_add_f64 v[74:75], v[62:63], v[64:65]
	ds_read_b128 v[62:65], v1 offset:1568
	v_fma_f64 v[220:221], v[86:87], v[68:69], -v[66:67]
	ds_read_b128 v[66:69], v1 offset:1584
	v_fma_f64 v[226:227], v[98:99], v[72:73], -v[70:71]
	ds_read_b128 v[70:73], v1 offset:1600
	s_waitcnt vmcnt(42) lgkmcnt(2)
	v_mul_f64 v[76:77], v[62:63], v[190:191]
	s_waitcnt vmcnt(40)
	v_fmac_f64_e32 v[76:77], v[64:65], v[192:193]
	v_add_f64 v[74:75], v[74:75], v[76:77]
	s_waitcnt lgkmcnt(1)
	v_mul_f64 v[76:77], v[66:67], v[164:165]
	v_fmac_f64_e32 v[76:77], v[68:69], v[168:169]
	v_add_f64 v[86:87], v[74:75], v[76:77]
	ds_read_b128 v[74:77], v1 offset:1616
	ds_read_b128 v[78:81], v1 offset:1632
	s_waitcnt vmcnt(34) lgkmcnt(2)
	v_mul_f64 v[88:89], v[70:71], v[194:195]
	s_waitcnt vmcnt(32)
	v_fmac_f64_e32 v[88:89], v[72:73], v[196:197]
	v_fma_f64 v[252:253], v[114:115], v[84:85], -v[82:83]
	ds_read_b128 v[82:85], v1 offset:1648
	v_add_f64 v[86:87], v[86:87], v[88:89]
	s_waitcnt lgkmcnt(2)
	v_mul_f64 v[88:89], v[74:75], v[172:173]
	v_fmac_f64_e32 v[88:89], v[76:77], v[176:177]
	v_add_f64 v[86:87], v[86:87], v[88:89]
	s_waitcnt vmcnt(26) lgkmcnt(1)
	v_mul_f64 v[88:89], v[78:79], v[198:199]
	s_waitcnt vmcnt(24)
	v_fmac_f64_e32 v[88:89], v[80:81], v[200:201]
	v_add_f64 v[86:87], v[86:87], v[88:89]
	s_waitcnt lgkmcnt(0)
	v_mul_f64 v[88:89], v[82:83], v[180:181]
	v_fmac_f64_e32 v[88:89], v[84:85], v[184:185]
	v_add_f64 v[98:99], v[86:87], v[88:89]
	ds_read_b128 v[86:89], v1 offset:1664
	ds_read_b128 v[90:93], v1 offset:1680
	v_accvgpr_write_b32 a169, v3
	v_mul_f64 v[94:95], v[242:243], v[94:95]
	v_accvgpr_write_b32 a168, v2
	v_fma_f64 v[2:3], v[240:241], v[96:97], -v[94:95]
	ds_read_b128 v[94:97], v1 offset:1696
	v_mul_f64 v[102:103], v[246:247], v[102:103]
	v_fma_f64 v[246:247], v[244:245], v[104:105], -v[102:103]
	ds_read_b128 v[102:105], v1 offset:1728
	v_mul_f64 v[106:107], v[250:251], v[106:107]
	v_fma_f64 v[250:251], v[248:249], v[108:109], -v[106:107]
	ds_read_b128 v[106:109], v1 offset:1744
	v_add_f64 v[222:223], v[222:223], 0
	v_add_f64 v[222:223], v[222:223], v[224:225]
	;; [unrolled: 1-line block ×9, first 2 shown]
	v_mul_f64 v[4:5], v[120:121], v[4:5]
	v_accvgpr_read_b32 v120, a168
	v_accvgpr_read_b32 v121, a169
	v_add_f64 v[2:3], v[252:253], v[250:251]
	v_fma_f64 v[4:5], v[118:119], v[120:121], -v[4:5]
	v_add_f64 v[2:3], v[2:3], v[4:5]
	v_mul_f64 v[4:5], v[8:9], v[126:127]
	v_fma_f64 v[4:5], v[6:7], v[142:143], -v[4:5]
	s_waitcnt vmcnt(22) lgkmcnt(4)
	v_mul_f64 v[100:101], v[86:87], v[202:203]
	v_add_f64 v[2:3], v[2:3], v[4:5]
	s_waitcnt vmcnt(20)
	v_fmac_f64_e32 v[100:101], v[88:89], v[204:205]
	v_add_f64 v[98:99], v[98:99], v[100:101]
	v_mul_f64 v[4:5], v[12:13], v[122:123]
	s_waitcnt vmcnt(17) lgkmcnt(3)
	v_mul_f64 v[100:101], v[90:91], v[206:207]
	s_waitcnt vmcnt(16)
	v_fmac_f64_e32 v[100:101], v[92:93], v[208:209]
	v_add_f64 v[110:111], v[98:99], v[100:101]
	ds_read_b128 v[98:101], v1 offset:1712
	s_waitcnt vmcnt(14) lgkmcnt(3)
	v_mul_f64 v[112:113], v[94:95], v[212:213]
	s_waitcnt vmcnt(12)
	v_fmac_f64_e32 v[112:113], v[96:97], v[216:217]
	buffer_load_dword v237, off, s[0:3], 0 offset:892
	buffer_load_dword v236, off, s[0:3], 0 offset:888
	;; [unrolled: 1-line block ×4, first 2 shown]
	v_add_f64 v[110:111], v[110:111], v[112:113]
	s_waitcnt vmcnt(14) lgkmcnt(0)
	v_mul_f64 v[112:113], v[98:99], v[214:215]
	s_waitcnt vmcnt(12)
	v_fmac_f64_e32 v[112:113], v[100:101], v[218:219]
	v_add_f64 v[110:111], v[110:111], v[112:113]
	s_waitcnt vmcnt(9)
	v_mul_f64 v[112:113], v[102:103], v[232:233]
	s_waitcnt vmcnt(7)
	v_fmac_f64_e32 v[112:113], v[104:105], v[234:235]
	v_add_f64 v[110:111], v[110:111], v[112:113]
	s_waitcnt vmcnt(5)
	v_mul_f64 v[112:113], v[106:107], v[210:211]
	s_waitcnt vmcnt(4)
	v_fmac_f64_e32 v[112:113], v[108:109], v[230:231]
	v_add_f64 v[114:115], v[110:111], v[112:113]
	ds_read_b128 v[110:113], v1 offset:1760
	buffer_load_dword v242, off, s[0:3], 0 offset:904
	buffer_load_dword v243, off, s[0:3], 0 offset:908
	;; [unrolled: 1-line block ×4, first 2 shown]
	v_fma_f64 v[4:5], v[10:11], v[124:125], -v[4:5]
	v_add_f64 v[2:3], v[2:3], v[4:5]
	v_mul_f64 v[4:5], v[16:17], v[146:147]
	v_fma_f64 v[4:5], v[14:15], v[150:151], -v[4:5]
	v_add_f64 v[2:3], v[2:3], v[4:5]
	v_mul_f64 v[4:5], v[20:21], v[128:129]
	;; [unrolled: 3-line block ×21, first 2 shown]
	v_fma_f64 v[4:5], v[94:95], v[216:217], -v[4:5]
	v_add_f64 v[2:3], v[2:3], v[4:5]
	s_waitcnt vmcnt(6) lgkmcnt(0)
	v_mul_f64 v[116:117], v[110:111], v[236:237]
	v_mul_f64 v[4:5], v[100:101], v[214:215]
	s_waitcnt vmcnt(4)
	v_fmac_f64_e32 v[116:117], v[112:113], v[238:239]
	v_add_f64 v[240:241], v[114:115], v[116:117]
	ds_read_b128 v[114:117], v1 offset:1776
	v_fma_f64 v[4:5], v[98:99], v[218:219], -v[4:5]
	v_add_f64 v[2:3], v[2:3], v[4:5]
	v_mul_f64 v[4:5], v[104:105], v[232:233]
	v_fma_f64 v[4:5], v[102:103], v[234:235], -v[4:5]
	v_add_f64 v[2:3], v[2:3], v[4:5]
	v_mul_f64 v[4:5], v[108:109], v[210:211]
	v_fma_f64 v[4:5], v[106:107], v[230:231], -v[4:5]
	s_waitcnt vmcnt(2) lgkmcnt(0)
	v_mul_f64 v[248:249], v[114:115], v[242:243]
	v_add_f64 v[2:3], v[2:3], v[4:5]
	s_waitcnt vmcnt(0)
	v_fmac_f64_e32 v[248:249], v[116:117], v[244:245]
	v_add_f64 v[240:241], v[240:241], v[248:249]
	buffer_load_dword v248, off, s[0:3], 0 offset:272
	buffer_load_dword v249, off, s[0:3], 0 offset:276
	;; [unrolled: 1-line block ×4, first 2 shown]
	v_mul_f64 v[4:5], v[112:113], v[236:237]
	v_fma_f64 v[4:5], v[110:111], v[238:239], -v[4:5]
	v_add_f64 v[2:3], v[2:3], v[4:5]
	v_mul_f64 v[4:5], v[116:117], v[242:243]
	v_fma_f64 v[4:5], v[114:115], v[244:245], -v[4:5]
	v_add_f64 v[2:3], v[2:3], v[4:5]
	s_waitcnt vmcnt(2)
	v_add_f64 v[2:3], v[248:249], -v[2:3]
	s_waitcnt vmcnt(0)
	v_add_f64 v[4:5], v[246:247], -v[240:241]
	buffer_store_dword v3, off, s[0:3], 0 offset:276
	buffer_store_dword v2, off, s[0:3], 0 offset:272
	;; [unrolled: 1-line block ×4, first 2 shown]
	s_and_saveexec_b64 s[4:5], vcc
	s_cbranch_execz .LBB119_319
; %bb.318:
	v_accvgpr_read_b32 v5, a152
	buffer_load_dword v2, v5, s[0:3], 0 offen
	buffer_load_dword v3, v5, s[0:3], 0 offen offset:4
	buffer_load_dword v4, v5, s[0:3], 0 offen offset:8
	s_nop 0
	buffer_load_dword v5, v5, s[0:3], 0 offen offset:12
	v_accvgpr_read_b32 v6, a167
	buffer_store_dword v1, off, s[0:3], 0 offset:256
	buffer_store_dword v1, off, s[0:3], 0 offset:260
	;; [unrolled: 1-line block ×4, first 2 shown]
	s_waitcnt vmcnt(4)
	ds_write_b128 v6, v[2:5]
.LBB119_319:
	s_or_b64 exec, exec, s[4:5]
	s_waitcnt lgkmcnt(0)
	; wave barrier
	s_waitcnt lgkmcnt(0)
	buffer_load_dword v56, off, s[0:3], 0 offset:272
	buffer_load_dword v57, off, s[0:3], 0 offset:276
	;; [unrolled: 1-line block ×42, first 2 shown]
	ds_read_b128 v[78:81], v1 offset:1152
	ds_read_b128 v[90:93], v1 offset:1168
	;; [unrolled: 1-line block ×10, first 2 shown]
	buffer_load_dword v105, off, s[0:3], 0 offset:420
	buffer_load_dword v104, off, s[0:3], 0 offset:416
	ds_read_b128 v[106:109], v1 offset:1312
	buffer_load_dword v3, off, s[0:3], 0 offset:476
	buffer_load_dword v2, off, s[0:3], 0 offset:472
	v_cmp_lt_u32_e32 vcc, 14, v0
	s_waitcnt vmcnt(38) lgkmcnt(9)
	v_mul_f64 v[4:5], v[90:91], v[62:63]
	v_fmac_f64_e32 v[4:5], v[92:93], v[54:55]
	s_waitcnt vmcnt(36) lgkmcnt(8)
	v_mul_f64 v[6:7], v[114:115], v[58:59]
	v_mul_f64 v[58:59], v[116:117], v[58:59]
	s_waitcnt vmcnt(34) lgkmcnt(6)
	v_mul_f64 v[10:11], v[240:241], v[70:71]
	v_mul_f64 v[70:71], v[242:243], v[70:71]
	s_waitcnt vmcnt(32)
	v_fmac_f64_e32 v[10:11], v[242:243], v[72:73]
	v_fma_f64 v[240:241], v[240:241], v[72:73], -v[70:71]
	s_waitcnt vmcnt(30)
	v_mul_f64 v[8:9], v[236:237], v[64:65]
	s_waitcnt vmcnt(28) lgkmcnt(4)
	v_mul_f64 v[14:15], v[248:249], v[82:83]
	v_mul_f64 v[82:83], v[250:251], v[82:83]
	s_waitcnt vmcnt(26)
	v_fmac_f64_e32 v[14:15], v[250:251], v[84:85]
	v_fma_f64 v[248:249], v[248:249], v[84:85], -v[82:83]
	s_waitcnt vmcnt(24)
	v_mul_f64 v[12:13], v[244:245], v[74:75]
	v_mul_f64 v[74:75], v[246:247], v[74:75]
	s_waitcnt vmcnt(22) lgkmcnt(2)
	v_mul_f64 v[18:19], v[220:221], v[94:95]
	v_mul_f64 v[94:95], v[222:223], v[94:95]
	s_waitcnt vmcnt(19)
	v_mul_f64 v[16:17], v[252:253], v[86:87]
	v_mul_f64 v[86:87], v[254:255], v[86:87]
	s_waitcnt vmcnt(17) lgkmcnt(1)
	v_mul_f64 v[20:21], v[98:99], v[102:103]
	s_waitcnt vmcnt(15)
	v_fmac_f64_e32 v[6:7], v[116:117], v[68:69]
	s_waitcnt vmcnt(13)
	v_fmac_f64_e32 v[8:9], v[238:239], v[66:67]
	;; [unrolled: 2-line block ×3, first 2 shown]
	v_fma_f64 v[246:247], v[244:245], v[76:77], -v[74:75]
	s_waitcnt vmcnt(9)
	v_fmac_f64_e32 v[16:17], v[254:255], v[88:89]
	s_waitcnt vmcnt(8)
	v_fmac_f64_e32 v[18:19], v[222:223], v[96:97]
	v_fma_f64 v[254:255], v[252:253], v[88:89], -v[86:87]
	v_fma_f64 v[220:221], v[220:221], v[96:97], -v[94:95]
	s_waitcnt vmcnt(2)
	v_fmac_f64_e32 v[20:21], v[100:101], v[104:105]
	v_mul_f64 v[100:101], v[100:101], v[102:103]
	s_waitcnt vmcnt(0)
	v_pk_mov_b32 v[22:23], v[2:3], v[2:3] op_sel:[0,1]
	buffer_load_dword v3, off, s[0:3], 0 offset:468
	buffer_load_dword v2, off, s[0:3], 0 offset:464
	;; [unrolled: 1-line block ×78, first 2 shown]
	ds_read_b128 v[118:121], v1 offset:1328
	v_accvgpr_write_b32 a169, v23
	v_accvgpr_write_b32 a168, v22
	v_fma_f64 v[250:251], v[98:99], v[104:105], -v[100:101]
	s_waitcnt vmcnt(62)
	v_pk_mov_b32 v[24:25], v[2:3], v[2:3] op_sel:[0,1]
	v_mul_f64 v[2:3], v[78:79], v[60:61]
	v_fmac_f64_e32 v[2:3], v[80:81], v[56:57]
	v_add_f64 v[2:3], v[2:3], 0
	v_add_f64 v[2:3], v[2:3], v[4:5]
	;; [unrolled: 1-line block ×9, first 2 shown]
	s_waitcnt lgkmcnt(1)
	v_mul_f64 v[8:9], v[106:107], v[110:111]
	v_add_f64 v[6:7], v[2:3], v[20:21]
	v_fmac_f64_e32 v[8:9], v[108:109], v[112:113]
	v_add_f64 v[10:11], v[6:7], v[8:9]
	ds_read_b128 v[6:9], v1 offset:1344
	s_waitcnt lgkmcnt(1)
	v_mul_f64 v[12:13], v[118:119], v[122:123]
	v_fmac_f64_e32 v[12:13], v[120:121], v[138:139]
	v_add_f64 v[14:15], v[10:11], v[12:13]
	ds_read_b128 v[10:13], v1 offset:1360
	s_waitcnt lgkmcnt(1)
	v_mul_f64 v[16:17], v[6:7], v[22:23]
	;; [unrolled: 5-line block ×3, first 2 shown]
	v_fmac_f64_e32 v[20:21], v[12:13], v[146:147]
	v_add_f64 v[22:23], v[18:19], v[20:21]
	ds_read_b128 v[18:21], v1 offset:1392
	v_accvgpr_write_b32 a171, v25
	v_accvgpr_write_b32 a170, v24
	s_waitcnt lgkmcnt(1)
	v_mul_f64 v[24:25], v[14:15], v[124:125]
	v_fmac_f64_e32 v[24:25], v[16:17], v[126:127]
	v_add_f64 v[26:27], v[22:23], v[24:25]
	ds_read_b128 v[22:25], v1 offset:1408
	s_waitcnt vmcnt(58) lgkmcnt(1)
	v_mul_f64 v[28:29], v[18:19], v[150:151]
	s_waitcnt vmcnt(56)
	v_fmac_f64_e32 v[28:29], v[20:21], v[154:155]
	v_add_f64 v[30:31], v[26:27], v[28:29]
	ds_read_b128 v[26:29], v1 offset:1424
	s_waitcnt lgkmcnt(1)
	v_mul_f64 v[32:33], v[22:23], v[128:129]
	v_fmac_f64_e32 v[32:33], v[24:25], v[130:131]
	v_add_f64 v[34:35], v[30:31], v[32:33]
	ds_read_b128 v[30:33], v1 offset:1440
	s_waitcnt vmcnt(50) lgkmcnt(1)
	v_mul_f64 v[36:37], v[26:27], v[158:159]
	s_waitcnt vmcnt(48)
	v_fmac_f64_e32 v[36:37], v[28:29], v[162:163]
	v_add_f64 v[38:39], v[34:35], v[36:37]
	ds_read_b128 v[34:37], v1 offset:1456
	;; [unrolled: 11-line block ×4, first 2 shown]
	buffer_load_dword v198, off, s[0:3], 0 offset:792
	buffer_load_dword v203, off, s[0:3], 0 offset:780
	;; [unrolled: 1-line block ×8, first 2 shown]
	s_waitcnt lgkmcnt(1)
	v_mul_f64 v[208:209], v[46:47], v[144:145]
	v_fmac_f64_e32 v[208:209], v[48:49], v[148:149]
	v_add_f64 v[224:225], v[206:207], v[208:209]
	buffer_load_dword v207, off, s[0:3], 0 offset:812
	buffer_load_dword v206, off, s[0:3], 0 offset:808
	;; [unrolled: 1-line block ×20, first 2 shown]
	v_mul_f64 v[60:61], v[80:81], v[60:61]
	s_waitcnt vmcnt(54) lgkmcnt(0)
	v_mul_f64 v[226:227], v[50:51], v[182:183]
	v_fma_f64 v[228:229], v[78:79], v[56:57], -v[60:61]
	v_mul_f64 v[56:57], v[92:93], v[62:63]
	v_fma_f64 v[2:3], v[90:91], v[54:55], -v[56:57]
	s_waitcnt vmcnt(52)
	v_fmac_f64_e32 v[226:227], v[52:53], v[184:185]
	ds_read_b128 v[54:57], v1 offset:1536
	v_add_f64 v[4:5], v[224:225], v[226:227]
	v_fma_f64 v[224:225], v[114:115], v[68:69], -v[58:59]
	ds_read_b128 v[58:61], v1 offset:1552
	v_mul_f64 v[62:63], v[238:239], v[64:65]
	v_fma_f64 v[226:227], v[236:237], v[66:67], -v[62:63]
	ds_read_b128 v[62:65], v1 offset:1568
	ds_read_b128 v[70:73], v1 offset:1600
	s_waitcnt lgkmcnt(3)
	v_mul_f64 v[68:69], v[54:55], v[152:153]
	v_fmac_f64_e32 v[68:69], v[56:57], v[156:157]
	s_waitcnt vmcnt(46) lgkmcnt(2)
	v_mul_f64 v[66:67], v[58:59], v[186:187]
	v_add_f64 v[4:5], v[4:5], v[68:69]
	s_waitcnt vmcnt(44)
	v_fmac_f64_e32 v[66:67], v[60:61], v[188:189]
	v_add_f64 v[4:5], v[4:5], v[66:67]
	s_waitcnt lgkmcnt(1)
	v_mul_f64 v[66:67], v[62:63], v[160:161]
	v_fmac_f64_e32 v[66:67], v[64:65], v[164:165]
	v_add_f64 v[4:5], v[4:5], v[66:67]
	ds_read_b128 v[66:69], v1 offset:1584
	ds_read_b128 v[74:77], v1 offset:1616
	;; [unrolled: 1-line block ×5, first 2 shown]
	s_waitcnt vmcnt(38) lgkmcnt(4)
	v_mul_f64 v[78:79], v[66:67], v[190:191]
	s_waitcnt vmcnt(36)
	v_fmac_f64_e32 v[78:79], v[68:69], v[192:193]
	v_add_f64 v[4:5], v[4:5], v[78:79]
	v_mul_f64 v[78:79], v[70:71], v[168:169]
	v_fmac_f64_e32 v[78:79], v[72:73], v[172:173]
	v_add_f64 v[4:5], v[4:5], v[78:79]
	s_waitcnt vmcnt(30) lgkmcnt(3)
	v_mul_f64 v[78:79], v[74:75], v[194:195]
	s_waitcnt vmcnt(28)
	v_fmac_f64_e32 v[78:79], v[76:77], v[196:197]
	v_add_f64 v[4:5], v[4:5], v[78:79]
	ds_read_b128 v[78:81], v1 offset:1632
	v_mul_f64 v[108:109], v[108:109], v[110:111]
	v_fma_f64 v[252:253], v[106:107], v[112:113], -v[108:109]
	v_mul_f64 v[120:121], v[120:121], v[122:123]
	v_fma_f64 v[118:119], v[118:119], v[138:139], -v[120:121]
	s_waitcnt lgkmcnt(0)
	v_mul_f64 v[90:91], v[78:79], v[176:177]
	v_fmac_f64_e32 v[90:91], v[80:81], v[180:181]
	v_add_f64 v[4:5], v[4:5], v[90:91]
	ds_read_b128 v[98:101], v1 offset:1712
	ds_read_b128 v[106:109], v1 offset:1744
	s_waitcnt vmcnt(25)
	v_mul_f64 v[90:91], v[82:83], v[202:203]
	s_waitcnt vmcnt(23)
	v_fmac_f64_e32 v[90:91], v[84:85], v[204:205]
	v_add_f64 v[4:5], v[4:5], v[90:91]
	s_waitcnt vmcnt(21)
	v_mul_f64 v[90:91], v[86:87], v[198:199]
	s_waitcnt vmcnt(20)
	v_fmac_f64_e32 v[90:91], v[88:89], v[200:201]
	v_add_f64 v[4:5], v[4:5], v[90:91]
	ds_read_b128 v[90:93], v1 offset:1680
	s_waitcnt vmcnt(14)
	v_mul_f64 v[102:103], v[94:95], v[212:213]
	s_waitcnt vmcnt(9) lgkmcnt(2)
	v_mul_f64 v[110:111], v[98:99], v[218:219]
	v_fmac_f64_e32 v[102:103], v[96:97], v[214:215]
	s_waitcnt vmcnt(7)
	v_fmac_f64_e32 v[110:111], v[100:101], v[232:233]
	s_waitcnt lgkmcnt(0)
	v_mul_f64 v[114:115], v[90:91], v[206:207]
	v_fmac_f64_e32 v[114:115], v[92:93], v[208:209]
	v_add_f64 v[4:5], v[4:5], v[114:115]
	v_add_f64 v[4:5], v[4:5], v[102:103]
	ds_read_b128 v[102:105], v1 offset:1728
	buffer_load_dword v236, off, s[0:3], 0 offset:888
	buffer_load_dword v237, off, s[0:3], 0 offset:892
	;; [unrolled: 1-line block ×4, first 2 shown]
	v_add_f64 v[4:5], v[4:5], v[110:111]
	s_waitcnt vmcnt(9) lgkmcnt(0)
	v_mul_f64 v[110:111], v[102:103], v[210:211]
	s_waitcnt vmcnt(8)
	v_fmac_f64_e32 v[110:111], v[104:105], v[216:217]
	v_add_f64 v[4:5], v[4:5], v[110:111]
	s_waitcnt vmcnt(6)
	v_mul_f64 v[110:111], v[106:107], v[230:231]
	s_waitcnt vmcnt(4)
	v_fmac_f64_e32 v[110:111], v[108:109], v[234:235]
	v_add_f64 v[4:5], v[4:5], v[110:111]
	ds_read_b128 v[110:113], v1 offset:1760
	buffer_load_dword v243, off, s[0:3], 0 offset:908
	buffer_load_dword v242, off, s[0:3], 0 offset:904
	;; [unrolled: 1-line block ×4, first 2 shown]
	s_waitcnt vmcnt(6) lgkmcnt(0)
	v_mul_f64 v[114:115], v[110:111], v[236:237]
	s_waitcnt vmcnt(4)
	v_fmac_f64_e32 v[114:115], v[112:113], v[238:239]
	v_add_f64 v[4:5], v[4:5], v[114:115]
	ds_read_b128 v[114:117], v1 offset:1776
	s_waitcnt vmcnt(2) lgkmcnt(0)
	v_mul_f64 v[222:223], v[114:115], v[242:243]
	s_waitcnt vmcnt(0)
	v_fmac_f64_e32 v[222:223], v[116:117], v[244:245]
	v_add_f64 v[4:5], v[4:5], v[222:223]
	v_add_f64 v[222:223], v[228:229], 0
	;; [unrolled: 1-line block ×8, first 2 shown]
	buffer_load_dword v248, off, s[0:3], 0 offset:256
	buffer_load_dword v249, off, s[0:3], 0 offset:260
	;; [unrolled: 1-line block ×4, first 2 shown]
	v_add_f64 v[2:3], v[2:3], v[254:255]
	v_add_f64 v[254:255], v[2:3], v[220:221]
	;; [unrolled: 1-line block ×5, first 2 shown]
	v_accvgpr_read_b32 v118, a168
	v_accvgpr_read_b32 v119, a169
	v_mul_f64 v[8:9], v[8:9], v[118:119]
	v_accvgpr_read_b32 v118, a170
	v_accvgpr_read_b32 v119, a171
	v_fma_f64 v[6:7], v[6:7], v[118:119], -v[8:9]
	v_add_f64 v[2:3], v[2:3], v[6:7]
	v_mul_f64 v[6:7], v[12:13], v[142:143]
	v_fma_f64 v[6:7], v[10:11], v[146:147], -v[6:7]
	v_add_f64 v[2:3], v[2:3], v[6:7]
	v_mul_f64 v[6:7], v[16:17], v[124:125]
	;; [unrolled: 3-line block ×27, first 2 shown]
	v_fma_f64 v[6:7], v[114:115], v[244:245], -v[6:7]
	v_add_f64 v[2:3], v[2:3], v[6:7]
	s_waitcnt vmcnt(2)
	v_add_f64 v[2:3], v[248:249], -v[2:3]
	s_waitcnt vmcnt(0)
	v_add_f64 v[4:5], v[246:247], -v[4:5]
	buffer_store_dword v3, off, s[0:3], 0 offset:260
	buffer_store_dword v2, off, s[0:3], 0 offset:256
	;; [unrolled: 1-line block ×4, first 2 shown]
	s_and_saveexec_b64 s[4:5], vcc
	s_cbranch_execz .LBB119_321
; %bb.320:
	v_accvgpr_read_b32 v1, a153
	buffer_load_dword v2, v1, s[0:3], 0 offen
	buffer_load_dword v3, v1, s[0:3], 0 offen offset:4
	buffer_load_dword v4, v1, s[0:3], 0 offen offset:8
	;; [unrolled: 1-line block ×3, first 2 shown]
	v_mov_b32_e32 v1, 0
	v_accvgpr_read_b32 v6, a167
	buffer_store_dword v1, off, s[0:3], 0 offset:240
	buffer_store_dword v1, off, s[0:3], 0 offset:244
	;; [unrolled: 1-line block ×4, first 2 shown]
	s_waitcnt vmcnt(4)
	ds_write_b128 v6, v[2:5]
.LBB119_321:
	s_or_b64 exec, exec, s[4:5]
	s_waitcnt lgkmcnt(0)
	; wave barrier
	s_waitcnt lgkmcnt(0)
	buffer_load_dword v54, off, s[0:3], 0 offset:256
	buffer_load_dword v55, off, s[0:3], 0 offset:260
	;; [unrolled: 1-line block ×46, first 2 shown]
	v_mov_b32_e32 v1, 0
	v_cmp_lt_u32_e32 vcc, 13, v0
	s_waitcnt vmcnt(0)
	v_pk_mov_b32 v[22:23], v[2:3], v[2:3] op_sel:[0,1]
	buffer_load_dword v3, off, s[0:3], 0 offset:452
	buffer_load_dword v2, off, s[0:3], 0 offset:448
	;; [unrolled: 1-line block ×3, first 2 shown]
	ds_read_b128 v[94:97], v1 offset:1136
	ds_read_b128 v[108:111], v1 offset:1152
	ds_read_b128 v[112:115], v1 offset:1168
	ds_read_b128 v[220:223], v1 offset:1184
	ds_read_b128 v[236:239], v1 offset:1200
	ds_read_b128 v[240:243], v1 offset:1216
	ds_read_b128 v[244:247], v1 offset:1232
	ds_read_b128 v[248:251], v1 offset:1248
	ds_read_b128 v[252:255], v1 offset:1264
	ds_read_b128 v[224:227], v1 offset:1280
	ds_read_b128 v[98:101], v1 offset:1296
	buffer_load_dword v106, off, s[0:3], 0 offset:440
	buffer_load_dword v117, off, s[0:3], 0 offset:436
	;; [unrolled: 1-line block ×75, first 2 shown]
	s_waitcnt lgkmcnt(9)
	v_mul_f64 v[4:5], v[108:109], v[62:63]
	s_waitcnt lgkmcnt(8)
	v_mul_f64 v[6:7], v[112:113], v[60:61]
	v_fmac_f64_e32 v[4:5], v[110:111], v[58:59]
	s_waitcnt lgkmcnt(7)
	v_mul_f64 v[8:9], v[220:221], v[68:69]
	v_fmac_f64_e32 v[6:7], v[114:115], v[84:85]
	;; [unrolled: 3-line block ×5, first 2 shown]
	ds_read_b128 v[232:235], v1 offset:1312
	ds_read_b128 v[118:121], v1 offset:1328
	s_waitcnt lgkmcnt(5)
	v_mul_f64 v[16:17], v[248:249], v[78:79]
	v_fmac_f64_e32 v[14:15], v[246:247], v[76:77]
	s_waitcnt lgkmcnt(4)
	v_mul_f64 v[18:19], v[252:253], v[86:87]
	v_fmac_f64_e32 v[16:17], v[250:251], v[80:81]
	;; [unrolled: 3-line block ×3, first 2 shown]
	v_fmac_f64_e32 v[20:21], v[226:227], v[92:93]
	v_accvgpr_write_b32 a169, v23
	v_accvgpr_write_b32 a168, v22
	v_mul_f64 v[62:63], v[110:111], v[62:63]
	v_mul_f64 v[74:75], v[246:247], v[74:75]
	v_fma_f64 v[246:247], v[244:245], v[76:77], -v[74:75]
	v_mul_f64 v[78:79], v[250:251], v[78:79]
	v_fma_f64 v[248:249], v[248:249], v[80:81], -v[78:79]
	v_mul_f64 v[86:87], v[254:255], v[86:87]
	v_mul_f64 v[90:91], v[226:227], v[90:91]
	v_fma_f64 v[252:253], v[252:253], v[88:89], -v[86:87]
	v_fma_f64 v[254:255], v[224:225], v[92:93], -v[90:91]
	s_waitcnt vmcnt(62)
	v_pk_mov_b32 v[24:25], v[2:3], v[2:3] op_sel:[0,1]
	v_mul_f64 v[2:3], v[94:95], v[56:57]
	v_fmac_f64_e32 v[2:3], v[96:97], v[54:55]
	v_add_f64 v[2:3], v[2:3], 0
	v_add_f64 v[2:3], v[2:3], v[4:5]
	;; [unrolled: 1-line block ×9, first 2 shown]
	s_waitcnt lgkmcnt(2)
	v_mul_f64 v[4:5], v[98:99], v[102:103]
	v_add_f64 v[2:3], v[2:3], v[20:21]
	v_fmac_f64_e32 v[4:5], v[100:101], v[104:105]
	s_waitcnt lgkmcnt(1)
	v_mul_f64 v[8:9], v[232:233], v[106:107]
	v_add_f64 v[6:7], v[2:3], v[4:5]
	v_fmac_f64_e32 v[8:9], v[234:235], v[116:117]
	s_waitcnt lgkmcnt(0)
	v_mul_f64 v[12:13], v[118:119], v[22:23]
	v_add_f64 v[10:11], v[6:7], v[8:9]
	ds_read_b128 v[6:9], v1 offset:1344
	v_fmac_f64_e32 v[12:13], v[120:121], v[24:25]
	v_add_f64 v[14:15], v[10:11], v[12:13]
	ds_read_b128 v[10:13], v1 offset:1360
	v_accvgpr_write_b32 a171, v25
	s_waitcnt lgkmcnt(1)
	v_mul_f64 v[16:17], v[6:7], v[138:139]
	v_fmac_f64_e32 v[16:17], v[8:9], v[142:143]
	v_add_f64 v[18:19], v[14:15], v[16:17]
	s_waitcnt lgkmcnt(0)
	v_mul_f64 v[20:21], v[10:11], v[122:123]
	ds_read_b128 v[14:17], v1 offset:1376
	v_fmac_f64_e32 v[20:21], v[12:13], v[124:125]
	v_add_f64 v[22:23], v[18:19], v[20:21]
	ds_read_b128 v[18:21], v1 offset:1392
	v_accvgpr_write_b32 a170, v24
	s_waitcnt vmcnt(58) lgkmcnt(1)
	v_mul_f64 v[24:25], v[14:15], v[146:147]
	s_waitcnt vmcnt(56)
	v_fmac_f64_e32 v[24:25], v[16:17], v[150:151]
	v_add_f64 v[26:27], v[22:23], v[24:25]
	s_waitcnt lgkmcnt(0)
	v_mul_f64 v[28:29], v[18:19], v[126:127]
	ds_read_b128 v[22:25], v1 offset:1408
	v_fmac_f64_e32 v[28:29], v[20:21], v[128:129]
	v_add_f64 v[30:31], v[26:27], v[28:29]
	ds_read_b128 v[26:29], v1 offset:1424
	v_mul_f64 v[56:57], v[96:97], v[56:57]
	s_waitcnt vmcnt(50) lgkmcnt(1)
	v_mul_f64 v[32:33], v[22:23], v[154:155]
	s_waitcnt vmcnt(48)
	v_fmac_f64_e32 v[32:33], v[24:25], v[158:159]
	v_add_f64 v[34:35], v[30:31], v[32:33]
	s_waitcnt lgkmcnt(0)
	v_mul_f64 v[36:37], v[26:27], v[130:131]
	ds_read_b128 v[30:33], v1 offset:1440
	v_fmac_f64_e32 v[36:37], v[28:29], v[132:133]
	v_add_f64 v[38:39], v[34:35], v[36:37]
	ds_read_b128 v[34:37], v1 offset:1456
	v_fma_f64 v[2:3], v[94:95], v[54:55], -v[56:57]
	s_waitcnt vmcnt(42) lgkmcnt(1)
	v_mul_f64 v[40:41], v[30:31], v[162:163]
	s_waitcnt vmcnt(40)
	v_fmac_f64_e32 v[40:41], v[32:33], v[166:167]
	v_add_f64 v[42:43], v[38:39], v[40:41]
	s_waitcnt lgkmcnt(0)
	v_mul_f64 v[44:45], v[34:35], v[134:135]
	ds_read_b128 v[38:41], v1 offset:1472
	v_fmac_f64_e32 v[44:45], v[36:37], v[136:137]
	v_add_f64 v[46:47], v[42:43], v[44:45]
	ds_read_b128 v[42:45], v1 offset:1488
	v_fma_f64 v[94:95], v[108:109], v[58:59], -v[62:63]
	s_waitcnt vmcnt(34) lgkmcnt(1)
	v_mul_f64 v[48:49], v[38:39], v[170:171]
	s_waitcnt vmcnt(32)
	v_fmac_f64_e32 v[48:49], v[40:41], v[174:175]
	v_add_f64 v[50:51], v[46:47], v[48:49]
	s_waitcnt lgkmcnt(0)
	v_mul_f64 v[52:53], v[42:43], v[140:141]
	v_fmac_f64_e32 v[52:53], v[44:45], v[144:145]
	ds_read_b128 v[46:49], v1 offset:1504
	v_add_f64 v[198:199], v[50:51], v[52:53]
	ds_read_b128 v[50:53], v1 offset:1520
	buffer_load_dword v195, off, s[0:3], 0 offset:764
	buffer_load_dword v194, off, s[0:3], 0 offset:760
	;; [unrolled: 1-line block ×4, first 2 shown]
	v_mul_f64 v[58:59], v[114:115], v[60:61]
	s_waitcnt vmcnt(30) lgkmcnt(1)
	v_mul_f64 v[200:201], v[46:47], v[178:179]
	s_waitcnt vmcnt(28)
	v_fmac_f64_e32 v[200:201], v[48:49], v[180:181]
	v_add_f64 v[228:229], v[198:199], v[200:201]
	buffer_load_dword v200, off, s[0:3], 0 offset:776
	buffer_load_dword v202, off, s[0:3], 0 offset:768
	;; [unrolled: 1-line block ×12, first 2 shown]
	ds_read_b128 v[54:57], v1 offset:1536
	s_waitcnt lgkmcnt(1)
	v_mul_f64 v[4:5], v[50:51], v[148:149]
	v_fma_f64 v[96:97], v[112:113], v[84:85], -v[58:59]
	v_fmac_f64_e32 v[4:5], v[52:53], v[152:153]
	v_mul_f64 v[58:59], v[222:223], v[68:69]
	v_add_f64 v[4:5], v[228:229], v[4:5]
	v_fma_f64 v[228:229], v[220:221], v[82:83], -v[58:59]
	s_waitcnt vmcnt(34) lgkmcnt(0)
	v_mul_f64 v[58:59], v[54:55], v[182:183]
	s_waitcnt vmcnt(32)
	v_fmac_f64_e32 v[58:59], v[56:57], v[184:185]
	buffer_load_dword v211, off, s[0:3], 0 offset:828
	buffer_load_dword v210, off, s[0:3], 0 offset:824
	;; [unrolled: 1-line block ×16, first 2 shown]
	v_add_f64 v[4:5], v[4:5], v[58:59]
	ds_read_b128 v[58:61], v1 offset:1552
	v_mul_f64 v[62:63], v[238:239], v[64:65]
	v_fma_f64 v[108:109], v[236:237], v[66:67], -v[62:63]
	ds_read_b128 v[62:65], v1 offset:1568
	v_mul_f64 v[66:67], v[242:243], v[70:71]
	v_fma_f64 v[240:241], v[240:241], v[72:73], -v[66:67]
	ds_read_b128 v[66:69], v1 offset:1584
	ds_read_b128 v[74:77], v1 offset:1616
	s_waitcnt lgkmcnt(3)
	v_mul_f64 v[82:83], v[58:59], v[156:157]
	v_fmac_f64_e32 v[82:83], v[60:61], v[160:161]
	s_waitcnt vmcnt(42) lgkmcnt(2)
	v_mul_f64 v[70:71], v[62:63], v[186:187]
	v_add_f64 v[4:5], v[4:5], v[82:83]
	s_waitcnt vmcnt(40)
	v_fmac_f64_e32 v[70:71], v[64:65], v[188:189]
	v_add_f64 v[4:5], v[4:5], v[70:71]
	s_waitcnt lgkmcnt(1)
	v_mul_f64 v[70:71], v[66:67], v[164:165]
	v_fmac_f64_e32 v[70:71], v[68:69], v[168:169]
	v_add_f64 v[4:5], v[4:5], v[70:71]
	ds_read_b128 v[70:73], v1 offset:1600
	ds_read_b128 v[78:81], v1 offset:1632
	v_mul_f64 v[100:101], v[100:101], v[102:103]
	v_mul_f64 v[102:103], v[234:235], v[106:107]
	v_fma_f64 v[102:103], v[232:233], v[116:117], -v[102:103]
	s_waitcnt vmcnt(34) lgkmcnt(1)
	v_mul_f64 v[82:83], v[70:71], v[190:191]
	s_waitcnt vmcnt(32)
	v_fmac_f64_e32 v[82:83], v[72:73], v[192:193]
	v_add_f64 v[4:5], v[4:5], v[82:83]
	v_mul_f64 v[82:83], v[74:75], v[172:173]
	v_fmac_f64_e32 v[82:83], v[76:77], v[176:177]
	v_add_f64 v[4:5], v[4:5], v[82:83]
	v_accvgpr_write_b32 a173, v103
	ds_read_b128 v[90:93], v1 offset:1680
	ds_read_b128 v[224:227], v1 offset:1696
	v_fma_f64 v[250:251], v[98:99], v[104:105], -v[100:101]
	ds_read_b128 v[98:101], v1 offset:1712
	v_accvgpr_write_b32 a172, v102
	ds_read_b128 v[102:105], v1 offset:1728
	ds_read_b128 v[232:235], v1 offset:1744
	v_add_f64 v[2:3], v[2:3], 0
	ds_read_b128 v[86:89], v1 offset:1664
	v_add_f64 v[2:3], v[2:3], v[94:95]
	v_add_f64 v[2:3], v[2:3], v[96:97]
	;; [unrolled: 1-line block ×9, first 2 shown]
	v_accvgpr_read_b32 v94, a168
	v_add_f64 v[252:253], v[2:3], v[250:251]
	v_accvgpr_read_b32 v2, a172
	v_accvgpr_read_b32 v95, a169
	;; [unrolled: 1-line block ×4, first 2 shown]
	v_mul_f64 v[94:95], v[120:121], v[94:95]
	v_accvgpr_read_b32 v97, a171
	v_add_f64 v[2:3], v[252:253], v[2:3]
	v_fma_f64 v[94:95], v[118:119], v[96:97], -v[94:95]
	v_mul_f64 v[8:9], v[8:9], v[138:139]
	s_waitcnt vmcnt(30) lgkmcnt(6)
	v_mul_f64 v[82:83], v[78:79], v[194:195]
	v_add_f64 v[2:3], v[2:3], v[94:95]
	s_waitcnt vmcnt(28)
	v_fmac_f64_e32 v[82:83], v[80:81], v[196:197]
	v_add_f64 v[4:5], v[4:5], v[82:83]
	ds_read_b128 v[82:85], v1 offset:1648
	buffer_load_dword v237, off, s[0:3], 0 offset:892
	buffer_load_dword v236, off, s[0:3], 0 offset:888
	;; [unrolled: 1-line block ×4, first 2 shown]
	v_fma_f64 v[6:7], v[6:7], v[142:143], -v[8:9]
	v_add_f64 v[2:3], v[2:3], v[6:7]
	v_mul_f64 v[6:7], v[12:13], v[122:123]
	s_waitcnt vmcnt(29) lgkmcnt(0)
	v_mul_f64 v[110:111], v[82:83], v[200:201]
	s_waitcnt vmcnt(28)
	v_fmac_f64_e32 v[110:111], v[84:85], v[202:203]
	v_add_f64 v[4:5], v[4:5], v[110:111]
	s_waitcnt vmcnt(25)
	v_mul_f64 v[110:111], v[86:87], v[204:205]
	s_waitcnt vmcnt(23)
	v_fmac_f64_e32 v[110:111], v[88:89], v[208:209]
	v_add_f64 v[4:5], v[4:5], v[110:111]
	s_waitcnt vmcnt(22)
	;; [unrolled: 5-line block ×6, first 2 shown]
	v_mul_f64 v[110:111], v[232:233], v[220:221]
	s_waitcnt vmcnt(4)
	v_fmac_f64_e32 v[110:111], v[234:235], v[222:223]
	v_add_f64 v[4:5], v[4:5], v[110:111]
	ds_read_b128 v[110:113], v1 offset:1760
	buffer_load_dword v242, off, s[0:3], 0 offset:904
	buffer_load_dword v243, off, s[0:3], 0 offset:908
	;; [unrolled: 1-line block ×4, first 2 shown]
	v_fma_f64 v[6:7], v[10:11], v[124:125], -v[6:7]
	v_add_f64 v[2:3], v[2:3], v[6:7]
	v_mul_f64 v[6:7], v[16:17], v[146:147]
	v_fma_f64 v[6:7], v[14:15], v[150:151], -v[6:7]
	v_add_f64 v[2:3], v[2:3], v[6:7]
	v_mul_f64 v[6:7], v[20:21], v[126:127]
	;; [unrolled: 3-line block ×17, first 2 shown]
	s_waitcnt vmcnt(6) lgkmcnt(0)
	v_mul_f64 v[114:115], v[110:111], v[236:237]
	v_fma_f64 v[6:7], v[78:79], v[196:197], -v[6:7]
	s_waitcnt vmcnt(4)
	v_fmac_f64_e32 v[114:115], v[112:113], v[238:239]
	v_add_f64 v[4:5], v[4:5], v[114:115]
	ds_read_b128 v[114:117], v1 offset:1776
	buffer_load_dword v248, off, s[0:3], 0 offset:240
	buffer_load_dword v249, off, s[0:3], 0 offset:244
	;; [unrolled: 1-line block ×4, first 2 shown]
	v_add_f64 v[2:3], v[2:3], v[6:7]
	v_mul_f64 v[6:7], v[84:85], v[200:201]
	v_fma_f64 v[6:7], v[82:83], v[202:203], -v[6:7]
	v_add_f64 v[2:3], v[2:3], v[6:7]
	v_mul_f64 v[6:7], v[88:89], v[204:205]
	v_fma_f64 v[6:7], v[86:87], v[208:209], -v[6:7]
	;; [unrolled: 3-line block ×8, first 2 shown]
	v_add_f64 v[2:3], v[2:3], v[6:7]
	s_waitcnt vmcnt(6) lgkmcnt(0)
	v_mul_f64 v[6:7], v[116:117], v[242:243]
	v_mul_f64 v[106:107], v[114:115], v[242:243]
	s_waitcnt vmcnt(4)
	v_fma_f64 v[6:7], v[114:115], v[244:245], -v[6:7]
	v_fmac_f64_e32 v[106:107], v[116:117], v[244:245]
	v_add_f64 v[2:3], v[2:3], v[6:7]
	v_add_f64 v[4:5], v[4:5], v[106:107]
	s_waitcnt vmcnt(2)
	v_add_f64 v[2:3], v[248:249], -v[2:3]
	s_waitcnt vmcnt(0)
	v_add_f64 v[4:5], v[246:247], -v[4:5]
	buffer_store_dword v3, off, s[0:3], 0 offset:244
	buffer_store_dword v2, off, s[0:3], 0 offset:240
	;; [unrolled: 1-line block ×4, first 2 shown]
	s_and_saveexec_b64 s[4:5], vcc
	s_cbranch_execz .LBB119_323
; %bb.322:
	v_accvgpr_read_b32 v5, a154
	buffer_load_dword v2, v5, s[0:3], 0 offen
	buffer_load_dword v3, v5, s[0:3], 0 offen offset:4
	buffer_load_dword v4, v5, s[0:3], 0 offen offset:8
	s_nop 0
	buffer_load_dword v5, v5, s[0:3], 0 offen offset:12
	v_accvgpr_read_b32 v6, a167
	buffer_store_dword v1, off, s[0:3], 0 offset:224
	buffer_store_dword v1, off, s[0:3], 0 offset:228
	;; [unrolled: 1-line block ×4, first 2 shown]
	s_waitcnt vmcnt(4)
	ds_write_b128 v6, v[2:5]
.LBB119_323:
	s_or_b64 exec, exec, s[4:5]
	s_waitcnt lgkmcnt(0)
	; wave barrier
	s_waitcnt lgkmcnt(0)
	buffer_load_dword v58, off, s[0:3], 0 offset:240
	buffer_load_dword v59, off, s[0:3], 0 offset:244
	;; [unrolled: 1-line block ×42, first 2 shown]
	ds_read_b128 v[110:113], v1 offset:1120
	ds_read_b128 v[114:117], v1 offset:1136
	;; [unrolled: 1-line block ×10, first 2 shown]
	buffer_load_dword v229, off, s[0:3], 0 offset:388
	buffer_load_dword v228, off, s[0:3], 0 offset:384
	ds_read_b128 v[90:93], v1 offset:1280
	buffer_load_dword v105, off, s[0:3], 0 offset:444
	buffer_load_dword v104, off, s[0:3], 0 offset:440
	buffer_load_dword v107, off, s[0:3], 0 offset:436
	buffer_load_dword v106, off, s[0:3], 0 offset:432
	buffer_load_dword v109, off, s[0:3], 0 offset:428
	buffer_load_dword v108, off, s[0:3], 0 offset:424
	v_cmp_lt_u32_e32 vcc, 12, v0
	s_waitcnt vmcnt(46) lgkmcnt(10)
	v_mul_f64 v[2:3], v[110:111], v[60:61]
	v_fmac_f64_e32 v[2:3], v[112:113], v[58:59]
	v_add_f64 v[2:3], v[2:3], 0
	v_mul_f64 v[60:61], v[112:113], v[60:61]
	s_waitcnt vmcnt(42) lgkmcnt(9)
	v_mul_f64 v[4:5], v[114:115], v[62:63]
	v_fmac_f64_e32 v[4:5], v[116:117], v[56:57]
	v_add_f64 v[2:3], v[2:3], v[4:5]
	buffer_load_dword v233, off, s[0:3], 0 offset:420
	buffer_load_dword v232, off, s[0:3], 0 offset:416
	;; [unrolled: 1-line block ×4, first 2 shown]
	s_waitcnt vmcnt(44) lgkmcnt(8)
	v_mul_f64 v[6:7], v[210:211], v[218:219]
	s_waitcnt vmcnt(42) lgkmcnt(6)
	v_mul_f64 v[10:11], v[220:221], v[64:65]
	s_waitcnt vmcnt(40)
	v_fmac_f64_e32 v[10:11], v[222:223], v[66:67]
	s_waitcnt vmcnt(38)
	v_mul_f64 v[8:9], v[214:215], v[68:69]
	s_waitcnt vmcnt(36) lgkmcnt(4)
	v_mul_f64 v[14:15], v[236:237], v[70:71]
	s_waitcnt vmcnt(34)
	v_fmac_f64_e32 v[14:15], v[238:239], v[72:73]
	s_waitcnt vmcnt(32)
	v_mul_f64 v[12:13], v[224:225], v[74:75]
	s_waitcnt vmcnt(30) lgkmcnt(2)
	v_mul_f64 v[18:19], v[244:245], v[78:79]
	v_mul_f64 v[78:79], v[246:247], v[78:79]
	s_waitcnt vmcnt(27)
	v_mul_f64 v[16:17], v[240:241], v[76:77]
	s_waitcnt vmcnt(25) lgkmcnt(1)
	v_mul_f64 v[20:21], v[82:83], v[86:87]
	s_waitcnt vmcnt(23)
	v_fmac_f64_e32 v[6:7], v[212:213], v[100:101]
	v_add_f64 v[2:3], v[2:3], v[6:7]
	s_waitcnt vmcnt(21)
	v_fmac_f64_e32 v[8:9], v[216:217], v[98:99]
	v_add_f64 v[2:3], v[2:3], v[8:9]
	;; [unrolled: 3-line block ×3, first 2 shown]
	v_add_f64 v[2:3], v[2:3], v[12:13]
	s_waitcnt vmcnt(17)
	v_fmac_f64_e32 v[16:17], v[242:243], v[88:89]
	v_add_f64 v[2:3], v[2:3], v[14:15]
	s_waitcnt vmcnt(16)
	v_fmac_f64_e32 v[18:19], v[246:247], v[80:81]
	v_add_f64 v[2:3], v[2:3], v[16:17]
	v_add_f64 v[2:3], v[2:3], v[18:19]
	v_fma_f64 v[246:247], v[244:245], v[80:81], -v[78:79]
	s_waitcnt vmcnt(10)
	v_fmac_f64_e32 v[20:21], v[84:85], v[228:229]
	v_add_f64 v[2:3], v[2:3], v[20:21]
	v_mul_f64 v[84:85], v[84:85], v[86:87]
	s_waitcnt vmcnt(0)
	v_pk_mov_b32 v[18:19], v[4:5], v[4:5] op_sel:[0,1]
	buffer_load_dword v5, off, s[0:3], 0 offset:468
	buffer_load_dword v4, off, s[0:3], 0 offset:464
	v_accvgpr_write_b32 a169, v19
	v_accvgpr_write_b32 a168, v18
	s_waitcnt vmcnt(0)
	v_pk_mov_b32 v[22:23], v[4:5], v[4:5] op_sel:[0,1]
	buffer_load_dword v135, off, s[0:3], 0 offset:460
	buffer_load_dword v134, off, s[0:3], 0 offset:456
	;; [unrolled: 1-line block ×6, first 2 shown]
	v_accvgpr_write_b32 a171, v23
	v_accvgpr_write_b32 a170, v22
	s_waitcnt vmcnt(0)
	v_pk_mov_b32 v[26:27], v[4:5], v[4:5] op_sel:[0,1]
	buffer_load_dword v5, off, s[0:3], 0 offset:500
	buffer_load_dword v4, off, s[0:3], 0 offset:496
	v_accvgpr_write_b32 a173, v27
	v_accvgpr_write_b32 a172, v26
	s_waitcnt vmcnt(0)
	v_pk_mov_b32 v[28:29], v[4:5], v[4:5] op_sel:[0,1]
	buffer_load_dword v143, off, s[0:3], 0 offset:492
	buffer_load_dword v142, off, s[0:3], 0 offset:488
	buffer_load_dword v147, off, s[0:3], 0 offset:484
	buffer_load_dword v146, off, s[0:3], 0 offset:480
	buffer_load_dword v5, off, s[0:3], 0 offset:540
	buffer_load_dword v4, off, s[0:3], 0 offset:536
	buffer_load_dword v129, off, s[0:3], 0 offset:532
	buffer_load_dword v128, off, s[0:3], 0 offset:528
	buffer_load_dword v151, off, s[0:3], 0 offset:524
	buffer_load_dword v150, off, s[0:3], 0 offset:520
	buffer_load_dword v155, off, s[0:3], 0 offset:516
	buffer_load_dword v154, off, s[0:3], 0 offset:512
	buffer_load_dword v131, off, s[0:3], 0 offset:572
	buffer_load_dword v130, off, s[0:3], 0 offset:568
	buffer_load_dword v133, off, s[0:3], 0 offset:564
	buffer_load_dword v132, off, s[0:3], 0 offset:560
	buffer_load_dword v159, off, s[0:3], 0 offset:556
	buffer_load_dword v158, off, s[0:3], 0 offset:552
	buffer_load_dword v163, off, s[0:3], 0 offset:548
	buffer_load_dword v162, off, s[0:3], 0 offset:544
	buffer_load_dword v137, off, s[0:3], 0 offset:604
	buffer_load_dword v136, off, s[0:3], 0 offset:600
	buffer_load_dword v141, off, s[0:3], 0 offset:596
	buffer_load_dword v140, off, s[0:3], 0 offset:592
	buffer_load_dword v167, off, s[0:3], 0 offset:588
	buffer_load_dword v166, off, s[0:3], 0 offset:584
	buffer_load_dword v171, off, s[0:3], 0 offset:580
	buffer_load_dword v170, off, s[0:3], 0 offset:576
	buffer_load_dword v145, off, s[0:3], 0 offset:636
	buffer_load_dword v144, off, s[0:3], 0 offset:632
	buffer_load_dword v149, off, s[0:3], 0 offset:628
	buffer_load_dword v148, off, s[0:3], 0 offset:624
	buffer_load_dword v175, off, s[0:3], 0 offset:620
	buffer_load_dword v174, off, s[0:3], 0 offset:616
	buffer_load_dword v177, off, s[0:3], 0 offset:612
	buffer_load_dword v176, off, s[0:3], 0 offset:608
	buffer_load_dword v153, off, s[0:3], 0 offset:668
	buffer_load_dword v152, off, s[0:3], 0 offset:664
	buffer_load_dword v157, off, s[0:3], 0 offset:660
	buffer_load_dword v156, off, s[0:3], 0 offset:656
	buffer_load_dword v179, off, s[0:3], 0 offset:652
	buffer_load_dword v178, off, s[0:3], 0 offset:648
	buffer_load_dword v181, off, s[0:3], 0 offset:644
	buffer_load_dword v180, off, s[0:3], 0 offset:640
	buffer_load_dword v161, off, s[0:3], 0 offset:700
	buffer_load_dword v160, off, s[0:3], 0 offset:696
	buffer_load_dword v165, off, s[0:3], 0 offset:692
	buffer_load_dword v164, off, s[0:3], 0 offset:688
	buffer_load_dword v183, off, s[0:3], 0 offset:684
	buffer_load_dword v182, off, s[0:3], 0 offset:680
	buffer_load_dword v185, off, s[0:3], 0 offset:676
	buffer_load_dword v184, off, s[0:3], 0 offset:672
	buffer_load_dword v169, off, s[0:3], 0 offset:732
	buffer_load_dword v168, off, s[0:3], 0 offset:728
	buffer_load_dword v173, off, s[0:3], 0 offset:724
	buffer_load_dword v172, off, s[0:3], 0 offset:720
	buffer_load_dword v187, off, s[0:3], 0 offset:716
	buffer_load_dword v186, off, s[0:3], 0 offset:712
	buffer_load_dword v189, off, s[0:3], 0 offset:708
	buffer_load_dword v188, off, s[0:3], 0 offset:704
	ds_read_b128 v[248:251], v1 offset:1296
	ds_read_b128 v[252:255], v1 offset:1312
	;; [unrolled: 1-line block ×5, first 2 shown]
	v_accvgpr_write_b32 a175, v29
	s_waitcnt lgkmcnt(3)
	v_mul_f64 v[8:9], v[252:253], v[104:105]
	v_fmac_f64_e32 v[8:9], v[254:255], v[106:107]
	s_waitcnt lgkmcnt(2)
	v_mul_f64 v[12:13], v[118:119], v[134:135]
	v_fmac_f64_e32 v[12:13], v[120:121], v[138:139]
	;; [unrolled: 3-line block ×3, first 2 shown]
	v_accvgpr_write_b32 a174, v28
	s_waitcnt vmcnt(54)
	v_pk_mov_b32 v[34:35], v[4:5], v[4:5] op_sel:[0,1]
	v_mul_f64 v[4:5], v[90:91], v[96:97]
	v_fmac_f64_e32 v[4:5], v[92:93], v[102:103]
	v_add_f64 v[2:3], v[2:3], v[4:5]
	v_mul_f64 v[4:5], v[248:249], v[108:109]
	v_fmac_f64_e32 v[4:5], v[250:251], v[232:233]
	v_add_f64 v[6:7], v[2:3], v[4:5]
	v_add_f64 v[10:11], v[6:7], v[8:9]
	;; [unrolled: 1-line block ×4, first 2 shown]
	ds_read_b128 v[14:17], v1 offset:1376
	s_waitcnt lgkmcnt(1)
	v_mul_f64 v[20:21], v[122:123], v[142:143]
	v_fmac_f64_e32 v[20:21], v[124:125], v[146:147]
	v_add_f64 v[22:23], v[18:19], v[20:21]
	ds_read_b128 v[18:21], v1 offset:1392
	s_waitcnt lgkmcnt(1)
	v_mul_f64 v[24:25], v[14:15], v[26:27]
	v_fmac_f64_e32 v[24:25], v[16:17], v[28:29]
	v_add_f64 v[26:27], v[22:23], v[24:25]
	ds_read_b128 v[22:25], v1 offset:1408
	s_waitcnt vmcnt(50) lgkmcnt(1)
	v_mul_f64 v[28:29], v[18:19], v[150:151]
	s_waitcnt vmcnt(48)
	v_fmac_f64_e32 v[28:29], v[20:21], v[154:155]
	v_add_f64 v[30:31], v[26:27], v[28:29]
	ds_read_b128 v[26:29], v1 offset:1424
	s_waitcnt lgkmcnt(1)
	v_mul_f64 v[32:33], v[22:23], v[34:35]
	v_accvgpr_write_b32 a177, v35
	v_fmac_f64_e32 v[32:33], v[24:25], v[128:129]
	v_accvgpr_write_b32 a176, v34
	v_add_f64 v[34:35], v[30:31], v[32:33]
	ds_read_b128 v[30:33], v1 offset:1440
	s_waitcnt vmcnt(42) lgkmcnt(1)
	v_mul_f64 v[36:37], v[26:27], v[158:159]
	s_waitcnt vmcnt(40)
	v_fmac_f64_e32 v[36:37], v[28:29], v[162:163]
	v_add_f64 v[38:39], v[34:35], v[36:37]
	ds_read_b128 v[34:37], v1 offset:1456
	s_waitcnt lgkmcnt(1)
	v_mul_f64 v[40:41], v[30:31], v[130:131]
	v_fmac_f64_e32 v[40:41], v[32:33], v[132:133]
	v_add_f64 v[42:43], v[38:39], v[40:41]
	ds_read_b128 v[38:41], v1 offset:1472
	s_waitcnt vmcnt(34) lgkmcnt(1)
	v_mul_f64 v[44:45], v[34:35], v[166:167]
	s_waitcnt vmcnt(32)
	v_fmac_f64_e32 v[44:45], v[36:37], v[170:171]
	v_add_f64 v[46:47], v[42:43], v[44:45]
	ds_read_b128 v[42:45], v1 offset:1488
	s_waitcnt lgkmcnt(1)
	v_mul_f64 v[48:49], v[38:39], v[136:137]
	v_fmac_f64_e32 v[48:49], v[40:41], v[140:141]
	v_add_f64 v[50:51], v[46:47], v[48:49]
	ds_read_b128 v[46:49], v1 offset:1504
	s_waitcnt vmcnt(26) lgkmcnt(1)
	v_mul_f64 v[52:53], v[42:43], v[174:175]
	s_waitcnt vmcnt(24)
	v_fmac_f64_e32 v[52:53], v[44:45], v[176:177]
	v_add_f64 v[234:235], v[50:51], v[52:53]
	ds_read_b128 v[50:53], v1 offset:1520
	buffer_load_dword v13, off, s[0:3], 0 offset:748
	buffer_load_dword v12, off, s[0:3], 0 offset:744
	;; [unrolled: 1-line block ×20, first 2 shown]
	v_mul_f64 v[4:5], v[116:117], v[62:63]
	v_fma_f64 v[8:9], v[114:115], v[56:57], -v[4:5]
	v_mul_f64 v[56:57], v[212:213], v[218:219]
	v_fma_f64 v[10:11], v[110:111], v[58:59], -v[60:61]
	v_fma_f64 v[58:59], v[210:211], v[100:101], -v[56:57]
	v_mul_f64 v[56:57], v[216:217], v[68:69]
	v_fma_f64 v[60:61], v[214:215], v[98:99], -v[56:57]
	buffer_load_dword v212, off, s[0:3], 0 offset:824
	buffer_load_dword v214, off, s[0:3], 0 offset:816
	;; [unrolled: 1-line block ×12, first 2 shown]
	s_waitcnt lgkmcnt(1)
	v_mul_f64 v[54:55], v[46:47], v[144:145]
	v_fmac_f64_e32 v[54:55], v[48:49], v[148:149]
	v_add_f64 v[62:63], v[234:235], v[54:55]
	v_mul_f64 v[54:55], v[222:223], v[64:65]
	v_fma_f64 v[98:99], v[220:221], v[66:67], -v[54:55]
	buffer_load_dword v221, off, s[0:3], 0 offset:876
	buffer_load_dword v220, off, s[0:3], 0 offset:872
	;; [unrolled: 1-line block ×4, first 2 shown]
	s_waitcnt vmcnt(54) lgkmcnt(0)
	v_mul_f64 v[64:65], v[50:51], v[178:179]
	ds_read_b128 v[54:57], v1 offset:1536
	s_waitcnt vmcnt(52)
	v_fmac_f64_e32 v[64:65], v[52:53], v[180:181]
	v_add_f64 v[62:63], v[62:63], v[64:65]
	v_mul_f64 v[64:65], v[226:227], v[74:75]
	v_fma_f64 v[100:101], v[224:225], v[94:95], -v[64:65]
	ds_read_b128 v[222:225], v1 offset:1552
	s_waitcnt lgkmcnt(1)
	v_mul_f64 v[64:65], v[54:55], v[152:153]
	v_fmac_f64_e32 v[64:65], v[56:57], v[156:157]
	v_add_f64 v[74:75], v[62:63], v[64:65]
	ds_read_b128 v[62:65], v1 offset:1568
	v_mul_f64 v[66:67], v[238:239], v[70:71]
	s_waitcnt vmcnt(46) lgkmcnt(1)
	v_mul_f64 v[70:71], v[222:223], v[182:183]
	v_fma_f64 v[236:237], v[236:237], v[72:73], -v[66:67]
	ds_read_b128 v[66:69], v1 offset:1584
	s_waitcnt vmcnt(44)
	v_fmac_f64_e32 v[70:71], v[224:225], v[184:185]
	v_add_f64 v[74:75], v[74:75], v[70:71]
	v_mul_f64 v[70:71], v[242:243], v[76:77]
	v_fma_f64 v[6:7], v[240:241], v[88:89], -v[70:71]
	ds_read_b128 v[70:73], v1 offset:1600
	ds_read_b128 v[78:81], v1 offset:1632
	s_waitcnt lgkmcnt(3)
	v_mul_f64 v[94:95], v[62:63], v[160:161]
	v_fmac_f64_e32 v[94:95], v[64:65], v[164:165]
	s_waitcnt vmcnt(38) lgkmcnt(2)
	v_mul_f64 v[76:77], v[66:67], v[186:187]
	v_add_f64 v[74:75], v[74:75], v[94:95]
	s_waitcnt vmcnt(36)
	v_fmac_f64_e32 v[76:77], v[68:69], v[188:189]
	v_add_f64 v[74:75], v[74:75], v[76:77]
	s_waitcnt lgkmcnt(1)
	v_mul_f64 v[76:77], v[70:71], v[168:169]
	v_fmac_f64_e32 v[76:77], v[72:73], v[172:173]
	v_add_f64 v[88:89], v[74:75], v[76:77]
	ds_read_b128 v[74:77], v1 offset:1616
	v_fma_f64 v[4:5], v[82:83], v[228:229], -v[84:85]
	ds_read_b128 v[82:85], v1 offset:1648
	v_mul_f64 v[92:93], v[92:93], v[96:97]
	v_fma_f64 v[2:3], v[90:91], v[102:103], -v[92:93]
	ds_read_b128 v[226:229], v1 offset:1696
	v_mul_f64 v[102:103], v[250:251], v[108:109]
	v_fma_f64 v[250:251], v[248:249], v[232:233], -v[102:103]
	v_mul_f64 v[102:103], v[254:255], v[104:105]
	v_fma_f64 v[252:253], v[252:253], v[106:107], -v[102:103]
	ds_read_b128 v[102:105], v1 offset:1728
	v_add_f64 v[10:11], v[10:11], 0
	v_add_f64 v[8:9], v[10:11], v[8:9]
	;; [unrolled: 1-line block ×4, first 2 shown]
	ds_read_b128 v[90:93], v1 offset:1680
	v_add_f64 v[8:9], v[8:9], v[98:99]
	v_add_f64 v[8:9], v[8:9], v[100:101]
	;; [unrolled: 1-line block ×8, first 2 shown]
	v_mul_f64 v[4:5], v[120:121], v[134:135]
	v_add_f64 v[2:3], v[2:3], v[252:253]
	s_waitcnt vmcnt(25) lgkmcnt(3)
	v_mul_f64 v[96:97], v[82:83], v[200:201]
	v_fma_f64 v[4:5], v[118:119], v[138:139], -v[4:5]
	s_waitcnt vmcnt(23)
	v_fmac_f64_e32 v[96:97], v[84:85], v[206:207]
	v_add_f64 v[2:3], v[2:3], v[4:5]
	v_mul_f64 v[94:95], v[74:75], v[12:13]
	v_accvgpr_read_b32 v4, a168
	v_fmac_f64_e32 v[94:95], v[76:77], v[126:127]
	v_mul_f64 v[86:87], v[78:79], v[196:197]
	v_add_f64 v[88:89], v[88:89], v[94:95]
	v_fmac_f64_e32 v[86:87], v[80:81], v[198:199]
	v_add_f64 v[94:95], v[88:89], v[86:87]
	ds_read_b128 v[86:89], v1 offset:1664
	v_add_f64 v[94:95], v[94:95], v[96:97]
	v_accvgpr_read_b32 v5, a169
	v_accvgpr_read_b32 v6, a170
	v_mul_f64 v[4:5], v[192:193], v[4:5]
	s_waitcnt vmcnt(22) lgkmcnt(0)
	v_mul_f64 v[96:97], v[86:87], v[194:195]
	s_waitcnt vmcnt(20)
	v_fmac_f64_e32 v[96:97], v[88:89], v[204:205]
	v_add_f64 v[94:95], v[94:95], v[96:97]
	s_waitcnt vmcnt(18)
	v_mul_f64 v[96:97], v[90:91], v[202:203]
	s_waitcnt vmcnt(16)
	v_fmac_f64_e32 v[96:97], v[92:93], v[208:209]
	v_add_f64 v[108:109], v[94:95], v[96:97]
	ds_read_b128 v[94:97], v1 offset:1712
	s_waitcnt vmcnt(13)
	v_mul_f64 v[106:107], v[226:227], v[212:213]
	s_waitcnt vmcnt(12)
	v_fmac_f64_e32 v[106:107], v[228:229], v[214:215]
	v_add_f64 v[106:107], v[108:109], v[106:107]
	v_accvgpr_read_b32 v7, a171
	s_waitcnt vmcnt(9) lgkmcnt(0)
	v_mul_f64 v[108:109], v[94:95], v[218:219]
	s_waitcnt vmcnt(7)
	v_fmac_f64_e32 v[108:109], v[96:97], v[230:231]
	v_add_f64 v[106:107], v[106:107], v[108:109]
	s_waitcnt vmcnt(5)
	v_mul_f64 v[108:109], v[102:103], v[210:211]
	s_waitcnt vmcnt(4)
	v_fmac_f64_e32 v[108:109], v[104:105], v[216:217]
	v_add_f64 v[110:111], v[106:107], v[108:109]
	ds_read_b128 v[106:109], v1 offset:1744
	buffer_load_dword v232, off, s[0:3], 0 offset:888
	buffer_load_dword v233, off, s[0:3], 0 offset:892
	;; [unrolled: 1-line block ×4, first 2 shown]
	v_fma_f64 v[4:5], v[190:191], v[6:7], -v[4:5]
	v_add_f64 v[2:3], v[2:3], v[4:5]
	v_mul_f64 v[4:5], v[124:125], v[142:143]
	s_waitcnt vmcnt(6) lgkmcnt(0)
	v_mul_f64 v[112:113], v[106:107], v[220:221]
	s_waitcnt vmcnt(4)
	v_fmac_f64_e32 v[112:113], v[108:109], v[234:235]
	v_add_f64 v[114:115], v[110:111], v[112:113]
	ds_read_b128 v[110:113], v1 offset:1760
	buffer_load_dword v243, off, s[0:3], 0 offset:908
	buffer_load_dword v242, off, s[0:3], 0 offset:904
	;; [unrolled: 1-line block ×4, first 2 shown]
	v_fma_f64 v[4:5], v[122:123], v[146:147], -v[4:5]
	v_add_f64 v[2:3], v[2:3], v[4:5]
	v_accvgpr_read_b32 v4, a172
	v_accvgpr_read_b32 v5, a173
	;; [unrolled: 1-line block ×3, first 2 shown]
	v_mul_f64 v[4:5], v[16:17], v[4:5]
	v_accvgpr_read_b32 v7, a175
	v_fma_f64 v[4:5], v[14:15], v[6:7], -v[4:5]
	v_add_f64 v[2:3], v[2:3], v[4:5]
	v_mul_f64 v[4:5], v[20:21], v[150:151]
	v_fma_f64 v[4:5], v[18:19], v[154:155], -v[4:5]
	v_add_f64 v[2:3], v[2:3], v[4:5]
	v_accvgpr_read_b32 v4, a176
	v_accvgpr_read_b32 v5, a177
	v_mul_f64 v[4:5], v[24:25], v[4:5]
	v_fma_f64 v[4:5], v[22:23], v[128:129], -v[4:5]
	v_add_f64 v[2:3], v[2:3], v[4:5]
	v_mul_f64 v[4:5], v[28:29], v[158:159]
	v_fma_f64 v[4:5], v[26:27], v[162:163], -v[4:5]
	v_add_f64 v[2:3], v[2:3], v[4:5]
	;; [unrolled: 3-line block ×18, first 2 shown]
	v_mul_f64 v[4:5], v[228:229], v[212:213]
	s_waitcnt vmcnt(6) lgkmcnt(0)
	v_mul_f64 v[116:117], v[110:111], v[232:233]
	v_fma_f64 v[4:5], v[226:227], v[214:215], -v[4:5]
	s_waitcnt vmcnt(4)
	v_fmac_f64_e32 v[116:117], v[112:113], v[238:239]
	v_add_f64 v[240:241], v[114:115], v[116:117]
	ds_read_b128 v[114:117], v1 offset:1776
	v_add_f64 v[2:3], v[2:3], v[4:5]
	v_mul_f64 v[4:5], v[96:97], v[218:219]
	v_fma_f64 v[4:5], v[94:95], v[230:231], -v[4:5]
	v_add_f64 v[2:3], v[2:3], v[4:5]
	s_waitcnt vmcnt(2) lgkmcnt(0)
	v_mul_f64 v[248:249], v[114:115], v[242:243]
	s_waitcnt vmcnt(0)
	v_fmac_f64_e32 v[248:249], v[116:117], v[244:245]
	v_add_f64 v[240:241], v[240:241], v[248:249]
	buffer_load_dword v248, off, s[0:3], 0 offset:224
	buffer_load_dword v249, off, s[0:3], 0 offset:228
	;; [unrolled: 1-line block ×4, first 2 shown]
	v_mul_f64 v[4:5], v[104:105], v[210:211]
	v_fma_f64 v[4:5], v[102:103], v[216:217], -v[4:5]
	v_add_f64 v[2:3], v[2:3], v[4:5]
	v_mul_f64 v[4:5], v[108:109], v[220:221]
	v_fma_f64 v[4:5], v[106:107], v[234:235], -v[4:5]
	v_add_f64 v[2:3], v[2:3], v[4:5]
	;; [unrolled: 3-line block ×4, first 2 shown]
	s_waitcnt vmcnt(2)
	v_add_f64 v[2:3], v[248:249], -v[2:3]
	s_waitcnt vmcnt(0)
	v_add_f64 v[4:5], v[246:247], -v[240:241]
	buffer_store_dword v3, off, s[0:3], 0 offset:228
	buffer_store_dword v2, off, s[0:3], 0 offset:224
	;; [unrolled: 1-line block ×4, first 2 shown]
	s_and_saveexec_b64 s[4:5], vcc
	s_cbranch_execz .LBB119_325
; %bb.324:
	v_accvgpr_read_b32 v1, a155
	buffer_load_dword v2, v1, s[0:3], 0 offen
	buffer_load_dword v3, v1, s[0:3], 0 offen offset:4
	buffer_load_dword v4, v1, s[0:3], 0 offen offset:8
	;; [unrolled: 1-line block ×3, first 2 shown]
	v_mov_b32_e32 v1, 0
	v_accvgpr_read_b32 v6, a167
	buffer_store_dword v1, off, s[0:3], 0 offset:208
	buffer_store_dword v1, off, s[0:3], 0 offset:212
	buffer_store_dword v1, off, s[0:3], 0 offset:216
	buffer_store_dword v1, off, s[0:3], 0 offset:220
	s_waitcnt vmcnt(4)
	ds_write_b128 v6, v[2:5]
.LBB119_325:
	s_or_b64 exec, exec, s[4:5]
	s_waitcnt lgkmcnt(0)
	; wave barrier
	s_waitcnt lgkmcnt(0)
	buffer_load_dword v50, off, s[0:3], 0 offset:224
	buffer_load_dword v51, off, s[0:3], 0 offset:228
	;; [unrolled: 1-line block ×54, first 2 shown]
	v_mov_b32_e32 v1, 0
	ds_read_b128 v[102:105], v1 offset:1104
	ds_read_b128 v[106:109], v1 offset:1120
	;; [unrolled: 1-line block ×9, first 2 shown]
	v_cmp_lt_u32_e32 vcc, 11, v0
	s_waitcnt vmcnt(46) lgkmcnt(7)
	v_mul_f64 v[4:5], v[106:107], v[58:59]
	v_fmac_f64_e32 v[4:5], v[108:109], v[52:53]
	s_waitcnt vmcnt(44) lgkmcnt(6)
	v_mul_f64 v[6:7], v[110:111], v[202:203]
	s_waitcnt vmcnt(42) lgkmcnt(4)
	v_mul_f64 v[10:11], v[206:207], v[210:211]
	s_waitcnt vmcnt(40)
	v_fmac_f64_e32 v[10:11], v[208:209], v[60:61]
	s_waitcnt vmcnt(38)
	v_mul_f64 v[8:9], v[114:115], v[64:65]
	s_waitcnt vmcnt(36) lgkmcnt(2)
	v_mul_f64 v[14:15], v[224:225], v[66:67]
	s_waitcnt vmcnt(34)
	v_fmac_f64_e32 v[14:15], v[226:227], v[70:71]
	s_waitcnt vmcnt(32)
	;; [unrolled: 6-line block ×3, first 2 shown]
	v_fmac_f64_e32 v[8:9], v[116:117], v[80:81]
	s_waitcnt vmcnt(24)
	v_fmac_f64_e32 v[12:13], v[222:223], v[78:79]
	s_waitcnt vmcnt(22)
	;; [unrolled: 2-line block ×3, first 2 shown]
	v_pk_mov_b32 v[18:19], v[2:3], v[2:3] op_sel:[0,1]
	v_mul_f64 v[2:3], v[102:103], v[198:199]
	v_fmac_f64_e32 v[2:3], v[104:105], v[50:51]
	v_add_f64 v[2:3], v[2:3], 0
	v_add_f64 v[2:3], v[2:3], v[4:5]
	buffer_load_dword v5, off, s[0:3], 0 offset:452
	buffer_load_dword v4, off, s[0:3], 0 offset:448
	v_add_f64 v[2:3], v[2:3], v[6:7]
	v_add_f64 v[2:3], v[2:3], v[8:9]
	;; [unrolled: 1-line block ×6, first 2 shown]
	v_accvgpr_write_b32 a169, v19
	v_accvgpr_write_b32 a168, v18
	s_waitcnt vmcnt(0)
	v_pk_mov_b32 v[14:15], v[4:5], v[4:5] op_sel:[0,1]
	buffer_load_dword v229, off, s[0:3], 0 offset:444
	buffer_load_dword v228, off, s[0:3], 0 offset:440
	;; [unrolled: 1-line block ×6, first 2 shown]
	v_accvgpr_write_b32 a171, v15
	v_accvgpr_write_b32 a170, v14
	s_waitcnt vmcnt(0)
	v_pk_mov_b32 v[22:23], v[4:5], v[4:5] op_sel:[0,1]
	buffer_load_dword v5, off, s[0:3], 0 offset:484
	buffer_load_dword v4, off, s[0:3], 0 offset:480
	v_accvgpr_write_b32 a173, v23
	v_accvgpr_write_b32 a172, v22
	s_waitcnt vmcnt(0)
	v_pk_mov_b32 v[24:25], v[4:5], v[4:5] op_sel:[0,1]
	buffer_load_dword v139, off, s[0:3], 0 offset:476
	buffer_load_dword v138, off, s[0:3], 0 offset:472
	;; [unrolled: 1-line block ×52, first 2 shown]
	ds_read_b128 v[240:243], v1 offset:1248
	ds_read_b128 v[244:247], v1 offset:1264
	;; [unrolled: 1-line block ×8, first 2 shown]
	v_accvgpr_write_b32 a175, v25
	s_waitcnt lgkmcnt(3)
	v_mul_f64 v[8:9], v[54:55], v[228:229]
	v_fmac_f64_e32 v[8:9], v[56:57], v[62:63]
	s_waitcnt lgkmcnt(2)
	v_mul_f64 v[12:13], v[122:123], v[18:19]
	v_fmac_f64_e32 v[12:13], v[124:125], v[14:15]
	;; [unrolled: 3-line block ×3, first 2 shown]
	v_accvgpr_write_b32 a174, v24
	v_mul_f64 v[56:57], v[56:57], v[228:229]
	s_waitcnt vmcnt(50)
	v_mul_f64 v[16:17], v[118:119], v[138:139]
	s_waitcnt vmcnt(48)
	v_fmac_f64_e32 v[16:17], v[120:121], v[142:143]
	s_waitcnt vmcnt(46)
	v_pk_mov_b32 v[30:31], v[4:5], v[4:5] op_sel:[0,1]
	v_mul_f64 v[4:5], v[236:237], v[74:75]
	v_fmac_f64_e32 v[4:5], v[238:239], v[84:85]
	v_add_f64 v[2:3], v[2:3], v[4:5]
	v_mul_f64 v[4:5], v[240:241], v[90:91]
	v_fmac_f64_e32 v[4:5], v[242:243], v[92:93]
	v_add_f64 v[2:3], v[2:3], v[4:5]
	;; [unrolled: 3-line block ×5, first 2 shown]
	v_add_f64 v[10:11], v[6:7], v[8:9]
	v_add_f64 v[14:15], v[10:11], v[12:13]
	;; [unrolled: 1-line block ×3, first 2 shown]
	ds_read_b128 v[14:17], v1 offset:1376
	v_add_f64 v[22:23], v[18:19], v[20:21]
	ds_read_b128 v[18:21], v1 offset:1392
	v_accvgpr_write_b32 a177, v31
	v_accvgpr_write_b32 a176, v30
	s_waitcnt vmcnt(42) lgkmcnt(1)
	v_mul_f64 v[24:25], v[14:15], v[146:147]
	s_waitcnt vmcnt(40)
	v_fmac_f64_e32 v[24:25], v[16:17], v[150:151]
	s_waitcnt lgkmcnt(0)
	v_mul_f64 v[28:29], v[18:19], v[30:31]
	v_add_f64 v[26:27], v[22:23], v[24:25]
	ds_read_b128 v[22:25], v1 offset:1408
	v_fmac_f64_e32 v[28:29], v[20:21], v[128:129]
	v_add_f64 v[30:31], v[26:27], v[28:29]
	ds_read_b128 v[26:29], v1 offset:1424
	v_mul_f64 v[4:5], v[104:105], v[198:199]
	s_waitcnt vmcnt(34) lgkmcnt(1)
	v_mul_f64 v[32:33], v[22:23], v[154:155]
	s_waitcnt vmcnt(32)
	v_fmac_f64_e32 v[32:33], v[24:25], v[158:159]
	v_add_f64 v[34:35], v[30:31], v[32:33]
	s_waitcnt lgkmcnt(0)
	v_mul_f64 v[36:37], v[26:27], v[130:131]
	ds_read_b128 v[30:33], v1 offset:1440
	v_fmac_f64_e32 v[36:37], v[28:29], v[132:133]
	v_add_f64 v[38:39], v[34:35], v[36:37]
	ds_read_b128 v[34:37], v1 offset:1456
	v_fma_f64 v[10:11], v[102:103], v[50:51], -v[4:5]
	s_waitcnt vmcnt(26) lgkmcnt(1)
	v_mul_f64 v[40:41], v[30:31], v[162:163]
	s_waitcnt vmcnt(24)
	v_fmac_f64_e32 v[40:41], v[32:33], v[164:165]
	v_add_f64 v[42:43], v[38:39], v[40:41]
	s_waitcnt lgkmcnt(0)
	v_mul_f64 v[44:45], v[34:35], v[134:135]
	v_fmac_f64_e32 v[44:45], v[36:37], v[136:137]
	ds_read_b128 v[38:41], v1 offset:1472
	v_add_f64 v[46:47], v[42:43], v[44:45]
	ds_read_b128 v[42:45], v1 offset:1488
	buffer_load_dword v13, off, s[0:3], 0 offset:716
	buffer_load_dword v127, off, s[0:3], 0 offset:700
	;; [unrolled: 1-line block ×8, first 2 shown]
	v_mul_f64 v[50:51], v[108:109], v[58:59]
	s_waitcnt vmcnt(26) lgkmcnt(1)
	v_mul_f64 v[48:49], v[38:39], v[166:167]
	s_waitcnt vmcnt(24)
	v_fmac_f64_e32 v[48:49], v[40:41], v[168:169]
	v_add_f64 v[190:191], v[46:47], v[48:49]
	ds_read_b128 v[46:49], v1 offset:1504
	buffer_load_dword v187, off, s[0:3], 0 offset:732
	buffer_load_dword v186, off, s[0:3], 0 offset:728
	;; [unrolled: 1-line block ×4, first 2 shown]
	s_waitcnt lgkmcnt(1)
	v_mul_f64 v[192:193], v[42:43], v[140:141]
	v_fmac_f64_e32 v[192:193], v[44:45], v[144:145]
	v_add_f64 v[2:3], v[190:191], v[192:193]
	buffer_load_dword v191, off, s[0:3], 0 offset:748
	buffer_load_dword v190, off, s[0:3], 0 offset:744
	;; [unrolled: 1-line block ×12, first 2 shown]
	v_fma_f64 v[212:213], v[106:107], v[52:53], -v[50:51]
	v_mul_f64 v[50:51], v[112:113], v[202:203]
	v_fma_f64 v[102:103], v[110:111], v[82:83], -v[50:51]
	buffer_load_dword v203, off, s[0:3], 0 offset:796
	buffer_load_dword v202, off, s[0:3], 0 offset:792
	buffer_load_dword v205, off, s[0:3], 0 offset:788
	buffer_load_dword v204, off, s[0:3], 0 offset:784
	v_mul_f64 v[50:51], v[116:117], v[64:65]
	v_fma_f64 v[104:105], v[114:115], v[80:81], -v[50:51]
	v_mul_f64 v[50:51], v[208:209], v[210:211]
	buffer_load_dword v209, off, s[0:3], 0 offset:812
	buffer_load_dword v208, off, s[0:3], 0 offset:808
	;; [unrolled: 1-line block ×4, first 2 shown]
	v_fma_f64 v[6:7], v[206:207], v[60:61], -v[50:51]
	buffer_load_dword v207, off, s[0:3], 0 offset:844
	buffer_load_dword v65, off, s[0:3], 0 offset:828
	;; [unrolled: 1-line block ×12, first 2 shown]
	ds_read_b128 v[50:53], v1 offset:1520
	v_mul_f64 v[58:59], v[222:223], v[76:77]
	v_fma_f64 v[4:5], v[220:221], v[78:79], -v[58:59]
	ds_read_b128 v[220:223], v1 offset:1536
	s_waitcnt vmcnt(54) lgkmcnt(2)
	v_mul_f64 v[8:9], v[46:47], v[170:171]
	s_waitcnt vmcnt(52)
	v_fmac_f64_e32 v[8:9], v[48:49], v[172:173]
	v_add_f64 v[2:3], v[2:3], v[8:9]
	s_waitcnt lgkmcnt(1)
	v_mul_f64 v[8:9], v[50:51], v[148:149]
	v_fmac_f64_e32 v[8:9], v[52:53], v[152:153]
	v_add_f64 v[2:3], v[2:3], v[8:9]
	s_waitcnt vmcnt(46) lgkmcnt(0)
	v_mul_f64 v[8:9], v[220:221], v[174:175]
	s_waitcnt vmcnt(44)
	v_fmac_f64_e32 v[8:9], v[222:223], v[176:177]
	ds_read_b128 v[58:61], v1 offset:1552
	v_add_f64 v[2:3], v[2:3], v[8:9]
	v_mul_f64 v[8:9], v[226:227], v[66:67]
	v_fma_f64 v[8:9], v[224:225], v[70:71], -v[8:9]
	ds_read_b128 v[224:227], v1 offset:1568
	v_mul_f64 v[66:67], v[234:235], v[68:69]
	v_fma_f64 v[232:233], v[232:233], v[72:73], -v[66:67]
	ds_read_b128 v[66:69], v1 offset:1584
	s_waitcnt lgkmcnt(2)
	v_mul_f64 v[70:71], v[58:59], v[156:157]
	v_fmac_f64_e32 v[70:71], v[60:61], v[160:161]
	v_add_f64 v[2:3], v[2:3], v[70:71]
	v_mul_f64 v[74:75], v[238:239], v[74:75]
	v_fma_f64 v[234:235], v[236:237], v[84:85], -v[74:75]
	ds_read_b128 v[74:77], v1 offset:1616
	v_mul_f64 v[78:79], v[242:243], v[90:91]
	v_fma_f64 v[240:241], v[240:241], v[92:93], -v[78:79]
	v_mul_f64 v[86:87], v[246:247], v[86:87]
	v_fma_f64 v[246:247], v[244:245], v[88:89], -v[86:87]
	;; [unrolled: 2-line block ×3, first 2 shown]
	v_add_f64 v[10:11], v[10:11], 0
	v_add_f64 v[10:11], v[10:11], v[212:213]
	;; [unrolled: 1-line block ×3, first 2 shown]
	ds_read_b128 v[78:81], v1 offset:1632
	v_add_f64 v[10:11], v[10:11], v[104:105]
	v_add_f64 v[6:7], v[10:11], v[6:7]
	;; [unrolled: 1-line block ×8, first 2 shown]
	v_accvgpr_read_b32 v6, a168
	v_accvgpr_read_b32 v7, a169
	ds_read_b128 v[86:89], v1 offset:1664
	v_accvgpr_read_b32 v8, a170
	v_mul_f64 v[6:7], v[124:125], v[6:7]
	v_accvgpr_read_b32 v9, a171
	v_fma_f64 v[6:7], v[122:123], v[8:9], -v[6:7]
	v_accvgpr_read_b32 v8, a174
	s_waitcnt vmcnt(41) lgkmcnt(4)
	v_mul_f64 v[70:71], v[224:225], v[126:127]
	v_accvgpr_read_b32 v9, a175
	s_waitcnt vmcnt(39)
	v_fmac_f64_e32 v[70:71], v[226:227], v[184:185]
	v_add_f64 v[2:3], v[2:3], v[70:71]
	s_waitcnt vmcnt(38) lgkmcnt(3)
	v_mul_f64 v[70:71], v[66:67], v[12:13]
	s_waitcnt vmcnt(36)
	v_fmac_f64_e32 v[70:71], v[68:69], v[182:183]
	v_add_f64 v[2:3], v[2:3], v[70:71]
	ds_read_b128 v[70:73], v1 offset:1600
	ds_read_b128 v[94:97], v1 offset:1696
	s_waitcnt vmcnt(34) lgkmcnt(1)
	v_mul_f64 v[82:83], v[70:71], v[186:187]
	s_waitcnt vmcnt(32)
	v_fmac_f64_e32 v[82:83], v[72:73], v[188:189]
	v_add_f64 v[2:3], v[2:3], v[82:83]
	s_waitcnt vmcnt(30)
	v_mul_f64 v[82:83], v[74:75], v[190:191]
	s_waitcnt vmcnt(28)
	v_fmac_f64_e32 v[82:83], v[76:77], v[194:195]
	v_add_f64 v[2:3], v[2:3], v[82:83]
	s_waitcnt vmcnt(26)
	v_mul_f64 v[82:83], v[78:79], v[192:193]
	s_waitcnt vmcnt(24)
	v_fmac_f64_e32 v[82:83], v[80:81], v[196:197]
	v_add_f64 v[2:3], v[2:3], v[82:83]
	ds_read_b128 v[82:85], v1 offset:1648
	s_waitcnt vmcnt(21) lgkmcnt(0)
	v_mul_f64 v[90:91], v[82:83], v[198:199]
	s_waitcnt vmcnt(20)
	v_fmac_f64_e32 v[90:91], v[84:85], v[200:201]
	v_add_f64 v[106:107], v[2:3], v[90:91]
	v_mul_f64 v[90:91], v[250:251], v[98:99]
	v_fma_f64 v[248:249], v[248:249], v[100:101], -v[90:91]
	ds_read_b128 v[90:93], v1 offset:1680
	s_waitcnt vmcnt(18)
	v_mul_f64 v[98:99], v[86:87], v[202:203]
	s_waitcnt vmcnt(16)
	v_fmac_f64_e32 v[98:99], v[88:89], v[204:205]
	v_add_f64 v[98:99], v[106:107], v[98:99]
	v_fma_f64 v[250:251], v[54:55], v[62:63], -v[56:57]
	s_waitcnt vmcnt(14) lgkmcnt(0)
	v_mul_f64 v[100:101], v[90:91], v[208:209]
	s_waitcnt vmcnt(12)
	v_fmac_f64_e32 v[100:101], v[92:93], v[210:211]
	v_add_f64 v[106:107], v[98:99], v[100:101]
	ds_read_b128 v[98:101], v1 offset:1712
	ds_read_b128 v[54:57], v1 offset:1728
	s_waitcnt vmcnt(9)
	v_mul_f64 v[62:63], v[94:95], v[64:65]
	s_waitcnt vmcnt(7)
	v_fmac_f64_e32 v[62:63], v[96:97], v[218:219]
	v_add_f64 v[62:63], v[106:107], v[62:63]
	s_waitcnt vmcnt(6) lgkmcnt(1)
	v_mul_f64 v[106:107], v[98:99], v[206:207]
	s_waitcnt vmcnt(4)
	v_fmac_f64_e32 v[106:107], v[100:101], v[216:217]
	v_add_f64 v[62:63], v[62:63], v[106:107]
	s_waitcnt vmcnt(2) lgkmcnt(0)
	v_mul_f64 v[106:107], v[54:55], v[214:215]
	buffer_load_dword v2, off, s[0:3], 0 offset:872
	s_waitcnt vmcnt(1)
	v_fmac_f64_e32 v[106:107], v[56:57], v[230:231]
	v_add_f64 v[110:111], v[62:63], v[106:107]
	buffer_load_dword v62, off, s[0:3], 0 offset:864
	buffer_load_dword v3, off, s[0:3], 0 offset:876
	;; [unrolled: 1-line block ×3, first 2 shown]
	ds_read_b128 v[106:109], v1 offset:1744
	buffer_load_dword v237, off, s[0:3], 0 offset:892
	buffer_load_dword v236, off, s[0:3], 0 offset:888
	;; [unrolled: 1-line block ×4, first 2 shown]
	v_add_f64 v[4:5], v[4:5], v[248:249]
	v_add_f64 v[252:253], v[4:5], v[252:253]
	;; [unrolled: 1-line block ×4, first 2 shown]
	v_mul_f64 v[6:7], v[120:121], v[138:139]
	v_fma_f64 v[6:7], v[118:119], v[142:143], -v[6:7]
	v_add_f64 v[4:5], v[4:5], v[6:7]
	v_accvgpr_read_b32 v6, a172
	v_accvgpr_read_b32 v7, a173
	v_mul_f64 v[6:7], v[180:181], v[6:7]
	v_fma_f64 v[6:7], v[178:179], v[8:9], -v[6:7]
	v_add_f64 v[4:5], v[4:5], v[6:7]
	v_mul_f64 v[6:7], v[16:17], v[146:147]
	v_fma_f64 v[6:7], v[14:15], v[150:151], -v[6:7]
	v_add_f64 v[4:5], v[4:5], v[6:7]
	v_accvgpr_read_b32 v6, a176
	v_accvgpr_read_b32 v7, a177
	v_mul_f64 v[6:7], v[20:21], v[6:7]
	v_fma_f64 v[6:7], v[18:19], v[128:129], -v[6:7]
	v_add_f64 v[4:5], v[4:5], v[6:7]
	v_mul_f64 v[6:7], v[24:25], v[154:155]
	v_fma_f64 v[6:7], v[22:23], v[158:159], -v[6:7]
	v_add_f64 v[4:5], v[4:5], v[6:7]
	;; [unrolled: 3-line block ×19, first 2 shown]
	v_mul_f64 v[6:7], v[96:97], v[64:65]
	v_fma_f64 v[6:7], v[94:95], v[218:219], -v[6:7]
	s_waitcnt vmcnt(5) lgkmcnt(0)
	v_mul_f64 v[112:113], v[106:107], v[2:3]
	s_waitcnt vmcnt(4)
	v_fmac_f64_e32 v[112:113], v[108:109], v[62:63]
	v_add_f64 v[114:115], v[110:111], v[112:113]
	ds_read_b128 v[110:113], v1 offset:1760
	buffer_load_dword v242, off, s[0:3], 0 offset:904
	buffer_load_dword v243, off, s[0:3], 0 offset:908
	;; [unrolled: 1-line block ×4, first 2 shown]
	v_add_f64 v[4:5], v[4:5], v[6:7]
	v_mul_f64 v[6:7], v[100:101], v[206:207]
	v_fma_f64 v[6:7], v[98:99], v[216:217], -v[6:7]
	s_waitcnt vmcnt(6) lgkmcnt(0)
	v_mul_f64 v[116:117], v[110:111], v[236:237]
	s_waitcnt vmcnt(4)
	v_fmac_f64_e32 v[116:117], v[112:113], v[238:239]
	v_add_f64 v[228:229], v[114:115], v[116:117]
	ds_read_b128 v[114:117], v1 offset:1776
	buffer_load_dword v248, off, s[0:3], 0 offset:208
	buffer_load_dword v249, off, s[0:3], 0 offset:212
	;; [unrolled: 1-line block ×4, first 2 shown]
	v_add_f64 v[4:5], v[4:5], v[6:7]
	v_mul_f64 v[6:7], v[56:57], v[214:215]
	v_fma_f64 v[6:7], v[54:55], v[230:231], -v[6:7]
	v_mul_f64 v[2:3], v[108:109], v[2:3]
	v_add_f64 v[4:5], v[4:5], v[6:7]
	v_fma_f64 v[2:3], v[106:107], v[62:63], -v[2:3]
	v_add_f64 v[2:3], v[4:5], v[2:3]
	v_mul_f64 v[4:5], v[112:113], v[236:237]
	v_fma_f64 v[4:5], v[110:111], v[238:239], -v[4:5]
	v_add_f64 v[2:3], v[2:3], v[4:5]
	s_waitcnt vmcnt(6) lgkmcnt(0)
	v_mul_f64 v[4:5], v[116:117], v[242:243]
	v_mul_f64 v[254:255], v[114:115], v[242:243]
	s_waitcnt vmcnt(4)
	v_fma_f64 v[4:5], v[114:115], v[244:245], -v[4:5]
	v_fmac_f64_e32 v[254:255], v[116:117], v[244:245]
	v_add_f64 v[2:3], v[2:3], v[4:5]
	v_add_f64 v[228:229], v[228:229], v[254:255]
	s_waitcnt vmcnt(2)
	v_add_f64 v[2:3], v[248:249], -v[2:3]
	s_waitcnt vmcnt(0)
	v_add_f64 v[4:5], v[246:247], -v[228:229]
	buffer_store_dword v3, off, s[0:3], 0 offset:212
	buffer_store_dword v2, off, s[0:3], 0 offset:208
	;; [unrolled: 1-line block ×4, first 2 shown]
	s_and_saveexec_b64 s[4:5], vcc
	s_cbranch_execz .LBB119_327
; %bb.326:
	v_accvgpr_read_b32 v5, a156
	buffer_load_dword v2, v5, s[0:3], 0 offen
	buffer_load_dword v3, v5, s[0:3], 0 offen offset:4
	buffer_load_dword v4, v5, s[0:3], 0 offen offset:8
	s_nop 0
	buffer_load_dword v5, v5, s[0:3], 0 offen offset:12
	v_accvgpr_read_b32 v6, a167
	buffer_store_dword v1, off, s[0:3], 0 offset:192
	buffer_store_dword v1, off, s[0:3], 0 offset:196
	;; [unrolled: 1-line block ×4, first 2 shown]
	s_waitcnt vmcnt(4)
	ds_write_b128 v6, v[2:5]
.LBB119_327:
	s_or_b64 exec, exec, s[4:5]
	s_waitcnt lgkmcnt(0)
	; wave barrier
	s_waitcnt lgkmcnt(0)
	buffer_load_dword v184, off, s[0:3], 0 offset:208
	buffer_load_dword v185, off, s[0:3], 0 offset:212
	;; [unrolled: 1-line block ×36, first 2 shown]
	ds_read_b128 v[82:85], v1 offset:1088
	ds_read_b128 v[78:81], v1 offset:1104
	;; [unrolled: 1-line block ×9, first 2 shown]
	buffer_load_dword v235, off, s[0:3], 0 offset:380
	buffer_load_dword v234, off, s[0:3], 0 offset:376
	;; [unrolled: 1-line block ×19, first 2 shown]
	v_cmp_lt_u32_e32 vcc, 10, v0
	s_waitcnt vmcnt(51) lgkmcnt(8)
	v_mul_f64 v[2:3], v[82:83], v[192:193]
	v_fmac_f64_e32 v[2:3], v[84:85], v[184:185]
	v_add_f64 v[2:3], v[2:3], 0
	s_waitcnt vmcnt(47) lgkmcnt(7)
	v_mul_f64 v[4:5], v[78:79], v[196:197]
	v_fmac_f64_e32 v[4:5], v[80:81], v[194:195]
	v_add_f64 v[2:3], v[2:3], v[4:5]
	buffer_load_dword v244, off, s[0:3], 0 offset:432
	buffer_load_dword v229, off, s[0:3], 0 offset:428
	;; [unrolled: 1-line block ×7, first 2 shown]
	s_waitcnt vmcnt(52) lgkmcnt(6)
	v_mul_f64 v[6:7], v[74:75], v[200:201]
	s_waitcnt vmcnt(50) lgkmcnt(4)
	v_mul_f64 v[10:11], v[62:63], v[210:211]
	s_waitcnt vmcnt(48)
	v_fmac_f64_e32 v[10:11], v[64:65], v[212:213]
	v_mul_f64 v[80:81], v[80:81], v[196:197]
	s_waitcnt vmcnt(46)
	v_mul_f64 v[8:9], v[70:71], v[202:203]
	v_fma_f64 v[78:79], v[78:79], v[194:195], -v[80:81]
	s_waitcnt vmcnt(44) lgkmcnt(2)
	v_mul_f64 v[14:15], v[54:55], v[104:105]
	v_mul_f64 v[64:65], v[64:65], v[210:211]
	s_waitcnt vmcnt(42)
	v_fmac_f64_e32 v[14:15], v[56:57], v[108:109]
	v_fma_f64 v[210:211], v[62:63], v[212:213], -v[64:65]
	s_waitcnt vmcnt(40)
	v_mul_f64 v[12:13], v[50:51], v[112:113]
	s_waitcnt vmcnt(38) lgkmcnt(1)
	v_mul_f64 v[16:17], v[58:59], v[106:107]
	s_waitcnt vmcnt(36)
	v_fmac_f64_e32 v[6:7], v[76:77], v[198:199]
	v_add_f64 v[2:3], v[2:3], v[6:7]
	s_waitcnt vmcnt(34)
	v_fmac_f64_e32 v[8:9], v[72:73], v[116:117]
	v_add_f64 v[2:3], v[2:3], v[8:9]
	;; [unrolled: 3-line block ×3, first 2 shown]
	v_add_f64 v[2:3], v[2:3], v[12:13]
	s_waitcnt vmcnt(30)
	v_fmac_f64_e32 v[16:17], v[60:61], v[110:111]
	v_add_f64 v[2:3], v[2:3], v[14:15]
	v_add_f64 v[2:3], v[2:3], v[16:17]
	v_mul_f64 v[76:77], v[76:77], v[200:201]
	v_fma_f64 v[80:81], v[74:75], v[198:199], -v[76:77]
	v_mul_f64 v[72:73], v[72:73], v[202:203]
	v_mul_f64 v[52:53], v[52:53], v[112:113]
	;; [unrolled: 1-line block ×3, first 2 shown]
	v_fma_f64 v[116:117], v[70:71], v[116:117], -v[72:73]
	s_waitcnt vmcnt(0)
	v_pk_mov_b32 v[18:19], v[4:5], v[4:5] op_sel:[0,1]
	buffer_load_dword v5, off, s[0:3], 0 offset:468
	buffer_load_dword v4, off, s[0:3], 0 offset:464
	v_accvgpr_write_b32 a169, v19
	v_accvgpr_write_b32 a168, v18
	s_waitcnt vmcnt(0)
	v_pk_mov_b32 v[20:21], v[4:5], v[4:5] op_sel:[0,1]
	buffer_load_dword v135, off, s[0:3], 0 offset:460
	buffer_load_dword v134, off, s[0:3], 0 offset:456
	buffer_load_dword v139, off, s[0:3], 0 offset:452
	buffer_load_dword v138, off, s[0:3], 0 offset:448
	buffer_load_dword v5, off, s[0:3], 0 offset:508
	buffer_load_dword v4, off, s[0:3], 0 offset:504
	v_accvgpr_write_b32 a171, v21
	v_accvgpr_write_b32 a170, v20
	s_waitcnt vmcnt(0)
	v_pk_mov_b32 v[26:27], v[4:5], v[4:5] op_sel:[0,1]
	buffer_load_dword v5, off, s[0:3], 0 offset:500
	buffer_load_dword v4, off, s[0:3], 0 offset:496
	v_accvgpr_write_b32 a173, v27
	v_accvgpr_write_b32 a172, v26
	s_waitcnt vmcnt(0)
	v_pk_mov_b32 v[28:29], v[4:5], v[4:5] op_sel:[0,1]
	buffer_load_dword v143, off, s[0:3], 0 offset:492
	buffer_load_dword v142, off, s[0:3], 0 offset:488
	buffer_load_dword v147, off, s[0:3], 0 offset:484
	buffer_load_dword v146, off, s[0:3], 0 offset:480
	buffer_load_dword v5, off, s[0:3], 0 offset:540
	buffer_load_dword v4, off, s[0:3], 0 offset:536
	v_accvgpr_write_b32 a175, v29
	v_accvgpr_write_b32 a174, v28
	s_waitcnt vmcnt(0)
	v_pk_mov_b32 v[34:35], v[4:5], v[4:5] op_sel:[0,1]
	buffer_load_dword v5, off, s[0:3], 0 offset:532
	buffer_load_dword v4, off, s[0:3], 0 offset:528
	v_accvgpr_write_b32 a177, v35
	v_accvgpr_write_b32 a176, v34
	s_waitcnt vmcnt(0)
	v_pk_mov_b32 v[36:37], v[4:5], v[4:5] op_sel:[0,1]
	buffer_load_dword v151, off, s[0:3], 0 offset:524
	buffer_load_dword v150, off, s[0:3], 0 offset:520
	buffer_load_dword v155, off, s[0:3], 0 offset:516
	buffer_load_dword v154, off, s[0:3], 0 offset:512
	buffer_load_dword v5, off, s[0:3], 0 offset:572
	buffer_load_dword v4, off, s[0:3], 0 offset:568
	v_accvgpr_write_b32 a179, v37
	v_accvgpr_write_b32 a178, v36
	s_waitcnt vmcnt(0)
	v_pk_mov_b32 v[42:43], v[4:5], v[4:5] op_sel:[0,1]
	buffer_load_dword v5, off, s[0:3], 0 offset:564
	buffer_load_dword v4, off, s[0:3], 0 offset:560
	;; [unrolled: 1-line block ×30, first 2 shown]
	ds_read_b128 v[220:223], v1 offset:1232
	ds_read_b128 v[224:227], v1 offset:1248
	ds_read_b128 v[86:89], v1 offset:1264
	ds_read_b128 v[90:93], v1 offset:1280
	ds_read_b128 v[94:97], v1 offset:1296
	ds_read_b128 v[98:101], v1 offset:1312
	ds_read_b128 v[130:133], v1 offset:1328
	ds_read_b128 v[126:129], v1 offset:1344
	ds_read_b128 v[122:125], v1 offset:1360
	ds_read_b128 v[118:121], v1 offset:1376
	s_waitcnt lgkmcnt(4)
	v_mul_f64 v[8:9], v[98:99], v[242:243]
	v_fmac_f64_e32 v[8:9], v[100:101], v[244:245]
	s_waitcnt lgkmcnt(3)
	v_mul_f64 v[12:13], v[130:131], v[134:135]
	v_fmac_f64_e32 v[12:13], v[132:133], v[138:139]
	;; [unrolled: 3-line block ×5, first 2 shown]
	v_accvgpr_write_b32 a181, v43
	v_accvgpr_write_b32 a180, v42
	v_mul_f64 v[70:71], v[222:223], v[238:239]
	v_mul_f64 v[100:101], v[100:101], v[242:243]
	s_waitcnt vmcnt(28)
	v_pk_mov_b32 v[44:45], v[4:5], v[4:5] op_sel:[0,1]
	v_mul_f64 v[4:5], v[66:67], v[102:103]
	v_fmac_f64_e32 v[4:5], v[68:69], v[232:233]
	v_add_f64 v[2:3], v[2:3], v[4:5]
	v_mul_f64 v[4:5], v[220:221], v[238:239]
	v_fmac_f64_e32 v[4:5], v[222:223], v[240:241]
	v_add_f64 v[2:3], v[2:3], v[4:5]
	;; [unrolled: 3-line block ×6, first 2 shown]
	v_add_f64 v[10:11], v[6:7], v[8:9]
	v_add_f64 v[14:15], v[10:11], v[12:13]
	;; [unrolled: 1-line block ×4, first 2 shown]
	ds_read_b128 v[18:21], v1 offset:1392
	v_add_f64 v[26:27], v[22:23], v[24:25]
	ds_read_b128 v[22:25], v1 offset:1408
	v_accvgpr_write_b32 a183, v45
	v_accvgpr_write_b32 a182, v44
	s_waitcnt lgkmcnt(1)
	v_mul_f64 v[28:29], v[18:19], v[150:151]
	v_fmac_f64_e32 v[28:29], v[20:21], v[154:155]
	v_add_f64 v[30:31], v[26:27], v[28:29]
	ds_read_b128 v[26:29], v1 offset:1424
	s_waitcnt lgkmcnt(1)
	v_mul_f64 v[32:33], v[22:23], v[34:35]
	v_fmac_f64_e32 v[32:33], v[24:25], v[36:37]
	v_add_f64 v[34:35], v[30:31], v[32:33]
	ds_read_b128 v[30:33], v1 offset:1440
	s_waitcnt vmcnt(26) lgkmcnt(1)
	v_mul_f64 v[36:37], v[26:27], v[158:159]
	s_waitcnt vmcnt(24)
	v_fmac_f64_e32 v[36:37], v[28:29], v[160:161]
	v_add_f64 v[38:39], v[34:35], v[36:37]
	ds_read_b128 v[34:37], v1 offset:1456
	s_waitcnt lgkmcnt(1)
	v_mul_f64 v[40:41], v[30:31], v[42:43]
	v_fmac_f64_e32 v[40:41], v[32:33], v[44:45]
	v_add_f64 v[42:43], v[38:39], v[40:41]
	ds_read_b128 v[38:41], v1 offset:1472
	s_waitcnt vmcnt(18) lgkmcnt(1)
	v_mul_f64 v[44:45], v[34:35], v[162:163]
	s_waitcnt vmcnt(16)
	v_fmac_f64_e32 v[44:45], v[36:37], v[164:165]
	v_add_f64 v[46:47], v[42:43], v[44:45]
	ds_read_b128 v[42:45], v1 offset:1488
	buffer_load_dword v175, off, s[0:3], 0 offset:684
	buffer_load_dword v174, off, s[0:3], 0 offset:680
	;; [unrolled: 1-line block ×4, first 2 shown]
	s_waitcnt lgkmcnt(1)
	v_mul_f64 v[48:49], v[38:39], v[136:137]
	v_fmac_f64_e32 v[48:49], v[40:41], v[140:141]
	v_add_f64 v[178:179], v[46:47], v[48:49]
	ds_read_b128 v[46:49], v1 offset:1504
	buffer_load_dword v181, off, s[0:3], 0 offset:700
	buffer_load_dword v180, off, s[0:3], 0 offset:696
	;; [unrolled: 1-line block ×4, first 2 shown]
	s_waitcnt vmcnt(18) lgkmcnt(1)
	v_mul_f64 v[186:187], v[42:43], v[166:167]
	s_waitcnt vmcnt(16)
	v_fmac_f64_e32 v[186:187], v[44:45], v[168:169]
	v_add_f64 v[2:3], v[178:179], v[186:187]
	buffer_load_dword v179, off, s[0:3], 0 offset:732
	buffer_load_dword v187, off, s[0:3], 0 offset:716
	buffer_load_dword v186, off, s[0:3], 0 offset:712
	buffer_load_dword v191, off, s[0:3], 0 offset:708
	buffer_load_dword v190, off, s[0:3], 0 offset:704
	buffer_load_dword v178, off, s[0:3], 0 offset:728
	buffer_load_dword v189, off, s[0:3], 0 offset:724
	buffer_load_dword v188, off, s[0:3], 0 offset:720
	v_mul_f64 v[4:5], v[84:85], v[192:193]
	v_fma_f64 v[14:15], v[82:83], v[184:185], -v[4:5]
	buffer_load_dword v184, off, s[0:3], 0 offset:760
	buffer_load_dword v193, off, s[0:3], 0 offset:748
	;; [unrolled: 1-line block ×20, first 2 shown]
	s_waitcnt lgkmcnt(0)
	v_mul_f64 v[8:9], v[46:47], v[144:145]
	v_fmac_f64_e32 v[8:9], v[48:49], v[148:149]
	v_fma_f64 v[10:11], v[50:51], v[114:115], -v[52:53]
	buffer_load_dword v213, off, s[0:3], 0 offset:828
	buffer_load_dword v212, off, s[0:3], 0 offset:824
	;; [unrolled: 1-line block ×12, first 2 shown]
	v_add_f64 v[2:3], v[2:3], v[8:9]
	ds_read_b128 v[50:53], v1 offset:1520
	v_mul_f64 v[8:9], v[56:57], v[104:105]
	v_fma_f64 v[8:9], v[54:55], v[108:109], -v[8:9]
	ds_read_b128 v[54:57], v1 offset:1536
	v_fma_f64 v[6:7], v[58:59], v[110:111], -v[60:61]
	ds_read_b128 v[58:61], v1 offset:1552
	s_waitcnt vmcnt(50) lgkmcnt(2)
	v_mul_f64 v[62:63], v[50:51], v[170:171]
	s_waitcnt vmcnt(48)
	v_fmac_f64_e32 v[62:63], v[52:53], v[172:173]
	s_waitcnt lgkmcnt(1)
	v_mul_f64 v[12:13], v[54:55], v[152:153]
	v_add_f64 v[2:3], v[2:3], v[62:63]
	ds_read_b128 v[62:65], v1 offset:1568
	v_fmac_f64_e32 v[12:13], v[56:57], v[156:157]
	v_add_f64 v[2:3], v[2:3], v[12:13]
	v_fma_f64 v[240:241], v[220:221], v[240:241], -v[70:71]
	v_mul_f64 v[82:83], v[226:227], v[234:235]
	v_mul_f64 v[96:97], v[96:97], v[228:229]
	v_add_f64 v[14:15], v[14:15], 0
	v_add_f64 v[14:15], v[14:15], v[78:79]
	;; [unrolled: 1-line block ×8, first 2 shown]
	v_accvgpr_read_b32 v8, a170
	v_accvgpr_read_b32 v9, a171
	ds_read_b128 v[70:73], v1 offset:1600
	ds_read_b128 v[220:223], v1 offset:1696
	s_waitcnt vmcnt(46) lgkmcnt(3)
	v_mul_f64 v[12:13], v[58:59], v[174:175]
	s_waitcnt vmcnt(44)
	v_fmac_f64_e32 v[12:13], v[60:61], v[176:177]
	v_add_f64 v[2:3], v[2:3], v[12:13]
	v_mul_f64 v[12:13], v[68:69], v[102:103]
	v_fma_f64 v[12:13], v[66:67], v[232:233], -v[12:13]
	ds_read_b128 v[66:69], v1 offset:1584
	s_waitcnt vmcnt(42) lgkmcnt(3)
	v_mul_f64 v[74:75], v[62:63], v[180:181]
	s_waitcnt vmcnt(40)
	v_fmac_f64_e32 v[74:75], v[64:65], v[182:183]
	v_add_f64 v[2:3], v[2:3], v[74:75]
	v_fma_f64 v[232:233], v[224:225], v[236:237], -v[82:83]
	s_waitcnt vmcnt(37) lgkmcnt(0)
	v_mul_f64 v[74:75], v[66:67], v[186:187]
	s_waitcnt vmcnt(35)
	v_fmac_f64_e32 v[74:75], v[68:69], v[190:191]
	v_add_f64 v[2:3], v[2:3], v[74:75]
	s_waitcnt vmcnt(34)
	v_mul_f64 v[74:75], v[70:71], v[178:179]
	s_waitcnt vmcnt(32)
	v_fmac_f64_e32 v[74:75], v[72:73], v[188:189]
	v_add_f64 v[2:3], v[2:3], v[74:75]
	ds_read_b128 v[74:77], v1 offset:1616
	ds_read_b128 v[224:227], v1 offset:1632
	v_add_f64 v[6:7], v[6:7], v[12:13]
	v_add_f64 v[6:7], v[6:7], v[240:241]
	;; [unrolled: 1-line block ×3, first 2 shown]
	s_waitcnt vmcnt(29) lgkmcnt(1)
	v_mul_f64 v[82:83], v[74:75], v[192:193]
	s_waitcnt vmcnt(27)
	v_fmac_f64_e32 v[82:83], v[76:77], v[196:197]
	v_add_f64 v[2:3], v[2:3], v[82:83]
	v_mul_f64 v[82:83], v[88:89], v[250:251]
	v_fma_f64 v[4:5], v[86:87], v[252:253], -v[82:83]
	ds_read_b128 v[82:85], v1 offset:1648
	ds_read_b128 v[86:89], v1 offset:1664
	s_waitcnt vmcnt(25) lgkmcnt(2)
	v_mul_f64 v[16:17], v[224:225], v[184:185]
	s_waitcnt vmcnt(24)
	v_fmac_f64_e32 v[16:17], v[226:227], v[194:195]
	v_add_f64 v[2:3], v[2:3], v[16:17]
	v_mul_f64 v[16:17], v[92:93], v[246:247]
	v_fma_f64 v[16:17], v[90:91], v[248:249], -v[16:17]
	ds_read_b128 v[90:93], v1 offset:1680
	s_waitcnt vmcnt(21) lgkmcnt(2)
	v_mul_f64 v[102:103], v[82:83], v[200:201]
	s_waitcnt vmcnt(19)
	v_fmac_f64_e32 v[102:103], v[84:85], v[206:207]
	v_add_f64 v[2:3], v[2:3], v[102:103]
	s_waitcnt vmcnt(18) lgkmcnt(1)
	v_mul_f64 v[102:103], v[86:87], v[198:199]
	s_waitcnt vmcnt(16)
	v_fmac_f64_e32 v[102:103], v[88:89], v[204:205]
	v_add_f64 v[2:3], v[2:3], v[102:103]
	s_waitcnt vmcnt(14) lgkmcnt(0)
	v_mul_f64 v[102:103], v[90:91], v[202:203]
	s_waitcnt vmcnt(12)
	v_fmac_f64_e32 v[102:103], v[92:93], v[208:209]
	v_fma_f64 v[250:251], v[94:95], v[254:255], -v[96:97]
	v_add_f64 v[2:3], v[2:3], v[102:103]
	ds_read_b128 v[94:97], v1 offset:1712
	ds_read_b128 v[102:105], v1 offset:1728
	buffer_load_dword v229, off, s[0:3], 0 offset:876
	buffer_load_dword v228, off, s[0:3], 0 offset:872
	buffer_load_dword v235, off, s[0:3], 0 offset:868
	buffer_load_dword v234, off, s[0:3], 0 offset:864
	ds_read_b128 v[106:109], v1 offset:1744
	buffer_load_dword v236, off, s[0:3], 0 offset:888
	buffer_load_dword v237, off, s[0:3], 0 offset:892
	;; [unrolled: 1-line block ×4, first 2 shown]
	v_fma_f64 v[252:253], v[98:99], v[244:245], -v[100:101]
	ds_read_b128 v[110:113], v1 offset:1760
	buffer_load_dword v243, off, s[0:3], 0 offset:908
	buffer_load_dword v242, off, s[0:3], 0 offset:904
	;; [unrolled: 1-line block ×4, first 2 shown]
	s_waitcnt vmcnt(22)
	v_mul_f64 v[98:99], v[220:221], v[212:213]
	s_waitcnt vmcnt(20)
	v_fmac_f64_e32 v[98:99], v[222:223], v[214:215]
	v_add_f64 v[2:3], v[2:3], v[98:99]
	s_waitcnt vmcnt(17) lgkmcnt(3)
	v_mul_f64 v[98:99], v[94:95], v[218:219]
	s_waitcnt vmcnt(15)
	v_fmac_f64_e32 v[98:99], v[96:97], v[230:231]
	v_add_f64 v[2:3], v[2:3], v[98:99]
	s_waitcnt vmcnt(13) lgkmcnt(2)
	v_mul_f64 v[98:99], v[102:103], v[114:115]
	s_waitcnt vmcnt(12)
	v_fmac_f64_e32 v[98:99], v[104:105], v[216:217]
	v_add_f64 v[2:3], v[2:3], v[98:99]
	v_add_f64 v[4:5], v[6:7], v[4:5]
	;; [unrolled: 1-line block ×4, first 2 shown]
	v_mul_f64 v[6:7], v[132:133], v[134:135]
	v_add_f64 v[4:5], v[4:5], v[252:253]
	v_fma_f64 v[6:7], v[130:131], v[138:139], -v[6:7]
	v_add_f64 v[4:5], v[4:5], v[6:7]
	v_accvgpr_read_b32 v6, a168
	v_accvgpr_read_b32 v7, a169
	v_mul_f64 v[6:7], v[128:129], v[6:7]
	v_fma_f64 v[6:7], v[126:127], v[8:9], -v[6:7]
	v_add_f64 v[4:5], v[4:5], v[6:7]
	v_mul_f64 v[6:7], v[124:125], v[142:143]
	v_fma_f64 v[6:7], v[122:123], v[146:147], -v[6:7]
	v_add_f64 v[4:5], v[4:5], v[6:7]
	v_accvgpr_read_b32 v6, a172
	v_accvgpr_read_b32 v7, a173
	v_accvgpr_read_b32 v8, a174
	v_mul_f64 v[6:7], v[120:121], v[6:7]
	v_accvgpr_read_b32 v9, a175
	v_fma_f64 v[6:7], v[118:119], v[8:9], -v[6:7]
	v_add_f64 v[4:5], v[4:5], v[6:7]
	v_mul_f64 v[6:7], v[20:21], v[150:151]
	v_fma_f64 v[6:7], v[18:19], v[154:155], -v[6:7]
	v_add_f64 v[4:5], v[4:5], v[6:7]
	v_accvgpr_read_b32 v6, a176
	v_accvgpr_read_b32 v7, a177
	v_accvgpr_read_b32 v8, a178
	v_mul_f64 v[6:7], v[24:25], v[6:7]
	v_accvgpr_read_b32 v9, a179
	;; [unrolled: 10-line block ×3, first 2 shown]
	v_fma_f64 v[6:7], v[30:31], v[8:9], -v[6:7]
	v_add_f64 v[4:5], v[4:5], v[6:7]
	v_mul_f64 v[6:7], v[36:37], v[162:163]
	v_fma_f64 v[6:7], v[34:35], v[164:165], -v[6:7]
	v_add_f64 v[4:5], v[4:5], v[6:7]
	v_mul_f64 v[6:7], v[40:41], v[136:137]
	;; [unrolled: 3-line block ×7, first 2 shown]
	v_fma_f64 v[6:7], v[58:59], v[176:177], -v[6:7]
	v_add_f64 v[4:5], v[4:5], v[6:7]
	s_waitcnt vmcnt(10) lgkmcnt(1)
	v_mul_f64 v[98:99], v[106:107], v[228:229]
	v_mul_f64 v[6:7], v[64:65], v[180:181]
	s_waitcnt vmcnt(8)
	v_fmac_f64_e32 v[98:99], v[108:109], v[234:235]
	v_add_f64 v[2:3], v[2:3], v[98:99]
	s_waitcnt vmcnt(6) lgkmcnt(0)
	v_mul_f64 v[98:99], v[110:111], v[236:237]
	s_waitcnt vmcnt(4)
	v_fmac_f64_e32 v[98:99], v[112:113], v[238:239]
	v_add_f64 v[2:3], v[2:3], v[98:99]
	ds_read_b128 v[98:101], v1 offset:1776
	v_fma_f64 v[6:7], v[62:63], v[182:183], -v[6:7]
	v_add_f64 v[4:5], v[4:5], v[6:7]
	v_mul_f64 v[6:7], v[68:69], v[186:187]
	v_fma_f64 v[6:7], v[66:67], v[190:191], -v[6:7]
	s_waitcnt vmcnt(2) lgkmcnt(0)
	v_mul_f64 v[246:247], v[98:99], v[242:243]
	s_waitcnt vmcnt(0)
	v_fmac_f64_e32 v[246:247], v[100:101], v[244:245]
	v_add_f64 v[2:3], v[2:3], v[246:247]
	buffer_load_dword v248, off, s[0:3], 0 offset:192
	buffer_load_dword v249, off, s[0:3], 0 offset:196
	;; [unrolled: 1-line block ×4, first 2 shown]
	v_add_f64 v[4:5], v[4:5], v[6:7]
	v_mul_f64 v[6:7], v[72:73], v[178:179]
	v_fma_f64 v[6:7], v[70:71], v[188:189], -v[6:7]
	v_add_f64 v[4:5], v[4:5], v[6:7]
	v_mul_f64 v[6:7], v[76:77], v[192:193]
	v_fma_f64 v[6:7], v[74:75], v[196:197], -v[6:7]
	;; [unrolled: 3-line block ×12, first 2 shown]
	v_add_f64 v[4:5], v[4:5], v[6:7]
	s_waitcnt vmcnt(2)
	v_add_f64 v[4:5], v[248:249], -v[4:5]
	s_waitcnt vmcnt(0)
	v_add_f64 v[2:3], v[246:247], -v[2:3]
	buffer_store_dword v5, off, s[0:3], 0 offset:196
	buffer_store_dword v4, off, s[0:3], 0 offset:192
	;; [unrolled: 1-line block ×4, first 2 shown]
	s_and_saveexec_b64 s[4:5], vcc
	s_cbranch_execz .LBB119_329
; %bb.328:
	v_accvgpr_read_b32 v1, a157
	buffer_load_dword v2, v1, s[0:3], 0 offen
	buffer_load_dword v3, v1, s[0:3], 0 offen offset:4
	buffer_load_dword v4, v1, s[0:3], 0 offen offset:8
	;; [unrolled: 1-line block ×3, first 2 shown]
	v_mov_b32_e32 v1, 0
	v_accvgpr_read_b32 v6, a167
	buffer_store_dword v1, off, s[0:3], 0 offset:176
	buffer_store_dword v1, off, s[0:3], 0 offset:180
	;; [unrolled: 1-line block ×4, first 2 shown]
	s_waitcnt vmcnt(4)
	ds_write_b128 v6, v[2:5]
.LBB119_329:
	s_or_b64 exec, exec, s[4:5]
	s_waitcnt lgkmcnt(0)
	; wave barrier
	s_waitcnt lgkmcnt(0)
	buffer_load_dword v56, off, s[0:3], 0 offset:192
	buffer_load_dword v57, off, s[0:3], 0 offset:196
	;; [unrolled: 1-line block ×36, first 2 shown]
	v_mov_b32_e32 v1, 0
	buffer_load_dword v87, off, s[0:3], 0 offset:364
	buffer_load_dword v86, off, s[0:3], 0 offset:360
	;; [unrolled: 1-line block ×18, first 2 shown]
	ds_read_b128 v[110:113], v1 offset:1072
	ds_read_b128 v[114:117], v1 offset:1088
	ds_read_b128 v[194:197], v1 offset:1104
	ds_read_b128 v[198:201], v1 offset:1120
	ds_read_b128 v[202:205], v1 offset:1136
	ds_read_b128 v[206:209], v1 offset:1152
	ds_read_b128 v[212:215], v1 offset:1168
	ds_read_b128 v[218:221], v1 offset:1184
	ds_read_b128 v[222:225], v1 offset:1200
	v_cmp_lt_u32_e32 vcc, 9, v0
	s_waitcnt vmcnt(50) lgkmcnt(8)
	v_mul_f64 v[2:3], v[110:111], v[180:181]
	v_fmac_f64_e32 v[2:3], v[112:113], v[56:57]
	v_add_f64 v[2:3], v[2:3], 0
	s_waitcnt vmcnt(46) lgkmcnt(7)
	v_mul_f64 v[4:5], v[114:115], v[54:55]
	v_fmac_f64_e32 v[4:5], v[116:117], v[52:53]
	v_add_f64 v[2:3], v[2:3], v[4:5]
	buffer_load_dword v105, off, s[0:3], 0 offset:420
	buffer_load_dword v104, off, s[0:3], 0 offset:416
	;; [unrolled: 1-line block ×8, first 2 shown]
	s_waitcnt vmcnt(52) lgkmcnt(6)
	v_mul_f64 v[6:7], v[194:195], v[50:51]
	s_waitcnt vmcnt(50) lgkmcnt(4)
	v_mul_f64 v[10:11], v[202:203], v[60:61]
	s_waitcnt vmcnt(48)
	v_fmac_f64_e32 v[10:11], v[204:205], v[62:63]
	v_mul_f64 v[50:51], v[196:197], v[50:51]
	s_waitcnt vmcnt(46)
	v_mul_f64 v[8:9], v[198:199], v[64:65]
	v_mul_f64 v[54:55], v[116:117], v[54:55]
	s_waitcnt vmcnt(44) lgkmcnt(2)
	v_mul_f64 v[14:15], v[212:213], v[74:75]
	v_fma_f64 v[210:211], v[114:115], v[52:53], -v[54:55]
	s_waitcnt vmcnt(42)
	v_fmac_f64_e32 v[14:15], v[214:215], v[72:73]
	v_mul_f64 v[54:55], v[214:215], v[74:75]
	s_waitcnt vmcnt(40)
	v_mul_f64 v[12:13], v[206:207], v[76:77]
	s_waitcnt vmcnt(38) lgkmcnt(1)
	v_mul_f64 v[16:17], v[218:219], v[68:69]
	s_waitcnt vmcnt(36)
	v_fmac_f64_e32 v[6:7], v[196:197], v[82:83]
	v_add_f64 v[2:3], v[2:3], v[6:7]
	s_waitcnt vmcnt(34)
	v_fmac_f64_e32 v[8:9], v[200:201], v[80:81]
	v_add_f64 v[2:3], v[2:3], v[8:9]
	;; [unrolled: 3-line block ×3, first 2 shown]
	v_add_f64 v[2:3], v[2:3], v[12:13]
	v_add_f64 v[2:3], v[2:3], v[14:15]
	s_waitcnt vmcnt(30)
	v_fmac_f64_e32 v[16:17], v[220:221], v[70:71]
	v_add_f64 v[2:3], v[2:3], v[16:17]
	s_waitcnt vmcnt(0)
	v_pk_mov_b32 v[14:15], v[4:5], v[4:5] op_sel:[0,1]
	buffer_load_dword v5, off, s[0:3], 0 offset:452
	buffer_load_dword v4, off, s[0:3], 0 offset:448
	v_accvgpr_write_b32 a169, v15
	v_accvgpr_write_b32 a168, v14
	s_waitcnt vmcnt(0)
	v_pk_mov_b32 v[18:19], v[4:5], v[4:5] op_sel:[0,1]
	buffer_load_dword v107, off, s[0:3], 0 offset:444
	buffer_load_dword v106, off, s[0:3], 0 offset:440
	buffer_load_dword v109, off, s[0:3], 0 offset:436
	buffer_load_dword v108, off, s[0:3], 0 offset:432
	buffer_load_dword v5, off, s[0:3], 0 offset:492
	buffer_load_dword v4, off, s[0:3], 0 offset:488
	v_accvgpr_write_b32 a171, v19
	v_accvgpr_write_b32 a170, v18
	s_waitcnt vmcnt(0)
	v_pk_mov_b32 v[22:23], v[4:5], v[4:5] op_sel:[0,1]
	buffer_load_dword v5, off, s[0:3], 0 offset:484
	buffer_load_dword v4, off, s[0:3], 0 offset:480
	v_accvgpr_write_b32 a173, v23
	v_accvgpr_write_b32 a172, v22
	s_waitcnt vmcnt(0)
	v_pk_mov_b32 v[24:25], v[4:5], v[4:5] op_sel:[0,1]
	buffer_load_dword v139, off, s[0:3], 0 offset:476
	buffer_load_dword v138, off, s[0:3], 0 offset:472
	buffer_load_dword v143, off, s[0:3], 0 offset:468
	buffer_load_dword v142, off, s[0:3], 0 offset:464
	buffer_load_dword v5, off, s[0:3], 0 offset:524
	buffer_load_dword v4, off, s[0:3], 0 offset:520
	v_accvgpr_write_b32 a175, v25
	v_accvgpr_write_b32 a174, v24
	s_waitcnt vmcnt(0)
	v_pk_mov_b32 v[30:31], v[4:5], v[4:5] op_sel:[0,1]
	buffer_load_dword v5, off, s[0:3], 0 offset:516
	buffer_load_dword v4, off, s[0:3], 0 offset:512
	v_accvgpr_write_b32 a177, v31
	v_accvgpr_write_b32 a176, v30
	s_waitcnt vmcnt(0)
	v_pk_mov_b32 v[32:33], v[4:5], v[4:5] op_sel:[0,1]
	buffer_load_dword v147, off, s[0:3], 0 offset:508
	buffer_load_dword v146, off, s[0:3], 0 offset:504
	buffer_load_dword v151, off, s[0:3], 0 offset:500
	buffer_load_dword v150, off, s[0:3], 0 offset:496
	buffer_load_dword v5, off, s[0:3], 0 offset:556
	buffer_load_dword v4, off, s[0:3], 0 offset:552
	v_accvgpr_write_b32 a179, v33
	v_accvgpr_write_b32 a178, v32
	s_waitcnt vmcnt(0)
	v_pk_mov_b32 v[38:39], v[4:5], v[4:5] op_sel:[0,1]
	buffer_load_dword v5, off, s[0:3], 0 offset:548
	buffer_load_dword v4, off, s[0:3], 0 offset:544
	;; [unrolled: 1-line block ×30, first 2 shown]
	ds_read_b128 v[232:235], v1 offset:1216
	ds_read_b128 v[236:239], v1 offset:1232
	;; [unrolled: 1-line block ×11, first 2 shown]
	s_waitcnt lgkmcnt(4)
	v_mul_f64 v[8:9], v[226:227], v[106:107]
	v_fmac_f64_e32 v[8:9], v[228:229], v[108:109]
	s_waitcnt lgkmcnt(3)
	v_mul_f64 v[12:13], v[130:131], v[14:15]
	v_fmac_f64_e32 v[12:13], v[132:133], v[18:19]
	;; [unrolled: 3-line block ×4, first 2 shown]
	v_accvgpr_write_b32 a181, v39
	v_accvgpr_write_b32 a180, v38
	s_waitcnt vmcnt(28)
	v_pk_mov_b32 v[40:41], v[4:5], v[4:5] op_sel:[0,1]
	v_mul_f64 v[4:5], v[222:223], v[66:67]
	v_fmac_f64_e32 v[4:5], v[224:225], v[84:85]
	v_add_f64 v[2:3], v[2:3], v[4:5]
	v_mul_f64 v[4:5], v[232:233], v[90:91]
	v_fmac_f64_e32 v[4:5], v[234:235], v[92:93]
	v_add_f64 v[2:3], v[2:3], v[4:5]
	;; [unrolled: 3-line block ×7, first 2 shown]
	v_add_f64 v[10:11], v[6:7], v[8:9]
	v_add_f64 v[14:15], v[10:11], v[12:13]
	;; [unrolled: 1-line block ×4, first 2 shown]
	ds_read_b128 v[18:21], v1 offset:1392
	s_waitcnt lgkmcnt(1)
	v_mul_f64 v[24:25], v[118:119], v[146:147]
	v_fmac_f64_e32 v[24:25], v[120:121], v[150:151]
	v_add_f64 v[26:27], v[22:23], v[24:25]
	ds_read_b128 v[22:25], v1 offset:1408
	s_waitcnt lgkmcnt(1)
	v_mul_f64 v[28:29], v[18:19], v[30:31]
	v_fmac_f64_e32 v[28:29], v[20:21], v[32:33]
	v_add_f64 v[30:31], v[26:27], v[28:29]
	ds_read_b128 v[26:29], v1 offset:1424
	s_waitcnt vmcnt(26) lgkmcnt(1)
	v_mul_f64 v[32:33], v[22:23], v[154:155]
	s_waitcnt vmcnt(24)
	v_fmac_f64_e32 v[32:33], v[24:25], v[156:157]
	v_add_f64 v[34:35], v[30:31], v[32:33]
	ds_read_b128 v[30:33], v1 offset:1440
	s_waitcnt lgkmcnt(1)
	v_mul_f64 v[36:37], v[26:27], v[38:39]
	v_fmac_f64_e32 v[36:37], v[28:29], v[40:41]
	v_add_f64 v[38:39], v[34:35], v[36:37]
	ds_read_b128 v[34:37], v1 offset:1456
	v_accvgpr_write_b32 a183, v41
	v_accvgpr_write_b32 a182, v40
	s_waitcnt vmcnt(18) lgkmcnt(1)
	v_mul_f64 v[40:41], v[30:31], v[158:159]
	s_waitcnt vmcnt(16)
	v_fmac_f64_e32 v[40:41], v[32:33], v[160:161]
	v_add_f64 v[42:43], v[38:39], v[40:41]
	ds_read_b128 v[38:41], v1 offset:1472
	s_waitcnt lgkmcnt(1)
	v_mul_f64 v[44:45], v[34:35], v[134:135]
	v_fmac_f64_e32 v[44:45], v[36:37], v[136:137]
	v_add_f64 v[46:47], v[42:43], v[44:45]
	ds_read_b128 v[42:45], v1 offset:1488
	s_waitcnt vmcnt(10) lgkmcnt(1)
	v_mul_f64 v[48:49], v[38:39], v[162:163]
	s_waitcnt vmcnt(8)
	v_fmac_f64_e32 v[48:49], v[40:41], v[164:165]
	v_add_f64 v[172:173], v[46:47], v[48:49]
	ds_read_b128 v[46:49], v1 offset:1504
	s_waitcnt lgkmcnt(1)
	v_mul_f64 v[176:177], v[42:43], v[140:141]
	buffer_load_dword v171, off, s[0:3], 0 offset:668
	buffer_load_dword v170, off, s[0:3], 0 offset:664
	;; [unrolled: 1-line block ×4, first 2 shown]
	v_fmac_f64_e32 v[176:177], v[44:45], v[144:145]
	v_add_f64 v[2:3], v[172:173], v[176:177]
	buffer_load_dword v177, off, s[0:3], 0 offset:684
	buffer_load_dword v176, off, s[0:3], 0 offset:680
	;; [unrolled: 1-line block ×5, first 2 shown]
	v_mul_f64 v[4:5], v[112:113], v[180:181]
	buffer_load_dword v183, off, s[0:3], 0 offset:700
	buffer_load_dword v182, off, s[0:3], 0 offset:696
	;; [unrolled: 1-line block ×15, first 2 shown]
	v_fma_f64 v[14:15], v[110:111], v[56:57], -v[4:5]
	v_fma_f64 v[110:111], v[194:195], v[82:83], -v[50:51]
	buffer_load_dword v195, off, s[0:3], 0 offset:764
	buffer_load_dword v194, off, s[0:3], 0 offset:760
	;; [unrolled: 1-line block ×4, first 2 shown]
	v_mul_f64 v[50:51], v[200:201], v[64:65]
	v_fma_f64 v[112:113], v[198:199], v[80:81], -v[50:51]
	v_mul_f64 v[50:51], v[204:205], v[60:61]
	v_fma_f64 v[10:11], v[202:203], v[62:63], -v[50:51]
	buffer_load_dword v199, off, s[0:3], 0 offset:780
	buffer_load_dword v198, off, s[0:3], 0 offset:776
	;; [unrolled: 1-line block ×8, first 2 shown]
	ds_read_b128 v[50:53], v1 offset:1520
	v_mul_f64 v[8:9], v[208:209], v[76:77]
	buffer_load_dword v209, off, s[0:3], 0 offset:812
	buffer_load_dword v208, off, s[0:3], 0 offset:808
	;; [unrolled: 1-line block ×4, first 2 shown]
	v_fma_f64 v[8:9], v[206:207], v[78:79], -v[8:9]
	v_fma_f64 v[6:7], v[212:213], v[72:73], -v[54:55]
	buffer_load_dword v206, off, s[0:3], 0 offset:840
	buffer_load_dword v215, off, s[0:3], 0 offset:828
	;; [unrolled: 1-line block ×8, first 2 shown]
	v_mul_f64 v[54:55], v[220:221], v[68:69]
	v_fma_f64 v[4:5], v[218:219], v[70:71], -v[54:55]
	buffer_load_dword v219, off, s[0:3], 0 offset:860
	buffer_load_dword v218, off, s[0:3], 0 offset:856
	;; [unrolled: 1-line block ×4, first 2 shown]
	s_waitcnt vmcnt(54) lgkmcnt(1)
	v_mul_f64 v[12:13], v[46:47], v[166:167]
	s_waitcnt vmcnt(52)
	v_fmac_f64_e32 v[12:13], v[48:49], v[168:169]
	v_add_f64 v[2:3], v[2:3], v[12:13]
	s_waitcnt lgkmcnt(0)
	v_mul_f64 v[12:13], v[50:51], v[148:149]
	v_fmac_f64_e32 v[12:13], v[52:53], v[152:153]
	v_add_f64 v[2:3], v[2:3], v[12:13]
	ds_read_b128 v[54:57], v1 offset:1536
	v_mul_f64 v[12:13], v[224:225], v[66:67]
	v_fma_f64 v[12:13], v[222:223], v[84:85], -v[12:13]
	ds_read_b128 v[222:225], v1 offset:1552
	ds_read_b128 v[62:65], v1 offset:1568
	v_mul_f64 v[70:71], v[238:239], v[86:87]
	v_mul_f64 v[82:83], v[246:247], v[96:97]
	v_fma_f64 v[246:247], v[244:245], v[98:99], -v[82:83]
	v_mul_f64 v[86:87], v[250:251], v[230:231]
	v_fma_f64 v[230:231], v[248:249], v[58:59], -v[86:87]
	;; [unrolled: 2-line block ×3, first 2 shown]
	v_add_f64 v[14:15], v[14:15], 0
	v_add_f64 v[14:15], v[14:15], v[210:211]
	;; [unrolled: 1-line block ×9, first 2 shown]
	v_accvgpr_read_b32 v6, a168
	v_accvgpr_read_b32 v7, a169
	;; [unrolled: 1-line block ×3, first 2 shown]
	v_mul_f64 v[6:7], v[132:133], v[6:7]
	v_accvgpr_read_b32 v9, a171
	v_fma_f64 v[6:7], v[130:131], v[8:9], -v[6:7]
	v_accvgpr_read_b32 v8, a174
	v_accvgpr_read_b32 v9, a175
	ds_read_b128 v[82:85], v1 offset:1648
	s_waitcnt vmcnt(50) lgkmcnt(3)
	v_mul_f64 v[16:17], v[54:55], v[170:171]
	s_waitcnt vmcnt(48)
	v_fmac_f64_e32 v[16:17], v[56:57], v[174:175]
	s_waitcnt vmcnt(46) lgkmcnt(2)
	v_mul_f64 v[66:67], v[222:223], v[176:177]
	v_add_f64 v[2:3], v[2:3], v[16:17]
	s_waitcnt vmcnt(44)
	v_fmac_f64_e32 v[66:67], v[224:225], v[178:179]
	v_add_f64 v[2:3], v[2:3], v[66:67]
	ds_read_b128 v[66:69], v1 offset:1584
	v_mul_f64 v[16:17], v[234:235], v[90:91]
	s_waitcnt vmcnt(41) lgkmcnt(2)
	v_mul_f64 v[74:75], v[62:63], v[182:183]
	v_fma_f64 v[16:17], v[232:233], v[92:93], -v[16:17]
	v_fma_f64 v[232:233], v[236:237], v[88:89], -v[70:71]
	s_waitcnt vmcnt(39)
	v_fmac_f64_e32 v[74:75], v[64:65], v[186:187]
	ds_read_b128 v[70:73], v1 offset:1600
	v_add_f64 v[2:3], v[2:3], v[74:75]
	v_mul_f64 v[74:75], v[242:243], v[100:101]
	v_fma_f64 v[240:241], v[240:241], v[102:103], -v[74:75]
	ds_read_b128 v[74:77], v1 offset:1616
	s_waitcnt vmcnt(38) lgkmcnt(2)
	v_mul_f64 v[78:79], v[66:67], v[172:173]
	s_waitcnt vmcnt(36)
	v_fmac_f64_e32 v[78:79], v[68:69], v[184:185]
	v_add_f64 v[2:3], v[2:3], v[78:79]
	s_waitcnt vmcnt(33) lgkmcnt(1)
	v_mul_f64 v[78:79], v[70:71], v[190:191]
	s_waitcnt vmcnt(31)
	v_fmac_f64_e32 v[78:79], v[72:73], v[192:193]
	v_add_f64 v[2:3], v[2:3], v[78:79]
	;; [unrolled: 5-line block ×3, first 2 shown]
	ds_read_b128 v[78:81], v1 offset:1632
	ds_read_b128 v[86:89], v1 offset:1664
	s_waitcnt vmcnt(22)
	v_mul_f64 v[58:59], v[82:83], v[198:199]
	s_waitcnt vmcnt(20)
	v_fmac_f64_e32 v[58:59], v[84:85], v[202:203]
	ds_read_b128 v[98:101], v1 offset:1712
	s_waitcnt lgkmcnt(2)
	v_mul_f64 v[90:91], v[78:79], v[194:195]
	v_fmac_f64_e32 v[90:91], v[80:81], v[196:197]
	v_add_f64 v[2:3], v[2:3], v[90:91]
	ds_read_b128 v[90:93], v1 offset:1680
	v_add_f64 v[2:3], v[2:3], v[58:59]
	s_waitcnt vmcnt(18) lgkmcnt(2)
	v_mul_f64 v[58:59], v[86:87], v[200:201]
	s_waitcnt vmcnt(16)
	v_fmac_f64_e32 v[58:59], v[88:89], v[204:205]
	v_add_f64 v[2:3], v[2:3], v[58:59]
	v_mul_f64 v[58:59], v[254:255], v[94:95]
	ds_read_b128 v[94:97], v1 offset:1696
	v_fma_f64 v[252:253], v[252:253], v[104:105], -v[58:59]
	s_waitcnt vmcnt(14) lgkmcnt(1)
	v_mul_f64 v[58:59], v[90:91], v[208:209]
	s_waitcnt vmcnt(12)
	v_fmac_f64_e32 v[58:59], v[92:93], v[60:61]
	ds_read_b128 v[102:105], v1 offset:1728
	v_add_f64 v[2:3], v[2:3], v[58:59]
	s_waitcnt vmcnt(9) lgkmcnt(1)
	v_mul_f64 v[58:59], v[94:95], v[214:215]
	s_waitcnt vmcnt(7)
	v_fmac_f64_e32 v[58:59], v[96:97], v[216:217]
	v_add_f64 v[2:3], v[2:3], v[58:59]
	s_waitcnt vmcnt(5)
	v_mul_f64 v[58:59], v[98:99], v[206:207]
	s_waitcnt vmcnt(4)
	v_fmac_f64_e32 v[58:59], v[100:101], v[212:213]
	v_add_f64 v[2:3], v[2:3], v[58:59]
	s_waitcnt vmcnt(2) lgkmcnt(0)
	v_mul_f64 v[58:59], v[102:103], v[218:219]
	s_waitcnt vmcnt(0)
	v_fmac_f64_e32 v[58:59], v[104:105], v[220:221]
	v_add_f64 v[58:59], v[2:3], v[58:59]
	buffer_load_dword v2, off, s[0:3], 0 offset:872
	buffer_load_dword v3, off, s[0:3], 0 offset:876
	;; [unrolled: 1-line block ×4, first 2 shown]
	ds_read_b128 v[106:109], v1 offset:1744
	buffer_load_dword v237, off, s[0:3], 0 offset:892
	buffer_load_dword v236, off, s[0:3], 0 offset:888
	;; [unrolled: 1-line block ×4, first 2 shown]
	ds_read_b128 v[226:229], v1 offset:1760
	buffer_load_dword v242, off, s[0:3], 0 offset:904
	buffer_load_dword v243, off, s[0:3], 0 offset:908
	;; [unrolled: 1-line block ×4, first 2 shown]
	v_add_f64 v[4:5], v[4:5], v[16:17]
	v_add_f64 v[4:5], v[4:5], v[232:233]
	;; [unrolled: 1-line block ×8, first 2 shown]
	v_mul_f64 v[6:7], v[128:129], v[138:139]
	v_fma_f64 v[6:7], v[126:127], v[142:143], -v[6:7]
	v_add_f64 v[4:5], v[4:5], v[6:7]
	v_accvgpr_read_b32 v6, a172
	v_accvgpr_read_b32 v7, a173
	v_mul_f64 v[6:7], v[124:125], v[6:7]
	v_fma_f64 v[6:7], v[122:123], v[8:9], -v[6:7]
	v_add_f64 v[4:5], v[4:5], v[6:7]
	v_mul_f64 v[6:7], v[120:121], v[146:147]
	v_fma_f64 v[6:7], v[118:119], v[150:151], -v[6:7]
	v_add_f64 v[4:5], v[4:5], v[6:7]
	v_accvgpr_read_b32 v6, a176
	v_accvgpr_read_b32 v7, a177
	;; [unrolled: 1-line block ×3, first 2 shown]
	v_mul_f64 v[6:7], v[20:21], v[6:7]
	v_accvgpr_read_b32 v9, a179
	v_fma_f64 v[6:7], v[18:19], v[8:9], -v[6:7]
	v_add_f64 v[4:5], v[4:5], v[6:7]
	v_mul_f64 v[6:7], v[24:25], v[154:155]
	v_fma_f64 v[6:7], v[22:23], v[156:157], -v[6:7]
	v_add_f64 v[4:5], v[4:5], v[6:7]
	v_accvgpr_read_b32 v6, a180
	v_accvgpr_read_b32 v7, a181
	;; [unrolled: 1-line block ×3, first 2 shown]
	v_mul_f64 v[6:7], v[28:29], v[6:7]
	v_accvgpr_read_b32 v9, a183
	v_fma_f64 v[6:7], v[26:27], v[8:9], -v[6:7]
	v_add_f64 v[4:5], v[4:5], v[6:7]
	v_mul_f64 v[6:7], v[32:33], v[158:159]
	v_fma_f64 v[6:7], v[30:31], v[160:161], -v[6:7]
	v_add_f64 v[4:5], v[4:5], v[6:7]
	v_mul_f64 v[6:7], v[36:37], v[134:135]
	v_fma_f64 v[6:7], v[34:35], v[136:137], -v[6:7]
	v_add_f64 v[4:5], v[4:5], v[6:7]
	v_mul_f64 v[6:7], v[40:41], v[162:163]
	v_fma_f64 v[6:7], v[38:39], v[164:165], -v[6:7]
	v_add_f64 v[4:5], v[4:5], v[6:7]
	v_mul_f64 v[6:7], v[44:45], v[140:141]
	v_fma_f64 v[6:7], v[42:43], v[144:145], -v[6:7]
	v_add_f64 v[4:5], v[4:5], v[6:7]
	v_mul_f64 v[6:7], v[48:49], v[166:167]
	v_fma_f64 v[6:7], v[46:47], v[168:169], -v[6:7]
	v_add_f64 v[4:5], v[4:5], v[6:7]
	v_mul_f64 v[6:7], v[52:53], v[148:149]
	v_fma_f64 v[6:7], v[50:51], v[152:153], -v[6:7]
	v_add_f64 v[4:5], v[4:5], v[6:7]
	v_mul_f64 v[6:7], v[56:57], v[170:171]
	v_fma_f64 v[6:7], v[54:55], v[174:175], -v[6:7]
	v_add_f64 v[4:5], v[4:5], v[6:7]
	v_mul_f64 v[6:7], v[224:225], v[176:177]
	v_fma_f64 v[6:7], v[222:223], v[178:179], -v[6:7]
	v_add_f64 v[4:5], v[4:5], v[6:7]
	v_mul_f64 v[6:7], v[64:65], v[182:183]
	v_fma_f64 v[6:7], v[62:63], v[186:187], -v[6:7]
	v_add_f64 v[4:5], v[4:5], v[6:7]
	v_mul_f64 v[6:7], v[68:69], v[172:173]
	v_fma_f64 v[6:7], v[66:67], v[184:185], -v[6:7]
	v_add_f64 v[4:5], v[4:5], v[6:7]
	v_mul_f64 v[6:7], v[72:73], v[190:191]
	v_fma_f64 v[6:7], v[70:71], v[192:193], -v[6:7]
	v_add_f64 v[4:5], v[4:5], v[6:7]
	v_mul_f64 v[6:7], v[76:77], v[180:181]
	v_fma_f64 v[6:7], v[74:75], v[188:189], -v[6:7]
	v_add_f64 v[4:5], v[4:5], v[6:7]
	v_mul_f64 v[6:7], v[80:81], v[194:195]
	s_waitcnt vmcnt(10) lgkmcnt(1)
	v_mul_f64 v[114:115], v[106:107], v[2:3]
	v_fma_f64 v[6:7], v[78:79], v[196:197], -v[6:7]
	s_waitcnt vmcnt(8)
	v_fmac_f64_e32 v[114:115], v[108:109], v[234:235]
	v_add_f64 v[58:59], v[58:59], v[114:115]
	s_waitcnt vmcnt(6) lgkmcnt(0)
	v_mul_f64 v[114:115], v[226:227], v[236:237]
	s_waitcnt vmcnt(4)
	v_fmac_f64_e32 v[114:115], v[228:229], v[238:239]
	v_add_f64 v[58:59], v[58:59], v[114:115]
	ds_read_b128 v[114:117], v1 offset:1776
	v_add_f64 v[4:5], v[4:5], v[6:7]
	v_mul_f64 v[6:7], v[84:85], v[198:199]
	v_fma_f64 v[6:7], v[82:83], v[202:203], -v[6:7]
	v_add_f64 v[4:5], v[4:5], v[6:7]
	s_waitcnt vmcnt(2) lgkmcnt(0)
	v_mul_f64 v[248:249], v[114:115], v[242:243]
	s_waitcnt vmcnt(0)
	v_fmac_f64_e32 v[248:249], v[116:117], v[244:245]
	v_add_f64 v[58:59], v[58:59], v[248:249]
	buffer_load_dword v248, off, s[0:3], 0 offset:176
	buffer_load_dword v249, off, s[0:3], 0 offset:180
	;; [unrolled: 1-line block ×4, first 2 shown]
	v_mul_f64 v[6:7], v[88:89], v[200:201]
	v_fma_f64 v[6:7], v[86:87], v[204:205], -v[6:7]
	v_add_f64 v[4:5], v[4:5], v[6:7]
	v_mul_f64 v[6:7], v[92:93], v[208:209]
	v_fma_f64 v[6:7], v[90:91], v[60:61], -v[6:7]
	v_add_f64 v[4:5], v[4:5], v[6:7]
	;; [unrolled: 3-line block ×4, first 2 shown]
	v_mul_f64 v[6:7], v[104:105], v[218:219]
	v_fma_f64 v[6:7], v[102:103], v[220:221], -v[6:7]
	v_mul_f64 v[2:3], v[108:109], v[2:3]
	v_add_f64 v[4:5], v[4:5], v[6:7]
	v_fma_f64 v[2:3], v[106:107], v[234:235], -v[2:3]
	v_add_f64 v[2:3], v[4:5], v[2:3]
	v_mul_f64 v[4:5], v[228:229], v[236:237]
	v_fma_f64 v[4:5], v[226:227], v[238:239], -v[4:5]
	v_add_f64 v[2:3], v[2:3], v[4:5]
	v_mul_f64 v[4:5], v[116:117], v[242:243]
	v_fma_f64 v[4:5], v[114:115], v[244:245], -v[4:5]
	v_add_f64 v[2:3], v[2:3], v[4:5]
	s_waitcnt vmcnt(2)
	v_add_f64 v[2:3], v[248:249], -v[2:3]
	s_waitcnt vmcnt(0)
	v_add_f64 v[4:5], v[246:247], -v[58:59]
	buffer_store_dword v3, off, s[0:3], 0 offset:180
	buffer_store_dword v2, off, s[0:3], 0 offset:176
	;; [unrolled: 1-line block ×4, first 2 shown]
	s_and_saveexec_b64 s[4:5], vcc
	s_cbranch_execz .LBB119_331
; %bb.330:
	v_accvgpr_read_b32 v5, a158
	buffer_load_dword v2, v5, s[0:3], 0 offen
	buffer_load_dword v3, v5, s[0:3], 0 offen offset:4
	buffer_load_dword v4, v5, s[0:3], 0 offen offset:8
	s_nop 0
	buffer_load_dword v5, v5, s[0:3], 0 offen offset:12
	v_accvgpr_read_b32 v6, a167
	buffer_store_dword v1, off, s[0:3], 0 offset:160
	buffer_store_dword v1, off, s[0:3], 0 offset:164
	buffer_store_dword v1, off, s[0:3], 0 offset:168
	buffer_store_dword v1, off, s[0:3], 0 offset:172
	s_waitcnt vmcnt(4)
	ds_write_b128 v6, v[2:5]
.LBB119_331:
	s_or_b64 exec, exec, s[4:5]
	s_waitcnt lgkmcnt(0)
	; wave barrier
	s_waitcnt lgkmcnt(0)
	buffer_load_dword v60, off, s[0:3], 0 offset:176
	buffer_load_dword v61, off, s[0:3], 0 offset:180
	;; [unrolled: 1-line block ×42, first 2 shown]
	ds_read_b128 v[114:117], v1 offset:1056
	ds_read_b128 v[180:183], v1 offset:1072
	;; [unrolled: 1-line block ×10, first 2 shown]
	buffer_load_dword v249, off, s[0:3], 0 offset:324
	buffer_load_dword v248, off, s[0:3], 0 offset:320
	ds_read_b128 v[62:65], v1 offset:1216
	buffer_load_dword v101, off, s[0:3], 0 offset:380
	buffer_load_dword v100, off, s[0:3], 0 offset:376
	;; [unrolled: 1-line block ×6, first 2 shown]
	v_cmp_lt_u32_e32 vcc, 8, v0
	s_waitcnt vmcnt(46) lgkmcnt(10)
	v_mul_f64 v[2:3], v[114:115], v[174:175]
	v_fmac_f64_e32 v[2:3], v[116:117], v[60:61]
	v_add_f64 v[2:3], v[2:3], 0
	s_waitcnt vmcnt(42) lgkmcnt(9)
	v_mul_f64 v[4:5], v[180:181], v[58:59]
	v_fmac_f64_e32 v[4:5], v[182:183], v[50:51]
	v_add_f64 v[2:3], v[2:3], v[4:5]
	buffer_load_dword v251, off, s[0:3], 0 offset:356
	buffer_load_dword v250, off, s[0:3], 0 offset:352
	;; [unrolled: 1-line block ×20, first 2 shown]
	s_waitcnt vmcnt(60) lgkmcnt(8)
	v_mul_f64 v[6:7], v[184:185], v[52:53]
	s_waitcnt vmcnt(58) lgkmcnt(6)
	v_mul_f64 v[10:11], v[198:199], v[68:69]
	s_waitcnt vmcnt(56)
	v_fmac_f64_e32 v[10:11], v[200:201], v[70:71]
	v_mul_f64 v[58:59], v[182:183], v[58:59]
	s_waitcnt vmcnt(54)
	v_mul_f64 v[8:9], v[192:193], v[72:73]
	v_fma_f64 v[214:215], v[180:181], v[50:51], -v[58:59]
	s_waitcnt vmcnt(52) lgkmcnt(4)
	v_mul_f64 v[14:15], v[206:207], v[74:75]
	v_mul_f64 v[50:51], v[186:187], v[52:53]
	s_waitcnt vmcnt(50)
	v_fmac_f64_e32 v[14:15], v[208:209], v[76:77]
	s_waitcnt vmcnt(48)
	v_mul_f64 v[12:13], v[202:203], v[78:79]
	s_waitcnt vmcnt(46) lgkmcnt(2)
	v_mul_f64 v[18:19], v[218:219], v[82:83]
	s_waitcnt vmcnt(43)
	v_mul_f64 v[16:17], v[210:211], v[86:87]
	s_waitcnt vmcnt(41) lgkmcnt(1)
	v_mul_f64 v[20:21], v[54:55], v[80:81]
	s_waitcnt vmcnt(39)
	v_fmac_f64_e32 v[6:7], v[186:187], v[96:97]
	v_add_f64 v[2:3], v[2:3], v[6:7]
	s_waitcnt vmcnt(37)
	v_fmac_f64_e32 v[8:9], v[194:195], v[92:93]
	v_add_f64 v[2:3], v[2:3], v[8:9]
	s_waitcnt vmcnt(35)
	v_fmac_f64_e32 v[12:13], v[204:205], v[90:91]
	v_add_f64 v[2:3], v[2:3], v[10:11]
	v_add_f64 v[2:3], v[2:3], v[12:13]
	s_waitcnt vmcnt(33)
	v_fmac_f64_e32 v[16:17], v[212:213], v[88:89]
	v_add_f64 v[2:3], v[2:3], v[14:15]
	s_waitcnt vmcnt(32)
	v_fmac_f64_e32 v[18:19], v[220:221], v[84:85]
	v_add_f64 v[2:3], v[2:3], v[16:17]
	v_add_f64 v[2:3], v[2:3], v[18:19]
	v_fma_f64 v[96:97], v[184:185], v[96:97], -v[50:51]
	s_waitcnt vmcnt(26)
	v_fmac_f64_e32 v[20:21], v[56:57], v[248:249]
	v_add_f64 v[2:3], v[2:3], v[20:21]
	v_mul_f64 v[50:51], v[194:195], v[72:73]
	v_mul_f64 v[56:57], v[56:57], v[80:81]
	v_fma_f64 v[248:249], v[54:55], v[248:249], -v[56:57]
	s_waitcnt vmcnt(0)
	v_pk_mov_b32 v[18:19], v[4:5], v[4:5] op_sel:[0,1]
	buffer_load_dword v5, off, s[0:3], 0 offset:468
	buffer_load_dword v4, off, s[0:3], 0 offset:464
	v_accvgpr_write_b32 a171, v19
	v_accvgpr_write_b32 a170, v18
	s_waitcnt vmcnt(0)
	v_pk_mov_b32 v[22:23], v[4:5], v[4:5] op_sel:[0,1]
	buffer_load_dword v5, off, s[0:3], 0 offset:460
	buffer_load_dword v4, off, s[0:3], 0 offset:456
	v_accvgpr_write_b32 a173, v23
	v_accvgpr_write_b32 a172, v22
	s_waitcnt vmcnt(0)
	v_pk_mov_b32 v[14:15], v[4:5], v[4:5] op_sel:[0,1]
	buffer_load_dword v139, off, s[0:3], 0 offset:452
	buffer_load_dword v138, off, s[0:3], 0 offset:448
	buffer_load_dword v5, off, s[0:3], 0 offset:508
	buffer_load_dword v4, off, s[0:3], 0 offset:504
	v_accvgpr_write_b32 a169, v15
	v_accvgpr_write_b32 a168, v14
	s_waitcnt vmcnt(0)
	v_pk_mov_b32 v[26:27], v[4:5], v[4:5] op_sel:[0,1]
	buffer_load_dword v5, off, s[0:3], 0 offset:500
	buffer_load_dword v4, off, s[0:3], 0 offset:496
	v_accvgpr_write_b32 a175, v27
	v_accvgpr_write_b32 a174, v26
	s_waitcnt vmcnt(0)
	v_pk_mov_b32 v[28:29], v[4:5], v[4:5] op_sel:[0,1]
	buffer_load_dword v143, off, s[0:3], 0 offset:492
	buffer_load_dword v142, off, s[0:3], 0 offset:488
	buffer_load_dword v147, off, s[0:3], 0 offset:484
	buffer_load_dword v146, off, s[0:3], 0 offset:480
	buffer_load_dword v5, off, s[0:3], 0 offset:540
	buffer_load_dword v4, off, s[0:3], 0 offset:536
	v_accvgpr_write_b32 a177, v29
	v_accvgpr_write_b32 a176, v28
	s_waitcnt vmcnt(0)
	v_pk_mov_b32 v[34:35], v[4:5], v[4:5] op_sel:[0,1]
	buffer_load_dword v5, off, s[0:3], 0 offset:532
	buffer_load_dword v4, off, s[0:3], 0 offset:528
	v_accvgpr_write_b32 a179, v35
	v_accvgpr_write_b32 a178, v34
	s_waitcnt vmcnt(0)
	v_pk_mov_b32 v[36:37], v[4:5], v[4:5] op_sel:[0,1]
	buffer_load_dword v151, off, s[0:3], 0 offset:524
	buffer_load_dword v150, off, s[0:3], 0 offset:520
	;; [unrolled: 16-line block ×3, first 2 shown]
	buffer_load_dword v161, off, s[0:3], 0 offset:548
	buffer_load_dword v160, off, s[0:3], 0 offset:544
	;; [unrolled: 1-line block ×26, first 2 shown]
	ds_read_b128 v[222:225], v1 offset:1232
	ds_read_b128 v[226:229], v1 offset:1248
	;; [unrolled: 1-line block ×10, first 2 shown]
	s_waitcnt lgkmcnt(4)
	v_mul_f64 v[8:9], v[244:245], v[106:107]
	v_fmac_f64_e32 v[8:9], v[246:247], v[108:109]
	s_waitcnt lgkmcnt(3)
	v_mul_f64 v[12:13], v[134:135], v[14:15]
	v_fmac_f64_e32 v[12:13], v[136:137], v[138:139]
	;; [unrolled: 3-line block ×4, first 2 shown]
	ds_read_b128 v[118:121], v1 offset:1392
	s_waitcnt lgkmcnt(1)
	v_mul_f64 v[24:25], v[122:123], v[26:27]
	v_fmac_f64_e32 v[24:25], v[124:125], v[28:29]
	v_accvgpr_write_b32 a185, v45
	v_accvgpr_write_b32 a184, v44
	s_waitcnt vmcnt(22)
	v_pk_mov_b32 v[176:177], v[4:5], v[4:5] op_sel:[0,1]
	v_mul_f64 v[4:5], v[62:63], v[94:95]
	v_fmac_f64_e32 v[4:5], v[64:65], v[98:99]
	v_add_f64 v[2:3], v[2:3], v[4:5]
	v_mul_f64 v[4:5], v[222:223], v[104:105]
	v_fmac_f64_e32 v[4:5], v[224:225], v[250:251]
	v_add_f64 v[2:3], v[2:3], v[4:5]
	;; [unrolled: 3-line block ×6, first 2 shown]
	v_add_f64 v[10:11], v[6:7], v[8:9]
	v_add_f64 v[14:15], v[10:11], v[12:13]
	v_add_f64 v[18:19], v[14:15], v[16:17]
	v_add_f64 v[22:23], v[18:19], v[20:21]
	v_add_f64 v[26:27], v[22:23], v[24:25]
	ds_read_b128 v[22:25], v1 offset:1408
	s_waitcnt lgkmcnt(1)
	v_mul_f64 v[28:29], v[118:119], v[150:151]
	v_fmac_f64_e32 v[28:29], v[120:121], v[154:155]
	v_add_f64 v[30:31], v[26:27], v[28:29]
	ds_read_b128 v[26:29], v1 offset:1424
	s_waitcnt lgkmcnt(1)
	v_mul_f64 v[32:33], v[22:23], v[34:35]
	v_fmac_f64_e32 v[32:33], v[24:25], v[36:37]
	v_add_f64 v[34:35], v[30:31], v[32:33]
	;; [unrolled: 5-line block ×4, first 2 shown]
	ds_read_b128 v[38:41], v1 offset:1472
	ds_read_b128 v[42:45], v1 offset:1488
	s_waitcnt vmcnt(18) lgkmcnt(2)
	v_mul_f64 v[48:49], v[34:35], v[162:163]
	s_waitcnt vmcnt(16)
	v_fmac_f64_e32 v[48:49], v[36:37], v[164:165]
	v_add_f64 v[46:47], v[46:47], v[48:49]
	s_waitcnt lgkmcnt(1)
	v_mul_f64 v[48:49], v[38:39], v[176:177]
	v_fmac_f64_e32 v[48:49], v[40:41], v[140:141]
	v_add_f64 v[46:47], v[46:47], v[48:49]
	s_waitcnt vmcnt(10) lgkmcnt(0)
	v_mul_f64 v[48:49], v[42:43], v[166:167]
	v_accvgpr_write_b32 a187, v177
	s_waitcnt vmcnt(8)
	v_fmac_f64_e32 v[48:49], v[44:45], v[168:169]
	v_accvgpr_write_b32 a186, v176
	v_add_f64 v[2:3], v[46:47], v[48:49]
	ds_read_b128 v[46:49], v1 offset:1504
	v_mul_f64 v[4:5], v[116:117], v[174:175]
	buffer_load_dword v175, off, s[0:3], 0 offset:684
	buffer_load_dword v174, off, s[0:3], 0 offset:680
	;; [unrolled: 1-line block ×16, first 2 shown]
	v_fma_f64 v[14:15], v[192:193], v[92:93], -v[50:51]
	buffer_load_dword v182, off, s[0:3], 0 offset:760
	buffer_load_dword v195, off, s[0:3], 0 offset:748
	;; [unrolled: 1-line block ×8, first 2 shown]
	v_mul_f64 v[8:9], v[200:201], v[68:69]
	v_fma_f64 v[10:11], v[198:199], v[70:71], -v[8:9]
	buffer_load_dword v199, off, s[0:3], 0 offset:780
	buffer_load_dword v198, off, s[0:3], 0 offset:776
	buffer_load_dword v201, off, s[0:3], 0 offset:772
	buffer_load_dword v200, off, s[0:3], 0 offset:768
	v_mul_f64 v[12:13], v[208:209], v[74:75]
	v_mul_f64 v[50:51], v[204:205], v[78:79]
	v_fma_f64 v[12:13], v[206:207], v[76:77], -v[12:13]
	buffer_load_dword v204, off, s[0:3], 0 offset:792
	buffer_load_dword v206, off, s[0:3], 0 offset:784
	;; [unrolled: 1-line block ×4, first 2 shown]
	v_fma_f64 v[8:9], v[202:203], v[90:91], -v[50:51]
	v_mul_f64 v[50:51], v[212:213], v[86:87]
	v_fma_f64 v[6:7], v[210:211], v[88:89], -v[50:51]
	buffer_load_dword v203, off, s[0:3], 0 offset:828
	buffer_load_dword v209, off, s[0:3], 0 offset:812
	;; [unrolled: 1-line block ×12, first 2 shown]
	v_mul_f64 v[16:17], v[220:221], v[82:83]
	ds_read_b128 v[50:53], v1 offset:1520
	v_fma_f64 v[16:17], v[218:219], v[84:85], -v[16:17]
	buffer_load_dword v218, off, s[0:3], 0 offset:856
	buffer_load_dword v220, off, s[0:3], 0 offset:848
	;; [unrolled: 1-line block ×4, first 2 shown]
	ds_read_b128 v[54:57], v1 offset:1536
	s_waitcnt lgkmcnt(2)
	v_mul_f64 v[58:59], v[46:47], v[144:145]
	v_fmac_f64_e32 v[58:59], v[48:49], v[148:149]
	v_add_f64 v[2:3], v[2:3], v[58:59]
	s_waitcnt vmcnt(50) lgkmcnt(1)
	v_mul_f64 v[58:59], v[50:51], v[170:171]
	s_waitcnt vmcnt(48)
	v_fmac_f64_e32 v[58:59], v[52:53], v[172:173]
	v_mul_f64 v[64:65], v[64:65], v[94:95]
	v_add_f64 v[2:3], v[2:3], v[58:59]
	v_fma_f64 v[94:95], v[62:63], v[98:99], -v[64:65]
	ds_read_b128 v[62:65], v1 offset:1568
	s_waitcnt lgkmcnt(1)
	v_mul_f64 v[58:59], v[54:55], v[152:153]
	v_fmac_f64_e32 v[58:59], v[56:57], v[156:157]
	v_fma_f64 v[18:19], v[114:115], v[60:61], -v[4:5]
	v_add_f64 v[2:3], v[2:3], v[58:59]
	ds_read_b128 v[58:61], v1 offset:1552
	v_mul_f64 v[74:75], v[228:229], v[100:101]
	v_fma_f64 v[4:5], v[226:227], v[102:103], -v[74:75]
	ds_read_b128 v[74:77], v1 offset:1616
	v_mul_f64 v[78:79], v[234:235], v[252:253]
	v_fma_f64 v[254:255], v[232:233], v[254:255], -v[78:79]
	ds_read_b128 v[78:81], v1 offset:1632
	ds_read_b128 v[82:85], v1 offset:1648
	;; [unrolled: 1-line block ×4, first 2 shown]
	v_add_f64 v[18:19], v[18:19], 0
	v_add_f64 v[18:19], v[18:19], v[214:215]
	;; [unrolled: 1-line block ×11, first 2 shown]
	s_waitcnt vmcnt(46) lgkmcnt(5)
	v_mul_f64 v[70:71], v[58:59], v[174:175]
	s_waitcnt vmcnt(44)
	v_fmac_f64_e32 v[70:71], v[60:61], v[178:179]
	v_add_f64 v[2:3], v[2:3], v[70:71]
	v_mul_f64 v[70:71], v[224:225], v[104:105]
	v_fma_f64 v[250:251], v[222:223], v[250:251], -v[70:71]
	ds_read_b128 v[222:225], v1 offset:1584
	s_waitcnt vmcnt(41)
	v_mul_f64 v[70:71], v[62:63], v[176:177]
	s_waitcnt vmcnt(40)
	v_fmac_f64_e32 v[70:71], v[64:65], v[180:181]
	v_add_f64 v[2:3], v[2:3], v[70:71]
	ds_read_b128 v[70:73], v1 offset:1600
	s_waitcnt vmcnt(38) lgkmcnt(1)
	v_mul_f64 v[20:21], v[222:223], v[184:185]
	s_waitcnt vmcnt(36)
	v_fmac_f64_e32 v[20:21], v[224:225], v[188:189]
	v_add_f64 v[2:3], v[2:3], v[20:21]
	s_waitcnt vmcnt(22)
	v_mul_f64 v[90:91], v[82:83], v[198:199]
	s_waitcnt lgkmcnt(0)
	v_mul_f64 v[20:21], v[70:71], v[186:187]
	v_fmac_f64_e32 v[20:21], v[72:73], v[190:191]
	v_add_f64 v[2:3], v[2:3], v[20:21]
	v_mul_f64 v[20:21], v[74:75], v[194:195]
	v_fmac_f64_e32 v[20:21], v[76:77], v[196:197]
	v_add_f64 v[2:3], v[2:3], v[20:21]
	;; [unrolled: 3-line block ×3, first 2 shown]
	s_waitcnt vmcnt(20)
	v_fmac_f64_e32 v[90:91], v[84:85], v[200:201]
	v_add_f64 v[98:99], v[2:3], v[90:91]
	v_mul_f64 v[2:3], v[242:243], v[230:231]
	ds_read_b128 v[90:93], v1 offset:1680
	v_fma_f64 v[2:3], v[240:241], v[66:67], -v[2:3]
	s_waitcnt vmcnt(17)
	v_mul_f64 v[66:67], v[86:87], v[204:205]
	s_waitcnt vmcnt(16)
	v_fmac_f64_e32 v[66:67], v[88:89], v[206:207]
	v_add_f64 v[66:67], v[98:99], v[66:67]
	v_mul_f64 v[98:99], v[246:247], v[106:107]
	v_fma_f64 v[252:253], v[244:245], v[108:109], -v[98:99]
	ds_read_b128 v[98:101], v1 offset:1712
	s_waitcnt vmcnt(13) lgkmcnt(1)
	v_mul_f64 v[102:103], v[90:91], v[208:209]
	s_waitcnt vmcnt(11)
	v_fmac_f64_e32 v[102:103], v[92:93], v[68:69]
	v_add_f64 v[66:67], v[66:67], v[102:103]
	s_waitcnt vmcnt(10)
	v_mul_f64 v[102:103], v[226:227], v[202:203]
	s_waitcnt vmcnt(8)
	v_fmac_f64_e32 v[102:103], v[228:229], v[212:213]
	v_add_f64 v[66:67], v[66:67], v[102:103]
	s_waitcnt vmcnt(6) lgkmcnt(0)
	v_mul_f64 v[102:103], v[98:99], v[210:211]
	s_waitcnt vmcnt(4)
	v_fmac_f64_e32 v[102:103], v[100:101], v[216:217]
	v_add_f64 v[66:67], v[66:67], v[102:103]
	ds_read_b128 v[102:105], v1 offset:1728
	buffer_load_dword v233, off, s[0:3], 0 offset:876
	buffer_load_dword v232, off, s[0:3], 0 offset:872
	;; [unrolled: 1-line block ×4, first 2 shown]
	v_mul_f64 v[20:21], v[238:239], v[110:111]
	v_fma_f64 v[20:21], v[236:237], v[112:113], -v[20:21]
	v_add_f64 v[6:7], v[6:7], v[250:251]
	s_waitcnt vmcnt(5) lgkmcnt(0)
	v_mul_f64 v[106:107], v[102:103], v[218:219]
	s_waitcnt vmcnt(4)
	v_fmac_f64_e32 v[106:107], v[104:105], v[220:221]
	v_add_f64 v[66:67], v[66:67], v[106:107]
	ds_read_b128 v[106:109], v1 offset:1744
	buffer_load_dword v236, off, s[0:3], 0 offset:888
	buffer_load_dword v237, off, s[0:3], 0 offset:892
	;; [unrolled: 1-line block ×4, first 2 shown]
	v_add_f64 v[4:5], v[6:7], v[4:5]
	v_add_f64 v[4:5], v[4:5], v[254:255]
	;; [unrolled: 1-line block ×3, first 2 shown]
	v_accvgpr_read_b32 v4, a168
	v_accvgpr_read_b32 v5, a169
	v_add_f64 v[2:3], v[254:255], v[2:3]
	v_mul_f64 v[4:5], v[136:137], v[4:5]
	v_add_f64 v[2:3], v[2:3], v[252:253]
	v_fma_f64 v[4:5], v[134:135], v[138:139], -v[4:5]
	v_add_f64 v[2:3], v[2:3], v[4:5]
	v_accvgpr_read_b32 v4, a170
	v_accvgpr_read_b32 v5, a171
	v_accvgpr_read_b32 v6, a172
	v_mul_f64 v[4:5], v[132:133], v[4:5]
	v_accvgpr_read_b32 v7, a173
	v_fma_f64 v[4:5], v[130:131], v[6:7], -v[4:5]
	v_add_f64 v[2:3], v[2:3], v[4:5]
	v_mul_f64 v[4:5], v[128:129], v[142:143]
	v_fma_f64 v[4:5], v[126:127], v[146:147], -v[4:5]
	v_add_f64 v[2:3], v[2:3], v[4:5]
	v_accvgpr_read_b32 v4, a174
	v_accvgpr_read_b32 v5, a175
	v_accvgpr_read_b32 v6, a176
	v_mul_f64 v[4:5], v[124:125], v[4:5]
	v_accvgpr_read_b32 v7, a177
	v_fma_f64 v[4:5], v[122:123], v[6:7], -v[4:5]
	v_add_f64 v[2:3], v[2:3], v[4:5]
	v_mul_f64 v[4:5], v[120:121], v[150:151]
	;; [unrolled: 10-line block ×4, first 2 shown]
	v_fma_f64 v[4:5], v[34:35], v[164:165], -v[4:5]
	v_add_f64 v[2:3], v[2:3], v[4:5]
	v_accvgpr_read_b32 v4, a186
	v_accvgpr_read_b32 v5, a187
	v_mul_f64 v[4:5], v[40:41], v[4:5]
	v_fma_f64 v[4:5], v[38:39], v[140:141], -v[4:5]
	v_add_f64 v[2:3], v[2:3], v[4:5]
	v_mul_f64 v[4:5], v[44:45], v[166:167]
	v_fma_f64 v[4:5], v[42:43], v[168:169], -v[4:5]
	v_add_f64 v[2:3], v[2:3], v[4:5]
	;; [unrolled: 3-line block ×5, first 2 shown]
	v_mul_f64 v[4:5], v[60:61], v[174:175]
	v_fma_f64 v[4:5], v[58:59], v[178:179], -v[4:5]
	s_waitcnt vmcnt(6) lgkmcnt(0)
	v_mul_f64 v[110:111], v[106:107], v[232:233]
	v_add_f64 v[2:3], v[2:3], v[4:5]
	s_waitcnt vmcnt(4)
	v_fmac_f64_e32 v[110:111], v[108:109], v[234:235]
	v_add_f64 v[66:67], v[66:67], v[110:111]
	ds_read_b128 v[110:113], v1 offset:1760
	buffer_load_dword v243, off, s[0:3], 0 offset:908
	buffer_load_dword v242, off, s[0:3], 0 offset:904
	;; [unrolled: 1-line block ×4, first 2 shown]
	v_mul_f64 v[4:5], v[64:65], v[176:177]
	v_fma_f64 v[4:5], v[62:63], v[180:181], -v[4:5]
	v_add_f64 v[2:3], v[2:3], v[4:5]
	s_waitcnt vmcnt(6) lgkmcnt(0)
	v_mul_f64 v[114:115], v[110:111], v[236:237]
	s_waitcnt vmcnt(4)
	v_fmac_f64_e32 v[114:115], v[112:113], v[238:239]
	v_add_f64 v[66:67], v[66:67], v[114:115]
	ds_read_b128 v[114:117], v1 offset:1776
	buffer_load_dword v248, off, s[0:3], 0 offset:160
	buffer_load_dword v249, off, s[0:3], 0 offset:164
	;; [unrolled: 1-line block ×4, first 2 shown]
	v_mul_f64 v[4:5], v[224:225], v[184:185]
	v_fma_f64 v[4:5], v[222:223], v[188:189], -v[4:5]
	v_add_f64 v[2:3], v[2:3], v[4:5]
	v_mul_f64 v[4:5], v[72:73], v[186:187]
	v_fma_f64 v[4:5], v[70:71], v[190:191], -v[4:5]
	v_add_f64 v[2:3], v[2:3], v[4:5]
	;; [unrolled: 3-line block ×12, first 2 shown]
	s_waitcnt vmcnt(6) lgkmcnt(0)
	v_mul_f64 v[4:5], v[116:117], v[242:243]
	v_mul_f64 v[230:231], v[114:115], v[242:243]
	s_waitcnt vmcnt(4)
	v_fma_f64 v[4:5], v[114:115], v[244:245], -v[4:5]
	v_fmac_f64_e32 v[230:231], v[116:117], v[244:245]
	v_add_f64 v[2:3], v[2:3], v[4:5]
	v_add_f64 v[240:241], v[66:67], v[230:231]
	s_waitcnt vmcnt(2)
	v_add_f64 v[2:3], v[248:249], -v[2:3]
	s_waitcnt vmcnt(0)
	v_add_f64 v[4:5], v[246:247], -v[240:241]
	buffer_store_dword v3, off, s[0:3], 0 offset:164
	buffer_store_dword v2, off, s[0:3], 0 offset:160
	;; [unrolled: 1-line block ×4, first 2 shown]
	s_and_saveexec_b64 s[4:5], vcc
	s_cbranch_execz .LBB119_333
; %bb.332:
	v_accvgpr_read_b32 v1, a159
	buffer_load_dword v2, v1, s[0:3], 0 offen
	buffer_load_dword v3, v1, s[0:3], 0 offen offset:4
	buffer_load_dword v4, v1, s[0:3], 0 offen offset:8
	;; [unrolled: 1-line block ×3, first 2 shown]
	v_mov_b32_e32 v1, 0
	v_accvgpr_read_b32 v6, a167
	buffer_store_dword v1, off, s[0:3], 0 offset:144
	buffer_store_dword v1, off, s[0:3], 0 offset:148
	;; [unrolled: 1-line block ×4, first 2 shown]
	s_waitcnt vmcnt(4)
	ds_write_b128 v6, v[2:5]
.LBB119_333:
	s_or_b64 exec, exec, s[4:5]
	s_waitcnt lgkmcnt(0)
	; wave barrier
	s_waitcnt lgkmcnt(0)
	buffer_load_dword v48, off, s[0:3], 0 offset:160
	buffer_load_dword v49, off, s[0:3], 0 offset:164
	;; [unrolled: 1-line block ×42, first 2 shown]
	v_mov_b32_e32 v1, 0
	buffer_load_dword v99, off, s[0:3], 0 offset:308
	buffer_load_dword v98, off, s[0:3], 0 offset:304
	;; [unrolled: 1-line block ×7, first 2 shown]
	ds_read_b128 v[112:115], v1 offset:1040
	ds_read_b128 v[170:173], v1 offset:1056
	;; [unrolled: 1-line block ×11, first 2 shown]
	v_cmp_lt_u32_e32 vcc, 7, v0
	s_waitcnt vmcnt(45) lgkmcnt(10)
	v_mul_f64 v[2:3], v[112:113], v[52:53]
	v_fmac_f64_e32 v[2:3], v[114:115], v[48:49]
	v_add_f64 v[2:3], v[2:3], 0
	s_waitcnt vmcnt(41) lgkmcnt(9)
	v_mul_f64 v[4:5], v[170:171], v[54:55]
	v_fmac_f64_e32 v[4:5], v[172:173], v[50:51]
	v_add_f64 v[2:3], v[2:3], v[4:5]
	buffer_load_dword v96, off, s[0:3], 0 offset:344
	buffer_load_dword v117, off, s[0:3], 0 offset:340
	;; [unrolled: 1-line block ×21, first 2 shown]
	s_waitcnt vmcnt(60) lgkmcnt(8)
	v_mul_f64 v[6:7], v[178:179], v[46:47]
	s_waitcnt vmcnt(58) lgkmcnt(6)
	v_mul_f64 v[10:11], v[188:189], v[186:187]
	s_waitcnt vmcnt(56)
	v_fmac_f64_e32 v[10:11], v[190:191], v[56:57]
	v_mul_f64 v[46:47], v[180:181], v[46:47]
	s_waitcnt vmcnt(54)
	v_mul_f64 v[8:9], v[182:183], v[64:65]
	s_waitcnt vmcnt(52) lgkmcnt(4)
	v_mul_f64 v[14:15], v[198:199], v[66:67]
	s_waitcnt vmcnt(50)
	v_fmac_f64_e32 v[14:15], v[200:201], v[68:69]
	s_waitcnt vmcnt(48)
	v_mul_f64 v[12:13], v[194:195], v[70:71]
	s_waitcnt vmcnt(46) lgkmcnt(2)
	v_mul_f64 v[18:19], v[212:213], v[76:77]
	s_waitcnt vmcnt(43)
	v_mul_f64 v[16:17], v[202:203], v[78:79]
	s_waitcnt vmcnt(41) lgkmcnt(1)
	v_mul_f64 v[20:21], v[218:219], v[72:73]
	s_waitcnt vmcnt(39)
	v_fmac_f64_e32 v[6:7], v[180:181], v[90:91]
	v_add_f64 v[2:3], v[2:3], v[6:7]
	s_waitcnt vmcnt(37)
	v_fmac_f64_e32 v[8:9], v[184:185], v[88:89]
	v_add_f64 v[2:3], v[2:3], v[8:9]
	;; [unrolled: 3-line block ×3, first 2 shown]
	v_add_f64 v[2:3], v[2:3], v[12:13]
	v_add_f64 v[2:3], v[2:3], v[14:15]
	s_waitcnt vmcnt(33)
	v_fmac_f64_e32 v[16:17], v[204:205], v[80:81]
	v_add_f64 v[2:3], v[2:3], v[16:17]
	s_waitcnt vmcnt(32)
	v_fmac_f64_e32 v[18:19], v[214:215], v[74:75]
	;; [unrolled: 3-line block ×3, first 2 shown]
	v_add_f64 v[2:3], v[2:3], v[20:21]
	v_fma_f64 v[90:91], v[178:179], v[90:91], -v[46:47]
	v_mul_f64 v[46:47], v[184:185], v[64:65]
	s_waitcnt vmcnt(0)
	v_pk_mov_b32 v[14:15], v[4:5], v[4:5] op_sel:[0,1]
	buffer_load_dword v5, off, s[0:3], 0 offset:452
	buffer_load_dword v4, off, s[0:3], 0 offset:448
	v_accvgpr_write_b32 a169, v15
	v_accvgpr_write_b32 a168, v14
	s_waitcnt vmcnt(0)
	v_pk_mov_b32 v[16:17], v[4:5], v[4:5] op_sel:[0,1]
	buffer_load_dword v105, off, s[0:3], 0 offset:444
	buffer_load_dword v104, off, s[0:3], 0 offset:440
	buffer_load_dword v107, off, s[0:3], 0 offset:436
	buffer_load_dword v106, off, s[0:3], 0 offset:432
	buffer_load_dword v5, off, s[0:3], 0 offset:492
	buffer_load_dword v4, off, s[0:3], 0 offset:488
	v_accvgpr_write_b32 a171, v17
	v_accvgpr_write_b32 a170, v16
	s_waitcnt vmcnt(0)
	v_pk_mov_b32 v[22:23], v[4:5], v[4:5] op_sel:[0,1]
	buffer_load_dword v5, off, s[0:3], 0 offset:484
	buffer_load_dword v4, off, s[0:3], 0 offset:480
	v_accvgpr_write_b32 a173, v23
	v_accvgpr_write_b32 a172, v22
	s_waitcnt vmcnt(0)
	v_pk_mov_b32 v[24:25], v[4:5], v[4:5] op_sel:[0,1]
	buffer_load_dword v139, off, s[0:3], 0 offset:476
	buffer_load_dword v138, off, s[0:3], 0 offset:472
	buffer_load_dword v143, off, s[0:3], 0 offset:468
	buffer_load_dword v142, off, s[0:3], 0 offset:464
	buffer_load_dword v5, off, s[0:3], 0 offset:524
	buffer_load_dword v4, off, s[0:3], 0 offset:520
	v_accvgpr_write_b32 a175, v25
	v_accvgpr_write_b32 a174, v24
	;; [unrolled: 16-line block ×4, first 2 shown]
	s_waitcnt vmcnt(0)
	v_pk_mov_b32 v[174:175], v[4:5], v[4:5] op_sel:[0,1]
	buffer_load_dword v5, off, s[0:3], 0 offset:580
	buffer_load_dword v4, off, s[0:3], 0 offset:576
	;; [unrolled: 1-line block ×22, first 2 shown]
	ds_read_b128 v[222:225], v1 offset:1216
	ds_read_b128 v[226:229], v1 offset:1232
	;; [unrolled: 1-line block ×12, first 2 shown]
	s_waitcnt lgkmcnt(5)
	v_mul_f64 v[8:9], v[246:247], v[104:105]
	v_fmac_f64_e32 v[8:9], v[248:249], v[106:107]
	s_waitcnt lgkmcnt(4)
	v_mul_f64 v[12:13], v[134:135], v[14:15]
	v_fmac_f64_e32 v[12:13], v[136:137], v[16:17]
	;; [unrolled: 3-line block ×6, first 2 shown]
	v_accvgpr_write_b32 a185, v175
	v_accvgpr_write_b32 a184, v174
	s_waitcnt vmcnt(20)
	v_pk_mov_b32 v[176:177], v[4:5], v[4:5] op_sel:[0,1]
	v_mul_f64 v[4:5], v[58:59], v[84:85]
	v_fmac_f64_e32 v[4:5], v[60:61], v[86:87]
	v_add_f64 v[2:3], v[2:3], v[4:5]
	v_mul_f64 v[4:5], v[222:223], v[96:97]
	v_fmac_f64_e32 v[4:5], v[224:225], v[116:117]
	v_add_f64 v[2:3], v[2:3], v[4:5]
	;; [unrolled: 3-line block ×7, first 2 shown]
	v_add_f64 v[10:11], v[6:7], v[8:9]
	v_add_f64 v[14:15], v[10:11], v[12:13]
	;; [unrolled: 1-line block ×5, first 2 shown]
	ds_read_b128 v[22:25], v1 offset:1408
	v_add_f64 v[30:31], v[26:27], v[28:29]
	ds_read_b128 v[26:29], v1 offset:1424
	v_mul_f64 v[4:5], v[114:115], v[52:53]
	v_accvgpr_write_b32 a187, v177
	s_waitcnt lgkmcnt(1)
	v_mul_f64 v[32:33], v[22:23], v[154:155]
	v_fmac_f64_e32 v[32:33], v[24:25], v[156:157]
	s_waitcnt lgkmcnt(0)
	v_mul_f64 v[36:37], v[26:27], v[38:39]
	v_add_f64 v[34:35], v[30:31], v[32:33]
	ds_read_b128 v[30:33], v1 offset:1440
	v_fmac_f64_e32 v[36:37], v[28:29], v[40:41]
	v_add_f64 v[38:39], v[34:35], v[36:37]
	ds_read_b128 v[34:37], v1 offset:1456
	v_fma_f64 v[18:19], v[112:113], v[48:49], -v[4:5]
	s_waitcnt vmcnt(18) lgkmcnt(1)
	v_mul_f64 v[40:41], v[30:31], v[158:159]
	s_waitcnt vmcnt(16)
	v_fmac_f64_e32 v[40:41], v[32:33], v[160:161]
	v_add_f64 v[42:43], v[38:39], v[40:41]
	s_waitcnt lgkmcnt(0)
	v_mul_f64 v[44:45], v[34:35], v[174:175]
	v_fmac_f64_e32 v[44:45], v[36:37], v[176:177]
	v_mul_f64 v[48:49], v[172:173], v[54:55]
	ds_read_b128 v[38:41], v1 offset:1472
	v_accvgpr_write_b32 a186, v176
	v_add_f64 v[2:3], v[42:43], v[44:45]
	ds_read_b128 v[42:45], v1 offset:1488
	v_fma_f64 v[192:193], v[170:171], v[50:51], -v[48:49]
	buffer_load_dword v171, off, s[0:3], 0 offset:668
	buffer_load_dword v170, off, s[0:3], 0 offset:664
	;; [unrolled: 1-line block ×8, first 2 shown]
	v_fma_f64 v[14:15], v[182:183], v[88:89], -v[46:47]
	buffer_load_dword v179, off, s[0:3], 0 offset:716
	buffer_load_dword v183, off, s[0:3], 0 offset:700
	;; [unrolled: 1-line block ×6, first 2 shown]
	v_mul_f64 v[8:9], v[190:191], v[186:187]
	buffer_load_dword v187, off, s[0:3], 0 offset:708
	buffer_load_dword v186, off, s[0:3], 0 offset:704
	v_fma_f64 v[10:11], v[188:189], v[56:57], -v[8:9]
	buffer_load_dword v180, off, s[0:3], 0 offset:744
	buffer_load_dword v191, off, s[0:3], 0 offset:732
	;; [unrolled: 1-line block ×8, first 2 shown]
	v_mul_f64 v[50:51], v[196:197], v[70:71]
	ds_read_b128 v[46:49], v1 offset:1504
	v_fma_f64 v[8:9], v[194:195], v[82:83], -v[50:51]
	buffer_load_dword v195, off, s[0:3], 0 offset:764
	buffer_load_dword v194, off, s[0:3], 0 offset:760
	;; [unrolled: 1-line block ×4, first 2 shown]
	v_mul_f64 v[12:13], v[200:201], v[66:67]
	v_fma_f64 v[12:13], v[198:199], v[68:69], -v[12:13]
	buffer_load_dword v198, off, s[0:3], 0 offset:776
	buffer_load_dword v200, off, s[0:3], 0 offset:768
	;; [unrolled: 1-line block ×4, first 2 shown]
	v_mul_f64 v[50:51], v[204:205], v[78:79]
	buffer_load_dword v205, off, s[0:3], 0 offset:796
	buffer_load_dword v204, off, s[0:3], 0 offset:792
	;; [unrolled: 1-line block ×8, first 2 shown]
	v_mul_f64 v[16:17], v[214:215], v[76:77]
	v_fma_f64 v[6:7], v[202:203], v[80:81], -v[50:51]
	v_fma_f64 v[16:17], v[212:213], v[74:75], -v[16:17]
	buffer_load_dword v202, off, s[0:3], 0 offset:840
	buffer_load_dword v215, off, s[0:3], 0 offset:828
	buffer_load_dword v214, off, s[0:3], 0 offset:824
	buffer_load_dword v217, off, s[0:3], 0 offset:820
	buffer_load_dword v216, off, s[0:3], 0 offset:816
	buffer_load_dword v212, off, s[0:3], 0 offset:832
	buffer_load_dword v203, off, s[0:3], 0 offset:844
	buffer_load_dword v213, off, s[0:3], 0 offset:836
	s_waitcnt vmcnt(58) lgkmcnt(2)
	v_mul_f64 v[52:53], v[38:39], v[162:163]
	s_waitcnt vmcnt(56)
	v_fmac_f64_e32 v[52:53], v[40:41], v[164:165]
	v_mul_f64 v[50:51], v[220:221], v[72:73]
	v_add_f64 v[2:3], v[2:3], v[52:53]
	v_fma_f64 v[218:219], v[218:219], v[98:99], -v[50:51]
	ds_read_b128 v[50:53], v1 offset:1520
	s_waitcnt lgkmcnt(2)
	v_mul_f64 v[54:55], v[42:43], v[140:141]
	v_fmac_f64_e32 v[54:55], v[44:45], v[144:145]
	v_add_f64 v[2:3], v[2:3], v[54:55]
	s_waitcnt vmcnt(50) lgkmcnt(1)
	v_mul_f64 v[54:55], v[46:47], v[166:167]
	s_waitcnt vmcnt(48)
	v_fmac_f64_e32 v[54:55], v[48:49], v[168:169]
	v_mul_f64 v[60:61], v[60:61], v[84:85]
	v_add_f64 v[2:3], v[2:3], v[54:55]
	v_fma_f64 v[4:5], v[58:59], v[86:87], -v[60:61]
	ds_read_b128 v[58:61], v1 offset:1552
	s_waitcnt lgkmcnt(1)
	v_mul_f64 v[54:55], v[50:51], v[148:149]
	v_fmac_f64_e32 v[54:55], v[52:53], v[152:153]
	v_add_f64 v[2:3], v[2:3], v[54:55]
	ds_read_b128 v[54:57], v1 offset:1536
	v_mul_f64 v[70:71], v[228:229], v[92:93]
	v_fma_f64 v[92:93], v[226:227], v[94:95], -v[70:71]
	ds_read_b128 v[70:73], v1 offset:1600
	v_mul_f64 v[82:83], v[236:237], v[108:109]
	v_add_f64 v[18:19], v[18:19], 0
	v_add_f64 v[18:19], v[18:19], v[192:193]
	v_add_f64 v[18:19], v[18:19], v[90:91]
	v_add_f64 v[14:15], v[18:19], v[14:15]
	v_add_f64 v[10:11], v[14:15], v[10:11]
	v_add_f64 v[8:9], v[10:11], v[8:9]
	v_add_f64 v[8:9], v[8:9], v[12:13]
	v_add_f64 v[6:7], v[8:9], v[6:7]
	v_add_f64 v[6:7], v[6:7], v[16:17]
	v_add_f64 v[6:7], v[6:7], v[218:219]
	v_add_f64 v[4:5], v[6:7], v[4:5]
	v_accvgpr_read_b32 v6, a168
	v_accvgpr_read_b32 v7, a169
	;; [unrolled: 1-line block ×3, first 2 shown]
	v_mul_f64 v[6:7], v[136:137], v[6:7]
	v_accvgpr_read_b32 v9, a171
	v_fma_f64 v[6:7], v[134:135], v[8:9], -v[6:7]
	v_accvgpr_read_b32 v8, a174
	v_accvgpr_read_b32 v9, a175
	s_waitcnt vmcnt(46) lgkmcnt(1)
	v_mul_f64 v[20:21], v[54:55], v[170:171]
	s_waitcnt vmcnt(44)
	v_fmac_f64_e32 v[20:21], v[56:57], v[176:177]
	v_add_f64 v[2:3], v[2:3], v[20:21]
	v_mul_f64 v[20:21], v[224:225], v[96:97]
	v_fma_f64 v[20:21], v[222:223], v[116:117], -v[20:21]
	ds_read_b128 v[220:223], v1 offset:1568
	s_waitcnt vmcnt(41)
	v_mul_f64 v[66:67], v[58:59], v[172:173]
	s_waitcnt vmcnt(40)
	v_fmac_f64_e32 v[66:67], v[60:61], v[174:175]
	v_add_f64 v[2:3], v[2:3], v[66:67]
	ds_read_b128 v[66:69], v1 offset:1584
	s_waitcnt vmcnt(37) lgkmcnt(1)
	v_mul_f64 v[74:75], v[220:221], v[182:183]
	s_waitcnt vmcnt(35)
	v_fmac_f64_e32 v[74:75], v[222:223], v[184:185]
	v_add_f64 v[2:3], v[2:3], v[74:75]
	v_mul_f64 v[74:75], v[232:233], v[250:251]
	v_fma_f64 v[228:229], v[230:231], v[252:253], -v[74:75]
	ds_read_b128 v[74:77], v1 offset:1616
	s_waitcnt vmcnt(34) lgkmcnt(1)
	v_mul_f64 v[78:79], v[66:67], v[178:179]
	s_waitcnt vmcnt(32)
	v_fmac_f64_e32 v[78:79], v[68:69], v[186:187]
	v_add_f64 v[2:3], v[2:3], v[78:79]
	s_waitcnt vmcnt(29)
	v_mul_f64 v[78:79], v[70:71], v[190:191]
	s_waitcnt vmcnt(27)
	v_fmac_f64_e32 v[78:79], v[72:73], v[64:65]
	v_add_f64 v[2:3], v[2:3], v[78:79]
	v_fma_f64 v[252:253], v[234:235], v[110:111], -v[82:83]
	ds_read_b128 v[82:85], v1 offset:1648
	s_waitcnt vmcnt(25) lgkmcnt(1)
	v_mul_f64 v[78:79], v[74:75], v[180:181]
	s_waitcnt vmcnt(24)
	v_fmac_f64_e32 v[78:79], v[76:77], v[188:189]
	v_add_f64 v[2:3], v[2:3], v[78:79]
	ds_read_b128 v[78:81], v1 offset:1632
	ds_read_b128 v[224:227], v1 offset:1680
	s_waitcnt vmcnt(17) lgkmcnt(2)
	v_mul_f64 v[94:95], v[82:83], v[198:199]
	s_waitcnt vmcnt(16)
	v_fmac_f64_e32 v[94:95], v[84:85], v[200:201]
	v_add_f64 v[4:5], v[4:5], v[20:21]
	s_waitcnt lgkmcnt(1)
	v_mul_f64 v[86:87], v[78:79], v[194:195]
	v_fmac_f64_e32 v[86:87], v[80:81], v[196:197]
	v_add_f64 v[2:3], v[2:3], v[86:87]
	v_mul_f64 v[86:87], v[240:241], v[254:255]
	v_fma_f64 v[62:63], v[238:239], v[62:63], -v[86:87]
	ds_read_b128 v[86:89], v1 offset:1664
	v_add_f64 v[2:3], v[2:3], v[94:95]
	v_mul_f64 v[94:95], v[244:245], v[100:101]
	v_fma_f64 v[254:255], v[242:243], v[102:103], -v[94:95]
	ds_read_b128 v[94:97], v1 offset:1696
	s_waitcnt vmcnt(14) lgkmcnt(1)
	v_mul_f64 v[98:99], v[86:87], v[204:205]
	s_waitcnt vmcnt(12)
	v_fmac_f64_e32 v[98:99], v[88:89], v[208:209]
	v_add_f64 v[2:3], v[2:3], v[98:99]
	v_mul_f64 v[98:99], v[248:249], v[104:105]
	v_fma_f64 v[250:251], v[246:247], v[106:107], -v[98:99]
	ds_read_b128 v[98:101], v1 offset:1712
	s_waitcnt vmcnt(10)
	v_mul_f64 v[102:103], v[224:225], v[206:207]
	s_waitcnt vmcnt(8)
	v_fmac_f64_e32 v[102:103], v[226:227], v[210:211]
	v_add_f64 v[2:3], v[2:3], v[102:103]
	s_waitcnt vmcnt(5) lgkmcnt(1)
	v_mul_f64 v[102:103], v[94:95], v[214:215]
	s_waitcnt vmcnt(3)
	v_fmac_f64_e32 v[102:103], v[96:97], v[216:217]
	v_add_f64 v[2:3], v[2:3], v[102:103]
	s_waitcnt vmcnt(1) lgkmcnt(0)
	v_mul_f64 v[102:103], v[98:99], v[202:203]
	s_waitcnt vmcnt(0)
	v_fmac_f64_e32 v[102:103], v[100:101], v[212:213]
	v_add_f64 v[106:107], v[2:3], v[102:103]
	buffer_load_dword v3, off, s[0:3], 0 offset:860
	buffer_load_dword v2, off, s[0:3], 0 offset:856
	;; [unrolled: 1-line block ×4, first 2 shown]
	ds_read_b128 v[102:105], v1 offset:1728
	buffer_load_dword v232, off, s[0:3], 0 offset:872
	buffer_load_dword v233, off, s[0:3], 0 offset:876
	buffer_load_dword v234, off, s[0:3], 0 offset:864
	buffer_load_dword v235, off, s[0:3], 0 offset:868
	v_add_f64 v[4:5], v[4:5], v[92:93]
	v_add_f64 v[4:5], v[4:5], v[228:229]
	;; [unrolled: 1-line block ×7, first 2 shown]
	v_mul_f64 v[6:7], v[132:133], v[138:139]
	v_fma_f64 v[6:7], v[130:131], v[142:143], -v[6:7]
	v_add_f64 v[4:5], v[4:5], v[6:7]
	v_accvgpr_read_b32 v6, a172
	v_accvgpr_read_b32 v7, a173
	v_mul_f64 v[6:7], v[128:129], v[6:7]
	v_fma_f64 v[6:7], v[126:127], v[8:9], -v[6:7]
	v_add_f64 v[4:5], v[4:5], v[6:7]
	v_mul_f64 v[6:7], v[124:125], v[146:147]
	v_fma_f64 v[6:7], v[122:123], v[150:151], -v[6:7]
	v_add_f64 v[4:5], v[4:5], v[6:7]
	v_accvgpr_read_b32 v6, a176
	v_accvgpr_read_b32 v7, a177
	v_accvgpr_read_b32 v8, a178
	v_mul_f64 v[6:7], v[120:121], v[6:7]
	v_accvgpr_read_b32 v9, a179
	v_fma_f64 v[6:7], v[118:119], v[8:9], -v[6:7]
	v_add_f64 v[4:5], v[4:5], v[6:7]
	v_mul_f64 v[6:7], v[24:25], v[154:155]
	v_fma_f64 v[6:7], v[22:23], v[156:157], -v[6:7]
	v_add_f64 v[4:5], v[4:5], v[6:7]
	v_accvgpr_read_b32 v6, a180
	v_accvgpr_read_b32 v7, a181
	v_accvgpr_read_b32 v8, a182
	v_mul_f64 v[6:7], v[28:29], v[6:7]
	v_accvgpr_read_b32 v9, a183
	;; [unrolled: 10-line block ×3, first 2 shown]
	v_fma_f64 v[6:7], v[34:35], v[8:9], -v[6:7]
	v_add_f64 v[4:5], v[4:5], v[6:7]
	v_mul_f64 v[6:7], v[40:41], v[162:163]
	v_fma_f64 v[6:7], v[38:39], v[164:165], -v[6:7]
	v_add_f64 v[4:5], v[4:5], v[6:7]
	v_mul_f64 v[6:7], v[44:45], v[140:141]
	;; [unrolled: 3-line block ×10, first 2 shown]
	v_fma_f64 v[6:7], v[74:75], v[188:189], -v[6:7]
	v_add_f64 v[4:5], v[4:5], v[6:7]
	s_waitcnt vmcnt(6) lgkmcnt(0)
	v_mul_f64 v[108:109], v[102:103], v[2:3]
	v_mul_f64 v[6:7], v[80:81], v[194:195]
	s_waitcnt vmcnt(4)
	v_fmac_f64_e32 v[108:109], v[104:105], v[230:231]
	v_add_f64 v[110:111], v[106:107], v[108:109]
	ds_read_b128 v[106:109], v1 offset:1744
	buffer_load_dword v237, off, s[0:3], 0 offset:892
	buffer_load_dword v236, off, s[0:3], 0 offset:888
	;; [unrolled: 1-line block ×4, first 2 shown]
	v_fma_f64 v[6:7], v[78:79], v[196:197], -v[6:7]
	v_add_f64 v[4:5], v[4:5], v[6:7]
	v_mul_f64 v[6:7], v[84:85], v[198:199]
	s_waitcnt vmcnt(6) lgkmcnt(0)
	v_mul_f64 v[112:113], v[106:107], v[232:233]
	s_waitcnt vmcnt(4)
	v_fmac_f64_e32 v[112:113], v[108:109], v[234:235]
	v_add_f64 v[114:115], v[110:111], v[112:113]
	ds_read_b128 v[110:113], v1 offset:1760
	buffer_load_dword v242, off, s[0:3], 0 offset:904
	buffer_load_dword v243, off, s[0:3], 0 offset:908
	;; [unrolled: 1-line block ×4, first 2 shown]
	v_fma_f64 v[6:7], v[82:83], v[200:201], -v[6:7]
	v_add_f64 v[4:5], v[4:5], v[6:7]
	v_mul_f64 v[6:7], v[88:89], v[204:205]
	v_fma_f64 v[6:7], v[86:87], v[208:209], -v[6:7]
	v_add_f64 v[4:5], v[4:5], v[6:7]
	v_mul_f64 v[6:7], v[226:227], v[206:207]
	;; [unrolled: 3-line block ×4, first 2 shown]
	v_fma_f64 v[6:7], v[98:99], v[212:213], -v[6:7]
	v_mul_f64 v[2:3], v[104:105], v[2:3]
	v_add_f64 v[4:5], v[4:5], v[6:7]
	v_fma_f64 v[2:3], v[102:103], v[230:231], -v[2:3]
	v_add_f64 v[2:3], v[4:5], v[2:3]
	v_mul_f64 v[4:5], v[108:109], v[232:233]
	v_fma_f64 v[4:5], v[106:107], v[234:235], -v[4:5]
	v_add_f64 v[2:3], v[2:3], v[4:5]
	s_waitcnt vmcnt(6) lgkmcnt(0)
	v_mul_f64 v[116:117], v[110:111], v[236:237]
	v_mul_f64 v[4:5], v[112:113], v[236:237]
	s_waitcnt vmcnt(4)
	v_fmac_f64_e32 v[116:117], v[112:113], v[238:239]
	v_add_f64 v[240:241], v[114:115], v[116:117]
	ds_read_b128 v[114:117], v1 offset:1776
	buffer_load_dword v248, off, s[0:3], 0 offset:144
	buffer_load_dword v249, off, s[0:3], 0 offset:148
	v_fma_f64 v[4:5], v[110:111], v[238:239], -v[4:5]
	v_add_f64 v[2:3], v[2:3], v[4:5]
	s_waitcnt vmcnt(4) lgkmcnt(0)
	v_mul_f64 v[246:247], v[114:115], v[242:243]
	s_waitcnt vmcnt(2)
	v_fmac_f64_e32 v[246:247], v[116:117], v[244:245]
	v_add_f64 v[240:241], v[240:241], v[246:247]
	buffer_load_dword v246, off, s[0:3], 0 offset:152
	buffer_load_dword v247, off, s[0:3], 0 offset:156
	v_mul_f64 v[4:5], v[116:117], v[242:243]
	v_fma_f64 v[4:5], v[114:115], v[244:245], -v[4:5]
	v_add_f64 v[2:3], v[2:3], v[4:5]
	s_waitcnt vmcnt(2)
	v_add_f64 v[2:3], v[248:249], -v[2:3]
	s_waitcnt vmcnt(0)
	v_add_f64 v[4:5], v[246:247], -v[240:241]
	buffer_store_dword v3, off, s[0:3], 0 offset:148
	buffer_store_dword v2, off, s[0:3], 0 offset:144
	;; [unrolled: 1-line block ×4, first 2 shown]
	s_and_saveexec_b64 s[4:5], vcc
	s_cbranch_execz .LBB119_335
; %bb.334:
	v_accvgpr_read_b32 v5, a160
	buffer_load_dword v2, v5, s[0:3], 0 offen
	buffer_load_dword v3, v5, s[0:3], 0 offen offset:4
	buffer_load_dword v4, v5, s[0:3], 0 offen offset:8
	s_nop 0
	buffer_load_dword v5, v5, s[0:3], 0 offen offset:12
	v_accvgpr_read_b32 v6, a167
	buffer_store_dword v1, off, s[0:3], 0 offset:128
	buffer_store_dword v1, off, s[0:3], 0 offset:132
	;; [unrolled: 1-line block ×4, first 2 shown]
	s_waitcnt vmcnt(4)
	ds_write_b128 v6, v[2:5]
.LBB119_335:
	s_or_b64 exec, exec, s[4:5]
	s_waitcnt lgkmcnt(0)
	; wave barrier
	s_waitcnt lgkmcnt(0)
	buffer_load_dword v42, off, s[0:3], 0 offset:144
	buffer_load_dword v43, off, s[0:3], 0 offset:148
	;; [unrolled: 1-line block ×42, first 2 shown]
	ds_read_b128 v[110:113], v1 offset:1024
	ds_read_b128 v[114:117], v1 offset:1040
	;; [unrolled: 1-line block ×10, first 2 shown]
	buffer_load_dword v213, off, s[0:3], 0 offset:292
	buffer_load_dword v212, off, s[0:3], 0 offset:288
	ds_read_b128 v[50:53], v1 offset:1184
	buffer_load_dword v89, off, s[0:3], 0 offset:348
	buffer_load_dword v88, off, s[0:3], 0 offset:344
	;; [unrolled: 1-line block ×8, first 2 shown]
	v_cmp_lt_u32_e32 vcc, 6, v0
	s_waitcnt vmcnt(48) lgkmcnt(10)
	v_mul_f64 v[2:3], v[110:111], v[48:49]
	v_fmac_f64_e32 v[2:3], v[112:113], v[42:43]
	v_add_f64 v[2:3], v[2:3], 0
	s_waitcnt vmcnt(44) lgkmcnt(9)
	v_mul_f64 v[4:5], v[114:115], v[54:55]
	v_fmac_f64_e32 v[4:5], v[116:117], v[44:45]
	v_add_f64 v[2:3], v[2:3], v[4:5]
	buffer_load_dword v107, off, s[0:3], 0 offset:380
	buffer_load_dword v106, off, s[0:3], 0 offset:376
	;; [unrolled: 1-line block ×26, first 2 shown]
	s_waitcnt vmcnt(62) lgkmcnt(8)
	v_mul_f64 v[6:7], v[174:175], v[46:47]
	s_waitcnt lgkmcnt(6)
	v_mul_f64 v[10:11], v[186:187], v[58:59]
	v_fmac_f64_e32 v[10:11], v[188:189], v[56:57]
	v_mul_f64 v[46:47], v[176:177], v[46:47]
	v_mul_f64 v[8:9], v[178:179], v[60:61]
	s_waitcnt vmcnt(60) lgkmcnt(4)
	v_mul_f64 v[14:15], v[194:195], v[206:207]
	s_waitcnt vmcnt(58)
	v_fmac_f64_e32 v[14:15], v[196:197], v[64:65]
	s_waitcnt vmcnt(56)
	v_mul_f64 v[12:13], v[190:191], v[66:67]
	s_waitcnt vmcnt(54) lgkmcnt(2)
	v_mul_f64 v[18:19], v[202:203], v[68:69]
	s_waitcnt vmcnt(51)
	v_mul_f64 v[16:17], v[198:199], v[74:75]
	s_waitcnt vmcnt(49) lgkmcnt(1)
	v_mul_f64 v[20:21], v[208:209], v[72:73]
	s_waitcnt vmcnt(47)
	v_fmac_f64_e32 v[6:7], v[176:177], v[82:83]
	v_add_f64 v[2:3], v[2:3], v[6:7]
	s_waitcnt vmcnt(45)
	v_fmac_f64_e32 v[8:9], v[180:181], v[80:81]
	v_add_f64 v[2:3], v[2:3], v[8:9]
	;; [unrolled: 3-line block ×3, first 2 shown]
	v_add_f64 v[2:3], v[2:3], v[12:13]
	s_waitcnt vmcnt(41)
	v_fmac_f64_e32 v[16:17], v[200:201], v[76:77]
	v_add_f64 v[2:3], v[2:3], v[14:15]
	s_waitcnt vmcnt(40)
	v_fmac_f64_e32 v[18:19], v[204:205], v[70:71]
	v_add_f64 v[2:3], v[2:3], v[16:17]
	v_add_f64 v[2:3], v[2:3], v[18:19]
	s_waitcnt vmcnt(34)
	v_fmac_f64_e32 v[20:21], v[210:211], v[212:213]
	v_add_f64 v[2:3], v[2:3], v[20:21]
	s_waitcnt vmcnt(0)
	v_pk_mov_b32 v[18:19], v[4:5], v[4:5] op_sel:[0,1]
	buffer_load_dword v5, off, s[0:3], 0 offset:468
	buffer_load_dword v7, off, s[0:3], 0 offset:460
	;; [unrolled: 1-line block ×3, first 2 shown]
	v_accvgpr_write_b32 a173, v19
	v_accvgpr_write_b32 a172, v18
	s_waitcnt vmcnt(0)
	v_pk_mov_b32 v[14:15], v[6:7], v[6:7] op_sel:[0,1]
	buffer_load_dword v7, off, s[0:3], 0 offset:452
	buffer_load_dword v6, off, s[0:3], 0 offset:448
	;; [unrolled: 1-line block ×3, first 2 shown]
	v_accvgpr_write_b32 a169, v15
	v_accvgpr_write_b32 a168, v14
	s_waitcnt vmcnt(1)
	v_pk_mov_b32 v[16:17], v[6:7], v[6:7] op_sel:[0,1]
	s_waitcnt vmcnt(0)
	v_pk_mov_b32 v[22:23], v[4:5], v[4:5] op_sel:[0,1]
	buffer_load_dword v5, off, s[0:3], 0 offset:508
	buffer_load_dword v4, off, s[0:3], 0 offset:504
	v_accvgpr_write_b32 a171, v17
	v_accvgpr_write_b32 a170, v16
	;; [unrolled: 1-line block ×4, first 2 shown]
	s_waitcnt vmcnt(0)
	v_pk_mov_b32 v[26:27], v[4:5], v[4:5] op_sel:[0,1]
	buffer_load_dword v5, off, s[0:3], 0 offset:500
	buffer_load_dword v141, off, s[0:3], 0 offset:492
	buffer_load_dword v140, off, s[0:3], 0 offset:488
	buffer_load_dword v145, off, s[0:3], 0 offset:484
	buffer_load_dword v144, off, s[0:3], 0 offset:480
	buffer_load_dword v4, off, s[0:3], 0 offset:496
	v_accvgpr_write_b32 a177, v27
	v_accvgpr_write_b32 a176, v26
	s_waitcnt vmcnt(0)
	v_pk_mov_b32 v[28:29], v[4:5], v[4:5] op_sel:[0,1]
	buffer_load_dword v5, off, s[0:3], 0 offset:540
	buffer_load_dword v4, off, s[0:3], 0 offset:536
	v_accvgpr_write_b32 a179, v29
	v_accvgpr_write_b32 a178, v28
	s_waitcnt vmcnt(0)
	v_pk_mov_b32 v[34:35], v[4:5], v[4:5] op_sel:[0,1]
	buffer_load_dword v5, off, s[0:3], 0 offset:532
	buffer_load_dword v149, off, s[0:3], 0 offset:524
	;; [unrolled: 1-line block ×6, first 2 shown]
	v_accvgpr_write_b32 a181, v35
	v_accvgpr_write_b32 a180, v34
	s_waitcnt vmcnt(0)
	v_pk_mov_b32 v[36:37], v[4:5], v[4:5] op_sel:[0,1]
	buffer_load_dword v5, off, s[0:3], 0 offset:572
	buffer_load_dword v4, off, s[0:3], 0 offset:568
	v_accvgpr_write_b32 a183, v37
	v_accvgpr_write_b32 a182, v36
	s_waitcnt vmcnt(0)
	v_pk_mov_b32 v[38:39], v[4:5], v[4:5] op_sel:[0,1]
	buffer_load_dword v5, off, s[0:3], 0 offset:564
	buffer_load_dword v153, off, s[0:3], 0 offset:556
	;; [unrolled: 1-line block ×20, first 2 shown]
	ds_read_b128 v[218:221], v1 offset:1200
	ds_read_b128 v[222:225], v1 offset:1216
	;; [unrolled: 1-line block ×12, first 2 shown]
	s_waitcnt lgkmcnt(4)
	v_mul_f64 v[8:9], v[246:247], v[98:99]
	v_fmac_f64_e32 v[8:9], v[248:249], v[100:101]
	s_waitcnt lgkmcnt(3)
	v_mul_f64 v[12:13], v[134:135], v[14:15]
	v_fmac_f64_e32 v[12:13], v[136:137], v[16:17]
	;; [unrolled: 3-line block ×3, first 2 shown]
	s_waitcnt lgkmcnt(1)
	v_mul_f64 v[20:21], v[126:127], v[140:141]
	ds_read_b128 v[118:121], v1 offset:1392
	v_fmac_f64_e32 v[20:21], v[128:129], v[144:145]
	s_waitcnt lgkmcnt(1)
	v_mul_f64 v[24:25], v[122:123], v[26:27]
	v_fmac_f64_e32 v[24:25], v[124:125], v[28:29]
	v_accvgpr_write_b32 a185, v39
	v_accvgpr_write_b32 a184, v38
	v_mul_f64 v[98:99], v[248:249], v[98:99]
	s_waitcnt vmcnt(14)
	v_pk_mov_b32 v[40:41], v[4:5], v[4:5] op_sel:[0,1]
	v_mul_f64 v[4:5], v[50:51], v[84:85]
	v_fmac_f64_e32 v[4:5], v[52:53], v[86:87]
	v_add_f64 v[2:3], v[2:3], v[4:5]
	v_mul_f64 v[4:5], v[218:219], v[96:97]
	v_fmac_f64_e32 v[4:5], v[220:221], v[250:251]
	v_add_f64 v[2:3], v[2:3], v[4:5]
	;; [unrolled: 3-line block ×8, first 2 shown]
	v_add_f64 v[10:11], v[6:7], v[8:9]
	v_add_f64 v[14:15], v[10:11], v[12:13]
	;; [unrolled: 1-line block ×5, first 2 shown]
	ds_read_b128 v[22:25], v1 offset:1408
	s_waitcnt lgkmcnt(1)
	v_mul_f64 v[28:29], v[118:119], v[148:149]
	v_fmac_f64_e32 v[28:29], v[120:121], v[150:151]
	v_add_f64 v[30:31], v[26:27], v[28:29]
	ds_read_b128 v[26:29], v1 offset:1424
	s_waitcnt lgkmcnt(1)
	v_mul_f64 v[32:33], v[22:23], v[34:35]
	v_fmac_f64_e32 v[32:33], v[24:25], v[36:37]
	v_add_f64 v[34:35], v[30:31], v[32:33]
	ds_read_b128 v[30:33], v1 offset:1440
	s_waitcnt lgkmcnt(1)
	v_mul_f64 v[36:37], v[26:27], v[152:153]
	v_fmac_f64_e32 v[36:37], v[28:29], v[154:155]
	v_add_f64 v[164:165], v[34:35], v[36:37]
	ds_read_b128 v[34:37], v1 offset:1456
	s_waitcnt lgkmcnt(1)
	v_mul_f64 v[166:167], v[30:31], v[38:39]
	v_accvgpr_write_b32 a187, v41
	v_fmac_f64_e32 v[166:167], v[32:33], v[40:41]
	v_accvgpr_write_b32 a186, v40
	ds_read_b128 v[38:41], v1 offset:1472
	v_add_f64 v[164:165], v[164:165], v[166:167]
	s_waitcnt vmcnt(9) lgkmcnt(1)
	v_mul_f64 v[166:167], v[34:35], v[156:157]
	s_waitcnt vmcnt(7)
	v_fmac_f64_e32 v[166:167], v[36:37], v[160:161]
	v_add_f64 v[164:165], v[164:165], v[166:167]
	s_waitcnt lgkmcnt(0)
	v_mul_f64 v[166:167], v[38:39], v[138:139]
	s_waitcnt vmcnt(6)
	v_fmac_f64_e32 v[166:167], v[40:41], v[142:143]
	v_add_f64 v[2:3], v[164:165], v[166:167]
	buffer_load_dword v167, off, s[0:3], 0 offset:628
	buffer_load_dword v166, off, s[0:3], 0 offset:624
	;; [unrolled: 1-line block ×10, first 2 shown]
	v_mul_f64 v[4:5], v[112:113], v[48:49]
	v_fma_f64 v[18:19], v[110:111], v[42:43], -v[4:5]
	v_mul_f64 v[42:43], v[116:117], v[54:55]
	v_fma_f64 v[110:111], v[114:115], v[44:45], -v[42:43]
	ds_read_b128 v[42:45], v1 offset:1488
	v_fma_f64 v[112:113], v[174:175], v[82:83], -v[46:47]
	v_mul_f64 v[46:47], v[180:181], v[60:61]
	buffer_load_dword v175, off, s[0:3], 0 offset:684
	buffer_load_dword v174, off, s[0:3], 0 offset:680
	;; [unrolled: 1-line block ×4, first 2 shown]
	v_fma_f64 v[14:15], v[178:179], v[80:81], -v[46:47]
	buffer_load_dword v179, off, s[0:3], 0 offset:700
	buffer_load_dword v178, off, s[0:3], 0 offset:696
	;; [unrolled: 1-line block ×8, first 2 shown]
	v_mul_f64 v[8:9], v[188:189], v[58:59]
	v_fma_f64 v[10:11], v[186:187], v[56:57], -v[8:9]
	buffer_load_dword v186, off, s[0:3], 0 offset:728
	v_mul_f64 v[46:47], v[192:193], v[66:67]
	v_fma_f64 v[8:9], v[190:191], v[78:79], -v[46:47]
	buffer_load_dword v190, off, s[0:3], 0 offset:720
	buffer_load_dword v187, off, s[0:3], 0 offset:732
	;; [unrolled: 1-line block ×3, first 2 shown]
	v_mul_f64 v[12:13], v[196:197], v[206:207]
	v_fma_f64 v[12:13], v[194:195], v[64:65], -v[12:13]
	buffer_load_dword v188, off, s[0:3], 0 offset:760
	buffer_load_dword v195, off, s[0:3], 0 offset:748
	;; [unrolled: 1-line block ×8, first 2 shown]
	v_mul_f64 v[48:49], v[200:201], v[74:75]
	v_fma_f64 v[6:7], v[198:199], v[76:77], -v[48:49]
	buffer_load_dword v199, off, s[0:3], 0 offset:780
	buffer_load_dword v198, off, s[0:3], 0 offset:776
	;; [unrolled: 1-line block ×4, first 2 shown]
	v_mul_f64 v[16:17], v[204:205], v[68:69]
	buffer_load_dword v205, off, s[0:3], 0 offset:796
	buffer_load_dword v204, off, s[0:3], 0 offset:792
	;; [unrolled: 1-line block ×4, first 2 shown]
	v_mul_f64 v[48:49], v[210:211], v[72:73]
	v_fma_f64 v[16:17], v[202:203], v[70:71], -v[16:17]
	v_fma_f64 v[4:5], v[208:209], v[212:213], -v[48:49]
	buffer_load_dword v202, off, s[0:3], 0 offset:824
	buffer_load_dword v211, off, s[0:3], 0 offset:812
	buffer_load_dword v210, off, s[0:3], 0 offset:808
	buffer_load_dword v65, off, s[0:3], 0 offset:804
	buffer_load_dword v64, off, s[0:3], 0 offset:800
	buffer_load_dword v208, off, s[0:3], 0 offset:816
	buffer_load_dword v203, off, s[0:3], 0 offset:828
	buffer_load_dword v209, off, s[0:3], 0 offset:820
	buffer_load_dword v213, off, s[0:3], 0 offset:844
	buffer_load_dword v212, off, s[0:3], 0 offset:840
	buffer_load_dword v217, off, s[0:3], 0 offset:836
	buffer_load_dword v216, off, s[0:3], 0 offset:832
	s_waitcnt vmcnt(56) lgkmcnt(0)
	v_mul_f64 v[46:47], v[42:43], v[158:159]
	s_waitcnt vmcnt(54)
	v_fmac_f64_e32 v[46:47], v[44:45], v[162:163]
	v_add_f64 v[2:3], v[2:3], v[46:47]
	ds_read_b128 v[46:49], v1 offset:1504
	v_mul_f64 v[20:21], v[52:53], v[84:85]
	v_fma_f64 v[20:21], v[50:51], v[86:87], -v[20:21]
	ds_read_b128 v[50:53], v1 offset:1520
	v_mul_f64 v[54:55], v[220:221], v[96:97]
	v_fma_f64 v[250:251], v[218:219], v[250:251], -v[54:55]
	ds_read_b128 v[54:57], v1 offset:1536
	s_waitcnt lgkmcnt(2)
	v_mul_f64 v[58:59], v[46:47], v[146:147]
	v_mul_f64 v[66:67], v[224:225], v[88:89]
	v_fma_f64 v[218:219], v[222:223], v[90:91], -v[66:67]
	ds_read_b128 v[220:223], v1 offset:1568
	v_mul_f64 v[66:67], v[228:229], v[252:253]
	v_fma_f64 v[228:229], v[226:227], v[254:255], -v[66:67]
	v_mul_f64 v[74:75], v[232:233], v[106:107]
	v_fma_f64 v[254:255], v[230:231], v[108:109], -v[74:75]
	ds_read_b128 v[78:81], v1 offset:1632
	v_mul_f64 v[62:63], v[236:237], v[62:63]
	v_fma_f64 v[214:215], v[234:235], v[214:215], -v[62:63]
	ds_read_b128 v[86:89], v1 offset:1664
	v_mul_f64 v[90:91], v[244:245], v[102:103]
	v_fma_f64 v[252:253], v[246:247], v[100:101], -v[98:99]
	v_add_f64 v[18:19], v[18:19], 0
	v_add_f64 v[18:19], v[18:19], v[110:111]
	;; [unrolled: 1-line block ×3, first 2 shown]
	ds_read_b128 v[66:69], v1 offset:1584
	v_add_f64 v[14:15], v[18:19], v[14:15]
	v_add_f64 v[10:11], v[14:15], v[10:11]
	;; [unrolled: 1-line block ×10, first 2 shown]
	ds_read_b128 v[74:77], v1 offset:1616
	v_add_f64 v[4:5], v[4:5], v[228:229]
	v_add_f64 v[4:5], v[4:5], v[254:255]
	;; [unrolled: 1-line block ×3, first 2 shown]
	v_accvgpr_read_b32 v6, a170
	v_accvgpr_read_b32 v7, a171
	ds_read_b128 v[98:101], v1 offset:1712
	s_waitcnt vmcnt(52)
	v_fmac_f64_e32 v[58:59], v[48:49], v[166:167]
	v_add_f64 v[2:3], v[2:3], v[58:59]
	s_waitcnt vmcnt(49) lgkmcnt(7)
	v_mul_f64 v[58:59], v[50:51], v[170:171]
	s_waitcnt vmcnt(47)
	v_fmac_f64_e32 v[58:59], v[52:53], v[172:173]
	v_add_f64 v[2:3], v[2:3], v[58:59]
	s_waitcnt vmcnt(45) lgkmcnt(6)
	v_mul_f64 v[58:59], v[54:55], v[164:165]
	s_waitcnt vmcnt(44)
	v_fmac_f64_e32 v[58:59], v[56:57], v[168:169]
	v_add_f64 v[2:3], v[2:3], v[58:59]
	ds_read_b128 v[58:61], v1 offset:1552
	s_waitcnt vmcnt(42) lgkmcnt(0)
	v_mul_f64 v[70:71], v[58:59], v[174:175]
	s_waitcnt vmcnt(40)
	v_fmac_f64_e32 v[70:71], v[60:61], v[176:177]
	v_add_f64 v[2:3], v[2:3], v[70:71]
	s_waitcnt vmcnt(38)
	v_mul_f64 v[70:71], v[220:221], v[178:179]
	s_waitcnt vmcnt(36)
	v_fmac_f64_e32 v[70:71], v[222:223], v[182:183]
	v_add_f64 v[2:3], v[2:3], v[70:71]
	s_waitcnt vmcnt(34)
	v_mul_f64 v[70:71], v[66:67], v[180:181]
	s_waitcnt vmcnt(32)
	v_fmac_f64_e32 v[70:71], v[68:69], v[184:185]
	v_add_f64 v[2:3], v[2:3], v[70:71]
	ds_read_b128 v[70:73], v1 offset:1600
	s_waitcnt vmcnt(25)
	v_mul_f64 v[62:63], v[74:75], v[194:195]
	s_waitcnt vmcnt(23)
	v_fmac_f64_e32 v[62:63], v[76:77], v[196:197]
	s_waitcnt lgkmcnt(0)
	v_mul_f64 v[82:83], v[70:71], v[186:187]
	v_fmac_f64_e32 v[82:83], v[72:73], v[190:191]
	v_add_f64 v[2:3], v[2:3], v[82:83]
	ds_read_b128 v[82:85], v1 offset:1648
	v_add_f64 v[2:3], v[2:3], v[62:63]
	s_waitcnt vmcnt(21)
	v_mul_f64 v[62:63], v[78:79], v[188:189]
	s_waitcnt vmcnt(20)
	v_fmac_f64_e32 v[62:63], v[80:81], v[192:193]
	v_add_f64 v[62:63], v[2:3], v[62:63]
	v_mul_f64 v[2:3], v[240:241], v[92:93]
	v_fma_f64 v[2:3], v[238:239], v[94:95], -v[2:3]
	s_waitcnt vmcnt(18) lgkmcnt(0)
	v_mul_f64 v[94:95], v[82:83], v[198:199]
	s_waitcnt vmcnt(16)
	v_fmac_f64_e32 v[94:95], v[84:85], v[200:201]
	v_fma_f64 v[240:241], v[242:243], v[104:105], -v[90:91]
	ds_read_b128 v[90:93], v1 offset:1680
	v_add_f64 v[62:63], v[62:63], v[94:95]
	s_waitcnt vmcnt(14)
	v_mul_f64 v[94:95], v[86:87], v[204:205]
	s_waitcnt vmcnt(12)
	v_fmac_f64_e32 v[94:95], v[88:89], v[206:207]
	v_add_f64 v[62:63], v[62:63], v[94:95]
	ds_read_b128 v[94:97], v1 offset:1696
	s_waitcnt vmcnt(9) lgkmcnt(1)
	v_mul_f64 v[102:103], v[90:91], v[210:211]
	s_waitcnt vmcnt(7)
	v_fmac_f64_e32 v[102:103], v[92:93], v[64:65]
	v_add_f64 v[62:63], v[62:63], v[102:103]
	v_add_f64 v[254:255], v[4:5], v[2:3]
	s_waitcnt vmcnt(5) lgkmcnt(0)
	v_mul_f64 v[102:103], v[94:95], v[202:203]
	s_waitcnt vmcnt(4)
	v_fmac_f64_e32 v[102:103], v[96:97], v[208:209]
	v_add_f64 v[62:63], v[62:63], v[102:103]
	s_waitcnt vmcnt(2)
	v_mul_f64 v[102:103], v[98:99], v[212:213]
	s_waitcnt vmcnt(0)
	v_fmac_f64_e32 v[102:103], v[100:101], v[216:217]
	v_add_f64 v[106:107], v[62:63], v[102:103]
	buffer_load_dword v62, off, s[0:3], 0 offset:856
	buffer_load_dword v63, off, s[0:3], 0 offset:860
	;; [unrolled: 1-line block ×4, first 2 shown]
	ds_read_b128 v[102:105], v1 offset:1728
	buffer_load_dword v233, off, s[0:3], 0 offset:876
	buffer_load_dword v232, off, s[0:3], 0 offset:872
	;; [unrolled: 1-line block ×4, first 2 shown]
	v_accvgpr_read_b32 v4, a168
	v_accvgpr_read_b32 v5, a169
	v_add_f64 v[2:3], v[254:255], v[240:241]
	v_mul_f64 v[4:5], v[136:137], v[4:5]
	v_add_f64 v[2:3], v[2:3], v[252:253]
	v_fma_f64 v[4:5], v[134:135], v[6:7], -v[4:5]
	v_add_f64 v[2:3], v[2:3], v[4:5]
	v_accvgpr_read_b32 v4, a172
	v_accvgpr_read_b32 v5, a173
	v_accvgpr_read_b32 v6, a174
	v_mul_f64 v[4:5], v[132:133], v[4:5]
	v_accvgpr_read_b32 v7, a175
	v_fma_f64 v[4:5], v[130:131], v[6:7], -v[4:5]
	v_add_f64 v[2:3], v[2:3], v[4:5]
	v_mul_f64 v[4:5], v[128:129], v[140:141]
	v_fma_f64 v[4:5], v[126:127], v[144:145], -v[4:5]
	v_add_f64 v[2:3], v[2:3], v[4:5]
	v_accvgpr_read_b32 v4, a176
	v_accvgpr_read_b32 v5, a177
	v_accvgpr_read_b32 v6, a178
	v_mul_f64 v[4:5], v[124:125], v[4:5]
	v_accvgpr_read_b32 v7, a179
	v_fma_f64 v[4:5], v[122:123], v[6:7], -v[4:5]
	v_add_f64 v[2:3], v[2:3], v[4:5]
	v_mul_f64 v[4:5], v[120:121], v[148:149]
	;; [unrolled: 10-line block ×4, first 2 shown]
	v_fma_f64 v[4:5], v[34:35], v[160:161], -v[4:5]
	v_add_f64 v[2:3], v[2:3], v[4:5]
	v_mul_f64 v[4:5], v[40:41], v[138:139]
	v_fma_f64 v[4:5], v[38:39], v[142:143], -v[4:5]
	v_add_f64 v[2:3], v[2:3], v[4:5]
	v_mul_f64 v[4:5], v[44:45], v[158:159]
	;; [unrolled: 3-line block ×10, first 2 shown]
	s_waitcnt vmcnt(6) lgkmcnt(0)
	v_mul_f64 v[108:109], v[102:103], v[62:63]
	v_fma_f64 v[4:5], v[74:75], v[196:197], -v[4:5]
	s_waitcnt vmcnt(4)
	v_fmac_f64_e32 v[108:109], v[104:105], v[230:231]
	v_add_f64 v[114:115], v[106:107], v[108:109]
	ds_read_b128 v[106:109], v1 offset:1744
	buffer_load_dword v236, off, s[0:3], 0 offset:888
	buffer_load_dword v237, off, s[0:3], 0 offset:892
	;; [unrolled: 1-line block ×4, first 2 shown]
	ds_read_b128 v[224:227], v1 offset:1760
	buffer_load_dword v243, off, s[0:3], 0 offset:908
	buffer_load_dword v242, off, s[0:3], 0 offset:904
	;; [unrolled: 1-line block ×4, first 2 shown]
	v_add_f64 v[2:3], v[2:3], v[4:5]
	s_waitcnt vmcnt(10) lgkmcnt(1)
	v_mul_f64 v[116:117], v[106:107], v[232:233]
	s_waitcnt vmcnt(8)
	v_fmac_f64_e32 v[116:117], v[108:109], v[234:235]
	v_add_f64 v[114:115], v[114:115], v[116:117]
	v_mul_f64 v[4:5], v[80:81], v[188:189]
	v_fma_f64 v[4:5], v[78:79], v[192:193], -v[4:5]
	v_add_f64 v[2:3], v[2:3], v[4:5]
	v_mul_f64 v[4:5], v[84:85], v[198:199]
	v_fma_f64 v[4:5], v[82:83], v[200:201], -v[4:5]
	;; [unrolled: 3-line block ×8, first 2 shown]
	v_add_f64 v[2:3], v[2:3], v[4:5]
	s_waitcnt vmcnt(6) lgkmcnt(0)
	v_mul_f64 v[116:117], v[224:225], v[236:237]
	v_mul_f64 v[4:5], v[226:227], v[236:237]
	s_waitcnt vmcnt(4)
	v_fmac_f64_e32 v[116:117], v[226:227], v[238:239]
	v_add_f64 v[246:247], v[114:115], v[116:117]
	ds_read_b128 v[114:117], v1 offset:1776
	v_fma_f64 v[4:5], v[224:225], v[238:239], -v[4:5]
	v_add_f64 v[2:3], v[2:3], v[4:5]
	s_waitcnt vmcnt(2) lgkmcnt(0)
	v_mul_f64 v[248:249], v[114:115], v[242:243]
	s_waitcnt vmcnt(0)
	v_fmac_f64_e32 v[248:249], v[116:117], v[244:245]
	v_add_f64 v[246:247], v[246:247], v[248:249]
	v_accvgpr_write_b32 a188, v246
	v_accvgpr_write_b32 a189, v247
	buffer_load_dword v248, off, s[0:3], 0 offset:128
	buffer_load_dword v249, off, s[0:3], 0 offset:132
	;; [unrolled: 1-line block ×4, first 2 shown]
	v_mul_f64 v[4:5], v[116:117], v[242:243]
	v_fma_f64 v[4:5], v[114:115], v[244:245], -v[4:5]
	v_add_f64 v[2:3], v[2:3], v[4:5]
	v_accvgpr_read_b32 v4, a188
	v_accvgpr_read_b32 v5, a189
	s_waitcnt vmcnt(2)
	v_add_f64 v[2:3], v[248:249], -v[2:3]
	s_waitcnt vmcnt(0)
	v_add_f64 v[4:5], v[246:247], -v[4:5]
	buffer_store_dword v3, off, s[0:3], 0 offset:132
	buffer_store_dword v2, off, s[0:3], 0 offset:128
	;; [unrolled: 1-line block ×4, first 2 shown]
	s_and_saveexec_b64 s[4:5], vcc
	s_cbranch_execz .LBB119_337
; %bb.336:
	v_accvgpr_read_b32 v1, a161
	buffer_load_dword v2, v1, s[0:3], 0 offen
	buffer_load_dword v3, v1, s[0:3], 0 offen offset:4
	buffer_load_dword v4, v1, s[0:3], 0 offen offset:8
	;; [unrolled: 1-line block ×3, first 2 shown]
	v_mov_b32_e32 v1, 0
	v_accvgpr_read_b32 v6, a167
	buffer_store_dword v1, off, s[0:3], 0 offset:112
	buffer_store_dword v1, off, s[0:3], 0 offset:116
	;; [unrolled: 1-line block ×4, first 2 shown]
	s_waitcnt vmcnt(4)
	ds_write_b128 v6, v[2:5]
.LBB119_337:
	s_or_b64 exec, exec, s[4:5]
	s_waitcnt lgkmcnt(0)
	; wave barrier
	s_waitcnt lgkmcnt(0)
	buffer_load_dword v38, off, s[0:3], 0 offset:128
	buffer_load_dword v39, off, s[0:3], 0 offset:132
	;; [unrolled: 1-line block ×42, first 2 shown]
	v_mov_b32_e32 v1, 0
	buffer_load_dword v99, off, s[0:3], 0 offset:276
	buffer_load_dword v98, off, s[0:3], 0 offset:272
	;; [unrolled: 1-line block ×7, first 2 shown]
	ds_read_b128 v[108:111], v1 offset:1008
	ds_read_b128 v[112:115], v1 offset:1024
	;; [unrolled: 1-line block ×11, first 2 shown]
	v_cmp_lt_u32_e32 vcc, 5, v0
	s_waitcnt vmcnt(45) lgkmcnt(10)
	v_mul_f64 v[2:3], v[108:109], v[40:41]
	v_fmac_f64_e32 v[2:3], v[110:111], v[38:39]
	v_add_f64 v[2:3], v[2:3], 0
	v_mul_f64 v[40:41], v[110:111], v[40:41]
	s_waitcnt vmcnt(41) lgkmcnt(9)
	v_mul_f64 v[4:5], v[112:113], v[46:47]
	v_fmac_f64_e32 v[4:5], v[114:115], v[44:45]
	v_add_f64 v[2:3], v[2:3], v[4:5]
	buffer_load_dword v84, off, s[0:3], 0 offset:312
	buffer_load_dword v117, off, s[0:3], 0 offset:308
	;; [unrolled: 1-line block ×29, first 2 shown]
	s_waitcnt vmcnt(62) lgkmcnt(8)
	v_mul_f64 v[6:7], v[170:171], v[42:43]
	s_waitcnt lgkmcnt(6)
	v_mul_f64 v[10:11], v[180:181], v[48:49]
	v_fmac_f64_e32 v[10:11], v[182:183], v[50:51]
	v_mul_f64 v[42:43], v[172:173], v[42:43]
	v_mul_f64 v[8:9], v[174:175], v[178:179]
	;; [unrolled: 1-line block ×3, first 2 shown]
	s_waitcnt vmcnt(60) lgkmcnt(4)
	v_mul_f64 v[14:15], v[190:191], v[56:57]
	s_waitcnt vmcnt(58)
	v_fmac_f64_e32 v[14:15], v[192:193], v[54:55]
	s_waitcnt vmcnt(56)
	v_mul_f64 v[12:13], v[184:185], v[188:189]
	s_waitcnt vmcnt(54) lgkmcnt(2)
	v_mul_f64 v[18:19], v[198:199], v[64:65]
	s_waitcnt vmcnt(51)
	v_mul_f64 v[16:17], v[194:195], v[66:67]
	s_waitcnt vmcnt(49) lgkmcnt(1)
	v_mul_f64 v[20:21], v[202:203], v[60:61]
	s_waitcnt vmcnt(47)
	v_fmac_f64_e32 v[6:7], v[172:173], v[74:75]
	v_add_f64 v[2:3], v[2:3], v[6:7]
	s_waitcnt vmcnt(45)
	v_fmac_f64_e32 v[8:9], v[176:177], v[72:73]
	v_add_f64 v[2:3], v[2:3], v[8:9]
	;; [unrolled: 3-line block ×3, first 2 shown]
	v_add_f64 v[2:3], v[2:3], v[12:13]
	v_add_f64 v[2:3], v[2:3], v[14:15]
	s_waitcnt vmcnt(41)
	v_fmac_f64_e32 v[16:17], v[196:197], v[68:69]
	v_add_f64 v[2:3], v[2:3], v[16:17]
	s_waitcnt vmcnt(40)
	v_fmac_f64_e32 v[18:19], v[200:201], v[62:63]
	;; [unrolled: 3-line block ×3, first 2 shown]
	v_add_f64 v[2:3], v[2:3], v[20:21]
	v_fma_f64 v[210:211], v[170:171], v[74:75], -v[42:43]
	v_mul_f64 v[42:43], v[176:177], v[178:179]
	v_fma_f64 v[72:73], v[174:175], v[72:73], -v[42:43]
	s_waitcnt vmcnt(0)
	v_pk_mov_b32 v[14:15], v[4:5], v[4:5] op_sel:[0,1]
	buffer_load_dword v5, off, s[0:3], 0 offset:452
	buffer_load_dword v4, off, s[0:3], 0 offset:448
	v_accvgpr_write_b32 a169, v15
	v_accvgpr_write_b32 a168, v14
	s_waitcnt vmcnt(0)
	v_pk_mov_b32 v[16:17], v[4:5], v[4:5] op_sel:[0,1]
	buffer_load_dword v95, off, s[0:3], 0 offset:444
	buffer_load_dword v94, off, s[0:3], 0 offset:440
	;; [unrolled: 1-line block ×6, first 2 shown]
	v_accvgpr_write_b32 a171, v17
	v_accvgpr_write_b32 a170, v16
	s_waitcnt vmcnt(0)
	v_pk_mov_b32 v[22:23], v[4:5], v[4:5] op_sel:[0,1]
	buffer_load_dword v5, off, s[0:3], 0 offset:484
	buffer_load_dword v4, off, s[0:3], 0 offset:480
	v_accvgpr_write_b32 a175, v23
	v_accvgpr_write_b32 a174, v22
	s_waitcnt vmcnt(0)
	v_pk_mov_b32 v[24:25], v[4:5], v[4:5] op_sel:[0,1]
	buffer_load_dword v5, off, s[0:3], 0 offset:476
	buffer_load_dword v4, off, s[0:3], 0 offset:472
	v_accvgpr_write_b32 a177, v25
	v_accvgpr_write_b32 a176, v24
	s_waitcnt vmcnt(0)
	v_pk_mov_b32 v[18:19], v[4:5], v[4:5] op_sel:[0,1]
	buffer_load_dword v143, off, s[0:3], 0 offset:468
	buffer_load_dword v142, off, s[0:3], 0 offset:464
	buffer_load_dword v5, off, s[0:3], 0 offset:524
	buffer_load_dword v4, off, s[0:3], 0 offset:520
	v_accvgpr_write_b32 a173, v19
	v_accvgpr_write_b32 a172, v18
	s_waitcnt vmcnt(0)
	v_pk_mov_b32 v[30:31], v[4:5], v[4:5] op_sel:[0,1]
	buffer_load_dword v5, off, s[0:3], 0 offset:516
	buffer_load_dword v4, off, s[0:3], 0 offset:512
	v_accvgpr_write_b32 a179, v31
	v_accvgpr_write_b32 a178, v30
	s_waitcnt vmcnt(0)
	v_pk_mov_b32 v[32:33], v[4:5], v[4:5] op_sel:[0,1]
	buffer_load_dword v147, off, s[0:3], 0 offset:508
	buffer_load_dword v146, off, s[0:3], 0 offset:504
	;; [unrolled: 1-line block ×6, first 2 shown]
	v_accvgpr_write_b32 a181, v33
	v_accvgpr_write_b32 a180, v32
	s_waitcnt vmcnt(0)
	v_pk_mov_b32 v[162:163], v[4:5], v[4:5] op_sel:[0,1]
	buffer_load_dword v5, off, s[0:3], 0 offset:548
	buffer_load_dword v4, off, s[0:3], 0 offset:544
	v_accvgpr_write_b32 a183, v163
	v_accvgpr_write_b32 a182, v162
	s_waitcnt vmcnt(0)
	v_pk_mov_b32 v[164:165], v[4:5], v[4:5] op_sel:[0,1]
	buffer_load_dword v151, off, s[0:3], 0 offset:540
	buffer_load_dword v150, off, s[0:3], 0 offset:536
	;; [unrolled: 1-line block ×6, first 2 shown]
	v_accvgpr_write_b32 a185, v165
	v_accvgpr_write_b32 a184, v164
	s_waitcnt vmcnt(0)
	v_pk_mov_b32 v[166:167], v[4:5], v[4:5] op_sel:[0,1]
	buffer_load_dword v5, off, s[0:3], 0 offset:580
	buffer_load_dword v4, off, s[0:3], 0 offset:576
	buffer_load_dword v155, off, s[0:3], 0 offset:572
	buffer_load_dword v154, off, s[0:3], 0 offset:568
	buffer_load_dword v157, off, s[0:3], 0 offset:564
	buffer_load_dword v156, off, s[0:3], 0 offset:560
	buffer_load_dword v53, off, s[0:3], 0 offset:620
	buffer_load_dword v52, off, s[0:3], 0 offset:616
	buffer_load_dword v145, off, s[0:3], 0 offset:612
	buffer_load_dword v144, off, s[0:3], 0 offset:608
	buffer_load_dword v159, off, s[0:3], 0 offset:604
	buffer_load_dword v158, off, s[0:3], 0 offset:600
	buffer_load_dword v161, off, s[0:3], 0 offset:596
	buffer_load_dword v160, off, s[0:3], 0 offset:592
	ds_read_b128 v[214:217], v1 offset:1184
	ds_read_b128 v[218:221], v1 offset:1200
	ds_read_b128 v[222:225], v1 offset:1216
	ds_read_b128 v[226:229], v1 offset:1232
	ds_read_b128 v[230:233], v1 offset:1248
	ds_read_b128 v[234:237], v1 offset:1264
	ds_read_b128 v[238:241], v1 offset:1280
	ds_read_b128 v[242:245], v1 offset:1296
	ds_read_b128 v[246:249], v1 offset:1312
	ds_read_b128 v[138:141], v1 offset:1328
	ds_read_b128 v[134:137], v1 offset:1344
	ds_read_b128 v[130:133], v1 offset:1360
	ds_read_b128 v[126:129], v1 offset:1376
	ds_read_b128 v[122:125], v1 offset:1392
	s_waitcnt lgkmcnt(5)
	v_mul_f64 v[8:9], v[246:247], v[94:95]
	v_fmac_f64_e32 v[8:9], v[248:249], v[96:97]
	s_waitcnt lgkmcnt(4)
	v_mul_f64 v[12:13], v[138:139], v[14:15]
	v_fmac_f64_e32 v[12:13], v[140:141], v[16:17]
	s_waitcnt lgkmcnt(3)
	v_mul_f64 v[16:17], v[134:135], v[18:19]
	ds_read_b128 v[118:121], v1 offset:1408
	v_fmac_f64_e32 v[16:17], v[136:137], v[142:143]
	s_waitcnt lgkmcnt(3)
	v_mul_f64 v[20:21], v[130:131], v[22:23]
	v_fmac_f64_e32 v[20:21], v[132:133], v[24:25]
	s_waitcnt lgkmcnt(2)
	v_mul_f64 v[24:25], v[126:127], v[146:147]
	;; [unrolled: 3-line block ×3, first 2 shown]
	v_fmac_f64_e32 v[28:29], v[124:125], v[32:33]
	v_accvgpr_write_b32 a187, v167
	v_accvgpr_write_b32 a186, v166
	v_mul_f64 v[94:95], v[248:249], v[94:95]
	s_waitcnt vmcnt(6)
	v_accvgpr_write_b32 a191, v53
	v_accvgpr_write_b32 a190, v52
	v_pk_mov_b32 v[168:169], v[4:5], v[4:5] op_sel:[0,1]
	v_mul_f64 v[4:5], v[206:207], v[76:77]
	v_fmac_f64_e32 v[4:5], v[208:209], v[82:83]
	v_add_f64 v[2:3], v[2:3], v[4:5]
	v_mul_f64 v[4:5], v[214:215], v[84:85]
	v_fmac_f64_e32 v[4:5], v[216:217], v[116:117]
	v_add_f64 v[2:3], v[2:3], v[4:5]
	;; [unrolled: 3-line block ×9, first 2 shown]
	v_add_f64 v[10:11], v[6:7], v[8:9]
	v_add_f64 v[14:15], v[10:11], v[12:13]
	;; [unrolled: 1-line block ×6, first 2 shown]
	ds_read_b128 v[26:29], v1 offset:1424
	s_waitcnt lgkmcnt(1)
	v_mul_f64 v[32:33], v[118:119], v[150:151]
	v_fmac_f64_e32 v[32:33], v[120:121], v[152:153]
	v_add_f64 v[34:35], v[30:31], v[32:33]
	ds_read_b128 v[30:33], v1 offset:1440
	s_waitcnt lgkmcnt(1)
	v_mul_f64 v[36:37], v[26:27], v[162:163]
	v_fmac_f64_e32 v[36:37], v[28:29], v[164:165]
	v_add_f64 v[162:163], v[34:35], v[36:37]
	ds_read_b128 v[34:37], v1 offset:1456
	s_waitcnt lgkmcnt(1)
	v_mul_f64 v[4:5], v[30:31], v[154:155]
	v_fmac_f64_e32 v[4:5], v[32:33], v[156:157]
	v_fma_f64 v[18:19], v[108:109], v[38:39], -v[40:41]
	ds_read_b128 v[38:41], v1 offset:1472
	v_add_f64 v[4:5], v[162:163], v[4:5]
	buffer_load_dword v163, off, s[0:3], 0 offset:636
	buffer_load_dword v162, off, s[0:3], 0 offset:632
	;; [unrolled: 1-line block ×4, first 2 shown]
	s_waitcnt lgkmcnt(1)
	v_mul_f64 v[108:109], v[34:35], v[166:167]
	v_accvgpr_write_b32 a189, v169
	v_fmac_f64_e32 v[108:109], v[36:37], v[168:169]
	v_accvgpr_write_b32 a188, v168
	buffer_load_dword v22, off, s[0:3], 0 offset:648
	buffer_load_dword v168, off, s[0:3], 0 offset:640
	;; [unrolled: 1-line block ×12, first 2 shown]
	v_fma_f64 v[166:167], v[112:113], v[44:45], -v[46:47]
	v_mul_f64 v[46:47], v[182:183], v[48:49]
	ds_read_b128 v[42:45], v1 offset:1488
	v_fma_f64 v[212:213], v[180:181], v[50:51], -v[46:47]
	buffer_load_dword v174, off, s[0:3], 0 offset:712
	buffer_load_dword v181, off, s[0:3], 0 offset:700
	;; [unrolled: 1-line block ×5, first 2 shown]
	v_mul_f64 v[46:47], v[186:187], v[188:189]
	v_fma_f64 v[14:15], v[184:185], v[70:71], -v[46:47]
	buffer_load_dword v184, off, s[0:3], 0 offset:704
	buffer_load_dword v175, off, s[0:3], 0 offset:716
	;; [unrolled: 1-line block ×7, first 2 shown]
	v_mul_f64 v[8:9], v[192:193], v[56:57]
	v_mul_f64 v[46:47], v[196:197], v[66:67]
	v_fma_f64 v[10:11], v[190:191], v[54:55], -v[8:9]
	v_fma_f64 v[8:9], v[194:195], v[68:69], -v[46:47]
	buffer_load_dword v192, off, s[0:3], 0 offset:744
	buffer_load_dword v194, off, s[0:3], 0 offset:736
	;; [unrolled: 1-line block ×4, first 2 shown]
	v_mul_f64 v[12:13], v[200:201], v[64:65]
	v_fma_f64 v[12:13], v[198:199], v[62:63], -v[12:13]
	buffer_load_dword v191, off, s[0:3], 0 offset:780
	buffer_load_dword v197, off, s[0:3], 0 offset:764
	;; [unrolled: 1-line block ×8, first 2 shown]
	s_waitcnt lgkmcnt(0)
	v_mul_f64 v[50:51], v[42:43], v[52:53]
	v_mul_f64 v[52:53], v[204:205], v[60:61]
	ds_read_b128 v[46:49], v1 offset:1504
	v_fma_f64 v[6:7], v[202:203], v[98:99], -v[52:53]
	buffer_load_dword v203, off, s[0:3], 0 offset:796
	buffer_load_dword v202, off, s[0:3], 0 offset:792
	;; [unrolled: 1-line block ×4, first 2 shown]
	v_mul_f64 v[16:17], v[208:209], v[76:77]
	v_fma_f64 v[16:17], v[206:207], v[82:83], -v[16:17]
	buffer_load_dword v206, off, s[0:3], 0 offset:808
	buffer_load_dword v208, off, s[0:3], 0 offset:800
	;; [unrolled: 1-line block ×8, first 2 shown]
	v_add_f64 v[4:5], v[4:5], v[108:109]
	s_waitcnt vmcnt(54)
	v_mul_f64 v[108:109], v[38:39], v[158:159]
	s_waitcnt vmcnt(52)
	v_fmac_f64_e32 v[108:109], v[40:41], v[160:161]
	v_mul_f64 v[52:53], v[216:217], v[84:85]
	v_add_f64 v[108:109], v[4:5], v[108:109]
	v_fma_f64 v[4:5], v[214:215], v[116:117], -v[52:53]
	buffer_load_dword v214, off, s[0:3], 0 offset:840
	buffer_load_dword v216, off, s[0:3], 0 offset:832
	;; [unrolled: 1-line block ×4, first 2 shown]
	v_fmac_f64_e32 v[50:51], v[44:45], v[144:145]
	v_add_f64 v[50:51], v[108:109], v[50:51]
	v_mul_f64 v[54:55], v[220:221], v[78:79]
	v_fma_f64 v[218:219], v[218:219], v[80:81], -v[54:55]
	v_mul_f64 v[64:65], v[224:225], v[250:251]
	v_fma_f64 v[252:253], v[222:223], v[252:253], -v[64:65]
	ds_read_b128 v[220:223], v1 offset:1552
	v_mul_f64 v[66:67], v[228:229], v[104:105]
	v_fma_f64 v[228:229], v[226:227], v[106:107], -v[66:67]
	ds_read_b128 v[66:69], v1 offset:1584
	v_mul_f64 v[76:77], v[232:233], v[254:255]
	v_fma_f64 v[58:59], v[230:231], v[58:59], -v[76:77]
	v_mul_f64 v[78:79], v[236:237], v[86:87]
	v_fma_f64 v[254:255], v[234:235], v[88:89], -v[78:79]
	ds_read_b128 v[54:57], v1 offset:1536
	v_mul_f64 v[82:83], v[240:241], v[100:101]
	v_fma_f64 v[2:3], v[238:239], v[102:103], -v[82:83]
	ds_read_b128 v[82:85], v1 offset:1648
	v_fma_f64 v[250:251], v[246:247], v[96:97], -v[94:95]
	v_add_f64 v[18:19], v[18:19], 0
	v_add_f64 v[18:19], v[18:19], v[166:167]
	v_add_f64 v[18:19], v[18:19], v[210:211]
	v_add_f64 v[18:19], v[18:19], v[72:73]
	v_add_f64 v[18:19], v[18:19], v[212:213]
	v_add_f64 v[14:15], v[18:19], v[14:15]
	ds_read_b128 v[224:227], v1 offset:1600
	v_add_f64 v[10:11], v[14:15], v[10:11]
	v_add_f64 v[8:9], v[10:11], v[8:9]
	;; [unrolled: 1-line block ×10, first 2 shown]
	ds_read_b128 v[78:81], v1 offset:1632
	v_add_f64 v[4:5], v[4:5], v[254:255]
	v_add_f64 v[2:3], v[4:5], v[2:3]
	s_waitcnt vmcnt(54) lgkmcnt(6)
	v_mul_f64 v[20:21], v[46:47], v[162:163]
	v_accvgpr_read_b32 v4, a168
	s_waitcnt vmcnt(52)
	v_fmac_f64_e32 v[20:21], v[48:49], v[164:165]
	v_add_f64 v[20:21], v[50:51], v[20:21]
	ds_read_b128 v[50:53], v1 offset:1520
	v_accvgpr_read_b32 v5, a169
	v_accvgpr_read_b32 v6, a170
	v_mul_f64 v[4:5], v[140:141], v[4:5]
	ds_read_b128 v[94:97], v1 offset:1696
	s_waitcnt vmcnt(49) lgkmcnt(1)
	v_mul_f64 v[62:63], v[50:51], v[22:23]
	s_waitcnt vmcnt(48)
	v_fmac_f64_e32 v[62:63], v[52:53], v[168:169]
	v_add_f64 v[20:21], v[20:21], v[62:63]
	s_waitcnt vmcnt(45)
	v_mul_f64 v[62:63], v[54:55], v[172:173]
	s_waitcnt vmcnt(43)
	v_fmac_f64_e32 v[62:63], v[56:57], v[178:179]
	v_add_f64 v[20:21], v[20:21], v[62:63]
	s_waitcnt vmcnt(42)
	v_mul_f64 v[62:63], v[220:221], v[170:171]
	s_waitcnt vmcnt(40)
	v_fmac_f64_e32 v[62:63], v[222:223], v[176:177]
	v_add_f64 v[20:21], v[20:21], v[62:63]
	ds_read_b128 v[62:65], v1 offset:1568
	v_accvgpr_read_b32 v7, a171
	s_waitcnt vmcnt(21)
	v_mul_f64 v[24:25], v[78:79], v[196:197]
	v_fma_f64 v[4:5], v[138:139], v[6:7], -v[4:5]
	s_waitcnt vmcnt(19)
	v_fmac_f64_e32 v[24:25], v[80:81], v[200:201]
	s_waitcnt lgkmcnt(0)
	v_mul_f64 v[74:75], v[62:63], v[180:181]
	v_fmac_f64_e32 v[74:75], v[64:65], v[182:183]
	v_add_f64 v[20:21], v[20:21], v[74:75]
	v_mul_f64 v[74:75], v[66:67], v[174:175]
	v_fmac_f64_e32 v[74:75], v[68:69], v[184:185]
	v_add_f64 v[20:21], v[20:21], v[74:75]
	;; [unrolled: 3-line block ×3, first 2 shown]
	ds_read_b128 v[74:77], v1 offset:1616
	v_accvgpr_read_b32 v6, a176
	v_accvgpr_read_b32 v7, a177
	s_waitcnt lgkmcnt(0)
	v_mul_f64 v[86:87], v[74:75], v[192:193]
	v_fmac_f64_e32 v[86:87], v[76:77], v[194:195]
	v_add_f64 v[20:21], v[20:21], v[86:87]
	v_add_f64 v[20:21], v[20:21], v[24:25]
	ds_read_b128 v[86:89], v1 offset:1664
	s_waitcnt vmcnt(18)
	v_mul_f64 v[24:25], v[82:83], v[190:191]
	s_waitcnt vmcnt(16)
	v_fmac_f64_e32 v[24:25], v[84:85], v[198:199]
	v_add_f64 v[20:21], v[20:21], v[24:25]
	v_mul_f64 v[24:25], v[244:245], v[90:91]
	v_fma_f64 v[24:25], v[242:243], v[92:93], -v[24:25]
	ds_read_b128 v[90:93], v1 offset:1680
	s_waitcnt vmcnt(14) lgkmcnt(1)
	v_mul_f64 v[98:99], v[86:87], v[202:203]
	s_waitcnt vmcnt(12)
	v_fmac_f64_e32 v[98:99], v[88:89], v[204:205]
	v_add_f64 v[20:21], v[20:21], v[98:99]
	v_add_f64 v[252:253], v[2:3], v[24:25]
	s_waitcnt vmcnt(9) lgkmcnt(0)
	v_mul_f64 v[98:99], v[90:91], v[206:207]
	s_waitcnt vmcnt(8)
	v_fmac_f64_e32 v[98:99], v[92:93], v[208:209]
	v_add_f64 v[20:21], v[20:21], v[98:99]
	s_waitcnt vmcnt(6)
	v_mul_f64 v[98:99], v[94:95], v[60:61]
	s_waitcnt vmcnt(4)
	v_fmac_f64_e32 v[98:99], v[96:97], v[70:71]
	v_add_f64 v[20:21], v[20:21], v[98:99]
	ds_read_b128 v[98:101], v1 offset:1712
	v_add_f64 v[2:3], v[252:253], v[250:251]
	v_add_f64 v[2:3], v[2:3], v[4:5]
	v_accvgpr_read_b32 v4, a172
	v_accvgpr_read_b32 v5, a173
	s_waitcnt vmcnt(1) lgkmcnt(0)
	v_mul_f64 v[102:103], v[98:99], v[214:215]
	s_waitcnt vmcnt(0)
	v_fmac_f64_e32 v[102:103], v[100:101], v[216:217]
	v_add_f64 v[106:107], v[20:21], v[102:103]
	buffer_load_dword v21, off, s[0:3], 0 offset:860
	buffer_load_dword v20, off, s[0:3], 0 offset:856
	;; [unrolled: 1-line block ×4, first 2 shown]
	ds_read_b128 v[102:105], v1 offset:1728
	buffer_load_dword v232, off, s[0:3], 0 offset:872
	buffer_load_dword v233, off, s[0:3], 0 offset:876
	buffer_load_dword v234, off, s[0:3], 0 offset:864
	buffer_load_dword v235, off, s[0:3], 0 offset:868
	v_mul_f64 v[4:5], v[136:137], v[4:5]
	v_fma_f64 v[4:5], v[134:135], v[142:143], -v[4:5]
	v_add_f64 v[2:3], v[2:3], v[4:5]
	v_accvgpr_read_b32 v4, a174
	v_accvgpr_read_b32 v5, a175
	v_mul_f64 v[4:5], v[132:133], v[4:5]
	v_fma_f64 v[4:5], v[130:131], v[6:7], -v[4:5]
	v_add_f64 v[2:3], v[2:3], v[4:5]
	v_mul_f64 v[4:5], v[128:129], v[146:147]
	v_fma_f64 v[4:5], v[126:127], v[148:149], -v[4:5]
	v_add_f64 v[2:3], v[2:3], v[4:5]
	v_accvgpr_read_b32 v4, a178
	v_accvgpr_read_b32 v5, a179
	v_accvgpr_read_b32 v6, a180
	v_mul_f64 v[4:5], v[124:125], v[4:5]
	v_accvgpr_read_b32 v7, a181
	v_fma_f64 v[4:5], v[122:123], v[6:7], -v[4:5]
	v_add_f64 v[2:3], v[2:3], v[4:5]
	v_mul_f64 v[4:5], v[120:121], v[150:151]
	v_fma_f64 v[4:5], v[118:119], v[152:153], -v[4:5]
	v_add_f64 v[2:3], v[2:3], v[4:5]
	v_accvgpr_read_b32 v4, a182
	v_accvgpr_read_b32 v5, a183
	v_accvgpr_read_b32 v6, a184
	v_mul_f64 v[4:5], v[28:29], v[4:5]
	v_accvgpr_read_b32 v7, a185
	;; [unrolled: 10-line block ×3, first 2 shown]
	v_fma_f64 v[4:5], v[34:35], v[6:7], -v[4:5]
	v_add_f64 v[2:3], v[2:3], v[4:5]
	v_mul_f64 v[4:5], v[40:41], v[158:159]
	v_fma_f64 v[4:5], v[38:39], v[160:161], -v[4:5]
	v_add_f64 v[2:3], v[2:3], v[4:5]
	v_accvgpr_read_b32 v4, a190
	v_accvgpr_read_b32 v5, a191
	v_mul_f64 v[4:5], v[44:45], v[4:5]
	v_fma_f64 v[4:5], v[42:43], v[144:145], -v[4:5]
	v_add_f64 v[2:3], v[2:3], v[4:5]
	v_mul_f64 v[4:5], v[48:49], v[162:163]
	v_fma_f64 v[4:5], v[46:47], v[164:165], -v[4:5]
	v_add_f64 v[2:3], v[2:3], v[4:5]
	;; [unrolled: 3-line block ×10, first 2 shown]
	v_mul_f64 v[4:5], v[84:85], v[190:191]
	v_fma_f64 v[4:5], v[82:83], v[198:199], -v[4:5]
	s_waitcnt vmcnt(6) lgkmcnt(0)
	v_mul_f64 v[108:109], v[102:103], v[20:21]
	v_add_f64 v[2:3], v[2:3], v[4:5]
	s_waitcnt vmcnt(4)
	v_fmac_f64_e32 v[108:109], v[104:105], v[230:231]
	v_add_f64 v[110:111], v[106:107], v[108:109]
	ds_read_b128 v[106:109], v1 offset:1744
	buffer_load_dword v237, off, s[0:3], 0 offset:892
	buffer_load_dword v236, off, s[0:3], 0 offset:888
	;; [unrolled: 1-line block ×4, first 2 shown]
	v_mul_f64 v[4:5], v[88:89], v[202:203]
	v_fma_f64 v[4:5], v[86:87], v[204:205], -v[4:5]
	v_add_f64 v[2:3], v[2:3], v[4:5]
	s_waitcnt vmcnt(6) lgkmcnt(0)
	v_mul_f64 v[112:113], v[106:107], v[232:233]
	s_waitcnt vmcnt(4)
	v_fmac_f64_e32 v[112:113], v[108:109], v[234:235]
	v_add_f64 v[114:115], v[110:111], v[112:113]
	ds_read_b128 v[110:113], v1 offset:1760
	buffer_load_dword v242, off, s[0:3], 0 offset:904
	buffer_load_dword v243, off, s[0:3], 0 offset:908
	;; [unrolled: 1-line block ×4, first 2 shown]
	v_mul_f64 v[4:5], v[92:93], v[206:207]
	v_fma_f64 v[4:5], v[90:91], v[208:209], -v[4:5]
	v_add_f64 v[2:3], v[2:3], v[4:5]
	v_mul_f64 v[4:5], v[96:97], v[60:61]
	v_fma_f64 v[4:5], v[94:95], v[70:71], -v[4:5]
	v_add_f64 v[2:3], v[2:3], v[4:5]
	v_mul_f64 v[4:5], v[100:101], v[214:215]
	v_fma_f64 v[4:5], v[98:99], v[216:217], -v[4:5]
	v_add_f64 v[2:3], v[2:3], v[4:5]
	v_mul_f64 v[4:5], v[104:105], v[20:21]
	v_fma_f64 v[4:5], v[102:103], v[230:231], -v[4:5]
	v_add_f64 v[2:3], v[2:3], v[4:5]
	v_mul_f64 v[4:5], v[108:109], v[232:233]
	v_fma_f64 v[4:5], v[106:107], v[234:235], -v[4:5]
	v_add_f64 v[2:3], v[2:3], v[4:5]
	s_waitcnt vmcnt(6) lgkmcnt(0)
	v_mul_f64 v[116:117], v[110:111], v[236:237]
	v_mul_f64 v[4:5], v[112:113], v[236:237]
	s_waitcnt vmcnt(4)
	v_fmac_f64_e32 v[116:117], v[112:113], v[238:239]
	v_add_f64 v[240:241], v[114:115], v[116:117]
	ds_read_b128 v[114:117], v1 offset:1776
	buffer_load_dword v248, off, s[0:3], 0 offset:112
	buffer_load_dword v249, off, s[0:3], 0 offset:116
	v_fma_f64 v[4:5], v[110:111], v[238:239], -v[4:5]
	v_add_f64 v[2:3], v[2:3], v[4:5]
	s_waitcnt vmcnt(4) lgkmcnt(0)
	v_mul_f64 v[246:247], v[114:115], v[242:243]
	s_waitcnt vmcnt(2)
	v_fmac_f64_e32 v[246:247], v[116:117], v[244:245]
	v_add_f64 v[240:241], v[240:241], v[246:247]
	buffer_load_dword v246, off, s[0:3], 0 offset:120
	buffer_load_dword v247, off, s[0:3], 0 offset:124
	v_mul_f64 v[4:5], v[116:117], v[242:243]
	v_fma_f64 v[4:5], v[114:115], v[244:245], -v[4:5]
	v_add_f64 v[2:3], v[2:3], v[4:5]
	s_waitcnt vmcnt(2)
	v_add_f64 v[2:3], v[248:249], -v[2:3]
	s_waitcnt vmcnt(0)
	v_add_f64 v[4:5], v[246:247], -v[240:241]
	buffer_store_dword v3, off, s[0:3], 0 offset:116
	buffer_store_dword v2, off, s[0:3], 0 offset:112
	;; [unrolled: 1-line block ×4, first 2 shown]
	s_and_saveexec_b64 s[4:5], vcc
	s_cbranch_execz .LBB119_339
; %bb.338:
	v_accvgpr_read_b32 v5, a162
	buffer_load_dword v2, v5, s[0:3], 0 offen
	buffer_load_dword v3, v5, s[0:3], 0 offen offset:4
	buffer_load_dword v4, v5, s[0:3], 0 offen offset:8
	s_nop 0
	buffer_load_dword v5, v5, s[0:3], 0 offen offset:12
	v_accvgpr_read_b32 v6, a167
	buffer_store_dword v1, off, s[0:3], 0 offset:96
	buffer_store_dword v1, off, s[0:3], 0 offset:100
	;; [unrolled: 1-line block ×4, first 2 shown]
	s_waitcnt vmcnt(4)
	ds_write_b128 v6, v[2:5]
.LBB119_339:
	s_or_b64 exec, exec, s[4:5]
	s_waitcnt lgkmcnt(0)
	; wave barrier
	s_waitcnt lgkmcnt(0)
	buffer_load_dword v176, off, s[0:3], 0 offset:112
	buffer_load_dword v177, off, s[0:3], 0 offset:116
	;; [unrolled: 1-line block ×42, first 2 shown]
	ds_read_b128 v[42:45], v1 offset:992
	ds_read_b128 v[108:111], v1 offset:1008
	;; [unrolled: 1-line block ×10, first 2 shown]
	buffer_load_dword v117, off, s[0:3], 0 offset:260
	buffer_load_dword v116, off, s[0:3], 0 offset:256
	ds_read_b128 v[46:49], v1 offset:1152
	buffer_load_dword v85, off, s[0:3], 0 offset:316
	buffer_load_dword v84, off, s[0:3], 0 offset:312
	;; [unrolled: 1-line block ×6, first 2 shown]
	v_cmp_lt_u32_e32 vcc, 4, v0
	s_waitcnt vmcnt(46) lgkmcnt(10)
	v_mul_f64 v[2:3], v[42:43], v[36:37]
	v_fmac_f64_e32 v[2:3], v[44:45], v[176:177]
	v_add_f64 v[2:3], v[2:3], 0
	v_mul_f64 v[36:37], v[44:45], v[36:37]
	s_waitcnt vmcnt(42) lgkmcnt(9)
	v_mul_f64 v[4:5], v[108:109], v[40:41]
	v_fmac_f64_e32 v[4:5], v[110:111], v[38:39]
	v_add_f64 v[2:3], v[2:3], v[4:5]
	buffer_load_dword v209, off, s[0:3], 0 offset:292
	buffer_load_dword v208, off, s[0:3], 0 offset:288
	;; [unrolled: 1-line block ×36, first 2 shown]
	s_waitcnt vmcnt(62) lgkmcnt(8)
	v_mul_f64 v[6:7], v[112:113], v[158:159]
	s_waitcnt lgkmcnt(6)
	v_mul_f64 v[10:11], v[170:171], v[52:53]
	v_fmac_f64_e32 v[10:11], v[172:173], v[54:55]
	v_mul_f64 v[40:41], v[110:111], v[40:41]
	v_mul_f64 v[8:9], v[166:167], v[56:57]
	v_fma_f64 v[108:109], v[108:109], v[38:39], -v[40:41]
	s_waitcnt lgkmcnt(4)
	v_mul_f64 v[14:15], v[182:183], v[198:199]
	v_mul_f64 v[110:111], v[114:115], v[158:159]
	v_fmac_f64_e32 v[14:15], v[184:185], v[60:61]
	v_mul_f64 v[52:53], v[172:173], v[52:53]
	v_mul_f64 v[12:13], v[178:179], v[62:63]
	s_waitcnt lgkmcnt(2)
	v_mul_f64 v[18:19], v[190:191], v[64:65]
	s_waitcnt vmcnt(59)
	v_mul_f64 v[16:17], v[186:187], v[70:71]
	s_waitcnt vmcnt(57) lgkmcnt(1)
	v_mul_f64 v[20:21], v[194:195], v[68:69]
	s_waitcnt vmcnt(55)
	v_fmac_f64_e32 v[6:7], v[114:115], v[78:79]
	v_add_f64 v[2:3], v[2:3], v[6:7]
	s_waitcnt vmcnt(53)
	v_fmac_f64_e32 v[8:9], v[168:169], v[76:77]
	v_add_f64 v[2:3], v[2:3], v[8:9]
	;; [unrolled: 3-line block ×3, first 2 shown]
	v_add_f64 v[2:3], v[2:3], v[12:13]
	s_waitcnt vmcnt(49)
	v_fmac_f64_e32 v[16:17], v[188:189], v[72:73]
	v_add_f64 v[2:3], v[2:3], v[14:15]
	s_waitcnt vmcnt(48)
	v_fmac_f64_e32 v[18:19], v[192:193], v[66:67]
	v_add_f64 v[2:3], v[2:3], v[16:17]
	v_add_f64 v[2:3], v[2:3], v[18:19]
	s_waitcnt vmcnt(42)
	v_fmac_f64_e32 v[20:21], v[196:197], v[116:117]
	v_add_f64 v[2:3], v[2:3], v[20:21]
	s_waitcnt vmcnt(0)
	v_pk_mov_b32 v[18:19], v[4:5], v[4:5] op_sel:[0,1]
	buffer_load_dword v5, off, s[0:3], 0 offset:468
	buffer_load_dword v4, off, s[0:3], 0 offset:464
	v_accvgpr_write_b32 a173, v19
	v_accvgpr_write_b32 a172, v18
	s_waitcnt vmcnt(0)
	v_pk_mov_b32 v[22:23], v[4:5], v[4:5] op_sel:[0,1]
	buffer_load_dword v5, off, s[0:3], 0 offset:460
	buffer_load_dword v4, off, s[0:3], 0 offset:456
	v_accvgpr_write_b32 a175, v23
	v_accvgpr_write_b32 a174, v22
	;; [unrolled: 6-line block ×12, first 2 shown]
	s_waitcnt vmcnt(0)
	v_pk_mov_b32 v[164:165], v[4:5], v[4:5] op_sel:[0,1]
	buffer_load_dword v5, off, s[0:3], 0 offset:564
	buffer_load_dword v4, off, s[0:3], 0 offset:560
	s_waitcnt vmcnt(0)
	v_pk_mov_b32 v[174:175], v[4:5], v[4:5] op_sel:[0,1]
	buffer_load_dword v151, off, s[0:3], 0 offset:556
	buffer_load_dword v150, off, s[0:3], 0 offset:552
	;; [unrolled: 1-line block ×12, first 2 shown]
	ds_read_b128 v[202:205], v1 offset:1168
	ds_read_b128 v[214:217], v1 offset:1184
	;; [unrolled: 1-line block ×14, first 2 shown]
	s_waitcnt lgkmcnt(4)
	v_mul_f64 v[8:9], v[246:247], v[94:95]
	ds_read_b128 v[130:133], v1 offset:1392
	ds_read_b128 v[126:129], v1 offset:1408
	v_fmac_f64_e32 v[8:9], v[248:249], v[96:97]
	s_waitcnt lgkmcnt(5)
	v_mul_f64 v[12:13], v[146:147], v[14:15]
	v_fmac_f64_e32 v[12:13], v[148:149], v[16:17]
	s_waitcnt lgkmcnt(4)
	v_mul_f64 v[16:17], v[142:143], v[18:19]
	;; [unrolled: 3-line block ×5, first 2 shown]
	ds_read_b128 v[122:125], v1 offset:1424
	v_fmac_f64_e32 v[28:29], v[132:133], v[118:119]
	ds_read_b128 v[118:121], v1 offset:1440
	s_waitcnt lgkmcnt(2)
	v_mul_f64 v[32:33], v[126:127], v[160:161]
	v_fmac_f64_e32 v[32:33], v[128:129], v[162:163]
	v_accvgpr_write_b32 a193, v175
	v_accvgpr_write_b32 a192, v174
	v_mul_f64 v[94:95], v[248:249], v[94:95]
	s_waitcnt vmcnt(6)
	v_pk_mov_b32 v[210:211], v[4:5], v[4:5] op_sel:[0,1]
	v_mul_f64 v[4:5], v[46:47], v[80:81]
	v_fmac_f64_e32 v[4:5], v[48:49], v[82:83]
	v_add_f64 v[2:3], v[2:3], v[4:5]
	v_mul_f64 v[4:5], v[202:203], v[206:207]
	v_fmac_f64_e32 v[4:5], v[204:205], v[208:209]
	v_add_f64 v[2:3], v[2:3], v[4:5]
	;; [unrolled: 3-line block ×10, first 2 shown]
	v_add_f64 v[10:11], v[6:7], v[8:9]
	v_add_f64 v[14:15], v[10:11], v[12:13]
	;; [unrolled: 1-line block ×7, first 2 shown]
	ds_read_b128 v[30:33], v1 offset:1456
	s_waitcnt lgkmcnt(2)
	v_mul_f64 v[4:5], v[122:123], v[150:151]
	v_fma_f64 v[26:27], v[42:43], v[176:177], -v[36:37]
	v_fmac_f64_e32 v[4:5], v[124:125], v[152:153]
	s_waitcnt lgkmcnt(1)
	v_mul_f64 v[42:43], v[118:119], v[164:165]
	v_add_f64 v[4:5], v[160:161], v[4:5]
	v_fmac_f64_e32 v[42:43], v[120:121], v[174:175]
	v_add_f64 v[4:5], v[4:5], v[42:43]
	s_waitcnt vmcnt(2) lgkmcnt(0)
	v_mul_f64 v[42:43], v[30:31], v[154:155]
	s_waitcnt vmcnt(0)
	v_fmac_f64_e32 v[42:43], v[32:33], v[156:157]
	v_pk_mov_b32 v[36:37], v[164:165], v[164:165] op_sel:[0,1]
	v_add_f64 v[4:5], v[4:5], v[42:43]
	ds_read_b128 v[42:45], v1 offset:1472
	ds_read_b128 v[38:41], v1 offset:1488
	buffer_load_dword v158, off, s[0:3], 0 offset:632
	buffer_load_dword v163, off, s[0:3], 0 offset:620
	;; [unrolled: 1-line block ×5, first 2 shown]
	v_mul_f64 v[8:9], v[168:169], v[56:57]
	v_fma_f64 v[18:19], v[166:167], v[76:77], -v[8:9]
	buffer_load_dword v166, off, s[0:3], 0 offset:624
	buffer_load_dword v159, off, s[0:3], 0 offset:636
	;; [unrolled: 1-line block ×12, first 2 shown]
	v_mul_f64 v[12:13], v[180:181], v[62:63]
	v_fma_f64 v[14:15], v[170:171], v[54:55], -v[52:53]
	v_fma_f64 v[12:13], v[178:179], v[74:75], -v[12:13]
	buffer_load_dword v170, off, s[0:3], 0 offset:688
	buffer_load_dword v179, off, s[0:3], 0 offset:684
	;; [unrolled: 1-line block ×7, first 2 shown]
	v_mul_f64 v[52:53], v[184:185], v[198:199]
	v_fma_f64 v[10:11], v[182:183], v[60:61], -v[52:53]
	buffer_load_dword v183, off, s[0:3], 0 offset:716
	buffer_load_dword v182, off, s[0:3], 0 offset:712
	;; [unrolled: 1-line block ×4, first 2 shown]
	v_mul_f64 v[52:53], v[188:189], v[70:71]
	v_mul_f64 v[20:21], v[192:193], v[64:65]
	buffer_load_dword v188, off, s[0:3], 0 offset:728
	v_fma_f64 v[20:21], v[190:191], v[66:67], -v[20:21]
	buffer_load_dword v190, off, s[0:3], 0 offset:720
	buffer_load_dword v189, off, s[0:3], 0 offset:732
	;; [unrolled: 1-line block ×3, first 2 shown]
	v_fma_f64 v[8:9], v[186:187], v[72:73], -v[52:53]
	v_mul_f64 v[52:53], v[196:197], v[68:69]
	v_fma_f64 v[6:7], v[194:195], v[116:117], -v[52:53]
	buffer_load_dword v187, off, s[0:3], 0 offset:764
	buffer_load_dword v193, off, s[0:3], 0 offset:748
	;; [unrolled: 1-line block ×12, first 2 shown]
	v_mul_f64 v[24:25], v[48:49], v[80:81]
	v_accvgpr_write_b32 a194, v210
	v_fma_f64 v[24:25], v[46:47], v[82:83], -v[24:25]
	v_mul_f64 v[46:47], v[204:205], v[206:207]
	s_waitcnt lgkmcnt(1)
	v_mul_f64 v[16:17], v[42:43], v[210:211]
	v_accvgpr_write_b32 a195, v211
	v_fma_f64 v[2:3], v[202:203], v[208:209], -v[46:47]
	buffer_load_dword v204, off, s[0:3], 0 offset:792
	buffer_load_dword v206, off, s[0:3], 0 offset:784
	;; [unrolled: 1-line block ×12, first 2 shown]
	v_fmac_f64_e32 v[16:17], v[44:45], v[34:35]
	v_add_f64 v[4:5], v[4:5], v[16:17]
	v_mul_f64 v[16:17], v[216:217], v[84:85]
	v_fma_f64 v[16:17], v[214:215], v[86:87], -v[16:17]
	buffer_load_dword v215, off, s[0:3], 0 offset:844
	buffer_load_dword v214, off, s[0:3], 0 offset:840
	;; [unrolled: 1-line block ×4, first 2 shown]
	ds_read_b128 v[46:49], v1 offset:1504
	v_mul_f64 v[62:63], v[224:225], v[250:251]
	v_mul_f64 v[58:59], v[228:229], v[58:59]
	;; [unrolled: 1-line block ×3, first 2 shown]
	v_fma_f64 v[58:59], v[226:227], v[200:201], -v[58:59]
	v_fma_f64 v[200:201], v[230:231], v[102:103], -v[70:71]
	v_mul_f64 v[82:83], v[240:241], v[88:89]
	v_fma_f64 v[228:229], v[238:239], v[92:93], -v[82:83]
	v_fma_f64 v[22:23], v[112:113], v[78:79], -v[110:111]
	v_mul_f64 v[88:89], v[244:245], v[90:91]
	ds_read_b128 v[90:93], v1 offset:1664
	v_fma_f64 v[250:251], v[242:243], v[98:99], -v[88:89]
	ds_read_b128 v[70:73], v1 offset:1600
	ds_read_b128 v[82:85], v1 offset:1648
	s_waitcnt vmcnt(57) lgkmcnt(4)
	v_mul_f64 v[28:29], v[38:39], v[162:163]
	s_waitcnt vmcnt(55)
	v_fmac_f64_e32 v[28:29], v[40:41], v[164:165]
	v_add_f64 v[4:5], v[4:5], v[28:29]
	v_mul_f64 v[28:29], v[220:221], v[254:255]
	v_fma_f64 v[28:29], v[218:219], v[50:51], -v[28:29]
	ds_read_b128 v[50:53], v1 offset:1520
	s_waitcnt vmcnt(53) lgkmcnt(4)
	v_mul_f64 v[54:55], v[46:47], v[158:159]
	s_waitcnt vmcnt(52)
	v_fmac_f64_e32 v[54:55], v[48:49], v[166:167]
	v_add_f64 v[4:5], v[4:5], v[54:55]
	ds_read_b128 v[54:57], v1 offset:1536
	v_fma_f64 v[254:255], v[222:223], v[252:253], -v[62:63]
	ds_read_b128 v[220:223], v1 offset:1552
	s_waitcnt vmcnt(48) lgkmcnt(2)
	v_mul_f64 v[62:63], v[50:51], v[174:175]
	s_waitcnt vmcnt(46)
	v_fmac_f64_e32 v[62:63], v[52:53], v[176:177]
	v_add_f64 v[4:5], v[4:5], v[62:63]
	ds_read_b128 v[62:65], v1 offset:1568
	s_waitcnt lgkmcnt(2)
	v_mul_f64 v[66:67], v[54:55], v[160:161]
	s_waitcnt vmcnt(44)
	v_fmac_f64_e32 v[66:67], v[56:57], v[172:173]
	v_add_f64 v[4:5], v[4:5], v[66:67]
	s_waitcnt vmcnt(40) lgkmcnt(1)
	v_mul_f64 v[66:67], v[220:221], v[178:179]
	s_waitcnt vmcnt(38)
	v_fmac_f64_e32 v[66:67], v[222:223], v[180:181]
	v_add_f64 v[4:5], v[4:5], v[66:67]
	s_waitcnt vmcnt(37) lgkmcnt(0)
	v_mul_f64 v[66:67], v[62:63], v[168:169]
	s_waitcnt vmcnt(36)
	v_fmac_f64_e32 v[66:67], v[64:65], v[170:171]
	v_add_f64 v[4:5], v[4:5], v[66:67]
	ds_read_b128 v[66:69], v1 offset:1584
	s_waitcnt vmcnt(29)
	v_mul_f64 v[78:79], v[70:71], v[188:189]
	s_waitcnt vmcnt(28)
	v_fmac_f64_e32 v[78:79], v[72:73], v[190:191]
	v_fma_f64 v[252:253], v[246:247], v[96:97], -v[94:95]
	ds_read_b128 v[94:97], v1 offset:1696
	s_waitcnt lgkmcnt(1)
	v_mul_f64 v[74:75], v[66:67], v[182:183]
	v_fmac_f64_e32 v[74:75], v[68:69], v[184:185]
	v_add_f64 v[4:5], v[4:5], v[74:75]
	v_mul_f64 v[74:75], v[236:237], v[104:105]
	v_fma_f64 v[106:107], v[234:235], v[106:107], -v[74:75]
	ds_read_b128 v[74:77], v1 offset:1616
	v_add_f64 v[4:5], v[4:5], v[78:79]
	ds_read_b128 v[78:81], v1 offset:1632
	s_waitcnt vmcnt(25) lgkmcnt(1)
	v_mul_f64 v[86:87], v[74:75], v[192:193]
	s_waitcnt vmcnt(23)
	v_fmac_f64_e32 v[86:87], v[76:77], v[198:199]
	v_add_f64 v[4:5], v[4:5], v[86:87]
	s_waitcnt vmcnt(22) lgkmcnt(0)
	v_mul_f64 v[86:87], v[78:79], v[186:187]
	s_waitcnt vmcnt(20)
	v_fmac_f64_e32 v[86:87], v[80:81], v[196:197]
	v_add_f64 v[4:5], v[4:5], v[86:87]
	s_waitcnt vmcnt(18)
	v_mul_f64 v[86:87], v[82:83], v[194:195]
	s_waitcnt vmcnt(16)
	v_fmac_f64_e32 v[86:87], v[84:85], v[60:61]
	v_add_f64 v[4:5], v[4:5], v[86:87]
	ds_read_b128 v[86:89], v1 offset:1680
	s_waitcnt vmcnt(13)
	v_mul_f64 v[98:99], v[90:91], v[204:205]
	s_waitcnt vmcnt(12)
	v_fmac_f64_e32 v[98:99], v[92:93], v[206:207]
	v_add_f64 v[4:5], v[4:5], v[98:99]
	s_waitcnt vmcnt(9) lgkmcnt(0)
	v_mul_f64 v[98:99], v[86:87], v[210:211]
	s_waitcnt vmcnt(7)
	v_fmac_f64_e32 v[98:99], v[88:89], v[212:213]
	v_add_f64 v[4:5], v[4:5], v[98:99]
	s_waitcnt vmcnt(5)
	v_mul_f64 v[98:99], v[94:95], v[202:203]
	s_waitcnt vmcnt(4)
	v_fmac_f64_e32 v[98:99], v[96:97], v[208:209]
	v_add_f64 v[4:5], v[4:5], v[98:99]
	ds_read_b128 v[98:101], v1 offset:1712
	buffer_load_dword v218, off, s[0:3], 0 offset:856
	buffer_load_dword v219, off, s[0:3], 0 offset:860
	;; [unrolled: 1-line block ×4, first 2 shown]
	s_waitcnt vmcnt(6) lgkmcnt(0)
	v_mul_f64 v[102:103], v[98:99], v[214:215]
	s_waitcnt vmcnt(4)
	v_fmac_f64_e32 v[102:103], v[100:101], v[216:217]
	v_add_f64 v[4:5], v[4:5], v[102:103]
	ds_read_b128 v[102:105], v1 offset:1728
	buffer_load_dword v233, off, s[0:3], 0 offset:876
	buffer_load_dword v232, off, s[0:3], 0 offset:872
	;; [unrolled: 1-line block ×4, first 2 shown]
	ds_read_b128 v[224:227], v1 offset:1744
	buffer_load_dword v236, off, s[0:3], 0 offset:888
	buffer_load_dword v237, off, s[0:3], 0 offset:892
	;; [unrolled: 1-line block ×4, first 2 shown]
	s_waitcnt vmcnt(10) lgkmcnt(1)
	v_mul_f64 v[110:111], v[102:103], v[218:219]
	s_waitcnt vmcnt(8)
	v_fmac_f64_e32 v[110:111], v[104:105], v[230:231]
	v_add_f64 v[4:5], v[4:5], v[110:111]
	s_waitcnt vmcnt(6) lgkmcnt(0)
	v_mul_f64 v[110:111], v[224:225], v[232:233]
	s_waitcnt vmcnt(4)
	v_fmac_f64_e32 v[110:111], v[226:227], v[234:235]
	v_add_f64 v[4:5], v[4:5], v[110:111]
	ds_read_b128 v[110:113], v1 offset:1760
	buffer_load_dword v243, off, s[0:3], 0 offset:908
	buffer_load_dword v242, off, s[0:3], 0 offset:904
	;; [unrolled: 1-line block ×4, first 2 shown]
	s_waitcnt vmcnt(6) lgkmcnt(0)
	v_mul_f64 v[114:115], v[110:111], v[236:237]
	s_waitcnt vmcnt(4)
	v_fmac_f64_e32 v[114:115], v[112:113], v[238:239]
	v_add_f64 v[4:5], v[4:5], v[114:115]
	ds_read_b128 v[114:117], v1 offset:1776
	buffer_load_dword v248, off, s[0:3], 0 offset:96
	buffer_load_dword v249, off, s[0:3], 0 offset:100
	;; [unrolled: 1-line block ×4, first 2 shown]
	s_waitcnt vmcnt(6) lgkmcnt(0)
	v_mul_f64 v[240:241], v[114:115], v[242:243]
	s_waitcnt vmcnt(4)
	v_fmac_f64_e32 v[240:241], v[116:117], v[244:245]
	v_add_f64 v[240:241], v[4:5], v[240:241]
	v_add_f64 v[4:5], v[26:27], 0
	;; [unrolled: 1-line block ×19, first 2 shown]
	v_accvgpr_read_b32 v4, a168
	v_add_f64 v[254:255], v[2:3], v[228:229]
	v_accvgpr_read_b32 v5, a169
	v_accvgpr_read_b32 v6, a170
	v_add_f64 v[2:3], v[254:255], v[250:251]
	v_mul_f64 v[4:5], v[148:149], v[4:5]
	v_accvgpr_read_b32 v7, a171
	v_add_f64 v[2:3], v[2:3], v[252:253]
	v_fma_f64 v[4:5], v[146:147], v[6:7], -v[4:5]
	v_add_f64 v[2:3], v[2:3], v[4:5]
	v_accvgpr_read_b32 v4, a172
	v_accvgpr_read_b32 v5, a173
	v_accvgpr_read_b32 v6, a174
	v_mul_f64 v[4:5], v[144:145], v[4:5]
	v_accvgpr_read_b32 v7, a175
	v_fma_f64 v[4:5], v[142:143], v[6:7], -v[4:5]
	v_add_f64 v[2:3], v[2:3], v[4:5]
	v_accvgpr_read_b32 v4, a176
	v_accvgpr_read_b32 v5, a177
	v_accvgpr_read_b32 v6, a178
	v_mul_f64 v[4:5], v[140:141], v[4:5]
	v_accvgpr_read_b32 v7, a179
	v_fma_f64 v[4:5], v[138:139], v[6:7], -v[4:5]
	v_add_f64 v[2:3], v[2:3], v[4:5]
	v_accvgpr_read_b32 v4, a180
	v_accvgpr_read_b32 v5, a181
	v_accvgpr_read_b32 v6, a182
	v_mul_f64 v[4:5], v[136:137], v[4:5]
	v_accvgpr_read_b32 v7, a183
	v_fma_f64 v[4:5], v[134:135], v[6:7], -v[4:5]
	v_add_f64 v[2:3], v[2:3], v[4:5]
	v_accvgpr_read_b32 v4, a184
	v_accvgpr_read_b32 v5, a185
	v_accvgpr_read_b32 v6, a186
	v_mul_f64 v[4:5], v[132:133], v[4:5]
	v_accvgpr_read_b32 v7, a187
	v_fma_f64 v[4:5], v[130:131], v[6:7], -v[4:5]
	v_add_f64 v[2:3], v[2:3], v[4:5]
	v_accvgpr_read_b32 v4, a188
	v_accvgpr_read_b32 v5, a189
	v_accvgpr_read_b32 v6, a190
	v_mul_f64 v[4:5], v[128:129], v[4:5]
	v_accvgpr_read_b32 v7, a191
	v_fma_f64 v[4:5], v[126:127], v[6:7], -v[4:5]
	v_add_f64 v[2:3], v[2:3], v[4:5]
	v_mul_f64 v[4:5], v[124:125], v[150:151]
	v_fma_f64 v[4:5], v[122:123], v[152:153], -v[4:5]
	v_accvgpr_read_b32 v6, a192
	v_add_f64 v[2:3], v[2:3], v[4:5]
	v_mul_f64 v[4:5], v[120:121], v[36:37]
	v_accvgpr_read_b32 v7, a193
	v_fma_f64 v[4:5], v[118:119], v[6:7], -v[4:5]
	v_add_f64 v[2:3], v[2:3], v[4:5]
	v_mul_f64 v[4:5], v[32:33], v[154:155]
	v_fma_f64 v[4:5], v[30:31], v[156:157], -v[4:5]
	v_add_f64 v[2:3], v[2:3], v[4:5]
	v_accvgpr_read_b32 v4, a194
	v_accvgpr_read_b32 v5, a195
	v_mul_f64 v[4:5], v[44:45], v[4:5]
	v_fma_f64 v[4:5], v[42:43], v[34:35], -v[4:5]
	v_add_f64 v[2:3], v[2:3], v[4:5]
	v_mul_f64 v[4:5], v[40:41], v[162:163]
	v_fma_f64 v[4:5], v[38:39], v[164:165], -v[4:5]
	v_add_f64 v[2:3], v[2:3], v[4:5]
	;; [unrolled: 3-line block ×20, first 2 shown]
	s_waitcnt vmcnt(2)
	v_add_f64 v[2:3], v[248:249], -v[2:3]
	v_accvgpr_write_b32 a168, v0
	s_waitcnt vmcnt(0)
	v_add_f64 v[4:5], v[246:247], -v[240:241]
	buffer_store_dword v3, off, s[0:3], 0 offset:100
	buffer_store_dword v2, off, s[0:3], 0 offset:96
	;; [unrolled: 1-line block ×4, first 2 shown]
	s_and_saveexec_b64 s[4:5], vcc
	s_cbranch_execz .LBB119_341
; %bb.340:
	v_accvgpr_read_b32 v1, a163
	buffer_load_dword v2, v1, s[0:3], 0 offen
	buffer_load_dword v3, v1, s[0:3], 0 offen offset:4
	buffer_load_dword v4, v1, s[0:3], 0 offen offset:8
	;; [unrolled: 1-line block ×3, first 2 shown]
	v_mov_b32_e32 v1, 0
	v_accvgpr_read_b32 v6, a167
	buffer_store_dword v1, off, s[0:3], 0 offset:80
	buffer_store_dword v1, off, s[0:3], 0 offset:84
	;; [unrolled: 1-line block ×4, first 2 shown]
	s_waitcnt vmcnt(4)
	ds_write_b128 v6, v[2:5]
.LBB119_341:
	s_or_b64 exec, exec, s[4:5]
	v_mov_b32_e32 v142, 0
	s_waitcnt lgkmcnt(0)
	; wave barrier
	s_waitcnt lgkmcnt(0)
	buffer_load_dword v30, off, s[0:3], 0 offset:96
	buffer_load_dword v31, off, s[0:3], 0 offset:100
	;; [unrolled: 1-line block ×54, first 2 shown]
	ds_read_b128 v[114:117], v142 offset:976
	ds_read_b128 v[156:159], v142 offset:992
	ds_read_b128 v[166:169], v142 offset:1008
	ds_read_b128 v[170:173], v142 offset:1024
	ds_read_b128 v[174:177], v142 offset:1040
	ds_read_b128 v[178:181], v142 offset:1056
	ds_read_b128 v[182:185], v142 offset:1072
	ds_read_b128 v[186:189], v142 offset:1088
	ds_read_b128 v[190:193], v142 offset:1104
	buffer_load_dword v109, off, s[0:3], 0 offset:324
	buffer_load_dword v108, off, s[0:3], 0 offset:320
	;; [unrolled: 1-line block ×32, first 2 shown]
	s_waitcnt vmcnt(62) lgkmcnt(8)
	v_mul_f64 v[2:3], v[114:115], v[32:33]
	v_fmac_f64_e32 v[2:3], v[116:117], v[30:31]
	v_add_f64 v[2:3], v[2:3], 0
	v_mul_f64 v[32:33], v[116:117], v[32:33]
	s_waitcnt lgkmcnt(7)
	v_mul_f64 v[4:5], v[156:157], v[38:39]
	v_fmac_f64_e32 v[4:5], v[158:159], v[36:37]
	s_waitcnt lgkmcnt(6)
	v_mul_f64 v[6:7], v[166:167], v[34:35]
	v_add_f64 v[2:3], v[2:3], v[4:5]
	s_waitcnt lgkmcnt(4)
	v_mul_f64 v[10:11], v[174:175], v[40:41]
	v_fma_f64 v[254:255], v[114:115], v[30:31], -v[32:33]
	v_fmac_f64_e32 v[10:11], v[176:177], v[42:43]
	v_mul_f64 v[38:39], v[158:159], v[38:39]
	v_mul_f64 v[8:9], v[170:171], v[44:45]
	s_waitcnt lgkmcnt(2)
	v_mul_f64 v[14:15], v[182:183], v[48:49]
	v_fmac_f64_e32 v[14:15], v[184:185], v[50:51]
	v_mul_f64 v[12:13], v[178:179], v[56:57]
	s_waitcnt lgkmcnt(1)
	v_mul_f64 v[16:17], v[186:187], v[52:53]
	s_waitcnt vmcnt(60)
	v_fmac_f64_e32 v[6:7], v[168:169], v[62:63]
	v_add_f64 v[2:3], v[2:3], v[6:7]
	s_waitcnt vmcnt(58)
	v_fmac_f64_e32 v[8:9], v[172:173], v[60:61]
	v_add_f64 v[2:3], v[2:3], v[8:9]
	;; [unrolled: 3-line block ×3, first 2 shown]
	v_add_f64 v[2:3], v[2:3], v[12:13]
	v_add_f64 v[2:3], v[2:3], v[14:15]
	s_waitcnt vmcnt(54)
	v_fmac_f64_e32 v[16:17], v[188:189], v[54:55]
	v_add_f64 v[2:3], v[2:3], v[16:17]
	s_waitcnt vmcnt(50) lgkmcnt(0)
	v_mul_f64 v[4:5], v[190:191], v[46:47]
	v_fmac_f64_e32 v[4:5], v[192:193], v[64:65]
	v_add_f64 v[2:3], v[2:3], v[4:5]
	s_waitcnt vmcnt(0)
	v_pk_mov_b32 v[14:15], v[0:1], v[0:1] op_sel:[0,1]
	buffer_load_dword v1, off, s[0:3], 0 offset:452
	buffer_load_dword v0, off, s[0:3], 0 offset:448
	v_accvgpr_write_b32 a171, v15
	v_accvgpr_write_b32 a170, v14
	s_waitcnt vmcnt(0)
	v_pk_mov_b32 v[18:19], v[0:1], v[0:1] op_sel:[0,1]
	buffer_load_dword v95, off, s[0:3], 0 offset:444
	buffer_load_dword v94, off, s[0:3], 0 offset:440
	;; [unrolled: 1-line block ×6, first 2 shown]
	v_accvgpr_write_b32 a173, v19
	v_accvgpr_write_b32 a172, v18
	s_waitcnt vmcnt(0)
	v_pk_mov_b32 v[22:23], v[0:1], v[0:1] op_sel:[0,1]
	buffer_load_dword v1, off, s[0:3], 0 offset:484
	buffer_load_dword v0, off, s[0:3], 0 offset:480
	v_accvgpr_write_b32 a179, v23
	v_accvgpr_write_b32 a178, v22
	s_waitcnt vmcnt(0)
	v_pk_mov_b32 v[24:25], v[0:1], v[0:1] op_sel:[0,1]
	buffer_load_dword v1, off, s[0:3], 0 offset:476
	buffer_load_dword v0, off, s[0:3], 0 offset:472
	v_accvgpr_write_b32 a181, v25
	v_accvgpr_write_b32 a180, v24
	s_waitcnt vmcnt(0)
	v_pk_mov_b32 v[20:21], v[0:1], v[0:1] op_sel:[0,1]
	buffer_load_dword v1, off, s[0:3], 0 offset:468
	buffer_load_dword v0, off, s[0:3], 0 offset:464
	v_accvgpr_write_b32 a175, v21
	v_accvgpr_write_b32 a174, v20
	s_waitcnt vmcnt(0)
	v_pk_mov_b32 v[26:27], v[0:1], v[0:1] op_sel:[0,1]
	buffer_load_dword v1, off, s[0:3], 0 offset:524
	buffer_load_dword v0, off, s[0:3], 0 offset:520
	v_accvgpr_write_b32 a177, v27
	v_accvgpr_write_b32 a176, v26
	s_waitcnt vmcnt(0)
	v_pk_mov_b32 v[118:119], v[0:1], v[0:1] op_sel:[0,1]
	buffer_load_dword v1, off, s[0:3], 0 offset:516
	buffer_load_dword v0, off, s[0:3], 0 offset:512
	v_accvgpr_write_b32 a187, v119
	v_accvgpr_write_b32 a186, v118
	s_waitcnt vmcnt(0)
	v_pk_mov_b32 v[120:121], v[0:1], v[0:1] op_sel:[0,1]
	buffer_load_dword v1, off, s[0:3], 0 offset:508
	buffer_load_dword v0, off, s[0:3], 0 offset:504
	v_accvgpr_write_b32 a189, v121
	v_accvgpr_write_b32 a188, v120
	s_waitcnt vmcnt(0)
	v_pk_mov_b32 v[138:139], v[0:1], v[0:1] op_sel:[0,1]
	buffer_load_dword v1, off, s[0:3], 0 offset:500
	buffer_load_dword v0, off, s[0:3], 0 offset:496
	v_accvgpr_write_b32 a183, v139
	v_accvgpr_write_b32 a182, v138
	s_waitcnt vmcnt(0)
	v_pk_mov_b32 v[140:141], v[0:1], v[0:1] op_sel:[0,1]
	buffer_load_dword v1, off, s[0:3], 0 offset:556
	buffer_load_dword v0, off, s[0:3], 0 offset:552
	v_accvgpr_write_b32 a185, v141
	v_accvgpr_write_b32 a184, v140
	s_waitcnt vmcnt(0)
	v_pk_mov_b32 v[160:161], v[0:1], v[0:1] op_sel:[0,1]
	buffer_load_dword v1, off, s[0:3], 0 offset:548
	buffer_load_dword v0, off, s[0:3], 0 offset:544
	v_accvgpr_write_b32 a195, v161
	v_accvgpr_write_b32 a194, v160
	s_waitcnt vmcnt(0)
	v_pk_mov_b32 v[162:163], v[0:1], v[0:1] op_sel:[0,1]
	buffer_load_dword v1, off, s[0:3], 0 offset:540
	buffer_load_dword v0, off, s[0:3], 0 offset:536
	v_accvgpr_write_b32 a197, v163
	v_accvgpr_write_b32 a196, v162
	s_waitcnt vmcnt(0)
	v_pk_mov_b32 v[154:155], v[0:1], v[0:1] op_sel:[0,1]
	buffer_load_dword v1, off, s[0:3], 0 offset:532
	buffer_load_dword v0, off, s[0:3], 0 offset:528
	ds_read_b128 v[194:197], v142 offset:1120
	ds_read_b128 v[198:201], v142 offset:1136
	;; [unrolled: 1-line block ×8, first 2 shown]
	s_waitcnt lgkmcnt(7)
	v_mul_f64 v[4:5], v[194:195], v[70:71]
	v_fmac_f64_e32 v[4:5], v[196:197], v[72:73]
	v_add_f64 v[2:3], v[2:3], v[4:5]
	s_waitcnt lgkmcnt(6)
	v_mul_f64 v[4:5], v[198:199], v[66:67]
	v_fmac_f64_e32 v[4:5], v[200:201], v[68:69]
	v_add_f64 v[2:3], v[2:3], v[4:5]
	;; [unrolled: 4-line block ×8, first 2 shown]
	v_accvgpr_write_b32 a191, v155
	v_accvgpr_write_b32 a190, v154
	s_waitcnt vmcnt(0)
	v_pk_mov_b32 v[164:165], v[0:1], v[0:1] op_sel:[0,1]
	buffer_load_dword v1, off, s[0:3], 0 offset:588
	buffer_load_dword v153, off, s[0:3], 0 offset:572
	;; [unrolled: 1-line block ×8, first 2 shown]
	ds_read_b128 v[230:233], v142 offset:1248
	ds_read_b128 v[234:237], v142 offset:1264
	;; [unrolled: 1-line block ×6, first 2 shown]
	s_waitcnt lgkmcnt(5)
	v_mul_f64 v[4:5], v[230:231], v[102:103]
	v_fmac_f64_e32 v[4:5], v[232:233], v[106:107]
	v_add_f64 v[2:3], v[2:3], v[4:5]
	s_waitcnt lgkmcnt(4)
	v_mul_f64 v[4:5], v[234:235], v[78:79]
	v_fmac_f64_e32 v[4:5], v[236:237], v[80:81]
	v_add_f64 v[2:3], v[2:3], v[4:5]
	s_waitcnt lgkmcnt(3)
	v_mul_f64 v[4:5], v[238:239], v[82:83]
	ds_read_b128 v[134:137], v142 offset:1344
	ds_read_b128 v[130:133], v142 offset:1360
	v_fmac_f64_e32 v[4:5], v[240:241], v[84:85]
	v_add_f64 v[2:3], v[2:3], v[4:5]
	s_waitcnt lgkmcnt(4)
	v_mul_f64 v[4:5], v[242:243], v[86:87]
	ds_read_b128 v[126:129], v142 offset:1376
	ds_read_b128 v[122:125], v142 offset:1392
	v_fmac_f64_e32 v[4:5], v[244:245], v[88:89]
	s_waitcnt lgkmcnt(5)
	v_mul_f64 v[8:9], v[246:247], v[94:95]
	v_add_f64 v[6:7], v[2:3], v[4:5]
	v_fmac_f64_e32 v[8:9], v[248:249], v[96:97]
	s_waitcnt lgkmcnt(4)
	v_mul_f64 v[12:13], v[144:145], v[14:15]
	v_add_f64 v[10:11], v[6:7], v[8:9]
	;; [unrolled: 4-line block ×5, first 2 shown]
	v_fmac_f64_e32 v[28:29], v[128:129], v[140:141]
	ds_read_b128 v[138:141], v142 offset:1408
	v_add_f64 v[26:27], v[26:27], v[28:29]
	s_waitcnt lgkmcnt(1)
	v_mul_f64 v[28:29], v[122:123], v[118:119]
	v_fmac_f64_e32 v[28:29], v[124:125], v[120:121]
	ds_read_b128 v[118:121], v142 offset:1424
	v_add_f64 v[26:27], v[26:27], v[28:29]
	s_waitcnt lgkmcnt(1)
	v_mul_f64 v[28:29], v[138:139], v[154:155]
	v_fmac_f64_e32 v[28:29], v[140:141], v[164:165]
	v_accvgpr_write_b32 a193, v165
	s_waitcnt lgkmcnt(0)
	v_mul_f64 v[114:115], v[118:119], v[160:161]
	v_add_f64 v[154:155], v[26:27], v[28:29]
	v_fmac_f64_e32 v[114:115], v[120:121], v[162:163]
	v_accvgpr_write_b32 a192, v164
	ds_read_b128 v[30:33], v142 offset:1440
	v_add_f64 v[114:115], v[154:155], v[114:115]
	buffer_load_dword v155, off, s[0:3], 0 offset:620
	buffer_load_dword v154, off, s[0:3], 0 offset:616
	v_fma_f64 v[26:27], v[156:157], v[36:37], -v[38:39]
	buffer_load_dword v157, off, s[0:3], 0 offset:612
	buffer_load_dword v156, off, s[0:3], 0 offset:608
	;; [unrolled: 1-line block ×6, first 2 shown]
	v_mul_f64 v[4:5], v[168:169], v[34:35]
	v_fma_f64 v[24:25], v[166:167], v[62:63], -v[4:5]
	buffer_load_dword v158, off, s[0:3], 0 offset:648
	buffer_load_dword v163, off, s[0:3], 0 offset:636
	;; [unrolled: 1-line block ×5, first 2 shown]
	v_mul_f64 v[34:35], v[172:173], v[44:45]
	v_fma_f64 v[60:61], v[170:171], v[60:61], -v[34:35]
	ds_read_b128 v[34:37], v142 offset:1456
	buffer_load_dword v168, off, s[0:3], 0 offset:640
	buffer_load_dword v159, off, s[0:3], 0 offset:652
	;; [unrolled: 1-line block ×3, first 2 shown]
	v_mul_f64 v[8:9], v[192:193], v[46:47]
	v_fma_f64 v[18:19], v[190:191], v[64:65], -v[8:9]
	v_mul_f64 v[12:13], v[200:201], v[66:67]
	v_mul_f64 v[16:17], v[208:209], v[92:93]
	v_fma_f64 v[12:13], v[198:199], v[68:69], -v[12:13]
	v_fma_f64 v[16:17], v[206:207], v[76:77], -v[16:17]
	v_mul_f64 v[46:47], v[216:217], v[250:251]
	v_fma_f64 v[252:253], v[214:215], v[252:253], -v[46:47]
	v_mul_f64 v[66:67], v[224:225], v[110:111]
	;; [unrolled: 2-line block ×3, first 2 shown]
	v_fma_f64 v[228:229], v[226:227], v[98:99], -v[66:67]
	s_waitcnt vmcnt(21) lgkmcnt(1)
	v_mul_f64 v[38:39], v[30:31], v[152:153]
	v_mul_f64 v[78:79], v[236:237], v[78:79]
	s_waitcnt vmcnt(19)
	v_fmac_f64_e32 v[38:39], v[32:33], v[150:151]
	s_waitcnt vmcnt(18) lgkmcnt(0)
	v_mul_f64 v[44:45], v[34:35], v[0:1]
	v_add_f64 v[38:39], v[114:115], v[38:39]
	s_waitcnt vmcnt(16)
	v_fmac_f64_e32 v[44:45], v[36:37], v[148:149]
	v_add_f64 v[62:63], v[38:39], v[44:45]
	v_mul_f64 v[38:39], v[176:177], v[40:41]
	v_fma_f64 v[170:171], v[174:175], v[42:43], -v[38:39]
	v_mul_f64 v[38:39], v[180:181], v[56:57]
	v_fma_f64 v[114:115], v[178:179], v[58:59], -v[38:39]
	buffer_load_dword v59, off, s[0:3], 0 offset:684
	buffer_load_dword v173, off, s[0:3], 0 offset:668
	;; [unrolled: 1-line block ×8, first 2 shown]
	ds_read_b128 v[38:41], v142 offset:1472
	buffer_load_dword v179, off, s[0:3], 0 offset:700
	buffer_load_dword v178, off, s[0:3], 0 offset:696
	;; [unrolled: 1-line block ×4, first 2 shown]
	v_mul_f64 v[42:43], v[184:185], v[48:49]
	v_fma_f64 v[116:117], v[182:183], v[50:51], -v[42:43]
	v_mul_f64 v[42:43], v[188:189], v[52:53]
	v_fma_f64 v[22:23], v[186:187], v[54:55], -v[42:43]
	buffer_load_dword v183, off, s[0:3], 0 offset:716
	buffer_load_dword v182, off, s[0:3], 0 offset:712
	;; [unrolled: 1-line block ×9, first 2 shown]
	v_mul_f64 v[42:43], v[196:197], v[70:71]
	buffer_load_dword v192, off, s[0:3], 0 offset:736
	buffer_load_dword v191, off, s[0:3], 0 offset:748
	;; [unrolled: 1-line block ×3, first 2 shown]
	v_fma_f64 v[14:15], v[194:195], v[72:73], -v[42:43]
	buffer_load_dword v195, off, s[0:3], 0 offset:764
	buffer_load_dword v194, off, s[0:3], 0 offset:760
	;; [unrolled: 1-line block ×4, first 2 shown]
	v_mul_f64 v[42:43], v[204:205], v[100:101]
	v_fma_f64 v[10:11], v[202:203], v[104:105], -v[42:43]
	buffer_load_dword v201, off, s[0:3], 0 offset:780
	buffer_load_dword v200, off, s[0:3], 0 offset:776
	;; [unrolled: 1-line block ×16, first 2 shown]
	ds_read_b128 v[42:45], v142 offset:1488
	ds_read_b128 v[46:49], v142 offset:1504
	v_mul_f64 v[54:55], v[220:221], v[74:75]
	v_fma_f64 v[250:251], v[218:219], v[108:109], -v[54:55]
	ds_read_b128 v[54:57], v142 offset:1536
	ds_read_b128 v[220:223], v142 offset:1552
	;; [unrolled: 1-line block ×3, first 2 shown]
	v_mul_f64 v[70:71], v[232:233], v[102:103]
	v_fma_f64 v[6:7], v[230:231], v[106:107], -v[70:71]
	v_fma_f64 v[4:5], v[234:235], v[80:81], -v[78:79]
	v_mul_f64 v[82:83], v[240:241], v[82:83]
	v_fma_f64 v[2:3], v[238:239], v[84:85], -v[82:83]
	ds_read_b128 v[82:85], v142 offset:1648
	buffer_load_dword v214, off, s[0:3], 0 offset:840
	ds_read_b128 v[70:73], v142 offset:1600
	ds_read_b128 v[78:81], v142 offset:1632
	s_waitcnt vmcnt(55) lgkmcnt(8)
	v_mul_f64 v[50:51], v[38:39], v[160:161]
	s_waitcnt lgkmcnt(7)
	v_mul_f64 v[52:53], v[42:43], v[154:155]
	s_waitcnt vmcnt(53)
	v_fmac_f64_e32 v[50:51], v[40:41], v[164:165]
	v_add_f64 v[50:51], v[62:63], v[50:51]
	v_fmac_f64_e32 v[52:53], v[44:45], v[156:157]
	v_add_f64 v[50:51], v[50:51], v[52:53]
	s_waitcnt vmcnt(50) lgkmcnt(6)
	v_mul_f64 v[52:53], v[46:47], v[162:163]
	s_waitcnt vmcnt(48)
	v_fmac_f64_e32 v[52:53], v[48:49], v[166:167]
	v_add_f64 v[62:63], v[50:51], v[52:53]
	ds_read_b128 v[50:53], v142 offset:1520
	s_waitcnt vmcnt(46) lgkmcnt(0)
	v_mul_f64 v[64:65], v[50:51], v[158:159]
	s_waitcnt vmcnt(45)
	v_fmac_f64_e32 v[64:65], v[52:53], v[168:169]
	v_add_f64 v[20:21], v[62:63], v[64:65]
	s_waitcnt vmcnt(42)
	v_mul_f64 v[62:63], v[54:55], v[172:173]
	s_waitcnt vmcnt(40)
	v_fmac_f64_e32 v[62:63], v[56:57], v[176:177]
	v_add_f64 v[20:21], v[20:21], v[62:63]
	s_waitcnt vmcnt(39)
	v_mul_f64 v[62:63], v[220:221], v[58:59]
	s_waitcnt vmcnt(37)
	v_fmac_f64_e32 v[62:63], v[222:223], v[174:175]
	v_add_f64 v[20:21], v[20:21], v[62:63]
	ds_read_b128 v[62:65], v142 offset:1568
	s_waitcnt vmcnt(35) lgkmcnt(0)
	v_mul_f64 v[74:75], v[62:63], v[178:179]
	s_waitcnt vmcnt(33)
	v_fmac_f64_e32 v[74:75], v[64:65], v[180:181]
	v_add_f64 v[20:21], v[20:21], v[74:75]
	s_waitcnt vmcnt(31)
	v_mul_f64 v[74:75], v[66:67], v[182:183]
	s_waitcnt vmcnt(29)
	v_fmac_f64_e32 v[74:75], v[68:69], v[186:187]
	v_add_f64 v[20:21], v[20:21], v[74:75]
	s_waitcnt vmcnt(27)
	v_mul_f64 v[74:75], v[70:71], v[184:185]
	s_waitcnt vmcnt(25)
	v_fmac_f64_e32 v[74:75], v[72:73], v[188:189]
	v_add_f64 v[20:21], v[20:21], v[74:75]
	ds_read_b128 v[74:77], v142 offset:1616
	s_waitcnt vmcnt(19)
	v_mul_f64 v[28:29], v[78:79], v[194:195]
	s_waitcnt vmcnt(17)
	v_fmac_f64_e32 v[28:29], v[80:81], v[196:197]
	s_waitcnt lgkmcnt(0)
	v_mul_f64 v[90:91], v[74:75], v[190:191]
	v_fmac_f64_e32 v[90:91], v[76:77], v[192:193]
	v_add_f64 v[20:21], v[20:21], v[90:91]
	v_add_f64 v[20:21], v[20:21], v[28:29]
	v_mul_f64 v[28:29], v[244:245], v[86:87]
	v_fma_f64 v[28:29], v[242:243], v[88:89], -v[28:29]
	ds_read_b128 v[86:89], v142 offset:1664
	s_waitcnt vmcnt(15)
	v_mul_f64 v[90:91], v[82:83], v[200:201]
	s_waitcnt vmcnt(13)
	v_fmac_f64_e32 v[90:91], v[84:85], v[202:203]
	v_add_f64 v[98:99], v[20:21], v[90:91]
	v_mul_f64 v[20:21], v[248:249], v[94:95]
	ds_read_b128 v[90:93], v142 offset:1680
	v_fma_f64 v[20:21], v[246:247], v[96:97], -v[20:21]
	ds_read_b128 v[94:97], v142 offset:1696
	buffer_load_dword v216, off, s[0:3], 0 offset:832
	buffer_load_dword v215, off, s[0:3], 0 offset:844
	;; [unrolled: 1-line block ×3, first 2 shown]
	s_waitcnt vmcnt(13) lgkmcnt(2)
	v_mul_f64 v[100:101], v[86:87], v[204:205]
	s_waitcnt vmcnt(11)
	v_fmac_f64_e32 v[100:101], v[88:89], v[210:211]
	v_add_f64 v[98:99], v[98:99], v[100:101]
	s_waitcnt vmcnt(10) lgkmcnt(1)
	v_mul_f64 v[100:101], v[90:91], v[198:199]
	s_waitcnt vmcnt(8)
	v_fmac_f64_e32 v[100:101], v[92:93], v[208:209]
	v_add_f64 v[98:99], v[98:99], v[100:101]
	;; [unrolled: 5-line block ×3, first 2 shown]
	ds_read_b128 v[98:101], v142 offset:1712
	buffer_load_dword v219, off, s[0:3], 0 offset:860
	buffer_load_dword v218, off, s[0:3], 0 offset:856
	buffer_load_dword v231, off, s[0:3], 0 offset:852
	buffer_load_dword v230, off, s[0:3], 0 offset:848
	s_waitcnt vmcnt(5) lgkmcnt(0)
	v_mul_f64 v[104:105], v[98:99], v[214:215]
	s_waitcnt vmcnt(4)
	v_fmac_f64_e32 v[104:105], v[100:101], v[216:217]
	v_add_f64 v[106:107], v[102:103], v[104:105]
	ds_read_b128 v[102:105], v142 offset:1728
	buffer_load_dword v232, off, s[0:3], 0 offset:872
	buffer_load_dword v233, off, s[0:3], 0 offset:876
	buffer_load_dword v234, off, s[0:3], 0 offset:864
	buffer_load_dword v235, off, s[0:3], 0 offset:868
	s_waitcnt vmcnt(6) lgkmcnt(0)
	v_mul_f64 v[108:109], v[102:103], v[218:219]
	s_waitcnt vmcnt(4)
	v_fmac_f64_e32 v[108:109], v[104:105], v[230:231]
	v_add_f64 v[110:111], v[106:107], v[108:109]
	;; [unrolled: 10-line block ×4, first 2 shown]
	ds_read_b128 v[224:227], v142 offset:1776
	buffer_load_dword v248, off, s[0:3], 0 offset:80
	buffer_load_dword v249, off, s[0:3], 0 offset:84
	s_waitcnt vmcnt(4) lgkmcnt(0)
	v_mul_f64 v[246:247], v[224:225], v[242:243]
	s_waitcnt vmcnt(2)
	v_fmac_f64_e32 v[246:247], v[226:227], v[244:245]
	v_add_f64 v[240:241], v[240:241], v[246:247]
	v_add_f64 v[246:247], v[254:255], 0
	;; [unrolled: 1-line block ×15, first 2 shown]
	buffer_load_dword v246, off, s[0:3], 0 offset:88
	buffer_load_dword v247, off, s[0:3], 0 offset:92
	v_add_f64 v[10:11], v[10:11], v[250:251]
	v_add_f64 v[8:9], v[10:11], v[8:9]
	;; [unrolled: 1-line block ×6, first 2 shown]
	v_accvgpr_read_b32 v4, a170
	v_accvgpr_read_b32 v5, a171
	;; [unrolled: 1-line block ×3, first 2 shown]
	v_add_f64 v[252:253], v[2:3], v[28:29]
	v_mul_f64 v[4:5], v[146:147], v[4:5]
	v_accvgpr_read_b32 v7, a173
	v_add_f64 v[2:3], v[252:253], v[20:21]
	v_fma_f64 v[4:5], v[144:145], v[6:7], -v[4:5]
	v_add_f64 v[2:3], v[2:3], v[4:5]
	v_accvgpr_read_b32 v4, a174
	v_accvgpr_read_b32 v5, a175
	v_accvgpr_read_b32 v6, a176
	v_mul_f64 v[4:5], v[136:137], v[4:5]
	v_accvgpr_read_b32 v7, a177
	v_fma_f64 v[4:5], v[134:135], v[6:7], -v[4:5]
	v_add_f64 v[2:3], v[2:3], v[4:5]
	v_accvgpr_read_b32 v4, a178
	v_accvgpr_read_b32 v5, a179
	v_accvgpr_read_b32 v6, a180
	v_mul_f64 v[4:5], v[132:133], v[4:5]
	v_accvgpr_read_b32 v7, a181
	;; [unrolled: 7-line block ×6, first 2 shown]
	v_fma_f64 v[4:5], v[118:119], v[6:7], -v[4:5]
	v_add_f64 v[2:3], v[2:3], v[4:5]
	v_mul_f64 v[4:5], v[32:33], v[152:153]
	v_fma_f64 v[4:5], v[30:31], v[150:151], -v[4:5]
	v_add_f64 v[2:3], v[2:3], v[4:5]
	v_mul_f64 v[4:5], v[36:37], v[0:1]
	;; [unrolled: 3-line block ×22, first 2 shown]
	v_fma_f64 v[4:5], v[224:225], v[244:245], -v[4:5]
	v_add_f64 v[2:3], v[2:3], v[4:5]
	v_accvgpr_read_b32 v0, a168
	s_waitcnt vmcnt(2)
	v_add_f64 v[2:3], v[248:249], -v[2:3]
	v_cmp_lt_u32_e32 vcc, 3, v0
	s_waitcnt vmcnt(0)
	v_add_f64 v[4:5], v[246:247], -v[240:241]
	buffer_store_dword v3, off, s[0:3], 0 offset:84
	buffer_store_dword v2, off, s[0:3], 0 offset:80
	;; [unrolled: 1-line block ×4, first 2 shown]
	s_and_saveexec_b64 s[4:5], vcc
	s_cbranch_execz .LBB119_343
; %bb.342:
	v_accvgpr_read_b32 v5, a164
	buffer_load_dword v2, v5, s[0:3], 0 offen
	buffer_load_dword v3, v5, s[0:3], 0 offen offset:4
	buffer_load_dword v4, v5, s[0:3], 0 offen offset:8
	s_nop 0
	buffer_load_dword v5, v5, s[0:3], 0 offen offset:12
	v_accvgpr_read_b32 v6, a167
	buffer_store_dword v142, off, s[0:3], 0 offset:64
	buffer_store_dword v142, off, s[0:3], 0 offset:68
	;; [unrolled: 1-line block ×4, first 2 shown]
	s_waitcnt vmcnt(4)
	ds_write_b128 v6, v[2:5]
.LBB119_343:
	s_or_b64 exec, exec, s[4:5]
	s_waitcnt lgkmcnt(0)
	; wave barrier
	s_waitcnt lgkmcnt(0)
	buffer_load_dword v22, off, s[0:3], 0 offset:80
	buffer_load_dword v23, off, s[0:3], 0 offset:84
	;; [unrolled: 1-line block ×36, first 2 shown]
	ds_read_b128 v[18:21], v142 offset:960
	ds_read_b128 v[26:29], v142 offset:976
	;; [unrolled: 1-line block ×9, first 2 shown]
	buffer_load_dword v91, off, s[0:3], 0 offset:252
	buffer_load_dword v90, off, s[0:3], 0 offset:248
	;; [unrolled: 1-line block ×19, first 2 shown]
	s_waitcnt vmcnt(51) lgkmcnt(8)
	v_mul_f64 v[2:3], v[18:19], v[24:25]
	v_fmac_f64_e32 v[2:3], v[20:21], v[22:23]
	v_add_f64 v[2:3], v[2:3], 0
	v_mul_f64 v[20:21], v[20:21], v[24:25]
	s_waitcnt vmcnt(47) lgkmcnt(7)
	v_mul_f64 v[4:5], v[26:27], v[160:161]
	v_fmac_f64_e32 v[4:5], v[28:29], v[158:159]
	v_add_f64 v[2:3], v[2:3], v[4:5]
	buffer_load_dword v104, off, s[0:3], 0 offset:304
	buffer_load_dword v67, off, s[0:3], 0 offset:300
	;; [unrolled: 1-line block ×39, first 2 shown]
	s_waitcnt vmcnt(62) lgkmcnt(6)
	v_mul_f64 v[6:7], v[54:55], v[156:157]
	s_waitcnt lgkmcnt(4)
	v_mul_f64 v[10:11], v[34:35], v[166:167]
	v_fmac_f64_e32 v[10:11], v[36:37], v[168:169]
	v_fma_f64 v[24:25], v[18:19], v[22:23], -v[20:21]
	v_mul_f64 v[8:9], v[30:31], v[164:165]
	v_mul_f64 v[28:29], v[28:29], v[160:161]
	s_waitcnt lgkmcnt(2)
	v_mul_f64 v[14:15], v[50:51], v[74:75]
	v_fma_f64 v[158:159], v[26:27], v[158:159], -v[28:29]
	v_fmac_f64_e32 v[14:15], v[52:53], v[76:77]
	v_mul_f64 v[36:37], v[36:37], v[166:167]
	v_mul_f64 v[12:13], v[38:39], v[80:81]
	v_mul_f64 v[52:53], v[52:53], v[74:75]
	s_waitcnt lgkmcnt(1)
	v_mul_f64 v[16:17], v[46:47], v[72:73]
	v_fma_f64 v[20:21], v[50:51], v[76:77], -v[52:53]
	v_fmac_f64_e32 v[6:7], v[56:57], v[86:87]
	v_add_f64 v[2:3], v[2:3], v[6:7]
	v_fmac_f64_e32 v[8:9], v[32:33], v[84:85]
	v_add_f64 v[2:3], v[2:3], v[8:9]
	v_fmac_f64_e32 v[12:13], v[40:41], v[82:83]
	v_add_f64 v[2:3], v[2:3], v[10:11]
	v_add_f64 v[2:3], v[2:3], v[12:13]
	v_add_f64 v[2:3], v[2:3], v[14:15]
	v_fmac_f64_e32 v[16:17], v[48:49], v[78:79]
	v_add_f64 v[2:3], v[2:3], v[16:17]
	v_mul_f64 v[32:33], v[32:33], v[164:165]
	v_mul_f64 v[40:41], v[40:41], v[80:81]
	v_fma_f64 v[82:83], v[38:39], v[82:83], -v[40:41]
	v_add_f64 v[24:25], v[24:25], 0
	v_add_f64 v[24:25], v[24:25], v[158:159]
	s_waitcnt vmcnt(0)
	v_pk_mov_b32 v[122:123], v[4:5], v[4:5] op_sel:[0,1]
	buffer_load_dword v5, off, s[0:3], 0 offset:468
	buffer_load_dword v4, off, s[0:3], 0 offset:464
	v_accvgpr_write_b32 a177, v123
	v_accvgpr_write_b32 a176, v122
	s_waitcnt vmcnt(0)
	v_pk_mov_b32 v[124:125], v[4:5], v[4:5] op_sel:[0,1]
	buffer_load_dword v5, off, s[0:3], 0 offset:460
	buffer_load_dword v4, off, s[0:3], 0 offset:456
	v_accvgpr_write_b32 a179, v125
	v_accvgpr_write_b32 a178, v124
	s_waitcnt vmcnt(0)
	v_pk_mov_b32 v[14:15], v[4:5], v[4:5] op_sel:[0,1]
	buffer_load_dword v5, off, s[0:3], 0 offset:452
	buffer_load_dword v4, off, s[0:3], 0 offset:448
	v_pk_mov_b32 v[144:145], v[14:15], v[14:15] op_sel:[0,1]
	s_waitcnt vmcnt(0)
	v_pk_mov_b32 v[126:127], v[4:5], v[4:5] op_sel:[0,1]
	buffer_load_dword v5, off, s[0:3], 0 offset:508
	buffer_load_dword v4, off, s[0:3], 0 offset:504
	v_accvgpr_write_b32 a175, v127
	v_accvgpr_write_b32 a174, v126
	s_waitcnt vmcnt(0)
	v_pk_mov_b32 v[172:173], v[4:5], v[4:5] op_sel:[0,1]
	buffer_load_dword v5, off, s[0:3], 0 offset:500
	buffer_load_dword v4, off, s[0:3], 0 offset:496
	v_accvgpr_write_b32 a185, v173
	v_accvgpr_write_b32 a184, v172
	;; [unrolled: 6-line block ×7, first 2 shown]
	s_waitcnt vmcnt(0)
	v_pk_mov_b32 v[186:187], v[4:5], v[4:5] op_sel:[0,1]
	buffer_load_dword v5, off, s[0:3], 0 offset:516
	buffer_load_dword v4, off, s[0:3], 0 offset:512
	ds_read_b128 v[182:185], v142 offset:1104
	ds_read_b128 v[194:197], v142 offset:1120
	ds_read_b128 v[198:201], v142 offset:1136
	ds_read_b128 v[206:209], v142 offset:1152
	ds_read_b128 v[210:213], v142 offset:1168
	ds_read_b128 v[220:223], v142 offset:1184
	ds_read_b128 v[224:227], v142 offset:1200
	ds_read_b128 v[240:243], v142 offset:1216
	ds_read_b128 v[244:247], v142 offset:1232
	buffer_load_dword v1, off, s[0:3], 0 offset:556
	buffer_load_dword v0, off, s[0:3], 0 offset:552
	;; [unrolled: 1-line block ×4, first 2 shown]
	ds_read_b128 v[248:251], v142 offset:1248
	buffer_load_dword v149, off, s[0:3], 0 offset:572
	buffer_load_dword v148, off, s[0:3], 0 offset:568
	;; [unrolled: 1-line block ×8, first 2 shown]
	ds_read_b128 v[252:255], v142 offset:1264
	ds_read_b128 v[118:121], v142 offset:1280
	;; [unrolled: 1-line block ×4, first 2 shown]
	v_accvgpr_write_b32 a189, v187
	v_accvgpr_write_b32 a188, v186
	s_waitcnt lgkmcnt(7)
	v_mul_f64 v[50:51], v[226:227], v[236:237]
	ds_read_b128 v[134:137], v142 offset:1344
	s_waitcnt lgkmcnt(1)
	v_mul_f64 v[8:9], v[62:63], v[96:97]
	v_fmac_f64_e32 v[8:9], v[64:65], v[100:101]
	v_mul_f64 v[64:65], v[64:65], v[96:97]
	s_waitcnt lgkmcnt(0)
	v_mul_f64 v[16:17], v[134:135], v[122:123]
	v_fmac_f64_e32 v[16:17], v[136:137], v[124:125]
	s_waitcnt vmcnt(12)
	v_pk_mov_b32 v[188:189], v[4:5], v[4:5] op_sel:[0,1]
	v_mul_f64 v[4:5], v[42:43], v[70:71]
	v_fmac_f64_e32 v[4:5], v[44:45], v[88:89]
	v_add_f64 v[2:3], v[2:3], v[4:5]
	v_mul_f64 v[4:5], v[182:183], v[94:95]
	v_fmac_f64_e32 v[4:5], v[184:185], v[98:99]
	v_add_f64 v[2:3], v[2:3], v[4:5]
	;; [unrolled: 3-line block ×14, first 2 shown]
	ds_read_b128 v[2:5], v142 offset:1328
	buffer_load_dword v155, off, s[0:3], 0 offset:604
	buffer_load_dword v154, off, s[0:3], 0 offset:600
	ds_read_b128 v[130:133], v142 offset:1360
	ds_read_b128 v[138:141], v142 offset:1376
	v_add_f64 v[10:11], v[6:7], v[8:9]
	s_waitcnt lgkmcnt(2)
	v_mul_f64 v[12:13], v[2:3], v[14:15]
	v_fmac_f64_e32 v[12:13], v[4:5], v[126:127]
	s_waitcnt lgkmcnt(1)
	v_mul_f64 v[170:171], v[130:131], v[128:129]
	ds_read_b128 v[126:129], v142 offset:1392
	ds_read_b128 v[122:125], v142 offset:1408
	v_add_f64 v[14:15], v[10:11], v[12:13]
	v_accvgpr_write_b32 a173, v5
	v_add_f64 v[162:163], v[14:15], v[16:17]
	v_fmac_f64_e32 v[170:171], v[132:133], v[180:181]
	s_waitcnt lgkmcnt(2)
	v_mul_f64 v[22:23], v[138:139], v[172:173]
	v_accvgpr_write_b32 a172, v4
	v_accvgpr_write_b32 a171, v3
	;; [unrolled: 1-line block ×3, first 2 shown]
	v_add_f64 v[4:5], v[162:163], v[170:171]
	v_fmac_f64_e32 v[22:23], v[140:141], v[174:175]
	v_add_f64 v[4:5], v[4:5], v[22:23]
	s_waitcnt lgkmcnt(1)
	v_mul_f64 v[22:23], v[126:127], v[186:187]
	v_fmac_f64_e32 v[22:23], v[128:129], v[188:189]
	s_waitcnt lgkmcnt(0)
	v_mul_f64 v[160:161], v[122:123], v[176:177]
	v_add_f64 v[4:5], v[4:5], v[22:23]
	ds_read_b128 v[26:29], v142 offset:1424
	v_fmac_f64_e32 v[160:161], v[124:125], v[178:179]
	v_add_f64 v[170:171], v[4:5], v[160:161]
	buffer_load_dword v161, off, s[0:3], 0 offset:596
	buffer_load_dword v160, off, s[0:3], 0 offset:592
	v_mul_f64 v[4:5], v[56:57], v[156:157]
	buffer_load_dword v156, off, s[0:3], 0 offset:632
	buffer_load_dword v22, off, s[0:3], 0 offset:624
	;; [unrolled: 1-line block ×7, first 2 shown]
	v_fma_f64 v[186:187], v[30:31], v[84:85], -v[32:33]
	s_waitcnt vmcnt(21) lgkmcnt(0)
	v_mul_f64 v[30:31], v[26:27], v[0:1]
	buffer_load_dword v23, off, s[0:3], 0 offset:628
	s_waitcnt vmcnt(20)
	v_fmac_f64_e32 v[30:31], v[28:29], v[146:147]
	v_fma_f64 v[86:87], v[54:55], v[86:87], -v[4:5]
	v_add_f64 v[54:55], v[170:171], v[30:31]
	ds_read_b128 v[30:33], v142 offset:1440
	v_fma_f64 v[84:85], v[34:35], v[168:169], -v[36:37]
	ds_read_b128 v[34:37], v142 offset:1456
	ds_read_b128 v[38:41], v142 offset:1472
	buffer_load_dword v167, off, s[0:3], 0 offset:652
	buffer_load_dword v166, off, s[0:3], 0 offset:648
	;; [unrolled: 1-line block ×16, first 2 shown]
	v_mul_f64 v[44:45], v[44:45], v[70:71]
	v_accvgpr_write_b32 a191, v189
	v_fma_f64 v[14:15], v[42:43], v[88:89], -v[44:45]
	v_mul_f64 v[42:43], v[184:185], v[94:95]
	v_accvgpr_write_b32 a190, v188
	v_fma_f64 v[94:95], v[182:183], v[98:99], -v[42:43]
	buffer_load_dword v183, off, s[0:3], 0 offset:716
	buffer_load_dword v182, off, s[0:3], 0 offset:712
	;; [unrolled: 1-line block ×8, first 2 shown]
	v_mul_f64 v[42:43], v[196:197], v[90:91]
	v_mul_f64 v[16:17], v[200:201], v[190:191]
	v_fma_f64 v[10:11], v[194:195], v[92:93], -v[42:43]
	v_fma_f64 v[16:17], v[198:199], v[192:193], -v[16:17]
	buffer_load_dword v191, off, s[0:3], 0 offset:764
	buffer_load_dword v193, off, s[0:3], 0 offset:748
	;; [unrolled: 1-line block ×12, first 2 shown]
	v_mul_f64 v[8:9], v[48:49], v[72:73]
	v_mul_f64 v[42:43], v[208:209], v[202:203]
	v_fma_f64 v[18:19], v[46:47], v[78:79], -v[8:9]
	v_fma_f64 v[8:9], v[206:207], v[204:205], -v[42:43]
	v_mul_f64 v[42:43], v[212:213], v[66:67]
	s_waitcnt vmcnt(54) lgkmcnt(2)
	v_mul_f64 v[56:57], v[30:31], v[148:149]
	v_fma_f64 v[6:7], v[210:211], v[68:69], -v[42:43]
	buffer_load_dword v205, off, s[0:3], 0 offset:796
	buffer_load_dword v204, off, s[0:3], 0 offset:792
	;; [unrolled: 1-line block ×12, first 2 shown]
	ds_read_b128 v[42:45], v142 offset:1488
	s_waitcnt vmcnt(62)
	v_fmac_f64_e32 v[56:57], v[32:33], v[150:151]
	v_mul_f64 v[46:47], v[222:223], v[102:103]
	v_add_f64 v[54:55], v[54:55], v[56:57]
	s_waitcnt lgkmcnt(2)
	v_mul_f64 v[56:57], v[34:35], v[152:153]
	v_fma_f64 v[4:5], v[220:221], v[104:105], -v[46:47]
	ds_read_b128 v[46:49], v142 offset:1504
	s_waitcnt vmcnt(60)
	v_fmac_f64_e32 v[56:57], v[36:37], v[228:229]
	v_add_f64 v[54:55], v[54:55], v[56:57]
	v_fma_f64 v[236:237], v[224:225], v[238:239], -v[50:51]
	ds_read_b128 v[50:53], v142 offset:1520
	ds_read_b128 v[220:223], v142 offset:1552
	v_mul_f64 v[66:67], v[242:243], v[218:219]
	ds_read_b128 v[224:227], v142 offset:1568
	v_fma_f64 v[240:241], v[240:241], v[230:231], -v[66:67]
	v_mul_f64 v[68:69], v[246:247], v[232:233]
	s_waitcnt vmcnt(58) lgkmcnt(5)
	v_mul_f64 v[12:13], v[38:39], v[154:155]
	v_fma_f64 v[246:247], v[244:245], v[234:235], -v[68:69]
	v_mul_f64 v[70:71], v[250:251], v[114:115]
	v_fma_f64 v[248:249], v[248:249], v[116:117], -v[70:71]
	ds_read_b128 v[70:73], v142 offset:1600
	v_mul_f64 v[90:91], v[120:121], v[106:107]
	v_fma_f64 v[2:3], v[118:119], v[110:111], -v[90:91]
	ds_read_b128 v[118:121], v142 offset:1648
	v_mul_f64 v[60:61], v[60:61], v[108:109]
	v_fma_f64 v[58:59], v[58:59], v[112:113], -v[60:61]
	v_accvgpr_write_b32 a197, v59
	v_accvgpr_write_b32 a196, v58
	ds_read_b128 v[58:61], v142 offset:1680
	v_add_f64 v[24:25], v[24:25], v[86:87]
	v_add_f64 v[24:25], v[24:25], v[186:187]
	;; [unrolled: 1-line block ×14, first 2 shown]
	s_waitcnt vmcnt(56)
	v_fmac_f64_e32 v[12:13], v[40:41], v[160:161]
	v_add_f64 v[12:13], v[54:55], v[12:13]
	s_waitcnt vmcnt(52) lgkmcnt(7)
	v_mul_f64 v[54:55], v[42:43], v[162:163]
	s_waitcnt vmcnt(50)
	v_fmac_f64_e32 v[54:55], v[44:45], v[164:165]
	v_add_f64 v[12:13], v[12:13], v[54:55]
	s_waitcnt vmcnt(49) lgkmcnt(6)
	v_mul_f64 v[54:55], v[46:47], v[156:157]
	s_waitcnt vmcnt(48)
	v_fmac_f64_e32 v[54:55], v[48:49], v[22:23]
	v_add_f64 v[12:13], v[12:13], v[54:55]
	v_add_f64 v[4:5], v[4:5], v[240:241]
	;; [unrolled: 1-line block ×4, first 2 shown]
	v_accvgpr_read_b32 v6, a170
	s_waitcnt vmcnt(46) lgkmcnt(5)
	v_mul_f64 v[54:55], v[50:51], v[166:167]
	v_accvgpr_read_b32 v8, a172
	s_waitcnt vmcnt(44)
	v_fmac_f64_e32 v[54:55], v[52:53], v[168:169]
	v_add_f64 v[12:13], v[12:13], v[54:55]
	ds_read_b128 v[54:57], v142 offset:1536
	v_accvgpr_read_b32 v9, a173
	v_accvgpr_read_b32 v7, a171
	s_waitcnt vmcnt(42) lgkmcnt(0)
	v_mul_f64 v[66:67], v[54:55], v[172:173]
	s_waitcnt vmcnt(40)
	v_fmac_f64_e32 v[66:67], v[56:57], v[174:175]
	v_add_f64 v[12:13], v[12:13], v[66:67]
	s_waitcnt vmcnt(36)
	v_mul_f64 v[66:67], v[220:221], v[178:179]
	s_waitcnt vmcnt(34)
	v_fmac_f64_e32 v[66:67], v[222:223], v[180:181]
	v_add_f64 v[12:13], v[12:13], v[66:67]
	v_mul_f64 v[66:67], v[224:225], v[170:171]
	s_waitcnt vmcnt(32)
	v_fmac_f64_e32 v[66:67], v[226:227], v[176:177]
	v_add_f64 v[12:13], v[12:13], v[66:67]
	ds_read_b128 v[66:69], v142 offset:1584
	s_waitcnt vmcnt(25)
	v_mul_f64 v[78:79], v[70:71], v[184:185]
	s_waitcnt vmcnt(24)
	v_fmac_f64_e32 v[78:79], v[72:73], v[88:89]
	s_waitcnt lgkmcnt(0)
	v_mul_f64 v[74:75], v[66:67], v[182:183]
	v_fmac_f64_e32 v[74:75], v[68:69], v[188:189]
	v_add_f64 v[12:13], v[12:13], v[74:75]
	v_mul_f64 v[74:75], v[254:255], v[214:215]
	v_fma_f64 v[254:255], v[252:253], v[216:217], -v[74:75]
	ds_read_b128 v[74:77], v142 offset:1616
	v_add_f64 v[12:13], v[12:13], v[78:79]
	ds_read_b128 v[78:81], v142 offset:1632
	v_fma_f64 v[252:253], v[62:63], v[100:101], -v[64:65]
	ds_read_b128 v[62:65], v142 offset:1696
	s_waitcnt vmcnt(21) lgkmcnt(2)
	v_mul_f64 v[90:91], v[74:75], v[192:193]
	s_waitcnt vmcnt(19)
	v_fmac_f64_e32 v[90:91], v[76:77], v[198:199]
	v_add_f64 v[12:13], v[12:13], v[90:91]
	s_waitcnt vmcnt(18) lgkmcnt(1)
	v_mul_f64 v[90:91], v[78:79], v[190:191]
	s_waitcnt vmcnt(16)
	v_fmac_f64_e32 v[90:91], v[80:81], v[196:197]
	v_add_f64 v[12:13], v[12:13], v[90:91]
	ds_read_b128 v[90:93], v142 offset:1664
	s_waitcnt vmcnt(14)
	v_mul_f64 v[98:99], v[118:119], v[194:195]
	buffer_load_dword v215, off, s[0:3], 0 offset:844
	buffer_load_dword v214, off, s[0:3], 0 offset:840
	;; [unrolled: 1-line block ×4, first 2 shown]
	s_waitcnt vmcnt(16)
	v_fmac_f64_e32 v[98:99], v[120:121], v[200:201]
	v_add_f64 v[12:13], v[12:13], v[98:99]
	ds_read_b128 v[98:101], v142 offset:1712
	buffer_load_dword v218, off, s[0:3], 0 offset:856
	buffer_load_dword v219, off, s[0:3], 0 offset:860
	;; [unrolled: 1-line block ×4, first 2 shown]
	ds_read_b128 v[102:105], v142 offset:1728
	buffer_load_dword v233, off, s[0:3], 0 offset:876
	buffer_load_dword v232, off, s[0:3], 0 offset:872
	;; [unrolled: 1-line block ×4, first 2 shown]
	s_waitcnt vmcnt(22) lgkmcnt(2)
	v_mul_f64 v[96:97], v[90:91], v[204:205]
	s_waitcnt vmcnt(20)
	v_fmac_f64_e32 v[96:97], v[92:93], v[206:207]
	v_add_f64 v[12:13], v[12:13], v[96:97]
	s_waitcnt vmcnt(17)
	v_mul_f64 v[96:97], v[58:59], v[210:211]
	s_waitcnt vmcnt(15)
	v_fmac_f64_e32 v[96:97], v[60:61], v[212:213]
	v_add_f64 v[12:13], v[12:13], v[96:97]
	s_waitcnt vmcnt(13)
	v_mul_f64 v[96:97], v[62:63], v[202:203]
	s_waitcnt vmcnt(12)
	v_fmac_f64_e32 v[96:97], v[64:65], v[208:209]
	ds_read_b128 v[106:109], v142 offset:1744
	v_add_f64 v[12:13], v[12:13], v[96:97]
	v_add_f64 v[4:5], v[4:5], v[254:255]
	;; [unrolled: 1-line block ×3, first 2 shown]
	v_accvgpr_read_b32 v2, a196
	v_accvgpr_read_b32 v3, a197
	v_mul_f64 v[4:5], v[8:9], v[144:145]
	v_accvgpr_read_b32 v8, a174
	v_add_f64 v[2:3], v[254:255], v[2:3]
	v_accvgpr_read_b32 v9, a175
	v_add_f64 v[2:3], v[2:3], v[252:253]
	v_fma_f64 v[4:5], v[6:7], v[8:9], -v[4:5]
	v_add_f64 v[2:3], v[2:3], v[4:5]
	v_accvgpr_read_b32 v4, a176
	v_accvgpr_read_b32 v5, a177
	v_accvgpr_read_b32 v6, a178
	v_mul_f64 v[4:5], v[136:137], v[4:5]
	v_accvgpr_read_b32 v7, a179
	v_fma_f64 v[4:5], v[134:135], v[6:7], -v[4:5]
	v_add_f64 v[2:3], v[2:3], v[4:5]
	v_accvgpr_read_b32 v4, a180
	v_accvgpr_read_b32 v5, a181
	v_accvgpr_read_b32 v6, a182
	v_mul_f64 v[4:5], v[132:133], v[4:5]
	v_accvgpr_read_b32 v7, a183
	;; [unrolled: 7-line block ×5, first 2 shown]
	v_fma_f64 v[4:5], v[122:123], v[6:7], -v[4:5]
	v_add_f64 v[2:3], v[2:3], v[4:5]
	v_mul_f64 v[4:5], v[28:29], v[0:1]
	v_fma_f64 v[4:5], v[26:27], v[146:147], -v[4:5]
	v_add_f64 v[2:3], v[2:3], v[4:5]
	v_mul_f64 v[4:5], v[32:33], v[148:149]
	;; [unrolled: 3-line block ×5, first 2 shown]
	v_fma_f64 v[4:5], v[42:43], v[164:165], -v[4:5]
	v_add_f64 v[2:3], v[2:3], v[4:5]
	s_waitcnt vmcnt(10) lgkmcnt(2)
	v_mul_f64 v[96:97], v[98:99], v[214:215]
	v_mul_f64 v[4:5], v[48:49], v[156:157]
	s_waitcnt vmcnt(8)
	v_fmac_f64_e32 v[96:97], v[100:101], v[216:217]
	v_add_f64 v[12:13], v[12:13], v[96:97]
	s_waitcnt vmcnt(6) lgkmcnt(1)
	v_mul_f64 v[96:97], v[102:103], v[218:219]
	v_fma_f64 v[4:5], v[46:47], v[22:23], -v[4:5]
	s_waitcnt vmcnt(4)
	v_fmac_f64_e32 v[96:97], v[104:105], v[230:231]
	v_add_f64 v[12:13], v[12:13], v[96:97]
	s_waitcnt vmcnt(2) lgkmcnt(0)
	v_mul_f64 v[96:97], v[106:107], v[232:233]
	s_waitcnt vmcnt(0)
	v_fmac_f64_e32 v[96:97], v[108:109], v[234:235]
	v_add_f64 v[96:97], v[12:13], v[96:97]
	buffer_load_dword v12, off, s[0:3], 0 offset:888
	buffer_load_dword v13, off, s[0:3], 0 offset:892
	;; [unrolled: 1-line block ×4, first 2 shown]
	ds_read_b128 v[110:113], v142 offset:1760
	buffer_load_dword v243, off, s[0:3], 0 offset:908
	buffer_load_dword v242, off, s[0:3], 0 offset:904
	;; [unrolled: 1-line block ×4, first 2 shown]
	v_add_f64 v[2:3], v[2:3], v[4:5]
	v_mul_f64 v[4:5], v[52:53], v[166:167]
	v_fma_f64 v[4:5], v[50:51], v[168:169], -v[4:5]
	v_add_f64 v[2:3], v[2:3], v[4:5]
	v_mul_f64 v[4:5], v[56:57], v[172:173]
	v_fma_f64 v[4:5], v[54:55], v[174:175], -v[4:5]
	;; [unrolled: 3-line block ×15, first 2 shown]
	v_add_f64 v[2:3], v[2:3], v[4:5]
	v_accvgpr_read_b32 v0, a168
	v_cmp_lt_u32_e32 vcc, 2, v0
	s_waitcnt vmcnt(6) lgkmcnt(0)
	v_mul_f64 v[114:115], v[110:111], v[12:13]
	v_mul_f64 v[4:5], v[112:113], v[12:13]
	s_waitcnt vmcnt(4)
	v_fmac_f64_e32 v[114:115], v[112:113], v[238:239]
	v_add_f64 v[96:97], v[96:97], v[114:115]
	ds_read_b128 v[114:117], v142 offset:1776
	buffer_load_dword v248, off, s[0:3], 0 offset:64
	buffer_load_dword v249, off, s[0:3], 0 offset:68
	;; [unrolled: 1-line block ×4, first 2 shown]
	v_fma_f64 v[4:5], v[110:111], v[238:239], -v[4:5]
	v_add_f64 v[2:3], v[2:3], v[4:5]
	s_waitcnt vmcnt(6) lgkmcnt(0)
	v_mul_f64 v[4:5], v[116:117], v[242:243]
	v_mul_f64 v[250:251], v[114:115], v[242:243]
	s_waitcnt vmcnt(4)
	v_fma_f64 v[4:5], v[114:115], v[244:245], -v[4:5]
	v_fmac_f64_e32 v[250:251], v[116:117], v[244:245]
	v_add_f64 v[2:3], v[2:3], v[4:5]
	v_add_f64 v[96:97], v[96:97], v[250:251]
	s_waitcnt vmcnt(2)
	v_add_f64 v[2:3], v[248:249], -v[2:3]
	s_waitcnt vmcnt(0)
	v_add_f64 v[4:5], v[246:247], -v[96:97]
	buffer_store_dword v3, off, s[0:3], 0 offset:68
	buffer_store_dword v2, off, s[0:3], 0 offset:64
	;; [unrolled: 1-line block ×4, first 2 shown]
	s_and_saveexec_b64 s[4:5], vcc
	s_cbranch_execz .LBB119_345
; %bb.344:
	v_accvgpr_read_b32 v1, a165
	buffer_load_dword v2, v1, s[0:3], 0 offen
	buffer_load_dword v3, v1, s[0:3], 0 offen offset:4
	buffer_load_dword v4, v1, s[0:3], 0 offen offset:8
	buffer_load_dword v5, v1, s[0:3], 0 offen offset:12
	v_mov_b32_e32 v1, 0
	v_accvgpr_read_b32 v6, a167
	buffer_store_dword v1, off, s[0:3], 0 offset:48
	buffer_store_dword v1, off, s[0:3], 0 offset:52
	;; [unrolled: 1-line block ×4, first 2 shown]
	s_waitcnt vmcnt(4)
	ds_write_b128 v6, v[2:5]
.LBB119_345:
	s_or_b64 exec, exec, s[4:5]
	s_waitcnt lgkmcnt(0)
	; wave barrier
	s_waitcnt lgkmcnt(0)
	buffer_load_dword v248, off, s[0:3], 0 offset:64
	buffer_load_dword v249, off, s[0:3], 0 offset:68
	;; [unrolled: 1-line block ×36, first 2 shown]
	v_mov_b32_e32 v1, 0
	buffer_load_dword v55, off, s[0:3], 0 offset:236
	buffer_load_dword v54, off, s[0:3], 0 offset:232
	;; [unrolled: 1-line block ×18, first 2 shown]
	ds_read_b128 v[22:25], v1 offset:944
	ds_read_b128 v[110:113], v1 offset:960
	;; [unrolled: 1-line block ×9, first 2 shown]
	v_cmp_lt_u32_e32 vcc, 1, v0
	s_waitcnt vmcnt(50) lgkmcnt(8)
	v_mul_f64 v[2:3], v[22:23], v[16:17]
	v_fmac_f64_e32 v[2:3], v[24:25], v[248:249]
	v_add_f64 v[2:3], v[2:3], 0
	v_mul_f64 v[16:17], v[24:25], v[16:17]
	s_waitcnt vmcnt(46) lgkmcnt(7)
	v_mul_f64 v[4:5], v[110:111], v[20:21]
	v_fmac_f64_e32 v[4:5], v[112:113], v[156:157]
	s_waitcnt vmcnt(44) lgkmcnt(6)
	v_mul_f64 v[6:7], v[114:115], v[26:27]
	v_add_f64 v[2:3], v[2:3], v[4:5]
	s_waitcnt vmcnt(42) lgkmcnt(4)
	v_mul_f64 v[10:11], v[164:165], v[30:31]
	v_fma_f64 v[248:249], v[22:23], v[248:249], -v[16:17]
	s_waitcnt vmcnt(40)
	v_fmac_f64_e32 v[10:11], v[166:167], v[32:33]
	v_mul_f64 v[20:21], v[112:113], v[20:21]
	s_waitcnt vmcnt(38)
	v_mul_f64 v[8:9], v[160:161], v[28:29]
	v_fma_f64 v[250:251], v[110:111], v[156:157], -v[20:21]
	s_waitcnt vmcnt(36) lgkmcnt(2)
	v_mul_f64 v[68:69], v[172:173], v[44:45]
	v_mul_f64 v[26:27], v[116:117], v[26:27]
	s_waitcnt vmcnt(34)
	v_fmac_f64_e32 v[68:69], v[174:175], v[46:47]
	v_mul_f64 v[28:29], v[162:163], v[28:29]
	s_waitcnt vmcnt(32)
	v_mul_f64 v[12:13], v[168:169], v[34:35]
	v_mul_f64 v[30:31], v[166:167], v[30:31]
	s_waitcnt vmcnt(30) lgkmcnt(1)
	v_mul_f64 v[138:139], v[176:177], v[42:43]
	v_mul_f64 v[34:35], v[170:171], v[34:35]
	s_waitcnt vmcnt(28)
	v_fmac_f64_e32 v[6:7], v[116:117], v[252:253]
	v_add_f64 v[2:3], v[2:3], v[6:7]
	s_waitcnt vmcnt(26)
	v_fmac_f64_e32 v[8:9], v[162:163], v[38:39]
	v_add_f64 v[2:3], v[2:3], v[8:9]
	;; [unrolled: 3-line block ×3, first 2 shown]
	v_add_f64 v[2:3], v[2:3], v[12:13]
	v_add_f64 v[2:3], v[2:3], v[68:69]
	buffer_load_dword v109, off, s[0:3], 0 offset:292
	buffer_load_dword v108, off, s[0:3], 0 offset:288
	;; [unrolled: 1-line block ×40, first 2 shown]
	s_waitcnt vmcnt(62)
	v_fmac_f64_e32 v[138:139], v[178:179], v[50:51]
	v_add_f64 v[2:3], v[2:3], v[138:139]
	v_fma_f64 v[252:253], v[114:115], v[252:253], -v[26:27]
	v_fma_f64 v[254:255], v[160:161], v[38:39], -v[28:29]
	;; [unrolled: 1-line block ×3, first 2 shown]
	v_mul_f64 v[42:43], v[178:179], v[42:43]
	v_fma_f64 v[114:115], v[176:177], v[50:51], -v[42:43]
	s_waitcnt vmcnt(58) lgkmcnt(0)
	v_mul_f64 v[42:43], v[182:183], v[48:49]
	v_fma_f64 v[116:117], v[180:181], v[52:53], -v[42:43]
	s_waitcnt vmcnt(0)
	v_pk_mov_b32 v[130:131], v[4:5], v[4:5] op_sel:[0,1]
	buffer_load_dword v5, off, s[0:3], 0 offset:452
	buffer_load_dword v4, off, s[0:3], 0 offset:448
	v_accvgpr_write_b32 a169, v131
	v_accvgpr_write_b32 a168, v130
	s_waitcnt vmcnt(0)
	v_pk_mov_b32 v[8:9], v[4:5], v[4:5] op_sel:[0,1]
	buffer_load_dword v91, off, s[0:3], 0 offset:444
	buffer_load_dword v90, off, s[0:3], 0 offset:440
	;; [unrolled: 1-line block ×6, first 2 shown]
	v_accvgpr_write_b32 a171, v9
	v_accvgpr_write_b32 a170, v8
	s_waitcnt vmcnt(0)
	v_pk_mov_b32 v[118:119], v[4:5], v[4:5] op_sel:[0,1]
	buffer_load_dword v5, off, s[0:3], 0 offset:484
	buffer_load_dword v4, off, s[0:3], 0 offset:480
	v_accvgpr_write_b32 a177, v119
	v_accvgpr_write_b32 a176, v118
	s_waitcnt vmcnt(0)
	v_pk_mov_b32 v[120:121], v[4:5], v[4:5] op_sel:[0,1]
	buffer_load_dword v5, off, s[0:3], 0 offset:476
	buffer_load_dword v4, off, s[0:3], 0 offset:472
	v_accvgpr_write_b32 a179, v121
	v_accvgpr_write_b32 a178, v120
	s_waitcnt vmcnt(0)
	v_pk_mov_b32 v[122:123], v[4:5], v[4:5] op_sel:[0,1]
	buffer_load_dword v5, off, s[0:3], 0 offset:468
	buffer_load_dword v4, off, s[0:3], 0 offset:464
	v_accvgpr_write_b32 a173, v123
	v_accvgpr_write_b32 a172, v122
	s_waitcnt vmcnt(0)
	v_pk_mov_b32 v[124:125], v[4:5], v[4:5] op_sel:[0,1]
	buffer_load_dword v5, off, s[0:3], 0 offset:524
	buffer_load_dword v4, off, s[0:3], 0 offset:520
	v_accvgpr_write_b32 a175, v125
	v_accvgpr_write_b32 a174, v124
	s_waitcnt vmcnt(0)
	v_pk_mov_b32 v[134:135], v[4:5], v[4:5] op_sel:[0,1]
	buffer_load_dword v5, off, s[0:3], 0 offset:516
	buffer_load_dword v4, off, s[0:3], 0 offset:512
	v_accvgpr_write_b32 a185, v135
	v_accvgpr_write_b32 a184, v134
	s_waitcnt vmcnt(0)
	v_pk_mov_b32 v[158:159], v[4:5], v[4:5] op_sel:[0,1]
	buffer_load_dword v5, off, s[0:3], 0 offset:508
	buffer_load_dword v4, off, s[0:3], 0 offset:504
	v_accvgpr_write_b32 a187, v159
	v_accvgpr_write_b32 a186, v158
	s_waitcnt vmcnt(0)
	v_pk_mov_b32 v[126:127], v[4:5], v[4:5] op_sel:[0,1]
	buffer_load_dword v5, off, s[0:3], 0 offset:500
	buffer_load_dword v4, off, s[0:3], 0 offset:496
	ds_read_b128 v[184:187], v1 offset:1088
	ds_read_b128 v[188:191], v1 offset:1104
	;; [unrolled: 1-line block ×9, first 2 shown]
	buffer_load_dword v19, off, s[0:3], 0 offset:540
	buffer_load_dword v18, off, s[0:3], 0 offset:536
	;; [unrolled: 1-line block ×4, first 2 shown]
	ds_read_b128 v[222:225], v1 offset:1232
	buffer_load_dword v41, off, s[0:3], 0 offset:556
	buffer_load_dword v40, off, s[0:3], 0 offset:552
	;; [unrolled: 1-line block ×12, first 2 shown]
	ds_read_b128 v[226:229], v1 offset:1248
	ds_read_b128 v[230:233], v1 offset:1264
	;; [unrolled: 1-line block ×7, first 2 shown]
	v_accvgpr_write_b32 a181, v127
	v_accvgpr_write_b32 a180, v126
	s_waitcnt lgkmcnt(2)
	v_mul_f64 v[12:13], v[242:243], v[90:91]
	v_fmac_f64_e32 v[12:13], v[244:245], v[92:93]
	v_mul_f64 v[42:43], v[186:187], v[58:59]
	v_mul_f64 v[16:17], v[212:213], v[104:105]
	v_fma_f64 v[16:17], v[210:211], v[106:107], -v[16:17]
	v_mul_f64 v[50:51], v[216:217], v[84:85]
	v_mul_f64 v[90:91], v[244:245], v[90:91]
	v_fma_f64 v[90:91], v[242:243], v[92:93], -v[90:91]
	v_accvgpr_write_b32 a197, v91
	v_accvgpr_write_b32 a196, v90
	s_waitcnt vmcnt(16)
	v_pk_mov_b32 v[128:129], v[4:5], v[4:5] op_sel:[0,1]
	v_mul_f64 v[4:5], v[180:181], v[48:49]
	v_fmac_f64_e32 v[4:5], v[182:183], v[52:53]
	v_add_f64 v[2:3], v[2:3], v[4:5]
	v_mul_f64 v[4:5], v[184:185], v[58:59]
	v_fmac_f64_e32 v[4:5], v[186:187], v[60:61]
	v_add_f64 v[2:3], v[2:3], v[4:5]
	;; [unrolled: 3-line block ×15, first 2 shown]
	v_add_f64 v[10:11], v[10:11], v[12:13]
	s_waitcnt lgkmcnt(1)
	v_mul_f64 v[12:13], v[142:143], v[130:131]
	ds_read_b128 v[130:133], v1 offset:1360
	v_fmac_f64_e32 v[12:13], v[144:145], v[8:9]
	v_add_f64 v[10:11], v[10:11], v[12:13]
	s_waitcnt lgkmcnt(1)
	v_mul_f64 v[12:13], v[146:147], v[122:123]
	v_fmac_f64_e32 v[12:13], v[148:149], v[124:125]
	s_waitcnt lgkmcnt(0)
	v_mul_f64 v[22:23], v[130:131], v[118:119]
	v_add_f64 v[154:155], v[10:11], v[12:13]
	ds_read_b128 v[122:125], v1 offset:1376
	v_fmac_f64_e32 v[22:23], v[132:133], v[120:121]
	v_add_f64 v[22:23], v[154:155], v[22:23]
	ds_read_b128 v[154:157], v1 offset:1392
	v_accvgpr_write_b32 a183, v129
	s_waitcnt lgkmcnt(1)
	v_mul_f64 v[24:25], v[122:123], v[126:127]
	v_fmac_f64_e32 v[24:25], v[124:125], v[128:129]
	v_accvgpr_write_b32 a182, v128
	ds_read_b128 v[126:129], v1 offset:1408
	s_waitcnt lgkmcnt(1)
	v_mul_f64 v[26:27], v[154:155], v[134:135]
	v_fmac_f64_e32 v[26:27], v[156:157], v[158:159]
	buffer_load_dword v159, off, s[0:3], 0 offset:604
	buffer_load_dword v158, off, s[0:3], 0 offset:600
	;; [unrolled: 1-line block ×7, first 2 shown]
	ds_read_b128 v[118:121], v1 offset:1424
	v_add_f64 v[110:111], v[22:23], v[24:25]
	buffer_load_dword v139, off, s[0:3], 0 offset:612
	v_fma_f64 v[24:25], v[164:165], v[32:33], -v[30:31]
	ds_read_b128 v[30:33], v1 offset:1440
	s_waitcnt vmcnt(22) lgkmcnt(2)
	v_mul_f64 v[28:29], v[126:127], v[18:19]
	ds_read_b128 v[34:37], v1 offset:1456
	v_add_f64 v[26:27], v[110:111], v[26:27]
	s_waitcnt vmcnt(20)
	v_fmac_f64_e32 v[28:29], v[128:129], v[14:15]
	s_waitcnt vmcnt(18) lgkmcnt(2)
	v_mul_f64 v[4:5], v[118:119], v[40:41]
	v_add_f64 v[38:39], v[26:27], v[28:29]
	s_waitcnt vmcnt(16)
	v_fmac_f64_e32 v[4:5], v[120:121], v[140:141]
	v_add_f64 v[4:5], v[38:39], v[4:5]
	s_waitcnt vmcnt(13) lgkmcnt(1)
	v_mul_f64 v[38:39], v[30:31], v[6:7]
	s_waitcnt vmcnt(11)
	v_fmac_f64_e32 v[38:39], v[32:33], v[152:153]
	v_add_f64 v[4:5], v[4:5], v[38:39]
	s_waitcnt vmcnt(10) lgkmcnt(0)
	v_mul_f64 v[38:39], v[34:35], v[136:137]
	v_accvgpr_write_b32 a193, v41
	s_waitcnt vmcnt(8)
	v_fmac_f64_e32 v[38:39], v[36:37], v[150:151]
	v_accvgpr_write_b32 a192, v40
	v_add_f64 v[110:111], v[4:5], v[38:39]
	ds_read_b128 v[38:41], v1 offset:1472
	buffer_load_dword v27, off, s[0:3], 0 offset:636
	buffer_load_dword v26, off, s[0:3], 0 offset:632
	;; [unrolled: 1-line block ×9, first 2 shown]
	v_mul_f64 v[4:5], v[174:175], v[44:45]
	v_fma_f64 v[112:113], v[172:173], v[46:47], -v[4:5]
	buffer_load_dword v175, off, s[0:3], 0 offset:668
	buffer_load_dword v174, off, s[0:3], 0 offset:664
	;; [unrolled: 1-line block ×8, first 2 shown]
	v_fma_f64 v[22:23], v[184:185], v[60:61], -v[42:43]
	buffer_load_dword v183, off, s[0:3], 0 offset:700
	buffer_load_dword v182, off, s[0:3], 0 offset:696
	;; [unrolled: 1-line block ×7, first 2 shown]
	v_mul_f64 v[42:43], v[190:191], v[54:55]
	v_fma_f64 v[20:21], v[188:189], v[56:57], -v[42:43]
	buffer_load_dword v187, off, s[0:3], 0 offset:732
	buffer_load_dword v186, off, s[0:3], 0 offset:728
	;; [unrolled: 1-line block ×4, first 2 shown]
	v_accvgpr_write_b32 a189, v19
	v_accvgpr_write_b32 a191, v15
	v_mul_f64 v[42:43], v[194:195], v[96:97]
	v_mul_f64 v[12:13], v[198:199], v[64:65]
	v_accvgpr_write_b32 a188, v18
	v_accvgpr_write_b32 a190, v14
	v_fma_f64 v[18:19], v[192:193], v[98:99], -v[42:43]
	v_fma_f64 v[14:15], v[196:197], v[66:67], -v[12:13]
	buffer_load_dword v191, off, s[0:3], 0 offset:748
	buffer_load_dword v190, off, s[0:3], 0 offset:744
	;; [unrolled: 1-line block ×8, first 2 shown]
	v_mul_f64 v[42:43], v[202:203], v[208:209]
	v_fma_f64 v[246:247], v[200:201], v[246:247], -v[42:43]
	buffer_load_dword v201, off, s[0:3], 0 offset:780
	buffer_load_dword v200, off, s[0:3], 0 offset:776
	;; [unrolled: 1-line block ×4, first 2 shown]
	v_mul_f64 v[42:43], v[206:207], v[62:63]
	v_fma_f64 v[12:13], v[204:205], v[108:109], -v[42:43]
	buffer_load_dword v198, off, s[0:3], 0 offset:808
	buffer_load_dword v207, off, s[0:3], 0 offset:796
	;; [unrolled: 1-line block ×8, first 2 shown]
	ds_read_b128 v[42:45], v1 offset:1488
	buffer_load_dword v211, off, s[0:3], 0 offset:828
	buffer_load_dword v210, off, s[0:3], 0 offset:824
	buffer_load_dword v213, off, s[0:3], 0 offset:820
	buffer_load_dword v212, off, s[0:3], 0 offset:816
	v_fma_f64 v[214:215], v[214:215], v[94:95], -v[50:51]
	ds_read_b128 v[50:53], v1 offset:1520
	v_mul_f64 v[62:63], v[224:225], v[68:69]
	v_fma_f64 v[8:9], v[222:223], v[70:71], -v[62:63]
	ds_read_b128 v[62:65], v1 offset:1568
	v_accvgpr_write_b32 a195, v7
	v_accvgpr_write_b32 a194, v6
	v_mul_f64 v[74:75], v[232:233], v[74:75]
	v_fma_f64 v[4:5], v[230:231], v[76:77], -v[74:75]
	v_mul_f64 v[78:79], v[236:237], v[78:79]
	v_fma_f64 v[2:3], v[234:235], v[80:81], -v[78:79]
	ds_read_b128 v[78:81], v1 offset:1632
	v_mul_f64 v[86:87], v[240:241], v[86:87]
	ds_read_b128 v[74:77], v1 offset:1616
	ds_read_b128 v[90:93], v1 offset:1680
	s_waitcnt vmcnt(58) lgkmcnt(6)
	v_mul_f64 v[46:47], v[38:39], v[158:159]
	s_waitcnt vmcnt(54)
	v_fmac_f64_e32 v[46:47], v[40:41], v[160:161]
	s_waitcnt vmcnt(53) lgkmcnt(5)
	v_mul_f64 v[48:49], v[42:43], v[134:135]
	v_add_f64 v[46:47], v[110:111], v[46:47]
	s_waitcnt vmcnt(52)
	v_fmac_f64_e32 v[48:49], v[44:45], v[138:139]
	v_add_f64 v[54:55], v[46:47], v[48:49]
	ds_read_b128 v[46:49], v1 offset:1504
	s_waitcnt vmcnt(50) lgkmcnt(0)
	v_mul_f64 v[56:57], v[46:47], v[26:27]
	s_waitcnt vmcnt(48)
	v_fmac_f64_e32 v[56:57], v[48:49], v[168:169]
	v_add_f64 v[58:59], v[54:55], v[56:57]
	v_mul_f64 v[54:55], v[220:221], v[100:101]
	v_fma_f64 v[10:11], v[218:219], v[102:103], -v[54:55]
	ds_read_b128 v[54:57], v1 offset:1536
	s_waitcnt vmcnt(46)
	v_mul_f64 v[60:61], v[50:51], v[166:167]
	s_waitcnt vmcnt(44)
	v_fmac_f64_e32 v[60:61], v[52:53], v[170:171]
	v_add_f64 v[66:67], v[58:59], v[60:61]
	ds_read_b128 v[58:61], v1 offset:1552
	s_waitcnt vmcnt(41) lgkmcnt(1)
	v_mul_f64 v[68:69], v[54:55], v[174:175]
	s_waitcnt vmcnt(39)
	v_fmac_f64_e32 v[68:69], v[56:57], v[178:179]
	v_add_f64 v[70:71], v[66:67], v[68:69]
	v_mul_f64 v[66:67], v[228:229], v[72:73]
	v_fma_f64 v[6:7], v[226:227], v[82:83], -v[66:67]
	ds_read_b128 v[66:69], v1 offset:1584
	s_waitcnt vmcnt(38) lgkmcnt(1)
	v_mul_f64 v[84:85], v[58:59], v[164:165]
	s_waitcnt vmcnt(36)
	v_fmac_f64_e32 v[84:85], v[60:61], v[176:177]
	s_waitcnt vmcnt(33)
	v_mul_f64 v[72:73], v[62:63], v[182:183]
	v_add_f64 v[70:71], v[70:71], v[84:85]
	s_waitcnt vmcnt(31)
	v_fmac_f64_e32 v[72:73], v[64:65], v[184:185]
	v_add_f64 v[70:71], v[70:71], v[72:73]
	s_waitcnt vmcnt(29) lgkmcnt(0)
	v_mul_f64 v[72:73], v[66:67], v[172:173]
	s_waitcnt vmcnt(28)
	v_fmac_f64_e32 v[72:73], v[68:69], v[180:181]
	v_add_f64 v[82:83], v[70:71], v[72:73]
	ds_read_b128 v[70:73], v1 offset:1600
	v_fma_f64 v[228:229], v[238:239], v[88:89], -v[86:87]
	ds_read_b128 v[86:89], v1 offset:1664
	s_waitcnt vmcnt(26) lgkmcnt(1)
	v_mul_f64 v[84:85], v[70:71], v[186:187]
	s_waitcnt vmcnt(24)
	v_fmac_f64_e32 v[84:85], v[72:73], v[188:189]
	v_add_f64 v[28:29], v[82:83], v[84:85]
	s_waitcnt vmcnt(22)
	v_mul_f64 v[82:83], v[74:75], v[190:191]
	s_waitcnt vmcnt(20)
	v_fmac_f64_e32 v[82:83], v[76:77], v[194:195]
	v_add_f64 v[28:29], v[28:29], v[82:83]
	s_waitcnt vmcnt(18)
	v_mul_f64 v[82:83], v[78:79], v[192:193]
	s_waitcnt vmcnt(16)
	v_fmac_f64_e32 v[82:83], v[80:81], v[196:197]
	v_add_f64 v[28:29], v[28:29], v[82:83]
	ds_read_b128 v[82:85], v1 offset:1648
	s_waitcnt vmcnt(14) lgkmcnt(0)
	v_mul_f64 v[94:95], v[82:83], v[200:201]
	s_waitcnt vmcnt(12)
	v_fmac_f64_e32 v[94:95], v[84:85], v[202:203]
	v_add_f64 v[28:29], v[28:29], v[94:95]
	s_waitcnt vmcnt(9)
	v_mul_f64 v[94:95], v[86:87], v[206:207]
	s_waitcnt vmcnt(7)
	v_fmac_f64_e32 v[94:95], v[88:89], v[208:209]
	v_add_f64 v[28:29], v[28:29], v[94:95]
	s_waitcnt vmcnt(5)
	v_mul_f64 v[94:95], v[90:91], v[198:199]
	s_waitcnt vmcnt(4)
	v_fmac_f64_e32 v[94:95], v[92:93], v[204:205]
	v_add_f64 v[28:29], v[28:29], v[94:95]
	ds_read_b128 v[94:97], v1 offset:1696
	s_waitcnt vmcnt(2) lgkmcnt(0)
	v_mul_f64 v[98:99], v[94:95], v[210:211]
	s_waitcnt vmcnt(0)
	v_fmac_f64_e32 v[98:99], v[96:97], v[212:213]
	v_add_f64 v[102:103], v[28:29], v[98:99]
	buffer_load_dword v28, off, s[0:3], 0 offset:840
	buffer_load_dword v29, off, s[0:3], 0 offset:844
	;; [unrolled: 1-line block ×4, first 2 shown]
	ds_read_b128 v[98:101], v1 offset:1712
	buffer_load_dword v231, off, s[0:3], 0 offset:860
	buffer_load_dword v230, off, s[0:3], 0 offset:856
	buffer_load_dword v233, off, s[0:3], 0 offset:852
	buffer_load_dword v232, off, s[0:3], 0 offset:848
	s_waitcnt vmcnt(6) lgkmcnt(0)
	v_mul_f64 v[104:105], v[98:99], v[28:29]
	s_waitcnt vmcnt(4)
	v_fmac_f64_e32 v[104:105], v[100:101], v[216:217]
	v_add_f64 v[106:107], v[102:103], v[104:105]
	ds_read_b128 v[102:105], v1 offset:1728
	buffer_load_dword v234, off, s[0:3], 0 offset:872
	buffer_load_dword v235, off, s[0:3], 0 offset:876
	buffer_load_dword v236, off, s[0:3], 0 offset:864
	buffer_load_dword v237, off, s[0:3], 0 offset:868
	s_waitcnt vmcnt(6) lgkmcnt(0)
	v_mul_f64 v[108:109], v[102:103], v[230:231]
	s_waitcnt vmcnt(4)
	v_fmac_f64_e32 v[108:109], v[104:105], v[232:233]
	v_add_f64 v[110:111], v[106:107], v[108:109]
	;; [unrolled: 10-line block ×3, first 2 shown]
	ds_read_b128 v[220:223], v1 offset:1760
	s_waitcnt vmcnt(2) lgkmcnt(0)
	v_mul_f64 v[224:225], v[220:221], v[238:239]
	s_waitcnt vmcnt(0)
	v_fmac_f64_e32 v[224:225], v[222:223], v[240:241]
	v_add_f64 v[242:243], v[110:111], v[224:225]
	buffer_load_dword v244, off, s[0:3], 0 offset:904
	buffer_load_dword v245, off, s[0:3], 0 offset:908
	;; [unrolled: 1-line block ×4, first 2 shown]
	ds_read_b128 v[224:227], v1 offset:1776
	s_waitcnt vmcnt(2) lgkmcnt(0)
	v_mul_f64 v[218:219], v[224:225], v[244:245]
	s_waitcnt vmcnt(0)
	v_fmac_f64_e32 v[218:219], v[226:227], v[110:111]
	v_add_f64 v[242:243], v[242:243], v[218:219]
	v_add_f64 v[218:219], v[248:249], 0
	;; [unrolled: 1-line block ×18, first 2 shown]
	buffer_load_dword v250, off, s[0:3], 0 offset:48
	buffer_load_dword v251, off, s[0:3], 0 offset:52
	v_add_f64 v[10:11], v[12:13], v[10:11]
	buffer_load_dword v248, off, s[0:3], 0 offset:56
	buffer_load_dword v249, off, s[0:3], 0 offset:60
	v_add_f64 v[8:9], v[10:11], v[8:9]
	v_add_f64 v[6:7], v[8:9], v[6:7]
	;; [unrolled: 1-line block ×4, first 2 shown]
	v_accvgpr_read_b32 v4, a168
	v_add_f64 v[252:253], v[2:3], v[228:229]
	v_accvgpr_read_b32 v2, a196
	v_accvgpr_read_b32 v5, a169
	;; [unrolled: 1-line block ×4, first 2 shown]
	v_mul_f64 v[4:5], v[144:145], v[4:5]
	v_accvgpr_read_b32 v7, a171
	v_add_f64 v[2:3], v[252:253], v[2:3]
	v_fma_f64 v[4:5], v[142:143], v[6:7], -v[4:5]
	v_add_f64 v[2:3], v[2:3], v[4:5]
	v_accvgpr_read_b32 v4, a172
	v_accvgpr_read_b32 v5, a173
	v_accvgpr_read_b32 v6, a174
	v_mul_f64 v[4:5], v[148:149], v[4:5]
	v_accvgpr_read_b32 v7, a175
	v_fma_f64 v[4:5], v[146:147], v[6:7], -v[4:5]
	v_add_f64 v[2:3], v[2:3], v[4:5]
	v_accvgpr_read_b32 v4, a176
	v_accvgpr_read_b32 v5, a177
	v_accvgpr_read_b32 v6, a178
	v_mul_f64 v[4:5], v[132:133], v[4:5]
	v_accvgpr_read_b32 v7, a179
	;; [unrolled: 7-line block ×5, first 2 shown]
	v_fma_f64 v[4:5], v[126:127], v[6:7], -v[4:5]
	v_add_f64 v[2:3], v[2:3], v[4:5]
	v_accvgpr_read_b32 v4, a192
	v_accvgpr_read_b32 v5, a193
	v_mul_f64 v[4:5], v[120:121], v[4:5]
	v_fma_f64 v[4:5], v[118:119], v[140:141], -v[4:5]
	v_add_f64 v[2:3], v[2:3], v[4:5]
	v_accvgpr_read_b32 v4, a194
	v_accvgpr_read_b32 v5, a195
	v_mul_f64 v[4:5], v[32:33], v[4:5]
	v_fma_f64 v[4:5], v[30:31], v[152:153], -v[4:5]
	v_add_f64 v[2:3], v[2:3], v[4:5]
	v_mul_f64 v[4:5], v[36:37], v[136:137]
	v_fma_f64 v[4:5], v[34:35], v[150:151], -v[4:5]
	v_add_f64 v[2:3], v[2:3], v[4:5]
	;; [unrolled: 3-line block ×22, first 2 shown]
	s_waitcnt vmcnt(2)
	v_add_f64 v[2:3], v[250:251], -v[2:3]
	s_waitcnt vmcnt(0)
	v_add_f64 v[4:5], v[248:249], -v[242:243]
	buffer_store_dword v3, off, s[0:3], 0 offset:52
	buffer_store_dword v2, off, s[0:3], 0 offset:48
	;; [unrolled: 1-line block ×4, first 2 shown]
	s_and_saveexec_b64 s[4:5], vcc
	s_cbranch_execz .LBB119_347
; %bb.346:
	v_accvgpr_read_b32 v5, a166
	buffer_load_dword v2, v5, s[0:3], 0 offen
	buffer_load_dword v3, v5, s[0:3], 0 offen offset:4
	buffer_load_dword v4, v5, s[0:3], 0 offen offset:8
	s_nop 0
	buffer_load_dword v5, v5, s[0:3], 0 offen offset:12
	v_accvgpr_read_b32 v6, a167
	buffer_store_dword v1, off, s[0:3], 0 offset:32
	buffer_store_dword v1, off, s[0:3], 0 offset:36
	;; [unrolled: 1-line block ×4, first 2 shown]
	s_waitcnt vmcnt(4)
	ds_write_b128 v6, v[2:5]
.LBB119_347:
	s_or_b64 exec, exec, s[4:5]
	s_waitcnt lgkmcnt(0)
	; wave barrier
	s_waitcnt lgkmcnt(0)
	buffer_load_dword v140, off, s[0:3], 0 offset:48
	buffer_load_dword v141, off, s[0:3], 0 offset:52
	;; [unrolled: 1-line block ×42, first 2 shown]
	ds_read_b128 v[230:233], v1 offset:928
	ds_read_b128 v[26:29], v1 offset:944
	;; [unrolled: 1-line block ×10, first 2 shown]
	buffer_load_dword v105, off, s[0:3], 0 offset:196
	buffer_load_dword v104, off, s[0:3], 0 offset:192
	ds_read_b128 v[42:45], v1 offset:1088
	buffer_load_dword v65, off, s[0:3], 0 offset:252
	buffer_load_dword v64, off, s[0:3], 0 offset:248
	;; [unrolled: 1-line block ×6, first 2 shown]
	v_cmp_ne_u32_e32 vcc, 0, v0
	s_waitcnt vmcnt(46) lgkmcnt(10)
	v_mul_f64 v[2:3], v[230:231], v[8:9]
	v_fmac_f64_e32 v[2:3], v[232:233], v[140:141]
	v_add_f64 v[2:3], v[2:3], 0
	v_mul_f64 v[8:9], v[232:233], v[8:9]
	s_waitcnt vmcnt(42) lgkmcnt(9)
	v_mul_f64 v[4:5], v[26:27], v[12:13]
	v_fmac_f64_e32 v[4:5], v[28:29], v[138:139]
	s_waitcnt vmcnt(40) lgkmcnt(8)
	v_mul_f64 v[66:67], v[106:107], v[18:19]
	v_add_f64 v[2:3], v[2:3], v[4:5]
	s_waitcnt vmcnt(38) lgkmcnt(6)
	v_mul_f64 v[72:73], v[114:115], v[30:31]
	v_mul_f64 v[12:13], v[28:29], v[12:13]
	s_waitcnt vmcnt(36)
	v_fmac_f64_e32 v[72:73], v[116:117], v[32:33]
	v_fma_f64 v[254:255], v[230:231], v[140:141], -v[8:9]
	s_waitcnt vmcnt(34)
	v_mul_f64 v[68:69], v[110:111], v[22:23]
	v_fma_f64 v[28:29], v[26:27], v[138:139], -v[12:13]
	s_waitcnt vmcnt(32) lgkmcnt(4)
	v_mul_f64 v[76:77], v[154:155], v[38:39]
	v_mul_f64 v[18:19], v[108:109], v[18:19]
	s_waitcnt vmcnt(30)
	v_fmac_f64_e32 v[76:77], v[156:157], v[40:41]
	v_mul_f64 v[22:23], v[112:113], v[22:23]
	s_waitcnt vmcnt(28)
	v_mul_f64 v[74:75], v[146:147], v[34:35]
	v_mul_f64 v[34:35], v[148:149], v[34:35]
	s_waitcnt vmcnt(26) lgkmcnt(2)
	v_mul_f64 v[80:81], v[162:163], v[52:53]
	v_mul_f64 v[30:31], v[116:117], v[30:31]
	;; [unrolled: 1-line block ×3, first 2 shown]
	s_waitcnt vmcnt(23)
	v_mul_f64 v[78:79], v[158:159], v[56:57]
	s_waitcnt vmcnt(21) lgkmcnt(1)
	v_mul_f64 v[134:135], v[46:47], v[50:51]
	v_mul_f64 v[12:13], v[48:49], v[50:51]
	s_waitcnt vmcnt(19)
	v_fmac_f64_e32 v[66:67], v[108:109], v[20:21]
	v_add_f64 v[2:3], v[2:3], v[66:67]
	s_waitcnt vmcnt(17)
	v_fmac_f64_e32 v[68:69], v[112:113], v[24:25]
	v_add_f64 v[2:3], v[2:3], v[68:69]
	;; [unrolled: 3-line block ×3, first 2 shown]
	v_add_f64 v[2:3], v[2:3], v[74:75]
	s_waitcnt vmcnt(13)
	v_fmac_f64_e32 v[78:79], v[160:161], v[58:59]
	v_add_f64 v[2:3], v[2:3], v[76:77]
	s_waitcnt vmcnt(12)
	v_fmac_f64_e32 v[80:81], v[164:165], v[54:55]
	v_add_f64 v[2:3], v[2:3], v[78:79]
	v_add_f64 v[2:3], v[2:3], v[80:81]
	buffer_load_dword v177, off, s[0:3], 0 offset:228
	buffer_load_dword v176, off, s[0:3], 0 offset:224
	;; [unrolled: 1-line block ×52, first 2 shown]
	s_waitcnt vmcnt(58)
	v_fmac_f64_e32 v[134:135], v[48:49], v[104:105]
	v_add_f64 v[2:3], v[2:3], v[134:135]
	v_fma_f64 v[108:109], v[114:115], v[32:33], -v[30:31]
	s_waitcnt vmcnt(0)
	v_pk_mov_b32 v[118:119], v[4:5], v[4:5] op_sel:[0,1]
	buffer_load_dword v5, off, s[0:3], 0 offset:468
	buffer_load_dword v4, off, s[0:3], 0 offset:464
	v_accvgpr_write_b32 a173, v119
	v_accvgpr_write_b32 a172, v118
	s_waitcnt vmcnt(0)
	v_pk_mov_b32 v[120:121], v[4:5], v[4:5] op_sel:[0,1]
	buffer_load_dword v5, off, s[0:3], 0 offset:460
	buffer_load_dword v4, off, s[0:3], 0 offset:456
	v_accvgpr_write_b32 a175, v121
	v_accvgpr_write_b32 a174, v120
	;; [unrolled: 6-line block ×10, first 2 shown]
	s_waitcnt vmcnt(0)
	v_pk_mov_b32 v[174:175], v[4:5], v[4:5] op_sel:[0,1]
	buffer_load_dword v5, off, s[0:3], 0 offset:516
	buffer_load_dword v4, off, s[0:3], 0 offset:512
	ds_read_b128 v[166:169], v1 offset:1104
	ds_read_b128 v[182:185], v1 offset:1120
	;; [unrolled: 1-line block ×7, first 2 shown]
	buffer_load_dword v135, off, s[0:3], 0 offset:556
	buffer_load_dword v134, off, s[0:3], 0 offset:552
	v_accvgpr_write_b32 a189, v175
	v_accvgpr_write_b32 a188, v174
	s_waitcnt vmcnt(2)
	v_pk_mov_b32 v[178:179], v[4:5], v[4:5] op_sel:[0,1]
	s_waitcnt lgkmcnt(7)
	v_mul_f64 v[4:5], v[42:43], v[60:61]
	v_fmac_f64_e32 v[4:5], v[44:45], v[62:63]
	v_add_f64 v[2:3], v[2:3], v[4:5]
	s_waitcnt lgkmcnt(6)
	v_mul_f64 v[4:5], v[166:167], v[170:171]
	v_fmac_f64_e32 v[4:5], v[168:169], v[176:177]
	v_add_f64 v[2:3], v[2:3], v[4:5]
	s_waitcnt lgkmcnt(5)
	v_mul_f64 v[4:5], v[182:183], v[64:65]
	s_waitcnt vmcnt(0)
	v_pk_mov_b32 v[180:181], v[134:135], v[134:135] op_sel:[0,1]
	buffer_load_dword v135, off, s[0:3], 0 offset:548
	buffer_load_dword v134, off, s[0:3], 0 offset:544
	ds_read_b128 v[210:213], v1 offset:1216
	buffer_load_dword v136, off, s[0:3], 0 offset:568
	buffer_load_dword v137, off, s[0:3], 0 offset:572
	;; [unrolled: 1-line block ×4, first 2 shown]
	ds_read_b128 v[214:217], v1 offset:1232
	ds_read_b128 v[218:221], v1 offset:1248
	;; [unrolled: 1-line block ×4, first 2 shown]
	buffer_load_dword v7, off, s[0:3], 0 offset:588
	buffer_load_dword v6, off, s[0:3], 0 offset:584
	;; [unrolled: 1-line block ×4, first 2 shown]
	v_fmac_f64_e32 v[4:5], v[184:185], v[70:71]
	v_add_f64 v[2:3], v[2:3], v[4:5]
	s_waitcnt lgkmcnt(9)
	v_mul_f64 v[4:5], v[186:187], v[246:247]
	v_fmac_f64_e32 v[4:5], v[188:189], v[248:249]
	v_add_f64 v[2:3], v[2:3], v[4:5]
	s_waitcnt lgkmcnt(8)
	v_mul_f64 v[4:5], v[190:191], v[198:199]
	;; [unrolled: 4-line block ×8, first 2 shown]
	v_fmac_f64_e32 v[4:5], v[220:221], v[68:69]
	ds_read_b128 v[238:241], v1 offset:1296
	ds_read_b128 v[242:245], v1 offset:1312
	v_add_f64 v[2:3], v[2:3], v[4:5]
	s_waitcnt lgkmcnt(3)
	v_mul_f64 v[4:5], v[222:223], v[72:73]
	v_fmac_f64_e32 v[4:5], v[224:225], v[74:75]
	v_add_f64 v[2:3], v[2:3], v[4:5]
	s_waitcnt lgkmcnt(2)
	v_mul_f64 v[4:5], v[226:227], v[78:79]
	ds_read_b128 v[142:145], v1 offset:1328
	ds_read_b128 v[230:233], v1 offset:1344
	v_fmac_f64_e32 v[4:5], v[228:229], v[80:81]
	ds_read_b128 v[138:141], v1 offset:1360
	ds_read_b128 v[234:237], v1 offset:1376
	v_add_f64 v[2:3], v[2:3], v[4:5]
	s_waitcnt lgkmcnt(5)
	v_mul_f64 v[4:5], v[238:239], v[82:83]
	v_fmac_f64_e32 v[4:5], v[240:241], v[84:85]
	v_add_f64 v[2:3], v[2:3], v[4:5]
	s_waitcnt lgkmcnt(4)
	v_mul_f64 v[4:5], v[242:243], v[90:91]
	v_fmac_f64_e32 v[4:5], v[244:245], v[92:93]
	s_waitcnt lgkmcnt(3)
	v_mul_f64 v[14:15], v[142:143], v[126:127]
	v_add_f64 v[150:151], v[2:3], v[4:5]
	v_fmac_f64_e32 v[14:15], v[144:145], v[128:129]
	s_waitcnt lgkmcnt(2)
	v_mul_f64 v[4:5], v[230:231], v[118:119]
	s_waitcnt lgkmcnt(1)
	v_mul_f64 v[26:27], v[138:139], v[130:131]
	v_add_f64 v[14:15], v[150:151], v[14:15]
	v_fmac_f64_e32 v[4:5], v[232:233], v[120:121]
	v_fmac_f64_e32 v[26:27], v[140:141], v[132:133]
	ds_read_b128 v[130:133], v1 offset:1392
	ds_read_b128 v[126:129], v1 offset:1408
	v_add_f64 v[4:5], v[14:15], v[4:5]
	v_add_f64 v[4:5], v[4:5], v[26:27]
	s_waitcnt lgkmcnt(2)
	v_mul_f64 v[26:27], v[234:235], v[122:123]
	v_fmac_f64_e32 v[26:27], v[236:237], v[124:125]
	ds_read_b128 v[122:125], v1 offset:1424
	ds_read_b128 v[118:121], v1 offset:1440
	v_add_f64 v[4:5], v[4:5], v[26:27]
	s_waitcnt lgkmcnt(3)
	v_mul_f64 v[26:27], v[130:131], v[174:175]
	v_fmac_f64_e32 v[26:27], v[132:133], v[178:179]
	v_add_f64 v[4:5], v[4:5], v[26:27]
	s_waitcnt lgkmcnt(2)
	v_mul_f64 v[26:27], v[126:127], v[152:153]
	v_fma_f64 v[150:151], v[106:107], v[20:21], -v[18:19]
	v_fma_f64 v[106:107], v[110:111], v[24:25], -v[22:23]
	v_fmac_f64_e32 v[26:27], v[128:129], v[172:173]
	s_waitcnt lgkmcnt(1)
	v_mul_f64 v[110:111], v[122:123], v[180:181]
	v_add_f64 v[4:5], v[4:5], v[26:27]
	v_fma_f64 v[18:19], v[162:163], v[54:55], -v[52:53]
	v_accvgpr_write_b32 a191, v179
	s_waitcnt vmcnt(8)
	v_fmac_f64_e32 v[110:111], v[124:125], v[134:135]
	v_add_f64 v[4:5], v[4:5], v[110:111]
	s_waitcnt vmcnt(6) lgkmcnt(0)
	v_mul_f64 v[112:113], v[118:119], v[136:137]
	v_fma_f64 v[110:111], v[146:147], v[36:37], -v[34:35]
	ds_read_b128 v[34:37], v1 offset:1456
	buffer_load_dword v147, off, s[0:3], 0 offset:604
	buffer_load_dword v146, off, s[0:3], 0 offset:600
	s_waitcnt vmcnt(6)
	v_fmac_f64_e32 v[112:113], v[120:121], v[10:11]
	v_add_f64 v[112:113], v[4:5], v[112:113]
	buffer_load_dword v153, off, s[0:3], 0 offset:596
	buffer_load_dword v152, off, s[0:3], 0 offset:592
	v_mul_f64 v[4:5], v[156:157], v[38:39]
	v_fma_f64 v[172:173], v[154:155], v[40:41], -v[4:5]
	buffer_load_dword v148, off, s[0:3], 0 offset:632
	buffer_load_dword v30, off, s[0:3], 0 offset:624
	;; [unrolled: 1-line block ×8, first 2 shown]
	v_mul_f64 v[38:39], v[160:161], v[56:57]
	v_fma_f64 v[20:21], v[158:159], v[58:59], -v[38:39]
	ds_read_b128 v[38:41], v1 offset:1472
	buffer_load_dword v159, off, s[0:3], 0 offset:652
	buffer_load_dword v158, off, s[0:3], 0 offset:648
	buffer_load_dword v163, off, s[0:3], 0 offset:644
	buffer_load_dword v162, off, s[0:3], 0 offset:640
	buffer_load_dword v160, off, s[0:3], 0 offset:664
	buffer_load_dword v164, off, s[0:3], 0 offset:656
	buffer_load_dword v161, off, s[0:3], 0 offset:668
	buffer_load_dword v165, off, s[0:3], 0 offset:660
	s_waitcnt vmcnt(22) lgkmcnt(1)
	v_mul_f64 v[8:9], v[34:35], v[6:7]
	v_accvgpr_write_b32 a197, v137
	s_waitcnt vmcnt(20)
	v_fmac_f64_e32 v[8:9], v[36:37], v[16:17]
	v_accvgpr_write_b32 a196, v136
	v_pk_mov_b32 v[136:137], v[16:17], v[16:17] op_sel:[0,1]
	v_add_f64 v[8:9], v[112:113], v[8:9]
	v_mul_f64 v[16:17], v[168:169], v[170:171]
	buffer_load_dword v169, off, s[0:3], 0 offset:684
	buffer_load_dword v168, off, s[0:3], 0 offset:680
	;; [unrolled: 1-line block ×8, first 2 shown]
	v_accvgpr_write_b32 a193, v181
	v_accvgpr_write_b32 a190, v178
	;; [unrolled: 1-line block ×3, first 2 shown]
	v_fma_f64 v[16:17], v[166:167], v[176:177], -v[16:17]
	buffer_load_dword v166, off, s[0:3], 0 offset:728
	buffer_load_dword v179, off, s[0:3], 0 offset:716
	;; [unrolled: 1-line block ×8, first 2 shown]
	v_mul_f64 v[44:45], v[44:45], v[60:61]
	v_accvgpr_write_b32 a199, v11
	v_fma_f64 v[14:15], v[46:47], v[104:105], -v[12:13]
	v_fma_f64 v[12:13], v[42:43], v[62:63], -v[44:45]
	v_mul_f64 v[42:43], v[184:185], v[64:65]
	v_accvgpr_write_b32 a198, v10
	v_fma_f64 v[10:11], v[182:183], v[70:71], -v[42:43]
	buffer_load_dword v183, off, s[0:3], 0 offset:748
	buffer_load_dword v182, off, s[0:3], 0 offset:744
	;; [unrolled: 1-line block ×4, first 2 shown]
	v_mul_f64 v[42:43], v[192:193], v[198:199]
	v_mul_f64 v[26:27], v[188:189], v[246:247]
	v_fma_f64 v[246:247], v[190:191], v[200:201], -v[42:43]
	buffer_load_dword v188, off, s[0:3], 0 offset:760
	buffer_load_dword v190, off, s[0:3], 0 offset:752
	;; [unrolled: 1-line block ×4, first 2 shown]
	v_mul_f64 v[42:43], v[196:197], v[250:251]
	v_accvgpr_write_b32 a195, v135
	v_fma_f64 v[26:27], v[186:187], v[248:249], -v[26:27]
	v_fma_f64 v[250:251], v[194:195], v[252:253], -v[42:43]
	buffer_load_dword v187, off, s[0:3], 0 offset:796
	buffer_load_dword v193, off, s[0:3], 0 offset:780
	buffer_load_dword v192, off, s[0:3], 0 offset:776
	buffer_load_dword v199, off, s[0:3], 0 offset:772
	buffer_load_dword v198, off, s[0:3], 0 offset:768
	buffer_load_dword v186, off, s[0:3], 0 offset:792
	buffer_load_dword v197, off, s[0:3], 0 offset:788
	buffer_load_dword v196, off, s[0:3], 0 offset:784
	buffer_load_dword v195, off, s[0:3], 0 offset:812
	buffer_load_dword v194, off, s[0:3], 0 offset:808
	buffer_load_dword v201, off, s[0:3], 0 offset:804
	buffer_load_dword v200, off, s[0:3], 0 offset:800
	ds_read_b128 v[42:45], v1 offset:1488
	v_mul_f64 v[46:47], v[204:205], v[96:97]
	v_accvgpr_write_b32 a194, v134
	v_pk_mov_b32 v[134:135], v[6:7], v[6:7] op_sel:[0,1]
	v_fma_f64 v[6:7], v[202:203], v[98:99], -v[46:47]
	v_mul_f64 v[46:47], v[208:209], v[100:101]
	buffer_load_dword v202, off, s[0:3], 0 offset:824
	buffer_load_dword v204, off, s[0:3], 0 offset:816
	;; [unrolled: 1-line block ×4, first 2 shown]
	v_fma_f64 v[252:253], v[206:207], v[102:103], -v[46:47]
	ds_read_b128 v[46:49], v1 offset:1504
	ds_read_b128 v[50:53], v1 offset:1520
	;; [unrolled: 1-line block ×5, first 2 shown]
	v_mul_f64 v[70:71], v[224:225], v[72:73]
	s_waitcnt vmcnt(58) lgkmcnt(6)
	v_mul_f64 v[24:25], v[38:39], v[146:147]
	s_waitcnt vmcnt(56)
	v_fmac_f64_e32 v[24:25], v[40:41], v[152:153]
	v_add_f64 v[8:9], v[8:9], v[24:25]
	s_waitcnt vmcnt(52) lgkmcnt(5)
	v_mul_f64 v[24:25], v[42:43], v[154:155]
	s_waitcnt vmcnt(50)
	v_fmac_f64_e32 v[24:25], v[44:45], v[156:157]
	v_add_f64 v[8:9], v[8:9], v[24:25]
	;; [unrolled: 5-line block ×3, first 2 shown]
	v_mul_f64 v[24:25], v[212:213], v[76:77]
	s_waitcnt vmcnt(46) lgkmcnt(3)
	v_mul_f64 v[22:23], v[50:51], v[158:159]
	v_fma_f64 v[4:5], v[210:211], v[86:87], -v[24:25]
	s_waitcnt vmcnt(44)
	v_fmac_f64_e32 v[22:23], v[52:53], v[162:163]
	s_waitcnt vmcnt(41) lgkmcnt(2)
	v_mul_f64 v[24:25], v[54:55], v[160:161]
	v_add_f64 v[8:9], v[8:9], v[22:23]
	s_waitcnt vmcnt(40)
	v_fmac_f64_e32 v[24:25], v[56:57], v[164:165]
	v_add_f64 v[8:9], v[8:9], v[24:25]
	v_mul_f64 v[24:25], v[220:221], v[66:67]
	v_mul_f64 v[22:23], v[216:217], v[88:89]
	v_fma_f64 v[216:217], v[218:219], v[68:69], -v[24:25]
	ds_read_b128 v[66:69], v1 offset:1584
	s_waitcnt vmcnt(38) lgkmcnt(2)
	v_mul_f64 v[24:25], v[58:59], v[168:169]
	s_waitcnt vmcnt(36)
	v_fmac_f64_e32 v[24:25], v[60:61], v[112:113]
	v_fma_f64 v[218:219], v[222:223], v[74:75], -v[70:71]
	ds_read_b128 v[70:73], v1 offset:1600
	ds_read_b128 v[74:77], v1 offset:1616
	v_add_f64 v[8:9], v[8:9], v[24:25]
	s_waitcnt vmcnt(34) lgkmcnt(3)
	v_mul_f64 v[24:25], v[62:63], v[170:171]
	s_waitcnt vmcnt(32)
	v_fmac_f64_e32 v[24:25], v[64:65], v[174:175]
	v_add_f64 v[8:9], v[8:9], v[24:25]
	s_waitcnt vmcnt(29) lgkmcnt(2)
	v_mul_f64 v[24:25], v[66:67], v[178:179]
	s_waitcnt vmcnt(27)
	v_fmac_f64_e32 v[24:25], v[68:69], v[180:181]
	;; [unrolled: 5-line block ×3, first 2 shown]
	v_add_f64 v[8:9], v[8:9], v[24:25]
	v_mul_f64 v[24:25], v[228:229], v[78:79]
	v_fma_f64 v[2:3], v[226:227], v[80:81], -v[24:25]
	ds_read_b128 v[78:81], v1 offset:1632
	s_waitcnt vmcnt(22) lgkmcnt(1)
	v_mul_f64 v[24:25], v[74:75], v[182:183]
	s_waitcnt vmcnt(20)
	v_fmac_f64_e32 v[24:25], v[76:77], v[184:185]
	v_add_f64 v[8:9], v[8:9], v[24:25]
	v_mul_f64 v[24:25], v[240:241], v[82:83]
	v_fma_f64 v[24:25], v[238:239], v[84:85], -v[24:25]
	ds_read_b128 v[82:85], v1 offset:1648
	s_waitcnt vmcnt(17) lgkmcnt(1)
	v_mul_f64 v[32:33], v[78:79], v[188:189]
	s_waitcnt vmcnt(16)
	v_fmac_f64_e32 v[32:33], v[80:81], v[190:191]
	v_add_f64 v[8:9], v[8:9], v[32:33]
	v_mul_f64 v[32:33], v[244:245], v[90:91]
	v_fma_f64 v[22:23], v[214:215], v[94:95], -v[22:23]
	ds_read_b128 v[86:89], v1 offset:1664
	v_fma_f64 v[220:221], v[242:243], v[92:93], -v[32:33]
	ds_read_b128 v[90:93], v1 offset:1680
	ds_read_b128 v[94:97], v1 offset:1696
	buffer_load_dword v207, off, s[0:3], 0 offset:844
	buffer_load_dword v206, off, s[0:3], 0 offset:840
	buffer_load_dword v209, off, s[0:3], 0 offset:836
	buffer_load_dword v208, off, s[0:3], 0 offset:832
	ds_read_b128 v[98:101], v1 offset:1712
	buffer_load_dword v210, off, s[0:3], 0 offset:856
	buffer_load_dword v211, off, s[0:3], 0 offset:860
	buffer_load_dword v212, off, s[0:3], 0 offset:848
	buffer_load_dword v213, off, s[0:3], 0 offset:852
	;; [unrolled: 5-line block ×4, first 2 shown]
	s_waitcnt vmcnt(29) lgkmcnt(6)
	v_mul_f64 v[32:33], v[82:83], v[192:193]
	s_waitcnt vmcnt(27)
	v_fmac_f64_e32 v[32:33], v[84:85], v[198:199]
	v_add_f64 v[8:9], v[8:9], v[32:33]
	s_waitcnt vmcnt(26) lgkmcnt(5)
	v_mul_f64 v[32:33], v[86:87], v[186:187]
	s_waitcnt vmcnt(24)
	v_fmac_f64_e32 v[32:33], v[88:89], v[196:197]
	v_add_f64 v[8:9], v[8:9], v[32:33]
	;; [unrolled: 5-line block ×4, first 2 shown]
	ds_read_b128 v[226:229], v1 offset:1760
	s_waitcnt vmcnt(14) lgkmcnt(3)
	v_mul_f64 v[32:33], v[98:99], v[206:207]
	s_waitcnt vmcnt(12)
	v_fmac_f64_e32 v[32:33], v[100:101], v[208:209]
	v_add_f64 v[8:9], v[8:9], v[32:33]
	s_waitcnt vmcnt(10) lgkmcnt(2)
	v_mul_f64 v[32:33], v[102:103], v[210:211]
	s_waitcnt vmcnt(8)
	v_fmac_f64_e32 v[32:33], v[104:105], v[212:213]
	v_add_f64 v[8:9], v[8:9], v[32:33]
	;; [unrolled: 5-line block ×4, first 2 shown]
	buffer_load_dword v9, off, s[0:3], 0 offset:908
	buffer_load_dword v8, off, s[0:3], 0 offset:904
	buffer_load_dword v249, off, s[0:3], 0 offset:900
	buffer_load_dword v248, off, s[0:3], 0 offset:896
	ds_read_b128 v[114:117], v1 offset:1776
	s_waitcnt vmcnt(2) lgkmcnt(0)
	v_mul_f64 v[244:245], v[114:115], v[8:9]
	s_waitcnt vmcnt(0)
	v_fmac_f64_e32 v[244:245], v[116:117], v[248:249]
	v_add_f64 v[244:245], v[32:33], v[244:245]
	v_add_f64 v[32:33], v[254:255], 0
	;; [unrolled: 1-line block ×22, first 2 shown]
	buffer_load_dword v250, off, s[0:3], 0 offset:32
	buffer_load_dword v251, off, s[0:3], 0 offset:36
	;; [unrolled: 1-line block ×4, first 2 shown]
	v_add_f64 v[4:5], v[4:5], v[218:219]
	v_add_f64 v[218:219], v[4:5], v[2:3]
	v_accvgpr_read_b32 v4, a168
	v_accvgpr_read_b32 v5, a169
	;; [unrolled: 1-line block ×3, first 2 shown]
	v_add_f64 v[2:3], v[218:219], v[24:25]
	v_mul_f64 v[4:5], v[144:145], v[4:5]
	v_accvgpr_read_b32 v7, a171
	v_add_f64 v[2:3], v[2:3], v[220:221]
	v_fma_f64 v[4:5], v[142:143], v[6:7], -v[4:5]
	v_add_f64 v[2:3], v[2:3], v[4:5]
	v_accvgpr_read_b32 v4, a172
	v_accvgpr_read_b32 v5, a173
	v_accvgpr_read_b32 v6, a174
	v_mul_f64 v[4:5], v[232:233], v[4:5]
	v_accvgpr_read_b32 v7, a175
	v_fma_f64 v[4:5], v[230:231], v[6:7], -v[4:5]
	v_add_f64 v[2:3], v[2:3], v[4:5]
	v_accvgpr_read_b32 v4, a176
	v_accvgpr_read_b32 v5, a177
	v_accvgpr_read_b32 v6, a178
	v_mul_f64 v[4:5], v[140:141], v[4:5]
	v_accvgpr_read_b32 v7, a179
	;; [unrolled: 7-line block ×7, first 2 shown]
	v_fma_f64 v[4:5], v[118:119], v[6:7], -v[4:5]
	v_add_f64 v[2:3], v[2:3], v[4:5]
	v_mul_f64 v[4:5], v[36:37], v[134:135]
	v_fma_f64 v[4:5], v[34:35], v[136:137], -v[4:5]
	v_add_f64 v[2:3], v[2:3], v[4:5]
	v_mul_f64 v[4:5], v[40:41], v[146:147]
	;; [unrolled: 3-line block ×21, first 2 shown]
	v_fma_f64 v[4:5], v[114:115], v[248:249], -v[4:5]
	v_add_f64 v[2:3], v[2:3], v[4:5]
	s_waitcnt vmcnt(2)
	v_add_f64 v[2:3], v[250:251], -v[2:3]
	s_waitcnt vmcnt(0)
	v_add_f64 v[4:5], v[216:217], -v[244:245]
	buffer_store_dword v3, off, s[0:3], 0 offset:36
	buffer_store_dword v2, off, s[0:3], 0 offset:32
	;; [unrolled: 1-line block ×4, first 2 shown]
	s_and_saveexec_b64 s[4:5], vcc
	s_cbranch_execz .LBB119_349
; %bb.348:
	buffer_load_dword v0, off, s[0:3], 0 offset:16
	buffer_load_dword v1, off, s[0:3], 0 offset:20
	;; [unrolled: 1-line block ×4, first 2 shown]
	v_mov_b32_e32 v4, 0
	v_accvgpr_read_b32 v5, a167
	buffer_store_dword v4, off, s[0:3], 0 offset:16
	buffer_store_dword v4, off, s[0:3], 0 offset:20
	;; [unrolled: 1-line block ×4, first 2 shown]
	s_waitcnt vmcnt(4)
	ds_write_b128 v5, v[0:3]
.LBB119_349:
	s_or_b64 exec, exec, s[4:5]
	s_waitcnt lgkmcnt(0)
	; wave barrier
	s_waitcnt lgkmcnt(0)
	buffer_load_dword v126, off, s[0:3], 0 offset:32
	buffer_load_dword v127, off, s[0:3], 0 offset:36
	;; [unrolled: 1-line block ×42, first 2 shown]
	v_mov_b32_e32 v0, 0
	buffer_load_dword v93, off, s[0:3], 0 offset:180
	buffer_load_dword v92, off, s[0:3], 0 offset:176
	;; [unrolled: 1-line block ×7, first 2 shown]
	ds_read_b128 v[244:247], v0 offset:912
	ds_read_b128 v[24:27], v0 offset:928
	;; [unrolled: 1-line block ×11, first 2 shown]
	s_and_b64 vcc, exec, s[16:17]
	s_waitcnt vmcnt(45) lgkmcnt(10)
	v_mul_f64 v[58:59], v[244:245], v[2:3]
	v_fmac_f64_e32 v[58:59], v[246:247], v[126:127]
	v_add_f64 v[58:59], v[58:59], 0
	v_mul_f64 v[2:3], v[246:247], v[2:3]
	s_waitcnt vmcnt(41) lgkmcnt(9)
	v_mul_f64 v[60:61], v[24:25], v[12:13]
	v_fmac_f64_e32 v[60:61], v[26:27], v[224:225]
	s_waitcnt vmcnt(39) lgkmcnt(8)
	v_mul_f64 v[62:63], v[238:239], v[8:9]
	v_add_f64 v[58:59], v[58:59], v[60:61]
	s_waitcnt vmcnt(37) lgkmcnt(6)
	v_mul_f64 v[66:67], v[108:109], v[20:21]
	v_fma_f64 v[222:223], v[244:245], v[126:127], -v[2:3]
	s_waitcnt vmcnt(35)
	v_fmac_f64_e32 v[66:67], v[110:111], v[22:23]
	v_mul_f64 v[12:13], v[26:27], v[12:13]
	s_waitcnt vmcnt(33)
	v_mul_f64 v[64:65], v[104:105], v[16:17]
	v_fma_f64 v[224:225], v[24:25], v[224:225], -v[12:13]
	s_waitcnt vmcnt(31) lgkmcnt(4)
	v_mul_f64 v[70:71], v[128:129], v[32:33]
	v_mul_f64 v[8:9], v[240:241], v[8:9]
	s_waitcnt vmcnt(29)
	v_fmac_f64_e32 v[70:71], v[130:131], v[34:35]
	v_mul_f64 v[16:17], v[106:107], v[16:17]
	s_waitcnt vmcnt(27)
	v_mul_f64 v[68:69], v[112:113], v[28:29]
	v_mul_f64 v[32:33], v[130:131], v[32:33]
	s_waitcnt vmcnt(25) lgkmcnt(2)
	v_mul_f64 v[74:75], v[138:139], v[36:37]
	v_mul_f64 v[28:29], v[114:115], v[28:29]
	;; [unrolled: 1-line block ×3, first 2 shown]
	s_waitcnt vmcnt(22)
	v_mul_f64 v[72:73], v[134:135], v[46:47]
	v_mul_f64 v[20:21], v[110:111], v[20:21]
	s_waitcnt vmcnt(20) lgkmcnt(1)
	v_mul_f64 v[118:119], v[142:143], v[44:45]
	v_mul_f64 v[44:45], v[144:145], v[44:45]
	s_waitcnt vmcnt(18)
	v_fmac_f64_e32 v[62:63], v[240:241], v[14:15]
	v_add_f64 v[58:59], v[58:59], v[62:63]
	s_waitcnt vmcnt(16)
	v_fmac_f64_e32 v[64:65], v[106:107], v[18:19]
	v_add_f64 v[58:59], v[58:59], v[64:65]
	;; [unrolled: 3-line block ×3, first 2 shown]
	v_add_f64 v[58:59], v[58:59], v[68:69]
	s_waitcnt vmcnt(12)
	v_fmac_f64_e32 v[72:73], v[136:137], v[48:49]
	v_add_f64 v[58:59], v[58:59], v[70:71]
	s_waitcnt vmcnt(11)
	v_fmac_f64_e32 v[74:75], v[140:141], v[38:39]
	v_add_f64 v[58:59], v[58:59], v[72:73]
	v_add_f64 v[120:121], v[58:59], v[74:75]
	buffer_load_dword v86, off, s[0:3], 0 offset:216
	buffer_load_dword v155, off, s[0:3], 0 offset:212
	;; [unrolled: 1-line block ×53, first 2 shown]
	s_waitcnt vmcnt(58)
	v_fmac_f64_e32 v[118:119], v[144:145], v[92:93]
	v_add_f64 v[118:119], v[120:121], v[118:119]
	s_waitcnt lgkmcnt(0)
	v_mul_f64 v[120:121], v[40:41], v[50:51]
	v_fmac_f64_e32 v[120:121], v[42:43], v[52:53]
	v_add_f64 v[118:119], v[118:119], v[120:121]
	v_mul_f64 v[42:43], v[42:43], v[50:51]
	s_waitcnt vmcnt(0)
	v_pk_mov_b32 v[242:243], v[88:89], v[88:89] op_sel:[0,1]
	buffer_load_dword v89, off, s[0:3], 0 offset:452
	buffer_load_dword v88, off, s[0:3], 0 offset:448
	v_accvgpr_write_b32 a168, v242
	v_accvgpr_write_b32 a169, v243
	s_waitcnt vmcnt(0)
	v_pk_mov_b32 v[226:227], v[88:89], v[88:89] op_sel:[0,1]
	buffer_load_dword v89, off, s[0:3], 0 offset:444
	buffer_load_dword v88, off, s[0:3], 0 offset:440
	;; [unrolled: 1-line block ×6, first 2 shown]
	v_accvgpr_write_b32 a174, v226
	v_accvgpr_write_b32 a175, v227
	s_waitcnt vmcnt(0)
	v_pk_mov_b32 v[228:229], v[122:123], v[122:123] op_sel:[0,1]
	buffer_load_dword v123, off, s[0:3], 0 offset:484
	buffer_load_dword v122, off, s[0:3], 0 offset:480
	;; [unrolled: 1-line block ×4, first 2 shown]
	v_accvgpr_write_b32 a176, v228
	v_accvgpr_write_b32 a177, v229
	s_waitcnt vmcnt(2)
	v_pk_mov_b32 v[230:231], v[122:123], v[122:123] op_sel:[0,1]
	s_waitcnt vmcnt(0)
	v_pk_mov_b32 v[234:235], v[10:11], v[10:11] op_sel:[0,1]
	buffer_load_dword v11, off, s[0:3], 0 offset:468
	buffer_load_dword v10, off, s[0:3], 0 offset:464
	;; [unrolled: 1-line block ×4, first 2 shown]
	v_accvgpr_write_b32 a180, v234
	v_accvgpr_write_b32 a181, v235
	;; [unrolled: 1-line block ×4, first 2 shown]
	s_waitcnt vmcnt(2)
	v_pk_mov_b32 v[236:237], v[10:11], v[10:11] op_sel:[0,1]
	s_waitcnt vmcnt(0)
	v_pk_mov_b32 v[232:233], v[122:123], v[122:123] op_sel:[0,1]
	buffer_load_dword v11, off, s[0:3], 0 offset:516
	buffer_load_dword v10, off, s[0:3], 0 offset:512
	;; [unrolled: 1-line block ×4, first 2 shown]
	v_accvgpr_write_b32 a182, v236
	v_accvgpr_write_b32 a183, v237
	v_accvgpr_write_b32 a188, v232
	v_accvgpr_write_b32 a189, v233
	s_waitcnt vmcnt(2)
	v_accvgpr_write_b32 a191, v11
	v_accvgpr_write_b32 a190, v10
	s_waitcnt vmcnt(0)
	v_pk_mov_b32 v[248:249], v[122:123], v[122:123] op_sel:[0,1]
	buffer_load_dword v123, off, s[0:3], 0 offset:500
	buffer_load_dword v122, off, s[0:3], 0 offset:496
	ds_read_b128 v[146:149], v0 offset:1088
	ds_read_b128 v[150:153], v0 offset:1104
	;; [unrolled: 1-line block ×6, first 2 shown]
	s_waitcnt lgkmcnt(5)
	v_mul_f64 v[120:121], v[146:147], v[86:87]
	v_fmac_f64_e32 v[120:121], v[148:149], v[154:155]
	v_add_f64 v[118:119], v[118:119], v[120:121]
	s_waitcnt lgkmcnt(4)
	v_mul_f64 v[120:121], v[150:151], v[54:55]
	v_fmac_f64_e32 v[120:121], v[152:153], v[56:57]
	v_add_f64 v[118:119], v[118:119], v[120:121]
	s_waitcnt lgkmcnt(3)
	v_mul_f64 v[120:121], v[156:157], v[168:169]
	v_fmac_f64_e32 v[120:121], v[158:159], v[178:179]
	v_add_f64 v[118:119], v[118:119], v[120:121]
	s_waitcnt lgkmcnt(2)
	v_mul_f64 v[120:121], v[160:161], v[164:165]
	v_fmac_f64_e32 v[120:121], v[162:163], v[166:167]
	ds_read_b128 v[182:185], v0 offset:1184
	ds_read_b128 v[186:189], v0 offset:1200
	v_add_f64 v[118:119], v[118:119], v[120:121]
	s_waitcnt lgkmcnt(3)
	v_mul_f64 v[120:121], v[170:171], v[218:219]
	v_fmac_f64_e32 v[120:121], v[172:173], v[220:221]
	v_add_f64 v[118:119], v[118:119], v[120:121]
	s_waitcnt lgkmcnt(2)
	v_mul_f64 v[120:121], v[174:175], v[98:99]
	v_fmac_f64_e32 v[120:121], v[176:177], v[180:181]
	buffer_load_dword v117, off, s[0:3], 0 offset:540
	buffer_load_dword v116, off, s[0:3], 0 offset:536
	;; [unrolled: 1-line block ×4, first 2 shown]
	ds_read_b128 v[190:193], v0 offset:1216
	v_add_f64 v[118:119], v[118:119], v[120:121]
	s_waitcnt lgkmcnt(2)
	v_mul_f64 v[120:121], v[182:183], v[94:95]
	v_fmac_f64_e32 v[120:121], v[184:185], v[96:97]
	buffer_load_dword v102, off, s[0:3], 0 offset:552
	buffer_load_dword v132, off, s[0:3], 0 offset:544
	;; [unrolled: 1-line block ×4, first 2 shown]
	ds_read_b128 v[194:197], v0 offset:1232
	ds_read_b128 v[198:201], v0 offset:1248
	v_add_f64 v[118:119], v[118:119], v[120:121]
	s_waitcnt lgkmcnt(3)
	v_mul_f64 v[120:121], v[186:187], v[62:63]
	v_fmac_f64_e32 v[120:121], v[188:189], v[74:75]
	v_add_f64 v[118:119], v[118:119], v[120:121]
	s_waitcnt lgkmcnt(2)
	v_mul_f64 v[120:121], v[190:191], v[72:73]
	v_fmac_f64_e32 v[120:121], v[192:193], v[84:85]
	;; [unrolled: 4-line block ×3, first 2 shown]
	ds_read_b128 v[202:205], v0 offset:1264
	s_waitcnt lgkmcnt(1)
	v_mul_f64 v[124:125], v[198:199], v[64:65]
	v_fmac_f64_e32 v[124:125], v[200:201], v[66:67]
	v_accvgpr_write_b32 a184, v248
	v_accvgpr_write_b32 a185, v249
	v_mul_f64 v[64:65], v[200:201], v[64:65]
	s_waitcnt vmcnt(8)
	v_pk_mov_b32 v[250:251], v[122:123], v[122:123] op_sel:[0,1]
	v_add_f64 v[122:123], v[118:119], v[120:121]
	buffer_load_dword v7, off, s[0:3], 0 offset:572
	buffer_load_dword v6, off, s[0:3], 0 offset:568
	;; [unrolled: 1-line block ×4, first 2 shown]
	ds_read_b128 v[206:209], v0 offset:1280
	ds_read_b128 v[210:213], v0 offset:1296
	v_add_f64 v[122:123], v[122:123], v[124:125]
	s_waitcnt lgkmcnt(2)
	v_mul_f64 v[124:125], v[202:203], v[68:69]
	ds_read_b128 v[214:217], v0 offset:1312
	ds_read_b128 v[244:247], v0 offset:1328
	v_fmac_f64_e32 v[124:125], v[204:205], v[70:71]
	v_add_f64 v[122:123], v[122:123], v[124:125]
	s_waitcnt lgkmcnt(3)
	v_mul_f64 v[124:125], v[206:207], v[76:77]
	v_fmac_f64_e32 v[124:125], v[208:209], v[78:79]
	v_add_f64 v[122:123], v[122:123], v[124:125]
	s_waitcnt lgkmcnt(2)
	v_mul_f64 v[124:125], v[210:211], v[80:81]
	v_fmac_f64_e32 v[124:125], v[212:213], v[82:83]
	s_waitcnt lgkmcnt(1)
	v_mul_f64 v[4:5], v[214:215], v[88:89]
	v_add_f64 v[122:123], v[122:123], v[124:125]
	v_fmac_f64_e32 v[4:5], v[216:217], v[90:91]
	v_add_f64 v[126:127], v[122:123], v[4:5]
	s_waitcnt lgkmcnt(0)
	v_pk_mov_b32 v[2:3], v[244:245], v[244:245] op_sel:[0,1]
	ds_read_b128 v[252:255], v0 offset:1344
	v_pk_mov_b32 v[4:5], v[246:247], v[246:247] op_sel:[0,1]
	buffer_load_dword v247, off, s[0:3], 0 offset:588
	buffer_load_dword v246, off, s[0:3], 0 offset:584
	;; [unrolled: 1-line block ×4, first 2 shown]
	v_mul_f64 v[12:13], v[2:3], v[242:243]
	v_fmac_f64_e32 v[12:13], v[4:5], v[226:227]
	v_fma_f64 v[226:227], v[238:239], v[14:15], -v[8:9]
	ds_read_b128 v[242:245], v0 offset:1360
	ds_read_b128 v[238:241], v0 offset:1376
	v_accvgpr_write_b32 a186, v250
	s_waitcnt lgkmcnt(2)
	v_mul_f64 v[14:15], v[252:253], v[234:235]
	v_accvgpr_write_b32 a187, v251
	v_add_f64 v[12:13], v[126:127], v[12:13]
	s_waitcnt lgkmcnt(0)
	v_mul_f64 v[26:27], v[238:239], v[248:249]
	v_fmac_f64_e32 v[26:27], v[240:241], v[250:251]
	ds_read_b128 v[248:251], v0 offset:1392
	v_fmac_f64_e32 v[14:15], v[254:255], v[236:237]
	ds_read_b128 v[234:237], v0 offset:1408
	v_add_f64 v[12:13], v[12:13], v[14:15]
	v_mul_f64 v[14:15], v[242:243], v[228:229]
	v_fmac_f64_e32 v[14:15], v[244:245], v[230:231]
	v_accvgpr_write_b32 a173, v5
	v_add_f64 v[24:25], v[12:13], v[14:15]
	v_accvgpr_write_b32 a172, v4
	v_accvgpr_write_b32 a171, v3
	v_accvgpr_write_b32 a170, v2
	v_add_f64 v[2:3], v[24:25], v[26:27]
	s_waitcnt lgkmcnt(1)
	v_mul_f64 v[24:25], v[248:249], v[232:233]
	ds_read_b128 v[230:233], v0 offset:1424
	ds_read_b128 v[120:123], v0 offset:1440
	v_fmac_f64_e32 v[24:25], v[250:251], v[10:11]
	v_add_f64 v[2:3], v[2:3], v[24:25]
	s_waitcnt vmcnt(14) lgkmcnt(2)
	v_mul_f64 v[24:25], v[234:235], v[116:117]
	s_waitcnt vmcnt(12)
	v_accvgpr_write_b32 a195, v101
	v_fmac_f64_e32 v[24:25], v[236:237], v[100:101]
	v_accvgpr_write_b32 a194, v100
	s_waitcnt vmcnt(9) lgkmcnt(1)
	v_mul_f64 v[100:101], v[230:231], v[102:103]
	v_accvgpr_write_b32 a197, v103
	s_waitcnt vmcnt(8)
	v_accvgpr_write_b32 a199, v133
	buffer_load_dword v106, off, s[0:3], 0 offset:616
	v_add_f64 v[2:3], v[2:3], v[24:25]
	v_accvgpr_write_b32 a196, v102
	v_fmac_f64_e32 v[100:101], v[232:233], v[132:133]
	v_accvgpr_write_b32 a198, v132
	v_fma_f64 v[102:103], v[128:129], v[34:35], -v[32:33]
	buffer_load_dword v128, off, s[0:3], 0 offset:608
	buffer_load_dword v131, off, s[0:3], 0 offset:604
	;; [unrolled: 1-line block ×7, first 2 shown]
	v_mul_f64 v[32:33], v[136:137], v[46:47]
	v_accvgpr_write_b32 a193, v117
	v_add_f64 v[100:101], v[2:3], v[100:101]
	v_accvgpr_write_b32 a192, v116
	v_fma_f64 v[126:127], v[112:113], v[30:31], -v[28:29]
	v_fma_f64 v[28:29], v[138:139], v[38:39], -v[36:37]
	ds_read_b128 v[36:39], v0 offset:1472
	v_fma_f64 v[24:25], v[40:41], v[52:53], -v[42:43]
	v_mul_f64 v[40:41], v[148:149], v[86:87]
	v_fma_f64 v[228:229], v[104:105], v[18:19], -v[16:17]
	v_fma_f64 v[104:105], v[108:109], v[22:23], -v[20:21]
	;; [unrolled: 1-line block ×4, first 2 shown]
	v_mul_f64 v[42:43], v[152:153], v[54:55]
	s_waitcnt vmcnt(14) lgkmcnt(1)
	v_mul_f64 v[46:47], v[120:121], v[6:7]
	v_fma_f64 v[16:17], v[150:151], v[56:57], -v[42:43]
	s_waitcnt vmcnt(12)
	v_fmac_f64_e32 v[46:47], v[122:123], v[118:119]
	v_accvgpr_write_b32 a201, v119
	v_accvgpr_write_b32 a200, v118
	ds_read_b128 v[116:119], v0 offset:1456
	v_add_f64 v[46:47], v[100:101], v[46:47]
	buffer_load_dword v101, off, s[0:3], 0 offset:636
	buffer_load_dword v100, off, s[0:3], 0 offset:632
	;; [unrolled: 1-line block ×21, first 2 shown]
	v_mul_f64 v[14:15], v[158:159], v[168:169]
	buffer_load_dword v158, off, s[0:3], 0 offset:704
	buffer_load_dword v153, off, s[0:3], 0 offset:716
	buffer_load_dword v159, off, s[0:3], 0 offset:708
	v_mul_f64 v[42:43], v[162:163], v[164:165]
	v_fma_f64 v[14:15], v[156:157], v[178:179], -v[14:15]
	v_fma_f64 v[12:13], v[160:161], v[166:167], -v[42:43]
	buffer_load_dword v156, off, s[0:3], 0 offset:744
	buffer_load_dword v163, off, s[0:3], 0 offset:732
	;; [unrolled: 1-line block ×12, first 2 shown]
	v_mul_f64 v[18:19], v[172:173], v[218:219]
	v_mul_f64 v[42:43], v[176:177], v[98:99]
	v_fma_f64 v[134:135], v[134:135], v[48:49], -v[32:33]
	v_fma_f64 v[32:33], v[170:171], v[220:221], -v[18:19]
	;; [unrolled: 1-line block ×3, first 2 shown]
	buffer_load_dword v173, off, s[0:3], 0 offset:780
	buffer_load_dword v172, off, s[0:3], 0 offset:776
	;; [unrolled: 1-line block ×12, first 2 shown]
	s_waitcnt vmcnt(58) lgkmcnt(0)
	v_mul_f64 v[40:41], v[116:117], v[246:247]
	s_waitcnt vmcnt(56)
	v_fmac_f64_e32 v[40:41], v[118:119], v[124:125]
	v_add_f64 v[22:23], v[46:47], v[40:41]
	v_mul_f64 v[40:41], v[184:185], v[94:95]
	v_fma_f64 v[8:9], v[182:183], v[96:97], -v[40:41]
	buffer_load_dword v183, off, s[0:3], 0 offset:828
	buffer_load_dword v182, off, s[0:3], 0 offset:824
	;; [unrolled: 1-line block ×4, first 2 shown]
	ds_read_b128 v[40:43], v0 offset:1488
	v_mul_f64 v[44:45], v[188:189], v[62:63]
	v_fma_f64 v[186:187], v[186:187], v[74:75], -v[44:45]
	ds_read_b128 v[44:47], v0 offset:1504
	v_mul_f64 v[52:53], v[192:193], v[72:73]
	v_pk_mov_b32 v[34:35], v[6:7], v[6:7] op_sel:[0,1]
	v_fma_f64 v[6:7], v[190:191], v[84:85], -v[52:53]
	v_mul_f64 v[56:57], v[196:197], v[58:59]
	v_fma_f64 v[4:5], v[194:195], v[60:61], -v[56:57]
	ds_read_b128 v[56:59], v0 offset:1552
	v_fma_f64 v[2:3], v[198:199], v[66:67], -v[64:65]
	ds_read_b128 v[64:67], v0 offset:1584
	v_mul_f64 v[68:69], v[204:205], v[68:69]
	v_fma_f64 v[18:19], v[202:203], v[70:71], -v[68:69]
	v_mul_f64 v[80:81], v[212:213], v[80:81]
	v_fma_f64 v[80:81], v[210:211], v[82:83], -v[80:81]
	v_accvgpr_write_b32 a205, v81
	v_accvgpr_write_b32 a204, v80
	v_mul_f64 v[88:89], v[216:217], v[88:89]
	v_fma_f64 v[202:203], v[214:215], v[90:91], -v[88:89]
	ds_read_b128 v[88:91], v0 offset:1680
	ds_read_b128 v[52:55], v0 offset:1536
	;; [unrolled: 1-line block ×4, first 2 shown]
	s_waitcnt vmcnt(56)
	v_mul_f64 v[48:49], v[36:37], v[130:131]
	s_waitcnt vmcnt(54)
	v_fmac_f64_e32 v[48:49], v[38:39], v[132:133]
	v_add_f64 v[22:23], v[22:23], v[48:49]
	s_waitcnt vmcnt(53) lgkmcnt(7)
	v_mul_f64 v[48:49], v[40:41], v[106:107]
	s_waitcnt vmcnt(52)
	v_fmac_f64_e32 v[48:49], v[42:43], v[128:129]
	v_add_f64 v[22:23], v[22:23], v[48:49]
	s_waitcnt vmcnt(41) lgkmcnt(2)
	v_mul_f64 v[60:61], v[52:53], v[144:145]
	v_mul_f64 v[48:49], v[44:45], v[100:101]
	s_waitcnt vmcnt(39)
	v_fmac_f64_e32 v[60:61], v[54:55], v[148:149]
	v_fmac_f64_e32 v[48:49], v[46:47], v[136:137]
	v_add_f64 v[22:23], v[22:23], v[48:49]
	ds_read_b128 v[48:51], v0 offset:1520
	s_waitcnt vmcnt(25) lgkmcnt(2)
	v_mul_f64 v[84:85], v[68:69], v[162:163]
	v_mul_f64 v[30:31], v[64:65], v[152:153]
	v_fmac_f64_e32 v[30:31], v[66:67], v[158:159]
	s_waitcnt vmcnt(23)
	v_fmac_f64_e32 v[84:85], v[70:71], v[166:167]
	s_waitcnt lgkmcnt(0)
	v_mul_f64 v[62:63], v[48:49], v[138:139]
	v_fmac_f64_e32 v[62:63], v[50:51], v[140:141]
	v_add_f64 v[22:23], v[22:23], v[62:63]
	v_add_f64 v[22:23], v[22:23], v[60:61]
	v_mul_f64 v[60:61], v[56:57], v[142:143]
	v_fmac_f64_e32 v[60:61], v[58:59], v[146:147]
	v_add_f64 v[22:23], v[22:23], v[60:61]
	ds_read_b128 v[60:63], v0 offset:1568
	s_waitcnt lgkmcnt(0)
	v_mul_f64 v[72:73], v[60:61], v[150:151]
	v_fmac_f64_e32 v[72:73], v[62:63], v[154:155]
	v_add_f64 v[22:23], v[22:23], v[72:73]
	ds_read_b128 v[72:75], v0 offset:1616
	v_add_f64 v[22:23], v[22:23], v[30:31]
	v_mul_f64 v[30:31], v[208:209], v[76:77]
	v_fma_f64 v[30:31], v[206:207], v[78:79], -v[30:31]
	ds_read_b128 v[76:79], v0 offset:1632
	v_add_f64 v[22:23], v[22:23], v[84:85]
	s_waitcnt vmcnt(21) lgkmcnt(1)
	v_mul_f64 v[84:85], v[72:73], v[156:157]
	s_waitcnt vmcnt(20)
	v_fmac_f64_e32 v[84:85], v[74:75], v[160:161]
	v_add_f64 v[22:23], v[22:23], v[84:85]
	ds_read_b128 v[84:87], v0 offset:1648
	s_waitcnt vmcnt(18) lgkmcnt(1)
	v_mul_f64 v[92:93], v[76:77], v[164:165]
	s_waitcnt vmcnt(16)
	v_fmac_f64_e32 v[92:93], v[78:79], v[168:169]
	v_add_f64 v[22:23], v[22:23], v[92:93]
	s_waitcnt vmcnt(14) lgkmcnt(0)
	v_mul_f64 v[92:93], v[84:85], v[172:173]
	s_waitcnt vmcnt(12)
	v_fmac_f64_e32 v[92:93], v[86:87], v[174:175]
	v_add_f64 v[22:23], v[22:23], v[92:93]
	s_waitcnt vmcnt(9)
	v_mul_f64 v[92:93], v[80:81], v[178:179]
	s_waitcnt vmcnt(7)
	v_fmac_f64_e32 v[92:93], v[82:83], v[180:181]
	v_add_f64 v[22:23], v[22:23], v[92:93]
	s_waitcnt vmcnt(5)
	v_mul_f64 v[92:93], v[88:89], v[170:171]
	s_waitcnt vmcnt(4)
	v_fmac_f64_e32 v[92:93], v[90:91], v[176:177]
	v_add_f64 v[22:23], v[22:23], v[92:93]
	ds_read_b128 v[92:95], v0 offset:1696
	s_waitcnt vmcnt(2) lgkmcnt(0)
	v_mul_f64 v[96:97], v[92:93], v[182:183]
	s_waitcnt vmcnt(0)
	v_fmac_f64_e32 v[96:97], v[94:95], v[184:185]
	v_add_f64 v[108:109], v[22:23], v[96:97]
	buffer_load_dword v22, off, s[0:3], 0 offset:840
	buffer_load_dword v23, off, s[0:3], 0 offset:844
	buffer_load_dword v188, off, s[0:3], 0 offset:832
	buffer_load_dword v189, off, s[0:3], 0 offset:836
	ds_read_b128 v[96:99], v0 offset:1712
	buffer_load_dword v191, off, s[0:3], 0 offset:860
	buffer_load_dword v190, off, s[0:3], 0 offset:856
	buffer_load_dword v193, off, s[0:3], 0 offset:852
	buffer_load_dword v192, off, s[0:3], 0 offset:848
	ds_read_b128 v[218:221], v0 offset:1728
	;; [unrolled: 5-line block ×3, first 2 shown]
	buffer_load_dword v199, off, s[0:3], 0 offset:892
	buffer_load_dword v198, off, s[0:3], 0 offset:888
	;; [unrolled: 1-line block ×4, first 2 shown]
	s_waitcnt vmcnt(14) lgkmcnt(2)
	v_mul_f64 v[110:111], v[96:97], v[22:23]
	s_waitcnt vmcnt(12)
	v_fmac_f64_e32 v[110:111], v[98:99], v[188:189]
	v_add_f64 v[108:109], v[108:109], v[110:111]
	s_waitcnt vmcnt(10) lgkmcnt(1)
	v_mul_f64 v[110:111], v[218:219], v[190:191]
	s_waitcnt vmcnt(8)
	v_fmac_f64_e32 v[110:111], v[220:221], v[192:193]
	v_add_f64 v[108:109], v[108:109], v[110:111]
	;; [unrolled: 5-line block ×3, first 2 shown]
	ds_read_b128 v[108:111], v0 offset:1760
	buffer_load_dword v204, off, s[0:3], 0 offset:904
	buffer_load_dword v205, off, s[0:3], 0 offset:908
	;; [unrolled: 1-line block ×4, first 2 shown]
	s_waitcnt vmcnt(6) lgkmcnt(0)
	v_mul_f64 v[114:115], v[108:109], v[198:199]
	s_waitcnt vmcnt(4)
	v_fmac_f64_e32 v[114:115], v[110:111], v[200:201]
	v_add_f64 v[208:209], v[112:113], v[114:115]
	ds_read_b128 v[112:115], v0 offset:1776
	s_waitcnt vmcnt(2) lgkmcnt(0)
	v_mul_f64 v[210:211], v[112:113], v[204:205]
	s_waitcnt vmcnt(0)
	v_fmac_f64_e32 v[210:211], v[114:115], v[206:207]
	v_add_f64 v[0:1], v[208:209], v[210:211]
	v_add_f64 v[208:209], v[222:223], 0
	;; [unrolled: 1-line block ×18, first 2 shown]
	buffer_load_dword v210, off, s[0:3], 0 offset:16
	buffer_load_dword v211, off, s[0:3], 0 offset:20
	v_add_f64 v[8:9], v[10:11], v[8:9]
	buffer_load_dword v208, off, s[0:3], 0 offset:24
	buffer_load_dword v209, off, s[0:3], 0 offset:28
	v_add_f64 v[8:9], v[8:9], v[186:187]
	v_add_f64 v[6:7], v[8:9], v[6:7]
	;; [unrolled: 1-line block ×3, first 2 shown]
	v_accvgpr_write_b32 a203, v1
	v_add_f64 v[2:3], v[4:5], v[2:3]
	v_accvgpr_write_b32 a202, v0
	v_add_f64 v[0:1], v[2:3], v[18:19]
	v_accvgpr_read_b32 v2, a168
	v_accvgpr_read_b32 v4, a170
	v_add_f64 v[216:217], v[0:1], v[30:31]
	v_accvgpr_read_b32 v0, a204
	v_accvgpr_read_b32 v3, a169
	;; [unrolled: 1-line block ×5, first 2 shown]
	v_mul_f64 v[2:3], v[6:7], v[2:3]
	v_accvgpr_read_b32 v6, a174
	v_add_f64 v[0:1], v[216:217], v[0:1]
	v_accvgpr_read_b32 v5, a171
	v_accvgpr_read_b32 v7, a175
	v_add_f64 v[0:1], v[0:1], v[202:203]
	v_fma_f64 v[2:3], v[4:5], v[6:7], -v[2:3]
	v_add_f64 v[0:1], v[0:1], v[2:3]
	v_accvgpr_read_b32 v2, a180
	v_accvgpr_read_b32 v3, a181
	v_accvgpr_read_b32 v4, a182
	v_mul_f64 v[2:3], v[254:255], v[2:3]
	v_accvgpr_read_b32 v5, a183
	v_fma_f64 v[2:3], v[252:253], v[4:5], -v[2:3]
	v_add_f64 v[0:1], v[0:1], v[2:3]
	v_accvgpr_read_b32 v2, a176
	v_accvgpr_read_b32 v3, a177
	v_accvgpr_read_b32 v4, a178
	v_mul_f64 v[2:3], v[244:245], v[2:3]
	v_accvgpr_read_b32 v5, a179
	;; [unrolled: 7-line block ×6, first 2 shown]
	v_fma_f64 v[2:3], v[230:231], v[4:5], -v[2:3]
	v_accvgpr_read_b32 v4, a200
	v_add_f64 v[0:1], v[0:1], v[2:3]
	v_mul_f64 v[2:3], v[122:123], v[34:35]
	v_accvgpr_read_b32 v5, a201
	v_fma_f64 v[2:3], v[120:121], v[4:5], -v[2:3]
	v_add_f64 v[0:1], v[0:1], v[2:3]
	v_mul_f64 v[2:3], v[118:119], v[246:247]
	v_fma_f64 v[2:3], v[116:117], v[124:125], -v[2:3]
	v_add_f64 v[0:1], v[0:1], v[2:3]
	v_mul_f64 v[2:3], v[38:39], v[130:131]
	;; [unrolled: 3-line block ×21, first 2 shown]
	v_fma_f64 v[2:3], v[112:113], v[206:207], -v[2:3]
	v_add_f64 v[0:1], v[0:1], v[2:3]
	v_accvgpr_read_b32 v2, a202
	s_waitcnt vmcnt(2)
	v_add_f64 v[0:1], v[210:211], -v[0:1]
	v_accvgpr_read_b32 v3, a203
	s_waitcnt vmcnt(0)
	v_add_f64 v[2:3], v[208:209], -v[2:3]
	buffer_store_dword v1, off, s[0:3], 0 offset:20
	buffer_store_dword v0, off, s[0:3], 0 offset:16
	;; [unrolled: 1-line block ×4, first 2 shown]
	s_cbranch_vccz .LBB119_461
; %bb.350:
	v_pk_mov_b32 v[0:1], s[10:11], s[10:11] op_sel:[0,1]
	flat_load_dword v0, v[0:1] offset:216
	s_waitcnt vmcnt(0) lgkmcnt(0)
	v_add_u32_e32 v0, -1, v0
	v_cmp_ne_u32_e32 vcc, 54, v0
	s_and_saveexec_b64 s[4:5], vcc
	s_cbranch_execz .LBB119_352
; %bb.351:
	v_mov_b32_e32 v1, 16
	v_accvgpr_read_b32 v9, a113
	v_lshl_add_u32 v0, v0, 4, v1
	buffer_load_dword v1, v9, s[0:3], 0 offen offset:4
	buffer_load_dword v2, v9, s[0:3], 0 offen offset:8
	buffer_load_dword v3, v9, s[0:3], 0 offen offset:12
	buffer_load_dword v4, v0, s[0:3], 0 offen
	buffer_load_dword v5, v0, s[0:3], 0 offen offset:4
	buffer_load_dword v6, v0, s[0:3], 0 offen offset:8
	buffer_load_dword v7, v0, s[0:3], 0 offen offset:12
	buffer_load_dword v8, v9, s[0:3], 0 offen
	s_waitcnt vmcnt(4)
	buffer_store_dword v4, v9, s[0:3], 0 offen
	s_waitcnt vmcnt(4)
	buffer_store_dword v5, v9, s[0:3], 0 offen offset:4
	s_waitcnt vmcnt(4)
	buffer_store_dword v6, v9, s[0:3], 0 offen offset:8
	s_waitcnt vmcnt(4)
	buffer_store_dword v7, v9, s[0:3], 0 offen offset:12
	buffer_store_dword v3, v0, s[0:3], 0 offen offset:12
	buffer_store_dword v2, v0, s[0:3], 0 offen offset:8
	buffer_store_dword v1, v0, s[0:3], 0 offen offset:4
	s_waitcnt vmcnt(7)
	buffer_store_dword v8, v0, s[0:3], 0 offen
.LBB119_352:
	s_or_b64 exec, exec, s[4:5]
	v_pk_mov_b32 v[0:1], s[10:11], s[10:11] op_sel:[0,1]
	flat_load_dword v0, v[0:1] offset:212
	s_waitcnt vmcnt(0) lgkmcnt(0)
	v_add_u32_e32 v0, -1, v0
	v_cmp_ne_u32_e32 vcc, 53, v0
	s_and_saveexec_b64 s[4:5], vcc
	s_cbranch_execz .LBB119_354
; %bb.353:
	v_mov_b32_e32 v1, 16
	v_accvgpr_read_b32 v9, a114
	v_lshl_add_u32 v0, v0, 4, v1
	buffer_load_dword v1, v9, s[0:3], 0 offen offset:4
	buffer_load_dword v2, v9, s[0:3], 0 offen offset:8
	buffer_load_dword v3, v9, s[0:3], 0 offen offset:12
	buffer_load_dword v4, v0, s[0:3], 0 offen
	buffer_load_dword v5, v0, s[0:3], 0 offen offset:4
	buffer_load_dword v6, v0, s[0:3], 0 offen offset:8
	buffer_load_dword v7, v0, s[0:3], 0 offen offset:12
	buffer_load_dword v8, v9, s[0:3], 0 offen
	s_waitcnt vmcnt(4)
	buffer_store_dword v4, v9, s[0:3], 0 offen
	s_waitcnt vmcnt(4)
	buffer_store_dword v5, v9, s[0:3], 0 offen offset:4
	s_waitcnt vmcnt(4)
	buffer_store_dword v6, v9, s[0:3], 0 offen offset:8
	s_waitcnt vmcnt(4)
	buffer_store_dword v7, v9, s[0:3], 0 offen offset:12
	buffer_store_dword v3, v0, s[0:3], 0 offen offset:12
	buffer_store_dword v2, v0, s[0:3], 0 offen offset:8
	buffer_store_dword v1, v0, s[0:3], 0 offen offset:4
	s_waitcnt vmcnt(7)
	buffer_store_dword v8, v0, s[0:3], 0 offen
.LBB119_354:
	s_or_b64 exec, exec, s[4:5]
	;; [unrolled: 34-line block ×54, first 2 shown]
	v_pk_mov_b32 v[0:1], s[10:11], s[10:11] op_sel:[0,1]
	flat_load_dword v0, v[0:1]
	s_waitcnt vmcnt(0) lgkmcnt(0)
	v_add_u32_e32 v0, -1, v0
	v_cmp_ne_u32_e32 vcc, 0, v0
	s_and_saveexec_b64 s[4:5], vcc
	s_cbranch_execz .LBB119_460
; %bb.459:
	v_mov_b32_e32 v1, 16
	v_lshl_add_u32 v0, v0, 4, v1
	buffer_load_dword v1, v0, s[0:3], 0 offen
	buffer_load_dword v2, v0, s[0:3], 0 offen offset:4
	buffer_load_dword v3, v0, s[0:3], 0 offen offset:8
	;; [unrolled: 1-line block ×3, first 2 shown]
	buffer_load_dword v5, off, s[0:3], 0 offset:28
	buffer_load_dword v6, off, s[0:3], 0 offset:24
	;; [unrolled: 1-line block ×4, first 2 shown]
	s_waitcnt vmcnt(7)
	buffer_store_dword v1, off, s[0:3], 0 offset:16
	s_waitcnt vmcnt(7)
	buffer_store_dword v2, off, s[0:3], 0 offset:20
	;; [unrolled: 2-line block ×4, first 2 shown]
	s_waitcnt vmcnt(7)
	buffer_store_dword v5, v0, s[0:3], 0 offen offset:12
	s_waitcnt vmcnt(7)
	buffer_store_dword v6, v0, s[0:3], 0 offen offset:8
	;; [unrolled: 2-line block ×3, first 2 shown]
	s_waitcnt vmcnt(7)
	buffer_store_dword v8, v0, s[0:3], 0 offen
.LBB119_460:
	s_or_b64 exec, exec, s[4:5]
.LBB119_461:
	buffer_load_dword v0, off, s[0:3], 0 offset:16
	buffer_load_dword v1, off, s[0:3], 0 offset:20
	;; [unrolled: 1-line block ×4, first 2 shown]
	v_accvgpr_read_b32 v4, a108
	v_accvgpr_read_b32 v5, a109
	s_waitcnt vmcnt(0)
	global_store_dwordx4 v[4:5], v[0:3], off
	s_nop 0
	v_accvgpr_read_b32 v3, a166
	buffer_load_dword v0, v3, s[0:3], 0 offen
	buffer_load_dword v1, v3, s[0:3], 0 offen offset:4
	buffer_load_dword v2, v3, s[0:3], 0 offen offset:8
	s_nop 0
	buffer_load_dword v3, v3, s[0:3], 0 offen offset:12
	v_accvgpr_read_b32 v4, a102
	v_accvgpr_read_b32 v5, a103
	s_waitcnt vmcnt(0)
	global_store_dwordx4 v[4:5], v[0:3], off
	s_nop 0
	v_accvgpr_read_b32 v3, a165
	buffer_load_dword v0, v3, s[0:3], 0 offen
	buffer_load_dword v1, v3, s[0:3], 0 offen offset:4
	buffer_load_dword v2, v3, s[0:3], 0 offen offset:8
	s_nop 0
	buffer_load_dword v3, v3, s[0:3], 0 offen offset:12
	;; [unrolled: 11-line block ×14, first 2 shown]
	v_accvgpr_read_b32 v4, a34
	v_accvgpr_read_b32 v5, a35
	s_waitcnt vmcnt(0)
	global_store_dwordx4 v[4:5], v[0:3], off
	v_accvgpr_read_b32 v4, a152
	buffer_load_dword v0, v4, s[0:3], 0 offen
	buffer_load_dword v1, v4, s[0:3], 0 offen offset:4
	buffer_load_dword v2, v4, s[0:3], 0 offen offset:8
	buffer_load_dword v3, v4, s[0:3], 0 offen offset:12
	v_accvgpr_read_b32 v4, a110
	v_accvgpr_read_b32 v5, a111
	s_waitcnt vmcnt(0)
	global_store_dwordx4 v[4:5], v[0:3], off
	v_accvgpr_read_b32 v4, a151
	buffer_load_dword v0, v4, s[0:3], 0 offen
	buffer_load_dword v1, v4, s[0:3], 0 offen offset:4
	buffer_load_dword v2, v4, s[0:3], 0 offen offset:8
	buffer_load_dword v3, v4, s[0:3], 0 offen offset:12
	;; [unrolled: 9-line block ×41, first 2 shown]
	v_accvgpr_read_b32 v5, a1
	v_accvgpr_read_b32 v4, a0
	s_waitcnt vmcnt(0)
	global_store_dwordx4 v[4:5], v[0:3], off
	s_endpgm
	.section	.rodata,"a",@progbits
	.p2align	6, 0x0
	.amdhsa_kernel _ZN9rocsolver6v33100L18getri_kernel_smallILi56E19rocblas_complex_numIdEPKPS3_EEvT1_iilPiilS8_bb
		.amdhsa_group_segment_fixed_size 1800
		.amdhsa_private_segment_fixed_size 928
		.amdhsa_kernarg_size 60
		.amdhsa_user_sgpr_count 8
		.amdhsa_user_sgpr_private_segment_buffer 1
		.amdhsa_user_sgpr_dispatch_ptr 0
		.amdhsa_user_sgpr_queue_ptr 0
		.amdhsa_user_sgpr_kernarg_segment_ptr 1
		.amdhsa_user_sgpr_dispatch_id 0
		.amdhsa_user_sgpr_flat_scratch_init 1
		.amdhsa_user_sgpr_kernarg_preload_length 0
		.amdhsa_user_sgpr_kernarg_preload_offset 0
		.amdhsa_user_sgpr_private_segment_size 0
		.amdhsa_uses_dynamic_stack 0
		.amdhsa_system_sgpr_private_segment_wavefront_offset 1
		.amdhsa_system_sgpr_workgroup_id_x 1
		.amdhsa_system_sgpr_workgroup_id_y 0
		.amdhsa_system_sgpr_workgroup_id_z 0
		.amdhsa_system_sgpr_workgroup_info 0
		.amdhsa_system_vgpr_workitem_id 0
		.amdhsa_next_free_vgpr 462
		.amdhsa_next_free_sgpr 22
		.amdhsa_accum_offset 256
		.amdhsa_reserve_vcc 1
		.amdhsa_reserve_flat_scratch 1
		.amdhsa_float_round_mode_32 0
		.amdhsa_float_round_mode_16_64 0
		.amdhsa_float_denorm_mode_32 3
		.amdhsa_float_denorm_mode_16_64 3
		.amdhsa_dx10_clamp 1
		.amdhsa_ieee_mode 1
		.amdhsa_fp16_overflow 0
		.amdhsa_tg_split 0
		.amdhsa_exception_fp_ieee_invalid_op 0
		.amdhsa_exception_fp_denorm_src 0
		.amdhsa_exception_fp_ieee_div_zero 0
		.amdhsa_exception_fp_ieee_overflow 0
		.amdhsa_exception_fp_ieee_underflow 0
		.amdhsa_exception_fp_ieee_inexact 0
		.amdhsa_exception_int_div_zero 0
	.end_amdhsa_kernel
	.section	.text._ZN9rocsolver6v33100L18getri_kernel_smallILi56E19rocblas_complex_numIdEPKPS3_EEvT1_iilPiilS8_bb,"axG",@progbits,_ZN9rocsolver6v33100L18getri_kernel_smallILi56E19rocblas_complex_numIdEPKPS3_EEvT1_iilPiilS8_bb,comdat
.Lfunc_end119:
	.size	_ZN9rocsolver6v33100L18getri_kernel_smallILi56E19rocblas_complex_numIdEPKPS3_EEvT1_iilPiilS8_bb, .Lfunc_end119-_ZN9rocsolver6v33100L18getri_kernel_smallILi56E19rocblas_complex_numIdEPKPS3_EEvT1_iilPiilS8_bb
                                        ; -- End function
	.section	.AMDGPU.csdata,"",@progbits
; Kernel info:
; codeLenInByte = 196200
; NumSgprs: 28
; NumVgprs: 256
; NumAgprs: 206
; TotalNumVgprs: 462
; ScratchSize: 928
; MemoryBound: 0
; FloatMode: 240
; IeeeMode: 1
; LDSByteSize: 1800 bytes/workgroup (compile time only)
; SGPRBlocks: 3
; VGPRBlocks: 57
; NumSGPRsForWavesPerEU: 28
; NumVGPRsForWavesPerEU: 462
; AccumOffset: 256
; Occupancy: 1
; WaveLimiterHint : 1
; COMPUTE_PGM_RSRC2:SCRATCH_EN: 1
; COMPUTE_PGM_RSRC2:USER_SGPR: 8
; COMPUTE_PGM_RSRC2:TRAP_HANDLER: 0
; COMPUTE_PGM_RSRC2:TGID_X_EN: 1
; COMPUTE_PGM_RSRC2:TGID_Y_EN: 0
; COMPUTE_PGM_RSRC2:TGID_Z_EN: 0
; COMPUTE_PGM_RSRC2:TIDIG_COMP_CNT: 0
; COMPUTE_PGM_RSRC3_GFX90A:ACCUM_OFFSET: 63
; COMPUTE_PGM_RSRC3_GFX90A:TG_SPLIT: 0
	.section	.text._ZN9rocsolver6v33100L18getri_kernel_smallILi57E19rocblas_complex_numIdEPKPS3_EEvT1_iilPiilS8_bb,"axG",@progbits,_ZN9rocsolver6v33100L18getri_kernel_smallILi57E19rocblas_complex_numIdEPKPS3_EEvT1_iilPiilS8_bb,comdat
	.globl	_ZN9rocsolver6v33100L18getri_kernel_smallILi57E19rocblas_complex_numIdEPKPS3_EEvT1_iilPiilS8_bb ; -- Begin function _ZN9rocsolver6v33100L18getri_kernel_smallILi57E19rocblas_complex_numIdEPKPS3_EEvT1_iilPiilS8_bb
	.p2align	8
	.type	_ZN9rocsolver6v33100L18getri_kernel_smallILi57E19rocblas_complex_numIdEPKPS3_EEvT1_iilPiilS8_bb,@function
_ZN9rocsolver6v33100L18getri_kernel_smallILi57E19rocblas_complex_numIdEPKPS3_EEvT1_iilPiilS8_bb: ; @_ZN9rocsolver6v33100L18getri_kernel_smallILi57E19rocblas_complex_numIdEPKPS3_EEvT1_iilPiilS8_bb
; %bb.0:
	s_add_u32 flat_scratch_lo, s6, s9
	s_addc_u32 flat_scratch_hi, s7, 0
	s_add_u32 s0, s0, s9
	v_mov_b32_e32 v254, v0
	s_addc_u32 s1, s1, 0
	v_cmp_gt_u32_e32 vcc, 57, v254
	s_and_saveexec_b64 s[6:7], vcc
	s_cbranch_execz .LBB120_242
; %bb.1:
	s_load_dword s18, s[4:5], 0x38
	s_load_dwordx2 s[6:7], s[4:5], 0x0
	s_load_dwordx4 s[12:15], s[4:5], 0x28
	s_waitcnt lgkmcnt(0)
	s_bitcmp1_b32 s18, 8
	s_cselect_b64 s[16:17], -1, 0
	s_ashr_i32 s9, s8, 31
	s_lshl_b64 s[10:11], s[8:9], 3
	s_add_u32 s6, s6, s10
	s_addc_u32 s7, s7, s11
	s_load_dwordx2 s[6:7], s[6:7], 0x0
	s_bfe_u32 s10, s18, 0x10008
	s_cmp_eq_u32 s10, 0
                                        ; implicit-def: $sgpr10_sgpr11
	s_cbranch_scc1 .LBB120_3
; %bb.2:
	s_load_dword s10, s[4:5], 0x20
	s_load_dwordx2 s[20:21], s[4:5], 0x18
	s_mul_i32 s11, s8, s13
	s_mul_hi_u32 s13, s8, s12
	s_add_i32 s13, s13, s11
	s_mul_i32 s19, s9, s12
	s_add_i32 s13, s13, s19
	s_mul_i32 s12, s8, s12
	s_waitcnt lgkmcnt(0)
	s_ashr_i32 s11, s10, 31
	s_lshl_b64 s[12:13], s[12:13], 2
	s_add_u32 s12, s20, s12
	s_addc_u32 s13, s21, s13
	s_lshl_b64 s[10:11], s[10:11], 2
	s_add_u32 s10, s12, s10
	s_addc_u32 s11, s13, s11
.LBB120_3:
	s_load_dwordx2 s[4:5], s[4:5], 0x8
	v_lshlrev_b32_e32 v1, 4, v254
	s_waitcnt lgkmcnt(0)
	s_ashr_i32 s13, s4, 31
	s_mov_b32 s12, s4
	s_lshl_b64 s[12:13], s[12:13], 4
	s_add_u32 s6, s6, s12
	s_addc_u32 s7, s7, s13
	v_mov_b32_e32 v0, s7
	v_add_co_u32_e32 v6, vcc, s6, v1
	s_ashr_i32 s13, s5, 31
	s_mov_b32 s12, s5
	v_addc_co_u32_e32 v7, vcc, 0, v0, vcc
	s_lshl_b64 s[12:13], s[12:13], 4
	v_accvgpr_write_b32 a0, v6
	s_add_i32 s4, s5, s5
	v_mov_b32_e32 v0, s13
	v_add_co_u32_e32 v10, vcc, s12, v6
	v_accvgpr_write_b32 a1, v7
	v_add_u32_e32 v6, s4, v254
	v_addc_co_u32_e32 v11, vcc, v7, v0, vcc
	v_ashrrev_i32_e32 v7, 31, v6
	v_lshlrev_b64 v[8:9], 4, v[6:7]
	v_mov_b32_e32 v0, s7
	v_add_co_u32_e32 v8, vcc, s6, v8
	v_add_u32_e32 v6, s5, v6
	v_addc_co_u32_e32 v9, vcc, v0, v9, vcc
	v_accvgpr_write_b32 a4, v8
	v_ashrrev_i32_e32 v7, 31, v6
	v_accvgpr_write_b32 a5, v9
	global_load_dwordx4 v[14:17], v[8:9], off
	v_lshlrev_b64 v[8:9], 4, v[6:7]
	v_add_u32_e32 v6, s5, v6
	v_add_co_u32_e32 v18, vcc, s6, v8
	v_ashrrev_i32_e32 v7, 31, v6
	v_addc_co_u32_e32 v19, vcc, v0, v9, vcc
	v_add_u32_e32 v8, s5, v6
	v_lshlrev_b64 v[6:7], 4, v[6:7]
	v_ashrrev_i32_e32 v9, 31, v8
	v_add_co_u32_e32 v22, vcc, s6, v6
	v_add_u32_e32 v26, s5, v8
	v_addc_co_u32_e32 v23, vcc, v0, v7, vcc
	v_lshlrev_b64 v[6:7], 4, v[8:9]
	v_mov_b32_e32 v28, s7
	v_ashrrev_i32_e32 v27, 31, v26
	v_add_co_u32_e32 v30, vcc, s6, v6
	v_add_u32_e32 v8, s5, v26
	v_addc_co_u32_e32 v31, vcc, v28, v7, vcc
	v_lshlrev_b64 v[6:7], 4, v[26:27]
	v_mov_b32_e32 v29, s7
	;; [unrolled: 6-line block ×3, first 2 shown]
	v_ashrrev_i32_e32 v43, 31, v42
	v_add_co_u32_e32 v8, vcc, s6, v6
	v_addc_co_u32_e32 v9, vcc, v34, v7, vcc
	v_lshlrev_b64 v[6:7], 4, v[42:43]
	v_add_co_u32_e32 v6, vcc, s6, v6
	v_addc_co_u32_e32 v7, vcc, v0, v7, vcc
	v_accvgpr_write_b32 a15, v7
	global_load_dwordx4 v[2:5], v1, s[6:7]
	global_load_dwordx4 v[38:41], v[6:7], off
	v_accvgpr_write_b32 a14, v6
	v_add_u32_e32 v6, s5, v42
	v_accvgpr_write_b32 a6, v18
	v_accvgpr_write_b32 a8, v8
	v_ashrrev_i32_e32 v7, 31, v6
	v_accvgpr_write_b32 a7, v19
	global_load_dwordx4 v[18:21], v[18:19], off
	v_accvgpr_write_b32 a9, v9
	global_load_dwordx4 v[34:37], v[8:9], off
	v_lshlrev_b64 v[8:9], 4, v[6:7]
	v_add_u32_e32 v6, s5, v6
	v_add_co_u32_e32 v42, vcc, s6, v8
	v_ashrrev_i32_e32 v7, 31, v6
	v_addc_co_u32_e32 v43, vcc, v0, v9, vcc
	v_lshlrev_b64 v[8:9], 4, v[6:7]
	v_add_co_u32_e32 v8, vcc, s6, v8
	v_addc_co_u32_e32 v9, vcc, v0, v9, vcc
	v_add_u32_e32 v6, s5, v6
	v_accvgpr_write_b32 a18, v22
	v_accvgpr_write_b32 a21, v9
	v_ashrrev_i32_e32 v7, 31, v6
	v_accvgpr_write_b32 a19, v23
	global_load_dwordx4 v[22:25], v[22:23], off
	v_accvgpr_write_b32 a20, v8
	global_load_dwordx4 v[46:49], v[8:9], off
	v_lshlrev_b64 v[8:9], 4, v[6:7]
	v_add_u32_e32 v6, s5, v6
	v_add_co_u32_e32 v50, vcc, s6, v8
	v_ashrrev_i32_e32 v7, 31, v6
	v_addc_co_u32_e32 v51, vcc, v0, v9, vcc
	v_lshlrev_b64 v[8:9], 4, v[6:7]
	v_add_co_u32_e32 v8, vcc, s6, v8
	v_addc_co_u32_e32 v9, vcc, v0, v9, vcc
	v_add_u32_e32 v6, s5, v6
	v_accvgpr_write_b32 a25, v9
	v_ashrrev_i32_e32 v7, 31, v6
	global_load_dwordx4 v[26:29], v[30:31], off
	global_load_dwordx4 v[54:57], v[8:9], off
	v_accvgpr_write_b32 a24, v8
	v_lshlrev_b64 v[8:9], 4, v[6:7]
	v_accvgpr_write_b32 a2, v10
	v_add_co_u32_e32 v58, vcc, s6, v8
	v_accvgpr_write_b32 a3, v11
	global_load_dwordx4 v[10:13], v[10:11], off
	v_accvgpr_write_b32 a22, v50
	v_addc_co_u32_e32 v59, vcc, v0, v9, vcc
	v_add_u32_e32 v6, s5, v6
	v_accvgpr_write_b32 a26, v58
	v_accvgpr_write_b32 a23, v51
	global_load_dwordx4 v[50:53], v[50:51], off
	v_ashrrev_i32_e32 v7, 31, v6
	v_accvgpr_write_b32 a27, v59
	global_load_dwordx4 v[58:61], v[58:59], off
	v_lshlrev_b64 v[8:9], 4, v[6:7]
	v_add_co_u32_e32 v8, vcc, s6, v8
	v_accvgpr_write_b32 a10, v30
	v_accvgpr_write_b32 a12, v32
	v_addc_co_u32_e32 v9, vcc, v0, v9, vcc
	v_add_u32_e32 v6, s5, v6
	v_accvgpr_write_b32 a11, v31
	v_accvgpr_write_b32 a13, v33
	global_load_dwordx4 v[30:33], v[32:33], off
	v_accvgpr_write_b32 a29, v9
	global_load_dwordx4 v[62:65], v[8:9], off
	v_ashrrev_i32_e32 v7, 31, v6
	v_accvgpr_write_b32 a28, v8
	v_lshlrev_b64 v[8:9], 4, v[6:7]
	v_add_co_u32_e32 v8, vcc, s6, v8
	v_add_u32_e32 v70, s5, v6
	v_accvgpr_write_b32 a16, v42
	v_addc_co_u32_e32 v9, vcc, v0, v9, vcc
	v_ashrrev_i32_e32 v71, 31, v70
	v_accvgpr_write_b32 a17, v43
	global_load_dwordx4 v[42:45], v[42:43], off
	v_lshlrev_b64 v[6:7], 4, v[70:71]
	global_load_dwordx4 v[66:69], v[8:9], off
	v_add_co_u32_e32 v6, vcc, s6, v6
	v_addc_co_u32_e32 v7, vcc, v0, v7, vcc
	v_accvgpr_write_b32 a31, v9
	v_accvgpr_write_b32 a33, v7
	;; [unrolled: 1-line block ×4, first 2 shown]
	global_load_dwordx4 v[6:9], v[6:7], off
	s_waitcnt vmcnt(15)
	buffer_store_dword v5, off, s[0:3], 0 offset:28
	buffer_store_dword v4, off, s[0:3], 0 offset:24
	;; [unrolled: 1-line block ×4, first 2 shown]
	s_waitcnt vmcnt(11)
	buffer_store_dword v13, off, s[0:3], 0 offset:44
	buffer_store_dword v12, off, s[0:3], 0 offset:40
	;; [unrolled: 1-line block ×20, first 2 shown]
	s_waitcnt vmcnt(28)
	buffer_store_dword v33, off, s[0:3], 0 offset:124
	buffer_store_dword v32, off, s[0:3], 0 offset:120
	;; [unrolled: 1-line block ×12, first 2 shown]
	s_waitcnt vmcnt(38)
	buffer_store_dword v42, off, s[0:3], 0 offset:160
	buffer_store_dword v43, off, s[0:3], 0 offset:164
	;; [unrolled: 1-line block ×16, first 2 shown]
	v_add_u32_e32 v2, s5, v70
	v_ashrrev_i32_e32 v3, 31, v2
	v_lshlrev_b64 v[4:5], 4, v[2:3]
	v_add_co_u32_e32 v10, vcc, s6, v4
	v_addc_co_u32_e32 v11, vcc, v0, v5, vcc
	v_add_u32_e32 v2, s5, v2
	buffer_store_dword v61, off, s[0:3], 0 offset:236
	buffer_store_dword v60, off, s[0:3], 0 offset:232
	;; [unrolled: 1-line block ×8, first 2 shown]
	s_waitcnt vmcnt(61)
	buffer_store_dword v69, off, s[0:3], 0 offset:268
	buffer_store_dword v68, off, s[0:3], 0 offset:264
	;; [unrolled: 1-line block ×4, first 2 shown]
	s_waitcnt vmcnt(62)
	buffer_store_dword v9, off, s[0:3], 0 offset:284
	v_ashrrev_i32_e32 v3, 31, v2
	v_accvgpr_write_b32 a35, v11
	v_lshlrev_b64 v[4:5], 4, v[2:3]
	v_accvgpr_write_b32 a34, v10
	global_load_dwordx4 v[10:13], v[10:11], off
	v_add_co_u32_e32 v4, vcc, s6, v4
	v_addc_co_u32_e32 v5, vcc, v0, v5, vcc
	v_add_u32_e32 v2, s5, v2
	v_accvgpr_write_b32 a37, v5
	v_ashrrev_i32_e32 v3, 31, v2
	v_accvgpr_write_b32 a36, v4
	global_load_dwordx4 v[14:17], v[4:5], off
	v_lshlrev_b64 v[4:5], 4, v[2:3]
	v_add_co_u32_e32 v18, vcc, s6, v4
	v_addc_co_u32_e32 v19, vcc, v0, v5, vcc
	v_add_u32_e32 v2, s5, v2
	v_ashrrev_i32_e32 v3, 31, v2
	v_accvgpr_write_b32 a39, v19
	v_lshlrev_b64 v[4:5], 4, v[2:3]
	v_accvgpr_write_b32 a38, v18
	global_load_dwordx4 v[18:21], v[18:19], off
	v_add_co_u32_e32 v4, vcc, s6, v4
	v_addc_co_u32_e32 v5, vcc, v0, v5, vcc
	global_load_dwordx4 v[22:25], v[4:5], off
	v_add_u32_e32 v2, s5, v2
	v_accvgpr_write_b32 a41, v5
	v_ashrrev_i32_e32 v3, 31, v2
	v_accvgpr_write_b32 a40, v4
	v_lshlrev_b64 v[4:5], 4, v[2:3]
	v_add_co_u32_e32 v26, vcc, s6, v4
	v_addc_co_u32_e32 v27, vcc, v0, v5, vcc
	v_add_u32_e32 v2, s5, v2
	v_ashrrev_i32_e32 v3, 31, v2
	v_accvgpr_write_b32 a43, v27
	v_lshlrev_b64 v[4:5], 4, v[2:3]
	v_accvgpr_write_b32 a42, v26
	global_load_dwordx4 v[26:29], v[26:27], off
	v_add_co_u32_e32 v4, vcc, s6, v4
	v_addc_co_u32_e32 v5, vcc, v0, v5, vcc
	global_load_dwordx4 v[30:33], v[4:5], off
	v_add_u32_e32 v2, s5, v2
	v_accvgpr_write_b32 a45, v5
	v_ashrrev_i32_e32 v3, 31, v2
	v_accvgpr_write_b32 a44, v4
	v_lshlrev_b64 v[4:5], 4, v[2:3]
	v_add_co_u32_e32 v34, vcc, s6, v4
	v_addc_co_u32_e32 v35, vcc, v0, v5, vcc
	v_add_u32_e32 v2, s5, v2
	v_ashrrev_i32_e32 v3, 31, v2
	v_accvgpr_write_b32 a47, v35
	v_lshlrev_b64 v[4:5], 4, v[2:3]
	v_accvgpr_write_b32 a46, v34
	global_load_dwordx4 v[34:37], v[34:35], off
	v_add_co_u32_e32 v4, vcc, s6, v4
	v_addc_co_u32_e32 v5, vcc, v0, v5, vcc
	global_load_dwordx4 v[38:41], v[4:5], off
	v_add_u32_e32 v2, s5, v2
	v_accvgpr_write_b32 a49, v5
	v_ashrrev_i32_e32 v3, 31, v2
	v_accvgpr_write_b32 a48, v4
	v_lshlrev_b64 v[4:5], 4, v[2:3]
	v_add_co_u32_e32 v42, vcc, s6, v4
	v_addc_co_u32_e32 v43, vcc, v0, v5, vcc
	v_add_u32_e32 v2, s5, v2
	v_ashrrev_i32_e32 v3, 31, v2
	v_accvgpr_write_b32 a51, v43
	v_lshlrev_b64 v[4:5], 4, v[2:3]
	v_accvgpr_write_b32 a50, v42
	global_load_dwordx4 v[42:45], v[42:43], off
	v_add_co_u32_e32 v4, vcc, s6, v4
	v_addc_co_u32_e32 v5, vcc, v0, v5, vcc
	global_load_dwordx4 v[46:49], v[4:5], off
	v_add_u32_e32 v2, s5, v2
	v_accvgpr_write_b32 a53, v5
	v_ashrrev_i32_e32 v3, 31, v2
	v_accvgpr_write_b32 a52, v4
	v_lshlrev_b64 v[4:5], 4, v[2:3]
	v_add_co_u32_e32 v50, vcc, s6, v4
	v_addc_co_u32_e32 v51, vcc, v0, v5, vcc
	v_add_u32_e32 v2, s5, v2
	v_accvgpr_write_b32 a55, v51
	v_ashrrev_i32_e32 v3, 31, v2
	v_accvgpr_write_b32 a54, v50
	global_load_dwordx4 v[50:53], v[50:51], off
	v_lshlrev_b64 v[4:5], 4, v[2:3]
	v_add_co_u32_e32 v4, vcc, s6, v4
	v_addc_co_u32_e32 v5, vcc, v0, v5, vcc
	global_load_dwordx4 v[54:57], v[4:5], off
	v_add_u32_e32 v2, s5, v2
	v_accvgpr_write_b32 a57, v5
	v_ashrrev_i32_e32 v3, 31, v2
	v_accvgpr_write_b32 a56, v4
	v_lshlrev_b64 v[4:5], 4, v[2:3]
	v_add_co_u32_e32 v58, vcc, s6, v4
	v_addc_co_u32_e32 v59, vcc, v0, v5, vcc
	v_add_u32_e32 v2, s5, v2
	v_accvgpr_write_b32 a58, v58
	v_ashrrev_i32_e32 v3, 31, v2
	v_accvgpr_write_b32 a59, v59
	global_load_dwordx4 v[58:61], v[58:59], off
	v_lshlrev_b64 v[4:5], 4, v[2:3]
	v_add_co_u32_e32 v4, vcc, s6, v4
	v_addc_co_u32_e32 v5, vcc, v0, v5, vcc
	global_load_dwordx4 v[62:65], v[4:5], off
	v_add_u32_e32 v2, s5, v2
	v_accvgpr_write_b32 a61, v5
	v_ashrrev_i32_e32 v3, 31, v2
	v_accvgpr_write_b32 a60, v4
	v_lshlrev_b64 v[4:5], 4, v[2:3]
	v_add_co_u32_e32 v66, vcc, s6, v4
	v_addc_co_u32_e32 v67, vcc, v0, v5, vcc
	v_add_u32_e32 v2, s5, v2
	v_accvgpr_write_b32 a62, v66
	v_ashrrev_i32_e32 v3, 31, v2
	v_accvgpr_write_b32 a63, v67
	global_load_dwordx4 v[66:69], v[66:67], off
	v_lshlrev_b64 v[4:5], 4, v[2:3]
	v_add_co_u32_e32 v4, vcc, s6, v4
	v_addc_co_u32_e32 v5, vcc, v0, v5, vcc
	global_load_dwordx4 v[70:73], v[4:5], off
	v_add_u32_e32 v2, s5, v2
	v_accvgpr_write_b32 a65, v5
	v_ashrrev_i32_e32 v3, 31, v2
	v_accvgpr_write_b32 a64, v4
	v_lshlrev_b64 v[4:5], 4, v[2:3]
	v_add_co_u32_e32 v74, vcc, s6, v4
	v_addc_co_u32_e32 v75, vcc, v0, v5, vcc
	v_add_u32_e32 v2, s5, v2
	v_accvgpr_write_b32 a66, v74
	v_ashrrev_i32_e32 v3, 31, v2
	v_accvgpr_write_b32 a67, v75
	global_load_dwordx4 v[74:77], v[74:75], off
	v_lshlrev_b64 v[4:5], 4, v[2:3]
	v_add_co_u32_e32 v4, vcc, s6, v4
	v_addc_co_u32_e32 v5, vcc, v0, v5, vcc
	global_load_dwordx4 v[78:81], v[4:5], off
	v_add_u32_e32 v2, s5, v2
	v_accvgpr_write_b32 a69, v5
	v_ashrrev_i32_e32 v3, 31, v2
	v_accvgpr_write_b32 a68, v4
	v_lshlrev_b64 v[4:5], 4, v[2:3]
	v_add_co_u32_e32 v4, vcc, s6, v4
	v_add_u32_e32 v86, s5, v2
	v_addc_co_u32_e32 v5, vcc, v0, v5, vcc
	v_ashrrev_i32_e32 v87, 31, v86
	v_lshlrev_b64 v[2:3], 4, v[86:87]
	global_load_dwordx4 v[82:85], v[4:5], off
	v_add_co_u32_e32 v2, vcc, s6, v2
	v_addc_co_u32_e32 v3, vcc, v0, v3, vcc
	v_accvgpr_write_b32 a71, v5
	v_accvgpr_write_b32 a73, v3
	v_accvgpr_write_b32 a70, v4
	v_accvgpr_write_b32 a72, v2
	global_load_dwordx4 v[2:5], v[2:3], off
	s_nop 0
	buffer_store_dword v8, off, s[0:3], 0 offset:280
	buffer_store_dword v7, off, s[0:3], 0 offset:276
	buffer_store_dword v6, off, s[0:3], 0 offset:272
	s_waitcnt vmcnt(22)
	buffer_store_dword v13, off, s[0:3], 0 offset:300
	buffer_store_dword v12, off, s[0:3], 0 offset:296
	buffer_store_dword v11, off, s[0:3], 0 offset:292
	buffer_store_dword v10, off, s[0:3], 0 offset:288
	s_waitcnt vmcnt(25)
	buffer_store_dword v17, off, s[0:3], 0 offset:316
	;; [unrolled: 5-line block ×15, first 2 shown]
	buffer_store_dword v68, off, s[0:3], 0 offset:520
	buffer_store_dword v67, off, s[0:3], 0 offset:516
	;; [unrolled: 1-line block ×11, first 2 shown]
	s_waitcnt vmcnt(62)
	buffer_store_dword v81, off, s[0:3], 0 offset:572
	buffer_store_dword v80, off, s[0:3], 0 offset:568
	buffer_store_dword v79, off, s[0:3], 0 offset:564
	buffer_store_dword v78, off, s[0:3], 0 offset:560
	buffer_store_dword v85, off, s[0:3], 0 offset:588
	buffer_store_dword v84, off, s[0:3], 0 offset:584
	buffer_store_dword v83, off, s[0:3], 0 offset:580
	buffer_store_dword v82, off, s[0:3], 0 offset:576
	buffer_store_dword v5, off, s[0:3], 0 offset:604
	v_add_u32_e32 v6, s5, v86
	v_ashrrev_i32_e32 v7, 31, v6
	v_lshlrev_b64 v[8:9], 4, v[6:7]
	v_add_u32_e32 v14, s5, v6
	v_add_co_u32_e32 v8, vcc, s6, v8
	v_ashrrev_i32_e32 v15, 31, v14
	v_addc_co_u32_e32 v9, vcc, v0, v9, vcc
	v_lshlrev_b64 v[6:7], 4, v[14:15]
	v_add_co_u32_e32 v10, vcc, s6, v6
	v_accvgpr_write_b32 a77, v9
	v_addc_co_u32_e32 v11, vcc, v0, v7, vcc
	v_accvgpr_write_b32 a76, v8
	global_load_dwordx4 v[6:9], v[8:9], off
	v_add_u32_e32 v14, s5, v14
	v_accvgpr_write_b32 a79, v11
	v_ashrrev_i32_e32 v15, 31, v14
	v_accvgpr_write_b32 a78, v10
	global_load_dwordx4 v[10:13], v[10:11], off
	v_lshlrev_b64 v[16:17], 4, v[14:15]
	v_add_u32_e32 v22, s5, v14
	v_add_co_u32_e32 v16, vcc, s6, v16
	v_ashrrev_i32_e32 v23, 31, v22
	v_addc_co_u32_e32 v17, vcc, v0, v17, vcc
	v_lshlrev_b64 v[14:15], 4, v[22:23]
	v_add_co_u32_e32 v18, vcc, s6, v14
	v_accvgpr_write_b32 a81, v17
	v_addc_co_u32_e32 v19, vcc, v0, v15, vcc
	v_accvgpr_write_b32 a80, v16
	global_load_dwordx4 v[14:17], v[16:17], off
	v_add_u32_e32 v22, s5, v22
	v_accvgpr_write_b32 a83, v19
	v_ashrrev_i32_e32 v23, 31, v22
	v_accvgpr_write_b32 a82, v18
	global_load_dwordx4 v[18:21], v[18:19], off
	;; [unrolled: 16-line block ×9, first 2 shown]
	v_lshlrev_b64 v[80:81], 4, v[78:79]
	v_add_co_u32_e32 v80, vcc, s6, v80
	v_addc_co_u32_e32 v81, vcc, v0, v81, vcc
	v_add_u32_e32 v78, s5, v78
	v_ashrrev_i32_e32 v79, 31, v78
	v_accvgpr_write_b32 a113, v81
	v_lshlrev_b64 v[82:83], 4, v[78:79]
	v_accvgpr_write_b32 a112, v80
	global_load_dwordx4 v[78:81], v[80:81], off
	v_add_co_u32_e32 v82, vcc, s6, v82
	v_addc_co_u32_e32 v83, vcc, v0, v83, vcc
	v_accvgpr_write_b32 a74, v82
	v_accvgpr_write_b32 a75, v83
	global_load_dwordx4 v[82:85], v[82:83], off
	v_mov_b32_e32 v0, 16
	buffer_store_dword v4, off, s[0:3], 0 offset:600
	buffer_store_dword v3, off, s[0:3], 0 offset:596
	buffer_store_dword v2, off, s[0:3], 0 offset:592
	s_waitcnt vmcnt(22)
	buffer_store_dword v9, off, s[0:3], 0 offset:620
	buffer_store_dword v8, off, s[0:3], 0 offset:616
	buffer_store_dword v7, off, s[0:3], 0 offset:612
	buffer_store_dword v6, off, s[0:3], 0 offset:608
	s_waitcnt vmcnt(25)
	buffer_store_dword v13, off, s[0:3], 0 offset:636
	;; [unrolled: 5-line block ×15, first 2 shown]
	buffer_store_dword v64, off, s[0:3], 0 offset:840
	buffer_store_dword v63, off, s[0:3], 0 offset:836
	;; [unrolled: 1-line block ×11, first 2 shown]
	s_waitcnt vmcnt(62)
	buffer_store_dword v77, off, s[0:3], 0 offset:892
	buffer_store_dword v76, off, s[0:3], 0 offset:888
	buffer_store_dword v75, off, s[0:3], 0 offset:884
	buffer_store_dword v74, off, s[0:3], 0 offset:880
	buffer_store_dword v81, off, s[0:3], 0 offset:908
	buffer_store_dword v80, off, s[0:3], 0 offset:904
	buffer_store_dword v79, off, s[0:3], 0 offset:900
	buffer_store_dword v78, off, s[0:3], 0 offset:896
	buffer_store_dword v85, off, s[0:3], 0 offset:924
	buffer_store_dword v84, off, s[0:3], 0 offset:920
	buffer_store_dword v83, off, s[0:3], 0 offset:916
	buffer_store_dword v82, off, s[0:3], 0 offset:912
	v_add_u32_e32 v2, 16, v0
	v_accvgpr_write_b32 a169, v2
	v_add_u32_e32 v2, 32, v0
	v_accvgpr_write_b32 a168, v2
	;; [unrolled: 2-line block ×54, first 2 shown]
	v_add_u32_e32 v2, 0x370, v0
	v_add_u32_e32 v0, 0x380, v0
	s_bitcmp0_b32 s18, 0
	v_accvgpr_write_b32 a115, v2
	v_accvgpr_write_b32 a114, v0
	s_mov_b64 s[6:7], -1
	s_cbranch_scc1 .LBB120_240
; %bb.4:
	v_cmp_eq_u32_e64 s[4:5], 0, v254
	s_and_saveexec_b64 s[6:7], s[4:5]
	s_cbranch_execz .LBB120_6
; %bb.5:
	v_mov_b32_e32 v0, 0
	ds_write_b32 v0, v0 offset:1824
.LBB120_6:
	s_or_b64 exec, exec, s[6:7]
	v_mov_b32_e32 v0, 16
	v_lshl_add_u32 v12, v254, 4, v0
	s_waitcnt lgkmcnt(0)
	; wave barrier
	s_waitcnt lgkmcnt(0)
	buffer_load_dword v2, v12, s[0:3], 0 offen
	buffer_load_dword v3, v12, s[0:3], 0 offen offset:4
	buffer_load_dword v4, v12, s[0:3], 0 offen offset:8
	;; [unrolled: 1-line block ×3, first 2 shown]
	s_waitcnt vmcnt(2)
	v_cmp_eq_f64_e32 vcc, 0, v[2:3]
	s_waitcnt vmcnt(0)
	v_cmp_eq_f64_e64 s[6:7], 0, v[4:5]
	s_and_b64 s[6:7], vcc, s[6:7]
	s_and_saveexec_b64 s[12:13], s[6:7]
	s_cbranch_execz .LBB120_10
; %bb.7:
	v_mov_b32_e32 v2, 0
	ds_read_b32 v0, v2 offset:1824
	v_add_u32_e32 v3, 1, v254
	s_waitcnt lgkmcnt(0)
	v_readfirstlane_b32 s6, v0
	s_cmp_eq_u32 s6, 0
	s_cselect_b64 s[18:19], -1, 0
	v_cmp_gt_i32_e32 vcc, s6, v3
	s_or_b64 s[18:19], s[18:19], vcc
	s_and_b64 exec, exec, s[18:19]
	s_cbranch_execz .LBB120_10
; %bb.8:
	s_mov_b64 s[18:19], 0
	v_mov_b32_e32 v4, s6
.LBB120_9:                              ; =>This Inner Loop Header: Depth=1
	ds_cmpst_rtn_b32 v4, v2, v4, v3 offset:1824
	s_waitcnt lgkmcnt(0)
	v_cmp_ne_u32_e32 vcc, 0, v4
	v_cmp_le_i32_e64 s[6:7], v4, v3
	s_and_b64 s[6:7], vcc, s[6:7]
	s_and_b64 s[6:7], exec, s[6:7]
	s_or_b64 s[18:19], s[6:7], s[18:19]
	s_andn2_b64 exec, exec, s[18:19]
	s_cbranch_execnz .LBB120_9
.LBB120_10:
	s_or_b64 exec, exec, s[12:13]
	v_mov_b32_e32 v3, 0
	s_waitcnt lgkmcnt(0)
	; wave barrier
	ds_read_b32 v2, v3 offset:1824
	s_and_saveexec_b64 s[6:7], s[4:5]
	s_cbranch_execz .LBB120_12
; %bb.11:
	s_lshl_b64 s[12:13], s[8:9], 2
	s_add_u32 s12, s14, s12
	s_addc_u32 s13, s15, s13
	s_waitcnt lgkmcnt(0)
	global_store_dword v3, v2, s[12:13]
.LBB120_12:
	s_or_b64 exec, exec, s[6:7]
	s_waitcnt lgkmcnt(0)
	v_cmp_ne_u32_e32 vcc, 0, v2
	s_mov_b64 s[6:7], 0
	s_cbranch_vccnz .LBB120_240
; %bb.13:
	buffer_load_dword v7, v12, s[0:3], 0 offen offset:4
	buffer_load_dword v6, v12, s[0:3], 0 offen
	buffer_load_dword v9, v12, s[0:3], 0 offen offset:12
	buffer_load_dword v8, v12, s[0:3], 0 offen offset:8
                                        ; implicit-def: $vgpr10_vgpr11
	s_waitcnt vmcnt(3)
	v_xor_b32_e32 v0, 0x80000000, v7
	s_waitcnt vmcnt(2)
	v_cmp_gt_f64_e32 vcc, 0, v[6:7]
	s_waitcnt vmcnt(1)
	v_xor_b32_e32 v4, 0x80000000, v9
	v_cndmask_b32_e32 v3, v7, v0, vcc
	s_waitcnt vmcnt(0)
	v_cmp_gt_f64_e32 vcc, 0, v[8:9]
	v_mov_b32_e32 v2, v6
	v_cndmask_b32_e32 v5, v9, v4, vcc
	v_mov_b32_e32 v4, v8
	v_cmp_ngt_f64_e32 vcc, v[2:3], v[4:5]
                                        ; implicit-def: $vgpr4_vgpr5
	s_and_saveexec_b64 s[6:7], vcc
	s_xor_b64 s[6:7], exec, s[6:7]
	s_cbranch_execz .LBB120_15
; %bb.14:
	v_div_scale_f64 v[2:3], s[12:13], v[8:9], v[8:9], v[6:7]
	v_rcp_f64_e32 v[4:5], v[2:3]
	v_div_scale_f64 v[10:11], vcc, v[6:7], v[8:9], v[6:7]
	v_fma_f64 v[14:15], -v[2:3], v[4:5], 1.0
	v_fmac_f64_e32 v[4:5], v[4:5], v[14:15]
	v_fma_f64 v[14:15], -v[2:3], v[4:5], 1.0
	v_fmac_f64_e32 v[4:5], v[4:5], v[14:15]
	v_mul_f64 v[14:15], v[10:11], v[4:5]
	v_fma_f64 v[2:3], -v[2:3], v[14:15], v[10:11]
	v_div_fmas_f64 v[2:3], v[2:3], v[4:5], v[14:15]
	v_div_fixup_f64 v[2:3], v[2:3], v[8:9], v[6:7]
	v_fmac_f64_e32 v[8:9], v[6:7], v[2:3]
	v_div_scale_f64 v[4:5], s[12:13], v[8:9], v[8:9], 1.0
	v_rcp_f64_e32 v[6:7], v[4:5]
	v_fma_f64 v[10:11], -v[4:5], v[6:7], 1.0
	v_fmac_f64_e32 v[6:7], v[6:7], v[10:11]
	v_fma_f64 v[10:11], -v[4:5], v[6:7], 1.0
	v_fmac_f64_e32 v[6:7], v[6:7], v[10:11]
	v_div_scale_f64 v[10:11], vcc, 1.0, v[8:9], 1.0
	v_mul_f64 v[14:15], v[10:11], v[6:7]
	v_fma_f64 v[4:5], -v[4:5], v[14:15], v[10:11]
	s_nop 1
	v_div_fmas_f64 v[4:5], v[4:5], v[6:7], v[14:15]
	v_div_fixup_f64 v[4:5], v[4:5], v[8:9], 1.0
	v_mul_f64 v[10:11], v[2:3], v[4:5]
	v_xor_b32_e32 v5, 0x80000000, v5
	v_xor_b32_e32 v3, 0x80000000, v11
	v_mov_b32_e32 v2, v10
                                        ; implicit-def: $vgpr6_vgpr7
                                        ; implicit-def: $vgpr8_vgpr9
.LBB120_15:
	s_andn2_saveexec_b64 s[6:7], s[6:7]
	s_cbranch_execz .LBB120_17
; %bb.16:
	v_div_scale_f64 v[2:3], s[12:13], v[6:7], v[6:7], v[8:9]
	v_rcp_f64_e32 v[4:5], v[2:3]
	v_div_scale_f64 v[10:11], vcc, v[8:9], v[6:7], v[8:9]
	v_fma_f64 v[14:15], -v[2:3], v[4:5], 1.0
	v_fmac_f64_e32 v[4:5], v[4:5], v[14:15]
	v_fma_f64 v[14:15], -v[2:3], v[4:5], 1.0
	v_fmac_f64_e32 v[4:5], v[4:5], v[14:15]
	v_mul_f64 v[14:15], v[10:11], v[4:5]
	v_fma_f64 v[2:3], -v[2:3], v[14:15], v[10:11]
	v_div_fmas_f64 v[2:3], v[2:3], v[4:5], v[14:15]
	v_div_fixup_f64 v[4:5], v[2:3], v[6:7], v[8:9]
	v_fmac_f64_e32 v[6:7], v[8:9], v[4:5]
	v_div_scale_f64 v[2:3], s[12:13], v[6:7], v[6:7], 1.0
	v_rcp_f64_e32 v[8:9], v[2:3]
	v_fma_f64 v[10:11], -v[2:3], v[8:9], 1.0
	v_fmac_f64_e32 v[8:9], v[8:9], v[10:11]
	v_fma_f64 v[10:11], -v[2:3], v[8:9], 1.0
	v_fmac_f64_e32 v[8:9], v[8:9], v[10:11]
	v_div_scale_f64 v[10:11], vcc, 1.0, v[6:7], 1.0
	v_mul_f64 v[14:15], v[10:11], v[8:9]
	v_fma_f64 v[2:3], -v[2:3], v[14:15], v[10:11]
	s_nop 1
	v_div_fmas_f64 v[2:3], v[2:3], v[8:9], v[14:15]
	v_div_fixup_f64 v[10:11], v[2:3], v[6:7], 1.0
	v_xor_b32_e32 v3, 0x80000000, v11
	v_mov_b32_e32 v2, v10
	v_mul_f64 v[4:5], v[4:5], -v[10:11]
.LBB120_17:
	s_or_b64 exec, exec, s[6:7]
	buffer_store_dword v11, v12, s[0:3], 0 offen offset:4
	buffer_store_dword v10, v12, s[0:3], 0 offen
	buffer_store_dword v5, v12, s[0:3], 0 offen offset:12
	buffer_store_dword v4, v12, s[0:3], 0 offen offset:8
	v_accvgpr_read_b32 v0, a169
	buffer_load_dword v11, v0, s[0:3], 0 offen offset:12
	buffer_load_dword v10, v0, s[0:3], 0 offen offset:8
	;; [unrolled: 1-line block ×3, first 2 shown]
	buffer_load_dword v8, v0, s[0:3], 0 offen
	v_xor_b32_e32 v5, 0x80000000, v5
	v_add_u32_e32 v6, 0x390, v1
	ds_write_b128 v1, v[2:5]
	s_waitcnt vmcnt(0)
	ds_write_b128 v1, v[8:11] offset:912
	s_waitcnt lgkmcnt(0)
	; wave barrier
	s_waitcnt lgkmcnt(0)
	s_and_saveexec_b64 s[6:7], s[4:5]
	s_cbranch_execz .LBB120_19
; %bb.18:
	buffer_load_dword v14, v12, s[0:3], 0 offen offset:8
	buffer_load_dword v15, v12, s[0:3], 0 offen offset:12
	buffer_load_dword v16, v12, s[0:3], 0 offen
	buffer_load_dword v17, v12, s[0:3], 0 offen offset:4
	ds_read_b128 v[2:5], v6
	v_mov_b32_e32 v0, 0
	ds_read_b128 v[8:11], v0 offset:16
	s_waitcnt vmcnt(2) lgkmcnt(1)
	v_mul_f64 v[18:19], v[4:5], v[14:15]
	v_mul_f64 v[14:15], v[2:3], v[14:15]
	s_waitcnt vmcnt(0)
	v_fmac_f64_e32 v[14:15], v[4:5], v[16:17]
	v_fma_f64 v[2:3], v[2:3], v[16:17], -v[18:19]
	v_add_f64 v[4:5], v[14:15], 0
	v_add_f64 v[2:3], v[2:3], 0
	s_waitcnt lgkmcnt(0)
	v_mul_f64 v[14:15], v[4:5], v[10:11]
	v_mul_f64 v[10:11], v[2:3], v[10:11]
	v_fma_f64 v[2:3], v[2:3], v[8:9], -v[14:15]
	v_fmac_f64_e32 v[10:11], v[4:5], v[8:9]
	buffer_store_dword v2, off, s[0:3], 0 offset:32
	buffer_store_dword v3, off, s[0:3], 0 offset:36
	;; [unrolled: 1-line block ×4, first 2 shown]
.LBB120_19:
	s_or_b64 exec, exec, s[6:7]
	v_accvgpr_read_b32 v0, a168
	s_waitcnt lgkmcnt(0)
	; wave barrier
	buffer_load_dword v2, v0, s[0:3], 0 offen
	buffer_load_dword v3, v0, s[0:3], 0 offen offset:4
	buffer_load_dword v4, v0, s[0:3], 0 offen offset:8
	;; [unrolled: 1-line block ×3, first 2 shown]
	v_cmp_gt_u32_e32 vcc, 2, v254
	s_waitcnt vmcnt(0)
	ds_write_b128 v6, v[2:5]
	s_waitcnt lgkmcnt(0)
	; wave barrier
	s_waitcnt lgkmcnt(0)
	s_and_saveexec_b64 s[6:7], vcc
	s_cbranch_execz .LBB120_23
; %bb.20:
	buffer_load_dword v8, v12, s[0:3], 0 offen offset:8
	buffer_load_dword v9, v12, s[0:3], 0 offen offset:12
	buffer_load_dword v10, v12, s[0:3], 0 offen
	buffer_load_dword v11, v12, s[0:3], 0 offen offset:4
	ds_read_b128 v[2:5], v6
	s_waitcnt vmcnt(2) lgkmcnt(0)
	v_mul_f64 v[12:13], v[4:5], v[8:9]
	v_mul_f64 v[8:9], v[2:3], v[8:9]
	s_waitcnt vmcnt(0)
	v_fma_f64 v[2:3], v[2:3], v[10:11], -v[12:13]
	v_fmac_f64_e32 v[8:9], v[4:5], v[10:11]
	v_add_f64 v[4:5], v[2:3], 0
	v_add_f64 v[2:3], v[8:9], 0
	s_and_saveexec_b64 s[12:13], s[4:5]
	s_cbranch_execz .LBB120_22
; %bb.21:
	buffer_load_dword v12, off, s[0:3], 0 offset:40
	buffer_load_dword v13, off, s[0:3], 0 offset:44
	;; [unrolled: 1-line block ×4, first 2 shown]
	v_mov_b32_e32 v0, 0
	ds_read_b128 v[8:11], v0 offset:928
	s_waitcnt vmcnt(2) lgkmcnt(0)
	v_mul_f64 v[16:17], v[8:9], v[12:13]
	v_mul_f64 v[12:13], v[10:11], v[12:13]
	s_waitcnt vmcnt(0)
	v_fmac_f64_e32 v[16:17], v[10:11], v[14:15]
	v_fma_f64 v[8:9], v[8:9], v[14:15], -v[12:13]
	v_add_f64 v[2:3], v[2:3], v[16:17]
	v_add_f64 v[4:5], v[4:5], v[8:9]
.LBB120_22:
	s_or_b64 exec, exec, s[12:13]
	v_mov_b32_e32 v0, 0
	ds_read_b128 v[8:11], v0 offset:32
	s_waitcnt lgkmcnt(0)
	v_mul_f64 v[12:13], v[2:3], v[10:11]
	v_mul_f64 v[10:11], v[4:5], v[10:11]
	v_fma_f64 v[4:5], v[4:5], v[8:9], -v[12:13]
	v_fmac_f64_e32 v[10:11], v[2:3], v[8:9]
	buffer_store_dword v5, off, s[0:3], 0 offset:52
	buffer_store_dword v4, off, s[0:3], 0 offset:48
	;; [unrolled: 1-line block ×4, first 2 shown]
.LBB120_23:
	s_or_b64 exec, exec, s[6:7]
	v_accvgpr_read_b32 v0, a167
	s_waitcnt lgkmcnt(0)
	; wave barrier
	buffer_load_dword v2, v0, s[0:3], 0 offen
	buffer_load_dword v3, v0, s[0:3], 0 offen offset:4
	buffer_load_dword v4, v0, s[0:3], 0 offen offset:8
	;; [unrolled: 1-line block ×3, first 2 shown]
	v_cmp_gt_u32_e32 vcc, 3, v254
	v_add_u32_e32 v7, -1, v254
	s_waitcnt vmcnt(0)
	ds_write_b128 v6, v[2:5]
	s_waitcnt lgkmcnt(0)
	; wave barrier
	s_waitcnt lgkmcnt(0)
	s_and_saveexec_b64 s[4:5], vcc
	s_cbranch_execz .LBB120_27
; %bb.24:
	v_pk_mov_b32 v[2:3], 0, 0
	v_add_u32_e32 v8, -1, v254
	v_add_u32_e32 v9, 0x390, v1
	v_add_u32_e32 v10, 16, v1
	s_mov_b64 s[6:7], 0
	v_pk_mov_b32 v[4:5], v[2:3], v[2:3] op_sel:[0,1]
.LBB120_25:                             ; =>This Inner Loop Header: Depth=1
	buffer_load_dword v16, v10, s[0:3], 0 offen offset:8
	buffer_load_dword v17, v10, s[0:3], 0 offen offset:12
	buffer_load_dword v18, v10, s[0:3], 0 offen
	buffer_load_dword v19, v10, s[0:3], 0 offen offset:4
	ds_read_b128 v[12:15], v9
	v_add_u32_e32 v8, 1, v8
	v_cmp_lt_u32_e32 vcc, 1, v8
	v_add_u32_e32 v9, 16, v9
	v_add_u32_e32 v10, 16, v10
	s_or_b64 s[6:7], vcc, s[6:7]
	s_waitcnt vmcnt(2) lgkmcnt(0)
	v_mul_f64 v[20:21], v[14:15], v[16:17]
	v_mul_f64 v[16:17], v[12:13], v[16:17]
	s_waitcnt vmcnt(0)
	v_fma_f64 v[12:13], v[12:13], v[18:19], -v[20:21]
	v_fmac_f64_e32 v[16:17], v[14:15], v[18:19]
	v_add_f64 v[4:5], v[4:5], v[12:13]
	v_add_f64 v[2:3], v[2:3], v[16:17]
	s_andn2_b64 exec, exec, s[6:7]
	s_cbranch_execnz .LBB120_25
; %bb.26:
	s_or_b64 exec, exec, s[6:7]
	v_mov_b32_e32 v0, 0
	ds_read_b128 v[8:11], v0 offset:48
	s_waitcnt lgkmcnt(0)
	v_mul_f64 v[12:13], v[2:3], v[10:11]
	v_mul_f64 v[10:11], v[4:5], v[10:11]
	v_fma_f64 v[4:5], v[4:5], v[8:9], -v[12:13]
	v_fmac_f64_e32 v[10:11], v[2:3], v[8:9]
	buffer_store_dword v5, off, s[0:3], 0 offset:68
	buffer_store_dword v4, off, s[0:3], 0 offset:64
	buffer_store_dword v11, off, s[0:3], 0 offset:76
	buffer_store_dword v10, off, s[0:3], 0 offset:72
.LBB120_27:
	s_or_b64 exec, exec, s[4:5]
	v_accvgpr_read_b32 v0, a166
	s_waitcnt lgkmcnt(0)
	; wave barrier
	buffer_load_dword v2, v0, s[0:3], 0 offen
	buffer_load_dword v3, v0, s[0:3], 0 offen offset:4
	buffer_load_dword v4, v0, s[0:3], 0 offen offset:8
	buffer_load_dword v5, v0, s[0:3], 0 offen offset:12
	v_cmp_gt_u32_e32 vcc, 4, v254
	s_waitcnt vmcnt(0)
	ds_write_b128 v6, v[2:5]
	s_waitcnt lgkmcnt(0)
	; wave barrier
	s_waitcnt lgkmcnt(0)
	s_and_saveexec_b64 s[4:5], vcc
	s_cbranch_execz .LBB120_31
; %bb.28:
	v_pk_mov_b32 v[2:3], 0, 0
	v_add_u32_e32 v8, -1, v254
	v_add_u32_e32 v9, 0x390, v1
	v_add_u32_e32 v10, 16, v1
	s_mov_b64 s[6:7], 0
	v_pk_mov_b32 v[4:5], v[2:3], v[2:3] op_sel:[0,1]
.LBB120_29:                             ; =>This Inner Loop Header: Depth=1
	buffer_load_dword v16, v10, s[0:3], 0 offen offset:8
	buffer_load_dword v17, v10, s[0:3], 0 offen offset:12
	buffer_load_dword v18, v10, s[0:3], 0 offen
	buffer_load_dword v19, v10, s[0:3], 0 offen offset:4
	ds_read_b128 v[12:15], v9
	v_add_u32_e32 v8, 1, v8
	v_cmp_lt_u32_e32 vcc, 2, v8
	v_add_u32_e32 v9, 16, v9
	v_add_u32_e32 v10, 16, v10
	s_or_b64 s[6:7], vcc, s[6:7]
	s_waitcnt vmcnt(2) lgkmcnt(0)
	v_mul_f64 v[20:21], v[14:15], v[16:17]
	v_mul_f64 v[16:17], v[12:13], v[16:17]
	s_waitcnt vmcnt(0)
	v_fma_f64 v[12:13], v[12:13], v[18:19], -v[20:21]
	v_fmac_f64_e32 v[16:17], v[14:15], v[18:19]
	v_add_f64 v[4:5], v[4:5], v[12:13]
	v_add_f64 v[2:3], v[2:3], v[16:17]
	s_andn2_b64 exec, exec, s[6:7]
	s_cbranch_execnz .LBB120_29
; %bb.30:
	s_or_b64 exec, exec, s[6:7]
	v_mov_b32_e32 v0, 0
	ds_read_b128 v[8:11], v0 offset:64
	s_waitcnt lgkmcnt(0)
	v_mul_f64 v[12:13], v[2:3], v[10:11]
	v_mul_f64 v[10:11], v[4:5], v[10:11]
	v_fma_f64 v[4:5], v[4:5], v[8:9], -v[12:13]
	v_fmac_f64_e32 v[10:11], v[2:3], v[8:9]
	buffer_store_dword v5, off, s[0:3], 0 offset:84
	buffer_store_dword v4, off, s[0:3], 0 offset:80
	buffer_store_dword v11, off, s[0:3], 0 offset:92
	buffer_store_dword v10, off, s[0:3], 0 offset:88
.LBB120_31:
	s_or_b64 exec, exec, s[4:5]
	v_accvgpr_read_b32 v0, a165
	s_waitcnt lgkmcnt(0)
	; wave barrier
	buffer_load_dword v2, v0, s[0:3], 0 offen
	buffer_load_dword v3, v0, s[0:3], 0 offen offset:4
	buffer_load_dword v4, v0, s[0:3], 0 offen offset:8
	buffer_load_dword v5, v0, s[0:3], 0 offen offset:12
	v_cmp_gt_u32_e32 vcc, 5, v254
	;; [unrolled: 58-line block ×19, first 2 shown]
	s_waitcnt vmcnt(0)
	ds_write_b128 v6, v[2:5]
	s_waitcnt lgkmcnt(0)
	; wave barrier
	s_waitcnt lgkmcnt(0)
	s_and_saveexec_b64 s[4:5], vcc
	s_cbranch_execz .LBB120_103
; %bb.100:
	v_pk_mov_b32 v[2:3], 0, 0
	v_add_u32_e32 v8, -1, v254
	v_add_u32_e32 v9, 0x390, v1
	v_add_u32_e32 v10, 16, v1
	s_mov_b64 s[6:7], 0
	v_pk_mov_b32 v[4:5], v[2:3], v[2:3] op_sel:[0,1]
.LBB120_101:                            ; =>This Inner Loop Header: Depth=1
	buffer_load_dword v16, v10, s[0:3], 0 offen offset:8
	buffer_load_dword v17, v10, s[0:3], 0 offen offset:12
	buffer_load_dword v18, v10, s[0:3], 0 offen
	buffer_load_dword v19, v10, s[0:3], 0 offen offset:4
	ds_read_b128 v[12:15], v9
	v_add_u32_e32 v8, 1, v8
	v_cmp_lt_u32_e32 vcc, 20, v8
	v_add_u32_e32 v9, 16, v9
	v_add_u32_e32 v10, 16, v10
	s_or_b64 s[6:7], vcc, s[6:7]
	s_waitcnt vmcnt(2) lgkmcnt(0)
	v_mul_f64 v[20:21], v[14:15], v[16:17]
	v_mul_f64 v[16:17], v[12:13], v[16:17]
	s_waitcnt vmcnt(0)
	v_fma_f64 v[12:13], v[12:13], v[18:19], -v[20:21]
	v_fmac_f64_e32 v[16:17], v[14:15], v[18:19]
	v_add_f64 v[4:5], v[4:5], v[12:13]
	v_add_f64 v[2:3], v[2:3], v[16:17]
	s_andn2_b64 exec, exec, s[6:7]
	s_cbranch_execnz .LBB120_101
; %bb.102:
	s_or_b64 exec, exec, s[6:7]
	v_mov_b32_e32 v0, 0
	ds_read_b128 v[8:11], v0 offset:352
	s_waitcnt lgkmcnt(0)
	v_mul_f64 v[12:13], v[2:3], v[10:11]
	v_mul_f64 v[10:11], v[4:5], v[10:11]
	v_fma_f64 v[4:5], v[4:5], v[8:9], -v[12:13]
	v_fmac_f64_e32 v[10:11], v[2:3], v[8:9]
	buffer_store_dword v5, off, s[0:3], 0 offset:372
	buffer_store_dword v4, off, s[0:3], 0 offset:368
	buffer_store_dword v11, off, s[0:3], 0 offset:380
	buffer_store_dword v10, off, s[0:3], 0 offset:376
.LBB120_103:
	s_or_b64 exec, exec, s[4:5]
	v_accvgpr_read_b32 v0, a147
	s_waitcnt lgkmcnt(0)
	; wave barrier
	buffer_load_dword v2, v0, s[0:3], 0 offen
	buffer_load_dword v3, v0, s[0:3], 0 offen offset:4
	buffer_load_dword v4, v0, s[0:3], 0 offen offset:8
	buffer_load_dword v5, v0, s[0:3], 0 offen offset:12
	v_cmp_gt_u32_e32 vcc, 23, v254
	s_waitcnt vmcnt(0)
	ds_write_b128 v6, v[2:5]
	s_waitcnt lgkmcnt(0)
	; wave barrier
	s_waitcnt lgkmcnt(0)
	s_and_saveexec_b64 s[4:5], vcc
	s_cbranch_execz .LBB120_107
; %bb.104:
	v_pk_mov_b32 v[2:3], 0, 0
	v_add_u32_e32 v8, -1, v254
	v_add_u32_e32 v9, 0x390, v1
	v_add_u32_e32 v10, 16, v1
	s_mov_b64 s[6:7], 0
	v_pk_mov_b32 v[4:5], v[2:3], v[2:3] op_sel:[0,1]
.LBB120_105:                            ; =>This Inner Loop Header: Depth=1
	buffer_load_dword v16, v10, s[0:3], 0 offen offset:8
	buffer_load_dword v17, v10, s[0:3], 0 offen offset:12
	buffer_load_dword v18, v10, s[0:3], 0 offen
	buffer_load_dword v19, v10, s[0:3], 0 offen offset:4
	ds_read_b128 v[12:15], v9
	v_add_u32_e32 v8, 1, v8
	v_cmp_lt_u32_e32 vcc, 21, v8
	v_add_u32_e32 v9, 16, v9
	v_add_u32_e32 v10, 16, v10
	s_or_b64 s[6:7], vcc, s[6:7]
	s_waitcnt vmcnt(2) lgkmcnt(0)
	v_mul_f64 v[20:21], v[14:15], v[16:17]
	v_mul_f64 v[16:17], v[12:13], v[16:17]
	s_waitcnt vmcnt(0)
	v_fma_f64 v[12:13], v[12:13], v[18:19], -v[20:21]
	v_fmac_f64_e32 v[16:17], v[14:15], v[18:19]
	v_add_f64 v[4:5], v[4:5], v[12:13]
	v_add_f64 v[2:3], v[2:3], v[16:17]
	s_andn2_b64 exec, exec, s[6:7]
	s_cbranch_execnz .LBB120_105
; %bb.106:
	s_or_b64 exec, exec, s[6:7]
	v_mov_b32_e32 v0, 0
	ds_read_b128 v[8:11], v0 offset:368
	s_waitcnt lgkmcnt(0)
	v_mul_f64 v[12:13], v[2:3], v[10:11]
	v_mul_f64 v[10:11], v[4:5], v[10:11]
	v_fma_f64 v[4:5], v[4:5], v[8:9], -v[12:13]
	v_fmac_f64_e32 v[10:11], v[2:3], v[8:9]
	buffer_store_dword v5, off, s[0:3], 0 offset:388
	buffer_store_dword v4, off, s[0:3], 0 offset:384
	buffer_store_dword v11, off, s[0:3], 0 offset:396
	buffer_store_dword v10, off, s[0:3], 0 offset:392
.LBB120_107:
	s_or_b64 exec, exec, s[4:5]
	v_accvgpr_read_b32 v0, a146
	s_waitcnt lgkmcnt(0)
	; wave barrier
	buffer_load_dword v2, v0, s[0:3], 0 offen
	buffer_load_dword v3, v0, s[0:3], 0 offen offset:4
	buffer_load_dword v4, v0, s[0:3], 0 offen offset:8
	buffer_load_dword v5, v0, s[0:3], 0 offen offset:12
	v_cmp_gt_u32_e32 vcc, 24, v254
	;; [unrolled: 58-line block ×33, first 2 shown]
	s_waitcnt vmcnt(0)
	ds_write_b128 v6, v[2:5]
	s_waitcnt lgkmcnt(0)
	; wave barrier
	s_waitcnt lgkmcnt(0)
	s_and_saveexec_b64 s[4:5], vcc
	s_cbranch_execz .LBB120_235
; %bb.232:
	v_pk_mov_b32 v[2:3], 0, 0
	v_add_u32_e32 v8, -1, v254
	v_add_u32_e32 v9, 0x390, v1
	v_add_u32_e32 v10, 16, v1
	s_mov_b64 s[6:7], 0
	v_pk_mov_b32 v[4:5], v[2:3], v[2:3] op_sel:[0,1]
.LBB120_233:                            ; =>This Inner Loop Header: Depth=1
	buffer_load_dword v16, v10, s[0:3], 0 offen offset:8
	buffer_load_dword v17, v10, s[0:3], 0 offen offset:12
	buffer_load_dword v18, v10, s[0:3], 0 offen
	buffer_load_dword v19, v10, s[0:3], 0 offen offset:4
	ds_read_b128 v[12:15], v9
	v_add_u32_e32 v8, 1, v8
	v_cmp_lt_u32_e32 vcc, 53, v8
	v_add_u32_e32 v9, 16, v9
	v_add_u32_e32 v10, 16, v10
	s_or_b64 s[6:7], vcc, s[6:7]
	s_waitcnt vmcnt(2) lgkmcnt(0)
	v_mul_f64 v[20:21], v[14:15], v[16:17]
	v_mul_f64 v[16:17], v[12:13], v[16:17]
	s_waitcnt vmcnt(0)
	v_fma_f64 v[12:13], v[12:13], v[18:19], -v[20:21]
	v_fmac_f64_e32 v[16:17], v[14:15], v[18:19]
	v_add_f64 v[4:5], v[4:5], v[12:13]
	v_add_f64 v[2:3], v[2:3], v[16:17]
	s_andn2_b64 exec, exec, s[6:7]
	s_cbranch_execnz .LBB120_233
; %bb.234:
	s_or_b64 exec, exec, s[6:7]
	v_mov_b32_e32 v0, 0
	ds_read_b128 v[8:11], v0 offset:880
	s_waitcnt lgkmcnt(0)
	v_mul_f64 v[12:13], v[2:3], v[10:11]
	v_mul_f64 v[10:11], v[4:5], v[10:11]
	v_fma_f64 v[4:5], v[4:5], v[8:9], -v[12:13]
	v_fmac_f64_e32 v[10:11], v[2:3], v[8:9]
	buffer_store_dword v5, off, s[0:3], 0 offset:900
	buffer_store_dword v4, off, s[0:3], 0 offset:896
	;; [unrolled: 1-line block ×4, first 2 shown]
.LBB120_235:
	s_or_b64 exec, exec, s[4:5]
	v_accvgpr_read_b32 v0, a114
	s_waitcnt lgkmcnt(0)
	; wave barrier
	buffer_load_dword v2, v0, s[0:3], 0 offen
	buffer_load_dword v3, v0, s[0:3], 0 offen offset:4
	buffer_load_dword v4, v0, s[0:3], 0 offen offset:8
	;; [unrolled: 1-line block ×3, first 2 shown]
	v_cmp_ne_u32_e32 vcc, 56, v254
	s_waitcnt vmcnt(0)
	ds_write_b128 v6, v[2:5]
	s_waitcnt lgkmcnt(0)
	; wave barrier
	s_waitcnt lgkmcnt(0)
	s_and_saveexec_b64 s[4:5], vcc
	s_cbranch_execz .LBB120_239
; %bb.236:
	v_pk_mov_b32 v[2:3], 0, 0
	v_add_u32_e32 v6, 0x390, v1
	v_add_u32_e32 v1, 16, v1
	s_mov_b64 s[6:7], 0
	v_pk_mov_b32 v[4:5], v[2:3], v[2:3] op_sel:[0,1]
.LBB120_237:                            ; =>This Inner Loop Header: Depth=1
	buffer_load_dword v12, v1, s[0:3], 0 offen offset:8
	buffer_load_dword v13, v1, s[0:3], 0 offen offset:12
	buffer_load_dword v14, v1, s[0:3], 0 offen
	buffer_load_dword v15, v1, s[0:3], 0 offen offset:4
	ds_read_b128 v[8:11], v6
	v_add_u32_e32 v7, 1, v7
	v_cmp_lt_u32_e32 vcc, 54, v7
	v_add_u32_e32 v6, 16, v6
	v_add_u32_e32 v1, 16, v1
	s_or_b64 s[6:7], vcc, s[6:7]
	s_waitcnt vmcnt(2) lgkmcnt(0)
	v_mul_f64 v[16:17], v[10:11], v[12:13]
	v_mul_f64 v[12:13], v[8:9], v[12:13]
	s_waitcnt vmcnt(0)
	v_fma_f64 v[8:9], v[8:9], v[14:15], -v[16:17]
	v_fmac_f64_e32 v[12:13], v[10:11], v[14:15]
	v_add_f64 v[4:5], v[4:5], v[8:9]
	v_add_f64 v[2:3], v[2:3], v[12:13]
	s_andn2_b64 exec, exec, s[6:7]
	s_cbranch_execnz .LBB120_237
; %bb.238:
	s_or_b64 exec, exec, s[6:7]
	v_mov_b32_e32 v0, 0
	ds_read_b128 v[6:9], v0 offset:896
	s_waitcnt lgkmcnt(0)
	v_mul_f64 v[10:11], v[2:3], v[8:9]
	v_mul_f64 v[8:9], v[4:5], v[8:9]
	v_fma_f64 v[4:5], v[4:5], v[6:7], -v[10:11]
	v_fmac_f64_e32 v[8:9], v[2:3], v[6:7]
	buffer_store_dword v5, off, s[0:3], 0 offset:916
	buffer_store_dword v4, off, s[0:3], 0 offset:912
	;; [unrolled: 1-line block ×4, first 2 shown]
.LBB120_239:
	s_or_b64 exec, exec, s[4:5]
	s_mov_b64 s[6:7], -1
	s_waitcnt lgkmcnt(0)
	; wave barrier
.LBB120_240:
	s_and_b64 vcc, exec, s[6:7]
	s_cbranch_vccz .LBB120_242
; %bb.241:
	s_lshl_b64 s[4:5], s[8:9], 2
	s_add_u32 s4, s14, s4
	s_addc_u32 s5, s15, s5
	v_mov_b32_e32 v0, 0
	global_load_dword v0, v0, s[4:5]
	s_waitcnt vmcnt(0)
	v_cmp_ne_u32_e32 vcc, 0, v0
	s_cbranch_vccz .LBB120_243
.LBB120_242:
	s_endpgm
.LBB120_243:
	v_mov_b32_e32 v0, 0x390
	v_lshl_add_u32 v0, v254, 4, v0
	v_accvgpr_write_b32 a171, v0
	v_cmp_eq_u32_e32 vcc, 56, v254
	s_and_saveexec_b64 s[4:5], vcc
	s_cbranch_execz .LBB120_245
; %bb.244:
	v_accvgpr_read_b32 v0, a115
	buffer_load_dword v2, v0, s[0:3], 0 offen
	buffer_load_dword v3, v0, s[0:3], 0 offen offset:4
	buffer_load_dword v4, v0, s[0:3], 0 offen offset:8
	;; [unrolled: 1-line block ×3, first 2 shown]
	v_mov_b32_e32 v0, 0
	v_accvgpr_read_b32 v1, a171
	buffer_store_dword v0, off, s[0:3], 0 offset:896
	buffer_store_dword v0, off, s[0:3], 0 offset:900
	;; [unrolled: 1-line block ×4, first 2 shown]
	s_waitcnt vmcnt(4)
	ds_write_b128 v1, v[2:5]
.LBB120_245:
	s_or_b64 exec, exec, s[4:5]
	s_waitcnt lgkmcnt(0)
	; wave barrier
	s_waitcnt lgkmcnt(0)
	buffer_load_dword v6, off, s[0:3], 0 offset:920
	buffer_load_dword v7, off, s[0:3], 0 offset:924
	;; [unrolled: 1-line block ×8, first 2 shown]
	v_mov_b32_e32 v1, 0
	ds_read_b128 v[2:5], v1 offset:1808
	v_cmp_lt_u32_e32 vcc, 54, v254
	s_waitcnt vmcnt(6) lgkmcnt(0)
	v_mul_f64 v[14:15], v[2:3], v[6:7]
	v_mul_f64 v[6:7], v[4:5], v[6:7]
	s_waitcnt vmcnt(4)
	v_fma_f64 v[2:3], v[2:3], v[8:9], -v[6:7]
	v_fmac_f64_e32 v[14:15], v[4:5], v[8:9]
	v_add_f64 v[2:3], v[2:3], 0
	v_add_f64 v[4:5], v[14:15], 0
	s_waitcnt vmcnt(2)
	v_add_f64 v[2:3], v[10:11], -v[2:3]
	s_waitcnt vmcnt(0)
	v_add_f64 v[4:5], v[12:13], -v[4:5]
	buffer_store_dword v2, off, s[0:3], 0 offset:896
	buffer_store_dword v3, off, s[0:3], 0 offset:900
	;; [unrolled: 1-line block ×4, first 2 shown]
	s_and_saveexec_b64 s[4:5], vcc
	s_cbranch_execz .LBB120_247
; %bb.246:
	v_accvgpr_read_b32 v0, a116
	buffer_load_dword v2, v0, s[0:3], 0 offen
	buffer_load_dword v3, v0, s[0:3], 0 offen offset:4
	buffer_load_dword v4, v0, s[0:3], 0 offen offset:8
	;; [unrolled: 1-line block ×3, first 2 shown]
	v_accvgpr_read_b32 v0, a171
	buffer_store_dword v1, off, s[0:3], 0 offset:880
	buffer_store_dword v1, off, s[0:3], 0 offset:884
	buffer_store_dword v1, off, s[0:3], 0 offset:888
	buffer_store_dword v1, off, s[0:3], 0 offset:892
	s_waitcnt vmcnt(4)
	ds_write_b128 v0, v[2:5]
.LBB120_247:
	s_or_b64 exec, exec, s[4:5]
	s_waitcnt lgkmcnt(0)
	; wave barrier
	s_waitcnt lgkmcnt(0)
	buffer_load_dword v10, off, s[0:3], 0 offset:904
	buffer_load_dword v11, off, s[0:3], 0 offset:908
	;; [unrolled: 1-line block ×12, first 2 shown]
	ds_read_b128 v[2:5], v1 offset:1792
	ds_read_b128 v[6:9], v1 offset:1808
	v_cmp_lt_u32_e32 vcc, 53, v254
	s_waitcnt vmcnt(10) lgkmcnt(1)
	v_mul_f64 v[22:23], v[2:3], v[10:11]
	v_mul_f64 v[10:11], v[4:5], v[10:11]
	s_waitcnt vmcnt(8) lgkmcnt(0)
	v_mul_f64 v[24:25], v[6:7], v[12:13]
	v_mul_f64 v[12:13], v[8:9], v[12:13]
	s_waitcnt vmcnt(6)
	v_fma_f64 v[2:3], v[2:3], v[14:15], -v[10:11]
	v_fmac_f64_e32 v[22:23], v[4:5], v[14:15]
	s_waitcnt vmcnt(4)
	v_fma_f64 v[4:5], v[6:7], v[16:17], -v[12:13]
	v_add_f64 v[2:3], v[2:3], 0
	v_fmac_f64_e32 v[24:25], v[8:9], v[16:17]
	v_add_f64 v[6:7], v[22:23], 0
	v_add_f64 v[2:3], v[2:3], v[4:5]
	v_add_f64 v[6:7], v[6:7], v[24:25]
	s_waitcnt vmcnt(2)
	v_add_f64 v[2:3], v[18:19], -v[2:3]
	s_waitcnt vmcnt(0)
	v_add_f64 v[4:5], v[20:21], -v[6:7]
	buffer_store_dword v2, off, s[0:3], 0 offset:880
	buffer_store_dword v3, off, s[0:3], 0 offset:884
	;; [unrolled: 1-line block ×4, first 2 shown]
	s_and_saveexec_b64 s[4:5], vcc
	s_cbranch_execz .LBB120_249
; %bb.248:
	v_accvgpr_read_b32 v0, a117
	buffer_load_dword v2, v0, s[0:3], 0 offen
	buffer_load_dword v3, v0, s[0:3], 0 offen offset:4
	buffer_load_dword v4, v0, s[0:3], 0 offen offset:8
	;; [unrolled: 1-line block ×3, first 2 shown]
	v_mov_b32_e32 v0, 0
	v_accvgpr_read_b32 v1, a171
	buffer_store_dword v0, off, s[0:3], 0 offset:864
	buffer_store_dword v0, off, s[0:3], 0 offset:868
	;; [unrolled: 1-line block ×4, first 2 shown]
	s_waitcnt vmcnt(4)
	ds_write_b128 v1, v[2:5]
.LBB120_249:
	s_or_b64 exec, exec, s[4:5]
	s_waitcnt lgkmcnt(0)
	; wave barrier
	s_waitcnt lgkmcnt(0)
	buffer_load_dword v14, off, s[0:3], 0 offset:888
	buffer_load_dword v15, off, s[0:3], 0 offset:892
	;; [unrolled: 1-line block ×16, first 2 shown]
	v_mov_b32_e32 v1, 0
	ds_read_b128 v[2:5], v1 offset:1776
	ds_read_b128 v[6:9], v1 offset:1792
	;; [unrolled: 1-line block ×3, first 2 shown]
	v_cmp_lt_u32_e32 vcc, 52, v254
	s_waitcnt vmcnt(14) lgkmcnt(2)
	v_mul_f64 v[30:31], v[2:3], v[14:15]
	v_mul_f64 v[14:15], v[4:5], v[14:15]
	s_waitcnt vmcnt(12) lgkmcnt(1)
	v_mul_f64 v[32:33], v[6:7], v[16:17]
	v_mul_f64 v[16:17], v[8:9], v[16:17]
	;; [unrolled: 3-line block ×3, first 2 shown]
	s_waitcnt vmcnt(8)
	v_fma_f64 v[2:3], v[2:3], v[20:21], -v[14:15]
	v_fmac_f64_e32 v[30:31], v[4:5], v[20:21]
	s_waitcnt vmcnt(6)
	v_fma_f64 v[4:5], v[6:7], v[22:23], -v[16:17]
	v_add_f64 v[2:3], v[2:3], 0
	v_fmac_f64_e32 v[32:33], v[8:9], v[22:23]
	s_waitcnt vmcnt(4)
	v_fma_f64 v[6:7], v[10:11], v[24:25], -v[18:19]
	v_add_f64 v[8:9], v[30:31], 0
	v_add_f64 v[2:3], v[2:3], v[4:5]
	v_fmac_f64_e32 v[34:35], v[12:13], v[24:25]
	v_add_f64 v[8:9], v[8:9], v[32:33]
	v_add_f64 v[2:3], v[2:3], v[6:7]
	v_add_f64 v[4:5], v[8:9], v[34:35]
	s_waitcnt vmcnt(2)
	v_add_f64 v[2:3], v[26:27], -v[2:3]
	s_waitcnt vmcnt(0)
	v_add_f64 v[4:5], v[28:29], -v[4:5]
	buffer_store_dword v2, off, s[0:3], 0 offset:864
	buffer_store_dword v3, off, s[0:3], 0 offset:868
	;; [unrolled: 1-line block ×4, first 2 shown]
	s_and_saveexec_b64 s[4:5], vcc
	s_cbranch_execz .LBB120_251
; %bb.250:
	v_accvgpr_read_b32 v0, a118
	buffer_load_dword v2, v0, s[0:3], 0 offen
	buffer_load_dword v3, v0, s[0:3], 0 offen offset:4
	buffer_load_dword v4, v0, s[0:3], 0 offen offset:8
	;; [unrolled: 1-line block ×3, first 2 shown]
	v_accvgpr_read_b32 v0, a171
	buffer_store_dword v1, off, s[0:3], 0 offset:848
	buffer_store_dword v1, off, s[0:3], 0 offset:852
	;; [unrolled: 1-line block ×4, first 2 shown]
	s_waitcnt vmcnt(4)
	ds_write_b128 v0, v[2:5]
.LBB120_251:
	s_or_b64 exec, exec, s[4:5]
	s_waitcnt lgkmcnt(0)
	; wave barrier
	s_waitcnt lgkmcnt(0)
	buffer_load_dword v18, off, s[0:3], 0 offset:872
	buffer_load_dword v19, off, s[0:3], 0 offset:876
	;; [unrolled: 1-line block ×20, first 2 shown]
	ds_read_b128 v[2:5], v1 offset:1760
	ds_read_b128 v[6:9], v1 offset:1776
	;; [unrolled: 1-line block ×4, first 2 shown]
	v_cmp_lt_u32_e32 vcc, 51, v254
	s_waitcnt vmcnt(18) lgkmcnt(3)
	v_mul_f64 v[38:39], v[2:3], v[18:19]
	v_mul_f64 v[18:19], v[4:5], v[18:19]
	s_waitcnt vmcnt(16) lgkmcnt(2)
	v_mul_f64 v[40:41], v[6:7], v[20:21]
	v_mul_f64 v[20:21], v[8:9], v[20:21]
	;; [unrolled: 3-line block ×4, first 2 shown]
	s_waitcnt vmcnt(10)
	v_fma_f64 v[2:3], v[2:3], v[26:27], -v[18:19]
	v_fmac_f64_e32 v[38:39], v[4:5], v[26:27]
	s_waitcnt vmcnt(8)
	v_fma_f64 v[4:5], v[6:7], v[28:29], -v[20:21]
	v_add_f64 v[2:3], v[2:3], 0
	v_fmac_f64_e32 v[40:41], v[8:9], v[28:29]
	s_waitcnt vmcnt(6)
	v_fma_f64 v[6:7], v[10:11], v[30:31], -v[22:23]
	v_add_f64 v[10:11], v[38:39], 0
	v_add_f64 v[2:3], v[2:3], v[4:5]
	v_fmac_f64_e32 v[42:43], v[12:13], v[30:31]
	s_waitcnt vmcnt(4)
	v_fma_f64 v[8:9], v[14:15], v[32:33], -v[24:25]
	v_add_f64 v[10:11], v[10:11], v[40:41]
	v_add_f64 v[2:3], v[2:3], v[6:7]
	v_fmac_f64_e32 v[44:45], v[16:17], v[32:33]
	v_add_f64 v[4:5], v[10:11], v[42:43]
	v_add_f64 v[2:3], v[2:3], v[8:9]
	;; [unrolled: 1-line block ×3, first 2 shown]
	s_waitcnt vmcnt(2)
	v_add_f64 v[2:3], v[34:35], -v[2:3]
	s_waitcnt vmcnt(0)
	v_add_f64 v[4:5], v[36:37], -v[4:5]
	buffer_store_dword v2, off, s[0:3], 0 offset:848
	buffer_store_dword v3, off, s[0:3], 0 offset:852
	buffer_store_dword v4, off, s[0:3], 0 offset:856
	buffer_store_dword v5, off, s[0:3], 0 offset:860
	s_and_saveexec_b64 s[4:5], vcc
	s_cbranch_execz .LBB120_253
; %bb.252:
	v_accvgpr_read_b32 v0, a119
	buffer_load_dword v2, v0, s[0:3], 0 offen
	buffer_load_dword v3, v0, s[0:3], 0 offen offset:4
	buffer_load_dword v4, v0, s[0:3], 0 offen offset:8
	;; [unrolled: 1-line block ×3, first 2 shown]
	v_mov_b32_e32 v0, 0
	v_accvgpr_read_b32 v1, a171
	buffer_store_dword v0, off, s[0:3], 0 offset:832
	buffer_store_dword v0, off, s[0:3], 0 offset:836
	;; [unrolled: 1-line block ×4, first 2 shown]
	s_waitcnt vmcnt(4)
	ds_write_b128 v1, v[2:5]
.LBB120_253:
	s_or_b64 exec, exec, s[4:5]
	s_waitcnt lgkmcnt(0)
	; wave barrier
	s_waitcnt lgkmcnt(0)
	buffer_load_dword v22, off, s[0:3], 0 offset:856
	buffer_load_dword v23, off, s[0:3], 0 offset:860
	;; [unrolled: 1-line block ×24, first 2 shown]
	v_mov_b32_e32 v1, 0
	ds_read_b128 v[2:5], v1 offset:1744
	ds_read_b128 v[6:9], v1 offset:1760
	;; [unrolled: 1-line block ×5, first 2 shown]
	v_cmp_lt_u32_e32 vcc, 50, v254
	s_waitcnt vmcnt(22) lgkmcnt(4)
	v_mul_f64 v[46:47], v[2:3], v[22:23]
	v_mul_f64 v[22:23], v[4:5], v[22:23]
	s_waitcnt vmcnt(20) lgkmcnt(3)
	v_mul_f64 v[48:49], v[6:7], v[24:25]
	v_mul_f64 v[24:25], v[8:9], v[24:25]
	;; [unrolled: 3-line block ×4, first 2 shown]
	s_waitcnt vmcnt(13) lgkmcnt(0)
	v_mul_f64 v[54:55], v[18:19], v[28:29]
	s_waitcnt vmcnt(11)
	v_fma_f64 v[2:3], v[2:3], v[34:35], -v[22:23]
	v_fmac_f64_e32 v[46:47], v[4:5], v[34:35]
	s_waitcnt vmcnt(9)
	v_fma_f64 v[4:5], v[6:7], v[36:37], -v[24:25]
	v_add_f64 v[2:3], v[2:3], 0
	v_fmac_f64_e32 v[48:49], v[8:9], v[36:37]
	s_waitcnt vmcnt(7)
	v_fmac_f64_e32 v[50:51], v[12:13], v[38:39]
	v_fma_f64 v[6:7], v[10:11], v[38:39], -v[26:27]
	v_add_f64 v[12:13], v[46:47], 0
	v_add_f64 v[2:3], v[2:3], v[4:5]
	v_mul_f64 v[28:29], v[20:21], v[28:29]
	s_waitcnt vmcnt(5)
	v_fma_f64 v[8:9], v[14:15], v[40:41], -v[32:33]
	v_add_f64 v[12:13], v[12:13], v[48:49]
	v_add_f64 v[2:3], v[2:3], v[6:7]
	v_fmac_f64_e32 v[52:53], v[16:17], v[40:41]
	s_waitcnt vmcnt(4)
	v_fma_f64 v[10:11], v[18:19], v[30:31], -v[28:29]
	v_add_f64 v[4:5], v[12:13], v[50:51]
	v_add_f64 v[2:3], v[2:3], v[8:9]
	v_fmac_f64_e32 v[54:55], v[20:21], v[30:31]
	v_add_f64 v[4:5], v[4:5], v[52:53]
	v_add_f64 v[2:3], v[2:3], v[10:11]
	;; [unrolled: 1-line block ×3, first 2 shown]
	s_waitcnt vmcnt(2)
	v_add_f64 v[2:3], v[42:43], -v[2:3]
	s_waitcnt vmcnt(0)
	v_add_f64 v[4:5], v[44:45], -v[4:5]
	buffer_store_dword v3, off, s[0:3], 0 offset:836
	buffer_store_dword v2, off, s[0:3], 0 offset:832
	;; [unrolled: 1-line block ×4, first 2 shown]
	s_and_saveexec_b64 s[4:5], vcc
	s_cbranch_execz .LBB120_255
; %bb.254:
	v_accvgpr_read_b32 v0, a120
	buffer_load_dword v2, v0, s[0:3], 0 offen
	buffer_load_dword v3, v0, s[0:3], 0 offen offset:4
	buffer_load_dword v4, v0, s[0:3], 0 offen offset:8
	;; [unrolled: 1-line block ×3, first 2 shown]
	v_accvgpr_read_b32 v0, a171
	buffer_store_dword v1, off, s[0:3], 0 offset:816
	buffer_store_dword v1, off, s[0:3], 0 offset:820
	;; [unrolled: 1-line block ×4, first 2 shown]
	s_waitcnt vmcnt(4)
	ds_write_b128 v0, v[2:5]
.LBB120_255:
	s_or_b64 exec, exec, s[4:5]
	s_waitcnt lgkmcnt(0)
	; wave barrier
	s_waitcnt lgkmcnt(0)
	buffer_load_dword v26, off, s[0:3], 0 offset:840
	buffer_load_dword v27, off, s[0:3], 0 offset:844
	;; [unrolled: 1-line block ×28, first 2 shown]
	ds_read_b128 v[2:5], v1 offset:1728
	ds_read_b128 v[6:9], v1 offset:1744
	ds_read_b128 v[10:13], v1 offset:1760
	ds_read_b128 v[14:17], v1 offset:1776
	ds_read_b128 v[18:21], v1 offset:1792
	ds_read_b128 v[22:25], v1 offset:1808
	v_cmp_lt_u32_e32 vcc, 49, v254
	s_waitcnt vmcnt(26) lgkmcnt(5)
	v_mul_f64 v[54:55], v[2:3], v[26:27]
	v_mul_f64 v[26:27], v[4:5], v[26:27]
	s_waitcnt vmcnt(24) lgkmcnt(4)
	v_mul_f64 v[56:57], v[6:7], v[28:29]
	v_mul_f64 v[28:29], v[8:9], v[28:29]
	;; [unrolled: 3-line block ×4, first 2 shown]
	s_waitcnt vmcnt(17)
	v_mul_f64 v[60:61], v[14:15], v[36:37]
	v_mul_f64 v[36:37], v[16:17], v[36:37]
	s_waitcnt vmcnt(15) lgkmcnt(0)
	v_mul_f64 v[64:65], v[22:23], v[38:39]
	v_mul_f64 v[38:39], v[24:25], v[38:39]
	s_waitcnt vmcnt(14)
	v_fmac_f64_e32 v[62:63], v[20:21], v[34:35]
	s_waitcnt vmcnt(12)
	v_fma_f64 v[2:3], v[2:3], v[40:41], -v[26:27]
	v_fmac_f64_e32 v[54:55], v[4:5], v[40:41]
	s_waitcnt vmcnt(10)
	v_fma_f64 v[4:5], v[6:7], v[42:43], -v[28:29]
	v_add_f64 v[2:3], v[2:3], 0
	v_fmac_f64_e32 v[56:57], v[8:9], v[42:43]
	s_waitcnt vmcnt(8)
	v_fma_f64 v[6:7], v[10:11], v[44:45], -v[30:31]
	s_waitcnt vmcnt(6)
	v_fma_f64 v[8:9], v[14:15], v[46:47], -v[36:37]
	v_add_f64 v[14:15], v[54:55], 0
	v_add_f64 v[2:3], v[2:3], v[4:5]
	v_fmac_f64_e32 v[58:59], v[12:13], v[44:45]
	v_add_f64 v[14:15], v[14:15], v[56:57]
	v_add_f64 v[2:3], v[2:3], v[6:7]
	v_fmac_f64_e32 v[60:61], v[16:17], v[46:47]
	v_fma_f64 v[10:11], v[18:19], v[34:35], -v[32:33]
	v_add_f64 v[4:5], v[14:15], v[58:59]
	v_add_f64 v[2:3], v[2:3], v[8:9]
	s_waitcnt vmcnt(4)
	v_fma_f64 v[12:13], v[22:23], v[48:49], -v[38:39]
	v_add_f64 v[4:5], v[4:5], v[60:61]
	v_add_f64 v[2:3], v[2:3], v[10:11]
	v_fmac_f64_e32 v[64:65], v[24:25], v[48:49]
	v_add_f64 v[4:5], v[4:5], v[62:63]
	v_add_f64 v[2:3], v[2:3], v[12:13]
	;; [unrolled: 1-line block ×3, first 2 shown]
	s_waitcnt vmcnt(2)
	v_add_f64 v[2:3], v[50:51], -v[2:3]
	s_waitcnt vmcnt(0)
	v_add_f64 v[4:5], v[52:53], -v[4:5]
	buffer_store_dword v3, off, s[0:3], 0 offset:820
	buffer_store_dword v2, off, s[0:3], 0 offset:816
	;; [unrolled: 1-line block ×4, first 2 shown]
	s_and_saveexec_b64 s[4:5], vcc
	s_cbranch_execz .LBB120_257
; %bb.256:
	v_accvgpr_read_b32 v0, a121
	buffer_load_dword v2, v0, s[0:3], 0 offen
	buffer_load_dword v3, v0, s[0:3], 0 offen offset:4
	buffer_load_dword v4, v0, s[0:3], 0 offen offset:8
	;; [unrolled: 1-line block ×3, first 2 shown]
	v_mov_b32_e32 v0, 0
	v_accvgpr_read_b32 v1, a171
	buffer_store_dword v0, off, s[0:3], 0 offset:800
	buffer_store_dword v0, off, s[0:3], 0 offset:804
	;; [unrolled: 1-line block ×4, first 2 shown]
	s_waitcnt vmcnt(4)
	ds_write_b128 v1, v[2:5]
.LBB120_257:
	s_or_b64 exec, exec, s[4:5]
	s_waitcnt lgkmcnt(0)
	; wave barrier
	s_waitcnt lgkmcnt(0)
	buffer_load_dword v30, off, s[0:3], 0 offset:824
	buffer_load_dword v31, off, s[0:3], 0 offset:828
	;; [unrolled: 1-line block ×32, first 2 shown]
	v_mov_b32_e32 v1, 0
	ds_read_b128 v[2:5], v1 offset:1712
	ds_read_b128 v[6:9], v1 offset:1728
	;; [unrolled: 1-line block ×7, first 2 shown]
	v_cmp_lt_u32_e32 vcc, 48, v254
	s_waitcnt vmcnt(30) lgkmcnt(6)
	v_mul_f64 v[62:63], v[2:3], v[30:31]
	v_mul_f64 v[30:31], v[4:5], v[30:31]
	s_waitcnt vmcnt(28) lgkmcnt(5)
	v_mul_f64 v[64:65], v[6:7], v[32:33]
	v_mul_f64 v[32:33], v[8:9], v[32:33]
	;; [unrolled: 3-line block ×4, first 2 shown]
	s_waitcnt vmcnt(21)
	v_mul_f64 v[68:69], v[14:15], v[40:41]
	v_mul_f64 v[40:41], v[16:17], v[40:41]
	s_waitcnt vmcnt(17) lgkmcnt(1)
	v_mul_f64 v[72:73], v[22:23], v[46:47]
	v_mul_f64 v[46:47], v[24:25], v[46:47]
	s_waitcnt vmcnt(16) lgkmcnt(0)
	v_mul_f64 v[74:75], v[26:27], v[42:43]
	v_mul_f64 v[42:43], v[28:29], v[42:43]
	s_waitcnt vmcnt(13)
	v_fma_f64 v[2:3], v[2:3], v[48:49], -v[30:31]
	v_fmac_f64_e32 v[62:63], v[4:5], v[48:49]
	s_waitcnt vmcnt(11)
	v_fma_f64 v[4:5], v[6:7], v[50:51], -v[32:33]
	v_add_f64 v[2:3], v[2:3], 0
	v_fmac_f64_e32 v[64:65], v[8:9], v[50:51]
	s_waitcnt vmcnt(9)
	v_fma_f64 v[6:7], v[10:11], v[52:53], -v[34:35]
	s_waitcnt vmcnt(7)
	v_fmac_f64_e32 v[68:69], v[16:17], v[54:55]
	v_add_f64 v[16:17], v[62:63], 0
	v_add_f64 v[2:3], v[2:3], v[4:5]
	v_fmac_f64_e32 v[66:67], v[12:13], v[52:53]
	v_fma_f64 v[8:9], v[14:15], v[54:55], -v[40:41]
	v_add_f64 v[16:17], v[16:17], v[64:65]
	v_add_f64 v[2:3], v[2:3], v[6:7]
	v_fma_f64 v[10:11], v[18:19], v[38:39], -v[36:37]
	v_add_f64 v[4:5], v[16:17], v[66:67]
	v_add_f64 v[2:3], v[2:3], v[8:9]
	v_fmac_f64_e32 v[70:71], v[20:21], v[38:39]
	s_waitcnt vmcnt(5)
	v_fma_f64 v[12:13], v[22:23], v[56:57], -v[46:47]
	v_add_f64 v[4:5], v[4:5], v[68:69]
	v_add_f64 v[2:3], v[2:3], v[10:11]
	v_fmac_f64_e32 v[72:73], v[24:25], v[56:57]
	s_waitcnt vmcnt(4)
	v_fma_f64 v[14:15], v[26:27], v[44:45], -v[42:43]
	v_add_f64 v[4:5], v[4:5], v[70:71]
	v_add_f64 v[2:3], v[2:3], v[12:13]
	v_fmac_f64_e32 v[74:75], v[28:29], v[44:45]
	v_add_f64 v[4:5], v[4:5], v[72:73]
	v_add_f64 v[2:3], v[2:3], v[14:15]
	;; [unrolled: 1-line block ×3, first 2 shown]
	s_waitcnt vmcnt(2)
	v_add_f64 v[2:3], v[58:59], -v[2:3]
	s_waitcnt vmcnt(0)
	v_add_f64 v[4:5], v[60:61], -v[4:5]
	buffer_store_dword v3, off, s[0:3], 0 offset:804
	buffer_store_dword v2, off, s[0:3], 0 offset:800
	;; [unrolled: 1-line block ×4, first 2 shown]
	s_and_saveexec_b64 s[4:5], vcc
	s_cbranch_execz .LBB120_259
; %bb.258:
	v_accvgpr_read_b32 v0, a122
	buffer_load_dword v2, v0, s[0:3], 0 offen
	buffer_load_dword v3, v0, s[0:3], 0 offen offset:4
	buffer_load_dword v4, v0, s[0:3], 0 offen offset:8
	;; [unrolled: 1-line block ×3, first 2 shown]
	v_accvgpr_read_b32 v0, a171
	buffer_store_dword v1, off, s[0:3], 0 offset:784
	buffer_store_dword v1, off, s[0:3], 0 offset:788
	;; [unrolled: 1-line block ×4, first 2 shown]
	s_waitcnt vmcnt(4)
	ds_write_b128 v0, v[2:5]
.LBB120_259:
	s_or_b64 exec, exec, s[4:5]
	s_waitcnt lgkmcnt(0)
	; wave barrier
	s_waitcnt lgkmcnt(0)
	ds_read_b128 v[14:17], v1 offset:1696
	ds_read_b128 v[10:13], v1 offset:1712
	;; [unrolled: 1-line block ×4, first 2 shown]
	buffer_load_dword v36, off, s[0:3], 0 offset:784
	buffer_load_dword v37, off, s[0:3], 0 offset:788
	;; [unrolled: 1-line block ×20, first 2 shown]
	v_cmp_lt_u32_e32 vcc, 47, v254
	s_waitcnt vmcnt(12) lgkmcnt(3)
	v_mul_f64 v[18:19], v[14:15], v[44:45]
	v_fmac_f64_e32 v[18:19], v[16:17], v[38:39]
	v_add_f64 v[18:19], v[18:19], 0
	v_mul_f64 v[16:17], v[16:17], v[44:45]
	s_waitcnt vmcnt(8) lgkmcnt(2)
	v_mul_f64 v[20:21], v[10:11], v[46:47]
	v_fmac_f64_e32 v[20:21], v[12:13], v[40:41]
	v_add_f64 v[18:19], v[18:19], v[20:21]
	v_fma_f64 v[14:15], v[14:15], v[38:39], -v[16:17]
	s_waitcnt vmcnt(4) lgkmcnt(1)
	v_mul_f64 v[20:21], v[6:7], v[50:51]
	v_fmac_f64_e32 v[20:21], v[8:9], v[42:43]
	v_add_f64 v[18:19], v[18:19], v[20:21]
	s_waitcnt vmcnt(0) lgkmcnt(0)
	v_mul_f64 v[20:21], v[2:3], v[54:55]
	v_fmac_f64_e32 v[20:21], v[4:5], v[52:53]
	v_add_f64 v[22:23], v[18:19], v[20:21]
	ds_read_b128 v[18:21], v1 offset:1760
	buffer_load_dword v49, off, s[0:3], 0 offset:868
	buffer_load_dword v48, off, s[0:3], 0 offset:864
	;; [unrolled: 1-line block ×4, first 2 shown]
	ds_read_b128 v[30:33], v1 offset:1776
	buffer_load_dword v61, off, s[0:3], 0 offset:884
	buffer_load_dword v60, off, s[0:3], 0 offset:880
	;; [unrolled: 1-line block ×4, first 2 shown]
	v_mul_f64 v[12:13], v[12:13], v[46:47]
	v_add_f64 v[14:15], v[14:15], 0
	v_fma_f64 v[10:11], v[10:11], v[40:41], -v[12:13]
	v_mul_f64 v[8:9], v[8:9], v[50:51]
	v_add_f64 v[10:11], v[14:15], v[10:11]
	v_fma_f64 v[6:7], v[6:7], v[42:43], -v[8:9]
	;; [unrolled: 3-line block ×3, first 2 shown]
	v_add_f64 v[2:3], v[6:7], v[2:3]
	s_waitcnt vmcnt(4) lgkmcnt(1)
	v_mul_f64 v[24:25], v[18:19], v[64:65]
	v_fmac_f64_e32 v[24:25], v[20:21], v[48:49]
	v_add_f64 v[22:23], v[22:23], v[24:25]
	s_waitcnt vmcnt(0) lgkmcnt(0)
	v_mul_f64 v[24:25], v[30:31], v[62:63]
	v_fmac_f64_e32 v[24:25], v[32:33], v[60:61]
	v_add_f64 v[26:27], v[22:23], v[24:25]
	ds_read_b128 v[22:25], v1 offset:1792
	buffer_load_dword v57, off, s[0:3], 0 offset:900
	buffer_load_dword v56, off, s[0:3], 0 offset:896
	;; [unrolled: 1-line block ×4, first 2 shown]
	v_mul_f64 v[4:5], v[20:21], v[64:65]
	v_fma_f64 v[4:5], v[18:19], v[48:49], -v[4:5]
	v_add_f64 v[2:3], v[2:3], v[4:5]
	v_mul_f64 v[4:5], v[32:33], v[62:63]
	v_fma_f64 v[4:5], v[30:31], v[60:61], -v[4:5]
	v_add_f64 v[2:3], v[2:3], v[4:5]
	s_waitcnt vmcnt(0) lgkmcnt(0)
	v_mul_f64 v[28:29], v[22:23], v[66:67]
	v_fmac_f64_e32 v[28:29], v[24:25], v[56:57]
	v_add_f64 v[68:69], v[26:27], v[28:29]
	ds_read_b128 v[26:29], v1 offset:1808
	buffer_load_dword v59, off, s[0:3], 0 offset:916
	buffer_load_dword v58, off, s[0:3], 0 offset:912
	;; [unrolled: 1-line block ×4, first 2 shown]
	v_mul_f64 v[4:5], v[24:25], v[66:67]
	v_fma_f64 v[4:5], v[22:23], v[56:57], -v[4:5]
	v_add_f64 v[2:3], v[2:3], v[4:5]
	s_waitcnt vmcnt(0) lgkmcnt(0)
	v_mul_f64 v[4:5], v[28:29], v[70:71]
	v_mul_f64 v[72:73], v[26:27], v[70:71]
	v_fma_f64 v[4:5], v[26:27], v[58:59], -v[4:5]
	v_fmac_f64_e32 v[72:73], v[28:29], v[58:59]
	v_add_f64 v[2:3], v[2:3], v[4:5]
	v_add_f64 v[68:69], v[68:69], v[72:73]
	v_add_f64 v[2:3], v[36:37], -v[2:3]
	v_add_f64 v[4:5], v[34:35], -v[68:69]
	buffer_store_dword v3, off, s[0:3], 0 offset:788
	buffer_store_dword v2, off, s[0:3], 0 offset:784
	buffer_store_dword v5, off, s[0:3], 0 offset:796
	buffer_store_dword v4, off, s[0:3], 0 offset:792
	s_and_saveexec_b64 s[4:5], vcc
	s_cbranch_execz .LBB120_261
; %bb.260:
	v_accvgpr_read_b32 v0, a123
	buffer_load_dword v2, v0, s[0:3], 0 offen
	buffer_load_dword v3, v0, s[0:3], 0 offen offset:4
	buffer_load_dword v4, v0, s[0:3], 0 offen offset:8
	;; [unrolled: 1-line block ×3, first 2 shown]
	v_mov_b32_e32 v0, 0
	v_accvgpr_read_b32 v1, a171
	buffer_store_dword v0, off, s[0:3], 0 offset:768
	buffer_store_dword v0, off, s[0:3], 0 offset:772
	;; [unrolled: 1-line block ×4, first 2 shown]
	s_waitcnt vmcnt(4)
	ds_write_b128 v1, v[2:5]
.LBB120_261:
	s_or_b64 exec, exec, s[4:5]
	v_mov_b32_e32 v1, 0
	s_waitcnt lgkmcnt(0)
	; wave barrier
	s_waitcnt lgkmcnt(0)
	ds_read_b128 v[18:21], v1 offset:1680
	ds_read_b128 v[14:17], v1 offset:1696
	;; [unrolled: 1-line block ×4, first 2 shown]
	buffer_load_dword v40, off, s[0:3], 0 offset:768
	buffer_load_dword v41, off, s[0:3], 0 offset:772
	buffer_load_dword v38, off, s[0:3], 0 offset:776
	buffer_load_dword v39, off, s[0:3], 0 offset:780
	buffer_load_dword v44, off, s[0:3], 0 offset:784
	buffer_load_dword v45, off, s[0:3], 0 offset:788
	buffer_load_dword v56, off, s[0:3], 0 offset:792
	buffer_load_dword v57, off, s[0:3], 0 offset:796
	buffer_load_dword v50, off, s[0:3], 0 offset:800
	buffer_load_dword v51, off, s[0:3], 0 offset:804
	buffer_load_dword v54, off, s[0:3], 0 offset:808
	buffer_load_dword v55, off, s[0:3], 0 offset:812
	buffer_load_dword v48, off, s[0:3], 0 offset:816
	buffer_load_dword v49, off, s[0:3], 0 offset:820
	buffer_load_dword v52, off, s[0:3], 0 offset:824
	buffer_load_dword v53, off, s[0:3], 0 offset:828
	buffer_load_dword v47, off, s[0:3], 0 offset:836
	buffer_load_dword v46, off, s[0:3], 0 offset:832
	buffer_load_dword v59, off, s[0:3], 0 offset:844
	buffer_load_dword v58, off, s[0:3], 0 offset:840
	v_cmp_lt_u32_e32 vcc, 46, v254
	s_waitcnt vmcnt(12) lgkmcnt(3)
	v_mul_f64 v[6:7], v[18:19], v[56:57]
	v_fmac_f64_e32 v[6:7], v[20:21], v[44:45]
	v_add_f64 v[6:7], v[6:7], 0
	v_mul_f64 v[20:21], v[20:21], v[56:57]
	s_waitcnt vmcnt(8) lgkmcnt(2)
	v_mul_f64 v[8:9], v[14:15], v[54:55]
	v_fmac_f64_e32 v[8:9], v[16:17], v[50:51]
	v_add_f64 v[6:7], v[6:7], v[8:9]
	v_fma_f64 v[18:19], v[18:19], v[44:45], -v[20:21]
	s_waitcnt vmcnt(4) lgkmcnt(1)
	v_mul_f64 v[8:9], v[10:11], v[52:53]
	v_fmac_f64_e32 v[8:9], v[12:13], v[48:49]
	v_add_f64 v[6:7], v[6:7], v[8:9]
	s_waitcnt vmcnt(0) lgkmcnt(0)
	v_mul_f64 v[8:9], v[2:3], v[58:59]
	v_fmac_f64_e32 v[8:9], v[4:5], v[46:47]
	v_add_f64 v[22:23], v[6:7], v[8:9]
	ds_read_b128 v[6:9], v1 offset:1744
	buffer_load_dword v43, off, s[0:3], 0 offset:852
	buffer_load_dword v42, off, s[0:3], 0 offset:848
	;; [unrolled: 1-line block ×4, first 2 shown]
	v_mul_f64 v[16:17], v[16:17], v[54:55]
	v_add_f64 v[18:19], v[18:19], 0
	v_fma_f64 v[14:15], v[14:15], v[50:51], -v[16:17]
	v_mul_f64 v[12:13], v[12:13], v[52:53]
	v_add_f64 v[14:15], v[18:19], v[14:15]
	v_fma_f64 v[10:11], v[10:11], v[48:49], -v[12:13]
	;; [unrolled: 3-line block ×3, first 2 shown]
	v_add_f64 v[2:3], v[10:11], v[2:3]
	s_waitcnt vmcnt(0) lgkmcnt(0)
	v_mul_f64 v[24:25], v[6:7], v[60:61]
	v_fmac_f64_e32 v[24:25], v[8:9], v[42:43]
	v_add_f64 v[26:27], v[22:23], v[24:25]
	ds_read_b128 v[22:25], v1 offset:1760
	buffer_load_dword v63, off, s[0:3], 0 offset:868
	buffer_load_dword v62, off, s[0:3], 0 offset:864
	buffer_load_dword v65, off, s[0:3], 0 offset:876
	buffer_load_dword v64, off, s[0:3], 0 offset:872
	v_mul_f64 v[4:5], v[8:9], v[60:61]
	v_fma_f64 v[4:5], v[6:7], v[42:43], -v[4:5]
	v_add_f64 v[2:3], v[2:3], v[4:5]
	s_waitcnt vmcnt(0) lgkmcnt(0)
	v_mul_f64 v[28:29], v[22:23], v[64:65]
	v_fmac_f64_e32 v[28:29], v[24:25], v[62:63]
	v_add_f64 v[30:31], v[26:27], v[28:29]
	ds_read_b128 v[26:29], v1 offset:1776
	buffer_load_dword v67, off, s[0:3], 0 offset:884
	buffer_load_dword v66, off, s[0:3], 0 offset:880
	buffer_load_dword v69, off, s[0:3], 0 offset:892
	buffer_load_dword v68, off, s[0:3], 0 offset:888
	v_mul_f64 v[4:5], v[24:25], v[64:65]
	v_fma_f64 v[4:5], v[22:23], v[62:63], -v[4:5]
	;; [unrolled: 12-line block ×4, first 2 shown]
	v_add_f64 v[2:3], v[2:3], v[4:5]
	s_waitcnt vmcnt(0) lgkmcnt(0)
	v_mul_f64 v[4:5], v[36:37], v[76:77]
	v_mul_f64 v[80:81], v[34:35], v[76:77]
	v_fma_f64 v[4:5], v[34:35], v[74:75], -v[4:5]
	v_fmac_f64_e32 v[80:81], v[36:37], v[74:75]
	v_add_f64 v[2:3], v[2:3], v[4:5]
	v_add_f64 v[78:79], v[78:79], v[80:81]
	v_add_f64 v[2:3], v[40:41], -v[2:3]
	v_add_f64 v[4:5], v[38:39], -v[78:79]
	buffer_store_dword v3, off, s[0:3], 0 offset:772
	buffer_store_dword v2, off, s[0:3], 0 offset:768
	;; [unrolled: 1-line block ×4, first 2 shown]
	s_and_saveexec_b64 s[4:5], vcc
	s_cbranch_execz .LBB120_263
; %bb.262:
	v_accvgpr_read_b32 v0, a124
	buffer_load_dword v2, v0, s[0:3], 0 offen
	buffer_load_dword v3, v0, s[0:3], 0 offen offset:4
	buffer_load_dword v4, v0, s[0:3], 0 offen offset:8
	;; [unrolled: 1-line block ×3, first 2 shown]
	v_accvgpr_read_b32 v0, a171
	buffer_store_dword v1, off, s[0:3], 0 offset:752
	buffer_store_dword v1, off, s[0:3], 0 offset:756
	;; [unrolled: 1-line block ×4, first 2 shown]
	s_waitcnt vmcnt(4)
	ds_write_b128 v0, v[2:5]
.LBB120_263:
	s_or_b64 exec, exec, s[4:5]
	s_waitcnt lgkmcnt(0)
	; wave barrier
	s_waitcnt lgkmcnt(0)
	ds_read_b128 v[18:21], v1 offset:1664
	ds_read_b128 v[10:13], v1 offset:1680
	ds_read_b128 v[6:9], v1 offset:1696
	ds_read_b128 v[2:5], v1 offset:1712
	buffer_load_dword v44, off, s[0:3], 0 offset:752
	buffer_load_dword v45, off, s[0:3], 0 offset:756
	;; [unrolled: 1-line block ×20, first 2 shown]
	v_cmp_lt_u32_e32 vcc, 45, v254
	s_waitcnt vmcnt(12) lgkmcnt(3)
	v_mul_f64 v[14:15], v[18:19], v[62:63]
	v_fmac_f64_e32 v[14:15], v[20:21], v[58:59]
	v_add_f64 v[14:15], v[14:15], 0
	v_mul_f64 v[20:21], v[20:21], v[62:63]
	s_waitcnt vmcnt(8) lgkmcnt(2)
	v_mul_f64 v[16:17], v[10:11], v[60:61]
	v_fmac_f64_e32 v[16:17], v[12:13], v[56:57]
	v_add_f64 v[14:15], v[14:15], v[16:17]
	v_fma_f64 v[18:19], v[18:19], v[58:59], -v[20:21]
	s_waitcnt vmcnt(4) lgkmcnt(1)
	v_mul_f64 v[16:17], v[6:7], v[48:49]
	v_fmac_f64_e32 v[16:17], v[8:9], v[46:47]
	v_add_f64 v[14:15], v[14:15], v[16:17]
	s_waitcnt vmcnt(0) lgkmcnt(0)
	v_mul_f64 v[16:17], v[2:3], v[52:53]
	v_fmac_f64_e32 v[16:17], v[4:5], v[50:51]
	v_add_f64 v[22:23], v[14:15], v[16:17]
	ds_read_b128 v[14:17], v1 offset:1728
	buffer_load_dword v55, off, s[0:3], 0 offset:836
	buffer_load_dword v54, off, s[0:3], 0 offset:832
	;; [unrolled: 1-line block ×4, first 2 shown]
	v_mul_f64 v[12:13], v[12:13], v[60:61]
	v_add_f64 v[18:19], v[18:19], 0
	v_fma_f64 v[10:11], v[10:11], v[56:57], -v[12:13]
	v_mul_f64 v[8:9], v[8:9], v[48:49]
	v_add_f64 v[10:11], v[18:19], v[10:11]
	v_fma_f64 v[6:7], v[6:7], v[46:47], -v[8:9]
	;; [unrolled: 3-line block ×3, first 2 shown]
	v_add_f64 v[2:3], v[6:7], v[2:3]
	s_waitcnt vmcnt(0) lgkmcnt(0)
	v_mul_f64 v[24:25], v[14:15], v[64:65]
	v_fmac_f64_e32 v[24:25], v[16:17], v[54:55]
	v_add_f64 v[26:27], v[22:23], v[24:25]
	ds_read_b128 v[22:25], v1 offset:1744
	buffer_load_dword v67, off, s[0:3], 0 offset:852
	buffer_load_dword v66, off, s[0:3], 0 offset:848
	buffer_load_dword v69, off, s[0:3], 0 offset:860
	buffer_load_dword v68, off, s[0:3], 0 offset:856
	v_mul_f64 v[4:5], v[16:17], v[64:65]
	v_fma_f64 v[4:5], v[14:15], v[54:55], -v[4:5]
	v_add_f64 v[2:3], v[2:3], v[4:5]
	s_waitcnt vmcnt(0) lgkmcnt(0)
	v_mul_f64 v[28:29], v[22:23], v[68:69]
	v_fmac_f64_e32 v[28:29], v[24:25], v[66:67]
	v_add_f64 v[30:31], v[26:27], v[28:29]
	ds_read_b128 v[26:29], v1 offset:1760
	buffer_load_dword v71, off, s[0:3], 0 offset:868
	buffer_load_dword v70, off, s[0:3], 0 offset:864
	buffer_load_dword v73, off, s[0:3], 0 offset:876
	buffer_load_dword v72, off, s[0:3], 0 offset:872
	v_mul_f64 v[4:5], v[24:25], v[68:69]
	v_fma_f64 v[4:5], v[22:23], v[66:67], -v[4:5]
	;; [unrolled: 12-line block ×5, first 2 shown]
	v_add_f64 v[2:3], v[2:3], v[4:5]
	s_waitcnt vmcnt(0) lgkmcnt(0)
	v_mul_f64 v[4:5], v[40:41], v[86:87]
	v_mul_f64 v[88:89], v[38:39], v[86:87]
	v_fma_f64 v[4:5], v[38:39], v[82:83], -v[4:5]
	v_fmac_f64_e32 v[88:89], v[40:41], v[82:83]
	v_add_f64 v[2:3], v[2:3], v[4:5]
	v_add_f64 v[84:85], v[84:85], v[88:89]
	v_add_f64 v[2:3], v[44:45], -v[2:3]
	v_add_f64 v[4:5], v[42:43], -v[84:85]
	buffer_store_dword v3, off, s[0:3], 0 offset:756
	buffer_store_dword v2, off, s[0:3], 0 offset:752
	;; [unrolled: 1-line block ×4, first 2 shown]
	s_and_saveexec_b64 s[4:5], vcc
	s_cbranch_execz .LBB120_265
; %bb.264:
	v_accvgpr_read_b32 v0, a125
	buffer_load_dword v2, v0, s[0:3], 0 offen
	buffer_load_dword v3, v0, s[0:3], 0 offen offset:4
	buffer_load_dword v4, v0, s[0:3], 0 offen offset:8
	;; [unrolled: 1-line block ×3, first 2 shown]
	v_mov_b32_e32 v0, 0
	v_accvgpr_read_b32 v1, a171
	buffer_store_dword v0, off, s[0:3], 0 offset:736
	buffer_store_dword v0, off, s[0:3], 0 offset:740
	;; [unrolled: 1-line block ×4, first 2 shown]
	s_waitcnt vmcnt(4)
	ds_write_b128 v1, v[2:5]
.LBB120_265:
	s_or_b64 exec, exec, s[4:5]
	v_mov_b32_e32 v1, 0
	s_waitcnt lgkmcnt(0)
	; wave barrier
	s_waitcnt lgkmcnt(0)
	ds_read_b128 v[14:17], v1 offset:1648
	ds_read_b128 v[10:13], v1 offset:1664
	;; [unrolled: 1-line block ×4, first 2 shown]
	buffer_load_dword v48, off, s[0:3], 0 offset:736
	buffer_load_dword v49, off, s[0:3], 0 offset:740
	;; [unrolled: 1-line block ×20, first 2 shown]
	v_cmp_lt_u32_e32 vcc, 44, v254
	s_waitcnt vmcnt(12) lgkmcnt(3)
	v_mul_f64 v[18:19], v[14:15], v[56:57]
	v_fmac_f64_e32 v[18:19], v[16:17], v[50:51]
	v_add_f64 v[18:19], v[18:19], 0
	v_mul_f64 v[16:17], v[16:17], v[56:57]
	s_waitcnt vmcnt(8) lgkmcnt(2)
	v_mul_f64 v[20:21], v[10:11], v[58:59]
	v_fmac_f64_e32 v[20:21], v[12:13], v[52:53]
	v_add_f64 v[18:19], v[18:19], v[20:21]
	v_fma_f64 v[14:15], v[14:15], v[50:51], -v[16:17]
	s_waitcnt vmcnt(4) lgkmcnt(1)
	v_mul_f64 v[20:21], v[6:7], v[60:61]
	v_fmac_f64_e32 v[20:21], v[8:9], v[54:55]
	v_add_f64 v[18:19], v[18:19], v[20:21]
	s_waitcnt vmcnt(0) lgkmcnt(0)
	v_mul_f64 v[20:21], v[2:3], v[64:65]
	v_fmac_f64_e32 v[20:21], v[4:5], v[62:63]
	v_add_f64 v[22:23], v[18:19], v[20:21]
	ds_read_b128 v[18:21], v1 offset:1712
	buffer_load_dword v67, off, s[0:3], 0 offset:820
	buffer_load_dword v66, off, s[0:3], 0 offset:816
	;; [unrolled: 1-line block ×4, first 2 shown]
	v_mul_f64 v[12:13], v[12:13], v[58:59]
	v_add_f64 v[14:15], v[14:15], 0
	v_fma_f64 v[10:11], v[10:11], v[52:53], -v[12:13]
	v_mul_f64 v[8:9], v[8:9], v[60:61]
	v_add_f64 v[10:11], v[14:15], v[10:11]
	v_fma_f64 v[6:7], v[6:7], v[54:55], -v[8:9]
	;; [unrolled: 3-line block ×3, first 2 shown]
	v_add_f64 v[2:3], v[6:7], v[2:3]
	s_waitcnt vmcnt(0) lgkmcnt(0)
	v_mul_f64 v[24:25], v[18:19], v[68:69]
	v_fmac_f64_e32 v[24:25], v[20:21], v[66:67]
	v_add_f64 v[26:27], v[22:23], v[24:25]
	ds_read_b128 v[22:25], v1 offset:1728
	buffer_load_dword v71, off, s[0:3], 0 offset:836
	buffer_load_dword v70, off, s[0:3], 0 offset:832
	buffer_load_dword v73, off, s[0:3], 0 offset:844
	buffer_load_dword v72, off, s[0:3], 0 offset:840
	v_mul_f64 v[4:5], v[20:21], v[68:69]
	v_fma_f64 v[4:5], v[18:19], v[66:67], -v[4:5]
	v_add_f64 v[2:3], v[2:3], v[4:5]
	s_waitcnt vmcnt(0) lgkmcnt(0)
	v_mul_f64 v[28:29], v[22:23], v[72:73]
	v_fmac_f64_e32 v[28:29], v[24:25], v[70:71]
	v_add_f64 v[30:31], v[26:27], v[28:29]
	ds_read_b128 v[26:29], v1 offset:1744
	buffer_load_dword v75, off, s[0:3], 0 offset:852
	buffer_load_dword v74, off, s[0:3], 0 offset:848
	buffer_load_dword v77, off, s[0:3], 0 offset:860
	buffer_load_dword v76, off, s[0:3], 0 offset:856
	v_mul_f64 v[4:5], v[24:25], v[72:73]
	v_fma_f64 v[4:5], v[22:23], v[70:71], -v[4:5]
	;; [unrolled: 12-line block ×6, first 2 shown]
	v_add_f64 v[2:3], v[2:3], v[4:5]
	s_waitcnt vmcnt(0) lgkmcnt(0)
	v_mul_f64 v[4:5], v[44:45], v[92:93]
	v_mul_f64 v[96:97], v[42:43], v[92:93]
	v_fma_f64 v[4:5], v[42:43], v[90:91], -v[4:5]
	v_fmac_f64_e32 v[96:97], v[44:45], v[90:91]
	v_add_f64 v[2:3], v[2:3], v[4:5]
	v_add_f64 v[94:95], v[94:95], v[96:97]
	v_add_f64 v[2:3], v[48:49], -v[2:3]
	v_add_f64 v[4:5], v[46:47], -v[94:95]
	buffer_store_dword v3, off, s[0:3], 0 offset:740
	buffer_store_dword v2, off, s[0:3], 0 offset:736
	buffer_store_dword v5, off, s[0:3], 0 offset:748
	buffer_store_dword v4, off, s[0:3], 0 offset:744
	s_and_saveexec_b64 s[4:5], vcc
	s_cbranch_execz .LBB120_267
; %bb.266:
	v_accvgpr_read_b32 v0, a126
	buffer_load_dword v2, v0, s[0:3], 0 offen
	buffer_load_dword v3, v0, s[0:3], 0 offen offset:4
	buffer_load_dword v4, v0, s[0:3], 0 offen offset:8
	;; [unrolled: 1-line block ×3, first 2 shown]
	v_accvgpr_read_b32 v0, a171
	buffer_store_dword v1, off, s[0:3], 0 offset:720
	buffer_store_dword v1, off, s[0:3], 0 offset:724
	buffer_store_dword v1, off, s[0:3], 0 offset:728
	buffer_store_dword v1, off, s[0:3], 0 offset:732
	s_waitcnt vmcnt(4)
	ds_write_b128 v0, v[2:5]
.LBB120_267:
	s_or_b64 exec, exec, s[4:5]
	s_waitcnt lgkmcnt(0)
	; wave barrier
	s_waitcnt lgkmcnt(0)
	ds_read_b128 v[14:17], v1 offset:1632
	ds_read_b128 v[10:13], v1 offset:1648
	;; [unrolled: 1-line block ×4, first 2 shown]
	buffer_load_dword v48, off, s[0:3], 0 offset:720
	buffer_load_dword v49, off, s[0:3], 0 offset:724
	;; [unrolled: 1-line block ×20, first 2 shown]
	v_cmp_lt_u32_e32 vcc, 43, v254
	s_waitcnt vmcnt(12) lgkmcnt(3)
	v_mul_f64 v[18:19], v[14:15], v[56:57]
	v_fmac_f64_e32 v[18:19], v[16:17], v[50:51]
	v_add_f64 v[18:19], v[18:19], 0
	v_mul_f64 v[16:17], v[16:17], v[56:57]
	s_waitcnt vmcnt(8) lgkmcnt(2)
	v_mul_f64 v[20:21], v[10:11], v[58:59]
	v_fmac_f64_e32 v[20:21], v[12:13], v[52:53]
	v_add_f64 v[18:19], v[18:19], v[20:21]
	v_fma_f64 v[14:15], v[14:15], v[50:51], -v[16:17]
	s_waitcnt vmcnt(4) lgkmcnt(1)
	v_mul_f64 v[20:21], v[6:7], v[60:61]
	v_fmac_f64_e32 v[20:21], v[8:9], v[54:55]
	v_add_f64 v[18:19], v[18:19], v[20:21]
	s_waitcnt vmcnt(0) lgkmcnt(0)
	v_mul_f64 v[20:21], v[2:3], v[64:65]
	v_fmac_f64_e32 v[20:21], v[4:5], v[62:63]
	v_add_f64 v[22:23], v[18:19], v[20:21]
	ds_read_b128 v[18:21], v1 offset:1696
	buffer_load_dword v67, off, s[0:3], 0 offset:804
	buffer_load_dword v66, off, s[0:3], 0 offset:800
	;; [unrolled: 1-line block ×4, first 2 shown]
	v_mul_f64 v[12:13], v[12:13], v[58:59]
	v_add_f64 v[14:15], v[14:15], 0
	v_fma_f64 v[10:11], v[10:11], v[52:53], -v[12:13]
	v_mul_f64 v[8:9], v[8:9], v[60:61]
	v_add_f64 v[10:11], v[14:15], v[10:11]
	v_fma_f64 v[6:7], v[6:7], v[54:55], -v[8:9]
	v_mul_f64 v[4:5], v[4:5], v[64:65]
	v_add_f64 v[6:7], v[10:11], v[6:7]
	v_fma_f64 v[2:3], v[2:3], v[62:63], -v[4:5]
	v_add_f64 v[2:3], v[6:7], v[2:3]
	s_waitcnt vmcnt(0) lgkmcnt(0)
	v_mul_f64 v[24:25], v[18:19], v[68:69]
	v_fmac_f64_e32 v[24:25], v[20:21], v[66:67]
	v_add_f64 v[26:27], v[22:23], v[24:25]
	ds_read_b128 v[22:25], v1 offset:1712
	buffer_load_dword v71, off, s[0:3], 0 offset:820
	buffer_load_dword v70, off, s[0:3], 0 offset:816
	buffer_load_dword v73, off, s[0:3], 0 offset:828
	buffer_load_dword v72, off, s[0:3], 0 offset:824
	v_mul_f64 v[4:5], v[20:21], v[68:69]
	v_fma_f64 v[4:5], v[18:19], v[66:67], -v[4:5]
	v_add_f64 v[2:3], v[2:3], v[4:5]
	s_waitcnt vmcnt(0) lgkmcnt(0)
	v_mul_f64 v[28:29], v[22:23], v[72:73]
	v_fmac_f64_e32 v[28:29], v[24:25], v[70:71]
	v_add_f64 v[30:31], v[26:27], v[28:29]
	ds_read_b128 v[26:29], v1 offset:1728
	buffer_load_dword v75, off, s[0:3], 0 offset:836
	buffer_load_dword v74, off, s[0:3], 0 offset:832
	buffer_load_dword v77, off, s[0:3], 0 offset:844
	buffer_load_dword v76, off, s[0:3], 0 offset:840
	v_mul_f64 v[4:5], v[24:25], v[72:73]
	v_fma_f64 v[4:5], v[22:23], v[70:71], -v[4:5]
	v_add_f64 v[2:3], v[2:3], v[4:5]
	s_waitcnt vmcnt(0) lgkmcnt(0)
	v_mul_f64 v[32:33], v[26:27], v[76:77]
	v_fmac_f64_e32 v[32:33], v[28:29], v[74:75]
	v_add_f64 v[34:35], v[30:31], v[32:33]
	ds_read_b128 v[30:33], v1 offset:1744
	buffer_load_dword v79, off, s[0:3], 0 offset:852
	buffer_load_dword v78, off, s[0:3], 0 offset:848
	buffer_load_dword v81, off, s[0:3], 0 offset:860
	buffer_load_dword v80, off, s[0:3], 0 offset:856
	v_mul_f64 v[4:5], v[28:29], v[76:77]
	v_fma_f64 v[4:5], v[26:27], v[74:75], -v[4:5]
	v_add_f64 v[2:3], v[2:3], v[4:5]
	s_waitcnt vmcnt(0) lgkmcnt(0)
	v_mul_f64 v[36:37], v[30:31], v[80:81]
	v_fmac_f64_e32 v[36:37], v[32:33], v[78:79]
	v_add_f64 v[38:39], v[34:35], v[36:37]
	ds_read_b128 v[34:37], v1 offset:1760
	buffer_load_dword v83, off, s[0:3], 0 offset:868
	buffer_load_dword v82, off, s[0:3], 0 offset:864
	buffer_load_dword v85, off, s[0:3], 0 offset:876
	buffer_load_dword v84, off, s[0:3], 0 offset:872
	v_mul_f64 v[4:5], v[32:33], v[80:81]
	v_fma_f64 v[4:5], v[30:31], v[78:79], -v[4:5]
	v_add_f64 v[2:3], v[2:3], v[4:5]
	s_waitcnt vmcnt(0) lgkmcnt(0)
	v_mul_f64 v[40:41], v[34:35], v[84:85]
	v_fmac_f64_e32 v[40:41], v[36:37], v[82:83]
	v_add_f64 v[42:43], v[38:39], v[40:41]
	ds_read_b128 v[38:41], v1 offset:1776
	buffer_load_dword v87, off, s[0:3], 0 offset:884
	buffer_load_dword v86, off, s[0:3], 0 offset:880
	buffer_load_dword v89, off, s[0:3], 0 offset:892
	buffer_load_dword v88, off, s[0:3], 0 offset:888
	v_mul_f64 v[4:5], v[36:37], v[84:85]
	v_fma_f64 v[4:5], v[34:35], v[82:83], -v[4:5]
	v_add_f64 v[2:3], v[2:3], v[4:5]
	s_waitcnt vmcnt(0) lgkmcnt(0)
	v_mul_f64 v[44:45], v[38:39], v[88:89]
	v_fmac_f64_e32 v[44:45], v[40:41], v[86:87]
	v_add_f64 v[94:95], v[42:43], v[44:45]
	ds_read_b128 v[42:45], v1 offset:1792
	buffer_load_dword v91, off, s[0:3], 0 offset:900
	buffer_load_dword v90, off, s[0:3], 0 offset:896
	buffer_load_dword v93, off, s[0:3], 0 offset:908
	buffer_load_dword v92, off, s[0:3], 0 offset:904
	v_mul_f64 v[4:5], v[40:41], v[88:89]
	v_fma_f64 v[4:5], v[38:39], v[86:87], -v[4:5]
	v_add_f64 v[2:3], v[2:3], v[4:5]
	s_waitcnt vmcnt(0) lgkmcnt(0)
	v_mul_f64 v[96:97], v[42:43], v[92:93]
	v_fmac_f64_e32 v[96:97], v[44:45], v[90:91]
	v_add_f64 v[98:99], v[94:95], v[96:97]
	ds_read_b128 v[94:97], v1 offset:1808
	buffer_load_dword v101, off, s[0:3], 0 offset:916
	buffer_load_dword v100, off, s[0:3], 0 offset:912
	buffer_load_dword v103, off, s[0:3], 0 offset:924
	buffer_load_dword v102, off, s[0:3], 0 offset:920
	v_mul_f64 v[4:5], v[44:45], v[92:93]
	v_fma_f64 v[4:5], v[42:43], v[90:91], -v[4:5]
	v_add_f64 v[2:3], v[2:3], v[4:5]
	s_waitcnt vmcnt(0) lgkmcnt(0)
	v_mul_f64 v[4:5], v[96:97], v[102:103]
	v_mul_f64 v[104:105], v[94:95], v[102:103]
	v_fma_f64 v[4:5], v[94:95], v[100:101], -v[4:5]
	v_fmac_f64_e32 v[104:105], v[96:97], v[100:101]
	v_add_f64 v[2:3], v[2:3], v[4:5]
	v_add_f64 v[98:99], v[98:99], v[104:105]
	v_add_f64 v[2:3], v[48:49], -v[2:3]
	v_add_f64 v[4:5], v[46:47], -v[98:99]
	buffer_store_dword v3, off, s[0:3], 0 offset:724
	buffer_store_dword v2, off, s[0:3], 0 offset:720
	;; [unrolled: 1-line block ×4, first 2 shown]
	s_and_saveexec_b64 s[4:5], vcc
	s_cbranch_execz .LBB120_269
; %bb.268:
	v_accvgpr_read_b32 v0, a127
	buffer_load_dword v2, v0, s[0:3], 0 offen
	buffer_load_dword v3, v0, s[0:3], 0 offen offset:4
	buffer_load_dword v4, v0, s[0:3], 0 offen offset:8
	;; [unrolled: 1-line block ×3, first 2 shown]
	v_mov_b32_e32 v0, 0
	v_accvgpr_read_b32 v1, a171
	buffer_store_dword v0, off, s[0:3], 0 offset:704
	buffer_store_dword v0, off, s[0:3], 0 offset:708
	;; [unrolled: 1-line block ×4, first 2 shown]
	s_waitcnt vmcnt(4)
	ds_write_b128 v1, v[2:5]
.LBB120_269:
	s_or_b64 exec, exec, s[4:5]
	s_waitcnt lgkmcnt(0)
	; wave barrier
	s_waitcnt lgkmcnt(0)
	buffer_load_dword v2, off, s[0:3], 0 offset:720
	buffer_load_dword v3, off, s[0:3], 0 offset:724
	;; [unrolled: 1-line block ×56, first 2 shown]
	v_mov_b32_e32 v1, 0
	ds_read_b128 v[30:33], v1 offset:1616
	ds_read_b128 v[34:37], v1 offset:1632
	;; [unrolled: 1-line block ×9, first 2 shown]
	v_cmp_lt_u32_e32 vcc, 42, v254
	s_waitcnt vmcnt(52) lgkmcnt(8)
	v_mul_f64 v[62:63], v[30:31], v[6:7]
	v_fmac_f64_e32 v[62:63], v[32:33], v[2:3]
	v_mul_f64 v[6:7], v[32:33], v[6:7]
	v_add_f64 v[62:63], v[62:63], 0
	s_waitcnt vmcnt(48) lgkmcnt(7)
	v_mul_f64 v[64:65], v[34:35], v[8:9]
	v_fmac_f64_e32 v[64:65], v[36:37], v[4:5]
	s_waitcnt vmcnt(46) lgkmcnt(6)
	v_mul_f64 v[66:67], v[38:39], v[10:11]
	v_fma_f64 v[2:3], v[30:31], v[2:3], -v[6:7]
	v_mul_f64 v[6:7], v[36:37], v[8:9]
	s_waitcnt vmcnt(44) lgkmcnt(5)
	v_mul_f64 v[68:69], v[42:43], v[12:13]
	v_add_f64 v[62:63], v[62:63], v[64:65]
	v_add_f64 v[2:3], v[2:3], 0
	v_fma_f64 v[4:5], v[34:35], v[4:5], -v[6:7]
	v_add_f64 v[2:3], v[2:3], v[4:5]
	v_mul_f64 v[4:5], v[40:41], v[10:11]
	s_waitcnt vmcnt(37) lgkmcnt(4)
	v_mul_f64 v[70:71], v[46:47], v[20:21]
	s_waitcnt lgkmcnt(3)
	v_mul_f64 v[72:73], v[50:51], v[18:19]
	s_waitcnt vmcnt(35)
	v_fmac_f64_e32 v[70:71], v[48:49], v[22:23]
	s_waitcnt lgkmcnt(2)
	v_mul_f64 v[74:75], v[54:55], v[14:15]
	s_waitcnt vmcnt(33)
	v_fmac_f64_e32 v[66:67], v[40:41], v[28:29]
	v_add_f64 v[62:63], v[62:63], v[66:67]
	s_waitcnt vmcnt(31)
	v_fmac_f64_e32 v[68:69], v[44:45], v[26:27]
	v_add_f64 v[62:63], v[62:63], v[68:69]
	v_fma_f64 v[4:5], v[38:39], v[28:29], -v[4:5]
	s_waitcnt vmcnt(29)
	v_fmac_f64_e32 v[72:73], v[52:53], v[24:25]
	v_add_f64 v[62:63], v[62:63], v[70:71]
	v_add_f64 v[2:3], v[2:3], v[4:5]
	v_mul_f64 v[4:5], v[44:45], v[12:13]
	s_waitcnt vmcnt(28)
	v_fmac_f64_e32 v[74:75], v[56:57], v[16:17]
	v_add_f64 v[62:63], v[62:63], v[72:73]
	v_fma_f64 v[4:5], v[42:43], v[26:27], -v[4:5]
	v_add_f64 v[66:67], v[62:63], v[74:75]
	ds_read_b128 v[62:65], v1 offset:1744
	s_waitcnt vmcnt(24) lgkmcnt(2)
	v_mul_f64 v[68:69], v[58:59], v[86:87]
	v_add_f64 v[2:3], v[2:3], v[4:5]
	v_mul_f64 v[4:5], v[48:49], v[20:21]
	s_waitcnt vmcnt(22)
	v_fmac_f64_e32 v[68:69], v[60:61], v[88:89]
	v_fma_f64 v[4:5], v[46:47], v[22:23], -v[4:5]
	v_add_f64 v[70:71], v[66:67], v[68:69]
	ds_read_b128 v[66:69], v1 offset:1760
	v_add_f64 v[2:3], v[2:3], v[4:5]
	v_mul_f64 v[4:5], v[52:53], v[18:19]
	v_fma_f64 v[4:5], v[50:51], v[24:25], -v[4:5]
	v_add_f64 v[2:3], v[2:3], v[4:5]
	v_mul_f64 v[4:5], v[56:57], v[14:15]
	s_waitcnt vmcnt(21) lgkmcnt(1)
	v_mul_f64 v[72:73], v[62:63], v[82:83]
	v_fma_f64 v[4:5], v[54:55], v[16:17], -v[4:5]
	s_waitcnt vmcnt(20)
	v_fmac_f64_e32 v[72:73], v[64:65], v[84:85]
	v_add_f64 v[2:3], v[2:3], v[4:5]
	v_mul_f64 v[4:5], v[60:61], v[86:87]
	v_add_f64 v[74:75], v[70:71], v[72:73]
	ds_read_b128 v[70:73], v1 offset:1776
	s_waitcnt vmcnt(16) lgkmcnt(1)
	v_mul_f64 v[76:77], v[66:67], v[94:95]
	v_fma_f64 v[4:5], v[58:59], v[88:89], -v[4:5]
	s_waitcnt vmcnt(14)
	v_fmac_f64_e32 v[76:77], v[68:69], v[96:97]
	v_add_f64 v[2:3], v[2:3], v[4:5]
	v_mul_f64 v[4:5], v[64:65], v[82:83]
	v_add_f64 v[110:111], v[74:75], v[76:77]
	ds_read_b128 v[74:77], v1 offset:1792
	v_fma_f64 v[4:5], v[62:63], v[84:85], -v[4:5]
	v_add_f64 v[2:3], v[2:3], v[4:5]
	v_mul_f64 v[4:5], v[68:69], v[94:95]
	v_fma_f64 v[4:5], v[66:67], v[96:97], -v[4:5]
	v_add_f64 v[2:3], v[2:3], v[4:5]
	s_waitcnt vmcnt(13) lgkmcnt(1)
	v_mul_f64 v[4:5], v[72:73], v[90:91]
	v_mul_f64 v[112:113], v[70:71], v[90:91]
	s_waitcnt vmcnt(12)
	v_fma_f64 v[4:5], v[70:71], v[92:93], -v[4:5]
	v_fmac_f64_e32 v[112:113], v[72:73], v[92:93]
	v_add_f64 v[2:3], v[2:3], v[4:5]
	s_waitcnt vmcnt(8) lgkmcnt(0)
	v_mul_f64 v[4:5], v[76:77], v[102:103]
	v_add_f64 v[110:111], v[110:111], v[112:113]
	v_mul_f64 v[112:113], v[74:75], v[102:103]
	s_waitcnt vmcnt(6)
	v_fma_f64 v[4:5], v[74:75], v[104:105], -v[4:5]
	v_fmac_f64_e32 v[112:113], v[76:77], v[104:105]
	v_add_f64 v[2:3], v[2:3], v[4:5]
	s_waitcnt vmcnt(5)
	v_mul_f64 v[4:5], v[80:81], v[98:99]
	v_add_f64 v[110:111], v[110:111], v[112:113]
	v_mul_f64 v[112:113], v[78:79], v[98:99]
	s_waitcnt vmcnt(4)
	v_fma_f64 v[4:5], v[78:79], v[100:101], -v[4:5]
	v_fmac_f64_e32 v[112:113], v[80:81], v[100:101]
	v_add_f64 v[2:3], v[2:3], v[4:5]
	v_add_f64 v[110:111], v[110:111], v[112:113]
	s_waitcnt vmcnt(2)
	v_add_f64 v[2:3], v[106:107], -v[2:3]
	s_waitcnt vmcnt(0)
	v_add_f64 v[4:5], v[108:109], -v[110:111]
	buffer_store_dword v3, off, s[0:3], 0 offset:708
	buffer_store_dword v2, off, s[0:3], 0 offset:704
	;; [unrolled: 1-line block ×4, first 2 shown]
	s_and_saveexec_b64 s[4:5], vcc
	s_cbranch_execz .LBB120_271
; %bb.270:
	v_accvgpr_read_b32 v0, a128
	buffer_load_dword v2, v0, s[0:3], 0 offen
	buffer_load_dword v3, v0, s[0:3], 0 offen offset:4
	buffer_load_dword v4, v0, s[0:3], 0 offen offset:8
	;; [unrolled: 1-line block ×3, first 2 shown]
	v_accvgpr_read_b32 v0, a171
	buffer_store_dword v1, off, s[0:3], 0 offset:688
	buffer_store_dword v1, off, s[0:3], 0 offset:692
	;; [unrolled: 1-line block ×4, first 2 shown]
	s_waitcnt vmcnt(4)
	ds_write_b128 v0, v[2:5]
.LBB120_271:
	s_or_b64 exec, exec, s[4:5]
	s_waitcnt lgkmcnt(0)
	; wave barrier
	s_waitcnt lgkmcnt(0)
	buffer_load_dword v2, off, s[0:3], 0 offset:704
	buffer_load_dword v3, off, s[0:3], 0 offset:708
	;; [unrolled: 1-line block ×60, first 2 shown]
	ds_read_b128 v[30:33], v1 offset:1600
	ds_read_b128 v[34:37], v1 offset:1616
	;; [unrolled: 1-line block ×8, first 2 shown]
	v_cmp_lt_u32_e32 vcc, 41, v254
	ds_read_b128 v[82:85], v1 offset:1808
	s_waitcnt vmcnt(56) lgkmcnt(8)
	v_mul_f64 v[62:63], v[30:31], v[6:7]
	v_fmac_f64_e32 v[62:63], v[32:33], v[2:3]
	v_add_f64 v[62:63], v[62:63], 0
	v_mul_f64 v[6:7], v[32:33], v[6:7]
	s_waitcnt vmcnt(52) lgkmcnt(7)
	v_mul_f64 v[64:65], v[34:35], v[8:9]
	v_fmac_f64_e32 v[64:65], v[36:37], v[4:5]
	s_waitcnt vmcnt(50) lgkmcnt(6)
	v_mul_f64 v[66:67], v[38:39], v[10:11]
	v_add_f64 v[62:63], v[62:63], v[64:65]
	s_waitcnt vmcnt(48) lgkmcnt(4)
	v_mul_f64 v[70:71], v[46:47], v[12:13]
	v_fma_f64 v[2:3], v[30:31], v[2:3], -v[6:7]
	s_waitcnt vmcnt(46)
	v_fmac_f64_e32 v[70:71], v[48:49], v[14:15]
	v_mul_f64 v[6:7], v[36:37], v[8:9]
	s_waitcnt vmcnt(44)
	v_mul_f64 v[68:69], v[42:43], v[16:17]
	v_add_f64 v[2:3], v[2:3], 0
	v_fma_f64 v[4:5], v[34:35], v[4:5], -v[6:7]
	v_add_f64 v[2:3], v[2:3], v[4:5]
	s_waitcnt vmcnt(40) lgkmcnt(3)
	v_mul_f64 v[72:73], v[50:51], v[22:23]
	v_mul_f64 v[4:5], v[40:41], v[10:11]
	s_waitcnt vmcnt(38)
	v_fmac_f64_e32 v[66:67], v[40:41], v[28:29]
	v_add_f64 v[62:63], v[62:63], v[66:67]
	s_waitcnt vmcnt(36)
	v_fmac_f64_e32 v[68:69], v[44:45], v[26:27]
	v_add_f64 v[62:63], v[62:63], v[68:69]
	;; [unrolled: 3-line block ×3, first 2 shown]
	s_waitcnt vmcnt(33) lgkmcnt(2)
	v_mul_f64 v[64:65], v[54:55], v[18:19]
	v_add_f64 v[62:63], v[62:63], v[72:73]
	s_waitcnt vmcnt(32)
	v_fmac_f64_e32 v[64:65], v[56:57], v[20:21]
	v_add_f64 v[66:67], v[62:63], v[64:65]
	ds_read_b128 v[62:65], v1 offset:1728
	v_fma_f64 v[4:5], v[38:39], v[28:29], -v[4:5]
	v_add_f64 v[2:3], v[2:3], v[4:5]
	v_mul_f64 v[4:5], v[44:45], v[16:17]
	v_fma_f64 v[4:5], v[42:43], v[26:27], -v[4:5]
	s_waitcnt vmcnt(28) lgkmcnt(2)
	v_mul_f64 v[68:69], v[58:59], v[90:91]
	v_add_f64 v[2:3], v[2:3], v[4:5]
	v_mul_f64 v[4:5], v[48:49], v[12:13]
	s_waitcnt vmcnt(26)
	v_fmac_f64_e32 v[68:69], v[60:61], v[92:93]
	v_fma_f64 v[4:5], v[46:47], v[14:15], -v[4:5]
	v_add_f64 v[70:71], v[66:67], v[68:69]
	ds_read_b128 v[66:69], v1 offset:1744
	s_waitcnt vmcnt(25) lgkmcnt(1)
	v_mul_f64 v[72:73], v[62:63], v[86:87]
	v_add_f64 v[2:3], v[2:3], v[4:5]
	v_mul_f64 v[4:5], v[52:53], v[22:23]
	s_waitcnt vmcnt(24)
	v_fmac_f64_e32 v[72:73], v[64:65], v[88:89]
	v_fma_f64 v[4:5], v[50:51], v[24:25], -v[4:5]
	v_add_f64 v[74:75], v[70:71], v[72:73]
	ds_read_b128 v[70:73], v1 offset:1760
	v_add_f64 v[2:3], v[2:3], v[4:5]
	v_mul_f64 v[4:5], v[56:57], v[18:19]
	v_fma_f64 v[4:5], v[54:55], v[20:21], -v[4:5]
	v_add_f64 v[2:3], v[2:3], v[4:5]
	v_mul_f64 v[4:5], v[60:61], v[90:91]
	s_waitcnt vmcnt(20) lgkmcnt(1)
	v_mul_f64 v[76:77], v[66:67], v[98:99]
	v_fma_f64 v[4:5], v[58:59], v[92:93], -v[4:5]
	s_waitcnt vmcnt(18)
	v_fmac_f64_e32 v[76:77], v[68:69], v[100:101]
	v_add_f64 v[2:3], v[2:3], v[4:5]
	v_mul_f64 v[4:5], v[64:65], v[86:87]
	v_add_f64 v[78:79], v[74:75], v[76:77]
	ds_read_b128 v[74:77], v1 offset:1776
	s_waitcnt vmcnt(17) lgkmcnt(1)
	v_mul_f64 v[80:81], v[70:71], v[94:95]
	v_fma_f64 v[4:5], v[62:63], v[88:89], -v[4:5]
	s_waitcnt vmcnt(16)
	v_fmac_f64_e32 v[80:81], v[72:73], v[96:97]
	v_add_f64 v[2:3], v[2:3], v[4:5]
	v_mul_f64 v[4:5], v[68:69], v[98:99]
	v_add_f64 v[118:119], v[78:79], v[80:81]
	ds_read_b128 v[78:81], v1 offset:1792
	v_fma_f64 v[4:5], v[66:67], v[100:101], -v[4:5]
	v_add_f64 v[2:3], v[2:3], v[4:5]
	v_mul_f64 v[4:5], v[72:73], v[94:95]
	v_fma_f64 v[4:5], v[70:71], v[96:97], -v[4:5]
	v_add_f64 v[2:3], v[2:3], v[4:5]
	s_waitcnt vmcnt(12) lgkmcnt(1)
	v_mul_f64 v[4:5], v[76:77], v[106:107]
	v_mul_f64 v[120:121], v[74:75], v[106:107]
	s_waitcnt vmcnt(10)
	v_fma_f64 v[4:5], v[74:75], v[108:109], -v[4:5]
	v_fmac_f64_e32 v[120:121], v[76:77], v[108:109]
	v_add_f64 v[2:3], v[2:3], v[4:5]
	s_waitcnt vmcnt(9) lgkmcnt(0)
	v_mul_f64 v[4:5], v[80:81], v[102:103]
	v_add_f64 v[118:119], v[118:119], v[120:121]
	v_mul_f64 v[120:121], v[78:79], v[102:103]
	s_waitcnt vmcnt(8)
	v_fma_f64 v[4:5], v[78:79], v[104:105], -v[4:5]
	v_fmac_f64_e32 v[120:121], v[80:81], v[104:105]
	v_add_f64 v[2:3], v[2:3], v[4:5]
	s_waitcnt vmcnt(6)
	v_mul_f64 v[4:5], v[84:85], v[110:111]
	v_add_f64 v[118:119], v[118:119], v[120:121]
	v_mul_f64 v[120:121], v[82:83], v[110:111]
	s_waitcnt vmcnt(4)
	v_fma_f64 v[4:5], v[82:83], v[112:113], -v[4:5]
	v_fmac_f64_e32 v[120:121], v[84:85], v[112:113]
	v_add_f64 v[2:3], v[2:3], v[4:5]
	v_add_f64 v[118:119], v[118:119], v[120:121]
	s_waitcnt vmcnt(2)
	v_add_f64 v[2:3], v[114:115], -v[2:3]
	s_waitcnt vmcnt(0)
	v_add_f64 v[4:5], v[116:117], -v[118:119]
	buffer_store_dword v3, off, s[0:3], 0 offset:692
	buffer_store_dword v2, off, s[0:3], 0 offset:688
	;; [unrolled: 1-line block ×4, first 2 shown]
	s_and_saveexec_b64 s[4:5], vcc
	s_cbranch_execz .LBB120_273
; %bb.272:
	v_accvgpr_read_b32 v0, a129
	buffer_load_dword v2, v0, s[0:3], 0 offen
	buffer_load_dword v3, v0, s[0:3], 0 offen offset:4
	buffer_load_dword v4, v0, s[0:3], 0 offen offset:8
	;; [unrolled: 1-line block ×3, first 2 shown]
	v_mov_b32_e32 v0, 0
	v_accvgpr_read_b32 v1, a171
	buffer_store_dword v0, off, s[0:3], 0 offset:672
	buffer_store_dword v0, off, s[0:3], 0 offset:676
	;; [unrolled: 1-line block ×4, first 2 shown]
	s_waitcnt vmcnt(4)
	ds_write_b128 v1, v[2:5]
.LBB120_273:
	s_or_b64 exec, exec, s[4:5]
	s_waitcnt lgkmcnt(0)
	; wave barrier
	s_waitcnt lgkmcnt(0)
	buffer_load_dword v2, off, s[0:3], 0 offset:688
	buffer_load_dword v3, off, s[0:3], 0 offset:692
	;; [unrolled: 1-line block ×64, first 2 shown]
	v_mov_b32_e32 v1, 0
	ds_read_b128 v[38:41], v1 offset:1584
	ds_read_b128 v[42:45], v1 offset:1600
	;; [unrolled: 1-line block ×7, first 2 shown]
	v_cmp_lt_u32_e32 vcc, 40, v254
	s_waitcnt vmcnt(60) lgkmcnt(6)
	v_mul_f64 v[62:63], v[38:39], v[4:5]
	v_fmac_f64_e32 v[62:63], v[40:41], v[2:3]
	s_waitcnt vmcnt(58) lgkmcnt(5)
	v_mul_f64 v[64:65], v[42:43], v[6:7]
	v_add_f64 v[62:63], v[62:63], 0
	s_waitcnt vmcnt(56) lgkmcnt(4)
	v_mul_f64 v[66:67], v[46:47], v[8:9]
	v_mul_f64 v[4:5], v[40:41], v[4:5]
	s_waitcnt vmcnt(54) lgkmcnt(2)
	v_mul_f64 v[70:71], v[54:55], v[10:11]
	v_fma_f64 v[2:3], v[38:39], v[2:3], -v[4:5]
	v_mul_f64 v[4:5], v[44:45], v[6:7]
	s_waitcnt vmcnt(51)
	v_mul_f64 v[68:69], v[50:51], v[14:15]
	v_add_f64 v[2:3], v[2:3], 0
	s_waitcnt vmcnt(49)
	v_fmac_f64_e32 v[64:65], v[44:45], v[20:21]
	v_add_f64 v[62:63], v[62:63], v[64:65]
	s_waitcnt vmcnt(47)
	v_fmac_f64_e32 v[66:67], v[48:49], v[18:19]
	;; [unrolled: 3-line block ×4, first 2 shown]
	v_add_f64 v[66:67], v[62:63], v[70:71]
	ds_read_b128 v[62:65], v1 offset:1680
	s_waitcnt vmcnt(40) lgkmcnt(2)
	v_mul_f64 v[68:69], v[58:59], v[26:27]
	v_fma_f64 v[4:5], v[42:43], v[20:21], -v[4:5]
	s_waitcnt vmcnt(38)
	v_fmac_f64_e32 v[68:69], v[60:61], v[28:29]
	v_add_f64 v[70:71], v[66:67], v[68:69]
	ds_read_b128 v[66:69], v1 offset:1696
	s_waitcnt vmcnt(37) lgkmcnt(1)
	v_mul_f64 v[72:73], v[62:63], v[22:23]
	s_waitcnt vmcnt(36)
	v_fmac_f64_e32 v[72:73], v[64:65], v[24:25]
	v_add_f64 v[2:3], v[2:3], v[4:5]
	v_mul_f64 v[4:5], v[48:49], v[8:9]
	v_add_f64 v[74:75], v[70:71], v[72:73]
	ds_read_b128 v[70:73], v1 offset:1712
	s_waitcnt vmcnt(32) lgkmcnt(1)
	v_mul_f64 v[76:77], v[66:67], v[34:35]
	v_fma_f64 v[4:5], v[46:47], v[18:19], -v[4:5]
	s_waitcnt vmcnt(30)
	v_fmac_f64_e32 v[76:77], v[68:69], v[36:37]
	v_add_f64 v[2:3], v[2:3], v[4:5]
	v_mul_f64 v[4:5], v[52:53], v[14:15]
	v_add_f64 v[78:79], v[74:75], v[76:77]
	ds_read_b128 v[74:77], v1 offset:1728
	v_fma_f64 v[4:5], v[50:51], v[16:17], -v[4:5]
	v_add_f64 v[2:3], v[2:3], v[4:5]
	v_mul_f64 v[4:5], v[56:57], v[10:11]
	v_fma_f64 v[4:5], v[54:55], v[12:13], -v[4:5]
	s_waitcnt vmcnt(29) lgkmcnt(1)
	v_mul_f64 v[80:81], v[70:71], v[30:31]
	v_add_f64 v[2:3], v[2:3], v[4:5]
	v_mul_f64 v[4:5], v[60:61], v[26:27]
	s_waitcnt vmcnt(28)
	v_fmac_f64_e32 v[80:81], v[72:73], v[32:33]
	v_fma_f64 v[4:5], v[58:59], v[28:29], -v[4:5]
	v_add_f64 v[82:83], v[78:79], v[80:81]
	ds_read_b128 v[78:81], v1 offset:1744
	s_waitcnt vmcnt(24) lgkmcnt(1)
	v_mul_f64 v[84:85], v[74:75], v[102:103]
	v_add_f64 v[2:3], v[2:3], v[4:5]
	v_mul_f64 v[4:5], v[64:65], v[22:23]
	s_waitcnt vmcnt(22)
	v_fmac_f64_e32 v[84:85], v[76:77], v[104:105]
	v_fma_f64 v[4:5], v[62:63], v[24:25], -v[4:5]
	v_add_f64 v[86:87], v[82:83], v[84:85]
	ds_read_b128 v[82:85], v1 offset:1760
	v_add_f64 v[2:3], v[2:3], v[4:5]
	v_mul_f64 v[4:5], v[68:69], v[34:35]
	v_fma_f64 v[4:5], v[66:67], v[36:37], -v[4:5]
	v_add_f64 v[2:3], v[2:3], v[4:5]
	v_mul_f64 v[4:5], v[72:73], v[30:31]
	s_waitcnt vmcnt(21) lgkmcnt(1)
	v_mul_f64 v[88:89], v[78:79], v[98:99]
	v_fma_f64 v[4:5], v[70:71], v[32:33], -v[4:5]
	s_waitcnt vmcnt(20)
	v_fmac_f64_e32 v[88:89], v[80:81], v[100:101]
	v_add_f64 v[2:3], v[2:3], v[4:5]
	v_mul_f64 v[4:5], v[76:77], v[102:103]
	v_add_f64 v[90:91], v[86:87], v[88:89]
	ds_read_b128 v[86:89], v1 offset:1776
	s_waitcnt vmcnt(16) lgkmcnt(1)
	v_mul_f64 v[92:93], v[82:83], v[110:111]
	v_fma_f64 v[4:5], v[74:75], v[104:105], -v[4:5]
	s_waitcnt vmcnt(14)
	v_fmac_f64_e32 v[92:93], v[84:85], v[112:113]
	v_add_f64 v[2:3], v[2:3], v[4:5]
	v_mul_f64 v[4:5], v[80:81], v[98:99]
	v_add_f64 v[126:127], v[90:91], v[92:93]
	ds_read_b128 v[90:93], v1 offset:1792
	v_fma_f64 v[4:5], v[78:79], v[100:101], -v[4:5]
	v_add_f64 v[2:3], v[2:3], v[4:5]
	v_mul_f64 v[4:5], v[84:85], v[110:111]
	v_fma_f64 v[4:5], v[82:83], v[112:113], -v[4:5]
	v_add_f64 v[2:3], v[2:3], v[4:5]
	s_waitcnt vmcnt(13) lgkmcnt(1)
	v_mul_f64 v[4:5], v[88:89], v[106:107]
	v_mul_f64 v[128:129], v[86:87], v[106:107]
	s_waitcnt vmcnt(12)
	v_fma_f64 v[4:5], v[86:87], v[108:109], -v[4:5]
	v_fmac_f64_e32 v[128:129], v[88:89], v[108:109]
	v_add_f64 v[2:3], v[2:3], v[4:5]
	s_waitcnt vmcnt(8) lgkmcnt(0)
	v_mul_f64 v[4:5], v[92:93], v[118:119]
	v_add_f64 v[126:127], v[126:127], v[128:129]
	v_mul_f64 v[128:129], v[90:91], v[118:119]
	s_waitcnt vmcnt(6)
	v_fma_f64 v[4:5], v[90:91], v[120:121], -v[4:5]
	v_fmac_f64_e32 v[128:129], v[92:93], v[120:121]
	v_add_f64 v[2:3], v[2:3], v[4:5]
	s_waitcnt vmcnt(5)
	v_mul_f64 v[4:5], v[96:97], v[114:115]
	v_add_f64 v[126:127], v[126:127], v[128:129]
	v_mul_f64 v[128:129], v[94:95], v[114:115]
	s_waitcnt vmcnt(4)
	v_fma_f64 v[4:5], v[94:95], v[116:117], -v[4:5]
	v_fmac_f64_e32 v[128:129], v[96:97], v[116:117]
	v_add_f64 v[2:3], v[2:3], v[4:5]
	v_add_f64 v[126:127], v[126:127], v[128:129]
	s_waitcnt vmcnt(2)
	v_add_f64 v[2:3], v[122:123], -v[2:3]
	s_waitcnt vmcnt(0)
	v_add_f64 v[4:5], v[124:125], -v[126:127]
	buffer_store_dword v3, off, s[0:3], 0 offset:676
	buffer_store_dword v2, off, s[0:3], 0 offset:672
	;; [unrolled: 1-line block ×4, first 2 shown]
	s_and_saveexec_b64 s[4:5], vcc
	s_cbranch_execz .LBB120_275
; %bb.274:
	v_accvgpr_read_b32 v0, a130
	buffer_load_dword v2, v0, s[0:3], 0 offen
	buffer_load_dword v3, v0, s[0:3], 0 offen offset:4
	buffer_load_dword v4, v0, s[0:3], 0 offen offset:8
	;; [unrolled: 1-line block ×3, first 2 shown]
	v_accvgpr_read_b32 v0, a171
	buffer_store_dword v1, off, s[0:3], 0 offset:656
	buffer_store_dword v1, off, s[0:3], 0 offset:660
	;; [unrolled: 1-line block ×4, first 2 shown]
	s_waitcnt vmcnt(4)
	ds_write_b128 v0, v[2:5]
.LBB120_275:
	s_or_b64 exec, exec, s[4:5]
	s_waitcnt lgkmcnt(0)
	; wave barrier
	s_waitcnt lgkmcnt(0)
	buffer_load_dword v2, off, s[0:3], 0 offset:672
	buffer_load_dword v3, off, s[0:3], 0 offset:676
	;; [unrolled: 1-line block ×64, first 2 shown]
	ds_read_b128 v[46:49], v1 offset:1568
	ds_read_b128 v[50:53], v1 offset:1584
	;; [unrolled: 1-line block ×4, first 2 shown]
	buffer_load_dword v130, off, s[0:3], 0 offset:656
	buffer_load_dword v131, off, s[0:3], 0 offset:660
	;; [unrolled: 1-line block ×4, first 2 shown]
	v_cmp_lt_u32_e32 vcc, 39, v254
	ds_read_b128 v[106:109], v1 offset:1808
	s_waitcnt vmcnt(62) lgkmcnt(4)
	v_mul_f64 v[62:63], v[46:47], v[4:5]
	v_fmac_f64_e32 v[62:63], v[48:49], v[2:3]
	v_add_f64 v[62:63], v[62:63], 0
	s_waitcnt lgkmcnt(2)
	v_mul_f64 v[66:67], v[54:55], v[6:7]
	v_mul_f64 v[4:5], v[48:49], v[4:5]
	v_fma_f64 v[2:3], v[46:47], v[2:3], -v[4:5]
	s_waitcnt vmcnt(58) lgkmcnt(1)
	v_mul_f64 v[68:69], v[58:59], v[12:13]
	v_add_f64 v[2:3], v[2:3], 0
	s_waitcnt vmcnt(56)
	v_mul_f64 v[64:65], v[50:51], v[18:19]
	v_mul_f64 v[4:5], v[52:53], v[18:19]
	s_waitcnt vmcnt(53)
	v_fmac_f64_e32 v[66:67], v[56:57], v[16:17]
	s_waitcnt vmcnt(52)
	v_fmac_f64_e32 v[64:65], v[52:53], v[20:21]
	v_add_f64 v[70:71], v[62:63], v[64:65]
	ds_read_b128 v[62:65], v1 offset:1632
	v_add_f64 v[66:67], v[70:71], v[66:67]
	s_waitcnt vmcnt(50)
	v_fmac_f64_e32 v[68:69], v[60:61], v[14:15]
	v_add_f64 v[70:71], v[66:67], v[68:69]
	ds_read_b128 v[66:69], v1 offset:1648
	s_waitcnt vmcnt(49) lgkmcnt(1)
	v_mul_f64 v[72:73], v[62:63], v[8:9]
	s_waitcnt vmcnt(48)
	v_fmac_f64_e32 v[72:73], v[64:65], v[10:11]
	v_add_f64 v[74:75], v[70:71], v[72:73]
	ds_read_b128 v[70:73], v1 offset:1664
	s_waitcnt vmcnt(44) lgkmcnt(1)
	v_mul_f64 v[76:77], v[66:67], v[26:27]
	;; [unrolled: 6-line block ×3, first 2 shown]
	s_waitcnt vmcnt(40)
	v_fmac_f64_e32 v[80:81], v[72:73], v[24:25]
	v_add_f64 v[82:83], v[78:79], v[80:81]
	ds_read_b128 v[78:81], v1 offset:1696
	v_fma_f64 v[4:5], v[50:51], v[20:21], -v[4:5]
	v_add_f64 v[2:3], v[2:3], v[4:5]
	v_mul_f64 v[4:5], v[56:57], v[6:7]
	s_waitcnt vmcnt(36) lgkmcnt(1)
	v_mul_f64 v[84:85], v[74:75], v[34:35]
	v_fma_f64 v[4:5], v[54:55], v[16:17], -v[4:5]
	s_waitcnt vmcnt(34)
	v_fmac_f64_e32 v[84:85], v[76:77], v[36:37]
	v_add_f64 v[2:3], v[2:3], v[4:5]
	v_mul_f64 v[4:5], v[60:61], v[12:13]
	v_add_f64 v[86:87], v[82:83], v[84:85]
	ds_read_b128 v[82:85], v1 offset:1712
	s_waitcnt vmcnt(33) lgkmcnt(1)
	v_mul_f64 v[88:89], v[78:79], v[30:31]
	v_fma_f64 v[4:5], v[58:59], v[14:15], -v[4:5]
	s_waitcnt vmcnt(32)
	v_fmac_f64_e32 v[88:89], v[80:81], v[32:33]
	v_add_f64 v[2:3], v[2:3], v[4:5]
	v_mul_f64 v[4:5], v[64:65], v[8:9]
	v_add_f64 v[90:91], v[86:87], v[88:89]
	ds_read_b128 v[86:89], v1 offset:1728
	v_fma_f64 v[4:5], v[62:63], v[10:11], -v[4:5]
	v_add_f64 v[2:3], v[2:3], v[4:5]
	v_mul_f64 v[4:5], v[68:69], v[26:27]
	v_fma_f64 v[4:5], v[66:67], v[28:29], -v[4:5]
	s_waitcnt vmcnt(28) lgkmcnt(1)
	v_mul_f64 v[92:93], v[82:83], v[42:43]
	v_add_f64 v[2:3], v[2:3], v[4:5]
	v_mul_f64 v[4:5], v[72:73], v[22:23]
	s_waitcnt vmcnt(26)
	v_fmac_f64_e32 v[92:93], v[84:85], v[44:45]
	v_fma_f64 v[4:5], v[70:71], v[24:25], -v[4:5]
	v_add_f64 v[94:95], v[90:91], v[92:93]
	ds_read_b128 v[90:93], v1 offset:1744
	s_waitcnt vmcnt(25) lgkmcnt(1)
	v_mul_f64 v[96:97], v[86:87], v[38:39]
	v_add_f64 v[2:3], v[2:3], v[4:5]
	v_mul_f64 v[4:5], v[76:77], v[34:35]
	s_waitcnt vmcnt(24)
	v_fmac_f64_e32 v[96:97], v[88:89], v[40:41]
	v_fma_f64 v[4:5], v[74:75], v[36:37], -v[4:5]
	v_add_f64 v[98:99], v[94:95], v[96:97]
	ds_read_b128 v[94:97], v1 offset:1760
	v_add_f64 v[2:3], v[2:3], v[4:5]
	v_mul_f64 v[4:5], v[80:81], v[30:31]
	v_fma_f64 v[4:5], v[78:79], v[32:33], -v[4:5]
	v_add_f64 v[2:3], v[2:3], v[4:5]
	v_mul_f64 v[4:5], v[84:85], v[42:43]
	s_waitcnt vmcnt(20) lgkmcnt(1)
	v_mul_f64 v[100:101], v[90:91], v[114:115]
	v_fma_f64 v[4:5], v[82:83], v[44:45], -v[4:5]
	s_waitcnt vmcnt(18)
	v_fmac_f64_e32 v[100:101], v[92:93], v[116:117]
	v_add_f64 v[2:3], v[2:3], v[4:5]
	v_mul_f64 v[4:5], v[88:89], v[38:39]
	v_add_f64 v[102:103], v[98:99], v[100:101]
	ds_read_b128 v[98:101], v1 offset:1776
	s_waitcnt vmcnt(17) lgkmcnt(1)
	v_mul_f64 v[104:105], v[94:95], v[110:111]
	v_fma_f64 v[4:5], v[86:87], v[40:41], -v[4:5]
	s_waitcnt vmcnt(16)
	v_fmac_f64_e32 v[104:105], v[96:97], v[112:113]
	v_add_f64 v[2:3], v[2:3], v[4:5]
	v_mul_f64 v[4:5], v[92:93], v[114:115]
	v_add_f64 v[134:135], v[102:103], v[104:105]
	ds_read_b128 v[102:105], v1 offset:1792
	v_fma_f64 v[4:5], v[90:91], v[116:117], -v[4:5]
	v_add_f64 v[2:3], v[2:3], v[4:5]
	v_mul_f64 v[4:5], v[96:97], v[110:111]
	v_fma_f64 v[4:5], v[94:95], v[112:113], -v[4:5]
	v_add_f64 v[2:3], v[2:3], v[4:5]
	s_waitcnt vmcnt(12) lgkmcnt(1)
	v_mul_f64 v[4:5], v[100:101], v[122:123]
	v_mul_f64 v[136:137], v[98:99], v[122:123]
	s_waitcnt vmcnt(10)
	v_fma_f64 v[4:5], v[98:99], v[124:125], -v[4:5]
	v_fmac_f64_e32 v[136:137], v[100:101], v[124:125]
	v_add_f64 v[2:3], v[2:3], v[4:5]
	s_waitcnt vmcnt(9) lgkmcnt(0)
	v_mul_f64 v[4:5], v[104:105], v[118:119]
	v_add_f64 v[134:135], v[134:135], v[136:137]
	v_mul_f64 v[136:137], v[102:103], v[118:119]
	s_waitcnt vmcnt(8)
	v_fma_f64 v[4:5], v[102:103], v[120:121], -v[4:5]
	v_fmac_f64_e32 v[136:137], v[104:105], v[120:121]
	v_add_f64 v[2:3], v[2:3], v[4:5]
	s_waitcnt vmcnt(6)
	v_mul_f64 v[4:5], v[108:109], v[126:127]
	v_add_f64 v[134:135], v[134:135], v[136:137]
	v_mul_f64 v[136:137], v[106:107], v[126:127]
	s_waitcnt vmcnt(4)
	v_fma_f64 v[4:5], v[106:107], v[128:129], -v[4:5]
	v_fmac_f64_e32 v[136:137], v[108:109], v[128:129]
	v_add_f64 v[2:3], v[2:3], v[4:5]
	v_add_f64 v[134:135], v[134:135], v[136:137]
	s_waitcnt vmcnt(2)
	v_add_f64 v[2:3], v[130:131], -v[2:3]
	s_waitcnt vmcnt(0)
	v_add_f64 v[4:5], v[132:133], -v[134:135]
	buffer_store_dword v3, off, s[0:3], 0 offset:660
	buffer_store_dword v2, off, s[0:3], 0 offset:656
	;; [unrolled: 1-line block ×4, first 2 shown]
	s_and_saveexec_b64 s[4:5], vcc
	s_cbranch_execz .LBB120_277
; %bb.276:
	v_accvgpr_read_b32 v0, a131
	buffer_load_dword v2, v0, s[0:3], 0 offen
	buffer_load_dword v3, v0, s[0:3], 0 offen offset:4
	buffer_load_dword v4, v0, s[0:3], 0 offen offset:8
	;; [unrolled: 1-line block ×3, first 2 shown]
	v_mov_b32_e32 v0, 0
	v_accvgpr_read_b32 v1, a171
	buffer_store_dword v0, off, s[0:3], 0 offset:640
	buffer_store_dword v0, off, s[0:3], 0 offset:644
	;; [unrolled: 1-line block ×4, first 2 shown]
	s_waitcnt vmcnt(4)
	ds_write_b128 v1, v[2:5]
.LBB120_277:
	s_or_b64 exec, exec, s[4:5]
	s_waitcnt lgkmcnt(0)
	; wave barrier
	s_waitcnt lgkmcnt(0)
	buffer_load_dword v2, off, s[0:3], 0 offset:656
	buffer_load_dword v3, off, s[0:3], 0 offset:660
	;; [unrolled: 1-line block ×68, first 2 shown]
	v_mov_b32_e32 v1, 0
	buffer_load_dword v138, off, s[0:3], 0 offset:640
	buffer_load_dword v139, off, s[0:3], 0 offset:644
	buffer_load_dword v140, off, s[0:3], 0 offset:648
	ds_read_b128 v[46:49], v1 offset:1552
	ds_read_b128 v[50:53], v1 offset:1568
	buffer_load_dword v141, off, s[0:3], 0 offset:652
	ds_read_b128 v[54:57], v1 offset:1584
	ds_read_b128 v[58:61], v1 offset:1600
	;; [unrolled: 1-line block ×3, first 2 shown]
	v_cmp_lt_u32_e32 vcc, 38, v254
	s_waitcnt vmcnt(62) lgkmcnt(4)
	v_mul_f64 v[62:63], v[46:47], v[6:7]
	v_fmac_f64_e32 v[62:63], v[48:49], v[2:3]
	v_add_f64 v[62:63], v[62:63], 0
	v_mul_f64 v[6:7], v[48:49], v[6:7]
	s_waitcnt lgkmcnt(3)
	v_mul_f64 v[64:65], v[50:51], v[10:11]
	v_fmac_f64_e32 v[64:65], v[52:53], v[4:5]
	v_add_f64 v[62:63], v[62:63], v[64:65]
	v_fma_f64 v[2:3], v[46:47], v[2:3], -v[6:7]
	s_waitcnt vmcnt(60) lgkmcnt(2)
	v_mul_f64 v[64:65], v[54:55], v[12:13]
	v_fmac_f64_e32 v[64:65], v[56:57], v[8:9]
	v_add_f64 v[66:67], v[62:63], v[64:65]
	ds_read_b128 v[62:65], v1 offset:1616
	s_waitcnt vmcnt(56) lgkmcnt(2)
	v_mul_f64 v[68:69], v[58:59], v[18:19]
	v_mul_f64 v[6:7], v[52:53], v[10:11]
	s_waitcnt vmcnt(54)
	v_fmac_f64_e32 v[68:69], v[60:61], v[20:21]
	v_add_f64 v[70:71], v[66:67], v[68:69]
	ds_read_b128 v[66:69], v1 offset:1632
	s_waitcnt vmcnt(53) lgkmcnt(1)
	v_mul_f64 v[72:73], v[62:63], v[14:15]
	s_waitcnt vmcnt(52)
	v_fmac_f64_e32 v[72:73], v[64:65], v[16:17]
	v_add_f64 v[74:75], v[70:71], v[72:73]
	ds_read_b128 v[70:73], v1 offset:1648
	s_waitcnt vmcnt(48) lgkmcnt(1)
	;; [unrolled: 6-line block ×4, first 2 shown]
	v_mul_f64 v[84:85], v[74:75], v[34:35]
	s_waitcnt vmcnt(38)
	v_fmac_f64_e32 v[84:85], v[76:77], v[36:37]
	v_add_f64 v[2:3], v[2:3], 0
	v_fma_f64 v[4:5], v[50:51], v[4:5], -v[6:7]
	v_add_f64 v[86:87], v[82:83], v[84:85]
	ds_read_b128 v[82:85], v1 offset:1696
	v_add_f64 v[2:3], v[2:3], v[4:5]
	v_mul_f64 v[4:5], v[56:57], v[12:13]
	v_fma_f64 v[4:5], v[54:55], v[8:9], -v[4:5]
	v_add_f64 v[2:3], v[2:3], v[4:5]
	v_mul_f64 v[4:5], v[60:61], v[18:19]
	s_waitcnt vmcnt(37) lgkmcnt(1)
	v_mul_f64 v[88:89], v[78:79], v[30:31]
	v_fma_f64 v[4:5], v[58:59], v[20:21], -v[4:5]
	s_waitcnt vmcnt(36)
	v_fmac_f64_e32 v[88:89], v[80:81], v[32:33]
	v_add_f64 v[2:3], v[2:3], v[4:5]
	v_mul_f64 v[4:5], v[64:65], v[14:15]
	v_add_f64 v[90:91], v[86:87], v[88:89]
	ds_read_b128 v[86:89], v1 offset:1712
	s_waitcnt vmcnt(32) lgkmcnt(1)
	v_mul_f64 v[92:93], v[82:83], v[42:43]
	v_fma_f64 v[4:5], v[62:63], v[16:17], -v[4:5]
	s_waitcnt vmcnt(30)
	v_fmac_f64_e32 v[92:93], v[84:85], v[44:45]
	v_add_f64 v[2:3], v[2:3], v[4:5]
	v_mul_f64 v[4:5], v[68:69], v[26:27]
	v_add_f64 v[94:95], v[90:91], v[92:93]
	ds_read_b128 v[90:93], v1 offset:1728
	v_fma_f64 v[4:5], v[66:67], v[28:29], -v[4:5]
	v_add_f64 v[2:3], v[2:3], v[4:5]
	v_mul_f64 v[4:5], v[72:73], v[22:23]
	v_fma_f64 v[4:5], v[70:71], v[24:25], -v[4:5]
	s_waitcnt vmcnt(29) lgkmcnt(1)
	v_mul_f64 v[96:97], v[86:87], v[38:39]
	v_add_f64 v[2:3], v[2:3], v[4:5]
	v_mul_f64 v[4:5], v[76:77], v[34:35]
	s_waitcnt vmcnt(28)
	v_fmac_f64_e32 v[96:97], v[88:89], v[40:41]
	v_fma_f64 v[4:5], v[74:75], v[36:37], -v[4:5]
	v_add_f64 v[98:99], v[94:95], v[96:97]
	ds_read_b128 v[94:97], v1 offset:1744
	s_waitcnt vmcnt(24) lgkmcnt(1)
	v_mul_f64 v[100:101], v[90:91], v[118:119]
	v_add_f64 v[2:3], v[2:3], v[4:5]
	v_mul_f64 v[4:5], v[80:81], v[30:31]
	s_waitcnt vmcnt(22)
	v_fmac_f64_e32 v[100:101], v[92:93], v[120:121]
	v_fma_f64 v[4:5], v[78:79], v[32:33], -v[4:5]
	v_add_f64 v[102:103], v[98:99], v[100:101]
	ds_read_b128 v[98:101], v1 offset:1760
	v_add_f64 v[2:3], v[2:3], v[4:5]
	v_mul_f64 v[4:5], v[84:85], v[42:43]
	v_fma_f64 v[4:5], v[82:83], v[44:45], -v[4:5]
	v_add_f64 v[2:3], v[2:3], v[4:5]
	v_mul_f64 v[4:5], v[88:89], v[38:39]
	s_waitcnt vmcnt(21) lgkmcnt(1)
	v_mul_f64 v[104:105], v[94:95], v[114:115]
	v_fma_f64 v[4:5], v[86:87], v[40:41], -v[4:5]
	s_waitcnt vmcnt(20)
	v_fmac_f64_e32 v[104:105], v[96:97], v[116:117]
	v_add_f64 v[2:3], v[2:3], v[4:5]
	v_mul_f64 v[4:5], v[92:93], v[118:119]
	v_add_f64 v[106:107], v[102:103], v[104:105]
	ds_read_b128 v[102:105], v1 offset:1776
	s_waitcnt vmcnt(16) lgkmcnt(1)
	v_mul_f64 v[108:109], v[98:99], v[126:127]
	v_fma_f64 v[4:5], v[90:91], v[120:121], -v[4:5]
	s_waitcnt vmcnt(14)
	v_fmac_f64_e32 v[108:109], v[100:101], v[128:129]
	v_add_f64 v[2:3], v[2:3], v[4:5]
	v_mul_f64 v[4:5], v[96:97], v[114:115]
	v_add_f64 v[142:143], v[106:107], v[108:109]
	ds_read_b128 v[106:109], v1 offset:1792
	v_fma_f64 v[4:5], v[94:95], v[116:117], -v[4:5]
	v_add_f64 v[2:3], v[2:3], v[4:5]
	v_mul_f64 v[4:5], v[100:101], v[126:127]
	v_fma_f64 v[4:5], v[98:99], v[128:129], -v[4:5]
	v_add_f64 v[2:3], v[2:3], v[4:5]
	s_waitcnt vmcnt(13) lgkmcnt(1)
	v_mul_f64 v[4:5], v[104:105], v[122:123]
	v_mul_f64 v[144:145], v[102:103], v[122:123]
	s_waitcnt vmcnt(12)
	v_fma_f64 v[4:5], v[102:103], v[124:125], -v[4:5]
	v_fmac_f64_e32 v[144:145], v[104:105], v[124:125]
	v_add_f64 v[2:3], v[2:3], v[4:5]
	s_waitcnt vmcnt(8) lgkmcnt(0)
	v_mul_f64 v[4:5], v[108:109], v[134:135]
	v_add_f64 v[142:143], v[142:143], v[144:145]
	v_mul_f64 v[144:145], v[106:107], v[134:135]
	s_waitcnt vmcnt(6)
	v_fma_f64 v[4:5], v[106:107], v[136:137], -v[4:5]
	v_fmac_f64_e32 v[144:145], v[108:109], v[136:137]
	v_add_f64 v[2:3], v[2:3], v[4:5]
	s_waitcnt vmcnt(5)
	v_mul_f64 v[4:5], v[112:113], v[130:131]
	v_add_f64 v[142:143], v[142:143], v[144:145]
	v_mul_f64 v[144:145], v[110:111], v[130:131]
	s_waitcnt vmcnt(4)
	v_fma_f64 v[4:5], v[110:111], v[132:133], -v[4:5]
	v_fmac_f64_e32 v[144:145], v[112:113], v[132:133]
	v_add_f64 v[2:3], v[2:3], v[4:5]
	v_add_f64 v[142:143], v[142:143], v[144:145]
	s_waitcnt vmcnt(2)
	v_add_f64 v[2:3], v[138:139], -v[2:3]
	s_waitcnt vmcnt(0)
	v_add_f64 v[4:5], v[140:141], -v[142:143]
	buffer_store_dword v3, off, s[0:3], 0 offset:644
	buffer_store_dword v2, off, s[0:3], 0 offset:640
	;; [unrolled: 1-line block ×4, first 2 shown]
	s_and_saveexec_b64 s[4:5], vcc
	s_cbranch_execz .LBB120_279
; %bb.278:
	v_accvgpr_read_b32 v0, a132
	buffer_load_dword v2, v0, s[0:3], 0 offen
	buffer_load_dword v3, v0, s[0:3], 0 offen offset:4
	buffer_load_dword v4, v0, s[0:3], 0 offen offset:8
	buffer_load_dword v5, v0, s[0:3], 0 offen offset:12
	v_accvgpr_read_b32 v0, a171
	buffer_store_dword v1, off, s[0:3], 0 offset:624
	buffer_store_dword v1, off, s[0:3], 0 offset:628
	;; [unrolled: 1-line block ×4, first 2 shown]
	s_waitcnt vmcnt(4)
	ds_write_b128 v0, v[2:5]
.LBB120_279:
	s_or_b64 exec, exec, s[4:5]
	s_waitcnt lgkmcnt(0)
	; wave barrier
	s_waitcnt lgkmcnt(0)
	buffer_load_dword v2, off, s[0:3], 0 offset:640
	buffer_load_dword v3, off, s[0:3], 0 offset:644
	;; [unrolled: 1-line block ×72, first 2 shown]
	ds_read_b128 v[52:55], v1 offset:1536
	buffer_load_dword v146, off, s[0:3], 0 offset:624
	buffer_load_dword v147, off, s[0:3], 0 offset:628
	;; [unrolled: 1-line block ×4, first 2 shown]
	ds_read_b128 v[56:59], v1 offset:1552
	ds_read_b128 v[60:63], v1 offset:1568
	;; [unrolled: 1-line block ×3, first 2 shown]
	v_cmp_lt_u32_e32 vcc, 37, v254
	ds_read_b128 v[124:127], v1 offset:1808
	s_waitcnt vmcnt(62) lgkmcnt(4)
	v_mul_f64 v[68:69], v[52:53], v[8:9]
	v_fmac_f64_e32 v[68:69], v[54:55], v[2:3]
	v_add_f64 v[68:69], v[68:69], 0
	v_mul_f64 v[8:9], v[54:55], v[8:9]
	s_waitcnt lgkmcnt(3)
	v_mul_f64 v[70:71], v[56:57], v[10:11]
	v_fmac_f64_e32 v[70:71], v[58:59], v[4:5]
	v_add_f64 v[68:69], v[68:69], v[70:71]
	v_fma_f64 v[2:3], v[52:53], v[2:3], -v[8:9]
	s_waitcnt lgkmcnt(2)
	v_mul_f64 v[70:71], v[60:61], v[12:13]
	v_fmac_f64_e32 v[70:71], v[62:63], v[6:7]
	v_add_f64 v[72:73], v[68:69], v[70:71]
	ds_read_b128 v[68:71], v1 offset:1600
	s_waitcnt vmcnt(60) lgkmcnt(2)
	v_mul_f64 v[74:75], v[64:65], v[18:19]
	v_mul_f64 v[8:9], v[58:59], v[10:11]
	s_waitcnt vmcnt(58)
	v_fmac_f64_e32 v[74:75], v[66:67], v[20:21]
	v_add_f64 v[76:77], v[72:73], v[74:75]
	ds_read_b128 v[72:75], v1 offset:1616
	s_waitcnt vmcnt(57) lgkmcnt(1)
	v_mul_f64 v[78:79], v[68:69], v[14:15]
	s_waitcnt vmcnt(56)
	v_fmac_f64_e32 v[78:79], v[70:71], v[16:17]
	v_add_f64 v[80:81], v[76:77], v[78:79]
	ds_read_b128 v[76:79], v1 offset:1632
	s_waitcnt vmcnt(52) lgkmcnt(1)
	;; [unrolled: 6-line block ×4, first 2 shown]
	v_mul_f64 v[90:91], v[80:81], v[34:35]
	s_waitcnt vmcnt(42)
	v_fmac_f64_e32 v[90:91], v[82:83], v[36:37]
	v_add_f64 v[2:3], v[2:3], 0
	v_fma_f64 v[4:5], v[56:57], v[4:5], -v[8:9]
	v_add_f64 v[92:93], v[88:89], v[90:91]
	ds_read_b128 v[88:91], v1 offset:1680
	s_waitcnt vmcnt(41) lgkmcnt(1)
	v_mul_f64 v[94:95], v[84:85], v[30:31]
	v_add_f64 v[2:3], v[2:3], v[4:5]
	v_mul_f64 v[4:5], v[62:63], v[12:13]
	s_waitcnt vmcnt(40)
	v_fmac_f64_e32 v[94:95], v[86:87], v[32:33]
	v_fma_f64 v[4:5], v[60:61], v[6:7], -v[4:5]
	v_add_f64 v[96:97], v[92:93], v[94:95]
	ds_read_b128 v[92:95], v1 offset:1696
	v_add_f64 v[2:3], v[2:3], v[4:5]
	v_mul_f64 v[4:5], v[66:67], v[18:19]
	v_fma_f64 v[4:5], v[64:65], v[20:21], -v[4:5]
	v_add_f64 v[2:3], v[2:3], v[4:5]
	v_mul_f64 v[4:5], v[70:71], v[14:15]
	s_waitcnt vmcnt(36) lgkmcnt(1)
	v_mul_f64 v[98:99], v[88:89], v[42:43]
	v_fma_f64 v[4:5], v[68:69], v[16:17], -v[4:5]
	s_waitcnt vmcnt(34)
	v_fmac_f64_e32 v[98:99], v[90:91], v[44:45]
	v_add_f64 v[2:3], v[2:3], v[4:5]
	v_mul_f64 v[4:5], v[74:75], v[26:27]
	v_add_f64 v[100:101], v[96:97], v[98:99]
	ds_read_b128 v[96:99], v1 offset:1712
	s_waitcnt vmcnt(33) lgkmcnt(1)
	v_mul_f64 v[102:103], v[92:93], v[38:39]
	v_fma_f64 v[4:5], v[72:73], v[28:29], -v[4:5]
	s_waitcnt vmcnt(32)
	v_fmac_f64_e32 v[102:103], v[94:95], v[40:41]
	v_add_f64 v[2:3], v[2:3], v[4:5]
	v_mul_f64 v[4:5], v[78:79], v[22:23]
	v_add_f64 v[104:105], v[100:101], v[102:103]
	ds_read_b128 v[100:103], v1 offset:1728
	v_fma_f64 v[4:5], v[76:77], v[24:25], -v[4:5]
	v_add_f64 v[2:3], v[2:3], v[4:5]
	v_mul_f64 v[4:5], v[82:83], v[34:35]
	v_fma_f64 v[4:5], v[80:81], v[36:37], -v[4:5]
	s_waitcnt vmcnt(28) lgkmcnt(1)
	v_mul_f64 v[106:107], v[96:97], v[50:51]
	v_add_f64 v[2:3], v[2:3], v[4:5]
	v_mul_f64 v[4:5], v[86:87], v[30:31]
	s_waitcnt vmcnt(26)
	v_fmac_f64_e32 v[106:107], v[98:99], v[116:117]
	v_fma_f64 v[4:5], v[84:85], v[32:33], -v[4:5]
	v_add_f64 v[108:109], v[104:105], v[106:107]
	ds_read_b128 v[104:107], v1 offset:1744
	s_waitcnt vmcnt(25) lgkmcnt(1)
	v_mul_f64 v[110:111], v[100:101], v[46:47]
	v_add_f64 v[2:3], v[2:3], v[4:5]
	v_mul_f64 v[4:5], v[90:91], v[42:43]
	s_waitcnt vmcnt(24)
	v_fmac_f64_e32 v[110:111], v[102:103], v[48:49]
	v_fma_f64 v[4:5], v[88:89], v[44:45], -v[4:5]
	v_add_f64 v[112:113], v[108:109], v[110:111]
	ds_read_b128 v[108:111], v1 offset:1760
	v_add_f64 v[2:3], v[2:3], v[4:5]
	v_mul_f64 v[4:5], v[94:95], v[38:39]
	v_fma_f64 v[4:5], v[92:93], v[40:41], -v[4:5]
	v_add_f64 v[2:3], v[2:3], v[4:5]
	v_mul_f64 v[4:5], v[98:99], v[50:51]
	s_waitcnt vmcnt(20) lgkmcnt(1)
	v_mul_f64 v[114:115], v[104:105], v[130:131]
	v_fma_f64 v[4:5], v[96:97], v[116:117], -v[4:5]
	s_waitcnt vmcnt(18)
	v_fmac_f64_e32 v[114:115], v[106:107], v[132:133]
	v_add_f64 v[2:3], v[2:3], v[4:5]
	v_mul_f64 v[4:5], v[102:103], v[46:47]
	v_add_f64 v[120:121], v[112:113], v[114:115]
	ds_read_b128 v[112:115], v1 offset:1776
	s_waitcnt vmcnt(17) lgkmcnt(1)
	v_mul_f64 v[122:123], v[108:109], v[118:119]
	v_fma_f64 v[4:5], v[100:101], v[48:49], -v[4:5]
	s_waitcnt vmcnt(16)
	v_fmac_f64_e32 v[122:123], v[110:111], v[128:129]
	v_add_f64 v[2:3], v[2:3], v[4:5]
	v_mul_f64 v[4:5], v[106:107], v[130:131]
	v_add_f64 v[150:151], v[120:121], v[122:123]
	ds_read_b128 v[120:123], v1 offset:1792
	v_fma_f64 v[4:5], v[104:105], v[132:133], -v[4:5]
	v_add_f64 v[2:3], v[2:3], v[4:5]
	v_mul_f64 v[4:5], v[110:111], v[118:119]
	v_fma_f64 v[4:5], v[108:109], v[128:129], -v[4:5]
	v_add_f64 v[2:3], v[2:3], v[4:5]
	s_waitcnt vmcnt(12) lgkmcnt(1)
	v_mul_f64 v[4:5], v[114:115], v[138:139]
	v_mul_f64 v[152:153], v[112:113], v[138:139]
	s_waitcnt vmcnt(10)
	v_fma_f64 v[4:5], v[112:113], v[140:141], -v[4:5]
	v_fmac_f64_e32 v[152:153], v[114:115], v[140:141]
	v_add_f64 v[2:3], v[2:3], v[4:5]
	s_waitcnt vmcnt(9) lgkmcnt(0)
	v_mul_f64 v[4:5], v[122:123], v[134:135]
	v_add_f64 v[150:151], v[150:151], v[152:153]
	v_mul_f64 v[152:153], v[120:121], v[134:135]
	s_waitcnt vmcnt(8)
	v_fma_f64 v[4:5], v[120:121], v[136:137], -v[4:5]
	v_fmac_f64_e32 v[152:153], v[122:123], v[136:137]
	v_add_f64 v[2:3], v[2:3], v[4:5]
	s_waitcnt vmcnt(6)
	v_mul_f64 v[4:5], v[126:127], v[142:143]
	v_add_f64 v[150:151], v[150:151], v[152:153]
	v_mul_f64 v[152:153], v[124:125], v[142:143]
	s_waitcnt vmcnt(4)
	v_fma_f64 v[4:5], v[124:125], v[144:145], -v[4:5]
	v_fmac_f64_e32 v[152:153], v[126:127], v[144:145]
	v_add_f64 v[2:3], v[2:3], v[4:5]
	v_add_f64 v[150:151], v[150:151], v[152:153]
	s_waitcnt vmcnt(2)
	v_add_f64 v[2:3], v[146:147], -v[2:3]
	s_waitcnt vmcnt(0)
	v_add_f64 v[4:5], v[148:149], -v[150:151]
	buffer_store_dword v3, off, s[0:3], 0 offset:628
	buffer_store_dword v2, off, s[0:3], 0 offset:624
	;; [unrolled: 1-line block ×4, first 2 shown]
	s_and_saveexec_b64 s[4:5], vcc
	s_cbranch_execz .LBB120_281
; %bb.280:
	v_accvgpr_read_b32 v0, a133
	buffer_load_dword v2, v0, s[0:3], 0 offen
	buffer_load_dword v3, v0, s[0:3], 0 offen offset:4
	buffer_load_dword v4, v0, s[0:3], 0 offen offset:8
	;; [unrolled: 1-line block ×3, first 2 shown]
	v_mov_b32_e32 v0, 0
	v_accvgpr_read_b32 v1, a171
	buffer_store_dword v0, off, s[0:3], 0 offset:608
	buffer_store_dword v0, off, s[0:3], 0 offset:612
	;; [unrolled: 1-line block ×4, first 2 shown]
	s_waitcnt vmcnt(4)
	ds_write_b128 v1, v[2:5]
.LBB120_281:
	s_or_b64 exec, exec, s[4:5]
	s_waitcnt lgkmcnt(0)
	; wave barrier
	s_waitcnt lgkmcnt(0)
	buffer_load_dword v2, off, s[0:3], 0 offset:624
	buffer_load_dword v3, off, s[0:3], 0 offset:628
	;; [unrolled: 1-line block ×76, first 2 shown]
	v_mov_b32_e32 v1, 0
	ds_read_b128 v[54:57], v1 offset:1520
	buffer_load_dword v154, off, s[0:3], 0 offset:608
	buffer_load_dword v155, off, s[0:3], 0 offset:612
	;; [unrolled: 1-line block ×4, first 2 shown]
	ds_read_b128 v[58:61], v1 offset:1536
	ds_read_b128 v[62:65], v1 offset:1552
	;; [unrolled: 1-line block ×4, first 2 shown]
	v_cmp_lt_u32_e32 vcc, 36, v254
	s_waitcnt vmcnt(62) lgkmcnt(4)
	v_mul_f64 v[70:71], v[54:55], v[8:9]
	v_fmac_f64_e32 v[70:71], v[56:57], v[2:3]
	v_add_f64 v[70:71], v[70:71], 0
	v_mul_f64 v[8:9], v[56:57], v[8:9]
	s_waitcnt lgkmcnt(3)
	v_mul_f64 v[72:73], v[58:59], v[10:11]
	v_fmac_f64_e32 v[72:73], v[60:61], v[4:5]
	v_add_f64 v[70:71], v[70:71], v[72:73]
	v_fma_f64 v[2:3], v[54:55], v[2:3], -v[8:9]
	s_waitcnt lgkmcnt(2)
	v_mul_f64 v[72:73], v[62:63], v[12:13]
	v_fmac_f64_e32 v[72:73], v[64:65], v[6:7]
	v_add_f64 v[74:75], v[70:71], v[72:73]
	ds_read_b128 v[70:73], v1 offset:1584
	s_waitcnt lgkmcnt(2)
	v_mul_f64 v[76:77], v[66:67], v[18:19]
	v_mul_f64 v[8:9], v[60:61], v[10:11]
	v_fmac_f64_e32 v[76:77], v[68:69], v[20:21]
	v_add_f64 v[78:79], v[74:75], v[76:77]
	ds_read_b128 v[74:77], v1 offset:1600
	s_waitcnt vmcnt(61) lgkmcnt(1)
	v_mul_f64 v[80:81], v[70:71], v[14:15]
	s_waitcnt vmcnt(60)
	v_fmac_f64_e32 v[80:81], v[72:73], v[16:17]
	v_add_f64 v[82:83], v[78:79], v[80:81]
	ds_read_b128 v[78:81], v1 offset:1616
	s_waitcnt vmcnt(56) lgkmcnt(1)
	v_mul_f64 v[84:85], v[74:75], v[26:27]
	s_waitcnt vmcnt(54)
	;; [unrolled: 6-line block ×4, first 2 shown]
	v_fmac_f64_e32 v[92:93], v[84:85], v[36:37]
	v_add_f64 v[94:95], v[90:91], v[92:93]
	ds_read_b128 v[90:93], v1 offset:1664
	v_add_f64 v[2:3], v[2:3], 0
	v_fma_f64 v[4:5], v[58:59], v[4:5], -v[8:9]
	s_waitcnt vmcnt(45) lgkmcnt(1)
	v_mul_f64 v[96:97], v[86:87], v[30:31]
	v_add_f64 v[2:3], v[2:3], v[4:5]
	v_mul_f64 v[4:5], v[64:65], v[12:13]
	s_waitcnt vmcnt(44)
	v_fmac_f64_e32 v[96:97], v[88:89], v[32:33]
	v_fma_f64 v[4:5], v[62:63], v[6:7], -v[4:5]
	v_add_f64 v[98:99], v[94:95], v[96:97]
	ds_read_b128 v[94:97], v1 offset:1680
	s_waitcnt vmcnt(40) lgkmcnt(1)
	v_mul_f64 v[100:101], v[90:91], v[42:43]
	v_add_f64 v[2:3], v[2:3], v[4:5]
	v_mul_f64 v[4:5], v[68:69], v[18:19]
	s_waitcnt vmcnt(38)
	v_fmac_f64_e32 v[100:101], v[92:93], v[44:45]
	v_fma_f64 v[4:5], v[66:67], v[20:21], -v[4:5]
	v_add_f64 v[102:103], v[98:99], v[100:101]
	ds_read_b128 v[98:101], v1 offset:1696
	v_add_f64 v[2:3], v[2:3], v[4:5]
	v_mul_f64 v[4:5], v[72:73], v[14:15]
	v_fma_f64 v[4:5], v[70:71], v[16:17], -v[4:5]
	v_add_f64 v[2:3], v[2:3], v[4:5]
	v_mul_f64 v[4:5], v[76:77], v[26:27]
	s_waitcnt vmcnt(37) lgkmcnt(1)
	v_mul_f64 v[104:105], v[94:95], v[38:39]
	v_fma_f64 v[4:5], v[74:75], v[28:29], -v[4:5]
	s_waitcnt vmcnt(36)
	v_fmac_f64_e32 v[104:105], v[96:97], v[40:41]
	v_add_f64 v[2:3], v[2:3], v[4:5]
	v_mul_f64 v[4:5], v[80:81], v[22:23]
	v_add_f64 v[106:107], v[102:103], v[104:105]
	ds_read_b128 v[102:105], v1 offset:1712
	s_waitcnt vmcnt(32) lgkmcnt(1)
	v_mul_f64 v[108:109], v[98:99], v[50:51]
	v_fma_f64 v[4:5], v[78:79], v[24:25], -v[4:5]
	s_waitcnt vmcnt(30)
	v_fmac_f64_e32 v[108:109], v[100:101], v[52:53]
	v_add_f64 v[2:3], v[2:3], v[4:5]
	v_mul_f64 v[4:5], v[84:85], v[34:35]
	v_add_f64 v[110:111], v[106:107], v[108:109]
	ds_read_b128 v[106:109], v1 offset:1728
	v_fma_f64 v[4:5], v[82:83], v[36:37], -v[4:5]
	v_add_f64 v[2:3], v[2:3], v[4:5]
	v_mul_f64 v[4:5], v[88:89], v[30:31]
	v_fma_f64 v[4:5], v[86:87], v[32:33], -v[4:5]
	s_waitcnt vmcnt(29) lgkmcnt(1)
	v_mul_f64 v[112:113], v[102:103], v[46:47]
	v_add_f64 v[2:3], v[2:3], v[4:5]
	v_mul_f64 v[4:5], v[92:93], v[42:43]
	s_waitcnt vmcnt(28)
	v_fmac_f64_e32 v[112:113], v[104:105], v[48:49]
	v_fma_f64 v[4:5], v[90:91], v[44:45], -v[4:5]
	v_add_f64 v[114:115], v[110:111], v[112:113]
	ds_read_b128 v[110:113], v1 offset:1744
	s_waitcnt vmcnt(24) lgkmcnt(1)
	v_mul_f64 v[116:117], v[106:107], v[134:135]
	v_add_f64 v[2:3], v[2:3], v[4:5]
	v_mul_f64 v[4:5], v[96:97], v[38:39]
	s_waitcnt vmcnt(22)
	v_fmac_f64_e32 v[116:117], v[108:109], v[136:137]
	v_fma_f64 v[4:5], v[94:95], v[40:41], -v[4:5]
	v_add_f64 v[120:121], v[114:115], v[116:117]
	ds_read_b128 v[114:117], v1 offset:1760
	v_add_f64 v[2:3], v[2:3], v[4:5]
	v_mul_f64 v[4:5], v[100:101], v[50:51]
	v_fma_f64 v[4:5], v[98:99], v[52:53], -v[4:5]
	v_add_f64 v[2:3], v[2:3], v[4:5]
	v_mul_f64 v[4:5], v[104:105], v[46:47]
	s_waitcnt vmcnt(21) lgkmcnt(1)
	v_mul_f64 v[122:123], v[110:111], v[118:119]
	v_fma_f64 v[4:5], v[102:103], v[48:49], -v[4:5]
	s_waitcnt vmcnt(20)
	v_fmac_f64_e32 v[122:123], v[112:113], v[132:133]
	v_add_f64 v[2:3], v[2:3], v[4:5]
	v_mul_f64 v[4:5], v[108:109], v[134:135]
	v_add_f64 v[124:125], v[120:121], v[122:123]
	ds_read_b128 v[120:123], v1 offset:1776
	s_waitcnt vmcnt(16) lgkmcnt(1)
	v_mul_f64 v[126:127], v[114:115], v[142:143]
	v_fma_f64 v[4:5], v[106:107], v[136:137], -v[4:5]
	s_waitcnt vmcnt(14)
	v_fmac_f64_e32 v[126:127], v[116:117], v[144:145]
	v_add_f64 v[2:3], v[2:3], v[4:5]
	v_mul_f64 v[4:5], v[112:113], v[118:119]
	v_add_f64 v[158:159], v[124:125], v[126:127]
	ds_read_b128 v[124:127], v1 offset:1792
	v_fma_f64 v[4:5], v[110:111], v[132:133], -v[4:5]
	v_add_f64 v[2:3], v[2:3], v[4:5]
	v_mul_f64 v[4:5], v[116:117], v[142:143]
	v_fma_f64 v[4:5], v[114:115], v[144:145], -v[4:5]
	v_add_f64 v[2:3], v[2:3], v[4:5]
	s_waitcnt vmcnt(13) lgkmcnt(1)
	v_mul_f64 v[4:5], v[122:123], v[138:139]
	v_mul_f64 v[160:161], v[120:121], v[138:139]
	s_waitcnt vmcnt(12)
	v_fma_f64 v[4:5], v[120:121], v[140:141], -v[4:5]
	v_fmac_f64_e32 v[160:161], v[122:123], v[140:141]
	v_add_f64 v[2:3], v[2:3], v[4:5]
	s_waitcnt vmcnt(8) lgkmcnt(0)
	v_mul_f64 v[4:5], v[126:127], v[150:151]
	v_add_f64 v[158:159], v[158:159], v[160:161]
	v_mul_f64 v[160:161], v[124:125], v[150:151]
	s_waitcnt vmcnt(6)
	v_fma_f64 v[4:5], v[124:125], v[152:153], -v[4:5]
	v_fmac_f64_e32 v[160:161], v[126:127], v[152:153]
	v_add_f64 v[2:3], v[2:3], v[4:5]
	s_waitcnt vmcnt(5)
	v_mul_f64 v[4:5], v[130:131], v[146:147]
	v_add_f64 v[158:159], v[158:159], v[160:161]
	v_mul_f64 v[160:161], v[128:129], v[146:147]
	s_waitcnt vmcnt(4)
	v_fma_f64 v[4:5], v[128:129], v[148:149], -v[4:5]
	v_fmac_f64_e32 v[160:161], v[130:131], v[148:149]
	v_add_f64 v[2:3], v[2:3], v[4:5]
	v_add_f64 v[158:159], v[158:159], v[160:161]
	s_waitcnt vmcnt(2)
	v_add_f64 v[2:3], v[154:155], -v[2:3]
	s_waitcnt vmcnt(0)
	v_add_f64 v[4:5], v[156:157], -v[158:159]
	buffer_store_dword v3, off, s[0:3], 0 offset:612
	buffer_store_dword v2, off, s[0:3], 0 offset:608
	;; [unrolled: 1-line block ×4, first 2 shown]
	s_and_saveexec_b64 s[4:5], vcc
	s_cbranch_execz .LBB120_283
; %bb.282:
	v_accvgpr_read_b32 v0, a134
	buffer_load_dword v2, v0, s[0:3], 0 offen
	buffer_load_dword v3, v0, s[0:3], 0 offen offset:4
	buffer_load_dword v4, v0, s[0:3], 0 offen offset:8
	;; [unrolled: 1-line block ×3, first 2 shown]
	v_accvgpr_read_b32 v0, a171
	buffer_store_dword v1, off, s[0:3], 0 offset:592
	buffer_store_dword v1, off, s[0:3], 0 offset:596
	;; [unrolled: 1-line block ×4, first 2 shown]
	s_waitcnt vmcnt(4)
	ds_write_b128 v0, v[2:5]
.LBB120_283:
	s_or_b64 exec, exec, s[4:5]
	s_waitcnt lgkmcnt(0)
	; wave barrier
	s_waitcnt lgkmcnt(0)
	buffer_load_dword v2, off, s[0:3], 0 offset:608
	buffer_load_dword v3, off, s[0:3], 0 offset:612
	;; [unrolled: 1-line block ×76, first 2 shown]
	ds_read_b128 v[54:57], v1 offset:1504
	buffer_load_dword v159, off, s[0:3], 0 offset:924
	buffer_load_dword v158, off, s[0:3], 0 offset:920
	;; [unrolled: 1-line block ×8, first 2 shown]
	ds_read_b128 v[58:61], v1 offset:1520
	ds_read_b128 v[62:65], v1 offset:1536
	;; [unrolled: 1-line block ×3, first 2 shown]
	v_cmp_lt_u32_e32 vcc, 35, v254
	ds_read_b128 v[132:135], v1 offset:1808
	s_waitcnt vmcnt(62) lgkmcnt(4)
	v_mul_f64 v[70:71], v[54:55], v[8:9]
	v_fmac_f64_e32 v[70:71], v[56:57], v[2:3]
	v_add_f64 v[70:71], v[70:71], 0
	v_mul_f64 v[8:9], v[56:57], v[8:9]
	s_waitcnt lgkmcnt(3)
	v_mul_f64 v[72:73], v[58:59], v[10:11]
	v_fmac_f64_e32 v[72:73], v[60:61], v[4:5]
	v_add_f64 v[70:71], v[70:71], v[72:73]
	v_fma_f64 v[2:3], v[54:55], v[2:3], -v[8:9]
	s_waitcnt lgkmcnt(2)
	v_mul_f64 v[72:73], v[62:63], v[12:13]
	v_fmac_f64_e32 v[72:73], v[64:65], v[6:7]
	v_add_f64 v[74:75], v[70:71], v[72:73]
	ds_read_b128 v[70:73], v1 offset:1568
	v_mul_f64 v[8:9], v[60:61], v[10:11]
	v_add_f64 v[2:3], v[2:3], 0
	s_waitcnt lgkmcnt(2)
	v_mul_f64 v[76:77], v[66:67], v[18:19]
	v_fma_f64 v[4:5], v[58:59], v[4:5], -v[8:9]
	v_fmac_f64_e32 v[76:77], v[68:69], v[20:21]
	v_add_f64 v[78:79], v[74:75], v[76:77]
	ds_read_b128 v[74:77], v1 offset:1584
	s_waitcnt lgkmcnt(1)
	v_mul_f64 v[80:81], v[70:71], v[14:15]
	v_fmac_f64_e32 v[80:81], v[72:73], v[16:17]
	v_add_f64 v[82:83], v[78:79], v[80:81]
	ds_read_b128 v[78:81], v1 offset:1600
	s_waitcnt vmcnt(58) lgkmcnt(1)
	v_mul_f64 v[84:85], v[74:75], v[26:27]
	s_waitcnt vmcnt(56)
	v_fmac_f64_e32 v[84:85], v[76:77], v[28:29]
	v_add_f64 v[86:87], v[82:83], v[84:85]
	ds_read_b128 v[82:85], v1 offset:1616
	s_waitcnt lgkmcnt(1)
	v_mul_f64 v[88:89], v[78:79], v[22:23]
	v_fmac_f64_e32 v[88:89], v[80:81], v[24:25]
	v_add_f64 v[90:91], v[86:87], v[88:89]
	ds_read_b128 v[86:89], v1 offset:1632
	s_waitcnt vmcnt(50) lgkmcnt(1)
	v_mul_f64 v[92:93], v[82:83], v[34:35]
	s_waitcnt vmcnt(48)
	v_fmac_f64_e32 v[92:93], v[84:85], v[36:37]
	v_add_f64 v[94:95], v[90:91], v[92:93]
	ds_read_b128 v[90:93], v1 offset:1648
	s_waitcnt lgkmcnt(1)
	v_mul_f64 v[96:97], v[86:87], v[30:31]
	v_fmac_f64_e32 v[96:97], v[88:89], v[32:33]
	v_add_f64 v[98:99], v[94:95], v[96:97]
	ds_read_b128 v[94:97], v1 offset:1664
	v_add_f64 v[2:3], v[2:3], v[4:5]
	v_mul_f64 v[4:5], v[64:65], v[12:13]
	v_fma_f64 v[4:5], v[62:63], v[6:7], -v[4:5]
	s_waitcnt vmcnt(42) lgkmcnt(1)
	v_mul_f64 v[100:101], v[90:91], v[42:43]
	v_add_f64 v[2:3], v[2:3], v[4:5]
	v_mul_f64 v[4:5], v[68:69], v[18:19]
	s_waitcnt vmcnt(40)
	v_fmac_f64_e32 v[100:101], v[92:93], v[44:45]
	v_fma_f64 v[4:5], v[66:67], v[20:21], -v[4:5]
	v_add_f64 v[102:103], v[98:99], v[100:101]
	ds_read_b128 v[98:101], v1 offset:1680
	s_waitcnt lgkmcnt(1)
	v_mul_f64 v[104:105], v[94:95], v[38:39]
	v_add_f64 v[2:3], v[2:3], v[4:5]
	v_mul_f64 v[4:5], v[72:73], v[14:15]
	v_fmac_f64_e32 v[104:105], v[96:97], v[40:41]
	v_fma_f64 v[4:5], v[70:71], v[16:17], -v[4:5]
	v_add_f64 v[106:107], v[102:103], v[104:105]
	ds_read_b128 v[102:105], v1 offset:1696
	v_add_f64 v[2:3], v[2:3], v[4:5]
	v_mul_f64 v[4:5], v[76:77], v[26:27]
	v_fma_f64 v[4:5], v[74:75], v[28:29], -v[4:5]
	v_add_f64 v[2:3], v[2:3], v[4:5]
	v_mul_f64 v[4:5], v[80:81], v[22:23]
	s_waitcnt vmcnt(34) lgkmcnt(1)
	v_mul_f64 v[108:109], v[98:99], v[50:51]
	v_fma_f64 v[4:5], v[78:79], v[24:25], -v[4:5]
	s_waitcnt vmcnt(32)
	v_fmac_f64_e32 v[108:109], v[100:101], v[52:53]
	v_add_f64 v[2:3], v[2:3], v[4:5]
	v_mul_f64 v[4:5], v[84:85], v[34:35]
	v_add_f64 v[110:111], v[106:107], v[108:109]
	ds_read_b128 v[106:109], v1 offset:1712
	s_waitcnt lgkmcnt(1)
	v_mul_f64 v[112:113], v[102:103], v[46:47]
	v_fma_f64 v[4:5], v[82:83], v[36:37], -v[4:5]
	v_fmac_f64_e32 v[112:113], v[104:105], v[48:49]
	v_add_f64 v[2:3], v[2:3], v[4:5]
	v_mul_f64 v[4:5], v[88:89], v[30:31]
	v_add_f64 v[114:115], v[110:111], v[112:113]
	ds_read_b128 v[110:113], v1 offset:1728
	v_fma_f64 v[4:5], v[86:87], v[32:33], -v[4:5]
	v_add_f64 v[2:3], v[2:3], v[4:5]
	v_mul_f64 v[4:5], v[92:93], v[42:43]
	v_fma_f64 v[4:5], v[90:91], v[44:45], -v[4:5]
	s_waitcnt vmcnt(26) lgkmcnt(1)
	v_mul_f64 v[116:117], v[106:107], v[138:139]
	v_add_f64 v[2:3], v[2:3], v[4:5]
	v_mul_f64 v[4:5], v[96:97], v[38:39]
	s_waitcnt vmcnt(24)
	v_fmac_f64_e32 v[116:117], v[108:109], v[140:141]
	v_fma_f64 v[4:5], v[94:95], v[40:41], -v[4:5]
	v_add_f64 v[120:121], v[114:115], v[116:117]
	ds_read_b128 v[114:117], v1 offset:1744
	s_waitcnt lgkmcnt(1)
	v_mul_f64 v[122:123], v[110:111], v[118:119]
	v_add_f64 v[2:3], v[2:3], v[4:5]
	v_mul_f64 v[4:5], v[100:101], v[50:51]
	v_fmac_f64_e32 v[122:123], v[112:113], v[136:137]
	v_fma_f64 v[4:5], v[98:99], v[52:53], -v[4:5]
	v_add_f64 v[124:125], v[120:121], v[122:123]
	ds_read_b128 v[120:123], v1 offset:1760
	v_add_f64 v[2:3], v[2:3], v[4:5]
	v_mul_f64 v[4:5], v[104:105], v[46:47]
	v_fma_f64 v[4:5], v[102:103], v[48:49], -v[4:5]
	v_add_f64 v[2:3], v[2:3], v[4:5]
	v_mul_f64 v[4:5], v[108:109], v[138:139]
	s_waitcnt vmcnt(18) lgkmcnt(1)
	v_mul_f64 v[126:127], v[114:115], v[146:147]
	v_fma_f64 v[4:5], v[106:107], v[140:141], -v[4:5]
	s_waitcnt vmcnt(16)
	v_fmac_f64_e32 v[126:127], v[116:117], v[148:149]
	v_add_f64 v[2:3], v[2:3], v[4:5]
	v_mul_f64 v[4:5], v[112:113], v[118:119]
	v_add_f64 v[128:129], v[124:125], v[126:127]
	ds_read_b128 v[124:127], v1 offset:1776
	s_waitcnt lgkmcnt(1)
	v_mul_f64 v[130:131], v[120:121], v[142:143]
	v_fma_f64 v[4:5], v[110:111], v[136:137], -v[4:5]
	v_fmac_f64_e32 v[130:131], v[122:123], v[144:145]
	v_add_f64 v[2:3], v[2:3], v[4:5]
	v_mul_f64 v[4:5], v[116:117], v[146:147]
	v_add_f64 v[166:167], v[128:129], v[130:131]
	ds_read_b128 v[128:131], v1 offset:1792
	v_fma_f64 v[4:5], v[114:115], v[148:149], -v[4:5]
	v_add_f64 v[2:3], v[2:3], v[4:5]
	v_mul_f64 v[4:5], v[122:123], v[142:143]
	v_fma_f64 v[4:5], v[120:121], v[144:145], -v[4:5]
	v_add_f64 v[2:3], v[2:3], v[4:5]
	s_waitcnt vmcnt(10) lgkmcnt(1)
	v_mul_f64 v[4:5], v[126:127], v[154:155]
	v_mul_f64 v[168:169], v[124:125], v[154:155]
	s_waitcnt vmcnt(8)
	v_fma_f64 v[4:5], v[124:125], v[156:157], -v[4:5]
	v_fmac_f64_e32 v[168:169], v[126:127], v[156:157]
	v_add_f64 v[2:3], v[2:3], v[4:5]
	s_waitcnt lgkmcnt(0)
	v_mul_f64 v[4:5], v[130:131], v[150:151]
	v_add_f64 v[166:167], v[166:167], v[168:169]
	v_mul_f64 v[168:169], v[128:129], v[150:151]
	v_fma_f64 v[4:5], v[128:129], v[152:153], -v[4:5]
	v_fmac_f64_e32 v[168:169], v[130:131], v[152:153]
	v_add_f64 v[2:3], v[2:3], v[4:5]
	s_waitcnt vmcnt(6)
	v_mul_f64 v[4:5], v[134:135], v[158:159]
	v_add_f64 v[166:167], v[166:167], v[168:169]
	v_mul_f64 v[168:169], v[132:133], v[158:159]
	s_waitcnt vmcnt(4)
	v_fma_f64 v[4:5], v[132:133], v[160:161], -v[4:5]
	v_fmac_f64_e32 v[168:169], v[134:135], v[160:161]
	v_add_f64 v[2:3], v[2:3], v[4:5]
	v_add_f64 v[166:167], v[166:167], v[168:169]
	s_waitcnt vmcnt(2)
	v_add_f64 v[2:3], v[162:163], -v[2:3]
	s_waitcnt vmcnt(0)
	v_add_f64 v[4:5], v[164:165], -v[166:167]
	buffer_store_dword v3, off, s[0:3], 0 offset:596
	buffer_store_dword v2, off, s[0:3], 0 offset:592
	;; [unrolled: 1-line block ×4, first 2 shown]
	s_and_saveexec_b64 s[4:5], vcc
	s_cbranch_execz .LBB120_285
; %bb.284:
	v_accvgpr_read_b32 v0, a135
	buffer_load_dword v2, v0, s[0:3], 0 offen
	buffer_load_dword v3, v0, s[0:3], 0 offen offset:4
	buffer_load_dword v4, v0, s[0:3], 0 offen offset:8
	;; [unrolled: 1-line block ×3, first 2 shown]
	v_mov_b32_e32 v0, 0
	v_accvgpr_read_b32 v1, a171
	buffer_store_dword v0, off, s[0:3], 0 offset:576
	buffer_store_dword v0, off, s[0:3], 0 offset:580
	;; [unrolled: 1-line block ×4, first 2 shown]
	s_waitcnt vmcnt(4)
	ds_write_b128 v1, v[2:5]
.LBB120_285:
	s_or_b64 exec, exec, s[4:5]
	s_waitcnt lgkmcnt(0)
	; wave barrier
	s_waitcnt lgkmcnt(0)
	buffer_load_dword v4, off, s[0:3], 0 offset:576
	buffer_load_dword v5, off, s[0:3], 0 offset:580
	buffer_load_dword v2, off, s[0:3], 0 offset:584
	buffer_load_dword v3, off, s[0:3], 0 offset:588
	buffer_load_dword v6, off, s[0:3], 0 offset:592
	buffer_load_dword v7, off, s[0:3], 0 offset:596
	buffer_load_dword v12, off, s[0:3], 0 offset:600
	buffer_load_dword v13, off, s[0:3], 0 offset:604
	buffer_load_dword v8, off, s[0:3], 0 offset:608
	buffer_load_dword v9, off, s[0:3], 0 offset:612
	buffer_load_dword v14, off, s[0:3], 0 offset:616
	buffer_load_dword v15, off, s[0:3], 0 offset:620
	buffer_load_dword v10, off, s[0:3], 0 offset:624
	buffer_load_dword v11, off, s[0:3], 0 offset:628
	buffer_load_dword v16, off, s[0:3], 0 offset:632
	buffer_load_dword v17, off, s[0:3], 0 offset:636
	buffer_load_dword v19, off, s[0:3], 0 offset:668
	buffer_load_dword v18, off, s[0:3], 0 offset:664
	buffer_load_dword v21, off, s[0:3], 0 offset:660
	buffer_load_dword v20, off, s[0:3], 0 offset:656
	buffer_load_dword v23, off, s[0:3], 0 offset:652
	buffer_load_dword v22, off, s[0:3], 0 offset:648
	buffer_load_dword v25, off, s[0:3], 0 offset:644
	buffer_load_dword v24, off, s[0:3], 0 offset:640
	buffer_load_dword v27, off, s[0:3], 0 offset:700
	buffer_load_dword v26, off, s[0:3], 0 offset:696
	buffer_load_dword v29, off, s[0:3], 0 offset:692
	buffer_load_dword v28, off, s[0:3], 0 offset:688
	buffer_load_dword v31, off, s[0:3], 0 offset:684
	buffer_load_dword v30, off, s[0:3], 0 offset:680
	buffer_load_dword v33, off, s[0:3], 0 offset:676
	buffer_load_dword v32, off, s[0:3], 0 offset:672
	buffer_load_dword v35, off, s[0:3], 0 offset:732
	buffer_load_dword v34, off, s[0:3], 0 offset:728
	buffer_load_dword v37, off, s[0:3], 0 offset:724
	buffer_load_dword v36, off, s[0:3], 0 offset:720
	buffer_load_dword v39, off, s[0:3], 0 offset:716
	buffer_load_dword v38, off, s[0:3], 0 offset:712
	buffer_load_dword v41, off, s[0:3], 0 offset:708
	buffer_load_dword v40, off, s[0:3], 0 offset:704
	buffer_load_dword v43, off, s[0:3], 0 offset:764
	buffer_load_dword v42, off, s[0:3], 0 offset:760
	buffer_load_dword v45, off, s[0:3], 0 offset:756
	buffer_load_dword v44, off, s[0:3], 0 offset:752
	buffer_load_dword v47, off, s[0:3], 0 offset:748
	buffer_load_dword v46, off, s[0:3], 0 offset:744
	buffer_load_dword v49, off, s[0:3], 0 offset:740
	buffer_load_dword v48, off, s[0:3], 0 offset:736
	buffer_load_dword v51, off, s[0:3], 0 offset:796
	buffer_load_dword v50, off, s[0:3], 0 offset:792
	buffer_load_dword v53, off, s[0:3], 0 offset:788
	buffer_load_dword v52, off, s[0:3], 0 offset:784
	buffer_load_dword v55, off, s[0:3], 0 offset:780
	buffer_load_dword v54, off, s[0:3], 0 offset:776
	buffer_load_dword v57, off, s[0:3], 0 offset:772
	buffer_load_dword v56, off, s[0:3], 0 offset:768
	buffer_load_dword v59, off, s[0:3], 0 offset:828
	buffer_load_dword v58, off, s[0:3], 0 offset:824
	buffer_load_dword v61, off, s[0:3], 0 offset:820
	buffer_load_dword v60, off, s[0:3], 0 offset:816
	buffer_load_dword v63, off, s[0:3], 0 offset:812
	buffer_load_dword v62, off, s[0:3], 0 offset:808
	buffer_load_dword v65, off, s[0:3], 0 offset:804
	buffer_load_dword v64, off, s[0:3], 0 offset:800
	buffer_load_dword v119, off, s[0:3], 0 offset:860
	buffer_load_dword v118, off, s[0:3], 0 offset:856
	buffer_load_dword v153, off, s[0:3], 0 offset:852
	buffer_load_dword v152, off, s[0:3], 0 offset:848
	buffer_load_dword v155, off, s[0:3], 0 offset:844
	buffer_load_dword v154, off, s[0:3], 0 offset:840
	buffer_load_dword v157, off, s[0:3], 0 offset:836
	buffer_load_dword v156, off, s[0:3], 0 offset:832
	buffer_load_dword v159, off, s[0:3], 0 offset:892
	buffer_load_dword v158, off, s[0:3], 0 offset:888
	buffer_load_dword v161, off, s[0:3], 0 offset:884
	buffer_load_dword v160, off, s[0:3], 0 offset:880
	buffer_load_dword v163, off, s[0:3], 0 offset:876
	buffer_load_dword v162, off, s[0:3], 0 offset:872
	buffer_load_dword v165, off, s[0:3], 0 offset:868
	buffer_load_dword v164, off, s[0:3], 0 offset:864
	buffer_load_dword v167, off, s[0:3], 0 offset:908
	buffer_load_dword v166, off, s[0:3], 0 offset:904
	buffer_load_dword v169, off, s[0:3], 0 offset:900
	buffer_load_dword v168, off, s[0:3], 0 offset:896
	v_mov_b32_e32 v1, 0
	ds_read_b128 v[66:69], v1 offset:1488
	buffer_load_dword v171, off, s[0:3], 0 offset:924
	buffer_load_dword v170, off, s[0:3], 0 offset:920
	;; [unrolled: 1-line block ×4, first 2 shown]
	ds_read_b128 v[70:73], v1 offset:1504
	ds_read_b128 v[74:77], v1 offset:1520
	;; [unrolled: 1-line block ×4, first 2 shown]
	v_cmp_lt_u32_e32 vcc, 34, v254
	s_waitcnt vmcnt(62) lgkmcnt(4)
	v_mul_f64 v[82:83], v[66:67], v[12:13]
	v_fmac_f64_e32 v[82:83], v[68:69], v[6:7]
	s_waitcnt lgkmcnt(3)
	v_mul_f64 v[84:85], v[70:71], v[14:15]
	v_add_f64 v[82:83], v[82:83], 0
	v_fmac_f64_e32 v[84:85], v[72:73], v[8:9]
	v_add_f64 v[82:83], v[82:83], v[84:85]
	s_waitcnt lgkmcnt(2)
	v_mul_f64 v[84:85], v[74:75], v[16:17]
	v_fmac_f64_e32 v[84:85], v[76:77], v[10:11]
	v_add_f64 v[86:87], v[82:83], v[84:85]
	ds_read_b128 v[82:85], v1 offset:1552
	v_mul_f64 v[12:13], v[68:69], v[12:13]
	s_waitcnt lgkmcnt(2)
	v_mul_f64 v[88:89], v[78:79], v[22:23]
	v_fma_f64 v[6:7], v[66:67], v[6:7], -v[12:13]
	v_fmac_f64_e32 v[88:89], v[80:81], v[24:25]
	v_add_f64 v[90:91], v[86:87], v[88:89]
	ds_read_b128 v[86:89], v1 offset:1568
	s_waitcnt lgkmcnt(1)
	v_mul_f64 v[92:93], v[82:83], v[18:19]
	v_fmac_f64_e32 v[92:93], v[84:85], v[20:21]
	v_add_f64 v[94:95], v[90:91], v[92:93]
	ds_read_b128 v[90:93], v1 offset:1584
	s_waitcnt vmcnt(58) lgkmcnt(1)
	v_mul_f64 v[96:97], v[86:87], v[30:31]
	s_waitcnt vmcnt(56)
	v_fmac_f64_e32 v[96:97], v[88:89], v[32:33]
	v_add_f64 v[98:99], v[94:95], v[96:97]
	ds_read_b128 v[94:97], v1 offset:1600
	s_waitcnt lgkmcnt(1)
	v_mul_f64 v[100:101], v[90:91], v[26:27]
	v_fmac_f64_e32 v[100:101], v[92:93], v[28:29]
	v_add_f64 v[102:103], v[98:99], v[100:101]
	ds_read_b128 v[98:101], v1 offset:1616
	s_waitcnt vmcnt(50) lgkmcnt(1)
	v_mul_f64 v[104:105], v[94:95], v[38:39]
	s_waitcnt vmcnt(48)
	v_fmac_f64_e32 v[104:105], v[96:97], v[40:41]
	v_add_f64 v[106:107], v[102:103], v[104:105]
	ds_read_b128 v[102:105], v1 offset:1632
	s_waitcnt lgkmcnt(1)
	v_mul_f64 v[108:109], v[98:99], v[34:35]
	v_fmac_f64_e32 v[108:109], v[100:101], v[36:37]
	v_mul_f64 v[12:13], v[72:73], v[14:15]
	v_add_f64 v[110:111], v[106:107], v[108:109]
	ds_read_b128 v[106:109], v1 offset:1648
	s_waitcnt vmcnt(42) lgkmcnt(1)
	v_mul_f64 v[112:113], v[102:103], v[46:47]
	v_add_f64 v[6:7], v[6:7], 0
	v_fma_f64 v[8:9], v[70:71], v[8:9], -v[12:13]
	s_waitcnt vmcnt(40)
	v_fmac_f64_e32 v[112:113], v[104:105], v[48:49]
	v_add_f64 v[6:7], v[6:7], v[8:9]
	v_mul_f64 v[8:9], v[76:77], v[16:17]
	v_add_f64 v[114:115], v[110:111], v[112:113]
	ds_read_b128 v[110:113], v1 offset:1664
	v_fma_f64 v[8:9], v[74:75], v[10:11], -v[8:9]
	v_add_f64 v[6:7], v[6:7], v[8:9]
	v_mul_f64 v[8:9], v[80:81], v[22:23]
	v_fma_f64 v[8:9], v[78:79], v[24:25], -v[8:9]
	s_waitcnt lgkmcnt(1)
	v_mul_f64 v[116:117], v[106:107], v[42:43]
	v_add_f64 v[6:7], v[6:7], v[8:9]
	v_mul_f64 v[8:9], v[84:85], v[18:19]
	v_fmac_f64_e32 v[116:117], v[108:109], v[44:45]
	v_fma_f64 v[8:9], v[82:83], v[20:21], -v[8:9]
	v_add_f64 v[120:121], v[114:115], v[116:117]
	ds_read_b128 v[114:117], v1 offset:1680
	s_waitcnt vmcnt(34) lgkmcnt(1)
	v_mul_f64 v[122:123], v[110:111], v[54:55]
	v_add_f64 v[6:7], v[6:7], v[8:9]
	v_mul_f64 v[8:9], v[88:89], v[30:31]
	s_waitcnt vmcnt(32)
	v_fmac_f64_e32 v[122:123], v[112:113], v[56:57]
	v_fma_f64 v[8:9], v[86:87], v[32:33], -v[8:9]
	v_add_f64 v[124:125], v[120:121], v[122:123]
	ds_read_b128 v[120:123], v1 offset:1696
	v_add_f64 v[6:7], v[6:7], v[8:9]
	v_mul_f64 v[8:9], v[92:93], v[26:27]
	v_fma_f64 v[8:9], v[90:91], v[28:29], -v[8:9]
	v_add_f64 v[6:7], v[6:7], v[8:9]
	v_mul_f64 v[8:9], v[96:97], v[38:39]
	s_waitcnt lgkmcnt(1)
	v_mul_f64 v[126:127], v[114:115], v[50:51]
	v_fma_f64 v[8:9], v[94:95], v[40:41], -v[8:9]
	v_fmac_f64_e32 v[126:127], v[116:117], v[52:53]
	v_add_f64 v[6:7], v[6:7], v[8:9]
	v_mul_f64 v[8:9], v[100:101], v[34:35]
	v_add_f64 v[128:129], v[124:125], v[126:127]
	ds_read_b128 v[124:127], v1 offset:1712
	s_waitcnt vmcnt(26) lgkmcnt(1)
	v_mul_f64 v[130:131], v[120:121], v[62:63]
	v_fma_f64 v[8:9], v[98:99], v[36:37], -v[8:9]
	s_waitcnt vmcnt(24)
	v_fmac_f64_e32 v[130:131], v[122:123], v[64:65]
	v_add_f64 v[6:7], v[6:7], v[8:9]
	v_mul_f64 v[8:9], v[104:105], v[46:47]
	v_add_f64 v[132:133], v[128:129], v[130:131]
	ds_read_b128 v[128:131], v1 offset:1728
	v_fma_f64 v[8:9], v[102:103], v[48:49], -v[8:9]
	v_add_f64 v[6:7], v[6:7], v[8:9]
	v_mul_f64 v[8:9], v[108:109], v[42:43]
	v_fma_f64 v[8:9], v[106:107], v[44:45], -v[8:9]
	s_waitcnt lgkmcnt(1)
	v_mul_f64 v[134:135], v[124:125], v[58:59]
	v_add_f64 v[6:7], v[6:7], v[8:9]
	v_mul_f64 v[8:9], v[112:113], v[54:55]
	v_fmac_f64_e32 v[134:135], v[126:127], v[60:61]
	v_fma_f64 v[8:9], v[110:111], v[56:57], -v[8:9]
	v_add_f64 v[136:137], v[132:133], v[134:135]
	ds_read_b128 v[132:135], v1 offset:1744
	s_waitcnt vmcnt(18) lgkmcnt(1)
	v_mul_f64 v[138:139], v[128:129], v[154:155]
	v_add_f64 v[6:7], v[6:7], v[8:9]
	v_mul_f64 v[8:9], v[116:117], v[50:51]
	s_waitcnt vmcnt(16)
	v_fmac_f64_e32 v[138:139], v[130:131], v[156:157]
	v_fma_f64 v[8:9], v[114:115], v[52:53], -v[8:9]
	v_add_f64 v[140:141], v[136:137], v[138:139]
	ds_read_b128 v[136:139], v1 offset:1760
	v_add_f64 v[6:7], v[6:7], v[8:9]
	v_mul_f64 v[8:9], v[122:123], v[62:63]
	v_fma_f64 v[8:9], v[120:121], v[64:65], -v[8:9]
	v_add_f64 v[6:7], v[6:7], v[8:9]
	v_mul_f64 v[8:9], v[126:127], v[58:59]
	s_waitcnt lgkmcnt(1)
	v_mul_f64 v[142:143], v[132:133], v[118:119]
	v_fma_f64 v[8:9], v[124:125], v[60:61], -v[8:9]
	v_fmac_f64_e32 v[142:143], v[134:135], v[152:153]
	v_add_f64 v[6:7], v[6:7], v[8:9]
	v_mul_f64 v[8:9], v[130:131], v[154:155]
	v_add_f64 v[144:145], v[140:141], v[142:143]
	ds_read_b128 v[140:143], v1 offset:1776
	s_waitcnt vmcnt(10) lgkmcnt(1)
	v_mul_f64 v[146:147], v[136:137], v[162:163]
	v_fma_f64 v[8:9], v[128:129], v[156:157], -v[8:9]
	s_waitcnt vmcnt(8)
	v_fmac_f64_e32 v[146:147], v[138:139], v[164:165]
	v_add_f64 v[6:7], v[6:7], v[8:9]
	v_mul_f64 v[8:9], v[134:135], v[118:119]
	v_add_f64 v[174:175], v[144:145], v[146:147]
	ds_read_b128 v[144:147], v1 offset:1792
	v_fma_f64 v[8:9], v[132:133], v[152:153], -v[8:9]
	v_add_f64 v[6:7], v[6:7], v[8:9]
	v_mul_f64 v[8:9], v[138:139], v[162:163]
	v_fma_f64 v[8:9], v[136:137], v[164:165], -v[8:9]
	v_add_f64 v[6:7], v[6:7], v[8:9]
	s_waitcnt lgkmcnt(1)
	v_mul_f64 v[8:9], v[142:143], v[158:159]
	v_mul_f64 v[176:177], v[140:141], v[158:159]
	v_fma_f64 v[8:9], v[140:141], v[160:161], -v[8:9]
	v_fmac_f64_e32 v[176:177], v[142:143], v[160:161]
	v_add_f64 v[6:7], v[6:7], v[8:9]
	s_waitcnt vmcnt(6) lgkmcnt(0)
	v_mul_f64 v[8:9], v[146:147], v[166:167]
	v_add_f64 v[174:175], v[174:175], v[176:177]
	v_mul_f64 v[176:177], v[144:145], v[166:167]
	s_waitcnt vmcnt(4)
	v_fma_f64 v[8:9], v[144:145], v[168:169], -v[8:9]
	v_fmac_f64_e32 v[176:177], v[146:147], v[168:169]
	v_add_f64 v[6:7], v[6:7], v[8:9]
	s_waitcnt vmcnt(2)
	v_mul_f64 v[8:9], v[150:151], v[170:171]
	v_add_f64 v[174:175], v[174:175], v[176:177]
	v_mul_f64 v[176:177], v[148:149], v[170:171]
	s_waitcnt vmcnt(0)
	v_fma_f64 v[8:9], v[148:149], v[172:173], -v[8:9]
	v_fmac_f64_e32 v[176:177], v[150:151], v[172:173]
	v_add_f64 v[6:7], v[6:7], v[8:9]
	v_add_f64 v[174:175], v[174:175], v[176:177]
	v_add_f64 v[4:5], v[4:5], -v[6:7]
	v_add_f64 v[2:3], v[2:3], -v[174:175]
	buffer_store_dword v5, off, s[0:3], 0 offset:580
	buffer_store_dword v4, off, s[0:3], 0 offset:576
	buffer_store_dword v3, off, s[0:3], 0 offset:588
	buffer_store_dword v2, off, s[0:3], 0 offset:584
	s_and_saveexec_b64 s[4:5], vcc
	s_cbranch_execz .LBB120_287
; %bb.286:
	v_accvgpr_read_b32 v0, a136
	buffer_load_dword v2, v0, s[0:3], 0 offen
	buffer_load_dword v3, v0, s[0:3], 0 offen offset:4
	buffer_load_dword v4, v0, s[0:3], 0 offen offset:8
	;; [unrolled: 1-line block ×3, first 2 shown]
	v_accvgpr_read_b32 v0, a171
	buffer_store_dword v1, off, s[0:3], 0 offset:560
	buffer_store_dword v1, off, s[0:3], 0 offset:564
	;; [unrolled: 1-line block ×4, first 2 shown]
	s_waitcnt vmcnt(4)
	ds_write_b128 v0, v[2:5]
.LBB120_287:
	s_or_b64 exec, exec, s[4:5]
	s_waitcnt lgkmcnt(0)
	; wave barrier
	s_waitcnt lgkmcnt(0)
	ds_read_b128 v[14:17], v1 offset:1472
	ds_read_b128 v[10:13], v1 offset:1488
	ds_read_b128 v[6:9], v1 offset:1504
	ds_read_b128 v[2:5], v1 offset:1520
	buffer_load_dword v20, off, s[0:3], 0 offset:560
	buffer_load_dword v21, off, s[0:3], 0 offset:564
	;; [unrolled: 1-line block ×92, first 2 shown]
	s_waitcnt vmcnt(62) lgkmcnt(3)
	v_mul_f64 v[86:87], v[14:15], v[28:29]
	v_fmac_f64_e32 v[86:87], v[16:17], v[22:23]
	s_waitcnt lgkmcnt(2)
	v_mul_f64 v[88:89], v[10:11], v[30:31]
	v_add_f64 v[86:87], v[86:87], 0
	v_fmac_f64_e32 v[88:89], v[12:13], v[24:25]
	v_add_f64 v[86:87], v[86:87], v[88:89]
	s_waitcnt lgkmcnt(1)
	v_mul_f64 v[88:89], v[6:7], v[32:33]
	v_fmac_f64_e32 v[88:89], v[8:9], v[26:27]
	v_add_f64 v[90:91], v[86:87], v[88:89]
	ds_read_b128 v[86:89], v1 offset:1536
	v_mul_f64 v[16:17], v[16:17], v[28:29]
	v_fma_f64 v[14:15], v[14:15], v[22:23], -v[16:17]
	s_waitcnt lgkmcnt(1)
	v_mul_f64 v[92:93], v[2:3], v[38:39]
	v_mul_f64 v[12:13], v[12:13], v[30:31]
	v_fmac_f64_e32 v[92:93], v[4:5], v[40:41]
	v_add_f64 v[94:95], v[90:91], v[92:93]
	ds_read_b128 v[90:93], v1 offset:1552
	s_waitcnt lgkmcnt(1)
	v_mul_f64 v[96:97], v[86:87], v[34:35]
	v_fmac_f64_e32 v[96:97], v[88:89], v[36:37]
	v_add_f64 v[98:99], v[94:95], v[96:97]
	ds_read_b128 v[94:97], v1 offset:1568
	s_waitcnt lgkmcnt(1)
	v_mul_f64 v[100:101], v[90:91], v[46:47]
	s_waitcnt vmcnt(60)
	v_fmac_f64_e32 v[100:101], v[92:93], v[48:49]
	v_add_f64 v[102:103], v[98:99], v[100:101]
	ds_read_b128 v[98:101], v1 offset:1584
	s_waitcnt lgkmcnt(1)
	v_mul_f64 v[104:105], v[94:95], v[42:43]
	v_fmac_f64_e32 v[104:105], v[96:97], v[44:45]
	v_add_f64 v[106:107], v[102:103], v[104:105]
	ds_read_b128 v[102:105], v1 offset:1600
	s_waitcnt vmcnt(54) lgkmcnt(1)
	v_mul_f64 v[108:109], v[98:99], v[54:55]
	s_waitcnt vmcnt(52)
	v_fmac_f64_e32 v[108:109], v[100:101], v[56:57]
	v_add_f64 v[110:111], v[106:107], v[108:109]
	ds_read_b128 v[106:109], v1 offset:1616
	s_waitcnt lgkmcnt(1)
	v_mul_f64 v[112:113], v[102:103], v[50:51]
	v_fmac_f64_e32 v[112:113], v[104:105], v[52:53]
	v_add_f64 v[114:115], v[110:111], v[112:113]
	ds_read_b128 v[110:113], v1 offset:1632
	s_waitcnt vmcnt(46) lgkmcnt(1)
	v_mul_f64 v[116:117], v[106:107], v[62:63]
	s_waitcnt vmcnt(44)
	v_fmac_f64_e32 v[116:117], v[108:109], v[64:65]
	v_add_f64 v[120:121], v[114:115], v[116:117]
	ds_read_b128 v[114:117], v1 offset:1648
	s_waitcnt lgkmcnt(1)
	v_mul_f64 v[122:123], v[110:111], v[58:59]
	v_fmac_f64_e32 v[122:123], v[112:113], v[60:61]
	v_add_f64 v[14:15], v[14:15], 0
	v_fma_f64 v[10:11], v[10:11], v[24:25], -v[12:13]
	v_mul_f64 v[8:9], v[8:9], v[32:33]
	v_add_f64 v[124:125], v[120:121], v[122:123]
	ds_read_b128 v[120:123], v1 offset:1664
	v_add_f64 v[10:11], v[14:15], v[10:11]
	v_fma_f64 v[6:7], v[6:7], v[26:27], -v[8:9]
	v_mul_f64 v[4:5], v[4:5], v[38:39]
	v_add_f64 v[6:7], v[10:11], v[6:7]
	v_fma_f64 v[2:3], v[2:3], v[40:41], -v[4:5]
	v_mul_f64 v[4:5], v[88:89], v[34:35]
	v_add_f64 v[2:3], v[6:7], v[2:3]
	v_fma_f64 v[4:5], v[86:87], v[36:37], -v[4:5]
	s_waitcnt vmcnt(38) lgkmcnt(1)
	v_mul_f64 v[126:127], v[114:115], v[70:71]
	v_add_f64 v[2:3], v[2:3], v[4:5]
	v_mul_f64 v[4:5], v[92:93], v[46:47]
	s_waitcnt vmcnt(36)
	v_fmac_f64_e32 v[126:127], v[116:117], v[72:73]
	v_fma_f64 v[4:5], v[90:91], v[48:49], -v[4:5]
	v_add_f64 v[128:129], v[124:125], v[126:127]
	ds_read_b128 v[124:127], v1 offset:1680
	s_waitcnt lgkmcnt(1)
	v_mul_f64 v[130:131], v[120:121], v[66:67]
	v_add_f64 v[2:3], v[2:3], v[4:5]
	v_mul_f64 v[4:5], v[96:97], v[42:43]
	v_fmac_f64_e32 v[130:131], v[122:123], v[68:69]
	v_fma_f64 v[4:5], v[94:95], v[44:45], -v[4:5]
	v_add_f64 v[132:133], v[128:129], v[130:131]
	ds_read_b128 v[128:131], v1 offset:1696
	v_add_f64 v[2:3], v[2:3], v[4:5]
	v_mul_f64 v[4:5], v[100:101], v[54:55]
	v_fma_f64 v[4:5], v[98:99], v[56:57], -v[4:5]
	v_add_f64 v[2:3], v[2:3], v[4:5]
	v_mul_f64 v[4:5], v[104:105], v[50:51]
	s_waitcnt vmcnt(30) lgkmcnt(1)
	v_mul_f64 v[134:135], v[124:125], v[78:79]
	v_fma_f64 v[4:5], v[102:103], v[52:53], -v[4:5]
	s_waitcnt vmcnt(28)
	v_fmac_f64_e32 v[134:135], v[126:127], v[80:81]
	v_add_f64 v[2:3], v[2:3], v[4:5]
	v_mul_f64 v[4:5], v[108:109], v[62:63]
	v_add_f64 v[136:137], v[132:133], v[134:135]
	ds_read_b128 v[132:135], v1 offset:1712
	s_waitcnt lgkmcnt(1)
	v_mul_f64 v[138:139], v[128:129], v[74:75]
	v_fma_f64 v[4:5], v[106:107], v[64:65], -v[4:5]
	v_fmac_f64_e32 v[138:139], v[130:131], v[76:77]
	v_add_f64 v[2:3], v[2:3], v[4:5]
	v_mul_f64 v[4:5], v[112:113], v[58:59]
	v_add_f64 v[140:141], v[136:137], v[138:139]
	ds_read_b128 v[136:139], v1 offset:1728
	v_fma_f64 v[4:5], v[110:111], v[60:61], -v[4:5]
	v_add_f64 v[2:3], v[2:3], v[4:5]
	v_mul_f64 v[4:5], v[116:117], v[70:71]
	v_fma_f64 v[4:5], v[114:115], v[72:73], -v[4:5]
	s_waitcnt vmcnt(22) lgkmcnt(1)
	v_mul_f64 v[142:143], v[132:133], v[118:119]
	v_add_f64 v[2:3], v[2:3], v[4:5]
	v_mul_f64 v[4:5], v[122:123], v[66:67]
	s_waitcnt vmcnt(20)
	v_fmac_f64_e32 v[142:143], v[134:135], v[160:161]
	v_fma_f64 v[4:5], v[120:121], v[68:69], -v[4:5]
	v_add_f64 v[144:145], v[140:141], v[142:143]
	ds_read_b128 v[140:143], v1 offset:1744
	s_waitcnt lgkmcnt(1)
	v_mul_f64 v[146:147], v[136:137], v[82:83]
	v_add_f64 v[2:3], v[2:3], v[4:5]
	v_mul_f64 v[4:5], v[126:127], v[78:79]
	v_fmac_f64_e32 v[146:147], v[138:139], v[84:85]
	v_fma_f64 v[4:5], v[124:125], v[80:81], -v[4:5]
	v_add_f64 v[148:149], v[144:145], v[146:147]
	ds_read_b128 v[144:147], v1 offset:1760
	v_add_f64 v[2:3], v[2:3], v[4:5]
	v_mul_f64 v[4:5], v[130:131], v[74:75]
	v_fma_f64 v[4:5], v[128:129], v[76:77], -v[4:5]
	v_add_f64 v[2:3], v[2:3], v[4:5]
	v_mul_f64 v[4:5], v[134:135], v[118:119]
	s_waitcnt vmcnt(14) lgkmcnt(1)
	v_mul_f64 v[150:151], v[140:141], v[166:167]
	v_fma_f64 v[4:5], v[132:133], v[160:161], -v[4:5]
	s_waitcnt vmcnt(12)
	v_fmac_f64_e32 v[150:151], v[142:143], v[168:169]
	v_add_f64 v[2:3], v[2:3], v[4:5]
	v_mul_f64 v[4:5], v[138:139], v[82:83]
	v_add_f64 v[152:153], v[148:149], v[150:151]
	ds_read_b128 v[148:151], v1 offset:1776
	s_waitcnt lgkmcnt(1)
	v_mul_f64 v[154:155], v[144:145], v[162:163]
	v_fma_f64 v[4:5], v[136:137], v[84:85], -v[4:5]
	v_fmac_f64_e32 v[154:155], v[146:147], v[164:165]
	v_add_f64 v[2:3], v[2:3], v[4:5]
	v_mul_f64 v[4:5], v[142:143], v[166:167]
	v_add_f64 v[182:183], v[152:153], v[154:155]
	ds_read_b128 v[152:155], v1 offset:1792
	ds_read_b128 v[156:159], v1 offset:1808
	v_fma_f64 v[4:5], v[140:141], v[168:169], -v[4:5]
	v_add_f64 v[2:3], v[2:3], v[4:5]
	v_mul_f64 v[4:5], v[146:147], v[162:163]
	v_fma_f64 v[4:5], v[144:145], v[164:165], -v[4:5]
	v_add_f64 v[2:3], v[2:3], v[4:5]
	s_waitcnt vmcnt(6) lgkmcnt(2)
	v_mul_f64 v[4:5], v[150:151], v[174:175]
	v_mul_f64 v[184:185], v[148:149], v[174:175]
	s_waitcnt vmcnt(4)
	v_fma_f64 v[4:5], v[148:149], v[176:177], -v[4:5]
	v_fmac_f64_e32 v[184:185], v[150:151], v[176:177]
	v_add_f64 v[2:3], v[2:3], v[4:5]
	s_waitcnt lgkmcnt(1)
	v_mul_f64 v[4:5], v[154:155], v[170:171]
	v_add_f64 v[182:183], v[182:183], v[184:185]
	v_mul_f64 v[184:185], v[152:153], v[170:171]
	v_fma_f64 v[4:5], v[152:153], v[172:173], -v[4:5]
	v_fmac_f64_e32 v[184:185], v[154:155], v[172:173]
	v_add_f64 v[2:3], v[2:3], v[4:5]
	s_waitcnt vmcnt(2) lgkmcnt(0)
	v_mul_f64 v[4:5], v[158:159], v[178:179]
	v_add_f64 v[182:183], v[182:183], v[184:185]
	v_mul_f64 v[184:185], v[156:157], v[178:179]
	s_waitcnt vmcnt(0)
	v_fma_f64 v[4:5], v[156:157], v[180:181], -v[4:5]
	v_fmac_f64_e32 v[184:185], v[158:159], v[180:181]
	v_add_f64 v[2:3], v[2:3], v[4:5]
	v_add_f64 v[182:183], v[182:183], v[184:185]
	v_add_f64 v[2:3], v[20:21], -v[2:3]
	v_cmp_lt_u32_e32 vcc, 33, v254
	v_add_f64 v[4:5], v[18:19], -v[182:183]
	buffer_store_dword v3, off, s[0:3], 0 offset:564
	buffer_store_dword v2, off, s[0:3], 0 offset:560
	;; [unrolled: 1-line block ×4, first 2 shown]
	s_and_saveexec_b64 s[4:5], vcc
	s_cbranch_execz .LBB120_289
; %bb.288:
	v_accvgpr_read_b32 v0, a137
	buffer_load_dword v2, v0, s[0:3], 0 offen
	buffer_load_dword v3, v0, s[0:3], 0 offen offset:4
	buffer_load_dword v4, v0, s[0:3], 0 offen offset:8
	;; [unrolled: 1-line block ×3, first 2 shown]
	v_mov_b32_e32 v0, 0
	v_accvgpr_read_b32 v1, a171
	buffer_store_dword v0, off, s[0:3], 0 offset:544
	buffer_store_dword v0, off, s[0:3], 0 offset:548
	;; [unrolled: 1-line block ×4, first 2 shown]
	s_waitcnt vmcnt(4)
	ds_write_b128 v1, v[2:5]
.LBB120_289:
	s_or_b64 exec, exec, s[4:5]
	s_waitcnt lgkmcnt(0)
	; wave barrier
	s_waitcnt lgkmcnt(0)
	buffer_load_dword v9, off, s[0:3], 0 offset:572
	buffer_load_dword v6, off, s[0:3], 0 offset:584
	;; [unrolled: 1-line block ×64, first 2 shown]
	v_mov_b32_e32 v1, 0
	ds_read_b128 v[74:77], v1 offset:1456
	ds_read_b128 v[78:81], v1 offset:1472
	buffer_load_dword v67, off, s[0:3], 0 offset:828
	buffer_load_dword v66, off, s[0:3], 0 offset:824
	;; [unrolled: 1-line block ×8, first 2 shown]
	ds_read_b128 v[82:85], v1 offset:1488
	ds_read_b128 v[86:89], v1 offset:1504
	buffer_load_dword v119, off, s[0:3], 0 offset:860
	buffer_load_dword v118, off, s[0:3], 0 offset:856
	;; [unrolled: 1-line block ×24, first 2 shown]
	ds_read_b128 v[164:167], v1 offset:1808
	v_cmp_lt_u32_e32 vcc, 32, v254
	s_waitcnt vmcnt(62) lgkmcnt(1)
	v_mul_f64 v[96:97], v[86:87], v[22:23]
	v_fmac_f64_e32 v[96:97], v[88:89], v[24:25]
	v_mul_f64 v[92:93], v[78:79], v[6:7]
	v_mul_f64 v[90:91], v[74:75], v[8:9]
	;; [unrolled: 1-line block ×3, first 2 shown]
	v_fmac_f64_e32 v[90:91], v[76:77], v[10:11]
	v_add_f64 v[90:91], v[90:91], 0
	v_fma_f64 v[8:9], v[74:75], v[10:11], -v[8:9]
	v_mul_f64 v[6:7], v[80:81], v[6:7]
	v_add_f64 v[8:9], v[8:9], 0
	v_fmac_f64_e32 v[92:93], v[80:81], v[14:15]
	v_add_f64 v[90:91], v[90:91], v[92:93]
	v_mul_f64 v[92:93], v[82:83], v[16:17]
	v_fmac_f64_e32 v[92:93], v[84:85], v[12:13]
	v_add_f64 v[94:95], v[90:91], v[92:93]
	ds_read_b128 v[90:93], v1 offset:1520
	v_add_f64 v[98:99], v[94:95], v[96:97]
	ds_read_b128 v[94:97], v1 offset:1536
	v_fma_f64 v[6:7], v[78:79], v[14:15], -v[6:7]
	v_add_f64 v[6:7], v[8:9], v[6:7]
	s_waitcnt lgkmcnt(1)
	v_mul_f64 v[100:101], v[90:91], v[18:19]
	v_fmac_f64_e32 v[100:101], v[92:93], v[20:21]
	v_add_f64 v[102:103], v[98:99], v[100:101]
	ds_read_b128 v[98:101], v1 offset:1552
	s_waitcnt lgkmcnt(1)
	v_mul_f64 v[104:105], v[94:95], v[30:31]
	v_fmac_f64_e32 v[104:105], v[96:97], v[32:33]
	v_add_f64 v[106:107], v[102:103], v[104:105]
	ds_read_b128 v[102:105], v1 offset:1568
	;; [unrolled: 5-line block ×3, first 2 shown]
	s_waitcnt vmcnt(58) lgkmcnt(1)
	v_mul_f64 v[112:113], v[102:103], v[38:39]
	s_waitcnt vmcnt(56)
	v_fmac_f64_e32 v[112:113], v[104:105], v[40:41]
	v_add_f64 v[114:115], v[110:111], v[112:113]
	ds_read_b128 v[110:113], v1 offset:1600
	s_waitcnt lgkmcnt(1)
	v_mul_f64 v[116:117], v[106:107], v[34:35]
	v_fmac_f64_e32 v[116:117], v[108:109], v[36:37]
	v_add_f64 v[120:121], v[114:115], v[116:117]
	ds_read_b128 v[114:117], v1 offset:1616
	s_waitcnt vmcnt(50) lgkmcnt(1)
	v_mul_f64 v[122:123], v[110:111], v[46:47]
	s_waitcnt vmcnt(48)
	v_fmac_f64_e32 v[122:123], v[112:113], v[48:49]
	v_add_f64 v[124:125], v[120:121], v[122:123]
	ds_read_b128 v[120:123], v1 offset:1632
	v_mul_f64 v[8:9], v[84:85], v[16:17]
	s_waitcnt lgkmcnt(1)
	v_mul_f64 v[126:127], v[114:115], v[42:43]
	v_fma_f64 v[8:9], v[82:83], v[12:13], -v[8:9]
	v_fmac_f64_e32 v[126:127], v[116:117], v[44:45]
	v_add_f64 v[6:7], v[6:7], v[8:9]
	v_mul_f64 v[8:9], v[88:89], v[22:23]
	v_add_f64 v[128:129], v[124:125], v[126:127]
	ds_read_b128 v[124:127], v1 offset:1648
	s_waitcnt vmcnt(42) lgkmcnt(1)
	v_mul_f64 v[130:131], v[120:121], v[54:55]
	v_fma_f64 v[8:9], v[86:87], v[24:25], -v[8:9]
	s_waitcnt vmcnt(40)
	v_fmac_f64_e32 v[130:131], v[122:123], v[56:57]
	v_add_f64 v[6:7], v[6:7], v[8:9]
	v_mul_f64 v[8:9], v[92:93], v[18:19]
	v_add_f64 v[132:133], v[128:129], v[130:131]
	ds_read_b128 v[128:131], v1 offset:1664
	v_fma_f64 v[8:9], v[90:91], v[20:21], -v[8:9]
	v_add_f64 v[6:7], v[6:7], v[8:9]
	v_mul_f64 v[8:9], v[96:97], v[30:31]
	v_fma_f64 v[8:9], v[94:95], v[32:33], -v[8:9]
	s_waitcnt lgkmcnt(1)
	v_mul_f64 v[134:135], v[124:125], v[50:51]
	v_add_f64 v[6:7], v[6:7], v[8:9]
	v_mul_f64 v[8:9], v[100:101], v[26:27]
	v_fmac_f64_e32 v[134:135], v[126:127], v[52:53]
	v_fma_f64 v[8:9], v[98:99], v[28:29], -v[8:9]
	v_add_f64 v[136:137], v[132:133], v[134:135]
	ds_read_b128 v[132:135], v1 offset:1680
	s_waitcnt vmcnt(34) lgkmcnt(1)
	v_mul_f64 v[138:139], v[128:129], v[62:63]
	v_add_f64 v[6:7], v[6:7], v[8:9]
	v_mul_f64 v[8:9], v[104:105], v[38:39]
	s_waitcnt vmcnt(32)
	v_fmac_f64_e32 v[138:139], v[130:131], v[64:65]
	v_fma_f64 v[8:9], v[102:103], v[40:41], -v[8:9]
	v_add_f64 v[140:141], v[136:137], v[138:139]
	ds_read_b128 v[136:139], v1 offset:1696
	v_add_f64 v[6:7], v[6:7], v[8:9]
	v_mul_f64 v[8:9], v[108:109], v[34:35]
	v_fma_f64 v[8:9], v[106:107], v[36:37], -v[8:9]
	v_add_f64 v[6:7], v[6:7], v[8:9]
	v_mul_f64 v[8:9], v[112:113], v[46:47]
	s_waitcnt lgkmcnt(1)
	v_mul_f64 v[142:143], v[132:133], v[58:59]
	v_fma_f64 v[8:9], v[110:111], v[48:49], -v[8:9]
	v_fmac_f64_e32 v[142:143], v[134:135], v[60:61]
	v_add_f64 v[6:7], v[6:7], v[8:9]
	v_mul_f64 v[8:9], v[116:117], v[42:43]
	v_add_f64 v[144:145], v[140:141], v[142:143]
	ds_read_b128 v[140:143], v1 offset:1712
	s_waitcnt vmcnt(26) lgkmcnt(1)
	v_mul_f64 v[146:147], v[136:137], v[70:71]
	v_fma_f64 v[8:9], v[114:115], v[44:45], -v[8:9]
	s_waitcnt vmcnt(24)
	v_fmac_f64_e32 v[146:147], v[138:139], v[72:73]
	v_add_f64 v[6:7], v[6:7], v[8:9]
	v_mul_f64 v[8:9], v[122:123], v[54:55]
	v_add_f64 v[148:149], v[144:145], v[146:147]
	ds_read_b128 v[144:147], v1 offset:1728
	v_fma_f64 v[8:9], v[120:121], v[56:57], -v[8:9]
	v_add_f64 v[6:7], v[6:7], v[8:9]
	v_mul_f64 v[8:9], v[126:127], v[50:51]
	v_fma_f64 v[8:9], v[124:125], v[52:53], -v[8:9]
	s_waitcnt lgkmcnt(1)
	v_mul_f64 v[150:151], v[140:141], v[66:67]
	v_add_f64 v[6:7], v[6:7], v[8:9]
	v_mul_f64 v[8:9], v[130:131], v[62:63]
	v_fmac_f64_e32 v[150:151], v[142:143], v[68:69]
	v_fma_f64 v[8:9], v[128:129], v[64:65], -v[8:9]
	v_add_f64 v[152:153], v[148:149], v[150:151]
	ds_read_b128 v[148:151], v1 offset:1744
	s_waitcnt vmcnt(18) lgkmcnt(1)
	v_mul_f64 v[154:155], v[144:145], v[170:171]
	v_add_f64 v[6:7], v[6:7], v[8:9]
	v_mul_f64 v[8:9], v[134:135], v[58:59]
	s_waitcnt vmcnt(16)
	v_fmac_f64_e32 v[154:155], v[146:147], v[172:173]
	v_fma_f64 v[8:9], v[132:133], v[60:61], -v[8:9]
	v_add_f64 v[156:157], v[152:153], v[154:155]
	ds_read_b128 v[152:155], v1 offset:1760
	v_add_f64 v[6:7], v[6:7], v[8:9]
	v_mul_f64 v[8:9], v[138:139], v[70:71]
	v_fma_f64 v[8:9], v[136:137], v[72:73], -v[8:9]
	v_add_f64 v[6:7], v[6:7], v[8:9]
	v_mul_f64 v[8:9], v[142:143], v[66:67]
	s_waitcnt lgkmcnt(1)
	v_mul_f64 v[158:159], v[148:149], v[118:119]
	v_fma_f64 v[8:9], v[140:141], v[68:69], -v[8:9]
	v_fmac_f64_e32 v[158:159], v[150:151], v[168:169]
	v_add_f64 v[6:7], v[6:7], v[8:9]
	v_mul_f64 v[8:9], v[146:147], v[170:171]
	v_add_f64 v[160:161], v[156:157], v[158:159]
	ds_read_b128 v[156:159], v1 offset:1776
	s_waitcnt vmcnt(10) lgkmcnt(1)
	v_mul_f64 v[162:163], v[152:153], v[178:179]
	v_fma_f64 v[8:9], v[144:145], v[172:173], -v[8:9]
	s_waitcnt vmcnt(8)
	v_fmac_f64_e32 v[162:163], v[154:155], v[180:181]
	v_add_f64 v[6:7], v[6:7], v[8:9]
	v_mul_f64 v[8:9], v[150:151], v[118:119]
	v_add_f64 v[190:191], v[160:161], v[162:163]
	ds_read_b128 v[160:163], v1 offset:1792
	v_fma_f64 v[8:9], v[148:149], v[168:169], -v[8:9]
	v_add_f64 v[6:7], v[6:7], v[8:9]
	v_mul_f64 v[8:9], v[154:155], v[178:179]
	v_fma_f64 v[8:9], v[152:153], v[180:181], -v[8:9]
	v_add_f64 v[6:7], v[6:7], v[8:9]
	s_waitcnt lgkmcnt(1)
	v_mul_f64 v[8:9], v[158:159], v[174:175]
	v_mul_f64 v[192:193], v[156:157], v[174:175]
	v_fma_f64 v[8:9], v[156:157], v[176:177], -v[8:9]
	v_fmac_f64_e32 v[192:193], v[158:159], v[176:177]
	v_add_f64 v[6:7], v[6:7], v[8:9]
	s_waitcnt vmcnt(2) lgkmcnt(0)
	v_mul_f64 v[8:9], v[162:163], v[186:187]
	v_add_f64 v[190:191], v[190:191], v[192:193]
	v_mul_f64 v[192:193], v[160:161], v[186:187]
	s_waitcnt vmcnt(0)
	v_fma_f64 v[8:9], v[160:161], v[188:189], -v[8:9]
	v_fmac_f64_e32 v[192:193], v[162:163], v[188:189]
	v_add_f64 v[6:7], v[6:7], v[8:9]
	v_mul_f64 v[8:9], v[166:167], v[182:183]
	v_add_f64 v[190:191], v[190:191], v[192:193]
	v_mul_f64 v[192:193], v[164:165], v[182:183]
	v_fma_f64 v[8:9], v[164:165], v[184:185], -v[8:9]
	v_fmac_f64_e32 v[192:193], v[166:167], v[184:185]
	v_add_f64 v[6:7], v[6:7], v[8:9]
	v_add_f64 v[190:191], v[190:191], v[192:193]
	v_add_f64 v[4:5], v[4:5], -v[6:7]
	v_add_f64 v[2:3], v[2:3], -v[190:191]
	buffer_store_dword v5, off, s[0:3], 0 offset:548
	buffer_store_dword v4, off, s[0:3], 0 offset:544
	;; [unrolled: 1-line block ×4, first 2 shown]
	s_and_saveexec_b64 s[4:5], vcc
	s_cbranch_execz .LBB120_291
; %bb.290:
	v_accvgpr_read_b32 v0, a138
	buffer_load_dword v2, v0, s[0:3], 0 offen
	buffer_load_dword v3, v0, s[0:3], 0 offen offset:4
	buffer_load_dword v4, v0, s[0:3], 0 offen offset:8
	;; [unrolled: 1-line block ×3, first 2 shown]
	v_accvgpr_read_b32 v0, a171
	buffer_store_dword v1, off, s[0:3], 0 offset:528
	buffer_store_dword v1, off, s[0:3], 0 offset:532
	;; [unrolled: 1-line block ×4, first 2 shown]
	s_waitcnt vmcnt(4)
	ds_write_b128 v0, v[2:5]
.LBB120_291:
	s_or_b64 exec, exec, s[4:5]
	s_waitcnt lgkmcnt(0)
	; wave barrier
	s_waitcnt lgkmcnt(0)
	buffer_load_dword v22, off, s[0:3], 0 offset:544
	buffer_load_dword v23, off, s[0:3], 0 offset:548
	;; [unrolled: 1-line block ×16, first 2 shown]
	ds_read_b128 v[2:5], v1 offset:1440
	ds_read_b128 v[6:9], v1 offset:1456
	;; [unrolled: 1-line block ×4, first 2 shown]
	buffer_load_dword v35, off, s[0:3], 0 offset:620
	buffer_load_dword v34, off, s[0:3], 0 offset:616
	;; [unrolled: 1-line block ×48, first 2 shown]
	v_cmp_lt_u32_e32 vcc, 31, v254
	s_waitcnt vmcnt(42) lgkmcnt(0)
	v_mul_f64 v[104:105], v[14:15], v[38:39]
	s_waitcnt vmcnt(40)
	v_fmac_f64_e32 v[104:105], v[16:17], v[40:41]
	v_mul_f64 v[82:83], v[2:3], v[24:25]
	v_fmac_f64_e32 v[82:83], v[4:5], v[22:23]
	v_add_f64 v[82:83], v[82:83], 0
	v_mul_f64 v[4:5], v[4:5], v[24:25]
	v_mul_f64 v[84:85], v[6:7], v[32:33]
	v_fma_f64 v[2:3], v[2:3], v[22:23], -v[4:5]
	v_mul_f64 v[98:99], v[10:11], v[26:27]
	v_fmac_f64_e32 v[98:99], v[12:13], v[30:31]
	v_fmac_f64_e32 v[84:85], v[8:9], v[28:29]
	v_add_f64 v[100:101], v[82:83], v[84:85]
	buffer_load_dword v83, off, s[0:3], 0 offset:812
	buffer_load_dword v82, off, s[0:3], 0 offset:808
	;; [unrolled: 1-line block ×32, first 2 shown]
	v_add_f64 v[102:103], v[100:101], v[98:99]
	ds_read_b128 v[98:101], v1 offset:1504
	buffer_load_dword v195, off, s[0:3], 0 offset:924
	buffer_load_dword v194, off, s[0:3], 0 offset:920
	;; [unrolled: 1-line block ×4, first 2 shown]
	v_add_f64 v[106:107], v[102:103], v[104:105]
	ds_read_b128 v[102:105], v1 offset:1520
	v_mul_f64 v[4:5], v[8:9], v[32:33]
	s_waitcnt lgkmcnt(1)
	v_mul_f64 v[108:109], v[98:99], v[34:35]
	v_fmac_f64_e32 v[108:109], v[100:101], v[36:37]
	v_add_f64 v[110:111], v[106:107], v[108:109]
	ds_read_b128 v[106:109], v1 offset:1536
	s_waitcnt vmcnt(62) lgkmcnt(1)
	v_mul_f64 v[112:113], v[102:103], v[46:47]
	v_fmac_f64_e32 v[112:113], v[104:105], v[48:49]
	v_add_f64 v[114:115], v[110:111], v[112:113]
	ds_read_b128 v[110:113], v1 offset:1552
	s_waitcnt lgkmcnt(1)
	v_mul_f64 v[116:117], v[106:107], v[42:43]
	v_fmac_f64_e32 v[116:117], v[108:109], v[44:45]
	v_add_f64 v[120:121], v[114:115], v[116:117]
	ds_read_b128 v[114:117], v1 offset:1568
	s_waitcnt lgkmcnt(1)
	v_mul_f64 v[122:123], v[110:111], v[54:55]
	s_waitcnt vmcnt(60)
	v_fmac_f64_e32 v[122:123], v[112:113], v[56:57]
	v_add_f64 v[124:125], v[120:121], v[122:123]
	ds_read_b128 v[120:123], v1 offset:1584
	s_waitcnt lgkmcnt(1)
	v_mul_f64 v[126:127], v[114:115], v[50:51]
	v_fmac_f64_e32 v[126:127], v[116:117], v[52:53]
	v_add_f64 v[128:129], v[124:125], v[126:127]
	ds_read_b128 v[124:127], v1 offset:1600
	s_waitcnt vmcnt(54) lgkmcnt(1)
	v_mul_f64 v[130:131], v[120:121], v[62:63]
	s_waitcnt vmcnt(52)
	v_fmac_f64_e32 v[130:131], v[122:123], v[64:65]
	v_add_f64 v[132:133], v[128:129], v[130:131]
	ds_read_b128 v[128:131], v1 offset:1616
	s_waitcnt lgkmcnt(1)
	v_mul_f64 v[134:135], v[124:125], v[58:59]
	v_fmac_f64_e32 v[134:135], v[126:127], v[60:61]
	v_add_f64 v[2:3], v[2:3], 0
	v_fma_f64 v[4:5], v[6:7], v[28:29], -v[4:5]
	v_add_f64 v[136:137], v[132:133], v[134:135]
	ds_read_b128 v[132:135], v1 offset:1632
	v_add_f64 v[2:3], v[2:3], v[4:5]
	v_mul_f64 v[4:5], v[12:13], v[26:27]
	v_fma_f64 v[4:5], v[10:11], v[30:31], -v[4:5]
	v_add_f64 v[2:3], v[2:3], v[4:5]
	v_mul_f64 v[4:5], v[16:17], v[38:39]
	s_waitcnt vmcnt(46) lgkmcnt(1)
	v_mul_f64 v[138:139], v[128:129], v[70:71]
	v_fma_f64 v[4:5], v[14:15], v[40:41], -v[4:5]
	s_waitcnt vmcnt(44)
	v_fmac_f64_e32 v[138:139], v[130:131], v[72:73]
	v_add_f64 v[2:3], v[2:3], v[4:5]
	v_mul_f64 v[4:5], v[100:101], v[34:35]
	v_add_f64 v[140:141], v[136:137], v[138:139]
	ds_read_b128 v[136:139], v1 offset:1648
	s_waitcnt lgkmcnt(1)
	v_mul_f64 v[142:143], v[132:133], v[66:67]
	v_fma_f64 v[4:5], v[98:99], v[36:37], -v[4:5]
	v_fmac_f64_e32 v[142:143], v[134:135], v[68:69]
	v_add_f64 v[2:3], v[2:3], v[4:5]
	v_mul_f64 v[4:5], v[104:105], v[46:47]
	v_add_f64 v[144:145], v[140:141], v[142:143]
	ds_read_b128 v[140:143], v1 offset:1664
	v_fma_f64 v[4:5], v[102:103], v[48:49], -v[4:5]
	v_add_f64 v[2:3], v[2:3], v[4:5]
	v_mul_f64 v[4:5], v[108:109], v[42:43]
	v_fma_f64 v[4:5], v[106:107], v[44:45], -v[4:5]
	s_waitcnt vmcnt(38) lgkmcnt(1)
	v_mul_f64 v[146:147], v[136:137], v[78:79]
	v_add_f64 v[2:3], v[2:3], v[4:5]
	v_mul_f64 v[4:5], v[112:113], v[54:55]
	s_waitcnt vmcnt(36)
	v_fmac_f64_e32 v[146:147], v[138:139], v[80:81]
	v_fma_f64 v[4:5], v[110:111], v[56:57], -v[4:5]
	v_add_f64 v[148:149], v[144:145], v[146:147]
	ds_read_b128 v[144:147], v1 offset:1680
	s_waitcnt lgkmcnt(1)
	v_mul_f64 v[150:151], v[140:141], v[74:75]
	v_add_f64 v[2:3], v[2:3], v[4:5]
	v_mul_f64 v[4:5], v[116:117], v[50:51]
	v_fmac_f64_e32 v[150:151], v[142:143], v[76:77]
	v_fma_f64 v[4:5], v[114:115], v[52:53], -v[4:5]
	v_add_f64 v[152:153], v[148:149], v[150:151]
	ds_read_b128 v[148:151], v1 offset:1696
	v_add_f64 v[2:3], v[2:3], v[4:5]
	v_mul_f64 v[4:5], v[122:123], v[62:63]
	v_fma_f64 v[4:5], v[120:121], v[64:65], -v[4:5]
	v_add_f64 v[2:3], v[2:3], v[4:5]
	v_mul_f64 v[4:5], v[126:127], v[58:59]
	s_waitcnt vmcnt(30) lgkmcnt(1)
	v_mul_f64 v[154:155], v[144:145], v[86:87]
	v_fma_f64 v[4:5], v[124:125], v[60:61], -v[4:5]
	s_waitcnt vmcnt(28)
	v_fmac_f64_e32 v[154:155], v[146:147], v[88:89]
	v_add_f64 v[2:3], v[2:3], v[4:5]
	v_mul_f64 v[4:5], v[130:131], v[70:71]
	v_add_f64 v[156:157], v[152:153], v[154:155]
	ds_read_b128 v[152:155], v1 offset:1712
	s_waitcnt lgkmcnt(1)
	v_mul_f64 v[158:159], v[148:149], v[82:83]
	v_fma_f64 v[4:5], v[128:129], v[72:73], -v[4:5]
	v_fmac_f64_e32 v[158:159], v[150:151], v[84:85]
	v_add_f64 v[2:3], v[2:3], v[4:5]
	v_mul_f64 v[4:5], v[134:135], v[66:67]
	v_add_f64 v[160:161], v[156:157], v[158:159]
	ds_read_b128 v[156:159], v1 offset:1728
	v_fma_f64 v[4:5], v[132:133], v[68:69], -v[4:5]
	v_add_f64 v[2:3], v[2:3], v[4:5]
	v_mul_f64 v[4:5], v[138:139], v[78:79]
	v_fma_f64 v[4:5], v[136:137], v[80:81], -v[4:5]
	s_waitcnt vmcnt(22) lgkmcnt(1)
	v_mul_f64 v[162:163], v[152:153], v[94:95]
	v_add_f64 v[2:3], v[2:3], v[4:5]
	v_mul_f64 v[4:5], v[142:143], v[74:75]
	s_waitcnt vmcnt(20)
	v_fmac_f64_e32 v[162:163], v[154:155], v[96:97]
	v_fma_f64 v[4:5], v[140:141], v[76:77], -v[4:5]
	v_add_f64 v[164:165], v[160:161], v[162:163]
	ds_read_b128 v[160:163], v1 offset:1744
	s_waitcnt lgkmcnt(1)
	v_mul_f64 v[166:167], v[156:157], v[90:91]
	v_add_f64 v[2:3], v[2:3], v[4:5]
	v_mul_f64 v[4:5], v[146:147], v[86:87]
	v_fmac_f64_e32 v[166:167], v[158:159], v[92:93]
	v_fma_f64 v[4:5], v[144:145], v[88:89], -v[4:5]
	v_add_f64 v[168:169], v[164:165], v[166:167]
	ds_read_b128 v[164:167], v1 offset:1760
	v_add_f64 v[2:3], v[2:3], v[4:5]
	v_mul_f64 v[4:5], v[150:151], v[82:83]
	v_fma_f64 v[4:5], v[148:149], v[84:85], -v[4:5]
	v_add_f64 v[2:3], v[2:3], v[4:5]
	v_mul_f64 v[4:5], v[154:155], v[94:95]
	s_waitcnt vmcnt(14) lgkmcnt(1)
	v_mul_f64 v[170:171], v[160:161], v[182:183]
	v_fma_f64 v[4:5], v[152:153], v[96:97], -v[4:5]
	s_waitcnt vmcnt(12)
	v_fmac_f64_e32 v[170:171], v[162:163], v[184:185]
	v_add_f64 v[2:3], v[2:3], v[4:5]
	v_mul_f64 v[4:5], v[158:159], v[90:91]
	v_add_f64 v[172:173], v[168:169], v[170:171]
	ds_read_b128 v[168:171], v1 offset:1776
	s_waitcnt lgkmcnt(1)
	v_mul_f64 v[174:175], v[164:165], v[118:119]
	v_fma_f64 v[4:5], v[156:157], v[92:93], -v[4:5]
	v_fmac_f64_e32 v[174:175], v[166:167], v[180:181]
	v_add_f64 v[2:3], v[2:3], v[4:5]
	v_mul_f64 v[4:5], v[162:163], v[182:183]
	v_add_f64 v[198:199], v[172:173], v[174:175]
	ds_read_b128 v[172:175], v1 offset:1792
	v_fma_f64 v[4:5], v[160:161], v[184:185], -v[4:5]
	v_add_f64 v[2:3], v[2:3], v[4:5]
	v_mul_f64 v[4:5], v[166:167], v[118:119]
	ds_read_b128 v[176:179], v1 offset:1808
	v_fma_f64 v[4:5], v[164:165], v[180:181], -v[4:5]
	v_add_f64 v[2:3], v[2:3], v[4:5]
	s_waitcnt vmcnt(6) lgkmcnt(2)
	v_mul_f64 v[4:5], v[170:171], v[190:191]
	v_mul_f64 v[200:201], v[168:169], v[190:191]
	s_waitcnt vmcnt(4)
	v_fma_f64 v[4:5], v[168:169], v[192:193], -v[4:5]
	v_fmac_f64_e32 v[200:201], v[170:171], v[192:193]
	v_add_f64 v[2:3], v[2:3], v[4:5]
	s_waitcnt lgkmcnt(1)
	v_mul_f64 v[4:5], v[174:175], v[186:187]
	v_add_f64 v[198:199], v[198:199], v[200:201]
	v_mul_f64 v[200:201], v[172:173], v[186:187]
	v_fma_f64 v[4:5], v[172:173], v[188:189], -v[4:5]
	v_fmac_f64_e32 v[200:201], v[174:175], v[188:189]
	v_add_f64 v[2:3], v[2:3], v[4:5]
	s_waitcnt vmcnt(2) lgkmcnt(0)
	v_mul_f64 v[4:5], v[178:179], v[194:195]
	v_add_f64 v[198:199], v[198:199], v[200:201]
	v_mul_f64 v[200:201], v[176:177], v[194:195]
	s_waitcnt vmcnt(0)
	v_fma_f64 v[4:5], v[176:177], v[196:197], -v[4:5]
	v_fmac_f64_e32 v[200:201], v[178:179], v[196:197]
	v_add_f64 v[2:3], v[2:3], v[4:5]
	v_add_f64 v[198:199], v[198:199], v[200:201]
	v_add_f64 v[2:3], v[20:21], -v[2:3]
	v_add_f64 v[4:5], v[18:19], -v[198:199]
	buffer_store_dword v3, off, s[0:3], 0 offset:532
	buffer_store_dword v2, off, s[0:3], 0 offset:528
	;; [unrolled: 1-line block ×4, first 2 shown]
	s_and_saveexec_b64 s[4:5], vcc
	s_cbranch_execz .LBB120_293
; %bb.292:
	v_accvgpr_read_b32 v0, a139
	buffer_load_dword v2, v0, s[0:3], 0 offen
	buffer_load_dword v3, v0, s[0:3], 0 offen offset:4
	buffer_load_dword v4, v0, s[0:3], 0 offen offset:8
	;; [unrolled: 1-line block ×3, first 2 shown]
	v_mov_b32_e32 v0, 0
	v_accvgpr_read_b32 v1, a171
	buffer_store_dword v0, off, s[0:3], 0 offset:512
	buffer_store_dword v0, off, s[0:3], 0 offset:516
	buffer_store_dword v0, off, s[0:3], 0 offset:520
	buffer_store_dword v0, off, s[0:3], 0 offset:524
	s_waitcnt vmcnt(4)
	ds_write_b128 v1, v[2:5]
.LBB120_293:
	s_or_b64 exec, exec, s[4:5]
	s_waitcnt lgkmcnt(0)
	; wave barrier
	s_waitcnt lgkmcnt(0)
	buffer_load_dword v22, off, s[0:3], 0 offset:528
	buffer_load_dword v23, off, s[0:3], 0 offset:532
	;; [unrolled: 1-line block ×64, first 2 shown]
	v_mov_b32_e32 v1, 0
	ds_read_b128 v[18:21], v1 offset:1424
	ds_read_b128 v[14:17], v1 offset:1440
	;; [unrolled: 1-line block ×5, first 2 shown]
	v_cmp_lt_u32_e32 vcc, 30, v254
	s_waitcnt vmcnt(60) lgkmcnt(4)
	v_mul_f64 v[86:87], v[18:19], v[26:27]
	v_fmac_f64_e32 v[86:87], v[20:21], v[22:23]
	v_add_f64 v[86:87], v[86:87], 0
	v_mul_f64 v[20:21], v[20:21], v[26:27]
	s_waitcnt vmcnt(56) lgkmcnt(3)
	v_mul_f64 v[88:89], v[14:15], v[28:29]
	v_fmac_f64_e32 v[88:89], v[16:17], v[24:25]
	s_waitcnt vmcnt(54) lgkmcnt(2)
	v_mul_f64 v[90:91], v[10:11], v[30:31]
	v_add_f64 v[86:87], v[86:87], v[88:89]
	v_fma_f64 v[18:19], v[18:19], v[22:23], -v[20:21]
	v_mul_f64 v[16:17], v[16:17], v[28:29]
	s_waitcnt vmcnt(50) lgkmcnt(1)
	v_mul_f64 v[102:103], v[6:7], v[40:41]
	v_add_f64 v[18:19], v[18:19], 0
	s_waitcnt vmcnt(48)
	v_fmac_f64_e32 v[90:91], v[12:13], v[44:45]
	v_add_f64 v[104:105], v[86:87], v[90:91]
	buffer_load_dword v87, off, s[0:3], 0 offset:796
	buffer_load_dword v86, off, s[0:3], 0 offset:792
	;; [unrolled: 1-line block ×40, first 2 shown]
	s_waitcnt vmcnt(62)
	v_fmac_f64_e32 v[102:103], v[8:9], v[42:43]
	v_add_f64 v[106:107], v[104:105], v[102:103]
	ds_read_b128 v[102:105], v1 offset:1504
	s_waitcnt lgkmcnt(1)
	v_mul_f64 v[108:109], v[2:3], v[36:37]
	v_fmac_f64_e32 v[108:109], v[4:5], v[38:39]
	v_add_f64 v[110:111], v[106:107], v[108:109]
	ds_read_b128 v[106:109], v1 offset:1520
	s_waitcnt lgkmcnt(1)
	v_mul_f64 v[112:113], v[102:103], v[50:51]
	;; [unrolled: 5-line block ×5, first 2 shown]
	v_fmac_f64_e32 v[126:127], v[116:117], v[56:57]
	v_add_f64 v[128:129], v[124:125], v[126:127]
	ds_read_b128 v[124:127], v1 offset:1584
	s_waitcnt vmcnt(58) lgkmcnt(1)
	v_mul_f64 v[130:131], v[120:121], v[66:67]
	s_waitcnt vmcnt(56)
	v_fmac_f64_e32 v[130:131], v[122:123], v[68:69]
	v_add_f64 v[132:133], v[128:129], v[130:131]
	ds_read_b128 v[128:131], v1 offset:1600
	s_waitcnt lgkmcnt(1)
	v_mul_f64 v[134:135], v[124:125], v[62:63]
	v_fmac_f64_e32 v[134:135], v[126:127], v[64:65]
	v_add_f64 v[136:137], v[132:133], v[134:135]
	ds_read_b128 v[132:135], v1 offset:1616
	s_waitcnt vmcnt(50) lgkmcnt(1)
	v_mul_f64 v[138:139], v[128:129], v[74:75]
	s_waitcnt vmcnt(48)
	v_fmac_f64_e32 v[138:139], v[130:131], v[76:77]
	v_add_f64 v[140:141], v[136:137], v[138:139]
	ds_read_b128 v[136:139], v1 offset:1632
	v_fma_f64 v[14:15], v[14:15], v[24:25], -v[16:17]
	v_mul_f64 v[12:13], v[12:13], v[30:31]
	v_add_f64 v[14:15], v[18:19], v[14:15]
	v_fma_f64 v[10:11], v[10:11], v[44:45], -v[12:13]
	v_mul_f64 v[8:9], v[8:9], v[40:41]
	s_waitcnt lgkmcnt(1)
	v_mul_f64 v[142:143], v[132:133], v[70:71]
	v_add_f64 v[10:11], v[14:15], v[10:11]
	v_fma_f64 v[6:7], v[6:7], v[42:43], -v[8:9]
	v_mul_f64 v[4:5], v[4:5], v[36:37]
	v_fmac_f64_e32 v[142:143], v[134:135], v[72:73]
	v_add_f64 v[6:7], v[10:11], v[6:7]
	v_fma_f64 v[2:3], v[2:3], v[38:39], -v[4:5]
	v_mul_f64 v[4:5], v[104:105], v[50:51]
	v_add_f64 v[144:145], v[140:141], v[142:143]
	ds_read_b128 v[140:143], v1 offset:1648
	s_waitcnt vmcnt(42) lgkmcnt(1)
	v_mul_f64 v[146:147], v[136:137], v[82:83]
	v_add_f64 v[2:3], v[6:7], v[2:3]
	v_fma_f64 v[4:5], v[102:103], v[52:53], -v[4:5]
	s_waitcnt vmcnt(40)
	v_fmac_f64_e32 v[146:147], v[138:139], v[84:85]
	v_add_f64 v[2:3], v[2:3], v[4:5]
	v_mul_f64 v[4:5], v[108:109], v[46:47]
	v_add_f64 v[148:149], v[144:145], v[146:147]
	ds_read_b128 v[144:147], v1 offset:1664
	v_fma_f64 v[4:5], v[106:107], v[48:49], -v[4:5]
	v_add_f64 v[2:3], v[2:3], v[4:5]
	v_mul_f64 v[4:5], v[112:113], v[58:59]
	v_fma_f64 v[4:5], v[110:111], v[60:61], -v[4:5]
	s_waitcnt lgkmcnt(1)
	v_mul_f64 v[150:151], v[140:141], v[78:79]
	v_add_f64 v[2:3], v[2:3], v[4:5]
	v_mul_f64 v[4:5], v[116:117], v[54:55]
	v_fmac_f64_e32 v[150:151], v[142:143], v[80:81]
	v_fma_f64 v[4:5], v[114:115], v[56:57], -v[4:5]
	v_add_f64 v[152:153], v[148:149], v[150:151]
	ds_read_b128 v[148:151], v1 offset:1680
	s_waitcnt vmcnt(34) lgkmcnt(1)
	v_mul_f64 v[154:155], v[144:145], v[90:91]
	v_add_f64 v[2:3], v[2:3], v[4:5]
	v_mul_f64 v[4:5], v[122:123], v[66:67]
	s_waitcnt vmcnt(32)
	v_fmac_f64_e32 v[154:155], v[146:147], v[92:93]
	v_fma_f64 v[4:5], v[120:121], v[68:69], -v[4:5]
	v_add_f64 v[156:157], v[152:153], v[154:155]
	ds_read_b128 v[152:155], v1 offset:1696
	v_add_f64 v[2:3], v[2:3], v[4:5]
	v_mul_f64 v[4:5], v[126:127], v[62:63]
	v_fma_f64 v[4:5], v[124:125], v[64:65], -v[4:5]
	v_add_f64 v[2:3], v[2:3], v[4:5]
	v_mul_f64 v[4:5], v[130:131], v[74:75]
	s_waitcnt lgkmcnt(1)
	v_mul_f64 v[158:159], v[148:149], v[86:87]
	v_fma_f64 v[4:5], v[128:129], v[76:77], -v[4:5]
	v_fmac_f64_e32 v[158:159], v[150:151], v[88:89]
	v_add_f64 v[2:3], v[2:3], v[4:5]
	v_mul_f64 v[4:5], v[134:135], v[70:71]
	v_add_f64 v[160:161], v[156:157], v[158:159]
	ds_read_b128 v[156:159], v1 offset:1712
	s_waitcnt vmcnt(26) lgkmcnt(1)
	v_mul_f64 v[162:163], v[152:153], v[98:99]
	v_fma_f64 v[4:5], v[132:133], v[72:73], -v[4:5]
	s_waitcnt vmcnt(24)
	v_fmac_f64_e32 v[162:163], v[154:155], v[100:101]
	v_add_f64 v[2:3], v[2:3], v[4:5]
	v_mul_f64 v[4:5], v[138:139], v[82:83]
	v_add_f64 v[164:165], v[160:161], v[162:163]
	ds_read_b128 v[160:163], v1 offset:1728
	v_fma_f64 v[4:5], v[136:137], v[84:85], -v[4:5]
	v_add_f64 v[2:3], v[2:3], v[4:5]
	v_mul_f64 v[4:5], v[142:143], v[78:79]
	v_fma_f64 v[4:5], v[140:141], v[80:81], -v[4:5]
	s_waitcnt lgkmcnt(1)
	v_mul_f64 v[166:167], v[156:157], v[94:95]
	v_add_f64 v[2:3], v[2:3], v[4:5]
	v_mul_f64 v[4:5], v[146:147], v[90:91]
	v_fmac_f64_e32 v[166:167], v[158:159], v[96:97]
	v_fma_f64 v[4:5], v[144:145], v[92:93], -v[4:5]
	v_add_f64 v[168:169], v[164:165], v[166:167]
	ds_read_b128 v[164:167], v1 offset:1744
	s_waitcnt vmcnt(18) lgkmcnt(1)
	v_mul_f64 v[170:171], v[160:161], v[186:187]
	v_add_f64 v[2:3], v[2:3], v[4:5]
	v_mul_f64 v[4:5], v[150:151], v[86:87]
	s_waitcnt vmcnt(16)
	v_fmac_f64_e32 v[170:171], v[162:163], v[188:189]
	v_fma_f64 v[4:5], v[148:149], v[88:89], -v[4:5]
	v_add_f64 v[172:173], v[168:169], v[170:171]
	ds_read_b128 v[168:171], v1 offset:1760
	v_add_f64 v[2:3], v[2:3], v[4:5]
	v_mul_f64 v[4:5], v[154:155], v[98:99]
	v_fma_f64 v[4:5], v[152:153], v[100:101], -v[4:5]
	v_add_f64 v[2:3], v[2:3], v[4:5]
	v_mul_f64 v[4:5], v[158:159], v[94:95]
	s_waitcnt lgkmcnt(1)
	v_mul_f64 v[174:175], v[164:165], v[118:119]
	v_fma_f64 v[4:5], v[156:157], v[96:97], -v[4:5]
	v_fmac_f64_e32 v[174:175], v[166:167], v[184:185]
	v_add_f64 v[2:3], v[2:3], v[4:5]
	v_mul_f64 v[4:5], v[162:163], v[186:187]
	v_add_f64 v[176:177], v[172:173], v[174:175]
	ds_read_b128 v[172:175], v1 offset:1776
	s_waitcnt vmcnt(10) lgkmcnt(1)
	v_mul_f64 v[178:179], v[168:169], v[194:195]
	v_fma_f64 v[4:5], v[160:161], v[188:189], -v[4:5]
	s_waitcnt vmcnt(8)
	v_fmac_f64_e32 v[178:179], v[170:171], v[196:197]
	v_add_f64 v[2:3], v[2:3], v[4:5]
	v_mul_f64 v[4:5], v[166:167], v[118:119]
	v_add_f64 v[206:207], v[176:177], v[178:179]
	ds_read_b128 v[176:179], v1 offset:1792
	ds_read_b128 v[180:183], v1 offset:1808
	v_fma_f64 v[4:5], v[164:165], v[184:185], -v[4:5]
	v_add_f64 v[2:3], v[2:3], v[4:5]
	v_mul_f64 v[4:5], v[170:171], v[194:195]
	v_fma_f64 v[4:5], v[168:169], v[196:197], -v[4:5]
	v_add_f64 v[2:3], v[2:3], v[4:5]
	s_waitcnt lgkmcnt(2)
	v_mul_f64 v[4:5], v[174:175], v[190:191]
	v_mul_f64 v[208:209], v[172:173], v[190:191]
	v_fma_f64 v[4:5], v[172:173], v[192:193], -v[4:5]
	v_fmac_f64_e32 v[208:209], v[174:175], v[192:193]
	v_add_f64 v[2:3], v[2:3], v[4:5]
	s_waitcnt vmcnt(2) lgkmcnt(1)
	v_mul_f64 v[4:5], v[178:179], v[202:203]
	v_add_f64 v[206:207], v[206:207], v[208:209]
	v_mul_f64 v[208:209], v[176:177], v[202:203]
	s_waitcnt vmcnt(0)
	v_fma_f64 v[4:5], v[176:177], v[204:205], -v[4:5]
	v_fmac_f64_e32 v[208:209], v[178:179], v[204:205]
	v_add_f64 v[2:3], v[2:3], v[4:5]
	s_waitcnt lgkmcnt(0)
	v_mul_f64 v[4:5], v[182:183], v[198:199]
	v_add_f64 v[206:207], v[206:207], v[208:209]
	v_mul_f64 v[208:209], v[180:181], v[198:199]
	v_fma_f64 v[4:5], v[180:181], v[200:201], -v[4:5]
	v_fmac_f64_e32 v[208:209], v[182:183], v[200:201]
	v_add_f64 v[2:3], v[2:3], v[4:5]
	v_add_f64 v[206:207], v[206:207], v[208:209]
	v_add_f64 v[2:3], v[34:35], -v[2:3]
	v_add_f64 v[4:5], v[32:33], -v[206:207]
	buffer_store_dword v3, off, s[0:3], 0 offset:516
	buffer_store_dword v2, off, s[0:3], 0 offset:512
	;; [unrolled: 1-line block ×4, first 2 shown]
	s_and_saveexec_b64 s[4:5], vcc
	s_cbranch_execz .LBB120_295
; %bb.294:
	v_accvgpr_read_b32 v0, a140
	buffer_load_dword v2, v0, s[0:3], 0 offen
	buffer_load_dword v3, v0, s[0:3], 0 offen offset:4
	buffer_load_dword v4, v0, s[0:3], 0 offen offset:8
	;; [unrolled: 1-line block ×3, first 2 shown]
	v_accvgpr_read_b32 v0, a171
	buffer_store_dword v1, off, s[0:3], 0 offset:496
	buffer_store_dword v1, off, s[0:3], 0 offset:500
	;; [unrolled: 1-line block ×4, first 2 shown]
	s_waitcnt vmcnt(4)
	ds_write_b128 v0, v[2:5]
.LBB120_295:
	s_or_b64 exec, exec, s[4:5]
	s_waitcnt lgkmcnt(0)
	; wave barrier
	s_waitcnt lgkmcnt(0)
	buffer_load_dword v26, off, s[0:3], 0 offset:512
	buffer_load_dword v27, off, s[0:3], 0 offset:516
	;; [unrolled: 1-line block ×24, first 2 shown]
	ds_read_b128 v[22:25], v1 offset:1408
	ds_read_b128 v[18:21], v1 offset:1424
	;; [unrolled: 1-line block ×6, first 2 shown]
	buffer_load_dword v51, off, s[0:3], 0 offset:620
	buffer_load_dword v50, off, s[0:3], 0 offset:616
	buffer_load_dword v53, off, s[0:3], 0 offset:612
	buffer_load_dword v52, off, s[0:3], 0 offset:608
	buffer_load_dword v55, off, s[0:3], 0 offset:604
	buffer_load_dword v54, off, s[0:3], 0 offset:600
	buffer_load_dword v57, off, s[0:3], 0 offset:596
	buffer_load_dword v56, off, s[0:3], 0 offset:592
	buffer_load_dword v59, off, s[0:3], 0 offset:652
	buffer_load_dword v58, off, s[0:3], 0 offset:648
	buffer_load_dword v61, off, s[0:3], 0 offset:644
	buffer_load_dword v60, off, s[0:3], 0 offset:640
	buffer_load_dword v63, off, s[0:3], 0 offset:636
	buffer_load_dword v62, off, s[0:3], 0 offset:632
	buffer_load_dword v65, off, s[0:3], 0 offset:628
	buffer_load_dword v64, off, s[0:3], 0 offset:624
	buffer_load_dword v67, off, s[0:3], 0 offset:684
	buffer_load_dword v66, off, s[0:3], 0 offset:680
	buffer_load_dword v69, off, s[0:3], 0 offset:676
	buffer_load_dword v68, off, s[0:3], 0 offset:672
	buffer_load_dword v71, off, s[0:3], 0 offset:668
	buffer_load_dword v70, off, s[0:3], 0 offset:664
	buffer_load_dword v73, off, s[0:3], 0 offset:660
	buffer_load_dword v72, off, s[0:3], 0 offset:656
	buffer_load_dword v75, off, s[0:3], 0 offset:716
	buffer_load_dword v74, off, s[0:3], 0 offset:712
	buffer_load_dword v77, off, s[0:3], 0 offset:708
	buffer_load_dword v76, off, s[0:3], 0 offset:704
	buffer_load_dword v79, off, s[0:3], 0 offset:700
	buffer_load_dword v78, off, s[0:3], 0 offset:696
	buffer_load_dword v81, off, s[0:3], 0 offset:692
	buffer_load_dword v80, off, s[0:3], 0 offset:688
	buffer_load_dword v83, off, s[0:3], 0 offset:748
	buffer_load_dword v82, off, s[0:3], 0 offset:744
	buffer_load_dword v85, off, s[0:3], 0 offset:740
	buffer_load_dword v84, off, s[0:3], 0 offset:736
	buffer_load_dword v87, off, s[0:3], 0 offset:732
	buffer_load_dword v86, off, s[0:3], 0 offset:728
	buffer_load_dword v89, off, s[0:3], 0 offset:724
	buffer_load_dword v88, off, s[0:3], 0 offset:720
	v_cmp_lt_u32_e32 vcc, 29, v254
	s_waitcnt vmcnt(34) lgkmcnt(0)
	v_mul_f64 v[122:123], v[14:15], v[54:55]
	s_waitcnt vmcnt(32)
	v_fmac_f64_e32 v[122:123], v[16:17], v[56:57]
	v_mul_f64 v[90:91], v[22:23], v[28:29]
	v_fmac_f64_e32 v[90:91], v[24:25], v[26:27]
	v_mul_f64 v[92:93], v[18:19], v[30:31]
	v_add_f64 v[90:91], v[90:91], 0
	v_mul_f64 v[94:95], v[10:11], v[32:33]
	v_mul_f64 v[24:25], v[24:25], v[28:29]
	;; [unrolled: 1-line block ×3, first 2 shown]
	v_fma_f64 v[22:23], v[22:23], v[26:27], -v[24:25]
	v_add_f64 v[22:23], v[22:23], 0
	v_mul_f64 v[96:97], v[6:7], v[42:43]
	v_fmac_f64_e32 v[92:93], v[20:21], v[48:49]
	v_add_f64 v[90:91], v[90:91], v[92:93]
	v_fmac_f64_e32 v[94:95], v[12:13], v[46:47]
	v_add_f64 v[90:91], v[90:91], v[94:95]
	;; [unrolled: 2-line block ×3, first 2 shown]
	buffer_load_dword v91, off, s[0:3], 0 offset:780
	buffer_load_dword v90, off, s[0:3], 0 offset:776
	;; [unrolled: 1-line block ×40, first 2 shown]
	v_fmac_f64_e32 v[114:115], v[4:5], v[40:41]
	v_add_f64 v[120:121], v[116:117], v[114:115]
	ds_read_b128 v[114:117], v1 offset:1504
	buffer_load_dword v211, off, s[0:3], 0 offset:924
	buffer_load_dword v210, off, s[0:3], 0 offset:920
	;; [unrolled: 1-line block ×4, first 2 shown]
	v_add_f64 v[124:125], v[120:121], v[122:123]
	ds_read_b128 v[120:123], v1 offset:1520
	v_mul_f64 v[20:21], v[20:21], v[30:31]
	s_waitcnt lgkmcnt(1)
	v_mul_f64 v[126:127], v[114:115], v[50:51]
	v_fmac_f64_e32 v[126:127], v[116:117], v[52:53]
	v_add_f64 v[128:129], v[124:125], v[126:127]
	ds_read_b128 v[124:127], v1 offset:1536
	s_waitcnt vmcnt(62) lgkmcnt(1)
	v_mul_f64 v[130:131], v[120:121], v[62:63]
	v_fmac_f64_e32 v[130:131], v[122:123], v[64:65]
	v_add_f64 v[132:133], v[128:129], v[130:131]
	ds_read_b128 v[128:131], v1 offset:1552
	s_waitcnt lgkmcnt(1)
	v_mul_f64 v[134:135], v[124:125], v[58:59]
	v_fmac_f64_e32 v[134:135], v[126:127], v[60:61]
	v_add_f64 v[136:137], v[132:133], v[134:135]
	ds_read_b128 v[132:135], v1 offset:1568
	s_waitcnt lgkmcnt(1)
	v_mul_f64 v[138:139], v[128:129], v[70:71]
	s_waitcnt vmcnt(60)
	v_fmac_f64_e32 v[138:139], v[130:131], v[72:73]
	v_add_f64 v[140:141], v[136:137], v[138:139]
	ds_read_b128 v[136:139], v1 offset:1584
	s_waitcnt lgkmcnt(1)
	v_mul_f64 v[142:143], v[132:133], v[66:67]
	v_fmac_f64_e32 v[142:143], v[134:135], v[68:69]
	v_add_f64 v[144:145], v[140:141], v[142:143]
	ds_read_b128 v[140:143], v1 offset:1600
	s_waitcnt vmcnt(54) lgkmcnt(1)
	v_mul_f64 v[146:147], v[136:137], v[78:79]
	s_waitcnt vmcnt(52)
	v_fmac_f64_e32 v[146:147], v[138:139], v[80:81]
	v_add_f64 v[148:149], v[144:145], v[146:147]
	ds_read_b128 v[144:147], v1 offset:1616
	s_waitcnt lgkmcnt(1)
	v_mul_f64 v[150:151], v[140:141], v[74:75]
	v_fmac_f64_e32 v[150:151], v[142:143], v[76:77]
	v_fma_f64 v[18:19], v[18:19], v[48:49], -v[20:21]
	v_mul_f64 v[12:13], v[12:13], v[32:33]
	v_add_f64 v[152:153], v[148:149], v[150:151]
	ds_read_b128 v[148:151], v1 offset:1632
	v_add_f64 v[18:19], v[22:23], v[18:19]
	v_fma_f64 v[10:11], v[10:11], v[46:47], -v[12:13]
	v_mul_f64 v[8:9], v[8:9], v[42:43]
	v_add_f64 v[10:11], v[18:19], v[10:11]
	v_fma_f64 v[6:7], v[6:7], v[44:45], -v[8:9]
	v_mul_f64 v[4:5], v[4:5], v[38:39]
	;; [unrolled: 3-line block ×3, first 2 shown]
	s_waitcnt vmcnt(46) lgkmcnt(1)
	v_mul_f64 v[154:155], v[144:145], v[86:87]
	v_add_f64 v[2:3], v[6:7], v[2:3]
	v_fma_f64 v[4:5], v[14:15], v[56:57], -v[4:5]
	s_waitcnt vmcnt(44)
	v_fmac_f64_e32 v[154:155], v[146:147], v[88:89]
	v_add_f64 v[2:3], v[2:3], v[4:5]
	v_mul_f64 v[4:5], v[116:117], v[50:51]
	v_add_f64 v[156:157], v[152:153], v[154:155]
	ds_read_b128 v[152:155], v1 offset:1648
	s_waitcnt lgkmcnt(1)
	v_mul_f64 v[158:159], v[148:149], v[82:83]
	v_fma_f64 v[4:5], v[114:115], v[52:53], -v[4:5]
	v_fmac_f64_e32 v[158:159], v[150:151], v[84:85]
	v_add_f64 v[2:3], v[2:3], v[4:5]
	v_mul_f64 v[4:5], v[122:123], v[62:63]
	v_add_f64 v[160:161], v[156:157], v[158:159]
	ds_read_b128 v[156:159], v1 offset:1664
	v_fma_f64 v[4:5], v[120:121], v[64:65], -v[4:5]
	v_add_f64 v[2:3], v[2:3], v[4:5]
	v_mul_f64 v[4:5], v[126:127], v[58:59]
	v_fma_f64 v[4:5], v[124:125], v[60:61], -v[4:5]
	s_waitcnt vmcnt(38) lgkmcnt(1)
	v_mul_f64 v[162:163], v[152:153], v[94:95]
	v_add_f64 v[2:3], v[2:3], v[4:5]
	v_mul_f64 v[4:5], v[130:131], v[70:71]
	s_waitcnt vmcnt(36)
	v_fmac_f64_e32 v[162:163], v[154:155], v[96:97]
	v_fma_f64 v[4:5], v[128:129], v[72:73], -v[4:5]
	v_add_f64 v[164:165], v[160:161], v[162:163]
	ds_read_b128 v[160:163], v1 offset:1680
	s_waitcnt lgkmcnt(1)
	v_mul_f64 v[166:167], v[156:157], v[90:91]
	v_add_f64 v[2:3], v[2:3], v[4:5]
	v_mul_f64 v[4:5], v[134:135], v[66:67]
	v_fmac_f64_e32 v[166:167], v[158:159], v[92:93]
	v_fma_f64 v[4:5], v[132:133], v[68:69], -v[4:5]
	v_add_f64 v[168:169], v[164:165], v[166:167]
	ds_read_b128 v[164:167], v1 offset:1696
	v_add_f64 v[2:3], v[2:3], v[4:5]
	v_mul_f64 v[4:5], v[138:139], v[78:79]
	v_fma_f64 v[4:5], v[136:137], v[80:81], -v[4:5]
	v_add_f64 v[2:3], v[2:3], v[4:5]
	v_mul_f64 v[4:5], v[142:143], v[74:75]
	s_waitcnt vmcnt(30) lgkmcnt(1)
	v_mul_f64 v[170:171], v[160:161], v[102:103]
	v_fma_f64 v[4:5], v[140:141], v[76:77], -v[4:5]
	s_waitcnt vmcnt(28)
	v_fmac_f64_e32 v[170:171], v[162:163], v[104:105]
	v_add_f64 v[2:3], v[2:3], v[4:5]
	v_mul_f64 v[4:5], v[146:147], v[86:87]
	v_add_f64 v[172:173], v[168:169], v[170:171]
	ds_read_b128 v[168:171], v1 offset:1712
	s_waitcnt lgkmcnt(1)
	v_mul_f64 v[174:175], v[164:165], v[98:99]
	v_fma_f64 v[4:5], v[144:145], v[88:89], -v[4:5]
	v_fmac_f64_e32 v[174:175], v[166:167], v[100:101]
	v_add_f64 v[2:3], v[2:3], v[4:5]
	v_mul_f64 v[4:5], v[150:151], v[82:83]
	v_add_f64 v[176:177], v[172:173], v[174:175]
	ds_read_b128 v[172:175], v1 offset:1728
	v_fma_f64 v[4:5], v[148:149], v[84:85], -v[4:5]
	v_add_f64 v[2:3], v[2:3], v[4:5]
	v_mul_f64 v[4:5], v[154:155], v[94:95]
	v_fma_f64 v[4:5], v[152:153], v[96:97], -v[4:5]
	s_waitcnt vmcnt(22) lgkmcnt(1)
	v_mul_f64 v[178:179], v[168:169], v[110:111]
	v_add_f64 v[2:3], v[2:3], v[4:5]
	v_mul_f64 v[4:5], v[158:159], v[90:91]
	s_waitcnt vmcnt(20)
	v_fmac_f64_e32 v[178:179], v[170:171], v[112:113]
	v_fma_f64 v[4:5], v[156:157], v[92:93], -v[4:5]
	v_add_f64 v[180:181], v[176:177], v[178:179]
	ds_read_b128 v[176:179], v1 offset:1744
	s_waitcnt lgkmcnt(1)
	v_mul_f64 v[182:183], v[172:173], v[106:107]
	v_add_f64 v[2:3], v[2:3], v[4:5]
	v_mul_f64 v[4:5], v[162:163], v[102:103]
	v_fmac_f64_e32 v[182:183], v[174:175], v[108:109]
	v_fma_f64 v[4:5], v[160:161], v[104:105], -v[4:5]
	v_add_f64 v[184:185], v[180:181], v[182:183]
	ds_read_b128 v[180:183], v1 offset:1760
	v_add_f64 v[2:3], v[2:3], v[4:5]
	v_mul_f64 v[4:5], v[166:167], v[98:99]
	v_fma_f64 v[4:5], v[164:165], v[100:101], -v[4:5]
	v_add_f64 v[2:3], v[2:3], v[4:5]
	v_mul_f64 v[4:5], v[170:171], v[110:111]
	s_waitcnt vmcnt(14) lgkmcnt(1)
	v_mul_f64 v[186:187], v[176:177], v[198:199]
	v_fma_f64 v[4:5], v[168:169], v[112:113], -v[4:5]
	s_waitcnt vmcnt(12)
	v_fmac_f64_e32 v[186:187], v[178:179], v[200:201]
	v_add_f64 v[2:3], v[2:3], v[4:5]
	v_mul_f64 v[4:5], v[174:175], v[106:107]
	v_add_f64 v[188:189], v[184:185], v[186:187]
	ds_read_b128 v[184:187], v1 offset:1776
	s_waitcnt lgkmcnt(1)
	v_mul_f64 v[190:191], v[180:181], v[118:119]
	v_fma_f64 v[4:5], v[172:173], v[108:109], -v[4:5]
	v_fmac_f64_e32 v[190:191], v[182:183], v[196:197]
	v_add_f64 v[2:3], v[2:3], v[4:5]
	v_mul_f64 v[4:5], v[178:179], v[198:199]
	v_add_f64 v[214:215], v[188:189], v[190:191]
	ds_read_b128 v[188:191], v1 offset:1792
	v_fma_f64 v[4:5], v[176:177], v[200:201], -v[4:5]
	v_add_f64 v[2:3], v[2:3], v[4:5]
	v_mul_f64 v[4:5], v[182:183], v[118:119]
	ds_read_b128 v[192:195], v1 offset:1808
	v_fma_f64 v[4:5], v[180:181], v[196:197], -v[4:5]
	v_add_f64 v[2:3], v[2:3], v[4:5]
	s_waitcnt vmcnt(6) lgkmcnt(2)
	v_mul_f64 v[4:5], v[186:187], v[206:207]
	v_mul_f64 v[216:217], v[184:185], v[206:207]
	s_waitcnt vmcnt(4)
	v_fma_f64 v[4:5], v[184:185], v[208:209], -v[4:5]
	v_fmac_f64_e32 v[216:217], v[186:187], v[208:209]
	v_add_f64 v[2:3], v[2:3], v[4:5]
	s_waitcnt lgkmcnt(1)
	v_mul_f64 v[4:5], v[190:191], v[202:203]
	v_add_f64 v[214:215], v[214:215], v[216:217]
	v_mul_f64 v[216:217], v[188:189], v[202:203]
	v_fma_f64 v[4:5], v[188:189], v[204:205], -v[4:5]
	v_fmac_f64_e32 v[216:217], v[190:191], v[204:205]
	v_add_f64 v[2:3], v[2:3], v[4:5]
	s_waitcnt vmcnt(2) lgkmcnt(0)
	v_mul_f64 v[4:5], v[194:195], v[210:211]
	v_add_f64 v[214:215], v[214:215], v[216:217]
	v_mul_f64 v[216:217], v[192:193], v[210:211]
	s_waitcnt vmcnt(0)
	v_fma_f64 v[4:5], v[192:193], v[212:213], -v[4:5]
	v_fmac_f64_e32 v[216:217], v[194:195], v[212:213]
	v_add_f64 v[2:3], v[2:3], v[4:5]
	v_add_f64 v[214:215], v[214:215], v[216:217]
	v_add_f64 v[2:3], v[36:37], -v[2:3]
	v_add_f64 v[4:5], v[34:35], -v[214:215]
	buffer_store_dword v3, off, s[0:3], 0 offset:500
	buffer_store_dword v2, off, s[0:3], 0 offset:496
	;; [unrolled: 1-line block ×4, first 2 shown]
	s_and_saveexec_b64 s[4:5], vcc
	s_cbranch_execz .LBB120_297
; %bb.296:
	v_accvgpr_read_b32 v0, a141
	buffer_load_dword v2, v0, s[0:3], 0 offen
	buffer_load_dword v3, v0, s[0:3], 0 offen offset:4
	buffer_load_dword v4, v0, s[0:3], 0 offen offset:8
	;; [unrolled: 1-line block ×3, first 2 shown]
	v_mov_b32_e32 v0, 0
	v_accvgpr_read_b32 v1, a171
	buffer_store_dword v0, off, s[0:3], 0 offset:480
	buffer_store_dword v0, off, s[0:3], 0 offset:484
	;; [unrolled: 1-line block ×4, first 2 shown]
	s_waitcnt vmcnt(4)
	ds_write_b128 v1, v[2:5]
.LBB120_297:
	s_or_b64 exec, exec, s[4:5]
	s_waitcnt lgkmcnt(0)
	; wave barrier
	s_waitcnt lgkmcnt(0)
	buffer_load_dword v30, off, s[0:3], 0 offset:496
	buffer_load_dword v31, off, s[0:3], 0 offset:500
	;; [unrolled: 1-line block ×56, first 2 shown]
	v_mov_b32_e32 v1, 0
	ds_read_b128 v[26:29], v1 offset:1392
	ds_read_b128 v[22:25], v1 offset:1408
	;; [unrolled: 1-line block ×7, first 2 shown]
	v_cmp_lt_u32_e32 vcc, 28, v254
	s_waitcnt vmcnt(52) lgkmcnt(6)
	v_mul_f64 v[86:87], v[26:27], v[34:35]
	v_fmac_f64_e32 v[86:87], v[28:29], v[30:31]
	v_add_f64 v[86:87], v[86:87], 0
	v_mul_f64 v[28:29], v[28:29], v[34:35]
	s_waitcnt vmcnt(48) lgkmcnt(5)
	v_mul_f64 v[88:89], v[22:23], v[36:37]
	v_fmac_f64_e32 v[88:89], v[24:25], v[32:33]
	s_waitcnt vmcnt(46) lgkmcnt(4)
	v_mul_f64 v[90:91], v[18:19], v[38:39]
	v_add_f64 v[86:87], v[86:87], v[88:89]
	s_waitcnt vmcnt(44) lgkmcnt(2)
	v_mul_f64 v[94:95], v[10:11], v[40:41]
	v_fma_f64 v[26:27], v[26:27], v[30:31], -v[28:29]
	s_waitcnt vmcnt(42)
	v_fmac_f64_e32 v[94:95], v[12:13], v[42:43]
	v_mul_f64 v[24:25], v[24:25], v[36:37]
	s_waitcnt vmcnt(40)
	v_mul_f64 v[92:93], v[14:15], v[48:49]
	v_add_f64 v[26:27], v[26:27], 0
	v_fma_f64 v[22:23], v[22:23], v[32:33], -v[24:25]
	v_add_f64 v[22:23], v[26:27], v[22:23]
	s_waitcnt vmcnt(36) lgkmcnt(1)
	v_mul_f64 v[110:111], v[6:7], v[54:55]
	v_mul_f64 v[12:13], v[12:13], v[40:41]
	s_waitcnt vmcnt(34)
	v_fmac_f64_e32 v[90:91], v[20:21], v[60:61]
	v_add_f64 v[86:87], v[86:87], v[90:91]
	s_waitcnt vmcnt(32)
	v_fmac_f64_e32 v[92:93], v[16:17], v[58:59]
	v_add_f64 v[86:87], v[86:87], v[92:93]
	v_add_f64 v[116:117], v[86:87], v[94:95]
	buffer_load_dword v87, off, s[0:3], 0 offset:732
	buffer_load_dword v86, off, s[0:3], 0 offset:728
	;; [unrolled: 1-line block ×56, first 2 shown]
	ds_read_b128 v[126:129], v1 offset:1504
	ds_read_b128 v[130:133], v1 offset:1520
	v_mul_f64 v[20:21], v[20:21], v[38:39]
	v_fma_f64 v[18:19], v[18:19], v[60:61], -v[20:21]
	v_mul_f64 v[16:17], v[16:17], v[48:49]
	s_waitcnt vmcnt(62)
	v_fmac_f64_e32 v[110:111], v[8:9], v[56:57]
	v_add_f64 v[18:19], v[22:23], v[18:19]
	v_fma_f64 v[14:15], v[14:15], v[58:59], -v[16:17]
	v_add_f64 v[110:111], v[116:117], v[110:111]
	s_waitcnt lgkmcnt(2)
	v_mul_f64 v[116:117], v[2:3], v[50:51]
	v_add_f64 v[14:15], v[18:19], v[14:15]
	v_fma_f64 v[10:11], v[10:11], v[42:43], -v[12:13]
	v_mul_f64 v[8:9], v[8:9], v[54:55]
	v_fmac_f64_e32 v[116:117], v[4:5], v[52:53]
	ds_read_b128 v[134:137], v1 offset:1536
	ds_read_b128 v[138:141], v1 offset:1552
	v_add_f64 v[10:11], v[14:15], v[10:11]
	v_fma_f64 v[6:7], v[6:7], v[56:57], -v[8:9]
	v_mul_f64 v[4:5], v[4:5], v[50:51]
	v_add_f64 v[6:7], v[10:11], v[6:7]
	v_fma_f64 v[2:3], v[2:3], v[52:53], -v[4:5]
	s_waitcnt lgkmcnt(3)
	v_mul_f64 v[4:5], v[128:129], v[66:67]
	v_add_f64 v[110:111], v[110:111], v[116:117]
	v_mul_f64 v[116:117], v[126:127], v[66:67]
	v_add_f64 v[2:3], v[6:7], v[2:3]
	v_fma_f64 v[4:5], v[126:127], v[68:69], -v[4:5]
	v_fmac_f64_e32 v[116:117], v[128:129], v[68:69]
	v_add_f64 v[2:3], v[2:3], v[4:5]
	s_waitcnt lgkmcnt(2)
	v_mul_f64 v[4:5], v[132:133], v[62:63]
	v_add_f64 v[110:111], v[110:111], v[116:117]
	v_mul_f64 v[116:117], v[130:131], v[62:63]
	ds_read_b128 v[142:145], v1 offset:1568
	ds_read_b128 v[146:149], v1 offset:1584
	v_fma_f64 v[4:5], v[130:131], v[64:65], -v[4:5]
	v_fmac_f64_e32 v[116:117], v[132:133], v[64:65]
	v_add_f64 v[2:3], v[2:3], v[4:5]
	s_waitcnt lgkmcnt(3)
	v_mul_f64 v[4:5], v[136:137], v[74:75]
	v_add_f64 v[110:111], v[110:111], v[116:117]
	v_mul_f64 v[116:117], v[134:135], v[74:75]
	v_fma_f64 v[4:5], v[134:135], v[76:77], -v[4:5]
	v_fmac_f64_e32 v[116:117], v[136:137], v[76:77]
	v_add_f64 v[2:3], v[2:3], v[4:5]
	s_waitcnt lgkmcnt(2)
	v_mul_f64 v[4:5], v[140:141], v[70:71]
	v_add_f64 v[110:111], v[110:111], v[116:117]
	v_mul_f64 v[116:117], v[138:139], v[70:71]
	ds_read_b128 v[150:153], v1 offset:1600
	ds_read_b128 v[154:157], v1 offset:1616
	v_fma_f64 v[4:5], v[138:139], v[72:73], -v[4:5]
	v_fmac_f64_e32 v[116:117], v[140:141], v[72:73]
	v_add_f64 v[2:3], v[2:3], v[4:5]
	s_waitcnt vmcnt(58) lgkmcnt(3)
	v_mul_f64 v[4:5], v[144:145], v[82:83]
	v_add_f64 v[110:111], v[110:111], v[116:117]
	v_mul_f64 v[116:117], v[142:143], v[82:83]
	s_waitcnt vmcnt(56)
	v_fma_f64 v[4:5], v[142:143], v[84:85], -v[4:5]
	v_fmac_f64_e32 v[116:117], v[144:145], v[84:85]
	v_add_f64 v[2:3], v[2:3], v[4:5]
	s_waitcnt lgkmcnt(2)
	v_mul_f64 v[4:5], v[148:149], v[78:79]
	v_add_f64 v[110:111], v[110:111], v[116:117]
	v_mul_f64 v[116:117], v[146:147], v[78:79]
	ds_read_b128 v[158:161], v1 offset:1632
	ds_read_b128 v[162:165], v1 offset:1648
	v_fma_f64 v[4:5], v[146:147], v[80:81], -v[4:5]
	v_fmac_f64_e32 v[116:117], v[148:149], v[80:81]
	v_add_f64 v[2:3], v[2:3], v[4:5]
	s_waitcnt vmcnt(50) lgkmcnt(3)
	v_mul_f64 v[4:5], v[152:153], v[90:91]
	v_add_f64 v[110:111], v[110:111], v[116:117]
	v_mul_f64 v[116:117], v[150:151], v[90:91]
	s_waitcnt vmcnt(48)
	;; [unrolled: 17-line block ×7, first 2 shown]
	v_fma_f64 v[4:5], v[190:191], v[216:217], -v[4:5]
	v_fmac_f64_e32 v[116:117], v[192:193], v[216:217]
	v_add_f64 v[2:3], v[2:3], v[4:5]
	s_waitcnt lgkmcnt(2)
	v_mul_f64 v[4:5], v[196:197], v[210:211]
	v_add_f64 v[110:111], v[110:111], v[116:117]
	v_mul_f64 v[116:117], v[194:195], v[210:211]
	v_fma_f64 v[4:5], v[194:195], v[212:213], -v[4:5]
	v_fmac_f64_e32 v[116:117], v[196:197], v[212:213]
	v_add_f64 v[2:3], v[2:3], v[4:5]
	s_waitcnt vmcnt(2) lgkmcnt(1)
	v_mul_f64 v[4:5], v[200:201], v[222:223]
	v_add_f64 v[110:111], v[110:111], v[116:117]
	v_mul_f64 v[116:117], v[198:199], v[222:223]
	s_waitcnt vmcnt(0)
	v_fma_f64 v[4:5], v[198:199], v[224:225], -v[4:5]
	v_fmac_f64_e32 v[116:117], v[200:201], v[224:225]
	v_add_f64 v[2:3], v[2:3], v[4:5]
	s_waitcnt lgkmcnt(0)
	v_mul_f64 v[4:5], v[204:205], v[218:219]
	v_add_f64 v[110:111], v[110:111], v[116:117]
	v_mul_f64 v[116:117], v[202:203], v[218:219]
	v_fma_f64 v[4:5], v[202:203], v[220:221], -v[4:5]
	v_fmac_f64_e32 v[116:117], v[204:205], v[220:221]
	v_add_f64 v[2:3], v[2:3], v[4:5]
	v_add_f64 v[110:111], v[110:111], v[116:117]
	v_add_f64 v[2:3], v[46:47], -v[2:3]
	v_add_f64 v[4:5], v[44:45], -v[110:111]
	buffer_store_dword v3, off, s[0:3], 0 offset:484
	buffer_store_dword v2, off, s[0:3], 0 offset:480
	;; [unrolled: 1-line block ×4, first 2 shown]
	s_and_saveexec_b64 s[4:5], vcc
	s_cbranch_execz .LBB120_299
; %bb.298:
	v_accvgpr_read_b32 v0, a142
	buffer_load_dword v2, v0, s[0:3], 0 offen
	buffer_load_dword v3, v0, s[0:3], 0 offen offset:4
	buffer_load_dword v4, v0, s[0:3], 0 offen offset:8
	;; [unrolled: 1-line block ×3, first 2 shown]
	v_accvgpr_read_b32 v0, a171
	buffer_store_dword v1, off, s[0:3], 0 offset:464
	buffer_store_dword v1, off, s[0:3], 0 offset:468
	;; [unrolled: 1-line block ×4, first 2 shown]
	s_waitcnt vmcnt(4)
	ds_write_b128 v0, v[2:5]
.LBB120_299:
	s_or_b64 exec, exec, s[4:5]
	s_waitcnt lgkmcnt(0)
	; wave barrier
	s_waitcnt lgkmcnt(0)
	buffer_load_dword v34, off, s[0:3], 0 offset:480
	buffer_load_dword v35, off, s[0:3], 0 offset:484
	;; [unrolled: 1-line block ×32, first 2 shown]
	ds_read_b128 v[30:33], v1 offset:1376
	ds_read_b128 v[26:29], v1 offset:1392
	;; [unrolled: 1-line block ×8, first 2 shown]
	buffer_load_dword v67, off, s[0:3], 0 offset:620
	buffer_load_dword v66, off, s[0:3], 0 offset:616
	;; [unrolled: 1-line block ×24, first 2 shown]
	v_cmp_lt_u32_e32 vcc, 27, v254
	s_waitcnt vmcnt(52) lgkmcnt(7)
	v_mul_f64 v[90:91], v[30:31], v[38:39]
	v_fmac_f64_e32 v[90:91], v[32:33], v[34:35]
	v_add_f64 v[90:91], v[90:91], 0
	v_mul_f64 v[32:33], v[32:33], v[38:39]
	s_waitcnt vmcnt(48) lgkmcnt(6)
	v_mul_f64 v[92:93], v[26:27], v[40:41]
	v_fmac_f64_e32 v[92:93], v[28:29], v[36:37]
	s_waitcnt vmcnt(46) lgkmcnt(5)
	v_mul_f64 v[94:95], v[22:23], v[42:43]
	v_add_f64 v[90:91], v[90:91], v[92:93]
	s_waitcnt vmcnt(44) lgkmcnt(4)
	v_mul_f64 v[96:97], v[18:19], v[48:49]
	v_fma_f64 v[30:31], v[30:31], v[34:35], -v[32:33]
	s_waitcnt vmcnt(42) lgkmcnt(1)
	v_mul_f64 v[124:125], v[2:3], v[50:51]
	v_mul_f64 v[28:29], v[28:29], v[40:41]
	s_waitcnt vmcnt(18) lgkmcnt(0)
	v_mul_f64 v[138:139], v[14:15], v[70:71]
	v_mul_f64 v[100:101], v[6:7], v[54:55]
	s_waitcnt vmcnt(16)
	v_fmac_f64_e32 v[138:139], v[16:17], v[72:73]
	v_mul_f64 v[98:99], v[10:11], v[56:57]
	v_add_f64 v[30:31], v[30:31], 0
	v_fmac_f64_e32 v[98:99], v[12:13], v[58:59]
	v_fma_f64 v[26:27], v[26:27], v[36:37], -v[28:29]
	v_fmac_f64_e32 v[94:95], v[24:25], v[64:65]
	v_add_f64 v[90:91], v[90:91], v[94:95]
	v_fmac_f64_e32 v[96:97], v[20:21], v[62:63]
	v_add_f64 v[90:91], v[90:91], v[96:97]
	;; [unrolled: 2-line block ×3, first 2 shown]
	v_add_f64 v[126:127], v[90:91], v[100:101]
	buffer_load_dword v91, off, s[0:3], 0 offset:716
	buffer_load_dword v90, off, s[0:3], 0 offset:712
	;; [unrolled: 1-line block ×56, first 2 shown]
	v_fmac_f64_e32 v[124:125], v[4:5], v[52:53]
	v_add_f64 v[136:137], v[126:127], v[124:125]
	ds_read_b128 v[124:127], v1 offset:1504
	buffer_load_dword v227, off, s[0:3], 0 offset:924
	buffer_load_dword v226, off, s[0:3], 0 offset:920
	;; [unrolled: 1-line block ×4, first 2 shown]
	v_add_f64 v[140:141], v[136:137], v[138:139]
	ds_read_b128 v[136:139], v1 offset:1520
	v_mul_f64 v[24:25], v[24:25], v[42:43]
	s_waitcnt lgkmcnt(1)
	v_mul_f64 v[142:143], v[124:125], v[66:67]
	v_fmac_f64_e32 v[142:143], v[126:127], v[68:69]
	v_add_f64 v[144:145], v[140:141], v[142:143]
	ds_read_b128 v[140:143], v1 offset:1536
	s_waitcnt vmcnt(62) lgkmcnt(1)
	v_mul_f64 v[146:147], v[136:137], v[78:79]
	v_fmac_f64_e32 v[146:147], v[138:139], v[80:81]
	v_add_f64 v[148:149], v[144:145], v[146:147]
	ds_read_b128 v[144:147], v1 offset:1552
	s_waitcnt lgkmcnt(1)
	v_mul_f64 v[150:151], v[140:141], v[74:75]
	v_fmac_f64_e32 v[150:151], v[142:143], v[76:77]
	v_add_f64 v[152:153], v[148:149], v[150:151]
	ds_read_b128 v[148:151], v1 offset:1568
	s_waitcnt lgkmcnt(1)
	v_mul_f64 v[154:155], v[144:145], v[86:87]
	s_waitcnt vmcnt(60)
	v_fmac_f64_e32 v[154:155], v[146:147], v[88:89]
	v_add_f64 v[156:157], v[152:153], v[154:155]
	ds_read_b128 v[152:155], v1 offset:1584
	s_waitcnt lgkmcnt(1)
	v_mul_f64 v[158:159], v[148:149], v[82:83]
	v_fmac_f64_e32 v[158:159], v[150:151], v[84:85]
	v_add_f64 v[160:161], v[156:157], v[158:159]
	ds_read_b128 v[156:159], v1 offset:1600
	v_add_f64 v[26:27], v[30:31], v[26:27]
	v_fma_f64 v[22:23], v[22:23], v[64:65], -v[24:25]
	s_waitcnt vmcnt(54) lgkmcnt(1)
	v_mul_f64 v[162:163], v[152:153], v[94:95]
	v_mul_f64 v[20:21], v[20:21], v[48:49]
	s_waitcnt vmcnt(52)
	v_fmac_f64_e32 v[162:163], v[154:155], v[96:97]
	v_add_f64 v[164:165], v[160:161], v[162:163]
	ds_read_b128 v[160:163], v1 offset:1616
	s_waitcnt lgkmcnt(1)
	v_mul_f64 v[166:167], v[156:157], v[90:91]
	v_fmac_f64_e32 v[166:167], v[158:159], v[92:93]
	v_add_f64 v[22:23], v[26:27], v[22:23]
	v_fma_f64 v[18:19], v[18:19], v[62:63], -v[20:21]
	v_mul_f64 v[12:13], v[12:13], v[56:57]
	v_add_f64 v[168:169], v[164:165], v[166:167]
	ds_read_b128 v[164:167], v1 offset:1632
	v_add_f64 v[18:19], v[22:23], v[18:19]
	v_fma_f64 v[10:11], v[10:11], v[58:59], -v[12:13]
	v_mul_f64 v[8:9], v[8:9], v[54:55]
	v_add_f64 v[10:11], v[18:19], v[10:11]
	v_fma_f64 v[6:7], v[6:7], v[60:61], -v[8:9]
	v_mul_f64 v[4:5], v[4:5], v[50:51]
	;; [unrolled: 3-line block ×3, first 2 shown]
	s_waitcnt vmcnt(46) lgkmcnt(1)
	v_mul_f64 v[170:171], v[160:161], v[102:103]
	v_add_f64 v[2:3], v[6:7], v[2:3]
	v_fma_f64 v[4:5], v[14:15], v[72:73], -v[4:5]
	s_waitcnt vmcnt(44)
	v_fmac_f64_e32 v[170:171], v[162:163], v[104:105]
	v_add_f64 v[2:3], v[2:3], v[4:5]
	v_mul_f64 v[4:5], v[126:127], v[66:67]
	v_add_f64 v[172:173], v[168:169], v[170:171]
	ds_read_b128 v[168:171], v1 offset:1648
	s_waitcnt lgkmcnt(1)
	v_mul_f64 v[174:175], v[164:165], v[98:99]
	v_fma_f64 v[4:5], v[124:125], v[68:69], -v[4:5]
	v_fmac_f64_e32 v[174:175], v[166:167], v[100:101]
	v_add_f64 v[2:3], v[2:3], v[4:5]
	v_mul_f64 v[4:5], v[138:139], v[78:79]
	v_add_f64 v[176:177], v[172:173], v[174:175]
	ds_read_b128 v[172:175], v1 offset:1664
	v_fma_f64 v[4:5], v[136:137], v[80:81], -v[4:5]
	v_add_f64 v[2:3], v[2:3], v[4:5]
	v_mul_f64 v[4:5], v[142:143], v[74:75]
	v_fma_f64 v[4:5], v[140:141], v[76:77], -v[4:5]
	s_waitcnt vmcnt(38) lgkmcnt(1)
	v_mul_f64 v[178:179], v[168:169], v[110:111]
	v_add_f64 v[2:3], v[2:3], v[4:5]
	v_mul_f64 v[4:5], v[146:147], v[86:87]
	s_waitcnt vmcnt(36)
	v_fmac_f64_e32 v[178:179], v[170:171], v[112:113]
	v_fma_f64 v[4:5], v[144:145], v[88:89], -v[4:5]
	v_add_f64 v[180:181], v[176:177], v[178:179]
	ds_read_b128 v[176:179], v1 offset:1680
	s_waitcnt lgkmcnt(1)
	v_mul_f64 v[182:183], v[172:173], v[106:107]
	v_add_f64 v[2:3], v[2:3], v[4:5]
	v_mul_f64 v[4:5], v[150:151], v[82:83]
	v_fmac_f64_e32 v[182:183], v[174:175], v[108:109]
	v_fma_f64 v[4:5], v[148:149], v[84:85], -v[4:5]
	v_add_f64 v[184:185], v[180:181], v[182:183]
	ds_read_b128 v[180:183], v1 offset:1696
	v_add_f64 v[2:3], v[2:3], v[4:5]
	v_mul_f64 v[4:5], v[154:155], v[94:95]
	v_fma_f64 v[4:5], v[152:153], v[96:97], -v[4:5]
	v_add_f64 v[2:3], v[2:3], v[4:5]
	v_mul_f64 v[4:5], v[158:159], v[90:91]
	s_waitcnt vmcnt(30) lgkmcnt(1)
	v_mul_f64 v[186:187], v[176:177], v[120:121]
	v_fma_f64 v[4:5], v[156:157], v[92:93], -v[4:5]
	s_waitcnt vmcnt(28)
	v_fmac_f64_e32 v[186:187], v[178:179], v[122:123]
	v_add_f64 v[2:3], v[2:3], v[4:5]
	v_mul_f64 v[4:5], v[162:163], v[102:103]
	v_add_f64 v[188:189], v[184:185], v[186:187]
	ds_read_b128 v[184:187], v1 offset:1712
	s_waitcnt lgkmcnt(1)
	v_mul_f64 v[190:191], v[180:181], v[114:115]
	v_fma_f64 v[4:5], v[160:161], v[104:105], -v[4:5]
	v_fmac_f64_e32 v[190:191], v[182:183], v[116:117]
	v_add_f64 v[2:3], v[2:3], v[4:5]
	v_mul_f64 v[4:5], v[166:167], v[98:99]
	v_add_f64 v[192:193], v[188:189], v[190:191]
	ds_read_b128 v[188:191], v1 offset:1728
	v_fma_f64 v[4:5], v[164:165], v[100:101], -v[4:5]
	v_add_f64 v[2:3], v[2:3], v[4:5]
	v_mul_f64 v[4:5], v[170:171], v[110:111]
	v_fma_f64 v[4:5], v[168:169], v[112:113], -v[4:5]
	s_waitcnt vmcnt(22) lgkmcnt(1)
	v_mul_f64 v[194:195], v[184:185], v[132:133]
	v_add_f64 v[2:3], v[2:3], v[4:5]
	v_mul_f64 v[4:5], v[174:175], v[106:107]
	s_waitcnt vmcnt(20)
	v_fmac_f64_e32 v[194:195], v[186:187], v[134:135]
	v_fma_f64 v[4:5], v[172:173], v[108:109], -v[4:5]
	v_add_f64 v[196:197], v[192:193], v[194:195]
	ds_read_b128 v[192:195], v1 offset:1744
	s_waitcnt lgkmcnt(1)
	v_mul_f64 v[198:199], v[188:189], v[128:129]
	v_add_f64 v[2:3], v[2:3], v[4:5]
	v_mul_f64 v[4:5], v[178:179], v[120:121]
	v_fmac_f64_e32 v[198:199], v[190:191], v[130:131]
	v_fma_f64 v[4:5], v[176:177], v[122:123], -v[4:5]
	v_add_f64 v[200:201], v[196:197], v[198:199]
	ds_read_b128 v[196:199], v1 offset:1760
	v_add_f64 v[2:3], v[2:3], v[4:5]
	v_mul_f64 v[4:5], v[182:183], v[114:115]
	v_fma_f64 v[4:5], v[180:181], v[116:117], -v[4:5]
	v_add_f64 v[2:3], v[2:3], v[4:5]
	v_mul_f64 v[4:5], v[186:187], v[132:133]
	s_waitcnt vmcnt(14) lgkmcnt(1)
	v_mul_f64 v[202:203], v[192:193], v[214:215]
	v_fma_f64 v[4:5], v[184:185], v[134:135], -v[4:5]
	s_waitcnt vmcnt(12)
	v_fmac_f64_e32 v[202:203], v[194:195], v[216:217]
	v_add_f64 v[2:3], v[2:3], v[4:5]
	v_mul_f64 v[4:5], v[190:191], v[128:129]
	v_add_f64 v[204:205], v[200:201], v[202:203]
	ds_read_b128 v[200:203], v1 offset:1776
	s_waitcnt lgkmcnt(1)
	v_mul_f64 v[206:207], v[196:197], v[118:119]
	v_fma_f64 v[4:5], v[188:189], v[130:131], -v[4:5]
	v_fmac_f64_e32 v[206:207], v[198:199], v[212:213]
	v_add_f64 v[2:3], v[2:3], v[4:5]
	v_mul_f64 v[4:5], v[194:195], v[214:215]
	v_add_f64 v[230:231], v[204:205], v[206:207]
	ds_read_b128 v[204:207], v1 offset:1792
	v_fma_f64 v[4:5], v[192:193], v[216:217], -v[4:5]
	v_add_f64 v[2:3], v[2:3], v[4:5]
	v_mul_f64 v[4:5], v[198:199], v[118:119]
	ds_read_b128 v[208:211], v1 offset:1808
	v_fma_f64 v[4:5], v[196:197], v[212:213], -v[4:5]
	v_add_f64 v[2:3], v[2:3], v[4:5]
	s_waitcnt vmcnt(6) lgkmcnt(2)
	v_mul_f64 v[4:5], v[202:203], v[222:223]
	v_mul_f64 v[232:233], v[200:201], v[222:223]
	s_waitcnt vmcnt(4)
	v_fma_f64 v[4:5], v[200:201], v[224:225], -v[4:5]
	v_fmac_f64_e32 v[232:233], v[202:203], v[224:225]
	v_add_f64 v[2:3], v[2:3], v[4:5]
	s_waitcnt lgkmcnt(1)
	v_mul_f64 v[4:5], v[206:207], v[218:219]
	v_add_f64 v[230:231], v[230:231], v[232:233]
	v_mul_f64 v[232:233], v[204:205], v[218:219]
	v_fma_f64 v[4:5], v[204:205], v[220:221], -v[4:5]
	v_fmac_f64_e32 v[232:233], v[206:207], v[220:221]
	v_add_f64 v[2:3], v[2:3], v[4:5]
	s_waitcnt vmcnt(2) lgkmcnt(0)
	v_mul_f64 v[4:5], v[210:211], v[226:227]
	v_add_f64 v[230:231], v[230:231], v[232:233]
	v_mul_f64 v[232:233], v[208:209], v[226:227]
	s_waitcnt vmcnt(0)
	v_fma_f64 v[4:5], v[208:209], v[228:229], -v[4:5]
	v_fmac_f64_e32 v[232:233], v[210:211], v[228:229]
	v_add_f64 v[2:3], v[2:3], v[4:5]
	v_add_f64 v[230:231], v[230:231], v[232:233]
	v_add_f64 v[2:3], v[46:47], -v[2:3]
	v_add_f64 v[4:5], v[44:45], -v[230:231]
	buffer_store_dword v3, off, s[0:3], 0 offset:468
	buffer_store_dword v2, off, s[0:3], 0 offset:464
	;; [unrolled: 1-line block ×4, first 2 shown]
	s_and_saveexec_b64 s[4:5], vcc
	s_cbranch_execz .LBB120_301
; %bb.300:
	v_accvgpr_read_b32 v0, a143
	buffer_load_dword v2, v0, s[0:3], 0 offen
	buffer_load_dword v3, v0, s[0:3], 0 offen offset:4
	buffer_load_dword v4, v0, s[0:3], 0 offen offset:8
	;; [unrolled: 1-line block ×3, first 2 shown]
	v_mov_b32_e32 v0, 0
	v_accvgpr_read_b32 v1, a171
	buffer_store_dword v0, off, s[0:3], 0 offset:448
	buffer_store_dword v0, off, s[0:3], 0 offset:452
	;; [unrolled: 1-line block ×4, first 2 shown]
	s_waitcnt vmcnt(4)
	ds_write_b128 v1, v[2:5]
.LBB120_301:
	s_or_b64 exec, exec, s[4:5]
	s_waitcnt lgkmcnt(0)
	; wave barrier
	s_waitcnt lgkmcnt(0)
	buffer_load_dword v38, off, s[0:3], 0 offset:464
	buffer_load_dword v39, off, s[0:3], 0 offset:468
	;; [unrolled: 1-line block ×48, first 2 shown]
	v_mov_b32_e32 v1, 0
	ds_read_b128 v[34:37], v1 offset:1360
	ds_read_b128 v[30:33], v1 offset:1376
	;; [unrolled: 1-line block ×9, first 2 shown]
	v_cmp_lt_u32_e32 vcc, 26, v254
	s_waitcnt vmcnt(44) lgkmcnt(8)
	v_mul_f64 v[86:87], v[34:35], v[42:43]
	v_fmac_f64_e32 v[86:87], v[36:37], v[38:39]
	v_add_f64 v[86:87], v[86:87], 0
	v_mul_f64 v[36:37], v[36:37], v[42:43]
	s_waitcnt vmcnt(40) lgkmcnt(7)
	v_mul_f64 v[88:89], v[30:31], v[44:45]
	v_fmac_f64_e32 v[88:89], v[32:33], v[40:41]
	s_waitcnt vmcnt(38) lgkmcnt(6)
	v_mul_f64 v[90:91], v[26:27], v[46:47]
	v_add_f64 v[86:87], v[86:87], v[88:89]
	s_waitcnt vmcnt(36) lgkmcnt(4)
	v_mul_f64 v[94:95], v[18:19], v[48:49]
	v_fma_f64 v[34:35], v[34:35], v[38:39], -v[36:37]
	s_waitcnt vmcnt(34)
	v_fmac_f64_e32 v[94:95], v[20:21], v[50:51]
	v_mul_f64 v[32:33], v[32:33], v[44:45]
	s_waitcnt vmcnt(32)
	v_mul_f64 v[92:93], v[22:23], v[52:53]
	v_add_f64 v[34:35], v[34:35], 0
	s_waitcnt vmcnt(30) lgkmcnt(2)
	v_mul_f64 v[98:99], v[10:11], v[54:55]
	v_fma_f64 v[30:31], v[30:31], v[40:41], -v[32:33]
	s_waitcnt vmcnt(28)
	v_fmac_f64_e32 v[98:99], v[12:13], v[56:57]
	v_add_f64 v[30:31], v[34:35], v[30:31]
	s_waitcnt vmcnt(26)
	v_mul_f64 v[96:97], v[14:15], v[58:59]
	v_mul_f64 v[20:21], v[20:21], v[48:49]
	v_fma_f64 v[18:19], v[18:19], v[50:51], -v[20:21]
	v_mul_f64 v[12:13], v[12:13], v[54:55]
	s_waitcnt vmcnt(22) lgkmcnt(1)
	v_mul_f64 v[110:111], v[6:7], v[68:69]
	v_fma_f64 v[10:11], v[10:11], v[56:57], -v[12:13]
	s_waitcnt vmcnt(20)
	v_fmac_f64_e32 v[90:91], v[28:29], v[76:77]
	v_add_f64 v[86:87], v[86:87], v[90:91]
	s_waitcnt vmcnt(18)
	v_fmac_f64_e32 v[92:93], v[24:25], v[74:75]
	v_add_f64 v[86:87], v[86:87], v[92:93]
	;; [unrolled: 3-line block ×3, first 2 shown]
	v_add_f64 v[86:87], v[86:87], v[96:97]
	v_add_f64 v[112:113], v[86:87], v[98:99]
	buffer_load_dword v87, off, s[0:3], 0 offset:668
	buffer_load_dword v86, off, s[0:3], 0 offset:664
	;; [unrolled: 1-line block ×72, first 2 shown]
	s_waitcnt vmcnt(62)
	v_fmac_f64_e32 v[110:111], v[8:9], v[70:71]
	v_add_f64 v[144:145], v[112:113], v[110:111]
	ds_read_b128 v[110:113], v1 offset:1504
	s_waitcnt lgkmcnt(1)
	v_mul_f64 v[146:147], v[2:3], v[64:65]
	v_fmac_f64_e32 v[146:147], v[4:5], v[66:67]
	v_add_f64 v[148:149], v[144:145], v[146:147]
	ds_read_b128 v[144:147], v1 offset:1520
	s_waitcnt lgkmcnt(1)
	v_mul_f64 v[150:151], v[110:111], v[82:83]
	;; [unrolled: 5-line block ×5, first 2 shown]
	v_fmac_f64_e32 v[162:163], v[154:155], v[88:89]
	v_add_f64 v[164:165], v[160:161], v[162:163]
	ds_read_b128 v[160:163], v1 offset:1584
	s_waitcnt vmcnt(58) lgkmcnt(1)
	v_mul_f64 v[166:167], v[156:157], v[98:99]
	s_waitcnt vmcnt(56)
	v_fmac_f64_e32 v[166:167], v[158:159], v[100:101]
	v_add_f64 v[168:169], v[164:165], v[166:167]
	ds_read_b128 v[164:167], v1 offset:1600
	s_waitcnt lgkmcnt(1)
	v_mul_f64 v[170:171], v[160:161], v[94:95]
	v_fmac_f64_e32 v[170:171], v[162:163], v[96:97]
	v_mul_f64 v[28:29], v[28:29], v[46:47]
	v_add_f64 v[172:173], v[168:169], v[170:171]
	ds_read_b128 v[168:171], v1 offset:1616
	s_waitcnt vmcnt(50) lgkmcnt(1)
	v_mul_f64 v[174:175], v[164:165], v[106:107]
	v_fma_f64 v[26:27], v[26:27], v[76:77], -v[28:29]
	v_mul_f64 v[24:25], v[24:25], v[52:53]
	s_waitcnt vmcnt(48)
	v_fmac_f64_e32 v[174:175], v[166:167], v[108:109]
	v_add_f64 v[26:27], v[30:31], v[26:27]
	v_fma_f64 v[22:23], v[22:23], v[74:75], -v[24:25]
	v_add_f64 v[176:177], v[172:173], v[174:175]
	ds_read_b128 v[172:175], v1 offset:1632
	v_add_f64 v[22:23], v[26:27], v[22:23]
	v_mul_f64 v[16:17], v[16:17], v[58:59]
	v_add_f64 v[18:19], v[22:23], v[18:19]
	v_fma_f64 v[14:15], v[14:15], v[72:73], -v[16:17]
	v_add_f64 v[14:15], v[18:19], v[14:15]
	v_mul_f64 v[8:9], v[8:9], v[68:69]
	s_waitcnt lgkmcnt(1)
	v_mul_f64 v[178:179], v[168:169], v[102:103]
	v_add_f64 v[10:11], v[14:15], v[10:11]
	v_fma_f64 v[6:7], v[6:7], v[70:71], -v[8:9]
	v_mul_f64 v[4:5], v[4:5], v[64:65]
	v_fmac_f64_e32 v[178:179], v[170:171], v[104:105]
	v_add_f64 v[6:7], v[10:11], v[6:7]
	v_fma_f64 v[2:3], v[2:3], v[66:67], -v[4:5]
	v_mul_f64 v[4:5], v[112:113], v[82:83]
	v_add_f64 v[180:181], v[176:177], v[178:179]
	ds_read_b128 v[176:179], v1 offset:1648
	s_waitcnt vmcnt(42) lgkmcnt(1)
	v_mul_f64 v[182:183], v[172:173], v[120:121]
	v_add_f64 v[2:3], v[6:7], v[2:3]
	v_fma_f64 v[4:5], v[110:111], v[84:85], -v[4:5]
	s_waitcnt vmcnt(40)
	v_fmac_f64_e32 v[182:183], v[174:175], v[122:123]
	v_add_f64 v[2:3], v[2:3], v[4:5]
	v_mul_f64 v[4:5], v[146:147], v[78:79]
	v_add_f64 v[184:185], v[180:181], v[182:183]
	ds_read_b128 v[180:183], v1 offset:1664
	v_fma_f64 v[4:5], v[144:145], v[80:81], -v[4:5]
	v_add_f64 v[2:3], v[2:3], v[4:5]
	v_mul_f64 v[4:5], v[150:151], v[90:91]
	v_fma_f64 v[4:5], v[148:149], v[92:93], -v[4:5]
	s_waitcnt lgkmcnt(1)
	v_mul_f64 v[186:187], v[176:177], v[114:115]
	v_add_f64 v[2:3], v[2:3], v[4:5]
	v_mul_f64 v[4:5], v[154:155], v[86:87]
	v_fmac_f64_e32 v[186:187], v[178:179], v[116:117]
	v_fma_f64 v[4:5], v[152:153], v[88:89], -v[4:5]
	v_add_f64 v[188:189], v[184:185], v[186:187]
	ds_read_b128 v[184:187], v1 offset:1680
	s_waitcnt vmcnt(34) lgkmcnt(1)
	v_mul_f64 v[190:191], v[180:181], v[128:129]
	v_add_f64 v[2:3], v[2:3], v[4:5]
	v_mul_f64 v[4:5], v[158:159], v[98:99]
	s_waitcnt vmcnt(32)
	v_fmac_f64_e32 v[190:191], v[182:183], v[130:131]
	v_fma_f64 v[4:5], v[156:157], v[100:101], -v[4:5]
	v_add_f64 v[192:193], v[188:189], v[190:191]
	ds_read_b128 v[188:191], v1 offset:1696
	v_add_f64 v[2:3], v[2:3], v[4:5]
	v_mul_f64 v[4:5], v[162:163], v[94:95]
	v_fma_f64 v[4:5], v[160:161], v[96:97], -v[4:5]
	v_add_f64 v[2:3], v[2:3], v[4:5]
	v_mul_f64 v[4:5], v[166:167], v[106:107]
	s_waitcnt lgkmcnt(1)
	v_mul_f64 v[194:195], v[184:185], v[124:125]
	v_fma_f64 v[4:5], v[164:165], v[108:109], -v[4:5]
	v_fmac_f64_e32 v[194:195], v[186:187], v[126:127]
	v_add_f64 v[2:3], v[2:3], v[4:5]
	v_mul_f64 v[4:5], v[170:171], v[102:103]
	v_add_f64 v[196:197], v[192:193], v[194:195]
	ds_read_b128 v[192:195], v1 offset:1712
	s_waitcnt vmcnt(26) lgkmcnt(1)
	v_mul_f64 v[198:199], v[188:189], v[136:137]
	v_fma_f64 v[4:5], v[168:169], v[104:105], -v[4:5]
	s_waitcnt vmcnt(24)
	v_fmac_f64_e32 v[198:199], v[190:191], v[138:139]
	v_add_f64 v[2:3], v[2:3], v[4:5]
	v_mul_f64 v[4:5], v[174:175], v[120:121]
	v_add_f64 v[200:201], v[196:197], v[198:199]
	ds_read_b128 v[196:199], v1 offset:1728
	v_fma_f64 v[4:5], v[172:173], v[122:123], -v[4:5]
	v_add_f64 v[2:3], v[2:3], v[4:5]
	v_mul_f64 v[4:5], v[178:179], v[114:115]
	v_fma_f64 v[4:5], v[176:177], v[116:117], -v[4:5]
	s_waitcnt lgkmcnt(1)
	v_mul_f64 v[202:203], v[192:193], v[132:133]
	v_add_f64 v[2:3], v[2:3], v[4:5]
	v_mul_f64 v[4:5], v[182:183], v[128:129]
	v_fmac_f64_e32 v[202:203], v[194:195], v[134:135]
	v_fma_f64 v[4:5], v[180:181], v[130:131], -v[4:5]
	v_add_f64 v[204:205], v[200:201], v[202:203]
	ds_read_b128 v[200:203], v1 offset:1744
	s_waitcnt vmcnt(18) lgkmcnt(1)
	v_mul_f64 v[206:207], v[196:197], v[118:119]
	v_add_f64 v[2:3], v[2:3], v[4:5]
	v_mul_f64 v[4:5], v[186:187], v[124:125]
	s_waitcnt vmcnt(16)
	v_fmac_f64_e32 v[206:207], v[198:199], v[220:221]
	v_fma_f64 v[4:5], v[184:185], v[126:127], -v[4:5]
	v_add_f64 v[208:209], v[204:205], v[206:207]
	ds_read_b128 v[204:207], v1 offset:1760
	v_add_f64 v[2:3], v[2:3], v[4:5]
	v_mul_f64 v[4:5], v[190:191], v[136:137]
	v_fma_f64 v[4:5], v[188:189], v[138:139], -v[4:5]
	v_add_f64 v[2:3], v[2:3], v[4:5]
	v_mul_f64 v[4:5], v[194:195], v[132:133]
	s_waitcnt lgkmcnt(1)
	v_mul_f64 v[210:211], v[200:201], v[140:141]
	v_fma_f64 v[4:5], v[192:193], v[134:135], -v[4:5]
	v_fmac_f64_e32 v[210:211], v[202:203], v[142:143]
	v_add_f64 v[2:3], v[2:3], v[4:5]
	v_mul_f64 v[4:5], v[198:199], v[118:119]
	v_add_f64 v[212:213], v[208:209], v[210:211]
	ds_read_b128 v[208:211], v1 offset:1776
	s_waitcnt vmcnt(10) lgkmcnt(1)
	v_mul_f64 v[214:215], v[204:205], v[226:227]
	v_fma_f64 v[4:5], v[196:197], v[220:221], -v[4:5]
	s_waitcnt vmcnt(8)
	v_fmac_f64_e32 v[214:215], v[206:207], v[228:229]
	v_add_f64 v[2:3], v[2:3], v[4:5]
	v_mul_f64 v[4:5], v[202:203], v[140:141]
	v_add_f64 v[238:239], v[212:213], v[214:215]
	ds_read_b128 v[212:215], v1 offset:1792
	ds_read_b128 v[216:219], v1 offset:1808
	v_fma_f64 v[4:5], v[200:201], v[142:143], -v[4:5]
	v_add_f64 v[2:3], v[2:3], v[4:5]
	v_mul_f64 v[4:5], v[206:207], v[226:227]
	v_fma_f64 v[4:5], v[204:205], v[228:229], -v[4:5]
	v_add_f64 v[2:3], v[2:3], v[4:5]
	s_waitcnt lgkmcnt(2)
	v_mul_f64 v[4:5], v[210:211], v[222:223]
	v_mul_f64 v[240:241], v[208:209], v[222:223]
	v_fma_f64 v[4:5], v[208:209], v[224:225], -v[4:5]
	v_fmac_f64_e32 v[240:241], v[210:211], v[224:225]
	v_add_f64 v[2:3], v[2:3], v[4:5]
	s_waitcnt vmcnt(2) lgkmcnt(1)
	v_mul_f64 v[4:5], v[214:215], v[234:235]
	v_add_f64 v[238:239], v[238:239], v[240:241]
	v_mul_f64 v[240:241], v[212:213], v[234:235]
	s_waitcnt vmcnt(0)
	v_fma_f64 v[4:5], v[212:213], v[236:237], -v[4:5]
	v_fmac_f64_e32 v[240:241], v[214:215], v[236:237]
	v_add_f64 v[2:3], v[2:3], v[4:5]
	s_waitcnt lgkmcnt(0)
	v_mul_f64 v[4:5], v[218:219], v[230:231]
	v_add_f64 v[238:239], v[238:239], v[240:241]
	v_mul_f64 v[240:241], v[216:217], v[230:231]
	v_fma_f64 v[4:5], v[216:217], v[232:233], -v[4:5]
	v_fmac_f64_e32 v[240:241], v[218:219], v[232:233]
	v_add_f64 v[2:3], v[2:3], v[4:5]
	v_add_f64 v[238:239], v[238:239], v[240:241]
	v_add_f64 v[2:3], v[62:63], -v[2:3]
	v_add_f64 v[4:5], v[60:61], -v[238:239]
	buffer_store_dword v3, off, s[0:3], 0 offset:452
	buffer_store_dword v2, off, s[0:3], 0 offset:448
	;; [unrolled: 1-line block ×4, first 2 shown]
	s_and_saveexec_b64 s[4:5], vcc
	s_cbranch_execz .LBB120_303
; %bb.302:
	v_accvgpr_read_b32 v0, a144
	buffer_load_dword v2, v0, s[0:3], 0 offen
	buffer_load_dword v3, v0, s[0:3], 0 offen offset:4
	buffer_load_dword v4, v0, s[0:3], 0 offen offset:8
	;; [unrolled: 1-line block ×3, first 2 shown]
	v_accvgpr_read_b32 v0, a171
	buffer_store_dword v1, off, s[0:3], 0 offset:432
	buffer_store_dword v1, off, s[0:3], 0 offset:436
	;; [unrolled: 1-line block ×4, first 2 shown]
	s_waitcnt vmcnt(4)
	ds_write_b128 v0, v[2:5]
.LBB120_303:
	s_or_b64 exec, exec, s[4:5]
	s_waitcnt lgkmcnt(0)
	; wave barrier
	s_waitcnt lgkmcnt(0)
	buffer_load_dword v48, off, s[0:3], 0 offset:448
	buffer_load_dword v49, off, s[0:3], 0 offset:452
	;; [unrolled: 1-line block ×40, first 2 shown]
	ds_read_b128 v[38:41], v1 offset:1344
	ds_read_b128 v[34:37], v1 offset:1360
	;; [unrolled: 1-line block ×10, first 2 shown]
	buffer_load_dword v83, off, s[0:3], 0 offset:620
	buffer_load_dword v82, off, s[0:3], 0 offset:616
	;; [unrolled: 1-line block ×8, first 2 shown]
	v_cmp_lt_u32_e32 vcc, 25, v254
	s_waitcnt vmcnt(44) lgkmcnt(9)
	v_mul_f64 v[90:91], v[38:39], v[50:51]
	v_fmac_f64_e32 v[90:91], v[40:41], v[48:49]
	v_add_f64 v[90:91], v[90:91], 0
	v_mul_f64 v[40:41], v[40:41], v[50:51]
	s_waitcnt vmcnt(40) lgkmcnt(8)
	v_mul_f64 v[92:93], v[34:35], v[44:45]
	v_fmac_f64_e32 v[92:93], v[36:37], v[42:43]
	s_waitcnt vmcnt(38) lgkmcnt(7)
	v_mul_f64 v[94:95], v[30:31], v[46:47]
	v_add_f64 v[90:91], v[90:91], v[92:93]
	s_waitcnt vmcnt(36) lgkmcnt(5)
	v_mul_f64 v[98:99], v[22:23], v[52:53]
	v_mul_f64 v[36:37], v[36:37], v[44:45]
	s_waitcnt vmcnt(34)
	v_fmac_f64_e32 v[98:99], v[24:25], v[54:55]
	v_fma_f64 v[34:35], v[34:35], v[42:43], -v[36:37]
	s_waitcnt vmcnt(32)
	v_mul_f64 v[96:97], v[26:27], v[56:57]
	v_mul_f64 v[24:25], v[24:25], v[52:53]
	s_waitcnt vmcnt(30) lgkmcnt(4)
	v_mul_f64 v[100:101], v[18:19], v[62:63]
	v_fma_f64 v[22:23], v[22:23], v[54:55], -v[24:25]
	s_waitcnt vmcnt(28) lgkmcnt(1)
	v_mul_f64 v[124:125], v[2:3], v[64:65]
	s_waitcnt vmcnt(25)
	v_mul_f64 v[104:105], v[6:7], v[68:69]
	s_waitcnt vmcnt(23)
	;; [unrolled: 2-line block ×3, first 2 shown]
	v_fmac_f64_e32 v[102:103], v[12:13], v[72:73]
	v_mul_f64 v[12:13], v[12:13], v[70:71]
	s_waitcnt vmcnt(19)
	v_fmac_f64_e32 v[94:95], v[32:33], v[80:81]
	v_add_f64 v[90:91], v[90:91], v[94:95]
	s_waitcnt vmcnt(17)
	v_fmac_f64_e32 v[96:97], v[28:29], v[78:79]
	v_add_f64 v[90:91], v[90:91], v[96:97]
	;; [unrolled: 3-line block ×3, first 2 shown]
	v_add_f64 v[90:91], v[90:91], v[100:101]
	s_waitcnt vmcnt(13)
	v_fmac_f64_e32 v[104:105], v[8:9], v[74:75]
	v_add_f64 v[90:91], v[90:91], v[102:103]
	v_add_f64 v[126:127], v[90:91], v[104:105]
	buffer_load_dword v91, off, s[0:3], 0 offset:652
	buffer_load_dword v90, off, s[0:3], 0 offset:648
	;; [unrolled: 1-line block ×72, first 2 shown]
	s_waitcnt vmcnt(62)
	v_fmac_f64_e32 v[124:125], v[4:5], v[66:67]
	v_add_f64 v[152:153], v[126:127], v[124:125]
	ds_read_b128 v[124:127], v1 offset:1504
	s_waitcnt lgkmcnt(1)
	v_mul_f64 v[154:155], v[14:15], v[86:87]
	v_fmac_f64_e32 v[154:155], v[16:17], v[88:89]
	buffer_load_dword v235, off, s[0:3], 0 offset:924
	buffer_load_dword v234, off, s[0:3], 0 offset:920
	;; [unrolled: 1-line block ×4, first 2 shown]
	v_add_f64 v[156:157], v[152:153], v[154:155]
	s_waitcnt lgkmcnt(0)
	v_mul_f64 v[158:159], v[124:125], v[82:83]
	ds_read_b128 v[152:155], v1 offset:1520
	v_fmac_f64_e32 v[158:159], v[126:127], v[84:85]
	v_add_f64 v[160:161], v[156:157], v[158:159]
	ds_read_b128 v[156:159], v1 offset:1536
	v_mul_f64 v[32:33], v[32:33], v[46:47]
	s_waitcnt lgkmcnt(1)
	v_mul_f64 v[162:163], v[152:153], v[94:95]
	v_fma_f64 v[30:31], v[30:31], v[80:81], -v[32:33]
	v_fmac_f64_e32 v[162:163], v[154:155], v[96:97]
	s_waitcnt lgkmcnt(0)
	v_mul_f64 v[166:167], v[156:157], v[90:91]
	v_add_f64 v[164:165], v[160:161], v[162:163]
	ds_read_b128 v[160:163], v1 offset:1552
	v_fmac_f64_e32 v[166:167], v[158:159], v[92:93]
	v_add_f64 v[168:169], v[164:165], v[166:167]
	ds_read_b128 v[164:167], v1 offset:1568
	v_mul_f64 v[28:29], v[28:29], v[56:57]
	s_waitcnt vmcnt(62) lgkmcnt(1)
	v_mul_f64 v[170:171], v[160:161], v[102:103]
	s_waitcnt vmcnt(60)
	v_fmac_f64_e32 v[170:171], v[162:163], v[104:105]
	v_add_f64 v[172:173], v[168:169], v[170:171]
	s_waitcnt lgkmcnt(0)
	v_mul_f64 v[174:175], v[164:165], v[98:99]
	ds_read_b128 v[168:171], v1 offset:1584
	v_fmac_f64_e32 v[174:175], v[166:167], v[100:101]
	v_add_f64 v[176:177], v[172:173], v[174:175]
	ds_read_b128 v[172:175], v1 offset:1600
	v_fma_f64 v[26:27], v[26:27], v[78:79], -v[28:29]
	s_waitcnt vmcnt(54) lgkmcnt(1)
	v_mul_f64 v[178:179], v[168:169], v[110:111]
	s_waitcnt vmcnt(52)
	v_fmac_f64_e32 v[178:179], v[170:171], v[112:113]
	v_add_f64 v[180:181], v[176:177], v[178:179]
	s_waitcnt lgkmcnt(0)
	v_mul_f64 v[182:183], v[172:173], v[106:107]
	ds_read_b128 v[176:179], v1 offset:1616
	v_fmac_f64_e32 v[182:183], v[174:175], v[108:109]
	v_add_f64 v[184:185], v[180:181], v[182:183]
	ds_read_b128 v[180:183], v1 offset:1632
	v_mul_f64 v[20:21], v[20:21], v[62:63]
	s_waitcnt vmcnt(46) lgkmcnt(1)
	v_mul_f64 v[186:187], v[176:177], v[120:121]
	s_waitcnt vmcnt(44)
	v_fmac_f64_e32 v[186:187], v[178:179], v[122:123]
	v_add_f64 v[188:189], v[184:185], v[186:187]
	s_waitcnt lgkmcnt(0)
	v_mul_f64 v[190:191], v[180:181], v[114:115]
	ds_read_b128 v[184:187], v1 offset:1648
	v_fmac_f64_e32 v[190:191], v[182:183], v[116:117]
	v_add_f64 v[192:193], v[188:189], v[190:191]
	ds_read_b128 v[188:191], v1 offset:1664
	v_fma_f64 v[18:19], v[18:19], v[76:77], -v[20:21]
	s_waitcnt vmcnt(38) lgkmcnt(1)
	v_mul_f64 v[194:195], v[184:185], v[132:133]
	s_waitcnt vmcnt(36)
	v_fmac_f64_e32 v[194:195], v[186:187], v[134:135]
	v_add_f64 v[196:197], v[192:193], v[194:195]
	s_waitcnt lgkmcnt(0)
	v_mul_f64 v[198:199], v[188:189], v[128:129]
	ds_read_b128 v[192:195], v1 offset:1680
	v_fmac_f64_e32 v[198:199], v[190:191], v[130:131]
	v_add_f64 v[200:201], v[196:197], v[198:199]
	ds_read_b128 v[196:199], v1 offset:1696
	v_fma_f64 v[10:11], v[10:11], v[72:73], -v[12:13]
	s_waitcnt vmcnt(30) lgkmcnt(1)
	v_mul_f64 v[202:203], v[192:193], v[140:141]
	s_waitcnt vmcnt(28)
	v_fmac_f64_e32 v[202:203], v[194:195], v[142:143]
	v_add_f64 v[204:205], v[200:201], v[202:203]
	s_waitcnt lgkmcnt(0)
	v_mul_f64 v[206:207], v[196:197], v[136:137]
	ds_read_b128 v[200:203], v1 offset:1712
	v_fmac_f64_e32 v[206:207], v[198:199], v[138:139]
	v_add_f64 v[208:209], v[204:205], v[206:207]
	ds_read_b128 v[204:207], v1 offset:1728
	v_mul_f64 v[8:9], v[8:9], v[68:69]
	s_waitcnt vmcnt(22) lgkmcnt(1)
	v_mul_f64 v[210:211], v[200:201], v[148:149]
	s_waitcnt vmcnt(20)
	v_fmac_f64_e32 v[210:211], v[202:203], v[150:151]
	v_add_f64 v[212:213], v[208:209], v[210:211]
	s_waitcnt lgkmcnt(0)
	v_mul_f64 v[214:215], v[204:205], v[144:145]
	ds_read_b128 v[208:211], v1 offset:1744
	v_fmac_f64_e32 v[214:215], v[206:207], v[146:147]
	v_add_f64 v[216:217], v[212:213], v[214:215]
	ds_read_b128 v[212:215], v1 offset:1760
	v_fma_f64 v[6:7], v[6:7], v[74:75], -v[8:9]
	s_waitcnt vmcnt(14) lgkmcnt(1)
	v_mul_f64 v[218:219], v[208:209], v[222:223]
	s_waitcnt vmcnt(12)
	v_fmac_f64_e32 v[218:219], v[210:211], v[224:225]
	v_add_f64 v[238:239], v[216:217], v[218:219]
	s_waitcnt lgkmcnt(0)
	v_mul_f64 v[240:241], v[212:213], v[118:119]
	v_fmac_f64_e32 v[240:241], v[214:215], v[220:221]
	v_add_f64 v[238:239], v[238:239], v[240:241]
	v_fma_f64 v[240:241], v[38:39], v[48:49], -v[40:41]
	v_add_f64 v[240:241], v[240:241], 0
	v_add_f64 v[34:35], v[240:241], v[34:35]
	;; [unrolled: 1-line block ×7, first 2 shown]
	v_mul_f64 v[4:5], v[4:5], v[64:65]
	v_add_f64 v[6:7], v[10:11], v[6:7]
	v_fma_f64 v[2:3], v[2:3], v[66:67], -v[4:5]
	v_mul_f64 v[4:5], v[16:17], v[86:87]
	v_add_f64 v[2:3], v[6:7], v[2:3]
	v_fma_f64 v[4:5], v[14:15], v[88:89], -v[4:5]
	v_add_f64 v[2:3], v[2:3], v[4:5]
	v_mul_f64 v[4:5], v[126:127], v[82:83]
	v_fma_f64 v[4:5], v[124:125], v[84:85], -v[4:5]
	v_add_f64 v[2:3], v[2:3], v[4:5]
	v_mul_f64 v[4:5], v[154:155], v[94:95]
	;; [unrolled: 3-line block ×15, first 2 shown]
	ds_read_b128 v[216:219], v1 offset:1776
	ds_read_b128 v[38:41], v1 offset:1792
	v_fma_f64 v[4:5], v[204:205], v[146:147], -v[4:5]
	v_add_f64 v[2:3], v[2:3], v[4:5]
	v_mul_f64 v[4:5], v[210:211], v[222:223]
	v_fma_f64 v[4:5], v[208:209], v[224:225], -v[4:5]
	v_add_f64 v[2:3], v[2:3], v[4:5]
	v_mul_f64 v[4:5], v[214:215], v[118:119]
	ds_read_b128 v[48:51], v1 offset:1808
	v_fma_f64 v[4:5], v[212:213], v[220:221], -v[4:5]
	v_add_f64 v[2:3], v[2:3], v[4:5]
	s_waitcnt vmcnt(6) lgkmcnt(2)
	v_mul_f64 v[4:5], v[218:219], v[230:231]
	v_mul_f64 v[242:243], v[216:217], v[230:231]
	s_waitcnt vmcnt(4)
	v_fma_f64 v[4:5], v[216:217], v[232:233], -v[4:5]
	v_fmac_f64_e32 v[242:243], v[218:219], v[232:233]
	v_add_f64 v[2:3], v[2:3], v[4:5]
	s_waitcnt lgkmcnt(1)
	v_mul_f64 v[4:5], v[40:41], v[226:227]
	v_add_f64 v[238:239], v[238:239], v[242:243]
	v_mul_f64 v[242:243], v[38:39], v[226:227]
	v_fma_f64 v[4:5], v[38:39], v[228:229], -v[4:5]
	v_fmac_f64_e32 v[242:243], v[40:41], v[228:229]
	v_add_f64 v[2:3], v[2:3], v[4:5]
	s_waitcnt vmcnt(2) lgkmcnt(0)
	v_mul_f64 v[4:5], v[50:51], v[234:235]
	v_add_f64 v[238:239], v[238:239], v[242:243]
	v_mul_f64 v[242:243], v[48:49], v[234:235]
	s_waitcnt vmcnt(0)
	v_fma_f64 v[4:5], v[48:49], v[236:237], -v[4:5]
	v_fmac_f64_e32 v[242:243], v[50:51], v[236:237]
	v_add_f64 v[2:3], v[2:3], v[4:5]
	v_add_f64 v[238:239], v[238:239], v[242:243]
	v_add_f64 v[2:3], v[60:61], -v[2:3]
	v_add_f64 v[4:5], v[58:59], -v[238:239]
	buffer_store_dword v3, off, s[0:3], 0 offset:436
	buffer_store_dword v2, off, s[0:3], 0 offset:432
	;; [unrolled: 1-line block ×4, first 2 shown]
	s_and_saveexec_b64 s[4:5], vcc
	s_cbranch_execz .LBB120_305
; %bb.304:
	v_accvgpr_read_b32 v0, a145
	buffer_load_dword v2, v0, s[0:3], 0 offen
	buffer_load_dword v3, v0, s[0:3], 0 offen offset:4
	buffer_load_dword v4, v0, s[0:3], 0 offen offset:8
	;; [unrolled: 1-line block ×3, first 2 shown]
	v_mov_b32_e32 v0, 0
	v_accvgpr_read_b32 v1, a171
	buffer_store_dword v0, off, s[0:3], 0 offset:416
	buffer_store_dword v0, off, s[0:3], 0 offset:420
	;; [unrolled: 1-line block ×4, first 2 shown]
	s_waitcnt vmcnt(4)
	ds_write_b128 v1, v[2:5]
.LBB120_305:
	s_or_b64 exec, exec, s[4:5]
	s_waitcnt lgkmcnt(0)
	; wave barrier
	s_waitcnt lgkmcnt(0)
	buffer_load_dword v106, off, s[0:3], 0 offset:432
	buffer_load_dword v107, off, s[0:3], 0 offset:436
	;; [unrolled: 1-line block ×49, first 2 shown]
	v_mov_b32_e32 v1, 0
	ds_read_b128 v[110:113], v1 offset:1328
	ds_read_b128 v[250:253], v1 offset:1344
	;; [unrolled: 1-line block ×10, first 2 shown]
	buffer_load_dword v160, off, s[0:3], 0 offset:624
	buffer_load_dword v175, off, s[0:3], 0 offset:620
	buffer_load_dword v174, off, s[0:3], 0 offset:616
	buffer_load_dword v179, off, s[0:3], 0 offset:612
	buffer_load_dword v178, off, s[0:3], 0 offset:608
	buffer_load_dword v163, off, s[0:3], 0 offset:668
	buffer_load_dword v162, off, s[0:3], 0 offset:664
	buffer_load_dword v165, off, s[0:3], 0 offset:660
	buffer_load_dword v164, off, s[0:3], 0 offset:656
	buffer_load_dword v183, off, s[0:3], 0 offset:652
	buffer_load_dword v182, off, s[0:3], 0 offset:648
	buffer_load_dword v187, off, s[0:3], 0 offset:644
	buffer_load_dword v186, off, s[0:3], 0 offset:640
	buffer_load_dword v167, off, s[0:3], 0 offset:700
	buffer_load_dword v166, off, s[0:3], 0 offset:696
	buffer_load_dword v169, off, s[0:3], 0 offset:692
	buffer_load_dword v168, off, s[0:3], 0 offset:688
	buffer_load_dword v191, off, s[0:3], 0 offset:684
	buffer_load_dword v190, off, s[0:3], 0 offset:680
	buffer_load_dword v195, off, s[0:3], 0 offset:676
	buffer_load_dword v194, off, s[0:3], 0 offset:672
	buffer_load_dword v171, off, s[0:3], 0 offset:732
	buffer_load_dword v170, off, s[0:3], 0 offset:728
	buffer_load_dword v173, off, s[0:3], 0 offset:724
	buffer_load_dword v172, off, s[0:3], 0 offset:720
	buffer_load_dword v199, off, s[0:3], 0 offset:716
	buffer_load_dword v198, off, s[0:3], 0 offset:712
	buffer_load_dword v203, off, s[0:3], 0 offset:708
	buffer_load_dword v202, off, s[0:3], 0 offset:704
	buffer_load_dword v177, off, s[0:3], 0 offset:764
	buffer_load_dword v176, off, s[0:3], 0 offset:760
	buffer_load_dword v181, off, s[0:3], 0 offset:756
	buffer_load_dword v180, off, s[0:3], 0 offset:752
	buffer_load_dword v207, off, s[0:3], 0 offset:748
	buffer_load_dword v206, off, s[0:3], 0 offset:744
	buffer_load_dword v211, off, s[0:3], 0 offset:740
	buffer_load_dword v210, off, s[0:3], 0 offset:736
	buffer_load_dword v185, off, s[0:3], 0 offset:796
	buffer_load_dword v184, off, s[0:3], 0 offset:792
	buffer_load_dword v189, off, s[0:3], 0 offset:788
	buffer_load_dword v188, off, s[0:3], 0 offset:784
	buffer_load_dword v215, off, s[0:3], 0 offset:780
	buffer_load_dword v214, off, s[0:3], 0 offset:776
	buffer_load_dword v217, off, s[0:3], 0 offset:772
	buffer_load_dword v216, off, s[0:3], 0 offset:768
	buffer_load_dword v193, off, s[0:3], 0 offset:828
	buffer_load_dword v192, off, s[0:3], 0 offset:824
	buffer_load_dword v197, off, s[0:3], 0 offset:820
	buffer_load_dword v196, off, s[0:3], 0 offset:816
	buffer_load_dword v219, off, s[0:3], 0 offset:812
	buffer_load_dword v218, off, s[0:3], 0 offset:808
	buffer_load_dword v221, off, s[0:3], 0 offset:804
	buffer_load_dword v220, off, s[0:3], 0 offset:800
	buffer_load_dword v201, off, s[0:3], 0 offset:860
	buffer_load_dword v200, off, s[0:3], 0 offset:856
	buffer_load_dword v205, off, s[0:3], 0 offset:852
	buffer_load_dword v204, off, s[0:3], 0 offset:848
	buffer_load_dword v233, off, s[0:3], 0 offset:844
	buffer_load_dword v232, off, s[0:3], 0 offset:840
	buffer_load_dword v237, off, s[0:3], 0 offset:836
	buffer_load_dword v236, off, s[0:3], 0 offset:832
	buffer_load_dword v209, off, s[0:3], 0 offset:892
	buffer_load_dword v208, off, s[0:3], 0 offset:888
	buffer_load_dword v213, off, s[0:3], 0 offset:884
	buffer_load_dword v212, off, s[0:3], 0 offset:880
	buffer_load_dword v239, off, s[0:3], 0 offset:876
	buffer_load_dword v238, off, s[0:3], 0 offset:872
	buffer_load_dword v241, off, s[0:3], 0 offset:868
	buffer_load_dword v240, off, s[0:3], 0 offset:864
	v_accvgpr_write_b32 a170, v254
	v_cmp_lt_u32_e32 vcc, 24, v254
	s_waitcnt vmcnt(62) lgkmcnt(9)
	v_mul_f64 v[34:35], v[110:111], v[108:109]
	v_fmac_f64_e32 v[34:35], v[112:113], v[106:107]
	v_add_f64 v[34:35], v[34:35], 0
	v_mul_f64 v[108:109], v[112:113], v[108:109]
	s_waitcnt lgkmcnt(8)
	v_mul_f64 v[36:37], v[250:251], v[116:117]
	v_fmac_f64_e32 v[36:37], v[252:253], v[114:115]
	s_waitcnt lgkmcnt(7)
	v_mul_f64 v[38:39], v[30:31], v[120:121]
	v_add_f64 v[34:35], v[34:35], v[36:37]
	s_waitcnt lgkmcnt(5)
	v_mul_f64 v[42:43], v[22:23], v[122:123]
	v_mul_f64 v[116:117], v[252:253], v[116:117]
	v_fmac_f64_e32 v[42:43], v[24:25], v[124:125]
	v_fma_f64 v[248:249], v[110:111], v[106:107], -v[108:109]
	v_mul_f64 v[40:41], v[26:27], v[126:127]
	v_fma_f64 v[250:251], v[250:251], v[114:115], -v[116:117]
	s_waitcnt lgkmcnt(3)
	v_mul_f64 v[46:47], v[14:15], v[128:129]
	v_mul_f64 v[24:25], v[24:25], v[122:123]
	v_fmac_f64_e32 v[46:47], v[16:17], v[130:131]
	v_fma_f64 v[22:23], v[22:23], v[124:125], -v[24:25]
	v_mul_f64 v[44:45], v[18:19], v[132:133]
	v_mul_f64 v[16:17], v[16:17], v[128:129]
	s_waitcnt lgkmcnt(1)
	v_mul_f64 v[50:51], v[6:7], v[134:135]
	v_fma_f64 v[14:15], v[14:15], v[130:131], -v[16:17]
	v_fmac_f64_e32 v[50:51], v[8:9], v[136:137]
	v_mul_f64 v[8:9], v[8:9], v[134:135]
	v_mul_f64 v[48:49], v[10:11], v[142:143]
	v_fma_f64 v[6:7], v[6:7], v[136:137], -v[8:9]
	s_waitcnt lgkmcnt(0)
	v_mul_f64 v[52:53], v[2:3], v[138:139]
	v_fmac_f64_e32 v[38:39], v[32:33], v[154:155]
	v_add_f64 v[34:35], v[34:35], v[38:39]
	v_fmac_f64_e32 v[40:41], v[28:29], v[152:153]
	v_add_f64 v[34:35], v[34:35], v[40:41]
	;; [unrolled: 2-line block ×3, first 2 shown]
	v_add_f64 v[34:35], v[34:35], v[44:45]
	v_fmac_f64_e32 v[48:49], v[12:13], v[148:149]
	v_add_f64 v[34:35], v[34:35], v[46:47]
	v_add_f64 v[34:35], v[34:35], v[48:49]
	v_fmac_f64_e32 v[52:53], v[4:5], v[146:147]
	v_add_f64 v[34:35], v[34:35], v[50:51]
	v_add_f64 v[42:43], v[34:35], v[52:53]
	ds_read_b128 v[38:41], v1 offset:1488
	ds_read_b128 v[34:37], v1 offset:1504
	buffer_load_dword v223, off, s[0:3], 0 offset:924
	buffer_load_dword v222, off, s[0:3], 0 offset:920
	;; [unrolled: 1-line block ×8, first 2 shown]
	ds_read_b128 v[110:113], v1 offset:1776
	ds_read_b128 v[106:109], v1 offset:1792
	s_waitcnt lgkmcnt(3)
	v_mul_f64 v[44:45], v[38:39], v[144:145]
	v_fmac_f64_e32 v[44:45], v[40:41], v[156:157]
	v_add_f64 v[46:47], v[42:43], v[44:45]
	ds_read_b128 v[42:45], v1 offset:1520
	s_waitcnt lgkmcnt(3)
	v_mul_f64 v[48:49], v[34:35], v[174:175]
	v_fmac_f64_e32 v[48:49], v[36:37], v[178:179]
	v_add_f64 v[50:51], v[46:47], v[48:49]
	;; [unrolled: 5-line block ×3, first 2 shown]
	ds_read_b128 v[50:53], v1 offset:1552
	s_waitcnt vmcnt(62) lgkmcnt(1)
	v_mul_f64 v[56:57], v[46:47], v[182:183]
	v_fmac_f64_e32 v[56:57], v[48:49], v[186:187]
	v_add_f64 v[58:59], v[54:55], v[56:57]
	ds_read_b128 v[54:57], v1 offset:1568
	s_waitcnt lgkmcnt(1)
	v_mul_f64 v[60:61], v[50:51], v[162:163]
	v_fmac_f64_e32 v[60:61], v[52:53], v[164:165]
	v_add_f64 v[62:63], v[58:59], v[60:61]
	ds_read_b128 v[58:61], v1 offset:1584
	s_waitcnt vmcnt(58) lgkmcnt(1)
	v_mul_f64 v[64:65], v[54:55], v[190:191]
	s_waitcnt vmcnt(56)
	v_fmac_f64_e32 v[64:65], v[56:57], v[194:195]
	v_add_f64 v[66:67], v[62:63], v[64:65]
	ds_read_b128 v[62:65], v1 offset:1600
	s_waitcnt lgkmcnt(1)
	v_mul_f64 v[68:69], v[58:59], v[166:167]
	v_fmac_f64_e32 v[68:69], v[60:61], v[168:169]
	v_add_f64 v[70:71], v[66:67], v[68:69]
	ds_read_b128 v[66:69], v1 offset:1616
	s_waitcnt vmcnt(50) lgkmcnt(1)
	v_mul_f64 v[72:73], v[62:63], v[198:199]
	s_waitcnt vmcnt(48)
	;; [unrolled: 11-line block ×5, first 2 shown]
	v_fmac_f64_e32 v[96:97], v[88:89], v[220:221]
	v_add_f64 v[98:99], v[94:95], v[96:97]
	ds_read_b128 v[94:97], v1 offset:1728
	s_waitcnt lgkmcnt(1)
	v_mul_f64 v[100:101], v[90:91], v[192:193]
	v_fmac_f64_e32 v[100:101], v[92:93], v[196:197]
	v_add_f64 v[118:119], v[98:99], v[100:101]
	ds_read_b128 v[98:101], v1 offset:1744
	ds_read_b128 v[102:105], v1 offset:1760
	;; [unrolled: 1-line block ×3, first 2 shown]
	buffer_load_dword v252, off, s[0:3], 0 offset:424
	buffer_load_dword v253, off, s[0:3], 0 offset:428
	s_waitcnt vmcnt(20) lgkmcnt(3)
	v_mul_f64 v[224:225], v[94:95], v[232:233]
	s_waitcnt vmcnt(18)
	v_fmac_f64_e32 v[224:225], v[96:97], v[236:237]
	v_add_f64 v[118:119], v[118:119], v[224:225]
	s_waitcnt lgkmcnt(2)
	v_mul_f64 v[224:225], v[98:99], v[200:201]
	v_fmac_f64_e32 v[224:225], v[100:101], v[204:205]
	v_add_f64 v[118:119], v[118:119], v[224:225]
	s_waitcnt vmcnt(12) lgkmcnt(1)
	v_mul_f64 v[224:225], v[102:103], v[238:239]
	s_waitcnt vmcnt(10)
	v_fmac_f64_e32 v[224:225], v[104:105], v[240:241]
	v_add_f64 v[118:119], v[118:119], v[224:225]
	v_mul_f64 v[224:225], v[110:111], v[208:209]
	v_fmac_f64_e32 v[224:225], v[112:113], v[212:213]
	v_add_f64 v[118:119], v[118:119], v[224:225]
	s_waitcnt vmcnt(4)
	v_mul_f64 v[224:225], v[106:107], v[242:243]
	v_mul_f64 v[32:33], v[32:33], v[120:121]
	s_waitcnt vmcnt(2)
	v_fmac_f64_e32 v[224:225], v[108:109], v[244:245]
	v_add_f64 v[118:119], v[118:119], v[224:225]
	s_waitcnt lgkmcnt(0)
	v_mul_f64 v[224:225], v[114:115], v[222:223]
	v_fmac_f64_e32 v[224:225], v[116:117], v[234:235]
	v_add_f64 v[246:247], v[118:119], v[224:225]
	v_add_f64 v[118:119], v[248:249], 0
	;; [unrolled: 1-line block ×3, first 2 shown]
	v_fma_f64 v[30:31], v[30:31], v[154:155], -v[32:33]
	v_mul_f64 v[28:29], v[28:29], v[126:127]
	v_add_f64 v[30:31], v[118:119], v[30:31]
	v_fma_f64 v[26:27], v[26:27], v[152:153], -v[28:29]
	v_add_f64 v[26:27], v[30:31], v[26:27]
	v_mul_f64 v[20:21], v[20:21], v[132:133]
	v_add_f64 v[22:23], v[26:27], v[22:23]
	v_fma_f64 v[18:19], v[18:19], v[150:151], -v[20:21]
	v_add_f64 v[18:19], v[22:23], v[18:19]
	;; [unrolled: 4-line block ×3, first 2 shown]
	v_mul_f64 v[4:5], v[4:5], v[138:139]
	v_add_f64 v[6:7], v[10:11], v[6:7]
	v_fma_f64 v[2:3], v[2:3], v[146:147], -v[4:5]
	v_mul_f64 v[4:5], v[40:41], v[144:145]
	v_add_f64 v[2:3], v[6:7], v[2:3]
	v_fma_f64 v[4:5], v[38:39], v[156:157], -v[4:5]
	v_add_f64 v[2:3], v[2:3], v[4:5]
	v_mul_f64 v[4:5], v[36:37], v[174:175]
	v_fma_f64 v[4:5], v[34:35], v[178:179], -v[4:5]
	v_add_f64 v[2:3], v[2:3], v[4:5]
	v_mul_f64 v[4:5], v[44:45], v[158:159]
	v_fma_f64 v[4:5], v[42:43], v[160:161], -v[4:5]
	v_add_f64 v[2:3], v[2:3], v[4:5]
	v_mul_f64 v[4:5], v[48:49], v[182:183]
	v_fma_f64 v[4:5], v[46:47], v[186:187], -v[4:5]
	v_add_f64 v[2:3], v[2:3], v[4:5]
	v_mul_f64 v[4:5], v[52:53], v[162:163]
	v_fma_f64 v[4:5], v[50:51], v[164:165], -v[4:5]
	v_add_f64 v[2:3], v[2:3], v[4:5]
	v_mul_f64 v[4:5], v[56:57], v[190:191]
	v_fma_f64 v[4:5], v[54:55], v[194:195], -v[4:5]
	v_add_f64 v[2:3], v[2:3], v[4:5]
	v_mul_f64 v[4:5], v[60:61], v[166:167]
	v_fma_f64 v[4:5], v[58:59], v[168:169], -v[4:5]
	v_add_f64 v[2:3], v[2:3], v[4:5]
	v_mul_f64 v[4:5], v[64:65], v[198:199]
	v_fma_f64 v[4:5], v[62:63], v[202:203], -v[4:5]
	v_add_f64 v[2:3], v[2:3], v[4:5]
	v_mul_f64 v[4:5], v[68:69], v[170:171]
	v_fma_f64 v[4:5], v[66:67], v[172:173], -v[4:5]
	v_add_f64 v[2:3], v[2:3], v[4:5]
	v_mul_f64 v[4:5], v[72:73], v[206:207]
	v_fma_f64 v[4:5], v[70:71], v[210:211], -v[4:5]
	v_add_f64 v[2:3], v[2:3], v[4:5]
	v_mul_f64 v[4:5], v[76:77], v[176:177]
	v_fma_f64 v[4:5], v[74:75], v[180:181], -v[4:5]
	v_add_f64 v[2:3], v[2:3], v[4:5]
	v_mul_f64 v[4:5], v[80:81], v[214:215]
	v_fma_f64 v[4:5], v[78:79], v[216:217], -v[4:5]
	v_add_f64 v[2:3], v[2:3], v[4:5]
	v_mul_f64 v[4:5], v[84:85], v[184:185]
	v_fma_f64 v[4:5], v[82:83], v[188:189], -v[4:5]
	v_add_f64 v[2:3], v[2:3], v[4:5]
	v_mul_f64 v[4:5], v[88:89], v[218:219]
	v_fma_f64 v[4:5], v[86:87], v[220:221], -v[4:5]
	v_add_f64 v[2:3], v[2:3], v[4:5]
	v_mul_f64 v[4:5], v[92:93], v[192:193]
	v_fma_f64 v[4:5], v[90:91], v[196:197], -v[4:5]
	v_add_f64 v[2:3], v[2:3], v[4:5]
	v_mul_f64 v[4:5], v[96:97], v[232:233]
	v_fma_f64 v[4:5], v[94:95], v[236:237], -v[4:5]
	v_add_f64 v[2:3], v[2:3], v[4:5]
	v_mul_f64 v[4:5], v[100:101], v[200:201]
	v_fma_f64 v[4:5], v[98:99], v[204:205], -v[4:5]
	v_add_f64 v[2:3], v[2:3], v[4:5]
	v_mul_f64 v[4:5], v[104:105], v[238:239]
	v_fma_f64 v[4:5], v[102:103], v[240:241], -v[4:5]
	v_add_f64 v[2:3], v[2:3], v[4:5]
	v_mul_f64 v[4:5], v[112:113], v[208:209]
	v_fma_f64 v[4:5], v[110:111], v[212:213], -v[4:5]
	v_add_f64 v[2:3], v[2:3], v[4:5]
	v_mul_f64 v[4:5], v[108:109], v[242:243]
	v_fma_f64 v[4:5], v[106:107], v[244:245], -v[4:5]
	v_add_f64 v[2:3], v[2:3], v[4:5]
	v_mul_f64 v[4:5], v[116:117], v[222:223]
	v_fma_f64 v[4:5], v[114:115], v[234:235], -v[4:5]
	v_add_f64 v[2:3], v[2:3], v[4:5]
	v_add_f64 v[2:3], v[140:141], -v[2:3]
	s_waitcnt vmcnt(0)
	v_add_f64 v[4:5], v[252:253], -v[246:247]
	buffer_store_dword v3, off, s[0:3], 0 offset:420
	buffer_store_dword v2, off, s[0:3], 0 offset:416
	;; [unrolled: 1-line block ×4, first 2 shown]
	s_and_saveexec_b64 s[4:5], vcc
	s_cbranch_execz .LBB120_307
; %bb.306:
	v_accvgpr_read_b32 v0, a146
	buffer_load_dword v2, v0, s[0:3], 0 offen
	buffer_load_dword v3, v0, s[0:3], 0 offen offset:4
	buffer_load_dword v4, v0, s[0:3], 0 offen offset:8
	;; [unrolled: 1-line block ×3, first 2 shown]
	v_accvgpr_read_b32 v0, a171
	buffer_store_dword v1, off, s[0:3], 0 offset:400
	buffer_store_dword v1, off, s[0:3], 0 offset:404
	;; [unrolled: 1-line block ×4, first 2 shown]
	s_waitcnt vmcnt(4)
	ds_write_b128 v0, v[2:5]
.LBB120_307:
	s_or_b64 exec, exec, s[4:5]
	s_waitcnt lgkmcnt(0)
	; wave barrier
	s_waitcnt lgkmcnt(0)
	buffer_load_dword v112, off, s[0:3], 0 offset:416
	buffer_load_dword v113, off, s[0:3], 0 offset:420
	;; [unrolled: 1-line block ×36, first 2 shown]
	ds_read_b128 v[102:105], v1 offset:1312
	ds_read_b128 v[106:109], v1 offset:1328
	;; [unrolled: 1-line block ×9, first 2 shown]
	buffer_load_dword v145, off, s[0:3], 0 offset:588
	buffer_load_dword v144, off, s[0:3], 0 offset:584
	buffer_load_dword v147, off, s[0:3], 0 offset:580
	buffer_load_dword v146, off, s[0:3], 0 offset:576
	buffer_load_dword v149, off, s[0:3], 0 offset:572
	buffer_load_dword v148, off, s[0:3], 0 offset:568
	buffer_load_dword v151, off, s[0:3], 0 offset:564
	buffer_load_dword v150, off, s[0:3], 0 offset:560
	buffer_load_dword v153, off, s[0:3], 0 offset:620
	buffer_load_dword v152, off, s[0:3], 0 offset:616
	buffer_load_dword v155, off, s[0:3], 0 offset:612
	buffer_load_dword v154, off, s[0:3], 0 offset:608
	buffer_load_dword v161, off, s[0:3], 0 offset:604
	buffer_load_dword v160, off, s[0:3], 0 offset:600
	buffer_load_dword v163, off, s[0:3], 0 offset:596
	buffer_load_dword v162, off, s[0:3], 0 offset:592
	buffer_load_dword v157, off, s[0:3], 0 offset:652
	buffer_load_dword v156, off, s[0:3], 0 offset:648
	buffer_load_dword v159, off, s[0:3], 0 offset:644
	buffer_load_dword v158, off, s[0:3], 0 offset:640
	buffer_load_dword v177, off, s[0:3], 0 offset:636
	buffer_load_dword v176, off, s[0:3], 0 offset:632
	buffer_load_dword v181, off, s[0:3], 0 offset:628
	buffer_load_dword v180, off, s[0:3], 0 offset:624
	buffer_load_dword v165, off, s[0:3], 0 offset:684
	buffer_load_dword v164, off, s[0:3], 0 offset:680
	buffer_load_dword v167, off, s[0:3], 0 offset:676
	buffer_load_dword v166, off, s[0:3], 0 offset:672
	buffer_load_dword v185, off, s[0:3], 0 offset:668
	buffer_load_dword v184, off, s[0:3], 0 offset:664
	buffer_load_dword v189, off, s[0:3], 0 offset:660
	buffer_load_dword v188, off, s[0:3], 0 offset:656
	buffer_load_dword v169, off, s[0:3], 0 offset:716
	buffer_load_dword v168, off, s[0:3], 0 offset:712
	buffer_load_dword v171, off, s[0:3], 0 offset:708
	buffer_load_dword v170, off, s[0:3], 0 offset:704
	buffer_load_dword v193, off, s[0:3], 0 offset:700
	buffer_load_dword v192, off, s[0:3], 0 offset:696
	buffer_load_dword v197, off, s[0:3], 0 offset:692
	buffer_load_dword v196, off, s[0:3], 0 offset:688
	buffer_load_dword v173, off, s[0:3], 0 offset:748
	buffer_load_dword v172, off, s[0:3], 0 offset:744
	buffer_load_dword v175, off, s[0:3], 0 offset:740
	buffer_load_dword v174, off, s[0:3], 0 offset:736
	buffer_load_dword v201, off, s[0:3], 0 offset:732
	buffer_load_dword v200, off, s[0:3], 0 offset:728
	buffer_load_dword v205, off, s[0:3], 0 offset:724
	buffer_load_dword v204, off, s[0:3], 0 offset:720
	buffer_load_dword v179, off, s[0:3], 0 offset:780
	buffer_load_dword v178, off, s[0:3], 0 offset:776
	buffer_load_dword v183, off, s[0:3], 0 offset:772
	buffer_load_dword v182, off, s[0:3], 0 offset:768
	buffer_load_dword v209, off, s[0:3], 0 offset:764
	buffer_load_dword v208, off, s[0:3], 0 offset:760
	buffer_load_dword v211, off, s[0:3], 0 offset:756
	buffer_load_dword v210, off, s[0:3], 0 offset:752
	buffer_load_dword v187, off, s[0:3], 0 offset:812
	buffer_load_dword v186, off, s[0:3], 0 offset:808
	buffer_load_dword v191, off, s[0:3], 0 offset:804
	buffer_load_dword v190, off, s[0:3], 0 offset:800
	buffer_load_dword v213, off, s[0:3], 0 offset:796
	buffer_load_dword v212, off, s[0:3], 0 offset:792
	buffer_load_dword v215, off, s[0:3], 0 offset:788
	buffer_load_dword v214, off, s[0:3], 0 offset:784
	buffer_load_dword v195, off, s[0:3], 0 offset:844
	buffer_load_dword v194, off, s[0:3], 0 offset:840
	buffer_load_dword v199, off, s[0:3], 0 offset:836
	buffer_load_dword v198, off, s[0:3], 0 offset:832
	buffer_load_dword v217, off, s[0:3], 0 offset:828
	buffer_load_dword v216, off, s[0:3], 0 offset:824
	buffer_load_dword v219, off, s[0:3], 0 offset:820
	buffer_load_dword v218, off, s[0:3], 0 offset:816
	buffer_load_dword v203, off, s[0:3], 0 offset:876
	buffer_load_dword v202, off, s[0:3], 0 offset:872
	buffer_load_dword v207, off, s[0:3], 0 offset:868
	buffer_load_dword v206, off, s[0:3], 0 offset:864
	buffer_load_dword v221, off, s[0:3], 0 offset:860
	buffer_load_dword v220, off, s[0:3], 0 offset:856
	v_accvgpr_read_b32 v230, a170
	v_cmp_lt_u32_e32 vcc, 23, v230
	s_waitcnt vmcnt(62) lgkmcnt(8)
	v_mul_f64 v[26:27], v[102:103], v[246:247]
	v_fmac_f64_e32 v[26:27], v[104:105], v[112:113]
	v_add_f64 v[26:27], v[26:27], 0
	v_mul_f64 v[104:105], v[104:105], v[246:247]
	s_waitcnt lgkmcnt(7)
	v_mul_f64 v[28:29], v[106:107], v[248:249]
	v_fmac_f64_e32 v[28:29], v[108:109], v[110:111]
	s_waitcnt lgkmcnt(6)
	v_mul_f64 v[30:31], v[114:115], v[244:245]
	v_add_f64 v[26:27], v[26:27], v[28:29]
	s_waitcnt lgkmcnt(4)
	v_mul_f64 v[34:35], v[18:19], v[120:121]
	v_fma_f64 v[246:247], v[102:103], v[112:113], -v[104:105]
	v_fmac_f64_e32 v[34:35], v[20:21], v[122:123]
	v_mul_f64 v[108:109], v[108:109], v[248:249]
	v_mul_f64 v[32:33], v[22:23], v[124:125]
	v_fma_f64 v[248:249], v[106:107], v[110:111], -v[108:109]
	s_waitcnt lgkmcnt(2)
	v_mul_f64 v[38:39], v[10:11], v[126:127]
	v_mul_f64 v[20:21], v[20:21], v[120:121]
	v_fmac_f64_e32 v[38:39], v[12:13], v[128:129]
	v_fma_f64 v[18:19], v[18:19], v[122:123], -v[20:21]
	v_mul_f64 v[36:37], v[14:15], v[132:133]
	v_mul_f64 v[12:13], v[12:13], v[126:127]
	s_waitcnt lgkmcnt(1)
	v_mul_f64 v[40:41], v[6:7], v[130:131]
	v_fma_f64 v[10:11], v[10:11], v[128:129], -v[12:13]
	v_fmac_f64_e32 v[30:31], v[116:117], v[250:251]
	v_add_f64 v[26:27], v[26:27], v[30:31]
	v_fmac_f64_e32 v[32:33], v[24:25], v[140:141]
	v_add_f64 v[26:27], v[26:27], v[32:33]
	;; [unrolled: 2-line block ×3, first 2 shown]
	v_add_f64 v[26:27], v[26:27], v[36:37]
	v_fmac_f64_e32 v[40:41], v[8:9], v[136:137]
	v_add_f64 v[30:31], v[26:27], v[38:39]
	v_add_f64 v[30:31], v[30:31], v[40:41]
	s_waitcnt lgkmcnt(0)
	v_mul_f64 v[32:33], v[2:3], v[134:135]
	v_fmac_f64_e32 v[32:33], v[4:5], v[142:143]
	ds_read_b128 v[26:29], v1 offset:1456
	v_add_f64 v[34:35], v[30:31], v[32:33]
	ds_read_b128 v[30:33], v1 offset:1472
	buffer_load_dword v223, off, s[0:3], 0 offset:852
	buffer_load_dword v222, off, s[0:3], 0 offset:848
	v_mul_f64 v[116:117], v[116:117], v[244:245]
	s_waitcnt lgkmcnt(1)
	v_mul_f64 v[36:37], v[26:27], v[148:149]
	v_fmac_f64_e32 v[36:37], v[28:29], v[150:151]
	v_add_f64 v[38:39], v[34:35], v[36:37]
	ds_read_b128 v[34:37], v1 offset:1488
	s_waitcnt lgkmcnt(1)
	v_mul_f64 v[40:41], v[30:31], v[144:145]
	v_fmac_f64_e32 v[40:41], v[32:33], v[146:147]
	v_add_f64 v[42:43], v[38:39], v[40:41]
	ds_read_b128 v[38:41], v1 offset:1504
	;; [unrolled: 5-line block ×4, first 2 shown]
	buffer_load_dword v233, off, s[0:3], 0 offset:908
	buffer_load_dword v235, off, s[0:3], 0 offset:892
	;; [unrolled: 1-line block ×12, first 2 shown]
	s_waitcnt vmcnt(62) lgkmcnt(1)
	v_mul_f64 v[52:53], v[42:43], v[176:177]
	v_fmac_f64_e32 v[52:53], v[44:45], v[180:181]
	v_add_f64 v[54:55], v[50:51], v[52:53]
	ds_read_b128 v[50:53], v1 offset:1552
	s_waitcnt lgkmcnt(1)
	v_mul_f64 v[56:57], v[46:47], v[156:157]
	v_fmac_f64_e32 v[56:57], v[48:49], v[158:159]
	v_add_f64 v[58:59], v[54:55], v[56:57]
	ds_read_b128 v[54:57], v1 offset:1568
	s_waitcnt lgkmcnt(1)
	v_mul_f64 v[60:61], v[50:51], v[184:185]
	s_waitcnt vmcnt(60)
	v_fmac_f64_e32 v[60:61], v[52:53], v[188:189]
	v_add_f64 v[62:63], v[58:59], v[60:61]
	ds_read_b128 v[58:61], v1 offset:1584
	s_waitcnt lgkmcnt(1)
	v_mul_f64 v[64:65], v[54:55], v[164:165]
	v_fmac_f64_e32 v[64:65], v[56:57], v[166:167]
	v_add_f64 v[66:67], v[62:63], v[64:65]
	ds_read_b128 v[62:65], v1 offset:1600
	s_waitcnt vmcnt(54) lgkmcnt(1)
	v_mul_f64 v[68:69], v[58:59], v[192:193]
	s_waitcnt vmcnt(52)
	v_fmac_f64_e32 v[68:69], v[60:61], v[196:197]
	v_add_f64 v[70:71], v[66:67], v[68:69]
	ds_read_b128 v[66:69], v1 offset:1616
	s_waitcnt lgkmcnt(1)
	v_mul_f64 v[72:73], v[62:63], v[168:169]
	v_fmac_f64_e32 v[72:73], v[64:65], v[170:171]
	v_add_f64 v[74:75], v[70:71], v[72:73]
	ds_read_b128 v[70:73], v1 offset:1632
	s_waitcnt vmcnt(46) lgkmcnt(1)
	v_mul_f64 v[76:77], v[66:67], v[200:201]
	s_waitcnt vmcnt(44)
	v_fmac_f64_e32 v[76:77], v[68:69], v[204:205]
	v_add_f64 v[78:79], v[74:75], v[76:77]
	ds_read_b128 v[74:77], v1 offset:1648
	s_waitcnt lgkmcnt(1)
	v_mul_f64 v[80:81], v[70:71], v[172:173]
	v_fmac_f64_e32 v[80:81], v[72:73], v[174:175]
	v_add_f64 v[82:83], v[78:79], v[80:81]
	ds_read_b128 v[78:81], v1 offset:1664
	s_waitcnt vmcnt(38) lgkmcnt(1)
	v_mul_f64 v[84:85], v[74:75], v[208:209]
	s_waitcnt vmcnt(36)
	v_fmac_f64_e32 v[84:85], v[76:77], v[210:211]
	v_add_f64 v[86:87], v[82:83], v[84:85]
	ds_read_b128 v[82:85], v1 offset:1680
	s_waitcnt lgkmcnt(1)
	v_mul_f64 v[88:89], v[78:79], v[178:179]
	v_fmac_f64_e32 v[88:89], v[80:81], v[182:183]
	v_add_f64 v[90:91], v[86:87], v[88:89]
	ds_read_b128 v[86:89], v1 offset:1696
	s_waitcnt vmcnt(30) lgkmcnt(1)
	v_mul_f64 v[92:93], v[82:83], v[212:213]
	s_waitcnt vmcnt(28)
	v_fmac_f64_e32 v[92:93], v[84:85], v[214:215]
	v_add_f64 v[98:99], v[90:91], v[92:93]
	ds_read_b128 v[90:93], v1 offset:1712
	ds_read_b128 v[94:97], v1 offset:1728
	s_waitcnt lgkmcnt(2)
	v_mul_f64 v[100:101], v[86:87], v[186:187]
	v_fmac_f64_e32 v[100:101], v[88:89], v[190:191]
	v_add_f64 v[98:99], v[98:99], v[100:101]
	s_waitcnt vmcnt(22) lgkmcnt(1)
	v_mul_f64 v[100:101], v[90:91], v[216:217]
	s_waitcnt vmcnt(20)
	v_fmac_f64_e32 v[100:101], v[92:93], v[218:219]
	v_add_f64 v[98:99], v[98:99], v[100:101]
	s_waitcnt lgkmcnt(0)
	v_mul_f64 v[100:101], v[94:95], v[194:195]
	v_fmac_f64_e32 v[100:101], v[96:97], v[198:199]
	v_add_f64 v[118:119], v[98:99], v[100:101]
	ds_read_b128 v[98:101], v1 offset:1744
	ds_read_b128 v[102:105], v1 offset:1760
	;; [unrolled: 1-line block ×3, first 2 shown]
	v_fma_f64 v[250:251], v[114:115], v[250:251], -v[116:117]
	ds_read_b128 v[114:117], v1 offset:1808
	s_waitcnt vmcnt(14) lgkmcnt(3)
	v_mul_f64 v[112:113], v[98:99], v[220:221]
	s_waitcnt lgkmcnt(2)
	v_mul_f64 v[110:111], v[102:103], v[202:203]
	s_waitcnt vmcnt(12)
	v_fmac_f64_e32 v[112:113], v[100:101], v[222:223]
	v_add_f64 v[112:113], v[118:119], v[112:113]
	v_fmac_f64_e32 v[110:111], v[104:105], v[206:207]
	v_add_f64 v[118:119], v[112:113], v[110:111]
	ds_read_b128 v[110:113], v1 offset:1792
	buffer_load_dword v254, off, s[0:3], 0 offset:400
	buffer_load_dword v255, off, s[0:3], 0 offset:404
	;; [unrolled: 1-line block ×4, first 2 shown]
	v_mul_f64 v[24:25], v[24:25], v[124:125]
	v_fma_f64 v[22:23], v[22:23], v[140:141], -v[24:25]
	v_mul_f64 v[16:17], v[16:17], v[132:133]
	s_waitcnt vmcnt(13) lgkmcnt(2)
	v_mul_f64 v[224:225], v[106:107], v[234:235]
	v_fma_f64 v[14:15], v[14:15], v[138:139], -v[16:17]
	s_waitcnt vmcnt(11)
	v_fmac_f64_e32 v[224:225], v[108:109], v[240:241]
	v_add_f64 v[118:119], v[118:119], v[224:225]
	s_waitcnt vmcnt(10) lgkmcnt(0)
	v_mul_f64 v[224:225], v[110:111], v[232:233]
	s_waitcnt vmcnt(8)
	v_fmac_f64_e32 v[224:225], v[112:113], v[238:239]
	v_add_f64 v[118:119], v[118:119], v[224:225]
	s_waitcnt vmcnt(6)
	v_mul_f64 v[224:225], v[114:115], v[236:237]
	v_mul_f64 v[8:9], v[8:9], v[130:131]
	s_waitcnt vmcnt(4)
	v_fmac_f64_e32 v[224:225], v[116:117], v[242:243]
	v_add_f64 v[244:245], v[118:119], v[224:225]
	v_add_f64 v[118:119], v[246:247], 0
	;; [unrolled: 1-line block ×8, first 2 shown]
	v_fma_f64 v[6:7], v[6:7], v[136:137], -v[8:9]
	v_mul_f64 v[4:5], v[4:5], v[134:135]
	v_add_f64 v[6:7], v[10:11], v[6:7]
	v_fma_f64 v[2:3], v[2:3], v[142:143], -v[4:5]
	v_mul_f64 v[4:5], v[28:29], v[148:149]
	v_add_f64 v[2:3], v[6:7], v[2:3]
	v_fma_f64 v[4:5], v[26:27], v[150:151], -v[4:5]
	v_add_f64 v[2:3], v[2:3], v[4:5]
	v_mul_f64 v[4:5], v[32:33], v[144:145]
	v_fma_f64 v[4:5], v[30:31], v[146:147], -v[4:5]
	v_add_f64 v[2:3], v[2:3], v[4:5]
	v_mul_f64 v[4:5], v[36:37], v[160:161]
	;; [unrolled: 3-line block ×22, first 2 shown]
	v_fma_f64 v[4:5], v[114:115], v[242:243], -v[4:5]
	v_add_f64 v[2:3], v[2:3], v[4:5]
	s_waitcnt vmcnt(2)
	v_add_f64 v[2:3], v[254:255], -v[2:3]
	s_waitcnt vmcnt(0)
	v_add_f64 v[4:5], v[252:253], -v[244:245]
	buffer_store_dword v3, off, s[0:3], 0 offset:404
	buffer_store_dword v2, off, s[0:3], 0 offset:400
	;; [unrolled: 1-line block ×4, first 2 shown]
	s_and_saveexec_b64 s[4:5], vcc
	s_cbranch_execz .LBB120_309
; %bb.308:
	v_accvgpr_read_b32 v0, a147
	buffer_load_dword v2, v0, s[0:3], 0 offen
	buffer_load_dword v3, v0, s[0:3], 0 offen offset:4
	buffer_load_dword v4, v0, s[0:3], 0 offen offset:8
	;; [unrolled: 1-line block ×3, first 2 shown]
	v_mov_b32_e32 v0, 0
	v_accvgpr_read_b32 v1, a171
	buffer_store_dword v0, off, s[0:3], 0 offset:384
	buffer_store_dword v0, off, s[0:3], 0 offset:388
	;; [unrolled: 1-line block ×4, first 2 shown]
	s_waitcnt vmcnt(4)
	ds_write_b128 v1, v[2:5]
.LBB120_309:
	s_or_b64 exec, exec, s[4:5]
	s_waitcnt lgkmcnt(0)
	; wave barrier
	s_waitcnt lgkmcnt(0)
	buffer_load_dword v94, off, s[0:3], 0 offset:400
	buffer_load_dword v95, off, s[0:3], 0 offset:404
	;; [unrolled: 1-line block ×52, first 2 shown]
	v_mov_b32_e32 v1, 0
	ds_read_b128 v[102:105], v1 offset:1296
	ds_read_b128 v[114:117], v1 offset:1312
	;; [unrolled: 1-line block ×10, first 2 shown]
	v_cmp_lt_u32_e32 vcc, 22, v230
	s_waitcnt vmcnt(48) lgkmcnt(9)
	v_mul_f64 v[26:27], v[102:103], v[96:97]
	v_fmac_f64_e32 v[26:27], v[104:105], v[94:95]
	v_add_f64 v[26:27], v[26:27], 0
	v_mul_f64 v[96:97], v[104:105], v[96:97]
	s_waitcnt vmcnt(44) lgkmcnt(8)
	v_mul_f64 v[28:29], v[114:115], v[100:101]
	v_fmac_f64_e32 v[28:29], v[116:117], v[98:99]
	s_waitcnt vmcnt(42) lgkmcnt(7)
	v_mul_f64 v[30:31], v[244:245], v[106:107]
	v_add_f64 v[26:27], v[26:27], v[28:29]
	s_waitcnt vmcnt(40) lgkmcnt(5)
	v_mul_f64 v[34:35], v[22:23], v[122:123]
	v_fma_f64 v[224:225], v[102:103], v[94:95], -v[96:97]
	s_waitcnt vmcnt(38)
	v_fmac_f64_e32 v[34:35], v[24:25], v[126:127]
	v_mul_f64 v[100:101], v[116:117], v[100:101]
	s_waitcnt vmcnt(36)
	v_mul_f64 v[32:33], v[250:251], v[110:111]
	v_fma_f64 v[226:227], v[114:115], v[98:99], -v[100:101]
	s_waitcnt vmcnt(34) lgkmcnt(3)
	v_mul_f64 v[38:39], v[14:15], v[120:121]
	v_mul_f64 v[106:107], v[246:247], v[106:107]
	s_waitcnt vmcnt(32)
	v_fmac_f64_e32 v[38:39], v[16:17], v[124:125]
	v_mul_f64 v[110:111], v[252:253], v[110:111]
	s_waitcnt vmcnt(30)
	v_mul_f64 v[36:37], v[18:19], v[132:133]
	v_mul_f64 v[24:25], v[24:25], v[122:123]
	v_fma_f64 v[22:23], v[22:23], v[126:127], -v[24:25]
	s_waitcnt vmcnt(27) lgkmcnt(2)
	v_mul_f64 v[40:41], v[10:11], v[130:131]
	s_waitcnt vmcnt(26) lgkmcnt(1)
	v_mul_f64 v[42:43], v[6:7], v[128:129]
	v_mul_f64 v[16:17], v[16:17], v[120:121]
	s_waitcnt vmcnt(24)
	v_fmac_f64_e32 v[30:31], v[246:247], v[108:109]
	v_add_f64 v[26:27], v[26:27], v[30:31]
	s_waitcnt vmcnt(22)
	v_fmac_f64_e32 v[32:33], v[252:253], v[112:113]
	v_add_f64 v[26:27], v[26:27], v[32:33]
	;; [unrolled: 3-line block ×3, first 2 shown]
	v_add_f64 v[26:27], v[26:27], v[36:37]
	s_waitcnt vmcnt(18)
	v_fmac_f64_e32 v[40:41], v[12:13], v[134:135]
	v_add_f64 v[26:27], v[26:27], v[38:39]
	v_add_f64 v[26:27], v[26:27], v[40:41]
	s_waitcnt vmcnt(16)
	v_fmac_f64_e32 v[42:43], v[8:9], v[140:141]
	v_add_f64 v[34:35], v[26:27], v[42:43]
	ds_read_b128 v[26:29], v1 offset:1456
	ds_read_b128 v[30:33], v1 offset:1472
	buffer_load_dword v157, off, s[0:3], 0 offset:636
	buffer_load_dword v156, off, s[0:3], 0 offset:632
	;; [unrolled: 1-line block ×56, first 2 shown]
	s_waitcnt vmcnt(62) lgkmcnt(2)
	v_mul_f64 v[36:37], v[2:3], v[144:145]
	v_fmac_f64_e32 v[36:37], v[4:5], v[146:147]
	v_add_f64 v[34:35], v[34:35], v[36:37]
	s_waitcnt lgkmcnt(1)
	v_mul_f64 v[36:37], v[26:27], v[138:139]
	v_fmac_f64_e32 v[36:37], v[28:29], v[142:143]
	v_add_f64 v[34:35], v[34:35], v[36:37]
	s_waitcnt lgkmcnt(0)
	v_mul_f64 v[36:37], v[30:31], v[148:149]
	s_waitcnt vmcnt(60)
	v_fmac_f64_e32 v[36:37], v[32:33], v[152:153]
	v_add_f64 v[42:43], v[34:35], v[36:37]
	ds_read_b128 v[34:37], v1 offset:1488
	buffer_load_dword v201, off, s[0:3], 0 offset:860
	buffer_load_dword v200, off, s[0:3], 0 offset:856
	;; [unrolled: 1-line block ×16, first 2 shown]
	ds_read_b128 v[38:41], v1 offset:1504
	buffer_load_dword v223, off, s[0:3], 0 offset:924
	buffer_load_dword v222, off, s[0:3], 0 offset:920
	;; [unrolled: 1-line block ×8, first 2 shown]
	ds_read_b128 v[98:101], v1 offset:1744
	s_waitcnt vmcnt(62) lgkmcnt(2)
	v_mul_f64 v[44:45], v[34:35], v[150:151]
	v_fmac_f64_e32 v[44:45], v[36:37], v[154:155]
	v_add_f64 v[46:47], v[42:43], v[44:45]
	ds_read_b128 v[42:45], v1 offset:1520
	v_fma_f64 v[248:249], v[244:245], v[108:109], -v[106:107]
	ds_read_b128 v[106:109], v1 offset:1776
	v_fma_f64 v[246:247], v[250:251], v[112:113], -v[110:111]
	v_mul_f64 v[20:21], v[20:21], v[132:133]
	v_fma_f64 v[18:19], v[18:19], v[136:137], -v[20:21]
	v_fma_f64 v[14:15], v[14:15], v[124:125], -v[16:17]
	v_mul_f64 v[12:13], v[12:13], v[130:131]
	v_fma_f64 v[10:11], v[10:11], v[134:135], -v[12:13]
	v_mul_f64 v[8:9], v[8:9], v[128:129]
	;; [unrolled: 2-line block ×3, first 2 shown]
	s_waitcnt lgkmcnt(3)
	v_mul_f64 v[48:49], v[38:39], v[172:173]
	v_fma_f64 v[2:3], v[2:3], v[146:147], -v[4:5]
	v_fmac_f64_e32 v[48:49], v[40:41], v[176:177]
	v_add_f64 v[50:51], v[46:47], v[48:49]
	ds_read_b128 v[46:49], v1 offset:1536
	s_waitcnt lgkmcnt(2)
	v_mul_f64 v[52:53], v[42:43], v[156:157]
	v_fmac_f64_e32 v[52:53], v[44:45], v[158:159]
	v_add_f64 v[54:55], v[50:51], v[52:53]
	ds_read_b128 v[50:53], v1 offset:1552
	s_waitcnt lgkmcnt(1)
	v_mul_f64 v[56:57], v[46:47], v[180:181]
	;; [unrolled: 5-line block ×3, first 2 shown]
	v_fmac_f64_e32 v[60:61], v[52:53], v[162:163]
	v_add_f64 v[62:63], v[58:59], v[60:61]
	ds_read_b128 v[58:61], v1 offset:1584
	s_waitcnt vmcnt(58) lgkmcnt(1)
	v_mul_f64 v[64:65], v[54:55], v[188:189]
	s_waitcnt vmcnt(56)
	v_fmac_f64_e32 v[64:65], v[56:57], v[192:193]
	v_add_f64 v[66:67], v[62:63], v[64:65]
	ds_read_b128 v[62:65], v1 offset:1600
	s_waitcnt lgkmcnt(1)
	v_mul_f64 v[68:69], v[58:59], v[164:165]
	v_fmac_f64_e32 v[68:69], v[60:61], v[166:167]
	v_add_f64 v[70:71], v[66:67], v[68:69]
	ds_read_b128 v[66:69], v1 offset:1616
	s_waitcnt vmcnt(50) lgkmcnt(1)
	v_mul_f64 v[72:73], v[62:63], v[196:197]
	s_waitcnt vmcnt(48)
	v_fmac_f64_e32 v[72:73], v[64:65], v[198:199]
	v_add_f64 v[74:75], v[70:71], v[72:73]
	ds_read_b128 v[70:73], v1 offset:1632
	s_waitcnt lgkmcnt(1)
	v_mul_f64 v[76:77], v[66:67], v[168:169]
	;; [unrolled: 11-line block ×3, first 2 shown]
	v_fmac_f64_e32 v[84:85], v[76:77], v[178:179]
	v_add_f64 v[90:91], v[82:83], v[84:85]
	ds_read_b128 v[82:85], v1 offset:1680
	ds_read_b128 v[86:89], v1 offset:1696
	s_waitcnt vmcnt(34) lgkmcnt(2)
	v_mul_f64 v[92:93], v[78:79], v[210:211]
	s_waitcnt vmcnt(32)
	v_fmac_f64_e32 v[92:93], v[80:81], v[216:217]
	v_add_f64 v[90:91], v[90:91], v[92:93]
	s_waitcnt lgkmcnt(1)
	v_mul_f64 v[92:93], v[82:83], v[182:183]
	v_fmac_f64_e32 v[92:93], v[84:85], v[186:187]
	v_add_f64 v[90:91], v[90:91], v[92:93]
	s_waitcnt vmcnt(27) lgkmcnt(0)
	v_mul_f64 v[92:93], v[86:87], v[214:215]
	s_waitcnt vmcnt(25)
	v_fmac_f64_e32 v[92:93], v[88:89], v[218:219]
	v_add_f64 v[118:119], v[90:91], v[92:93]
	ds_read_b128 v[90:93], v1 offset:1712
	ds_read_b128 v[94:97], v1 offset:1728
	;; [unrolled: 1-line block ×3, first 2 shown]
	v_mul_f64 v[4:5], v[28:29], v[138:139]
	v_fma_f64 v[4:5], v[26:27], v[142:143], -v[4:5]
	s_waitcnt lgkmcnt(2)
	v_mul_f64 v[102:103], v[90:91], v[190:191]
	s_waitcnt vmcnt(24)
	v_fmac_f64_e32 v[102:103], v[92:93], v[194:195]
	s_waitcnt vmcnt(18) lgkmcnt(1)
	v_mul_f64 v[104:105], v[94:95], v[220:221]
	v_add_f64 v[102:103], v[118:119], v[102:103]
	s_waitcnt vmcnt(16)
	v_fmac_f64_e32 v[104:105], v[96:97], v[232:233]
	v_add_f64 v[102:103], v[102:103], v[104:105]
	v_mul_f64 v[104:105], v[98:99], v[200:201]
	v_fmac_f64_e32 v[104:105], v[100:101], v[204:205]
	v_add_f64 v[114:115], v[102:103], v[104:105]
	ds_read_b128 v[102:105], v1 offset:1760
	s_waitcnt vmcnt(10) lgkmcnt(0)
	v_mul_f64 v[116:117], v[102:103], v[236:237]
	s_waitcnt vmcnt(8)
	v_fmac_f64_e32 v[116:117], v[104:105], v[238:239]
	v_add_f64 v[114:115], v[114:115], v[116:117]
	v_mul_f64 v[116:117], v[106:107], v[208:209]
	v_fmac_f64_e32 v[116:117], v[108:109], v[212:213]
	v_add_f64 v[114:115], v[114:115], v[116:117]
	s_waitcnt vmcnt(2)
	v_mul_f64 v[116:117], v[110:111], v[240:241]
	s_waitcnt vmcnt(0)
	v_fmac_f64_e32 v[116:117], v[112:113], v[242:243]
	v_add_f64 v[118:119], v[114:115], v[116:117]
	ds_read_b128 v[114:117], v1 offset:1808
	buffer_load_dword v252, off, s[0:3], 0 offset:384
	buffer_load_dword v253, off, s[0:3], 0 offset:388
	s_waitcnt lgkmcnt(0)
	v_mul_f64 v[228:229], v[114:115], v[222:223]
	v_fmac_f64_e32 v[228:229], v[116:117], v[234:235]
	v_add_f64 v[244:245], v[118:119], v[228:229]
	v_add_f64 v[118:119], v[224:225], 0
	;; [unrolled: 1-line block ×4, first 2 shown]
	buffer_load_dword v248, off, s[0:3], 0 offset:392
	buffer_load_dword v249, off, s[0:3], 0 offset:396
	v_add_f64 v[118:119], v[118:119], v[246:247]
	v_add_f64 v[22:23], v[118:119], v[22:23]
	;; [unrolled: 1-line block ×8, first 2 shown]
	v_mul_f64 v[4:5], v[32:33], v[148:149]
	v_fma_f64 v[4:5], v[30:31], v[152:153], -v[4:5]
	v_add_f64 v[2:3], v[2:3], v[4:5]
	v_mul_f64 v[4:5], v[36:37], v[150:151]
	v_fma_f64 v[4:5], v[34:35], v[154:155], -v[4:5]
	v_add_f64 v[2:3], v[2:3], v[4:5]
	;; [unrolled: 3-line block ×22, first 2 shown]
	s_waitcnt vmcnt(2)
	v_add_f64 v[2:3], v[252:253], -v[2:3]
	s_waitcnt vmcnt(0)
	v_add_f64 v[4:5], v[248:249], -v[244:245]
	buffer_store_dword v3, off, s[0:3], 0 offset:388
	buffer_store_dword v2, off, s[0:3], 0 offset:384
	;; [unrolled: 1-line block ×4, first 2 shown]
	s_and_saveexec_b64 s[4:5], vcc
	s_cbranch_execz .LBB120_311
; %bb.310:
	v_accvgpr_read_b32 v0, a148
	buffer_load_dword v2, v0, s[0:3], 0 offen
	buffer_load_dword v3, v0, s[0:3], 0 offen offset:4
	buffer_load_dword v4, v0, s[0:3], 0 offen offset:8
	;; [unrolled: 1-line block ×3, first 2 shown]
	v_accvgpr_read_b32 v0, a171
	buffer_store_dword v1, off, s[0:3], 0 offset:368
	buffer_store_dword v1, off, s[0:3], 0 offset:372
	;; [unrolled: 1-line block ×4, first 2 shown]
	s_waitcnt vmcnt(4)
	ds_write_b128 v0, v[2:5]
.LBB120_311:
	s_or_b64 exec, exec, s[4:5]
	s_waitcnt lgkmcnt(0)
	; wave barrier
	s_waitcnt lgkmcnt(0)
	buffer_load_dword v86, off, s[0:3], 0 offset:384
	buffer_load_dword v87, off, s[0:3], 0 offset:388
	;; [unrolled: 1-line block ×42, first 2 shown]
	ds_read_b128 v[94:97], v1 offset:1280
	ds_read_b128 v[106:109], v1 offset:1296
	;; [unrolled: 1-line block ×10, first 2 shown]
	buffer_load_dword v147, off, s[0:3], 0 offset:532
	buffer_load_dword v146, off, s[0:3], 0 offset:528
	ds_read_b128 v[6:9], v1 offset:1440
	buffer_load_dword v143, off, s[0:3], 0 offset:588
	buffer_load_dword v142, off, s[0:3], 0 offset:584
	;; [unrolled: 1-line block ×80, first 2 shown]
	s_waitcnt vmcnt(62) lgkmcnt(10)
	v_mul_f64 v[26:27], v[94:95], v[88:89]
	v_fmac_f64_e32 v[26:27], v[96:97], v[86:87]
	v_add_f64 v[26:27], v[26:27], 0
	v_mul_f64 v[88:89], v[96:97], v[88:89]
	s_waitcnt lgkmcnt(9)
	v_mul_f64 v[28:29], v[106:107], v[92:93]
	v_fmac_f64_e32 v[28:29], v[108:109], v[90:91]
	s_waitcnt lgkmcnt(8)
	v_mul_f64 v[30:31], v[114:115], v[98:99]
	v_add_f64 v[26:27], v[26:27], v[28:29]
	s_waitcnt lgkmcnt(6)
	v_mul_f64 v[34:35], v[248:249], v[110:111]
	v_fma_f64 v[224:225], v[94:95], v[86:87], -v[88:89]
	v_fmac_f64_e32 v[34:35], v[250:251], v[112:113]
	v_mul_f64 v[92:93], v[108:109], v[92:93]
	v_mul_f64 v[32:33], v[244:245], v[102:103]
	;; [unrolled: 1-line block ×3, first 2 shown]
	s_waitcnt lgkmcnt(4)
	v_mul_f64 v[38:39], v[18:19], v[120:121]
	v_mul_f64 v[102:103], v[246:247], v[102:103]
	v_fmac_f64_e32 v[38:39], v[20:21], v[122:123]
	v_mul_f64 v[110:111], v[250:251], v[110:111]
	v_mul_f64 v[36:37], v[22:23], v[124:125]
	v_fma_f64 v[248:249], v[248:249], v[112:113], -v[110:111]
	s_waitcnt lgkmcnt(2)
	v_mul_f64 v[42:43], v[10:11], v[126:127]
	v_add_f64 v[224:225], v[224:225], 0
	v_mul_f64 v[20:21], v[20:21], v[120:121]
	v_mul_f64 v[40:41], v[14:15], v[132:133]
	v_fma_f64 v[18:19], v[18:19], v[122:123], -v[20:21]
	s_waitcnt lgkmcnt(1)
	v_mul_f64 v[44:45], v[2:3], v[130:131]
	v_fmac_f64_e32 v[30:31], v[116:117], v[100:101]
	v_add_f64 v[26:27], v[26:27], v[30:31]
	v_fmac_f64_e32 v[32:33], v[246:247], v[104:105]
	v_add_f64 v[26:27], v[26:27], v[32:33]
	;; [unrolled: 2-line block ×3, first 2 shown]
	v_add_f64 v[26:27], v[26:27], v[36:37]
	v_fmac_f64_e32 v[40:41], v[16:17], v[134:135]
	v_add_f64 v[26:27], v[26:27], v[38:39]
	v_fmac_f64_e32 v[42:43], v[12:13], v[128:129]
	v_add_f64 v[26:27], v[26:27], v[40:41]
	v_add_f64 v[26:27], v[26:27], v[42:43]
	s_waitcnt lgkmcnt(0)
	v_mul_f64 v[32:33], v[6:7], v[138:139]
	v_fmac_f64_e32 v[44:45], v[4:5], v[146:147]
	v_add_f64 v[30:31], v[26:27], v[44:45]
	ds_read_b128 v[26:29], v1 offset:1456
	v_fmac_f64_e32 v[32:33], v[8:9], v[140:141]
	v_add_f64 v[34:35], v[30:31], v[32:33]
	ds_read_b128 v[30:33], v1 offset:1472
	v_fma_f64 v[226:227], v[114:115], v[100:101], -v[98:99]
	s_waitcnt lgkmcnt(1)
	v_mul_f64 v[36:37], v[26:27], v[148:149]
	v_fmac_f64_e32 v[36:37], v[28:29], v[164:165]
	v_add_f64 v[38:39], v[34:35], v[36:37]
	ds_read_b128 v[34:37], v1 offset:1488
	s_waitcnt lgkmcnt(1)
	v_mul_f64 v[40:41], v[30:31], v[142:143]
	v_fmac_f64_e32 v[40:41], v[32:33], v[144:145]
	v_add_f64 v[42:43], v[38:39], v[40:41]
	ds_read_b128 v[38:41], v1 offset:1504
	;; [unrolled: 5-line block ×4, first 2 shown]
	s_waitcnt vmcnt(58) lgkmcnt(1)
	v_mul_f64 v[52:53], v[42:43], v[176:177]
	s_waitcnt vmcnt(56)
	v_fmac_f64_e32 v[52:53], v[44:45], v[180:181]
	v_add_f64 v[54:55], v[50:51], v[52:53]
	ds_read_b128 v[50:53], v1 offset:1552
	buffer_load_dword v232, off, s[0:3], 0 offset:904
	buffer_load_dword v237, off, s[0:3], 0 offset:892
	;; [unrolled: 1-line block ×8, first 2 shown]
	s_waitcnt lgkmcnt(1)
	v_mul_f64 v[56:57], v[46:47], v[154:155]
	v_fmac_f64_e32 v[56:57], v[48:49], v[156:157]
	v_add_f64 v[58:59], v[54:55], v[56:57]
	ds_read_b128 v[54:57], v1 offset:1568
	s_waitcnt vmcnt(58) lgkmcnt(1)
	v_mul_f64 v[60:61], v[50:51], v[184:185]
	s_waitcnt vmcnt(56)
	v_fmac_f64_e32 v[60:61], v[52:53], v[188:189]
	buffer_load_dword v241, off, s[0:3], 0 offset:924
	buffer_load_dword v240, off, s[0:3], 0 offset:920
	;; [unrolled: 1-line block ×4, first 2 shown]
	v_add_f64 v[62:63], v[58:59], v[60:61]
	ds_read_b128 v[58:61], v1 offset:1584
	s_waitcnt lgkmcnt(1)
	v_mul_f64 v[64:65], v[54:55], v[158:159]
	v_fmac_f64_e32 v[64:65], v[56:57], v[160:161]
	v_add_f64 v[66:67], v[62:63], v[64:65]
	ds_read_b128 v[62:65], v1 offset:1600
	s_waitcnt vmcnt(54) lgkmcnt(1)
	v_mul_f64 v[68:69], v[58:59], v[192:193]
	s_waitcnt vmcnt(52)
	v_fmac_f64_e32 v[68:69], v[60:61], v[196:197]
	v_add_f64 v[70:71], v[66:67], v[68:69]
	ds_read_b128 v[66:69], v1 offset:1616
	s_waitcnt lgkmcnt(1)
	v_mul_f64 v[72:73], v[62:63], v[162:163]
	v_fmac_f64_e32 v[72:73], v[64:65], v[166:167]
	v_add_f64 v[74:75], v[70:71], v[72:73]
	ds_read_b128 v[70:73], v1 offset:1632
	s_waitcnt vmcnt(46) lgkmcnt(1)
	v_mul_f64 v[76:77], v[66:67], v[200:201]
	s_waitcnt vmcnt(44)
	v_fmac_f64_e32 v[76:77], v[68:69], v[204:205]
	v_add_f64 v[82:83], v[74:75], v[76:77]
	ds_read_b128 v[74:77], v1 offset:1648
	ds_read_b128 v[78:81], v1 offset:1664
	s_waitcnt lgkmcnt(2)
	v_mul_f64 v[84:85], v[70:71], v[170:171]
	v_fmac_f64_e32 v[84:85], v[72:73], v[174:175]
	v_add_f64 v[82:83], v[82:83], v[84:85]
	s_waitcnt vmcnt(38) lgkmcnt(1)
	v_mul_f64 v[84:85], v[74:75], v[208:209]
	s_waitcnt vmcnt(36)
	v_fmac_f64_e32 v[84:85], v[76:77], v[210:211]
	v_add_f64 v[82:83], v[82:83], v[84:85]
	s_waitcnt lgkmcnt(0)
	v_mul_f64 v[84:85], v[78:79], v[178:179]
	v_fmac_f64_e32 v[84:85], v[80:81], v[182:183]
	v_add_f64 v[118:119], v[82:83], v[84:85]
	ds_read_b128 v[82:85], v1 offset:1680
	ds_read_b128 v[86:89], v1 offset:1696
	;; [unrolled: 1-line block ×3, first 2 shown]
	v_fma_f64 v[246:247], v[244:245], v[104:105], -v[102:103]
	ds_read_b128 v[102:105], v1 offset:1776
	ds_read_b128 v[110:113], v1 offset:1792
	s_waitcnt vmcnt(30) lgkmcnt(4)
	v_mul_f64 v[94:95], v[82:83], v[212:213]
	s_waitcnt vmcnt(28)
	v_fmac_f64_e32 v[94:95], v[84:85], v[214:215]
	v_add_f64 v[94:95], v[118:119], v[94:95]
	v_fma_f64 v[118:119], v[106:107], v[90:91], -v[92:93]
	ds_read_b128 v[90:93], v1 offset:1712
	s_waitcnt lgkmcnt(4)
	v_mul_f64 v[96:97], v[86:87], v[186:187]
	v_fmac_f64_e32 v[96:97], v[88:89], v[190:191]
	v_add_f64 v[106:107], v[94:95], v[96:97]
	ds_read_b128 v[94:97], v1 offset:1728
	s_waitcnt vmcnt(22) lgkmcnt(1)
	v_mul_f64 v[108:109], v[90:91], v[216:217]
	s_waitcnt vmcnt(20)
	v_fmac_f64_e32 v[108:109], v[92:93], v[218:219]
	v_add_f64 v[106:107], v[106:107], v[108:109]
	v_add_f64 v[118:119], v[224:225], v[118:119]
	s_waitcnt lgkmcnt(0)
	v_mul_f64 v[108:109], v[94:95], v[194:195]
	v_fmac_f64_e32 v[108:109], v[96:97], v[198:199]
	v_add_f64 v[114:115], v[106:107], v[108:109]
	ds_read_b128 v[106:109], v1 offset:1760
	s_waitcnt vmcnt(14)
	v_mul_f64 v[116:117], v[98:99], v[220:221]
	s_waitcnt vmcnt(12)
	v_fmac_f64_e32 v[116:117], v[100:101], v[222:223]
	v_add_f64 v[114:115], v[114:115], v[116:117]
	v_add_f64 v[250:251], v[118:119], v[226:227]
	s_waitcnt lgkmcnt(0)
	v_mul_f64 v[116:117], v[106:107], v[202:203]
	v_fmac_f64_e32 v[116:117], v[108:109], v[206:207]
	v_add_f64 v[114:115], v[114:115], v[116:117]
	v_add_f64 v[118:119], v[250:251], v[246:247]
	v_mul_f64 v[24:25], v[24:25], v[124:125]
	v_add_f64 v[118:119], v[118:119], v[248:249]
	v_fma_f64 v[22:23], v[22:23], v[136:137], -v[24:25]
	v_add_f64 v[22:23], v[118:119], v[22:23]
	v_mul_f64 v[16:17], v[16:17], v[132:133]
	v_add_f64 v[18:19], v[22:23], v[18:19]
	v_fma_f64 v[14:15], v[14:15], v[134:135], -v[16:17]
	v_mul_f64 v[12:13], v[12:13], v[126:127]
	s_waitcnt vmcnt(9)
	v_mul_f64 v[116:117], v[102:103], v[236:237]
	v_add_f64 v[14:15], v[18:19], v[14:15]
	s_waitcnt vmcnt(7)
	v_fmac_f64_e32 v[116:117], v[104:105], v[238:239]
	v_add_f64 v[114:115], v[114:115], v[116:117]
	s_waitcnt vmcnt(5)
	v_mul_f64 v[116:117], v[110:111], v[232:233]
	s_waitcnt vmcnt(4)
	v_fmac_f64_e32 v[116:117], v[112:113], v[234:235]
	v_add_f64 v[228:229], v[114:115], v[116:117]
	ds_read_b128 v[114:117], v1 offset:1808
	buffer_load_dword v254, off, s[0:3], 0 offset:368
	buffer_load_dword v255, off, s[0:3], 0 offset:372
	;; [unrolled: 1-line block ×4, first 2 shown]
	v_fma_f64 v[10:11], v[10:11], v[128:129], -v[12:13]
	v_mul_f64 v[4:5], v[4:5], v[130:131]
	v_add_f64 v[10:11], v[14:15], v[10:11]
	v_fma_f64 v[2:3], v[2:3], v[146:147], -v[4:5]
	v_mul_f64 v[4:5], v[8:9], v[138:139]
	v_add_f64 v[2:3], v[10:11], v[2:3]
	v_fma_f64 v[4:5], v[6:7], v[140:141], -v[4:5]
	v_add_f64 v[2:3], v[2:3], v[4:5]
	v_mul_f64 v[4:5], v[28:29], v[148:149]
	v_fma_f64 v[4:5], v[26:27], v[164:165], -v[4:5]
	v_add_f64 v[2:3], v[2:3], v[4:5]
	v_mul_f64 v[4:5], v[32:33], v[142:143]
	;; [unrolled: 3-line block ×22, first 2 shown]
	v_fma_f64 v[4:5], v[110:111], v[234:235], -v[4:5]
	v_add_f64 v[2:3], v[2:3], v[4:5]
	s_waitcnt vmcnt(6) lgkmcnt(0)
	v_mul_f64 v[4:5], v[116:117], v[240:241]
	s_waitcnt vmcnt(4)
	v_fma_f64 v[4:5], v[114:115], v[242:243], -v[4:5]
	v_mul_f64 v[230:231], v[114:115], v[240:241]
	v_add_f64 v[2:3], v[2:3], v[4:5]
	v_fmac_f64_e32 v[230:231], v[116:117], v[242:243]
	s_waitcnt vmcnt(2)
	v_add_f64 v[2:3], v[254:255], -v[2:3]
	v_accvgpr_read_b32 v254, a170
	v_add_f64 v[244:245], v[228:229], v[230:231]
	v_cmp_lt_u32_e32 vcc, 21, v254
	s_waitcnt vmcnt(0)
	v_add_f64 v[4:5], v[252:253], -v[244:245]
	buffer_store_dword v3, off, s[0:3], 0 offset:372
	buffer_store_dword v2, off, s[0:3], 0 offset:368
	;; [unrolled: 1-line block ×4, first 2 shown]
	s_and_saveexec_b64 s[4:5], vcc
	s_cbranch_execz .LBB120_313
; %bb.312:
	v_accvgpr_read_b32 v0, a149
	buffer_load_dword v2, v0, s[0:3], 0 offen
	buffer_load_dword v3, v0, s[0:3], 0 offen offset:4
	buffer_load_dword v4, v0, s[0:3], 0 offen offset:8
	;; [unrolled: 1-line block ×3, first 2 shown]
	v_mov_b32_e32 v0, 0
	v_accvgpr_read_b32 v1, a171
	buffer_store_dword v0, off, s[0:3], 0 offset:352
	buffer_store_dword v0, off, s[0:3], 0 offset:356
	;; [unrolled: 1-line block ×4, first 2 shown]
	s_waitcnt vmcnt(4)
	ds_write_b128 v1, v[2:5]
.LBB120_313:
	s_or_b64 exec, exec, s[4:5]
	s_waitcnt lgkmcnt(0)
	; wave barrier
	s_waitcnt lgkmcnt(0)
	buffer_load_dword v82, off, s[0:3], 0 offset:368
	buffer_load_dword v83, off, s[0:3], 0 offset:372
	;; [unrolled: 1-line block ×54, first 2 shown]
	v_mov_b32_e32 v1, 0
	ds_read_b128 v[90:93], v1 offset:1264
	ds_read_b128 v[106:109], v1 offset:1280
	;; [unrolled: 1-line block ×9, first 2 shown]
	buffer_load_dword v151, off, s[0:3], 0 offset:596
	buffer_load_dword v150, off, s[0:3], 0 offset:592
	;; [unrolled: 1-line block ×62, first 2 shown]
	v_cmp_lt_u32_e32 vcc, 20, v254
	s_waitcnt vmcnt(62) lgkmcnt(8)
	v_mul_f64 v[14:15], v[90:91], v[84:85]
	v_fmac_f64_e32 v[14:15], v[92:93], v[82:83]
	v_add_f64 v[14:15], v[14:15], 0
	v_mul_f64 v[84:85], v[92:93], v[84:85]
	s_waitcnt lgkmcnt(7)
	v_mul_f64 v[16:17], v[106:107], v[88:89]
	v_fmac_f64_e32 v[16:17], v[108:109], v[86:87]
	s_waitcnt lgkmcnt(6)
	v_mul_f64 v[18:19], v[114:115], v[94:95]
	v_add_f64 v[14:15], v[14:15], v[16:17]
	s_waitcnt lgkmcnt(4)
	v_mul_f64 v[22:23], v[246:247], v[102:103]
	v_fma_f64 v[224:225], v[90:91], v[82:83], -v[84:85]
	v_fmac_f64_e32 v[22:23], v[248:249], v[104:105]
	v_mul_f64 v[88:89], v[108:109], v[88:89]
	v_mul_f64 v[20:21], v[242:243], v[98:99]
	v_fma_f64 v[226:227], v[106:107], v[86:87], -v[88:89]
	s_waitcnt lgkmcnt(2)
	v_mul_f64 v[26:27], v[10:11], v[120:121]
	v_mul_f64 v[94:95], v[116:117], v[94:95]
	v_fmac_f64_e32 v[26:27], v[12:13], v[122:123]
	v_mul_f64 v[98:99], v[244:245], v[98:99]
	v_mul_f64 v[24:25], v[250:251], v[110:111]
	;; [unrolled: 1-line block ×3, first 2 shown]
	s_waitcnt lgkmcnt(1)
	v_mul_f64 v[28:29], v[6:7], v[124:125]
	v_mul_f64 v[110:111], v[252:253], v[110:111]
	v_fmac_f64_e32 v[18:19], v[116:117], v[96:97]
	v_add_f64 v[14:15], v[14:15], v[18:19]
	v_fmac_f64_e32 v[20:21], v[244:245], v[100:101]
	v_add_f64 v[14:15], v[14:15], v[20:21]
	;; [unrolled: 2-line block ×3, first 2 shown]
	v_add_f64 v[14:15], v[14:15], v[24:25]
	v_fmac_f64_e32 v[28:29], v[8:9], v[128:129]
	v_add_f64 v[14:15], v[14:15], v[26:27]
	v_add_f64 v[18:19], v[14:15], v[28:29]
	ds_read_b128 v[14:17], v1 offset:1408
	s_waitcnt lgkmcnt(1)
	v_mul_f64 v[20:21], v[2:3], v[126:127]
	v_fmac_f64_e32 v[20:21], v[4:5], v[130:131]
	v_add_f64 v[22:23], v[18:19], v[20:21]
	ds_read_b128 v[18:21], v1 offset:1424
	s_waitcnt lgkmcnt(1)
	v_mul_f64 v[24:25], v[14:15], v[136:137]
	v_fmac_f64_e32 v[24:25], v[16:17], v[138:139]
	v_add_f64 v[26:27], v[22:23], v[24:25]
	ds_read_b128 v[22:25], v1 offset:1440
	s_waitcnt lgkmcnt(1)
	v_mul_f64 v[28:29], v[18:19], v[132:133]
	v_fmac_f64_e32 v[28:29], v[20:21], v[134:135]
	v_add_f64 v[30:31], v[26:27], v[28:29]
	ds_read_b128 v[26:29], v1 offset:1456
	s_waitcnt lgkmcnt(1)
	v_mul_f64 v[32:33], v[22:23], v[146:147]
	v_fmac_f64_e32 v[32:33], v[24:25], v[148:149]
	v_add_f64 v[34:35], v[30:31], v[32:33]
	ds_read_b128 v[30:33], v1 offset:1472
	s_waitcnt lgkmcnt(1)
	v_mul_f64 v[36:37], v[26:27], v[140:141]
	v_fmac_f64_e32 v[36:37], v[28:29], v[142:143]
	v_add_f64 v[38:39], v[34:35], v[36:37]
	ds_read_b128 v[34:37], v1 offset:1488
	s_waitcnt vmcnt(58) lgkmcnt(1)
	v_mul_f64 v[40:41], v[30:31], v[164:165]
	s_waitcnt vmcnt(56)
	v_fmac_f64_e32 v[40:41], v[32:33], v[168:169]
	v_add_f64 v[42:43], v[38:39], v[40:41]
	ds_read_b128 v[38:41], v1 offset:1504
	s_waitcnt lgkmcnt(1)
	v_mul_f64 v[44:45], v[34:35], v[144:145]
	v_fmac_f64_e32 v[44:45], v[36:37], v[150:151]
	v_add_f64 v[46:47], v[42:43], v[44:45]
	ds_read_b128 v[42:45], v1 offset:1520
	s_waitcnt vmcnt(50) lgkmcnt(1)
	v_mul_f64 v[48:49], v[38:39], v[172:173]
	s_waitcnt vmcnt(48)
	v_fmac_f64_e32 v[48:49], v[40:41], v[176:177]
	v_add_f64 v[50:51], v[46:47], v[48:49]
	ds_read_b128 v[46:49], v1 offset:1536
	buffer_load_dword v213, off, s[0:3], 0 offset:844
	buffer_load_dword v212, off, s[0:3], 0 offset:840
	;; [unrolled: 1-line block ×8, first 2 shown]
	s_waitcnt lgkmcnt(1)
	v_mul_f64 v[52:53], v[42:43], v[152:153]
	v_fmac_f64_e32 v[52:53], v[44:45], v[154:155]
	v_add_f64 v[54:55], v[50:51], v[52:53]
	ds_read_b128 v[50:53], v1 offset:1552
	s_waitcnt vmcnt(50) lgkmcnt(1)
	v_mul_f64 v[56:57], v[46:47], v[180:181]
	s_waitcnt vmcnt(48)
	v_fmac_f64_e32 v[56:57], v[48:49], v[184:185]
	buffer_load_dword v217, off, s[0:3], 0 offset:892
	buffer_load_dword v223, off, s[0:3], 0 offset:876
	;; [unrolled: 1-line block ×12, first 2 shown]
	v_add_f64 v[58:59], v[54:55], v[56:57]
	ds_read_b128 v[54:57], v1 offset:1568
	s_waitcnt lgkmcnt(1)
	v_mul_f64 v[60:61], v[50:51], v[156:157]
	v_fmac_f64_e32 v[60:61], v[52:53], v[158:159]
	v_add_f64 v[62:63], v[58:59], v[60:61]
	ds_read_b128 v[58:61], v1 offset:1584
	s_waitcnt vmcnt(54) lgkmcnt(1)
	v_mul_f64 v[64:65], v[54:55], v[188:189]
	s_waitcnt vmcnt(52)
	v_fmac_f64_e32 v[64:65], v[56:57], v[192:193]
	v_add_f64 v[66:67], v[62:63], v[64:65]
	ds_read_b128 v[62:65], v1 offset:1600
	s_waitcnt lgkmcnt(1)
	v_mul_f64 v[68:69], v[58:59], v[160:161]
	v_fmac_f64_e32 v[68:69], v[60:61], v[162:163]
	v_add_f64 v[70:71], v[66:67], v[68:69]
	ds_read_b128 v[66:69], v1 offset:1616
	s_waitcnt vmcnt(46) lgkmcnt(1)
	v_mul_f64 v[72:73], v[62:63], v[196:197]
	s_waitcnt vmcnt(44)
	v_fmac_f64_e32 v[72:73], v[64:65], v[198:199]
	v_add_f64 v[78:79], v[70:71], v[72:73]
	ds_read_b128 v[70:73], v1 offset:1632
	ds_read_b128 v[74:77], v1 offset:1648
	s_waitcnt lgkmcnt(2)
	v_mul_f64 v[80:81], v[66:67], v[166:167]
	v_fmac_f64_e32 v[80:81], v[68:69], v[170:171]
	v_add_f64 v[78:79], v[78:79], v[80:81]
	s_waitcnt vmcnt(38) lgkmcnt(1)
	v_mul_f64 v[80:81], v[70:71], v[200:201]
	s_waitcnt vmcnt(36)
	v_fmac_f64_e32 v[80:81], v[72:73], v[202:203]
	v_add_f64 v[78:79], v[78:79], v[80:81]
	s_waitcnt lgkmcnt(0)
	v_mul_f64 v[80:81], v[74:75], v[174:175]
	v_fmac_f64_e32 v[80:81], v[76:77], v[178:179]
	v_add_f64 v[118:119], v[78:79], v[80:81]
	ds_read_b128 v[78:81], v1 offset:1664
	ds_read_b128 v[82:85], v1 offset:1680
	;; [unrolled: 1-line block ×3, first 2 shown]
	v_fma_f64 v[228:229], v[242:243], v[100:101], -v[98:99]
	ds_read_b128 v[98:101], v1 offset:1744
	s_waitcnt vmcnt(30) lgkmcnt(3)
	v_mul_f64 v[90:91], v[78:79], v[204:205]
	s_waitcnt vmcnt(28)
	v_fmac_f64_e32 v[90:91], v[80:81], v[206:207]
	s_waitcnt lgkmcnt(2)
	v_mul_f64 v[92:93], v[82:83], v[182:183]
	v_add_f64 v[90:91], v[118:119], v[90:91]
	v_fmac_f64_e32 v[92:93], v[84:85], v[186:187]
	v_add_f64 v[90:91], v[90:91], v[92:93]
	v_fma_f64 v[118:119], v[114:115], v[96:97], -v[94:95]
	ds_read_b128 v[94:97], v1 offset:1728
	s_waitcnt vmcnt(22) lgkmcnt(2)
	v_mul_f64 v[92:93], v[86:87], v[208:209]
	s_waitcnt vmcnt(20)
	v_fmac_f64_e32 v[92:93], v[88:89], v[210:211]
	v_add_f64 v[106:107], v[90:91], v[92:93]
	ds_read_b128 v[90:93], v1 offset:1712
	buffer_load_dword v240, off, s[0:3], 0 offset:920
	v_fma_f64 v[230:231], v[246:247], v[104:105], -v[102:103]
	ds_read_b128 v[102:105], v1 offset:1760
	v_fma_f64 v[250:251], v[250:251], v[112:113], -v[110:111]
	s_waitcnt lgkmcnt(1)
	v_mul_f64 v[108:109], v[90:91], v[190:191]
	v_fmac_f64_e32 v[108:109], v[92:93], v[194:195]
	v_add_f64 v[106:107], v[106:107], v[108:109]
	ds_read_b128 v[110:113], v1 offset:1792
	v_add_f64 v[224:225], v[224:225], 0
	v_add_f64 v[224:225], v[224:225], v[226:227]
	;; [unrolled: 1-line block ×5, first 2 shown]
	v_mul_f64 v[12:13], v[12:13], v[120:121]
	v_add_f64 v[118:119], v[252:253], v[250:251]
	v_fma_f64 v[10:11], v[10:11], v[122:123], -v[12:13]
	v_mul_f64 v[8:9], v[8:9], v[124:125]
	v_add_f64 v[10:11], v[118:119], v[10:11]
	v_fma_f64 v[6:7], v[6:7], v[128:129], -v[8:9]
	;; [unrolled: 3-line block ×3, first 2 shown]
	v_mul_f64 v[4:5], v[16:17], v[136:137]
	v_add_f64 v[2:3], v[6:7], v[2:3]
	s_waitcnt vmcnt(19)
	v_mul_f64 v[108:109], v[94:95], v[212:213]
	v_fma_f64 v[4:5], v[14:15], v[138:139], -v[4:5]
	s_waitcnt vmcnt(17)
	v_fmac_f64_e32 v[108:109], v[96:97], v[214:215]
	v_add_f64 v[106:107], v[106:107], v[108:109]
	s_waitcnt vmcnt(15)
	v_mul_f64 v[108:109], v[98:99], v[218:219]
	s_waitcnt vmcnt(13)
	v_fmac_f64_e32 v[108:109], v[100:101], v[220:221]
	v_add_f64 v[114:115], v[106:107], v[108:109]
	ds_read_b128 v[106:109], v1 offset:1776
	buffer_load_dword v244, off, s[0:3], 0 offset:912
	buffer_load_dword v241, off, s[0:3], 0 offset:924
	;; [unrolled: 1-line block ×3, first 2 shown]
	s_waitcnt vmcnt(13) lgkmcnt(2)
	v_mul_f64 v[116:117], v[102:103], v[222:223]
	s_waitcnt vmcnt(11)
	v_fmac_f64_e32 v[116:117], v[104:105], v[236:237]
	v_add_f64 v[114:115], v[114:115], v[116:117]
	s_waitcnt vmcnt(10) lgkmcnt(0)
	v_mul_f64 v[116:117], v[106:107], v[216:217]
	s_waitcnt vmcnt(8)
	v_fmac_f64_e32 v[116:117], v[108:109], v[234:235]
	v_add_f64 v[114:115], v[114:115], v[116:117]
	s_waitcnt vmcnt(6)
	v_mul_f64 v[116:117], v[110:111], v[232:233]
	s_waitcnt vmcnt(4)
	v_fmac_f64_e32 v[116:117], v[112:113], v[238:239]
	v_add_f64 v[242:243], v[114:115], v[116:117]
	ds_read_b128 v[114:117], v1 offset:1808
	buffer_load_dword v248, off, s[0:3], 0 offset:352
	buffer_load_dword v249, off, s[0:3], 0 offset:356
	v_add_f64 v[2:3], v[2:3], v[4:5]
	v_mul_f64 v[4:5], v[20:21], v[132:133]
	v_fma_f64 v[4:5], v[18:19], v[134:135], -v[4:5]
	v_add_f64 v[2:3], v[2:3], v[4:5]
	v_mul_f64 v[4:5], v[24:25], v[146:147]
	v_fma_f64 v[4:5], v[22:23], v[148:149], -v[4:5]
	;; [unrolled: 3-line block ×22, first 2 shown]
	v_add_f64 v[2:3], v[2:3], v[4:5]
	s_waitcnt vmcnt(3) lgkmcnt(0)
	v_mul_f64 v[246:247], v[114:115], v[240:241]
	s_waitcnt vmcnt(2)
	v_fmac_f64_e32 v[246:247], v[116:117], v[244:245]
	v_add_f64 v[242:243], v[242:243], v[246:247]
	buffer_load_dword v246, off, s[0:3], 0 offset:360
	buffer_load_dword v247, off, s[0:3], 0 offset:364
	v_mul_f64 v[4:5], v[108:109], v[216:217]
	v_fma_f64 v[4:5], v[106:107], v[234:235], -v[4:5]
	v_add_f64 v[2:3], v[2:3], v[4:5]
	v_mul_f64 v[4:5], v[112:113], v[232:233]
	v_fma_f64 v[4:5], v[110:111], v[238:239], -v[4:5]
	v_add_f64 v[2:3], v[2:3], v[4:5]
	;; [unrolled: 3-line block ×3, first 2 shown]
	s_waitcnt vmcnt(2)
	v_add_f64 v[2:3], v[248:249], -v[2:3]
	s_waitcnt vmcnt(0)
	v_add_f64 v[4:5], v[246:247], -v[242:243]
	buffer_store_dword v3, off, s[0:3], 0 offset:356
	buffer_store_dword v2, off, s[0:3], 0 offset:352
	;; [unrolled: 1-line block ×4, first 2 shown]
	s_and_saveexec_b64 s[4:5], vcc
	s_cbranch_execz .LBB120_315
; %bb.314:
	v_accvgpr_read_b32 v0, a150
	buffer_load_dword v2, v0, s[0:3], 0 offen
	buffer_load_dword v3, v0, s[0:3], 0 offen offset:4
	buffer_load_dword v4, v0, s[0:3], 0 offen offset:8
	;; [unrolled: 1-line block ×3, first 2 shown]
	v_accvgpr_read_b32 v0, a171
	buffer_store_dword v1, off, s[0:3], 0 offset:336
	buffer_store_dword v1, off, s[0:3], 0 offset:340
	;; [unrolled: 1-line block ×4, first 2 shown]
	s_waitcnt vmcnt(4)
	ds_write_b128 v0, v[2:5]
.LBB120_315:
	s_or_b64 exec, exec, s[4:5]
	s_waitcnt lgkmcnt(0)
	; wave barrier
	s_waitcnt lgkmcnt(0)
	buffer_load_dword v84, off, s[0:3], 0 offset:352
	buffer_load_dword v85, off, s[0:3], 0 offset:356
	;; [unrolled: 1-line block ×34, first 2 shown]
	ds_read_b128 v[74:77], v1 offset:1248
	ds_read_b128 v[78:81], v1 offset:1264
	;; [unrolled: 1-line block ×8, first 2 shown]
	buffer_load_dword v127, off, s[0:3], 0 offset:468
	buffer_load_dword v126, off, s[0:3], 0 offset:464
	ds_read_b128 v[6:9], v1 offset:1376
	buffer_load_dword v129, off, s[0:3], 0 offset:524
	buffer_load_dword v128, off, s[0:3], 0 offset:520
	;; [unrolled: 1-line block ×80, first 2 shown]
	s_waitcnt vmcnt(62) lgkmcnt(8)
	v_mul_f64 v[10:11], v[74:75], v[106:107]
	v_fmac_f64_e32 v[10:11], v[76:77], v[84:85]
	v_add_f64 v[10:11], v[10:11], 0
	v_mul_f64 v[76:77], v[76:77], v[106:107]
	s_waitcnt lgkmcnt(7)
	v_mul_f64 v[12:13], v[78:79], v[96:97]
	v_fmac_f64_e32 v[12:13], v[80:81], v[82:83]
	s_waitcnt lgkmcnt(6)
	v_mul_f64 v[14:15], v[86:87], v[94:95]
	v_add_f64 v[10:11], v[10:11], v[12:13]
	s_waitcnt lgkmcnt(4)
	v_mul_f64 v[18:19], v[98:99], v[108:109]
	v_fma_f64 v[224:225], v[74:75], v[84:85], -v[76:77]
	v_fmac_f64_e32 v[18:19], v[100:101], v[114:115]
	v_mul_f64 v[80:81], v[80:81], v[96:97]
	v_mul_f64 v[16:17], v[90:91], v[116:117]
	v_fma_f64 v[226:227], v[78:79], v[82:83], -v[80:81]
	s_waitcnt lgkmcnt(2)
	v_mul_f64 v[22:23], v[110:111], v[240:241]
	v_mul_f64 v[100:101], v[100:101], v[108:109]
	v_fma_f64 v[230:231], v[98:99], v[114:115], -v[100:101]
	v_mul_f64 v[20:21], v[102:103], v[244:245]
	v_add_f64 v[224:225], v[224:225], 0
	s_waitcnt lgkmcnt(1)
	v_mul_f64 v[24:25], v[2:3], v[120:121]
	v_add_f64 v[224:225], v[224:225], v[226:227]
	v_fmac_f64_e32 v[14:15], v[88:89], v[250:251]
	v_add_f64 v[10:11], v[10:11], v[14:15]
	v_fmac_f64_e32 v[16:17], v[92:93], v[248:249]
	;; [unrolled: 2-line block ×4, first 2 shown]
	v_add_f64 v[10:11], v[10:11], v[20:21]
	v_add_f64 v[10:11], v[10:11], v[22:23]
	s_waitcnt lgkmcnt(0)
	v_mul_f64 v[16:17], v[6:7], v[122:123]
	v_fmac_f64_e32 v[16:17], v[8:9], v[124:125]
	v_fmac_f64_e32 v[24:25], v[4:5], v[126:127]
	v_add_f64 v[14:15], v[10:11], v[24:25]
	ds_read_b128 v[10:13], v1 offset:1392
	v_add_f64 v[18:19], v[14:15], v[16:17]
	ds_read_b128 v[14:17], v1 offset:1408
	v_mul_f64 v[88:89], v[88:89], v[94:95]
	v_mul_f64 v[92:93], v[92:93], v[116:117]
	s_waitcnt lgkmcnt(1)
	v_mul_f64 v[20:21], v[10:11], v[132:133]
	v_fmac_f64_e32 v[20:21], v[12:13], v[134:135]
	s_waitcnt lgkmcnt(0)
	v_mul_f64 v[24:25], v[14:15], v[128:129]
	v_add_f64 v[22:23], v[18:19], v[20:21]
	ds_read_b128 v[18:21], v1 offset:1424
	v_fmac_f64_e32 v[24:25], v[16:17], v[130:131]
	v_add_f64 v[26:27], v[22:23], v[24:25]
	ds_read_b128 v[22:25], v1 offset:1440
	v_fma_f64 v[228:229], v[90:91], v[248:249], -v[92:93]
	s_waitcnt lgkmcnt(1)
	v_mul_f64 v[28:29], v[18:19], v[144:145]
	v_fmac_f64_e32 v[28:29], v[20:21], v[146:147]
	v_add_f64 v[30:31], v[26:27], v[28:29]
	s_waitcnt lgkmcnt(0)
	v_mul_f64 v[32:33], v[22:23], v[136:137]
	ds_read_b128 v[26:29], v1 offset:1456
	v_fmac_f64_e32 v[32:33], v[24:25], v[138:139]
	v_add_f64 v[34:35], v[30:31], v[32:33]
	ds_read_b128 v[30:33], v1 offset:1472
	v_mul_f64 v[104:105], v[104:105], v[244:245]
	s_waitcnt vmcnt(58) lgkmcnt(1)
	v_mul_f64 v[36:37], v[26:27], v[160:161]
	s_waitcnt vmcnt(56)
	v_fmac_f64_e32 v[36:37], v[28:29], v[164:165]
	v_add_f64 v[38:39], v[34:35], v[36:37]
	s_waitcnt lgkmcnt(0)
	v_mul_f64 v[40:41], v[30:31], v[140:141]
	ds_read_b128 v[34:37], v1 offset:1488
	v_fmac_f64_e32 v[40:41], v[32:33], v[142:143]
	v_add_f64 v[42:43], v[38:39], v[40:41]
	ds_read_b128 v[38:41], v1 offset:1504
	v_mul_f64 v[112:113], v[112:113], v[240:241]
	s_waitcnt vmcnt(50) lgkmcnt(1)
	v_mul_f64 v[44:45], v[34:35], v[168:169]
	s_waitcnt vmcnt(48)
	v_fmac_f64_e32 v[44:45], v[36:37], v[172:173]
	v_add_f64 v[46:47], v[42:43], v[44:45]
	s_waitcnt lgkmcnt(0)
	v_mul_f64 v[48:49], v[38:39], v[148:149]
	v_fmac_f64_e32 v[48:49], v[40:41], v[150:151]
	ds_read_b128 v[42:45], v1 offset:1520
	v_add_f64 v[50:51], v[46:47], v[48:49]
	ds_read_b128 v[46:49], v1 offset:1536
	buffer_load_dword v209, off, s[0:3], 0 offset:844
	buffer_load_dword v211, off, s[0:3], 0 offset:828
	;; [unrolled: 1-line block ×12, first 2 shown]
	v_fma_f64 v[252:253], v[110:111], v[242:243], -v[112:113]
	s_waitcnt vmcnt(54) lgkmcnt(1)
	v_mul_f64 v[52:53], v[42:43], v[176:177]
	s_waitcnt vmcnt(52)
	v_fmac_f64_e32 v[52:53], v[44:45], v[180:181]
	v_add_f64 v[54:55], v[50:51], v[52:53]
	ds_read_b128 v[50:53], v1 offset:1552
	s_waitcnt lgkmcnt(1)
	v_mul_f64 v[56:57], v[46:47], v[152:153]
	v_fmac_f64_e32 v[56:57], v[48:49], v[154:155]
	buffer_load_dword v223, off, s[0:3], 0 offset:876
	buffer_load_dword v222, off, s[0:3], 0 offset:872
	;; [unrolled: 1-line block ×12, first 2 shown]
	v_add_f64 v[58:59], v[54:55], v[56:57]
	ds_read_b128 v[54:57], v1 offset:1568
	s_waitcnt vmcnt(58) lgkmcnt(1)
	v_mul_f64 v[60:61], v[50:51], v[184:185]
	s_waitcnt vmcnt(56)
	v_fmac_f64_e32 v[60:61], v[52:53], v[188:189]
	v_add_f64 v[62:63], v[58:59], v[60:61]
	ds_read_b128 v[58:61], v1 offset:1584
	s_waitcnt lgkmcnt(1)
	v_mul_f64 v[64:65], v[54:55], v[156:157]
	v_fmac_f64_e32 v[64:65], v[56:57], v[158:159]
	v_add_f64 v[70:71], v[62:63], v[64:65]
	ds_read_b128 v[62:65], v1 offset:1600
	ds_read_b128 v[66:69], v1 offset:1616
	s_waitcnt vmcnt(50) lgkmcnt(2)
	v_mul_f64 v[72:73], v[58:59], v[192:193]
	s_waitcnt vmcnt(48)
	v_fmac_f64_e32 v[72:73], v[60:61], v[194:195]
	v_add_f64 v[70:71], v[70:71], v[72:73]
	s_waitcnt lgkmcnt(1)
	v_mul_f64 v[72:73], v[62:63], v[162:163]
	v_fmac_f64_e32 v[72:73], v[64:65], v[166:167]
	v_add_f64 v[70:71], v[70:71], v[72:73]
	s_waitcnt vmcnt(42) lgkmcnt(0)
	v_mul_f64 v[72:73], v[66:67], v[196:197]
	s_waitcnt vmcnt(40)
	v_fmac_f64_e32 v[72:73], v[68:69], v[198:199]
	v_add_f64 v[118:119], v[70:71], v[72:73]
	ds_read_b128 v[70:73], v1 offset:1632
	ds_read_b128 v[74:77], v1 offset:1648
	;; [unrolled: 1-line block ×5, first 2 shown]
	s_waitcnt lgkmcnt(4)
	v_mul_f64 v[84:85], v[70:71], v[170:171]
	v_fmac_f64_e32 v[84:85], v[72:73], v[174:175]
	v_add_f64 v[82:83], v[118:119], v[84:85]
	s_waitcnt vmcnt(34) lgkmcnt(3)
	v_mul_f64 v[84:85], v[74:75], v[200:201]
	s_waitcnt vmcnt(32)
	v_fmac_f64_e32 v[84:85], v[76:77], v[202:203]
	v_add_f64 v[82:83], v[82:83], v[84:85]
	v_fma_f64 v[118:119], v[86:87], v[250:251], -v[88:89]
	ds_read_b128 v[86:89], v1 offset:1696
	s_waitcnt lgkmcnt(3)
	v_mul_f64 v[84:85], v[78:79], v[178:179]
	v_fmac_f64_e32 v[84:85], v[80:81], v[182:183]
	v_add_f64 v[96:97], v[82:83], v[84:85]
	ds_read_b128 v[82:85], v1 offset:1680
	v_fma_f64 v[250:251], v[102:103], v[246:247], -v[104:105]
	ds_read_b128 v[110:113], v1 offset:1792
	v_add_f64 v[118:119], v[224:225], v[118:119]
	v_add_f64 v[118:119], v[118:119], v[228:229]
	s_waitcnt vmcnt(26) lgkmcnt(1)
	v_mul_f64 v[94:95], v[82:83], v[204:205]
	s_waitcnt vmcnt(24)
	v_fmac_f64_e32 v[94:95], v[84:85], v[206:207]
	v_add_f64 v[94:95], v[96:97], v[94:95]
	v_mul_f64 v[96:97], v[86:87], v[186:187]
	v_fmac_f64_e32 v[96:97], v[88:89], v[190:191]
	v_add_f64 v[106:107], v[94:95], v[96:97]
	ds_read_b128 v[94:97], v1 offset:1728
	v_add_f64 v[254:255], v[118:119], v[230:231]
	v_add_f64 v[118:119], v[254:255], v[250:251]
	v_mul_f64 v[4:5], v[4:5], v[120:121]
	v_add_f64 v[118:119], v[118:119], v[252:253]
	ds_read_b128 v[102:105], v1 offset:1776
	v_fma_f64 v[2:3], v[2:3], v[126:127], -v[4:5]
	v_mul_f64 v[4:5], v[8:9], v[122:123]
	v_add_f64 v[2:3], v[118:119], v[2:3]
	v_fma_f64 v[4:5], v[6:7], v[124:125], -v[4:5]
	v_add_f64 v[2:3], v[2:3], v[4:5]
	v_mul_f64 v[4:5], v[12:13], v[132:133]
	v_fma_f64 v[4:5], v[10:11], v[134:135], -v[4:5]
	v_add_f64 v[2:3], v[2:3], v[4:5]
	v_mul_f64 v[4:5], v[16:17], v[128:129]
	s_waitcnt vmcnt(21)
	v_mul_f64 v[108:109], v[90:91], v[210:211]
	v_fma_f64 v[4:5], v[14:15], v[130:131], -v[4:5]
	s_waitcnt vmcnt(19)
	v_fmac_f64_e32 v[108:109], v[92:93], v[216:217]
	v_add_f64 v[106:107], v[106:107], v[108:109]
	s_waitcnt vmcnt(18) lgkmcnt(1)
	v_mul_f64 v[108:109], v[94:95], v[208:209]
	s_waitcnt vmcnt(16)
	v_fmac_f64_e32 v[108:109], v[96:97], v[214:215]
	v_add_f64 v[114:115], v[106:107], v[108:109]
	ds_read_b128 v[106:109], v1 offset:1760
	buffer_load_dword v243, off, s[0:3], 0 offset:924
	buffer_load_dword v242, off, s[0:3], 0 offset:920
	;; [unrolled: 1-line block ×4, first 2 shown]
	s_waitcnt vmcnt(18)
	v_mul_f64 v[116:117], v[98:99], v[212:213]
	s_waitcnt vmcnt(16)
	v_fmac_f64_e32 v[116:117], v[100:101], v[218:219]
	v_add_f64 v[114:115], v[114:115], v[116:117]
	s_waitcnt vmcnt(14) lgkmcnt(0)
	v_mul_f64 v[116:117], v[106:107], v[222:223]
	s_waitcnt vmcnt(12)
	v_fmac_f64_e32 v[116:117], v[108:109], v[232:233]
	v_add_f64 v[114:115], v[114:115], v[116:117]
	s_waitcnt vmcnt(9)
	v_mul_f64 v[116:117], v[102:103], v[236:237]
	s_waitcnt vmcnt(7)
	v_fmac_f64_e32 v[116:117], v[104:105], v[238:239]
	v_add_f64 v[114:115], v[114:115], v[116:117]
	s_waitcnt vmcnt(5)
	v_mul_f64 v[116:117], v[110:111], v[220:221]
	s_waitcnt vmcnt(4)
	v_fmac_f64_e32 v[116:117], v[112:113], v[234:235]
	v_add_f64 v[240:241], v[114:115], v[116:117]
	ds_read_b128 v[114:117], v1 offset:1808
	v_add_f64 v[2:3], v[2:3], v[4:5]
	v_mul_f64 v[4:5], v[20:21], v[144:145]
	v_fma_f64 v[4:5], v[18:19], v[146:147], -v[4:5]
	v_add_f64 v[2:3], v[2:3], v[4:5]
	v_mul_f64 v[4:5], v[24:25], v[136:137]
	v_fma_f64 v[4:5], v[22:23], v[138:139], -v[4:5]
	;; [unrolled: 3-line block ×21, first 2 shown]
	v_add_f64 v[2:3], v[2:3], v[4:5]
	s_waitcnt vmcnt(2) lgkmcnt(0)
	v_mul_f64 v[246:247], v[114:115], v[242:243]
	v_mul_f64 v[4:5], v[108:109], v[222:223]
	s_waitcnt vmcnt(0)
	v_fmac_f64_e32 v[246:247], v[116:117], v[244:245]
	v_add_f64 v[240:241], v[240:241], v[246:247]
	buffer_load_dword v248, off, s[0:3], 0 offset:336
	buffer_load_dword v249, off, s[0:3], 0 offset:340
	;; [unrolled: 1-line block ×4, first 2 shown]
	v_fma_f64 v[4:5], v[106:107], v[232:233], -v[4:5]
	v_add_f64 v[2:3], v[2:3], v[4:5]
	v_mul_f64 v[4:5], v[104:105], v[236:237]
	v_fma_f64 v[4:5], v[102:103], v[238:239], -v[4:5]
	v_add_f64 v[2:3], v[2:3], v[4:5]
	v_mul_f64 v[4:5], v[112:113], v[220:221]
	;; [unrolled: 3-line block ×3, first 2 shown]
	v_fma_f64 v[4:5], v[114:115], v[244:245], -v[4:5]
	v_add_f64 v[2:3], v[2:3], v[4:5]
	v_accvgpr_read_b32 v254, a170
	v_cmp_lt_u32_e32 vcc, 19, v254
	s_waitcnt vmcnt(2)
	v_add_f64 v[2:3], v[248:249], -v[2:3]
	s_waitcnt vmcnt(0)
	v_add_f64 v[4:5], v[246:247], -v[240:241]
	buffer_store_dword v3, off, s[0:3], 0 offset:340
	buffer_store_dword v2, off, s[0:3], 0 offset:336
	;; [unrolled: 1-line block ×4, first 2 shown]
	s_and_saveexec_b64 s[4:5], vcc
	s_cbranch_execz .LBB120_317
; %bb.316:
	v_accvgpr_read_b32 v0, a151
	buffer_load_dword v2, v0, s[0:3], 0 offen
	buffer_load_dword v3, v0, s[0:3], 0 offen offset:4
	buffer_load_dword v4, v0, s[0:3], 0 offen offset:8
	buffer_load_dword v5, v0, s[0:3], 0 offen offset:12
	v_mov_b32_e32 v0, 0
	v_accvgpr_read_b32 v1, a171
	buffer_store_dword v0, off, s[0:3], 0 offset:320
	buffer_store_dword v0, off, s[0:3], 0 offset:324
	;; [unrolled: 1-line block ×4, first 2 shown]
	s_waitcnt vmcnt(4)
	ds_write_b128 v1, v[2:5]
.LBB120_317:
	s_or_b64 exec, exec, s[4:5]
	s_waitcnt lgkmcnt(0)
	; wave barrier
	s_waitcnt lgkmcnt(0)
	buffer_load_dword v66, off, s[0:3], 0 offset:336
	buffer_load_dword v67, off, s[0:3], 0 offset:340
	;; [unrolled: 1-line block ×55, first 2 shown]
	v_mov_b32_e32 v1, 0
	ds_read_b128 v[74:77], v1 offset:1232
	ds_read_b128 v[86:89], v1 offset:1248
	;; [unrolled: 1-line block ×9, first 2 shown]
	buffer_load_dword v138, off, s[0:3], 0 offset:560
	buffer_load_dword v157, off, s[0:3], 0 offset:556
	;; [unrolled: 1-line block ×61, first 2 shown]
	v_cmp_lt_u32_e32 vcc, 18, v254
	s_waitcnt vmcnt(62) lgkmcnt(8)
	v_mul_f64 v[6:7], v[74:75], v[68:69]
	v_fmac_f64_e32 v[6:7], v[76:77], v[66:67]
	v_add_f64 v[6:7], v[6:7], 0
	v_mul_f64 v[68:69], v[76:77], v[68:69]
	s_waitcnt lgkmcnt(7)
	v_mul_f64 v[8:9], v[86:87], v[72:73]
	v_fmac_f64_e32 v[8:9], v[88:89], v[70:71]
	s_waitcnt lgkmcnt(6)
	v_mul_f64 v[10:11], v[98:99], v[78:79]
	v_add_f64 v[6:7], v[6:7], v[8:9]
	s_waitcnt lgkmcnt(4)
	v_mul_f64 v[14:15], v[114:115], v[90:91]
	v_fma_f64 v[224:225], v[74:75], v[66:67], -v[68:69]
	v_fmac_f64_e32 v[14:15], v[116:117], v[92:93]
	v_mul_f64 v[72:73], v[88:89], v[72:73]
	v_mul_f64 v[12:13], v[110:111], v[82:83]
	;; [unrolled: 1-line block ×3, first 2 shown]
	s_waitcnt lgkmcnt(2)
	v_mul_f64 v[18:19], v[244:245], v[102:103]
	v_mul_f64 v[82:83], v[112:113], v[82:83]
	;; [unrolled: 1-line block ×4, first 2 shown]
	v_fma_f64 v[230:231], v[114:115], v[92:93], -v[90:91]
	s_waitcnt lgkmcnt(1)
	v_mul_f64 v[20:21], v[248:249], v[106:107]
	v_fmac_f64_e32 v[20:21], v[250:251], v[108:109]
	v_fmac_f64_e32 v[10:11], v[100:101], v[80:81]
	v_add_f64 v[6:7], v[6:7], v[10:11]
	v_fmac_f64_e32 v[12:13], v[112:113], v[84:85]
	v_add_f64 v[6:7], v[6:7], v[12:13]
	;; [unrolled: 2-line block ×4, first 2 shown]
	v_add_f64 v[6:7], v[6:7], v[18:19]
	v_add_f64 v[10:11], v[6:7], v[20:21]
	ds_read_b128 v[6:9], v1 offset:1376
	s_waitcnt lgkmcnt(1)
	v_mul_f64 v[12:13], v[2:3], v[120:121]
	v_fmac_f64_e32 v[12:13], v[4:5], v[122:123]
	v_add_f64 v[14:15], v[10:11], v[12:13]
	ds_read_b128 v[10:13], v1 offset:1392
	s_waitcnt lgkmcnt(1)
	v_mul_f64 v[16:17], v[6:7], v[128:129]
	v_fmac_f64_e32 v[16:17], v[8:9], v[130:131]
	;; [unrolled: 5-line block ×5, first 2 shown]
	v_add_f64 v[30:31], v[26:27], v[28:29]
	ds_read_b128 v[26:29], v1 offset:1456
	s_waitcnt vmcnt(58) lgkmcnt(1)
	v_mul_f64 v[32:33], v[22:23], v[156:157]
	s_waitcnt vmcnt(56)
	v_fmac_f64_e32 v[32:33], v[24:25], v[160:161]
	v_add_f64 v[34:35], v[30:31], v[32:33]
	ds_read_b128 v[30:33], v1 offset:1472
	s_waitcnt lgkmcnt(1)
	v_mul_f64 v[36:37], v[26:27], v[136:137]
	v_fmac_f64_e32 v[36:37], v[28:29], v[138:139]
	v_add_f64 v[38:39], v[34:35], v[36:37]
	ds_read_b128 v[34:37], v1 offset:1488
	s_waitcnt vmcnt(50) lgkmcnt(1)
	v_mul_f64 v[40:41], v[30:31], v[164:165]
	s_waitcnt vmcnt(48)
	v_fmac_f64_e32 v[40:41], v[32:33], v[168:169]
	v_add_f64 v[42:43], v[38:39], v[40:41]
	ds_read_b128 v[38:41], v1 offset:1504
	s_waitcnt lgkmcnt(1)
	v_mul_f64 v[44:45], v[34:35], v[144:145]
	v_fmac_f64_e32 v[44:45], v[36:37], v[146:147]
	v_add_f64 v[46:47], v[42:43], v[44:45]
	ds_read_b128 v[42:45], v1 offset:1520
	s_waitcnt vmcnt(42) lgkmcnt(1)
	v_mul_f64 v[48:49], v[38:39], v[172:173]
	s_waitcnt vmcnt(40)
	v_fmac_f64_e32 v[48:49], v[40:41], v[176:177]
	v_add_f64 v[50:51], v[46:47], v[48:49]
	ds_read_b128 v[46:49], v1 offset:1536
	buffer_load_dword v205, off, s[0:3], 0 offset:812
	buffer_load_dword v204, off, s[0:3], 0 offset:808
	;; [unrolled: 1-line block ×4, first 2 shown]
	s_waitcnt lgkmcnt(1)
	v_mul_f64 v[52:53], v[42:43], v[148:149]
	v_fmac_f64_e32 v[52:53], v[44:45], v[150:151]
	v_add_f64 v[54:55], v[50:51], v[52:53]
	ds_read_b128 v[50:53], v1 offset:1552
	buffer_load_dword v209, off, s[0:3], 0 offset:828
	buffer_load_dword v208, off, s[0:3], 0 offset:824
	;; [unrolled: 1-line block ×8, first 2 shown]
	s_waitcnt vmcnt(46) lgkmcnt(1)
	v_mul_f64 v[56:57], v[46:47], v[180:181]
	s_waitcnt vmcnt(44)
	v_fmac_f64_e32 v[56:57], v[48:49], v[184:185]
	v_add_f64 v[58:59], v[54:55], v[56:57]
	ds_read_b128 v[54:57], v1 offset:1568
	buffer_load_dword v219, off, s[0:3], 0 offset:860
	buffer_load_dword v218, off, s[0:3], 0 offset:856
	;; [unrolled: 1-line block ×12, first 2 shown]
	s_waitcnt lgkmcnt(1)
	v_mul_f64 v[60:61], v[50:51], v[152:153]
	v_fmac_f64_e32 v[60:61], v[52:53], v[154:155]
	v_add_f64 v[62:63], v[58:59], v[60:61]
	ds_read_b128 v[58:61], v1 offset:1584
	s_waitcnt vmcnt(50) lgkmcnt(1)
	v_mul_f64 v[64:65], v[54:55], v[188:189]
	s_waitcnt vmcnt(48)
	v_fmac_f64_e32 v[64:65], v[56:57], v[190:191]
	v_add_f64 v[62:63], v[62:63], v[64:65]
	buffer_load_dword v237, off, s[0:3], 0 offset:908
	buffer_load_dword v236, off, s[0:3], 0 offset:904
	;; [unrolled: 1-line block ×4, first 2 shown]
	s_waitcnt lgkmcnt(0)
	v_mul_f64 v[64:65], v[58:59], v[158:159]
	v_fmac_f64_e32 v[64:65], v[60:61], v[162:163]
	v_add_f64 v[118:119], v[62:63], v[64:65]
	ds_read_b128 v[62:65], v1 offset:1600
	ds_read_b128 v[66:69], v1 offset:1616
	v_fma_f64 v[226:227], v[98:99], v[80:81], -v[78:79]
	ds_read_b128 v[78:81], v1 offset:1664
	v_fma_f64 v[228:229], v[110:111], v[84:85], -v[82:83]
	ds_read_b128 v[82:85], v1 offset:1680
	s_waitcnt vmcnt(46) lgkmcnt(3)
	v_mul_f64 v[74:75], v[62:63], v[192:193]
	s_waitcnt vmcnt(44)
	v_fmac_f64_e32 v[74:75], v[64:65], v[194:195]
	v_add_f64 v[74:75], v[118:119], v[74:75]
	v_fma_f64 v[118:119], v[86:87], v[70:71], -v[72:73]
	ds_read_b128 v[70:73], v1 offset:1632
	s_waitcnt lgkmcnt(3)
	v_mul_f64 v[76:77], v[66:67], v[166:167]
	v_fmac_f64_e32 v[76:77], v[68:69], v[170:171]
	v_add_f64 v[86:87], v[74:75], v[76:77]
	ds_read_b128 v[74:77], v1 offset:1648
	s_waitcnt vmcnt(38) lgkmcnt(1)
	v_mul_f64 v[88:89], v[70:71], v[196:197]
	s_waitcnt vmcnt(36)
	v_fmac_f64_e32 v[88:89], v[72:73], v[198:199]
	v_add_f64 v[86:87], v[86:87], v[88:89]
	ds_read_b128 v[90:93], v1 offset:1712
	s_waitcnt lgkmcnt(1)
	v_mul_f64 v[88:89], v[74:75], v[174:175]
	v_fmac_f64_e32 v[88:89], v[76:77], v[178:179]
	v_add_f64 v[86:87], v[86:87], v[88:89]
	s_waitcnt vmcnt(30)
	v_mul_f64 v[88:89], v[78:79], v[200:201]
	s_waitcnt vmcnt(28)
	v_fmac_f64_e32 v[88:89], v[80:81], v[202:203]
	v_add_f64 v[86:87], v[86:87], v[88:89]
	v_mul_f64 v[88:89], v[82:83], v[182:183]
	v_fmac_f64_e32 v[88:89], v[84:85], v[186:187]
	v_add_f64 v[98:99], v[86:87], v[88:89]
	ds_read_b128 v[86:89], v1 offset:1696
	v_mul_f64 v[94:95], v[242:243], v[94:95]
	v_fma_f64 v[252:253], v[240:241], v[96:97], -v[94:95]
	ds_read_b128 v[94:97], v1 offset:1728
	v_mul_f64 v[102:103], v[246:247], v[102:103]
	v_fma_f64 v[246:247], v[244:245], v[104:105], -v[102:103]
	;; [unrolled: 3-line block ×3, first 2 shown]
	v_add_f64 v[224:225], v[224:225], 0
	v_add_f64 v[118:119], v[224:225], v[118:119]
	;; [unrolled: 1-line block ×7, first 2 shown]
	v_mul_f64 v[4:5], v[4:5], v[120:121]
	v_add_f64 v[118:119], v[252:253], v[250:251]
	v_fma_f64 v[2:3], v[2:3], v[122:123], -v[4:5]
	v_mul_f64 v[4:5], v[8:9], v[128:129]
	v_add_f64 v[2:3], v[118:119], v[2:3]
	v_fma_f64 v[4:5], v[6:7], v[130:131], -v[4:5]
	v_add_f64 v[2:3], v[2:3], v[4:5]
	ds_read_b128 v[106:109], v1 offset:1776
	v_mul_f64 v[4:5], v[12:13], v[124:125]
	v_fma_f64 v[4:5], v[10:11], v[126:127], -v[4:5]
	v_add_f64 v[2:3], v[2:3], v[4:5]
	s_waitcnt vmcnt(26) lgkmcnt(3)
	v_mul_f64 v[100:101], v[86:87], v[204:205]
	v_mul_f64 v[4:5], v[16:17], v[140:141]
	s_waitcnt vmcnt(24)
	v_fmac_f64_e32 v[100:101], v[88:89], v[206:207]
	v_add_f64 v[98:99], v[98:99], v[100:101]
	s_waitcnt vmcnt(22)
	v_mul_f64 v[100:101], v[90:91], v[208:209]
	s_waitcnt vmcnt(20)
	v_fmac_f64_e32 v[100:101], v[92:93], v[212:213]
	v_add_f64 v[98:99], v[98:99], v[100:101]
	s_waitcnt vmcnt(18) lgkmcnt(2)
	v_mul_f64 v[100:101], v[94:95], v[210:211]
	s_waitcnt vmcnt(16)
	v_fmac_f64_e32 v[100:101], v[96:97], v[214:215]
	v_add_f64 v[110:111], v[98:99], v[100:101]
	ds_read_b128 v[98:101], v1 offset:1744
	v_fma_f64 v[4:5], v[14:15], v[142:143], -v[4:5]
	v_add_f64 v[2:3], v[2:3], v[4:5]
	v_mul_f64 v[4:5], v[20:21], v[132:133]
	v_fma_f64 v[4:5], v[18:19], v[134:135], -v[4:5]
	s_waitcnt vmcnt(14) lgkmcnt(0)
	v_mul_f64 v[112:113], v[98:99], v[218:219]
	s_waitcnt vmcnt(12)
	v_fmac_f64_e32 v[112:113], v[100:101], v[220:221]
	v_add_f64 v[110:111], v[110:111], v[112:113]
	s_waitcnt vmcnt(9)
	v_mul_f64 v[112:113], v[102:103], v[232:233]
	s_waitcnt vmcnt(7)
	v_fmac_f64_e32 v[112:113], v[104:105], v[234:235]
	v_add_f64 v[110:111], v[110:111], v[112:113]
	s_waitcnt vmcnt(5)
	v_mul_f64 v[112:113], v[106:107], v[216:217]
	s_waitcnt vmcnt(4)
	v_fmac_f64_e32 v[112:113], v[108:109], v[222:223]
	v_add_f64 v[114:115], v[110:111], v[112:113]
	ds_read_b128 v[110:113], v1 offset:1792
	buffer_load_dword v242, off, s[0:3], 0 offset:920
	buffer_load_dword v243, off, s[0:3], 0 offset:924
	;; [unrolled: 1-line block ×4, first 2 shown]
	v_add_f64 v[2:3], v[2:3], v[4:5]
	v_mul_f64 v[4:5], v[24:25], v[156:157]
	v_fma_f64 v[4:5], v[22:23], v[160:161], -v[4:5]
	s_waitcnt vmcnt(6) lgkmcnt(0)
	v_mul_f64 v[116:117], v[110:111], v[236:237]
	s_waitcnt vmcnt(4)
	v_fmac_f64_e32 v[116:117], v[112:113], v[238:239]
	v_add_f64 v[240:241], v[114:115], v[116:117]
	ds_read_b128 v[114:117], v1 offset:1808
	v_add_f64 v[2:3], v[2:3], v[4:5]
	v_mul_f64 v[4:5], v[28:29], v[136:137]
	v_fma_f64 v[4:5], v[26:27], v[138:139], -v[4:5]
	v_add_f64 v[2:3], v[2:3], v[4:5]
	v_mul_f64 v[4:5], v[32:33], v[164:165]
	v_fma_f64 v[4:5], v[30:31], v[168:169], -v[4:5]
	;; [unrolled: 3-line block ×22, first 2 shown]
	v_add_f64 v[2:3], v[2:3], v[4:5]
	s_waitcnt vmcnt(2) lgkmcnt(0)
	v_mul_f64 v[248:249], v[114:115], v[242:243]
	v_mul_f64 v[4:5], v[116:117], v[242:243]
	s_waitcnt vmcnt(0)
	v_fmac_f64_e32 v[248:249], v[116:117], v[244:245]
	v_add_f64 v[240:241], v[240:241], v[248:249]
	buffer_load_dword v248, off, s[0:3], 0 offset:320
	buffer_load_dword v249, off, s[0:3], 0 offset:324
	;; [unrolled: 1-line block ×4, first 2 shown]
	v_fma_f64 v[4:5], v[114:115], v[244:245], -v[4:5]
	v_add_f64 v[2:3], v[2:3], v[4:5]
	s_waitcnt vmcnt(2)
	v_add_f64 v[2:3], v[248:249], -v[2:3]
	s_waitcnt vmcnt(0)
	v_add_f64 v[4:5], v[246:247], -v[240:241]
	buffer_store_dword v3, off, s[0:3], 0 offset:324
	buffer_store_dword v2, off, s[0:3], 0 offset:320
	;; [unrolled: 1-line block ×4, first 2 shown]
	s_and_saveexec_b64 s[4:5], vcc
	s_cbranch_execz .LBB120_319
; %bb.318:
	v_accvgpr_read_b32 v0, a152
	buffer_load_dword v2, v0, s[0:3], 0 offen
	buffer_load_dword v3, v0, s[0:3], 0 offen offset:4
	buffer_load_dword v4, v0, s[0:3], 0 offen offset:8
	buffer_load_dword v5, v0, s[0:3], 0 offen offset:12
	v_accvgpr_read_b32 v0, a171
	buffer_store_dword v1, off, s[0:3], 0 offset:304
	buffer_store_dword v1, off, s[0:3], 0 offset:308
	;; [unrolled: 1-line block ×4, first 2 shown]
	s_waitcnt vmcnt(4)
	ds_write_b128 v0, v[2:5]
.LBB120_319:
	s_or_b64 exec, exec, s[4:5]
	s_waitcnt lgkmcnt(0)
	; wave barrier
	s_waitcnt lgkmcnt(0)
	buffer_load_dword v66, off, s[0:3], 0 offset:320
	buffer_load_dword v67, off, s[0:3], 0 offset:324
	;; [unrolled: 1-line block ×42, first 2 shown]
	ds_read_b128 v[78:81], v1 offset:1216
	ds_read_b128 v[90:93], v1 offset:1232
	;; [unrolled: 1-line block ×10, first 2 shown]
	buffer_load_dword v131, off, s[0:3], 0 offset:468
	buffer_load_dword v130, off, s[0:3], 0 offset:464
	ds_read_b128 v[6:9], v1 offset:1376
	buffer_load_dword v127, off, s[0:3], 0 offset:524
	buffer_load_dword v126, off, s[0:3], 0 offset:520
	;; [unrolled: 1-line block ×80, first 2 shown]
	s_waitcnt vmcnt(62) lgkmcnt(10)
	v_mul_f64 v[10:11], v[78:79], v[68:69]
	v_fmac_f64_e32 v[10:11], v[80:81], v[66:67]
	v_add_f64 v[10:11], v[10:11], 0
	v_mul_f64 v[68:69], v[80:81], v[68:69]
	s_waitcnt lgkmcnt(9)
	v_mul_f64 v[12:13], v[90:91], v[64:65]
	v_fmac_f64_e32 v[12:13], v[92:93], v[62:63]
	s_waitcnt lgkmcnt(8)
	v_mul_f64 v[14:15], v[102:103], v[70:71]
	v_add_f64 v[10:11], v[10:11], v[12:13]
	s_waitcnt lgkmcnt(6)
	v_mul_f64 v[18:19], v[114:115], v[82:83]
	v_mul_f64 v[64:65], v[92:93], v[64:65]
	v_fmac_f64_e32 v[18:19], v[116:117], v[84:85]
	v_fma_f64 v[226:227], v[90:91], v[62:63], -v[64:65]
	v_mul_f64 v[16:17], v[110:111], v[74:75]
	v_fma_f64 v[224:225], v[78:79], v[66:67], -v[68:69]
	s_waitcnt lgkmcnt(4)
	v_mul_f64 v[22:23], v[244:245], v[94:95]
	v_mul_f64 v[70:71], v[104:105], v[70:71]
	v_fmac_f64_e32 v[22:23], v[246:247], v[96:97]
	v_mul_f64 v[74:75], v[112:113], v[74:75]
	v_mul_f64 v[20:21], v[240:241], v[86:87]
	;; [unrolled: 1-line block ×3, first 2 shown]
	s_waitcnt lgkmcnt(2)
	v_mul_f64 v[26:27], v[252:253], v[106:107]
	v_fma_f64 v[230:231], v[114:115], v[84:85], -v[82:83]
	v_mul_f64 v[86:87], v[242:243], v[86:87]
	v_mul_f64 v[24:25], v[248:249], v[98:99]
	;; [unrolled: 1-line block ×3, first 2 shown]
	s_waitcnt lgkmcnt(1)
	v_mul_f64 v[28:29], v[120:121], v[4:5]
	v_fma_f64 v[246:247], v[244:245], v[96:97], -v[94:95]
	v_fmac_f64_e32 v[14:15], v[104:105], v[72:73]
	v_add_f64 v[10:11], v[10:11], v[14:15]
	v_fmac_f64_e32 v[16:17], v[112:113], v[76:77]
	v_add_f64 v[10:11], v[10:11], v[16:17]
	;; [unrolled: 2-line block ×3, first 2 shown]
	v_add_f64 v[10:11], v[10:11], v[20:21]
	v_fmac_f64_e32 v[24:25], v[250:251], v[100:101]
	v_add_f64 v[10:11], v[10:11], v[22:23]
	v_fmac_f64_e32 v[26:27], v[254:255], v[108:109]
	v_add_f64 v[10:11], v[10:11], v[24:25]
	v_add_f64 v[10:11], v[10:11], v[26:27]
	s_waitcnt lgkmcnt(0)
	v_mul_f64 v[16:17], v[6:7], v[2:3]
	v_fmac_f64_e32 v[28:29], v[122:123], v[130:131]
	v_add_f64 v[14:15], v[10:11], v[28:29]
	ds_read_b128 v[10:13], v1 offset:1392
	v_fmac_f64_e32 v[16:17], v[8:9], v[124:125]
	v_add_f64 v[18:19], v[14:15], v[16:17]
	ds_read_b128 v[14:17], v1 offset:1408
	v_fma_f64 v[228:229], v[110:111], v[76:77], -v[74:75]
	s_waitcnt lgkmcnt(1)
	v_mul_f64 v[20:21], v[10:11], v[132:133]
	v_fmac_f64_e32 v[20:21], v[12:13], v[148:149]
	v_add_f64 v[22:23], v[18:19], v[20:21]
	ds_read_b128 v[18:21], v1 offset:1424
	s_waitcnt lgkmcnt(1)
	v_mul_f64 v[24:25], v[14:15], v[126:127]
	v_fmac_f64_e32 v[24:25], v[16:17], v[128:129]
	v_add_f64 v[26:27], v[22:23], v[24:25]
	ds_read_b128 v[22:25], v1 offset:1440
	;; [unrolled: 5-line block ×4, first 2 shown]
	s_waitcnt vmcnt(58) lgkmcnt(1)
	v_mul_f64 v[36:37], v[26:27], v[160:161]
	s_waitcnt vmcnt(56)
	v_fmac_f64_e32 v[36:37], v[28:29], v[164:165]
	v_add_f64 v[38:39], v[34:35], v[36:37]
	ds_read_b128 v[34:37], v1 offset:1488
	s_waitcnt lgkmcnt(1)
	v_mul_f64 v[40:41], v[30:31], v[138:139]
	v_fmac_f64_e32 v[40:41], v[32:33], v[140:141]
	v_add_f64 v[42:43], v[38:39], v[40:41]
	ds_read_b128 v[38:41], v1 offset:1504
	s_waitcnt vmcnt(50) lgkmcnt(1)
	v_mul_f64 v[44:45], v[34:35], v[168:169]
	s_waitcnt vmcnt(48)
	v_fmac_f64_e32 v[44:45], v[36:37], v[172:173]
	v_add_f64 v[46:47], v[42:43], v[44:45]
	ds_read_b128 v[42:45], v1 offset:1520
	s_waitcnt lgkmcnt(1)
	v_mul_f64 v[48:49], v[38:39], v[142:143]
	v_fmac_f64_e32 v[48:49], v[40:41], v[144:145]
	v_add_f64 v[50:51], v[46:47], v[48:49]
	ds_read_b128 v[46:49], v1 offset:1536
	s_waitcnt vmcnt(42) lgkmcnt(1)
	v_mul_f64 v[52:53], v[42:43], v[176:177]
	s_waitcnt vmcnt(40)
	v_fmac_f64_e32 v[52:53], v[44:45], v[180:181]
	v_add_f64 v[54:55], v[50:51], v[52:53]
	ds_read_b128 v[50:53], v1 offset:1552
	s_waitcnt lgkmcnt(1)
	v_mul_f64 v[56:57], v[46:47], v[146:147]
	buffer_load_dword v209, off, s[0:3], 0 offset:828
	buffer_load_dword v208, off, s[0:3], 0 offset:824
	;; [unrolled: 1-line block ×4, first 2 shown]
	v_fmac_f64_e32 v[56:57], v[48:49], v[150:151]
	v_add_f64 v[58:59], v[54:55], v[56:57]
	ds_read_b128 v[54:57], v1 offset:1568
	buffer_load_dword v214, off, s[0:3], 0 offset:840
	buffer_load_dword v216, off, s[0:3], 0 offset:832
	;; [unrolled: 1-line block ×16, first 2 shown]
	s_waitcnt vmcnt(54) lgkmcnt(1)
	v_mul_f64 v[60:61], v[50:51], v[184:185]
	s_waitcnt vmcnt(52)
	v_fmac_f64_e32 v[60:61], v[52:53], v[188:189]
	v_add_f64 v[118:119], v[58:59], v[60:61]
	ds_read_b128 v[58:61], v1 offset:1584
	buffer_load_dword v236, off, s[0:3], 0 offset:904
	buffer_load_dword v238, off, s[0:3], 0 offset:896
	buffer_load_dword v237, off, s[0:3], 0 offset:908
	buffer_load_dword v239, off, s[0:3], 0 offset:900
	ds_read_b128 v[62:65], v1 offset:1600
	s_waitcnt lgkmcnt(2)
	v_mul_f64 v[66:67], v[54:55], v[154:155]
	v_fmac_f64_e32 v[66:67], v[56:57], v[158:159]
	s_waitcnt vmcnt(50) lgkmcnt(1)
	v_mul_f64 v[68:69], v[58:59], v[192:193]
	v_add_f64 v[66:67], v[118:119], v[66:67]
	s_waitcnt vmcnt(48)
	v_fmac_f64_e32 v[68:69], v[60:61], v[194:195]
	v_add_f64 v[66:67], v[66:67], v[68:69]
	v_fma_f64 v[118:119], v[102:103], v[72:73], -v[70:71]
	ds_read_b128 v[70:73], v1 offset:1632
	s_waitcnt lgkmcnt(1)
	v_mul_f64 v[68:69], v[62:63], v[162:163]
	v_fmac_f64_e32 v[68:69], v[64:65], v[166:167]
	v_add_f64 v[78:79], v[66:67], v[68:69]
	ds_read_b128 v[66:69], v1 offset:1616
	ds_read_b128 v[74:77], v1 offset:1648
	;; [unrolled: 1-line block ×3, first 2 shown]
	v_accvgpr_write_b32 a173, v3
	v_accvgpr_write_b32 a172, v2
	s_waitcnt vmcnt(42) lgkmcnt(2)
	v_mul_f64 v[80:81], v[66:67], v[196:197]
	s_waitcnt vmcnt(40)
	v_fmac_f64_e32 v[80:81], v[68:69], v[198:199]
	v_add_f64 v[78:79], v[78:79], v[80:81]
	v_mul_f64 v[80:81], v[70:71], v[170:171]
	v_fmac_f64_e32 v[80:81], v[72:73], v[174:175]
	v_add_f64 v[90:91], v[78:79], v[80:81]
	ds_read_b128 v[78:81], v1 offset:1664
	s_waitcnt vmcnt(34) lgkmcnt(2)
	v_mul_f64 v[92:93], v[74:75], v[200:201]
	s_waitcnt vmcnt(32)
	v_fmac_f64_e32 v[92:93], v[76:77], v[202:203]
	v_fma_f64 v[2:3], v[240:241], v[88:89], -v[86:87]
	ds_read_b128 v[86:89], v1 offset:1696
	ds_read_b128 v[94:97], v1 offset:1728
	v_add_f64 v[90:91], v[90:91], v[92:93]
	s_waitcnt lgkmcnt(2)
	v_mul_f64 v[92:93], v[78:79], v[178:179]
	v_fmac_f64_e32 v[92:93], v[80:81], v[182:183]
	v_add_f64 v[90:91], v[90:91], v[92:93]
	s_waitcnt vmcnt(26)
	v_mul_f64 v[92:93], v[82:83], v[204:205]
	s_waitcnt vmcnt(24)
	v_fmac_f64_e32 v[92:93], v[84:85], v[206:207]
	v_add_f64 v[90:91], v[90:91], v[92:93]
	s_waitcnt lgkmcnt(1)
	v_mul_f64 v[92:93], v[86:87], v[186:187]
	v_fmac_f64_e32 v[92:93], v[88:89], v[190:191]
	v_add_f64 v[102:103], v[90:91], v[92:93]
	ds_read_b128 v[90:93], v1 offset:1712
	v_mul_f64 v[98:99], v[250:251], v[98:99]
	v_fma_f64 v[250:251], v[248:249], v[100:101], -v[98:99]
	ds_read_b128 v[98:101], v1 offset:1744
	v_mul_f64 v[106:107], v[254:255], v[106:107]
	v_fma_f64 v[252:253], v[252:253], v[108:109], -v[106:107]
	v_add_f64 v[224:225], v[224:225], 0
	v_add_f64 v[224:225], v[224:225], v[226:227]
	;; [unrolled: 1-line block ×8, first 2 shown]
	v_mul_f64 v[4:5], v[122:123], v[4:5]
	v_add_f64 v[2:3], v[2:3], v[252:253]
	v_fma_f64 v[4:5], v[120:121], v[130:131], -v[4:5]
	v_add_f64 v[2:3], v[2:3], v[4:5]
	ds_read_b128 v[106:109], v1 offset:1776
	s_waitcnt vmcnt(13) lgkmcnt(1)
	v_mul_f64 v[112:113], v[98:99], v[218:219]
	v_mul_f64 v[104:105], v[90:91], v[208:209]
	s_waitcnt vmcnt(11)
	v_fmac_f64_e32 v[112:113], v[100:101], v[232:233]
	v_fmac_f64_e32 v[104:105], v[92:93], v[210:211]
	v_add_f64 v[102:103], v[102:103], v[104:105]
	v_mul_f64 v[104:105], v[94:95], v[214:215]
	v_fmac_f64_e32 v[104:105], v[96:97], v[216:217]
	v_add_f64 v[110:111], v[102:103], v[104:105]
	ds_read_b128 v[102:105], v1 offset:1760
	v_add_f64 v[110:111], v[110:111], v[112:113]
	s_waitcnt vmcnt(10) lgkmcnt(0)
	v_mul_f64 v[112:113], v[102:103], v[212:213]
	s_waitcnt vmcnt(8)
	v_fmac_f64_e32 v[112:113], v[104:105], v[222:223]
	v_add_f64 v[110:111], v[110:111], v[112:113]
	s_waitcnt vmcnt(6)
	v_mul_f64 v[112:113], v[106:107], v[220:221]
	s_waitcnt vmcnt(4)
	v_fmac_f64_e32 v[112:113], v[108:109], v[234:235]
	v_add_f64 v[114:115], v[110:111], v[112:113]
	ds_read_b128 v[110:113], v1 offset:1792
	buffer_load_dword v243, off, s[0:3], 0 offset:924
	buffer_load_dword v242, off, s[0:3], 0 offset:920
	;; [unrolled: 1-line block ×4, first 2 shown]
	s_waitcnt vmcnt(5) lgkmcnt(0)
	v_mul_f64 v[116:117], v[110:111], v[236:237]
	s_waitcnt vmcnt(4)
	v_fmac_f64_e32 v[116:117], v[112:113], v[238:239]
	v_add_f64 v[240:241], v[114:115], v[116:117]
	ds_read_b128 v[114:117], v1 offset:1808
	v_accvgpr_read_b32 v0, a172
	v_accvgpr_read_b32 v1, a173
	v_mul_f64 v[4:5], v[8:9], v[0:1]
	v_fma_f64 v[4:5], v[6:7], v[124:125], -v[4:5]
	v_add_f64 v[2:3], v[2:3], v[4:5]
	v_mul_f64 v[4:5], v[12:13], v[132:133]
	v_fma_f64 v[4:5], v[10:11], v[148:149], -v[4:5]
	v_add_f64 v[2:3], v[2:3], v[4:5]
	;; [unrolled: 3-line block ×22, first 2 shown]
	v_mul_f64 v[4:5], v[96:97], v[214:215]
	v_fma_f64 v[4:5], v[94:95], v[216:217], -v[4:5]
	s_waitcnt vmcnt(2) lgkmcnt(0)
	v_mul_f64 v[248:249], v[114:115], v[242:243]
	v_add_f64 v[2:3], v[2:3], v[4:5]
	s_waitcnt vmcnt(0)
	v_fmac_f64_e32 v[248:249], v[116:117], v[244:245]
	v_add_f64 v[240:241], v[240:241], v[248:249]
	buffer_load_dword v248, off, s[0:3], 0 offset:304
	buffer_load_dword v249, off, s[0:3], 0 offset:308
	;; [unrolled: 1-line block ×4, first 2 shown]
	v_mul_f64 v[4:5], v[100:101], v[218:219]
	v_fma_f64 v[4:5], v[98:99], v[232:233], -v[4:5]
	v_add_f64 v[2:3], v[2:3], v[4:5]
	v_mul_f64 v[4:5], v[104:105], v[212:213]
	v_fma_f64 v[4:5], v[102:103], v[222:223], -v[4:5]
	v_add_f64 v[2:3], v[2:3], v[4:5]
	;; [unrolled: 3-line block ×5, first 2 shown]
	v_accvgpr_read_b32 v0, a170
	v_cmp_lt_u32_e32 vcc, 17, v0
	s_waitcnt vmcnt(2)
	v_add_f64 v[2:3], v[248:249], -v[2:3]
	s_waitcnt vmcnt(0)
	v_add_f64 v[4:5], v[246:247], -v[240:241]
	buffer_store_dword v3, off, s[0:3], 0 offset:308
	buffer_store_dword v2, off, s[0:3], 0 offset:304
	buffer_store_dword v5, off, s[0:3], 0 offset:316
	buffer_store_dword v4, off, s[0:3], 0 offset:312
	s_and_saveexec_b64 s[4:5], vcc
	s_cbranch_execz .LBB120_321
; %bb.320:
	v_accvgpr_read_b32 v0, a153
	buffer_load_dword v2, v0, s[0:3], 0 offen
	buffer_load_dword v3, v0, s[0:3], 0 offen offset:4
	buffer_load_dword v4, v0, s[0:3], 0 offen offset:8
	;; [unrolled: 1-line block ×3, first 2 shown]
	v_mov_b32_e32 v0, 0
	v_accvgpr_read_b32 v1, a171
	buffer_store_dword v0, off, s[0:3], 0 offset:288
	buffer_store_dword v0, off, s[0:3], 0 offset:292
	;; [unrolled: 1-line block ×4, first 2 shown]
	s_waitcnt vmcnt(4)
	ds_write_b128 v1, v[2:5]
.LBB120_321:
	s_or_b64 exec, exec, s[4:5]
	s_waitcnt lgkmcnt(0)
	; wave barrier
	s_waitcnt lgkmcnt(0)
	buffer_load_dword v54, off, s[0:3], 0 offset:304
	buffer_load_dword v55, off, s[0:3], 0 offset:308
	;; [unrolled: 1-line block ×49, first 2 shown]
	s_waitcnt vmcnt(8)
	v_pk_mov_b32 v[2:3], v[0:1], v[0:1] op_sel:[0,1]
	v_mov_b32_e32 v1, 0
	ds_read_b128 v[62:65], v1 offset:1200
	ds_read_b128 v[74:77], v1 offset:1216
	;; [unrolled: 1-line block ×11, first 2 shown]
	s_waitcnt lgkmcnt(10)
	v_mul_f64 v[6:7], v[62:63], v[56:57]
	s_waitcnt lgkmcnt(9)
	v_mul_f64 v[8:9], v[74:75], v[60:61]
	v_fmac_f64_e32 v[6:7], v[64:65], v[54:55]
	s_waitcnt lgkmcnt(8)
	v_mul_f64 v[10:11], v[86:87], v[66:67]
	v_fmac_f64_e32 v[8:9], v[76:77], v[58:59]
	v_add_f64 v[6:7], v[6:7], 0
	s_waitcnt lgkmcnt(7)
	v_mul_f64 v[12:13], v[98:99], v[70:71]
	v_fmac_f64_e32 v[10:11], v[88:89], v[68:69]
	v_add_f64 v[6:7], v[6:7], v[8:9]
	;; [unrolled: 4-line block ×4, first 2 shown]
	buffer_load_dword v128, off, s[0:3], 0 offset:488
	buffer_load_dword v145, off, s[0:3], 0 offset:484
	;; [unrolled: 1-line block ×75, first 2 shown]
	s_waitcnt lgkmcnt(4)
	v_mul_f64 v[18:19], v[236:237], v[90:91]
	v_fmac_f64_e32 v[16:17], v[116:117], v[84:85]
	v_add_f64 v[6:7], v[6:7], v[14:15]
	s_waitcnt lgkmcnt(3)
	v_mul_f64 v[20:21], v[240:241], v[94:95]
	v_fmac_f64_e32 v[18:19], v[238:239], v[92:93]
	v_add_f64 v[6:7], v[6:7], v[16:17]
	;; [unrolled: 4-line block ×4, first 2 shown]
	v_add_f64 v[6:7], v[6:7], v[22:23]
	s_waitcnt vmcnt(62)
	v_fmac_f64_e32 v[24:25], v[250:251], v[108:109]
	v_add_f64 v[10:11], v[6:7], v[24:25]
	ds_read_b128 v[6:9], v1 offset:1376
	s_waitcnt lgkmcnt(1)
	v_mul_f64 v[12:13], v[120:121], v[4:5]
	v_fmac_f64_e32 v[12:13], v[122:123], v[2:3]
	v_add_f64 v[14:15], v[10:11], v[12:13]
	ds_read_b128 v[10:13], v1 offset:1392
	s_waitcnt lgkmcnt(1)
	v_mul_f64 v[16:17], v[6:7], v[128:129]
	;; [unrolled: 5-line block ×5, first 2 shown]
	v_fmac_f64_e32 v[28:29], v[20:21], v[132:133]
	v_add_f64 v[30:31], v[26:27], v[28:29]
	ds_read_b128 v[26:29], v1 offset:1456
	s_waitcnt vmcnt(58) lgkmcnt(1)
	v_mul_f64 v[32:33], v[22:23], v[156:157]
	s_waitcnt vmcnt(56)
	v_fmac_f64_e32 v[32:33], v[24:25], v[160:161]
	v_add_f64 v[34:35], v[30:31], v[32:33]
	ds_read_b128 v[30:33], v1 offset:1472
	s_waitcnt lgkmcnt(1)
	v_mul_f64 v[36:37], v[26:27], v[134:135]
	v_fmac_f64_e32 v[36:37], v[28:29], v[136:137]
	v_add_f64 v[38:39], v[34:35], v[36:37]
	ds_read_b128 v[34:37], v1 offset:1488
	s_waitcnt vmcnt(50) lgkmcnt(1)
	v_mul_f64 v[40:41], v[30:31], v[164:165]
	s_waitcnt vmcnt(48)
	v_fmac_f64_e32 v[40:41], v[32:33], v[168:169]
	v_add_f64 v[42:43], v[38:39], v[40:41]
	ds_read_b128 v[38:41], v1 offset:1504
	s_waitcnt lgkmcnt(1)
	v_mul_f64 v[44:45], v[34:35], v[138:139]
	v_fmac_f64_e32 v[44:45], v[36:37], v[140:141]
	v_add_f64 v[46:47], v[42:43], v[44:45]
	ds_read_b128 v[42:45], v1 offset:1520
	s_waitcnt vmcnt(42) lgkmcnt(1)
	v_mul_f64 v[48:49], v[38:39], v[172:173]
	s_waitcnt vmcnt(40)
	v_fmac_f64_e32 v[48:49], v[40:41], v[176:177]
	v_add_f64 v[50:51], v[46:47], v[48:49]
	ds_read_b128 v[46:49], v1 offset:1536
	s_waitcnt lgkmcnt(1)
	v_mul_f64 v[52:53], v[42:43], v[142:143]
	buffer_load_dword v205, off, s[0:3], 0 offset:812
	buffer_load_dword v204, off, s[0:3], 0 offset:808
	;; [unrolled: 1-line block ×4, first 2 shown]
	v_fmac_f64_e32 v[52:53], v[44:45], v[146:147]
	v_add_f64 v[118:119], v[50:51], v[52:53]
	ds_read_b128 v[50:53], v1 offset:1552
	buffer_load_dword v208, off, s[0:3], 0 offset:824
	buffer_load_dword v210, off, s[0:3], 0 offset:816
	;; [unrolled: 1-line block ×12, first 2 shown]
	s_waitcnt vmcnt(50) lgkmcnt(1)
	v_mul_f64 v[212:213], v[46:47], v[180:181]
	s_waitcnt vmcnt(48)
	v_fmac_f64_e32 v[212:213], v[48:49], v[184:185]
	v_add_f64 v[118:119], v[118:119], v[212:213]
	buffer_load_dword v212, off, s[0:3], 0 offset:888
	buffer_load_dword v233, off, s[0:3], 0 offset:876
	;; [unrolled: 1-line block ×8, first 2 shown]
	v_mul_f64 v[56:57], v[64:65], v[56:57]
	v_fma_f64 v[224:225], v[62:63], v[54:55], -v[56:57]
	ds_read_b128 v[54:57], v1 offset:1568
	v_mul_f64 v[60:61], v[76:77], v[60:61]
	v_fma_f64 v[226:227], v[74:75], v[58:59], -v[60:61]
	ds_read_b128 v[58:61], v1 offset:1584
	s_waitcnt lgkmcnt(2)
	v_mul_f64 v[62:63], v[50:51], v[150:151]
	v_fmac_f64_e32 v[62:63], v[52:53], v[154:155]
	s_waitcnt vmcnt(50) lgkmcnt(1)
	v_mul_f64 v[64:65], v[54:55], v[188:189]
	v_add_f64 v[62:63], v[118:119], v[62:63]
	s_waitcnt vmcnt(48)
	v_fmac_f64_e32 v[64:65], v[56:57], v[190:191]
	v_add_f64 v[62:63], v[62:63], v[64:65]
	s_waitcnt lgkmcnt(0)
	v_mul_f64 v[64:65], v[58:59], v[158:159]
	v_fmac_f64_e32 v[64:65], v[60:61], v[162:163]
	v_add_f64 v[74:75], v[62:63], v[64:65]
	ds_read_b128 v[62:65], v1 offset:1600
	v_mul_f64 v[66:67], v[88:89], v[66:67]
	v_fma_f64 v[118:119], v[86:87], v[68:69], -v[66:67]
	ds_read_b128 v[66:69], v1 offset:1616
	v_mul_f64 v[70:71], v[100:101], v[70:71]
	s_waitcnt vmcnt(42) lgkmcnt(1)
	v_mul_f64 v[76:77], v[62:63], v[192:193]
	s_waitcnt vmcnt(40)
	v_fmac_f64_e32 v[76:77], v[64:65], v[194:195]
	v_add_f64 v[74:75], v[74:75], v[76:77]
	v_fma_f64 v[228:229], v[98:99], v[72:73], -v[70:71]
	ds_read_b128 v[70:73], v1 offset:1632
	s_waitcnt lgkmcnt(1)
	v_mul_f64 v[76:77], v[66:67], v[166:167]
	v_fmac_f64_e32 v[76:77], v[68:69], v[170:171]
	v_add_f64 v[86:87], v[74:75], v[76:77]
	ds_read_b128 v[74:77], v1 offset:1648
	v_mul_f64 v[78:79], v[112:113], v[78:79]
	v_fma_f64 v[230:231], v[110:111], v[80:81], -v[78:79]
	ds_read_b128 v[78:81], v1 offset:1664
	s_waitcnt vmcnt(34) lgkmcnt(2)
	v_mul_f64 v[88:89], v[70:71], v[196:197]
	v_mul_f64 v[82:83], v[116:117], v[82:83]
	s_waitcnt vmcnt(32)
	v_fmac_f64_e32 v[88:89], v[72:73], v[198:199]
	v_fma_f64 v[252:253], v[114:115], v[84:85], -v[82:83]
	ds_read_b128 v[82:85], v1 offset:1680
	v_add_f64 v[86:87], v[86:87], v[88:89]
	s_waitcnt lgkmcnt(2)
	v_mul_f64 v[88:89], v[74:75], v[174:175]
	v_fmac_f64_e32 v[88:89], v[76:77], v[178:179]
	v_add_f64 v[86:87], v[86:87], v[88:89]
	s_waitcnt vmcnt(26) lgkmcnt(1)
	v_mul_f64 v[88:89], v[78:79], v[200:201]
	s_waitcnt vmcnt(24)
	v_fmac_f64_e32 v[88:89], v[80:81], v[202:203]
	v_add_f64 v[86:87], v[86:87], v[88:89]
	s_waitcnt lgkmcnt(0)
	v_mul_f64 v[88:89], v[82:83], v[182:183]
	v_fmac_f64_e32 v[88:89], v[84:85], v[186:187]
	v_add_f64 v[98:99], v[86:87], v[88:89]
	ds_read_b128 v[86:89], v1 offset:1696
	v_mul_f64 v[90:91], v[238:239], v[90:91]
	v_fma_f64 v[254:255], v[236:237], v[92:93], -v[90:91]
	ds_read_b128 v[90:93], v1 offset:1712
	v_accvgpr_write_b32 a173, v3
	v_mul_f64 v[94:95], v[242:243], v[94:95]
	v_accvgpr_write_b32 a172, v2
	v_fma_f64 v[2:3], v[240:241], v[96:97], -v[94:95]
	ds_read_b128 v[94:97], v1 offset:1728
	v_mul_f64 v[102:103], v[246:247], v[102:103]
	v_fma_f64 v[246:247], v[244:245], v[104:105], -v[102:103]
	ds_read_b128 v[102:105], v1 offset:1760
	v_mul_f64 v[106:107], v[250:251], v[106:107]
	v_fma_f64 v[250:251], v[248:249], v[108:109], -v[106:107]
	ds_read_b128 v[106:109], v1 offset:1776
	v_add_f64 v[224:225], v[224:225], 0
	v_add_f64 v[224:225], v[224:225], v[226:227]
	;; [unrolled: 1-line block ×6, first 2 shown]
	s_waitcnt vmcnt(22) lgkmcnt(4)
	v_mul_f64 v[100:101], v[86:87], v[204:205]
	v_add_f64 v[118:119], v[118:119], v[254:255]
	s_waitcnt vmcnt(20)
	v_fmac_f64_e32 v[100:101], v[88:89], v[206:207]
	v_add_f64 v[98:99], v[98:99], v[100:101]
	v_add_f64 v[2:3], v[118:119], v[2:3]
	s_waitcnt vmcnt(17) lgkmcnt(3)
	v_mul_f64 v[100:101], v[90:91], v[208:209]
	s_waitcnt vmcnt(16)
	v_fmac_f64_e32 v[100:101], v[92:93], v[210:211]
	v_add_f64 v[110:111], v[98:99], v[100:101]
	ds_read_b128 v[98:101], v1 offset:1744
	s_waitcnt vmcnt(14) lgkmcnt(3)
	v_mul_f64 v[112:113], v[94:95], v[214:215]
	s_waitcnt vmcnt(12)
	v_fmac_f64_e32 v[112:113], v[96:97], v[218:219]
	buffer_load_dword v237, off, s[0:3], 0 offset:908
	buffer_load_dword v236, off, s[0:3], 0 offset:904
	;; [unrolled: 1-line block ×4, first 2 shown]
	v_add_f64 v[110:111], v[110:111], v[112:113]
	s_waitcnt vmcnt(14) lgkmcnt(0)
	v_mul_f64 v[112:113], v[98:99], v[216:217]
	s_waitcnt vmcnt(12)
	v_fmac_f64_e32 v[112:113], v[100:101], v[220:221]
	v_add_f64 v[110:111], v[110:111], v[112:113]
	s_waitcnt vmcnt(9)
	v_mul_f64 v[112:113], v[102:103], v[232:233]
	s_waitcnt vmcnt(7)
	v_fmac_f64_e32 v[112:113], v[104:105], v[234:235]
	v_add_f64 v[110:111], v[110:111], v[112:113]
	s_waitcnt vmcnt(5)
	v_mul_f64 v[112:113], v[106:107], v[212:213]
	s_waitcnt vmcnt(4)
	v_fmac_f64_e32 v[112:113], v[108:109], v[222:223]
	v_add_f64 v[114:115], v[110:111], v[112:113]
	ds_read_b128 v[110:113], v1 offset:1792
	buffer_load_dword v242, off, s[0:3], 0 offset:920
	buffer_load_dword v243, off, s[0:3], 0 offset:924
	;; [unrolled: 1-line block ×4, first 2 shown]
	v_add_f64 v[252:253], v[2:3], v[246:247]
	v_accvgpr_read_b32 v118, a172
	v_mul_f64 v[4:5], v[122:123], v[4:5]
	v_accvgpr_read_b32 v119, a173
	v_add_f64 v[2:3], v[252:253], v[250:251]
	v_fma_f64 v[4:5], v[120:121], v[118:119], -v[4:5]
	v_add_f64 v[2:3], v[2:3], v[4:5]
	v_mul_f64 v[4:5], v[8:9], v[128:129]
	v_fma_f64 v[4:5], v[6:7], v[144:145], -v[4:5]
	v_add_f64 v[2:3], v[2:3], v[4:5]
	v_mul_f64 v[4:5], v[12:13], v[124:125]
	v_fma_f64 v[4:5], v[10:11], v[126:127], -v[4:5]
	v_add_f64 v[2:3], v[2:3], v[4:5]
	v_mul_f64 v[4:5], v[16:17], v[148:149]
	v_fma_f64 v[4:5], v[14:15], v[152:153], -v[4:5]
	v_add_f64 v[2:3], v[2:3], v[4:5]
	v_mul_f64 v[4:5], v[20:21], v[130:131]
	v_fma_f64 v[4:5], v[18:19], v[132:133], -v[4:5]
	v_add_f64 v[2:3], v[2:3], v[4:5]
	v_mul_f64 v[4:5], v[24:25], v[156:157]
	v_fma_f64 v[4:5], v[22:23], v[160:161], -v[4:5]
	v_add_f64 v[2:3], v[2:3], v[4:5]
	v_mul_f64 v[4:5], v[28:29], v[134:135]
	v_fma_f64 v[4:5], v[26:27], v[136:137], -v[4:5]
	v_add_f64 v[2:3], v[2:3], v[4:5]
	v_mul_f64 v[4:5], v[32:33], v[164:165]
	v_fma_f64 v[4:5], v[30:31], v[168:169], -v[4:5]
	v_add_f64 v[2:3], v[2:3], v[4:5]
	v_mul_f64 v[4:5], v[36:37], v[138:139]
	v_fma_f64 v[4:5], v[34:35], v[140:141], -v[4:5]
	v_add_f64 v[2:3], v[2:3], v[4:5]
	v_mul_f64 v[4:5], v[40:41], v[172:173]
	v_fma_f64 v[4:5], v[38:39], v[176:177], -v[4:5]
	v_add_f64 v[2:3], v[2:3], v[4:5]
	v_mul_f64 v[4:5], v[44:45], v[142:143]
	v_fma_f64 v[4:5], v[42:43], v[146:147], -v[4:5]
	v_add_f64 v[2:3], v[2:3], v[4:5]
	v_mul_f64 v[4:5], v[48:49], v[180:181]
	v_fma_f64 v[4:5], v[46:47], v[184:185], -v[4:5]
	v_add_f64 v[2:3], v[2:3], v[4:5]
	v_mul_f64 v[4:5], v[52:53], v[150:151]
	v_fma_f64 v[4:5], v[50:51], v[154:155], -v[4:5]
	v_add_f64 v[2:3], v[2:3], v[4:5]
	v_mul_f64 v[4:5], v[56:57], v[188:189]
	v_fma_f64 v[4:5], v[54:55], v[190:191], -v[4:5]
	v_add_f64 v[2:3], v[2:3], v[4:5]
	v_mul_f64 v[4:5], v[60:61], v[158:159]
	v_fma_f64 v[4:5], v[58:59], v[162:163], -v[4:5]
	v_add_f64 v[2:3], v[2:3], v[4:5]
	v_mul_f64 v[4:5], v[64:65], v[192:193]
	v_fma_f64 v[4:5], v[62:63], v[194:195], -v[4:5]
	v_add_f64 v[2:3], v[2:3], v[4:5]
	v_mul_f64 v[4:5], v[68:69], v[166:167]
	v_fma_f64 v[4:5], v[66:67], v[170:171], -v[4:5]
	v_add_f64 v[2:3], v[2:3], v[4:5]
	v_mul_f64 v[4:5], v[72:73], v[196:197]
	v_fma_f64 v[4:5], v[70:71], v[198:199], -v[4:5]
	v_add_f64 v[2:3], v[2:3], v[4:5]
	v_mul_f64 v[4:5], v[76:77], v[174:175]
	v_fma_f64 v[4:5], v[74:75], v[178:179], -v[4:5]
	v_add_f64 v[2:3], v[2:3], v[4:5]
	v_mul_f64 v[4:5], v[80:81], v[200:201]
	v_fma_f64 v[4:5], v[78:79], v[202:203], -v[4:5]
	v_add_f64 v[2:3], v[2:3], v[4:5]
	v_mul_f64 v[4:5], v[84:85], v[182:183]
	s_waitcnt vmcnt(6) lgkmcnt(0)
	v_mul_f64 v[116:117], v[110:111], v[236:237]
	v_fma_f64 v[4:5], v[82:83], v[186:187], -v[4:5]
	s_waitcnt vmcnt(4)
	v_fmac_f64_e32 v[116:117], v[112:113], v[238:239]
	v_add_f64 v[240:241], v[114:115], v[116:117]
	ds_read_b128 v[114:117], v1 offset:1808
	v_add_f64 v[2:3], v[2:3], v[4:5]
	v_mul_f64 v[4:5], v[88:89], v[204:205]
	v_fma_f64 v[4:5], v[86:87], v[206:207], -v[4:5]
	v_add_f64 v[2:3], v[2:3], v[4:5]
	v_mul_f64 v[4:5], v[92:93], v[208:209]
	v_fma_f64 v[4:5], v[90:91], v[210:211], -v[4:5]
	v_add_f64 v[2:3], v[2:3], v[4:5]
	s_waitcnt vmcnt(2) lgkmcnt(0)
	v_mul_f64 v[248:249], v[114:115], v[242:243]
	v_mul_f64 v[4:5], v[96:97], v[214:215]
	s_waitcnt vmcnt(0)
	v_fmac_f64_e32 v[248:249], v[116:117], v[244:245]
	v_add_f64 v[240:241], v[240:241], v[248:249]
	buffer_load_dword v248, off, s[0:3], 0 offset:288
	buffer_load_dword v249, off, s[0:3], 0 offset:292
	;; [unrolled: 1-line block ×4, first 2 shown]
	v_fma_f64 v[4:5], v[94:95], v[218:219], -v[4:5]
	v_add_f64 v[2:3], v[2:3], v[4:5]
	v_mul_f64 v[4:5], v[100:101], v[216:217]
	v_fma_f64 v[4:5], v[98:99], v[220:221], -v[4:5]
	v_add_f64 v[2:3], v[2:3], v[4:5]
	v_mul_f64 v[4:5], v[104:105], v[232:233]
	;; [unrolled: 3-line block ×5, first 2 shown]
	v_fma_f64 v[4:5], v[114:115], v[244:245], -v[4:5]
	v_add_f64 v[2:3], v[2:3], v[4:5]
	v_accvgpr_read_b32 v0, a170
	v_cmp_lt_u32_e32 vcc, 16, v0
	s_waitcnt vmcnt(2)
	v_add_f64 v[2:3], v[248:249], -v[2:3]
	s_waitcnt vmcnt(0)
	v_add_f64 v[4:5], v[246:247], -v[240:241]
	buffer_store_dword v3, off, s[0:3], 0 offset:292
	buffer_store_dword v2, off, s[0:3], 0 offset:288
	;; [unrolled: 1-line block ×4, first 2 shown]
	s_and_saveexec_b64 s[4:5], vcc
	s_cbranch_execz .LBB120_323
; %bb.322:
	v_accvgpr_read_b32 v0, a154
	buffer_load_dword v2, v0, s[0:3], 0 offen
	buffer_load_dword v3, v0, s[0:3], 0 offen offset:4
	buffer_load_dword v4, v0, s[0:3], 0 offen offset:8
	;; [unrolled: 1-line block ×3, first 2 shown]
	v_accvgpr_read_b32 v0, a171
	buffer_store_dword v1, off, s[0:3], 0 offset:272
	buffer_store_dword v1, off, s[0:3], 0 offset:276
	;; [unrolled: 1-line block ×4, first 2 shown]
	s_waitcnt vmcnt(4)
	ds_write_b128 v0, v[2:5]
.LBB120_323:
	s_or_b64 exec, exec, s[4:5]
	s_waitcnt lgkmcnt(0)
	; wave barrier
	s_waitcnt lgkmcnt(0)
	buffer_load_dword v56, off, s[0:3], 0 offset:288
	buffer_load_dword v57, off, s[0:3], 0 offset:292
	;; [unrolled: 1-line block ×42, first 2 shown]
	ds_read_b128 v[78:81], v1 offset:1184
	ds_read_b128 v[90:93], v1 offset:1200
	;; [unrolled: 1-line block ×10, first 2 shown]
	buffer_load_dword v105, off, s[0:3], 0 offset:436
	buffer_load_dword v104, off, s[0:3], 0 offset:432
	ds_read_b128 v[106:109], v1 offset:1344
	buffer_load_dword v3, off, s[0:3], 0 offset:492
	buffer_load_dword v2, off, s[0:3], 0 offset:488
	s_waitcnt vmcnt(38) lgkmcnt(9)
	v_mul_f64 v[4:5], v[90:91], v[62:63]
	v_fmac_f64_e32 v[4:5], v[92:93], v[54:55]
	s_waitcnt vmcnt(36) lgkmcnt(8)
	v_mul_f64 v[6:7], v[114:115], v[58:59]
	v_mul_f64 v[58:59], v[116:117], v[58:59]
	s_waitcnt vmcnt(34) lgkmcnt(6)
	v_mul_f64 v[10:11], v[240:241], v[70:71]
	v_mul_f64 v[70:71], v[242:243], v[70:71]
	s_waitcnt vmcnt(32)
	v_fmac_f64_e32 v[10:11], v[242:243], v[72:73]
	v_fma_f64 v[240:241], v[240:241], v[72:73], -v[70:71]
	s_waitcnt vmcnt(30)
	v_mul_f64 v[8:9], v[236:237], v[64:65]
	s_waitcnt vmcnt(28) lgkmcnt(4)
	v_mul_f64 v[14:15], v[248:249], v[82:83]
	v_mul_f64 v[82:83], v[250:251], v[82:83]
	s_waitcnt vmcnt(26)
	v_fmac_f64_e32 v[14:15], v[250:251], v[84:85]
	v_fma_f64 v[248:249], v[248:249], v[84:85], -v[82:83]
	s_waitcnt vmcnt(24)
	v_mul_f64 v[12:13], v[244:245], v[74:75]
	v_mul_f64 v[74:75], v[246:247], v[74:75]
	s_waitcnt vmcnt(22) lgkmcnt(2)
	v_mul_f64 v[18:19], v[224:225], v[94:95]
	v_mul_f64 v[94:95], v[226:227], v[94:95]
	s_waitcnt vmcnt(19)
	v_mul_f64 v[16:17], v[252:253], v[86:87]
	v_mul_f64 v[86:87], v[254:255], v[86:87]
	s_waitcnt vmcnt(17) lgkmcnt(1)
	v_mul_f64 v[20:21], v[98:99], v[102:103]
	s_waitcnt vmcnt(15)
	v_fmac_f64_e32 v[6:7], v[116:117], v[68:69]
	s_waitcnt vmcnt(13)
	v_fmac_f64_e32 v[8:9], v[238:239], v[66:67]
	;; [unrolled: 2-line block ×3, first 2 shown]
	v_fma_f64 v[246:247], v[244:245], v[76:77], -v[74:75]
	s_waitcnt vmcnt(9)
	v_fmac_f64_e32 v[16:17], v[254:255], v[88:89]
	s_waitcnt vmcnt(8)
	v_fmac_f64_e32 v[18:19], v[226:227], v[96:97]
	v_fma_f64 v[254:255], v[252:253], v[88:89], -v[86:87]
	v_fma_f64 v[224:225], v[224:225], v[96:97], -v[94:95]
	s_waitcnt vmcnt(2)
	v_fmac_f64_e32 v[20:21], v[100:101], v[104:105]
	v_mul_f64 v[100:101], v[100:101], v[102:103]
	s_waitcnt vmcnt(0)
	v_pk_mov_b32 v[22:23], v[2:3], v[2:3] op_sel:[0,1]
	buffer_load_dword v3, off, s[0:3], 0 offset:484
	buffer_load_dword v2, off, s[0:3], 0 offset:480
	;; [unrolled: 1-line block ×78, first 2 shown]
	ds_read_b128 v[120:123], v1 offset:1360
	v_accvgpr_write_b32 a173, v23
	v_accvgpr_write_b32 a172, v22
	v_fma_f64 v[250:251], v[98:99], v[104:105], -v[100:101]
	s_waitcnt vmcnt(62)
	v_pk_mov_b32 v[24:25], v[2:3], v[2:3] op_sel:[0,1]
	v_mul_f64 v[2:3], v[78:79], v[60:61]
	v_fmac_f64_e32 v[2:3], v[80:81], v[56:57]
	v_add_f64 v[2:3], v[2:3], 0
	v_add_f64 v[2:3], v[2:3], v[4:5]
	;; [unrolled: 1-line block ×9, first 2 shown]
	s_waitcnt lgkmcnt(1)
	v_mul_f64 v[8:9], v[106:107], v[110:111]
	v_add_f64 v[6:7], v[2:3], v[20:21]
	v_fmac_f64_e32 v[8:9], v[108:109], v[112:113]
	v_add_f64 v[10:11], v[6:7], v[8:9]
	ds_read_b128 v[6:9], v1 offset:1376
	s_waitcnt lgkmcnt(1)
	v_mul_f64 v[12:13], v[120:121], v[124:125]
	v_fmac_f64_e32 v[12:13], v[122:123], v[140:141]
	v_add_f64 v[14:15], v[10:11], v[12:13]
	ds_read_b128 v[10:13], v1 offset:1392
	s_waitcnt lgkmcnt(1)
	v_mul_f64 v[16:17], v[6:7], v[22:23]
	;; [unrolled: 5-line block ×3, first 2 shown]
	v_fmac_f64_e32 v[20:21], v[12:13], v[148:149]
	v_add_f64 v[22:23], v[18:19], v[20:21]
	ds_read_b128 v[18:21], v1 offset:1424
	v_accvgpr_write_b32 a175, v25
	v_accvgpr_write_b32 a174, v24
	s_waitcnt lgkmcnt(1)
	v_mul_f64 v[24:25], v[14:15], v[126:127]
	v_fmac_f64_e32 v[24:25], v[16:17], v[128:129]
	v_add_f64 v[26:27], v[22:23], v[24:25]
	ds_read_b128 v[22:25], v1 offset:1440
	s_waitcnt vmcnt(58) lgkmcnt(1)
	v_mul_f64 v[28:29], v[18:19], v[152:153]
	s_waitcnt vmcnt(56)
	v_fmac_f64_e32 v[28:29], v[20:21], v[156:157]
	v_add_f64 v[30:31], v[26:27], v[28:29]
	ds_read_b128 v[26:29], v1 offset:1456
	s_waitcnt lgkmcnt(1)
	v_mul_f64 v[32:33], v[22:23], v[130:131]
	v_fmac_f64_e32 v[32:33], v[24:25], v[132:133]
	v_add_f64 v[34:35], v[30:31], v[32:33]
	ds_read_b128 v[30:33], v1 offset:1472
	s_waitcnt vmcnt(50) lgkmcnt(1)
	v_mul_f64 v[36:37], v[26:27], v[160:161]
	s_waitcnt vmcnt(48)
	v_fmac_f64_e32 v[36:37], v[28:29], v[164:165]
	v_add_f64 v[38:39], v[34:35], v[36:37]
	ds_read_b128 v[34:37], v1 offset:1488
	;; [unrolled: 11-line block ×4, first 2 shown]
	buffer_load_dword v200, off, s[0:3], 0 offset:808
	buffer_load_dword v205, off, s[0:3], 0 offset:796
	buffer_load_dword v204, off, s[0:3], 0 offset:792
	buffer_load_dword v207, off, s[0:3], 0 offset:788
	buffer_load_dword v206, off, s[0:3], 0 offset:784
	buffer_load_dword v202, off, s[0:3], 0 offset:800
	buffer_load_dword v201, off, s[0:3], 0 offset:812
	buffer_load_dword v203, off, s[0:3], 0 offset:804
	s_waitcnt lgkmcnt(1)
	v_mul_f64 v[208:209], v[46:47], v[146:147]
	v_fmac_f64_e32 v[208:209], v[48:49], v[150:151]
	v_add_f64 v[118:119], v[118:119], v[208:209]
	buffer_load_dword v209, off, s[0:3], 0 offset:828
	buffer_load_dword v208, off, s[0:3], 0 offset:824
	;; [unrolled: 1-line block ×20, first 2 shown]
	v_mul_f64 v[60:61], v[80:81], v[60:61]
	s_waitcnt vmcnt(54) lgkmcnt(0)
	v_mul_f64 v[228:229], v[50:51], v[184:185]
	v_fma_f64 v[230:231], v[78:79], v[56:57], -v[60:61]
	v_mul_f64 v[56:57], v[92:93], v[62:63]
	v_fma_f64 v[2:3], v[90:91], v[54:55], -v[56:57]
	s_waitcnt vmcnt(52)
	v_fmac_f64_e32 v[228:229], v[52:53], v[186:187]
	ds_read_b128 v[54:57], v1 offset:1568
	v_add_f64 v[4:5], v[118:119], v[228:229]
	v_fma_f64 v[118:119], v[114:115], v[68:69], -v[58:59]
	ds_read_b128 v[58:61], v1 offset:1584
	v_mul_f64 v[62:63], v[238:239], v[64:65]
	v_fma_f64 v[228:229], v[236:237], v[66:67], -v[62:63]
	ds_read_b128 v[62:65], v1 offset:1600
	ds_read_b128 v[70:73], v1 offset:1632
	s_waitcnt lgkmcnt(3)
	v_mul_f64 v[68:69], v[54:55], v[154:155]
	v_fmac_f64_e32 v[68:69], v[56:57], v[158:159]
	s_waitcnt vmcnt(46) lgkmcnt(2)
	v_mul_f64 v[66:67], v[58:59], v[188:189]
	v_add_f64 v[4:5], v[4:5], v[68:69]
	s_waitcnt vmcnt(44)
	v_fmac_f64_e32 v[66:67], v[60:61], v[190:191]
	v_add_f64 v[4:5], v[4:5], v[66:67]
	s_waitcnt lgkmcnt(1)
	v_mul_f64 v[66:67], v[62:63], v[162:163]
	v_fmac_f64_e32 v[66:67], v[64:65], v[166:167]
	v_add_f64 v[4:5], v[4:5], v[66:67]
	ds_read_b128 v[66:69], v1 offset:1616
	ds_read_b128 v[74:77], v1 offset:1648
	;; [unrolled: 1-line block ×5, first 2 shown]
	s_waitcnt vmcnt(38) lgkmcnt(4)
	v_mul_f64 v[78:79], v[66:67], v[192:193]
	s_waitcnt vmcnt(36)
	v_fmac_f64_e32 v[78:79], v[68:69], v[194:195]
	v_add_f64 v[4:5], v[4:5], v[78:79]
	v_mul_f64 v[78:79], v[70:71], v[170:171]
	v_fmac_f64_e32 v[78:79], v[72:73], v[174:175]
	v_add_f64 v[4:5], v[4:5], v[78:79]
	s_waitcnt vmcnt(30) lgkmcnt(3)
	v_mul_f64 v[78:79], v[74:75], v[196:197]
	s_waitcnt vmcnt(28)
	v_fmac_f64_e32 v[78:79], v[76:77], v[198:199]
	v_add_f64 v[4:5], v[4:5], v[78:79]
	ds_read_b128 v[78:81], v1 offset:1664
	v_mul_f64 v[108:109], v[108:109], v[110:111]
	v_fma_f64 v[252:253], v[106:107], v[112:113], -v[108:109]
	ds_read_b128 v[98:101], v1 offset:1744
	ds_read_b128 v[106:109], v1 offset:1776
	s_waitcnt lgkmcnt(2)
	v_mul_f64 v[90:91], v[78:79], v[178:179]
	v_fmac_f64_e32 v[90:91], v[80:81], v[182:183]
	v_add_f64 v[4:5], v[4:5], v[90:91]
	s_waitcnt vmcnt(25)
	v_mul_f64 v[90:91], v[82:83], v[204:205]
	s_waitcnt vmcnt(23)
	v_fmac_f64_e32 v[90:91], v[84:85], v[206:207]
	v_add_f64 v[4:5], v[4:5], v[90:91]
	s_waitcnt vmcnt(21)
	v_mul_f64 v[90:91], v[86:87], v[200:201]
	s_waitcnt vmcnt(20)
	v_fmac_f64_e32 v[90:91], v[88:89], v[202:203]
	v_add_f64 v[4:5], v[4:5], v[90:91]
	ds_read_b128 v[90:93], v1 offset:1712
	s_waitcnt vmcnt(14)
	v_mul_f64 v[102:103], v[94:95], v[214:215]
	s_waitcnt vmcnt(9) lgkmcnt(2)
	v_mul_f64 v[110:111], v[98:99], v[220:221]
	v_fmac_f64_e32 v[102:103], v[96:97], v[216:217]
	s_waitcnt vmcnt(7)
	v_fmac_f64_e32 v[110:111], v[100:101], v[232:233]
	s_waitcnt lgkmcnt(0)
	v_mul_f64 v[114:115], v[90:91], v[208:209]
	v_fmac_f64_e32 v[114:115], v[92:93], v[210:211]
	v_add_f64 v[4:5], v[4:5], v[114:115]
	v_add_f64 v[4:5], v[4:5], v[102:103]
	ds_read_b128 v[102:105], v1 offset:1760
	buffer_load_dword v236, off, s[0:3], 0 offset:904
	buffer_load_dword v237, off, s[0:3], 0 offset:908
	;; [unrolled: 1-line block ×4, first 2 shown]
	v_add_f64 v[4:5], v[4:5], v[110:111]
	s_waitcnt vmcnt(9) lgkmcnt(0)
	v_mul_f64 v[110:111], v[102:103], v[212:213]
	s_waitcnt vmcnt(8)
	v_fmac_f64_e32 v[110:111], v[104:105], v[218:219]
	v_add_f64 v[4:5], v[4:5], v[110:111]
	s_waitcnt vmcnt(6)
	v_mul_f64 v[110:111], v[106:107], v[222:223]
	s_waitcnt vmcnt(4)
	v_fmac_f64_e32 v[110:111], v[108:109], v[234:235]
	v_add_f64 v[4:5], v[4:5], v[110:111]
	ds_read_b128 v[110:113], v1 offset:1792
	buffer_load_dword v243, off, s[0:3], 0 offset:924
	buffer_load_dword v242, off, s[0:3], 0 offset:920
	;; [unrolled: 1-line block ×4, first 2 shown]
	s_waitcnt vmcnt(6) lgkmcnt(0)
	v_mul_f64 v[114:115], v[110:111], v[236:237]
	s_waitcnt vmcnt(4)
	v_fmac_f64_e32 v[114:115], v[112:113], v[238:239]
	v_add_f64 v[4:5], v[4:5], v[114:115]
	ds_read_b128 v[114:117], v1 offset:1808
	v_accvgpr_read_b32 v0, a172
	v_accvgpr_read_b32 v1, a173
	v_mul_f64 v[8:9], v[8:9], v[0:1]
	v_accvgpr_read_b32 v0, a174
	v_accvgpr_read_b32 v1, a175
	v_fma_f64 v[6:7], v[6:7], v[0:1], -v[8:9]
	s_waitcnt vmcnt(2) lgkmcnt(0)
	v_mul_f64 v[226:227], v[114:115], v[242:243]
	v_accvgpr_read_b32 v0, a170
	s_waitcnt vmcnt(0)
	v_fmac_f64_e32 v[226:227], v[116:117], v[244:245]
	v_add_f64 v[4:5], v[4:5], v[226:227]
	v_add_f64 v[226:227], v[230:231], 0
	;; [unrolled: 1-line block ×8, first 2 shown]
	buffer_load_dword v248, off, s[0:3], 0 offset:272
	buffer_load_dword v249, off, s[0:3], 0 offset:276
	;; [unrolled: 1-line block ×4, first 2 shown]
	v_add_f64 v[2:3], v[2:3], v[254:255]
	v_add_f64 v[254:255], v[2:3], v[224:225]
	;; [unrolled: 1-line block ×3, first 2 shown]
	v_mul_f64 v[118:119], v[122:123], v[124:125]
	v_add_f64 v[2:3], v[2:3], v[252:253]
	v_fma_f64 v[118:119], v[120:121], v[140:141], -v[118:119]
	v_add_f64 v[2:3], v[2:3], v[118:119]
	v_add_f64 v[2:3], v[2:3], v[6:7]
	v_mul_f64 v[6:7], v[12:13], v[144:145]
	v_fma_f64 v[6:7], v[10:11], v[148:149], -v[6:7]
	v_add_f64 v[2:3], v[2:3], v[6:7]
	v_mul_f64 v[6:7], v[16:17], v[126:127]
	v_fma_f64 v[6:7], v[14:15], v[128:129], -v[6:7]
	;; [unrolled: 3-line block ×27, first 2 shown]
	v_add_f64 v[2:3], v[2:3], v[6:7]
	s_waitcnt vmcnt(2)
	v_add_f64 v[2:3], v[248:249], -v[2:3]
	v_cmp_lt_u32_e32 vcc, 15, v0
	s_waitcnt vmcnt(0)
	v_add_f64 v[4:5], v[246:247], -v[4:5]
	buffer_store_dword v3, off, s[0:3], 0 offset:276
	buffer_store_dword v2, off, s[0:3], 0 offset:272
	buffer_store_dword v5, off, s[0:3], 0 offset:284
	buffer_store_dword v4, off, s[0:3], 0 offset:280
	s_and_saveexec_b64 s[4:5], vcc
	s_cbranch_execz .LBB120_325
; %bb.324:
	v_accvgpr_read_b32 v0, a155
	buffer_load_dword v2, v0, s[0:3], 0 offen
	buffer_load_dword v3, v0, s[0:3], 0 offen offset:4
	buffer_load_dword v4, v0, s[0:3], 0 offen offset:8
	;; [unrolled: 1-line block ×3, first 2 shown]
	v_mov_b32_e32 v0, 0
	v_accvgpr_read_b32 v1, a171
	buffer_store_dword v0, off, s[0:3], 0 offset:256
	buffer_store_dword v0, off, s[0:3], 0 offset:260
	;; [unrolled: 1-line block ×4, first 2 shown]
	s_waitcnt vmcnt(4)
	ds_write_b128 v1, v[2:5]
.LBB120_325:
	s_or_b64 exec, exec, s[4:5]
	s_waitcnt lgkmcnt(0)
	; wave barrier
	s_waitcnt lgkmcnt(0)
	buffer_load_dword v54, off, s[0:3], 0 offset:272
	buffer_load_dword v55, off, s[0:3], 0 offset:276
	;; [unrolled: 1-line block ×46, first 2 shown]
	v_mov_b32_e32 v1, 0
	v_accvgpr_read_b32 v0, a170
	v_cmp_lt_u32_e32 vcc, 14, v0
	s_waitcnt vmcnt(0)
	v_pk_mov_b32 v[22:23], v[2:3], v[2:3] op_sel:[0,1]
	buffer_load_dword v3, off, s[0:3], 0 offset:468
	buffer_load_dword v2, off, s[0:3], 0 offset:464
	buffer_load_dword v107, off, s[0:3], 0 offset:460
	ds_read_b128 v[94:97], v1 offset:1168
	ds_read_b128 v[108:111], v1 offset:1184
	;; [unrolled: 1-line block ×11, first 2 shown]
	buffer_load_dword v106, off, s[0:3], 0 offset:456
	buffer_load_dword v233, off, s[0:3], 0 offset:452
	;; [unrolled: 1-line block ×75, first 2 shown]
	s_waitcnt lgkmcnt(9)
	v_mul_f64 v[4:5], v[108:109], v[62:63]
	s_waitcnt lgkmcnt(8)
	v_mul_f64 v[6:7], v[112:113], v[60:61]
	v_fmac_f64_e32 v[4:5], v[110:111], v[58:59]
	s_waitcnt lgkmcnt(7)
	v_mul_f64 v[8:9], v[224:225], v[68:69]
	v_fmac_f64_e32 v[6:7], v[114:115], v[84:85]
	;; [unrolled: 3-line block ×5, first 2 shown]
	ds_read_b128 v[116:119], v1 offset:1344
	ds_read_b128 v[120:123], v1 offset:1360
	s_waitcnt lgkmcnt(5)
	v_mul_f64 v[16:17], v[248:249], v[78:79]
	v_fmac_f64_e32 v[14:15], v[246:247], v[76:77]
	s_waitcnt lgkmcnt(4)
	v_mul_f64 v[18:19], v[252:253], v[86:87]
	v_fmac_f64_e32 v[16:17], v[250:251], v[80:81]
	;; [unrolled: 3-line block ×3, first 2 shown]
	v_fmac_f64_e32 v[20:21], v[230:231], v[92:93]
	v_accvgpr_write_b32 a173, v23
	v_accvgpr_write_b32 a172, v22
	v_mul_f64 v[62:63], v[110:111], v[62:63]
	v_mul_f64 v[74:75], v[246:247], v[74:75]
	v_fma_f64 v[246:247], v[244:245], v[76:77], -v[74:75]
	v_mul_f64 v[78:79], v[250:251], v[78:79]
	v_fma_f64 v[248:249], v[248:249], v[80:81], -v[78:79]
	;; [unrolled: 2-line block ×4, first 2 shown]
	s_waitcnt vmcnt(62)
	v_pk_mov_b32 v[24:25], v[2:3], v[2:3] op_sel:[0,1]
	v_mul_f64 v[2:3], v[94:95], v[56:57]
	v_fmac_f64_e32 v[2:3], v[96:97], v[54:55]
	v_add_f64 v[2:3], v[2:3], 0
	v_add_f64 v[2:3], v[2:3], v[4:5]
	;; [unrolled: 1-line block ×9, first 2 shown]
	s_waitcnt lgkmcnt(2)
	v_mul_f64 v[4:5], v[98:99], v[102:103]
	v_add_f64 v[2:3], v[2:3], v[20:21]
	v_fmac_f64_e32 v[4:5], v[100:101], v[104:105]
	s_waitcnt lgkmcnt(1)
	v_mul_f64 v[8:9], v[116:117], v[106:107]
	v_add_f64 v[6:7], v[2:3], v[4:5]
	v_fmac_f64_e32 v[8:9], v[118:119], v[232:233]
	s_waitcnt lgkmcnt(0)
	v_mul_f64 v[12:13], v[120:121], v[22:23]
	v_add_f64 v[10:11], v[6:7], v[8:9]
	ds_read_b128 v[6:9], v1 offset:1376
	v_fmac_f64_e32 v[12:13], v[122:123], v[24:25]
	v_add_f64 v[14:15], v[10:11], v[12:13]
	ds_read_b128 v[10:13], v1 offset:1392
	v_accvgpr_write_b32 a175, v25
	s_waitcnt lgkmcnt(1)
	v_mul_f64 v[16:17], v[6:7], v[140:141]
	v_fmac_f64_e32 v[16:17], v[8:9], v[144:145]
	v_add_f64 v[18:19], v[14:15], v[16:17]
	s_waitcnt lgkmcnt(0)
	v_mul_f64 v[20:21], v[10:11], v[124:125]
	ds_read_b128 v[14:17], v1 offset:1408
	v_fmac_f64_e32 v[20:21], v[12:13], v[126:127]
	v_add_f64 v[22:23], v[18:19], v[20:21]
	ds_read_b128 v[18:21], v1 offset:1424
	v_accvgpr_write_b32 a174, v24
	s_waitcnt vmcnt(58) lgkmcnt(1)
	v_mul_f64 v[24:25], v[14:15], v[148:149]
	s_waitcnt vmcnt(56)
	v_fmac_f64_e32 v[24:25], v[16:17], v[152:153]
	v_add_f64 v[26:27], v[22:23], v[24:25]
	s_waitcnt lgkmcnt(0)
	v_mul_f64 v[28:29], v[18:19], v[128:129]
	ds_read_b128 v[22:25], v1 offset:1440
	v_fmac_f64_e32 v[28:29], v[20:21], v[130:131]
	v_add_f64 v[30:31], v[26:27], v[28:29]
	ds_read_b128 v[26:29], v1 offset:1456
	v_mul_f64 v[56:57], v[96:97], v[56:57]
	s_waitcnt vmcnt(50) lgkmcnt(1)
	v_mul_f64 v[32:33], v[22:23], v[156:157]
	s_waitcnt vmcnt(48)
	v_fmac_f64_e32 v[32:33], v[24:25], v[160:161]
	v_add_f64 v[34:35], v[30:31], v[32:33]
	s_waitcnt lgkmcnt(0)
	v_mul_f64 v[36:37], v[26:27], v[132:133]
	ds_read_b128 v[30:33], v1 offset:1472
	v_fmac_f64_e32 v[36:37], v[28:29], v[134:135]
	v_add_f64 v[38:39], v[34:35], v[36:37]
	ds_read_b128 v[34:37], v1 offset:1488
	v_fma_f64 v[2:3], v[94:95], v[54:55], -v[56:57]
	s_waitcnt vmcnt(42) lgkmcnt(1)
	v_mul_f64 v[40:41], v[30:31], v[164:165]
	s_waitcnt vmcnt(40)
	v_fmac_f64_e32 v[40:41], v[32:33], v[168:169]
	v_add_f64 v[42:43], v[38:39], v[40:41]
	s_waitcnt lgkmcnt(0)
	v_mul_f64 v[44:45], v[34:35], v[136:137]
	ds_read_b128 v[38:41], v1 offset:1504
	v_fmac_f64_e32 v[44:45], v[36:37], v[138:139]
	v_add_f64 v[46:47], v[42:43], v[44:45]
	ds_read_b128 v[42:45], v1 offset:1520
	v_fma_f64 v[94:95], v[108:109], v[58:59], -v[62:63]
	s_waitcnt vmcnt(34) lgkmcnt(1)
	v_mul_f64 v[48:49], v[38:39], v[172:173]
	s_waitcnt vmcnt(32)
	v_fmac_f64_e32 v[48:49], v[40:41], v[176:177]
	v_add_f64 v[50:51], v[46:47], v[48:49]
	s_waitcnt lgkmcnt(0)
	v_mul_f64 v[52:53], v[42:43], v[142:143]
	v_fmac_f64_e32 v[52:53], v[44:45], v[146:147]
	ds_read_b128 v[46:49], v1 offset:1536
	v_add_f64 v[200:201], v[50:51], v[52:53]
	ds_read_b128 v[50:53], v1 offset:1552
	buffer_load_dword v197, off, s[0:3], 0 offset:780
	buffer_load_dword v196, off, s[0:3], 0 offset:776
	;; [unrolled: 1-line block ×4, first 2 shown]
	v_mul_f64 v[58:59], v[114:115], v[60:61]
	s_waitcnt vmcnt(30) lgkmcnt(1)
	v_mul_f64 v[202:203], v[46:47], v[180:181]
	s_waitcnt vmcnt(28)
	v_fmac_f64_e32 v[202:203], v[48:49], v[182:183]
	v_add_f64 v[234:235], v[200:201], v[202:203]
	buffer_load_dword v202, off, s[0:3], 0 offset:792
	buffer_load_dword v204, off, s[0:3], 0 offset:784
	;; [unrolled: 1-line block ×12, first 2 shown]
	ds_read_b128 v[54:57], v1 offset:1568
	buffer_load_dword v213, off, s[0:3], 0 offset:844
	buffer_load_dword v212, off, s[0:3], 0 offset:840
	buffer_load_dword v215, off, s[0:3], 0 offset:836
	buffer_load_dword v214, off, s[0:3], 0 offset:832
	s_waitcnt lgkmcnt(1)
	v_mul_f64 v[4:5], v[50:51], v[150:151]
	buffer_load_dword v216, off, s[0:3], 0 offset:856
	buffer_load_dword v218, off, s[0:3], 0 offset:848
	;; [unrolled: 1-line block ×8, first 2 shown]
	v_fma_f64 v[96:97], v[112:113], v[84:85], -v[58:59]
	v_fmac_f64_e32 v[4:5], v[52:53], v[154:155]
	v_mul_f64 v[58:59], v[226:227], v[68:69]
	v_add_f64 v[4:5], v[234:235], v[4:5]
	v_fma_f64 v[108:109], v[224:225], v[82:83], -v[58:59]
	buffer_load_dword v224, off, s[0:3], 0 offset:888
	buffer_load_dword v234, off, s[0:3], 0 offset:880
	;; [unrolled: 1-line block ×4, first 2 shown]
	s_waitcnt vmcnt(50) lgkmcnt(0)
	v_mul_f64 v[58:59], v[54:55], v[184:185]
	s_waitcnt vmcnt(48)
	v_fmac_f64_e32 v[58:59], v[56:57], v[186:187]
	v_add_f64 v[4:5], v[4:5], v[58:59]
	ds_read_b128 v[58:61], v1 offset:1584
	v_mul_f64 v[62:63], v[238:239], v[64:65]
	v_fma_f64 v[236:237], v[236:237], v[66:67], -v[62:63]
	ds_read_b128 v[62:65], v1 offset:1600
	v_mul_f64 v[66:67], v[242:243], v[70:71]
	v_fma_f64 v[240:241], v[240:241], v[72:73], -v[66:67]
	ds_read_b128 v[66:69], v1 offset:1616
	ds_read_b128 v[74:77], v1 offset:1648
	s_waitcnt lgkmcnt(3)
	v_mul_f64 v[82:83], v[58:59], v[158:159]
	v_fmac_f64_e32 v[82:83], v[60:61], v[162:163]
	s_waitcnt vmcnt(42) lgkmcnt(2)
	v_mul_f64 v[70:71], v[62:63], v[188:189]
	v_add_f64 v[4:5], v[4:5], v[82:83]
	s_waitcnt vmcnt(40)
	v_fmac_f64_e32 v[70:71], v[64:65], v[190:191]
	v_add_f64 v[4:5], v[4:5], v[70:71]
	s_waitcnt lgkmcnt(1)
	v_mul_f64 v[70:71], v[66:67], v[166:167]
	v_fmac_f64_e32 v[70:71], v[68:69], v[170:171]
	v_add_f64 v[4:5], v[4:5], v[70:71]
	ds_read_b128 v[70:73], v1 offset:1632
	ds_read_b128 v[78:81], v1 offset:1664
	;; [unrolled: 1-line block ×4, first 2 shown]
	v_mul_f64 v[100:101], v[100:101], v[102:103]
	s_waitcnt vmcnt(34) lgkmcnt(3)
	v_mul_f64 v[82:83], v[70:71], v[192:193]
	s_waitcnt vmcnt(32)
	v_fmac_f64_e32 v[82:83], v[72:73], v[194:195]
	v_add_f64 v[4:5], v[4:5], v[82:83]
	v_mul_f64 v[82:83], v[74:75], v[174:175]
	v_fmac_f64_e32 v[82:83], v[76:77], v[178:179]
	v_add_f64 v[4:5], v[4:5], v[82:83]
	v_mul_f64 v[102:103], v[118:119], v[106:107]
	v_fma_f64 v[250:251], v[98:99], v[104:105], -v[100:101]
	ds_read_b128 v[98:101], v1 offset:1744
	v_fma_f64 v[102:103], v[116:117], v[232:233], -v[102:103]
	v_accvgpr_write_b32 a177, v103
	v_accvgpr_write_b32 a176, v102
	ds_read_b128 v[102:105], v1 offset:1760
	ds_read_b128 v[230:233], v1 offset:1776
	v_add_f64 v[2:3], v[2:3], 0
	ds_read_b128 v[86:89], v1 offset:1696
	v_add_f64 v[2:3], v[2:3], v[94:95]
	v_add_f64 v[2:3], v[2:3], v[96:97]
	v_add_f64 v[2:3], v[2:3], v[108:109]
	v_add_f64 v[2:3], v[2:3], v[236:237]
	v_add_f64 v[2:3], v[2:3], v[240:241]
	v_add_f64 v[2:3], v[2:3], v[246:247]
	v_add_f64 v[2:3], v[2:3], v[248:249]
	v_add_f64 v[2:3], v[2:3], v[252:253]
	v_add_f64 v[2:3], v[2:3], v[254:255]
	v_accvgpr_read_b32 v94, a172
	v_add_f64 v[252:253], v[2:3], v[250:251]
	v_accvgpr_read_b32 v2, a176
	v_accvgpr_read_b32 v95, a173
	;; [unrolled: 1-line block ×4, first 2 shown]
	v_mul_f64 v[94:95], v[122:123], v[94:95]
	v_accvgpr_read_b32 v97, a175
	v_add_f64 v[2:3], v[252:253], v[2:3]
	v_fma_f64 v[94:95], v[120:121], v[96:97], -v[94:95]
	v_mul_f64 v[8:9], v[8:9], v[140:141]
	s_waitcnt vmcnt(30) lgkmcnt(6)
	v_mul_f64 v[82:83], v[78:79], v[196:197]
	v_add_f64 v[2:3], v[2:3], v[94:95]
	s_waitcnt vmcnt(28)
	v_fmac_f64_e32 v[82:83], v[80:81], v[198:199]
	v_add_f64 v[4:5], v[4:5], v[82:83]
	ds_read_b128 v[82:85], v1 offset:1680
	v_fma_f64 v[6:7], v[6:7], v[144:145], -v[8:9]
	v_add_f64 v[2:3], v[2:3], v[6:7]
	s_waitcnt vmcnt(9) lgkmcnt(4)
	v_mul_f64 v[106:107], v[98:99], v[216:217]
	s_waitcnt vmcnt(8)
	v_fmac_f64_e32 v[106:107], v[100:101], v[218:219]
	s_waitcnt lgkmcnt(0)
	v_mul_f64 v[110:111], v[82:83], v[202:203]
	v_fmac_f64_e32 v[110:111], v[84:85], v[204:205]
	v_add_f64 v[4:5], v[4:5], v[110:111]
	v_mul_f64 v[110:111], v[86:87], v[206:207]
	v_fmac_f64_e32 v[110:111], v[88:89], v[210:211]
	v_add_f64 v[4:5], v[4:5], v[110:111]
	;; [unrolled: 3-line block ×4, first 2 shown]
	v_add_f64 v[4:5], v[4:5], v[106:107]
	s_waitcnt vmcnt(6)
	v_mul_f64 v[106:107], v[102:103], v[220:221]
	s_waitcnt vmcnt(4)
	v_fmac_f64_e32 v[106:107], v[104:105], v[222:223]
	v_add_f64 v[4:5], v[4:5], v[106:107]
	s_waitcnt vmcnt(1)
	v_mul_f64 v[106:107], v[230:231], v[224:225]
	s_waitcnt vmcnt(0)
	v_fmac_f64_e32 v[106:107], v[232:233], v[234:235]
	v_add_f64 v[106:107], v[4:5], v[106:107]
	buffer_load_dword v5, off, s[0:3], 0 offset:908
	buffer_load_dword v4, off, s[0:3], 0 offset:904
	;; [unrolled: 1-line block ×4, first 2 shown]
	ds_read_b128 v[110:113], v1 offset:1792
	buffer_load_dword v242, off, s[0:3], 0 offset:920
	buffer_load_dword v243, off, s[0:3], 0 offset:924
	;; [unrolled: 1-line block ×4, first 2 shown]
	v_mul_f64 v[6:7], v[12:13], v[124:125]
	v_fma_f64 v[6:7], v[10:11], v[126:127], -v[6:7]
	v_add_f64 v[2:3], v[2:3], v[6:7]
	v_mul_f64 v[6:7], v[16:17], v[148:149]
	v_fma_f64 v[6:7], v[14:15], v[152:153], -v[6:7]
	v_add_f64 v[2:3], v[2:3], v[6:7]
	;; [unrolled: 3-line block ×25, first 2 shown]
	s_waitcnt vmcnt(6) lgkmcnt(0)
	v_mul_f64 v[114:115], v[110:111], v[4:5]
	v_mul_f64 v[4:5], v[112:113], v[4:5]
	s_waitcnt vmcnt(4)
	v_fmac_f64_e32 v[114:115], v[112:113], v[238:239]
	v_add_f64 v[106:107], v[106:107], v[114:115]
	ds_read_b128 v[114:117], v1 offset:1808
	buffer_load_dword v248, off, s[0:3], 0 offset:256
	buffer_load_dword v249, off, s[0:3], 0 offset:260
	;; [unrolled: 1-line block ×4, first 2 shown]
	v_fma_f64 v[4:5], v[110:111], v[238:239], -v[4:5]
	v_add_f64 v[2:3], v[2:3], v[4:5]
	s_waitcnt vmcnt(6) lgkmcnt(0)
	v_mul_f64 v[4:5], v[116:117], v[242:243]
	v_mul_f64 v[118:119], v[114:115], v[242:243]
	s_waitcnt vmcnt(4)
	v_fma_f64 v[4:5], v[114:115], v[244:245], -v[4:5]
	v_fmac_f64_e32 v[118:119], v[116:117], v[244:245]
	v_add_f64 v[2:3], v[2:3], v[4:5]
	v_add_f64 v[106:107], v[106:107], v[118:119]
	s_waitcnt vmcnt(2)
	v_add_f64 v[2:3], v[248:249], -v[2:3]
	s_waitcnt vmcnt(0)
	v_add_f64 v[4:5], v[246:247], -v[106:107]
	buffer_store_dword v3, off, s[0:3], 0 offset:260
	buffer_store_dword v2, off, s[0:3], 0 offset:256
	;; [unrolled: 1-line block ×4, first 2 shown]
	s_and_saveexec_b64 s[4:5], vcc
	s_cbranch_execz .LBB120_327
; %bb.326:
	v_accvgpr_read_b32 v0, a156
	buffer_load_dword v2, v0, s[0:3], 0 offen
	buffer_load_dword v3, v0, s[0:3], 0 offen offset:4
	buffer_load_dword v4, v0, s[0:3], 0 offen offset:8
	;; [unrolled: 1-line block ×3, first 2 shown]
	v_accvgpr_read_b32 v0, a171
	buffer_store_dword v1, off, s[0:3], 0 offset:240
	buffer_store_dword v1, off, s[0:3], 0 offset:244
	;; [unrolled: 1-line block ×4, first 2 shown]
	s_waitcnt vmcnt(4)
	ds_write_b128 v0, v[2:5]
.LBB120_327:
	s_or_b64 exec, exec, s[4:5]
	s_waitcnt lgkmcnt(0)
	; wave barrier
	s_waitcnt lgkmcnt(0)
	buffer_load_dword v58, off, s[0:3], 0 offset:256
	buffer_load_dword v59, off, s[0:3], 0 offset:260
	;; [unrolled: 1-line block ×42, first 2 shown]
	ds_read_b128 v[110:113], v1 offset:1152
	ds_read_b128 v[114:117], v1 offset:1168
	;; [unrolled: 1-line block ×10, first 2 shown]
	buffer_load_dword v119, off, s[0:3], 0 offset:404
	buffer_load_dword v118, off, s[0:3], 0 offset:400
	ds_read_b128 v[90:93], v1 offset:1312
	buffer_load_dword v105, off, s[0:3], 0 offset:460
	buffer_load_dword v104, off, s[0:3], 0 offset:456
	;; [unrolled: 1-line block ×6, first 2 shown]
	s_waitcnt vmcnt(46) lgkmcnt(10)
	v_mul_f64 v[2:3], v[110:111], v[60:61]
	v_fmac_f64_e32 v[2:3], v[112:113], v[58:59]
	v_add_f64 v[2:3], v[2:3], 0
	v_mul_f64 v[60:61], v[112:113], v[60:61]
	s_waitcnt vmcnt(42) lgkmcnt(9)
	v_mul_f64 v[4:5], v[114:115], v[62:63]
	v_fmac_f64_e32 v[4:5], v[116:117], v[56:57]
	v_add_f64 v[2:3], v[2:3], v[4:5]
	buffer_load_dword v233, off, s[0:3], 0 offset:436
	buffer_load_dword v232, off, s[0:3], 0 offset:432
	;; [unrolled: 1-line block ×4, first 2 shown]
	s_waitcnt vmcnt(44) lgkmcnt(8)
	v_mul_f64 v[6:7], v[212:213], v[220:221]
	s_waitcnt vmcnt(42) lgkmcnt(6)
	v_mul_f64 v[10:11], v[224:225], v[64:65]
	s_waitcnt vmcnt(40)
	v_fmac_f64_e32 v[10:11], v[226:227], v[66:67]
	s_waitcnt vmcnt(38)
	v_mul_f64 v[8:9], v[216:217], v[68:69]
	s_waitcnt vmcnt(36) lgkmcnt(4)
	v_mul_f64 v[14:15], v[236:237], v[70:71]
	s_waitcnt vmcnt(34)
	v_fmac_f64_e32 v[14:15], v[238:239], v[72:73]
	s_waitcnt vmcnt(32)
	v_mul_f64 v[12:13], v[228:229], v[74:75]
	s_waitcnt vmcnt(30) lgkmcnt(2)
	v_mul_f64 v[18:19], v[244:245], v[78:79]
	v_mul_f64 v[78:79], v[246:247], v[78:79]
	s_waitcnt vmcnt(27)
	v_mul_f64 v[16:17], v[240:241], v[76:77]
	s_waitcnt vmcnt(25) lgkmcnt(1)
	v_mul_f64 v[20:21], v[82:83], v[86:87]
	s_waitcnt vmcnt(23)
	v_fmac_f64_e32 v[6:7], v[214:215], v[100:101]
	v_add_f64 v[2:3], v[2:3], v[6:7]
	s_waitcnt vmcnt(21)
	v_fmac_f64_e32 v[8:9], v[218:219], v[98:99]
	v_add_f64 v[2:3], v[2:3], v[8:9]
	;; [unrolled: 3-line block ×3, first 2 shown]
	v_add_f64 v[2:3], v[2:3], v[12:13]
	s_waitcnt vmcnt(17)
	v_fmac_f64_e32 v[16:17], v[242:243], v[88:89]
	v_add_f64 v[2:3], v[2:3], v[14:15]
	s_waitcnt vmcnt(16)
	v_fmac_f64_e32 v[18:19], v[246:247], v[80:81]
	v_add_f64 v[2:3], v[2:3], v[16:17]
	v_add_f64 v[2:3], v[2:3], v[18:19]
	v_fma_f64 v[246:247], v[244:245], v[80:81], -v[78:79]
	s_waitcnt vmcnt(10)
	v_fmac_f64_e32 v[20:21], v[84:85], v[118:119]
	v_add_f64 v[2:3], v[2:3], v[20:21]
	v_mul_f64 v[84:85], v[84:85], v[86:87]
	s_waitcnt vmcnt(0)
	v_pk_mov_b32 v[18:19], v[4:5], v[4:5] op_sel:[0,1]
	buffer_load_dword v5, off, s[0:3], 0 offset:484
	buffer_load_dword v4, off, s[0:3], 0 offset:480
	v_accvgpr_write_b32 a173, v19
	v_accvgpr_write_b32 a172, v18
	s_waitcnt vmcnt(0)
	v_pk_mov_b32 v[22:23], v[4:5], v[4:5] op_sel:[0,1]
	buffer_load_dword v137, off, s[0:3], 0 offset:476
	buffer_load_dword v136, off, s[0:3], 0 offset:472
	;; [unrolled: 1-line block ×6, first 2 shown]
	v_accvgpr_write_b32 a175, v23
	v_accvgpr_write_b32 a174, v22
	s_waitcnt vmcnt(0)
	v_pk_mov_b32 v[26:27], v[4:5], v[4:5] op_sel:[0,1]
	buffer_load_dword v5, off, s[0:3], 0 offset:516
	buffer_load_dword v4, off, s[0:3], 0 offset:512
	v_accvgpr_write_b32 a177, v27
	v_accvgpr_write_b32 a176, v26
	s_waitcnt vmcnt(0)
	v_pk_mov_b32 v[28:29], v[4:5], v[4:5] op_sel:[0,1]
	buffer_load_dword v145, off, s[0:3], 0 offset:508
	buffer_load_dword v144, off, s[0:3], 0 offset:504
	;; [unrolled: 1-line block ×60, first 2 shown]
	ds_read_b128 v[248:251], v1 offset:1328
	ds_read_b128 v[252:255], v1 offset:1344
	;; [unrolled: 1-line block ×5, first 2 shown]
	v_accvgpr_write_b32 a179, v29
	s_waitcnt lgkmcnt(3)
	v_mul_f64 v[8:9], v[252:253], v[104:105]
	v_fmac_f64_e32 v[8:9], v[254:255], v[106:107]
	s_waitcnt lgkmcnt(2)
	v_mul_f64 v[12:13], v[120:121], v[136:137]
	v_fmac_f64_e32 v[12:13], v[122:123], v[140:141]
	;; [unrolled: 3-line block ×3, first 2 shown]
	v_accvgpr_write_b32 a178, v28
	s_waitcnt vmcnt(54)
	v_pk_mov_b32 v[34:35], v[4:5], v[4:5] op_sel:[0,1]
	v_mul_f64 v[4:5], v[90:91], v[96:97]
	v_fmac_f64_e32 v[4:5], v[92:93], v[102:103]
	v_add_f64 v[2:3], v[2:3], v[4:5]
	v_mul_f64 v[4:5], v[248:249], v[108:109]
	v_fmac_f64_e32 v[4:5], v[250:251], v[232:233]
	v_add_f64 v[6:7], v[2:3], v[4:5]
	v_add_f64 v[10:11], v[6:7], v[8:9]
	;; [unrolled: 1-line block ×4, first 2 shown]
	ds_read_b128 v[14:17], v1 offset:1408
	s_waitcnt lgkmcnt(1)
	v_mul_f64 v[20:21], v[124:125], v[144:145]
	v_fmac_f64_e32 v[20:21], v[126:127], v[148:149]
	v_add_f64 v[22:23], v[18:19], v[20:21]
	ds_read_b128 v[18:21], v1 offset:1424
	s_waitcnt lgkmcnt(1)
	v_mul_f64 v[24:25], v[14:15], v[26:27]
	v_fmac_f64_e32 v[24:25], v[16:17], v[28:29]
	v_add_f64 v[26:27], v[22:23], v[24:25]
	ds_read_b128 v[22:25], v1 offset:1440
	s_waitcnt vmcnt(50) lgkmcnt(1)
	v_mul_f64 v[28:29], v[18:19], v[152:153]
	s_waitcnt vmcnt(48)
	v_fmac_f64_e32 v[28:29], v[20:21], v[156:157]
	v_add_f64 v[30:31], v[26:27], v[28:29]
	ds_read_b128 v[26:29], v1 offset:1456
	s_waitcnt lgkmcnt(1)
	v_mul_f64 v[32:33], v[22:23], v[34:35]
	v_accvgpr_write_b32 a181, v35
	v_fmac_f64_e32 v[32:33], v[24:25], v[130:131]
	v_accvgpr_write_b32 a180, v34
	v_add_f64 v[34:35], v[30:31], v[32:33]
	ds_read_b128 v[30:33], v1 offset:1472
	s_waitcnt vmcnt(42) lgkmcnt(1)
	v_mul_f64 v[36:37], v[26:27], v[160:161]
	s_waitcnt vmcnt(40)
	v_fmac_f64_e32 v[36:37], v[28:29], v[164:165]
	v_add_f64 v[38:39], v[34:35], v[36:37]
	ds_read_b128 v[34:37], v1 offset:1488
	s_waitcnt lgkmcnt(1)
	v_mul_f64 v[40:41], v[30:31], v[132:133]
	v_fmac_f64_e32 v[40:41], v[32:33], v[134:135]
	v_add_f64 v[42:43], v[38:39], v[40:41]
	ds_read_b128 v[38:41], v1 offset:1504
	s_waitcnt vmcnt(34) lgkmcnt(1)
	v_mul_f64 v[44:45], v[34:35], v[168:169]
	s_waitcnt vmcnt(32)
	v_fmac_f64_e32 v[44:45], v[36:37], v[172:173]
	v_add_f64 v[46:47], v[42:43], v[44:45]
	ds_read_b128 v[42:45], v1 offset:1520
	s_waitcnt lgkmcnt(1)
	v_mul_f64 v[48:49], v[38:39], v[138:139]
	v_fmac_f64_e32 v[48:49], v[40:41], v[142:143]
	v_add_f64 v[50:51], v[46:47], v[48:49]
	ds_read_b128 v[46:49], v1 offset:1536
	s_waitcnt vmcnt(26) lgkmcnt(1)
	v_mul_f64 v[52:53], v[42:43], v[176:177]
	s_waitcnt vmcnt(24)
	v_fmac_f64_e32 v[52:53], v[44:45], v[178:179]
	v_add_f64 v[234:235], v[50:51], v[52:53]
	ds_read_b128 v[50:53], v1 offset:1552
	buffer_load_dword v13, off, s[0:3], 0 offset:764
	buffer_load_dword v12, off, s[0:3], 0 offset:760
	;; [unrolled: 1-line block ×20, first 2 shown]
	v_mul_f64 v[4:5], v[116:117], v[62:63]
	v_fma_f64 v[8:9], v[114:115], v[56:57], -v[4:5]
	v_mul_f64 v[56:57], v[214:215], v[220:221]
	v_fma_f64 v[10:11], v[110:111], v[58:59], -v[60:61]
	v_fma_f64 v[58:59], v[212:213], v[100:101], -v[56:57]
	v_mul_f64 v[56:57], v[218:219], v[68:69]
	v_fma_f64 v[60:61], v[216:217], v[98:99], -v[56:57]
	buffer_load_dword v214, off, s[0:3], 0 offset:840
	buffer_load_dword v216, off, s[0:3], 0 offset:832
	buffer_load_dword v215, off, s[0:3], 0 offset:844
	buffer_load_dword v217, off, s[0:3], 0 offset:836
	buffer_load_dword v212, off, s[0:3], 0 offset:872
	buffer_load_dword v221, off, s[0:3], 0 offset:860
	buffer_load_dword v220, off, s[0:3], 0 offset:856
	buffer_load_dword v223, off, s[0:3], 0 offset:852
	buffer_load_dword v222, off, s[0:3], 0 offset:848
	buffer_load_dword v218, off, s[0:3], 0 offset:864
	buffer_load_dword v213, off, s[0:3], 0 offset:876
	buffer_load_dword v219, off, s[0:3], 0 offset:868
	s_waitcnt lgkmcnt(1)
	v_mul_f64 v[54:55], v[46:47], v[146:147]
	v_fmac_f64_e32 v[54:55], v[48:49], v[150:151]
	v_add_f64 v[62:63], v[234:235], v[54:55]
	v_mul_f64 v[54:55], v[226:227], v[64:65]
	v_fma_f64 v[98:99], v[224:225], v[66:67], -v[54:55]
	buffer_load_dword v225, off, s[0:3], 0 offset:892
	buffer_load_dword v224, off, s[0:3], 0 offset:888
	;; [unrolled: 1-line block ×4, first 2 shown]
	s_waitcnt vmcnt(54) lgkmcnt(0)
	v_mul_f64 v[64:65], v[50:51], v[180:181]
	ds_read_b128 v[54:57], v1 offset:1568
	s_waitcnt vmcnt(52)
	v_fmac_f64_e32 v[64:65], v[52:53], v[182:183]
	v_add_f64 v[62:63], v[62:63], v[64:65]
	v_mul_f64 v[64:65], v[230:231], v[74:75]
	v_fma_f64 v[100:101], v[228:229], v[94:95], -v[64:65]
	ds_read_b128 v[226:229], v1 offset:1584
	s_waitcnt lgkmcnt(1)
	v_mul_f64 v[64:65], v[54:55], v[154:155]
	v_fmac_f64_e32 v[64:65], v[56:57], v[158:159]
	v_add_f64 v[74:75], v[62:63], v[64:65]
	ds_read_b128 v[62:65], v1 offset:1600
	v_mul_f64 v[66:67], v[238:239], v[70:71]
	s_waitcnt vmcnt(46) lgkmcnt(1)
	v_mul_f64 v[70:71], v[226:227], v[184:185]
	v_fma_f64 v[236:237], v[236:237], v[72:73], -v[66:67]
	ds_read_b128 v[66:69], v1 offset:1616
	s_waitcnt vmcnt(44)
	v_fmac_f64_e32 v[70:71], v[228:229], v[186:187]
	v_add_f64 v[74:75], v[74:75], v[70:71]
	v_mul_f64 v[70:71], v[242:243], v[76:77]
	v_fma_f64 v[6:7], v[240:241], v[88:89], -v[70:71]
	ds_read_b128 v[70:73], v1 offset:1632
	ds_read_b128 v[78:81], v1 offset:1664
	s_waitcnt lgkmcnt(3)
	v_mul_f64 v[94:95], v[62:63], v[162:163]
	v_fmac_f64_e32 v[94:95], v[64:65], v[166:167]
	s_waitcnt vmcnt(38) lgkmcnt(2)
	v_mul_f64 v[76:77], v[66:67], v[188:189]
	v_add_f64 v[74:75], v[74:75], v[94:95]
	s_waitcnt vmcnt(36)
	v_fmac_f64_e32 v[76:77], v[68:69], v[190:191]
	v_add_f64 v[74:75], v[74:75], v[76:77]
	s_waitcnt lgkmcnt(1)
	v_mul_f64 v[76:77], v[70:71], v[170:171]
	v_fmac_f64_e32 v[76:77], v[72:73], v[174:175]
	v_add_f64 v[88:89], v[74:75], v[76:77]
	ds_read_b128 v[74:77], v1 offset:1648
	v_fma_f64 v[4:5], v[82:83], v[118:119], -v[84:85]
	ds_read_b128 v[82:85], v1 offset:1680
	v_mul_f64 v[92:93], v[92:93], v[96:97]
	v_fma_f64 v[2:3], v[90:91], v[102:103], -v[92:93]
	v_mul_f64 v[102:103], v[250:251], v[108:109]
	v_fma_f64 v[250:251], v[248:249], v[232:233], -v[102:103]
	ds_read_b128 v[230:233], v1 offset:1728
	v_mul_f64 v[102:103], v[254:255], v[104:105]
	v_fma_f64 v[252:253], v[252:253], v[106:107], -v[102:103]
	ds_read_b128 v[102:105], v1 offset:1760
	v_add_f64 v[10:11], v[10:11], 0
	v_add_f64 v[8:9], v[10:11], v[8:9]
	;; [unrolled: 1-line block ×4, first 2 shown]
	ds_read_b128 v[90:93], v1 offset:1712
	v_add_f64 v[8:9], v[8:9], v[98:99]
	v_add_f64 v[8:9], v[8:9], v[100:101]
	;; [unrolled: 1-line block ×8, first 2 shown]
	v_mul_f64 v[4:5], v[122:123], v[136:137]
	v_add_f64 v[2:3], v[2:3], v[252:253]
	s_waitcnt vmcnt(25) lgkmcnt(3)
	v_mul_f64 v[96:97], v[82:83], v[202:203]
	v_fma_f64 v[4:5], v[120:121], v[140:141], -v[4:5]
	s_waitcnt vmcnt(23)
	v_fmac_f64_e32 v[96:97], v[84:85], v[208:209]
	v_add_f64 v[2:3], v[2:3], v[4:5]
	v_mul_f64 v[94:95], v[74:75], v[12:13]
	v_fmac_f64_e32 v[94:95], v[76:77], v[128:129]
	v_mul_f64 v[86:87], v[78:79], v[198:199]
	v_add_f64 v[88:89], v[88:89], v[94:95]
	v_fmac_f64_e32 v[86:87], v[80:81], v[200:201]
	v_add_f64 v[94:95], v[88:89], v[86:87]
	ds_read_b128 v[86:89], v1 offset:1696
	v_add_f64 v[94:95], v[94:95], v[96:97]
	s_waitcnt vmcnt(22) lgkmcnt(0)
	v_mul_f64 v[96:97], v[86:87], v[196:197]
	s_waitcnt vmcnt(20)
	v_fmac_f64_e32 v[96:97], v[88:89], v[206:207]
	v_add_f64 v[94:95], v[94:95], v[96:97]
	s_waitcnt vmcnt(18)
	v_mul_f64 v[96:97], v[90:91], v[204:205]
	s_waitcnt vmcnt(16)
	v_fmac_f64_e32 v[96:97], v[92:93], v[210:211]
	v_add_f64 v[108:109], v[94:95], v[96:97]
	ds_read_b128 v[94:97], v1 offset:1744
	s_waitcnt vmcnt(13)
	v_mul_f64 v[106:107], v[230:231], v[214:215]
	s_waitcnt vmcnt(12)
	v_fmac_f64_e32 v[106:107], v[232:233], v[216:217]
	v_add_f64 v[106:107], v[108:109], v[106:107]
	s_waitcnt vmcnt(9) lgkmcnt(0)
	v_mul_f64 v[108:109], v[94:95], v[220:221]
	s_waitcnt vmcnt(7)
	v_fmac_f64_e32 v[108:109], v[96:97], v[222:223]
	v_add_f64 v[106:107], v[106:107], v[108:109]
	s_waitcnt vmcnt(5)
	v_mul_f64 v[108:109], v[102:103], v[212:213]
	s_waitcnt vmcnt(4)
	v_fmac_f64_e32 v[108:109], v[104:105], v[218:219]
	v_add_f64 v[110:111], v[106:107], v[108:109]
	ds_read_b128 v[106:109], v1 offset:1776
	buffer_load_dword v118, off, s[0:3], 0 offset:904
	buffer_load_dword v119, off, s[0:3], 0 offset:908
	;; [unrolled: 1-line block ×4, first 2 shown]
	s_waitcnt vmcnt(6) lgkmcnt(0)
	v_mul_f64 v[112:113], v[106:107], v[224:225]
	s_waitcnt vmcnt(4)
	v_fmac_f64_e32 v[112:113], v[108:109], v[234:235]
	v_add_f64 v[114:115], v[110:111], v[112:113]
	ds_read_b128 v[110:113], v1 offset:1792
	buffer_load_dword v243, off, s[0:3], 0 offset:924
	buffer_load_dword v242, off, s[0:3], 0 offset:920
	;; [unrolled: 1-line block ×4, first 2 shown]
	s_waitcnt vmcnt(6) lgkmcnt(0)
	v_mul_f64 v[116:117], v[110:111], v[118:119]
	s_waitcnt vmcnt(4)
	v_fmac_f64_e32 v[116:117], v[112:113], v[238:239]
	v_add_f64 v[240:241], v[114:115], v[116:117]
	ds_read_b128 v[114:117], v1 offset:1808
	v_accvgpr_read_b32 v0, a172
	v_accvgpr_read_b32 v1, a173
	v_mul_f64 v[4:5], v[194:195], v[0:1]
	v_accvgpr_read_b32 v0, a174
	s_waitcnt vmcnt(2) lgkmcnt(0)
	v_mul_f64 v[248:249], v[114:115], v[242:243]
	s_waitcnt vmcnt(0)
	v_fmac_f64_e32 v[248:249], v[116:117], v[244:245]
	v_add_f64 v[240:241], v[240:241], v[248:249]
	buffer_load_dword v248, off, s[0:3], 0 offset:240
	buffer_load_dword v249, off, s[0:3], 0 offset:244
	;; [unrolled: 1-line block ×4, first 2 shown]
	v_accvgpr_read_b32 v1, a175
	v_fma_f64 v[4:5], v[192:193], v[0:1], -v[4:5]
	v_add_f64 v[2:3], v[2:3], v[4:5]
	v_mul_f64 v[4:5], v[126:127], v[144:145]
	v_accvgpr_read_b32 v0, a176
	v_fma_f64 v[4:5], v[124:125], v[148:149], -v[4:5]
	v_accvgpr_read_b32 v1, a177
	v_add_f64 v[2:3], v[2:3], v[4:5]
	v_mul_f64 v[4:5], v[16:17], v[0:1]
	v_accvgpr_read_b32 v0, a178
	v_accvgpr_read_b32 v1, a179
	v_fma_f64 v[4:5], v[14:15], v[0:1], -v[4:5]
	v_add_f64 v[2:3], v[2:3], v[4:5]
	v_mul_f64 v[4:5], v[20:21], v[152:153]
	v_accvgpr_read_b32 v0, a180
	v_fma_f64 v[4:5], v[18:19], v[156:157], -v[4:5]
	v_accvgpr_read_b32 v1, a181
	v_add_f64 v[2:3], v[2:3], v[4:5]
	v_mul_f64 v[4:5], v[24:25], v[0:1]
	v_fma_f64 v[4:5], v[22:23], v[130:131], -v[4:5]
	v_add_f64 v[2:3], v[2:3], v[4:5]
	v_mul_f64 v[4:5], v[28:29], v[160:161]
	v_fma_f64 v[4:5], v[26:27], v[164:165], -v[4:5]
	;; [unrolled: 3-line block ×24, first 2 shown]
	v_add_f64 v[2:3], v[2:3], v[4:5]
	v_accvgpr_read_b32 v0, a170
	s_waitcnt vmcnt(2)
	v_add_f64 v[2:3], v[248:249], -v[2:3]
	v_cmp_lt_u32_e32 vcc, 13, v0
	s_waitcnt vmcnt(0)
	v_add_f64 v[4:5], v[246:247], -v[240:241]
	buffer_store_dword v3, off, s[0:3], 0 offset:244
	buffer_store_dword v2, off, s[0:3], 0 offset:240
	;; [unrolled: 1-line block ×4, first 2 shown]
	s_and_saveexec_b64 s[4:5], vcc
	s_cbranch_execz .LBB120_329
; %bb.328:
	v_accvgpr_read_b32 v0, a157
	buffer_load_dword v2, v0, s[0:3], 0 offen
	buffer_load_dword v3, v0, s[0:3], 0 offen offset:4
	buffer_load_dword v4, v0, s[0:3], 0 offen offset:8
	;; [unrolled: 1-line block ×3, first 2 shown]
	v_mov_b32_e32 v0, 0
	v_accvgpr_read_b32 v1, a171
	buffer_store_dword v0, off, s[0:3], 0 offset:224
	buffer_store_dword v0, off, s[0:3], 0 offset:228
	;; [unrolled: 1-line block ×4, first 2 shown]
	s_waitcnt vmcnt(4)
	ds_write_b128 v1, v[2:5]
.LBB120_329:
	s_or_b64 exec, exec, s[4:5]
	s_waitcnt lgkmcnt(0)
	; wave barrier
	s_waitcnt lgkmcnt(0)
	buffer_load_dword v50, off, s[0:3], 0 offset:240
	buffer_load_dword v51, off, s[0:3], 0 offset:244
	;; [unrolled: 1-line block ×54, first 2 shown]
	v_mov_b32_e32 v1, 0
	ds_read_b128 v[102:105], v1 offset:1136
	ds_read_b128 v[106:109], v1 offset:1152
	ds_read_b128 v[110:113], v1 offset:1168
	ds_read_b128 v[114:117], v1 offset:1184
	ds_read_b128 v[208:211], v1 offset:1200
	ds_read_b128 v[224:227], v1 offset:1216
	ds_read_b128 v[228:231], v1 offset:1232
	ds_read_b128 v[232:235], v1 offset:1248
	ds_read_b128 v[236:239], v1 offset:1264
	v_accvgpr_read_b32 v0, a170
	v_cmp_lt_u32_e32 vcc, 12, v0
	s_waitcnt vmcnt(46) lgkmcnt(7)
	v_mul_f64 v[4:5], v[106:107], v[58:59]
	v_fmac_f64_e32 v[4:5], v[108:109], v[52:53]
	s_waitcnt vmcnt(44) lgkmcnt(6)
	v_mul_f64 v[6:7], v[110:111], v[204:205]
	s_waitcnt vmcnt(42) lgkmcnt(4)
	v_mul_f64 v[10:11], v[208:209], v[62:63]
	s_waitcnt vmcnt(40)
	v_fmac_f64_e32 v[10:11], v[210:211], v[60:61]
	s_waitcnt vmcnt(38)
	v_mul_f64 v[8:9], v[114:115], v[64:65]
	s_waitcnt vmcnt(36) lgkmcnt(2)
	v_mul_f64 v[14:15], v[228:229], v[66:67]
	s_waitcnt vmcnt(34)
	v_fmac_f64_e32 v[14:15], v[230:231], v[70:71]
	s_waitcnt vmcnt(32)
	;; [unrolled: 6-line block ×3, first 2 shown]
	v_fmac_f64_e32 v[8:9], v[116:117], v[80:81]
	s_waitcnt vmcnt(24)
	v_fmac_f64_e32 v[12:13], v[226:227], v[78:79]
	s_waitcnt vmcnt(22)
	;; [unrolled: 2-line block ×3, first 2 shown]
	v_pk_mov_b32 v[18:19], v[2:3], v[2:3] op_sel:[0,1]
	v_mul_f64 v[2:3], v[102:103], v[56:57]
	v_fmac_f64_e32 v[2:3], v[104:105], v[50:51]
	v_add_f64 v[2:3], v[2:3], 0
	v_add_f64 v[2:3], v[2:3], v[4:5]
	buffer_load_dword v5, off, s[0:3], 0 offset:468
	buffer_load_dword v4, off, s[0:3], 0 offset:464
	v_add_f64 v[2:3], v[2:3], v[6:7]
	v_add_f64 v[2:3], v[2:3], v[8:9]
	;; [unrolled: 1-line block ×6, first 2 shown]
	v_accvgpr_write_b32 a173, v19
	v_accvgpr_write_b32 a172, v18
	s_waitcnt vmcnt(0)
	v_pk_mov_b32 v[14:15], v[4:5], v[4:5] op_sel:[0,1]
	buffer_load_dword v55, off, s[0:3], 0 offset:460
	buffer_load_dword v54, off, s[0:3], 0 offset:456
	;; [unrolled: 1-line block ×6, first 2 shown]
	v_accvgpr_write_b32 a175, v15
	v_accvgpr_write_b32 a174, v14
	s_waitcnt vmcnt(0)
	v_pk_mov_b32 v[22:23], v[4:5], v[4:5] op_sel:[0,1]
	buffer_load_dword v5, off, s[0:3], 0 offset:500
	buffer_load_dword v4, off, s[0:3], 0 offset:496
	v_accvgpr_write_b32 a177, v23
	v_accvgpr_write_b32 a176, v22
	s_waitcnt vmcnt(0)
	v_pk_mov_b32 v[24:25], v[4:5], v[4:5] op_sel:[0,1]
	buffer_load_dword v141, off, s[0:3], 0 offset:492
	buffer_load_dword v140, off, s[0:3], 0 offset:488
	;; [unrolled: 1-line block ×52, first 2 shown]
	ds_read_b128 v[240:243], v1 offset:1280
	ds_read_b128 v[244:247], v1 offset:1296
	;; [unrolled: 1-line block ×7, first 2 shown]
	v_accvgpr_write_b32 a179, v25
	v_accvgpr_write_b32 a178, v24
	s_waitcnt lgkmcnt(2)
	v_mul_f64 v[8:9], v[118:119], v[54:55]
	v_fmac_f64_e32 v[8:9], v[120:121], v[200:201]
	s_waitcnt lgkmcnt(1)
	v_mul_f64 v[12:13], v[126:127], v[18:19]
	v_fmac_f64_e32 v[12:13], v[128:129], v[14:15]
	v_mul_f64 v[54:55], v[120:121], v[54:55]
	s_waitcnt vmcnt(46)
	v_pk_mov_b32 v[30:31], v[4:5], v[4:5] op_sel:[0,1]
	v_mul_f64 v[4:5], v[236:237], v[74:75]
	v_fmac_f64_e32 v[4:5], v[238:239], v[84:85]
	v_add_f64 v[2:3], v[2:3], v[4:5]
	v_mul_f64 v[4:5], v[240:241], v[90:91]
	v_fmac_f64_e32 v[4:5], v[242:243], v[92:93]
	v_add_f64 v[2:3], v[2:3], v[4:5]
	;; [unrolled: 3-line block ×5, first 2 shown]
	v_add_f64 v[10:11], v[6:7], v[8:9]
	v_add_f64 v[14:15], v[10:11], v[12:13]
	ds_read_b128 v[10:13], v1 offset:1392
	s_waitcnt lgkmcnt(1)
	v_mul_f64 v[16:17], v[122:123], v[140:141]
	v_fmac_f64_e32 v[16:17], v[124:125], v[144:145]
	v_add_f64 v[18:19], v[14:15], v[16:17]
	ds_read_b128 v[14:17], v1 offset:1408
	s_waitcnt lgkmcnt(1)
	v_mul_f64 v[20:21], v[10:11], v[22:23]
	v_fmac_f64_e32 v[20:21], v[12:13], v[24:25]
	v_add_f64 v[22:23], v[18:19], v[20:21]
	ds_read_b128 v[18:21], v1 offset:1424
	s_waitcnt vmcnt(42) lgkmcnt(1)
	v_mul_f64 v[24:25], v[14:15], v[148:149]
	s_waitcnt vmcnt(40)
	v_fmac_f64_e32 v[24:25], v[16:17], v[152:153]
	v_add_f64 v[26:27], v[22:23], v[24:25]
	ds_read_b128 v[22:25], v1 offset:1440
	s_waitcnt lgkmcnt(1)
	v_mul_f64 v[28:29], v[18:19], v[30:31]
	v_accvgpr_write_b32 a181, v31
	v_fmac_f64_e32 v[28:29], v[20:21], v[130:131]
	v_accvgpr_write_b32 a180, v30
	v_add_f64 v[30:31], v[26:27], v[28:29]
	ds_read_b128 v[26:29], v1 offset:1456
	s_waitcnt vmcnt(34) lgkmcnt(1)
	v_mul_f64 v[32:33], v[22:23], v[156:157]
	s_waitcnt vmcnt(32)
	v_fmac_f64_e32 v[32:33], v[24:25], v[160:161]
	v_add_f64 v[34:35], v[30:31], v[32:33]
	ds_read_b128 v[30:33], v1 offset:1472
	s_waitcnt lgkmcnt(1)
	v_mul_f64 v[36:37], v[26:27], v[132:133]
	v_fmac_f64_e32 v[36:37], v[28:29], v[134:135]
	v_add_f64 v[38:39], v[34:35], v[36:37]
	ds_read_b128 v[34:37], v1 offset:1488
	s_waitcnt vmcnt(26) lgkmcnt(1)
	v_mul_f64 v[40:41], v[30:31], v[164:165]
	s_waitcnt vmcnt(24)
	v_fmac_f64_e32 v[40:41], v[32:33], v[166:167]
	v_add_f64 v[42:43], v[38:39], v[40:41]
	ds_read_b128 v[38:41], v1 offset:1504
	s_waitcnt lgkmcnt(1)
	v_mul_f64 v[44:45], v[34:35], v[136:137]
	v_fmac_f64_e32 v[44:45], v[36:37], v[138:139]
	v_add_f64 v[46:47], v[42:43], v[44:45]
	ds_read_b128 v[42:45], v1 offset:1520
	buffer_load_dword v181, off, s[0:3], 0 offset:732
	buffer_load_dword v183, off, s[0:3], 0 offset:716
	;; [unrolled: 1-line block ×8, first 2 shown]
	s_waitcnt vmcnt(26) lgkmcnt(1)
	v_mul_f64 v[48:49], v[38:39], v[168:169]
	s_waitcnt vmcnt(24)
	v_fmac_f64_e32 v[48:49], v[40:41], v[170:171]
	v_add_f64 v[192:193], v[46:47], v[48:49]
	ds_read_b128 v[46:49], v1 offset:1536
	buffer_load_dword v189, off, s[0:3], 0 offset:748
	buffer_load_dword v188, off, s[0:3], 0 offset:744
	;; [unrolled: 1-line block ×4, first 2 shown]
	s_waitcnt lgkmcnt(1)
	v_mul_f64 v[194:195], v[42:43], v[142:143]
	v_fmac_f64_e32 v[194:195], v[44:45], v[146:147]
	v_add_f64 v[2:3], v[192:193], v[194:195]
	buffer_load_dword v193, off, s[0:3], 0 offset:764
	buffer_load_dword v192, off, s[0:3], 0 offset:760
	;; [unrolled: 1-line block ×8, first 2 shown]
	v_mul_f64 v[4:5], v[104:105], v[56:57]
	buffer_load_dword v56, off, s[0:3], 0 offset:792
	buffer_load_dword v202, off, s[0:3], 0 offset:784
	;; [unrolled: 1-line block ×4, first 2 shown]
	v_fma_f64 v[6:7], v[102:103], v[50:51], -v[4:5]
	v_mul_f64 v[50:51], v[108:109], v[58:59]
	v_fma_f64 v[102:103], v[106:107], v[52:53], -v[50:51]
	v_mul_f64 v[50:51], v[112:113], v[204:205]
	v_fma_f64 v[104:105], v[110:111], v[82:83], -v[50:51]
	buffer_load_dword v205, off, s[0:3], 0 offset:812
	buffer_load_dword v204, off, s[0:3], 0 offset:808
	;; [unrolled: 1-line block ×4, first 2 shown]
	v_mul_f64 v[50:51], v[116:117], v[64:65]
	v_fma_f64 v[64:65], v[114:115], v[80:81], -v[50:51]
	v_mul_f64 v[50:51], v[210:211], v[62:63]
	buffer_load_dword v211, off, s[0:3], 0 offset:828
	buffer_load_dword v210, off, s[0:3], 0 offset:824
	;; [unrolled: 1-line block ×4, first 2 shown]
	v_fma_f64 v[62:63], v[208:209], v[60:61], -v[50:51]
	buffer_load_dword v209, off, s[0:3], 0 offset:860
	buffer_load_dword v215, off, s[0:3], 0 offset:844
	buffer_load_dword v214, off, s[0:3], 0 offset:840
	buffer_load_dword v221, off, s[0:3], 0 offset:836
	buffer_load_dword v220, off, s[0:3], 0 offset:832
	buffer_load_dword v208, off, s[0:3], 0 offset:856
	buffer_load_dword v219, off, s[0:3], 0 offset:852
	buffer_load_dword v218, off, s[0:3], 0 offset:848
	buffer_load_dword v217, off, s[0:3], 0 offset:876
	buffer_load_dword v216, off, s[0:3], 0 offset:872
	buffer_load_dword v223, off, s[0:3], 0 offset:868
	buffer_load_dword v222, off, s[0:3], 0 offset:864
	ds_read_b128 v[50:53], v1 offset:1552
	v_mul_f64 v[60:61], v[226:227], v[76:77]
	v_fma_f64 v[4:5], v[224:225], v[78:79], -v[60:61]
	ds_read_b128 v[224:227], v1 offset:1568
	s_waitcnt vmcnt(54) lgkmcnt(2)
	v_mul_f64 v[58:59], v[46:47], v[172:173]
	s_waitcnt vmcnt(52)
	v_fmac_f64_e32 v[58:59], v[48:49], v[174:175]
	s_waitcnt lgkmcnt(1)
	v_mul_f64 v[8:9], v[50:51], v[150:151]
	v_add_f64 v[2:3], v[2:3], v[58:59]
	v_fmac_f64_e32 v[8:9], v[52:53], v[154:155]
	v_add_f64 v[2:3], v[2:3], v[8:9]
	s_waitcnt vmcnt(46) lgkmcnt(0)
	v_mul_f64 v[8:9], v[224:225], v[176:177]
	s_waitcnt vmcnt(44)
	v_fmac_f64_e32 v[8:9], v[226:227], v[178:179]
	ds_read_b128 v[58:61], v1 offset:1584
	v_add_f64 v[2:3], v[2:3], v[8:9]
	v_mul_f64 v[8:9], v[230:231], v[66:67]
	v_fma_f64 v[8:9], v[228:229], v[70:71], -v[8:9]
	ds_read_b128 v[228:231], v1 offset:1600
	v_mul_f64 v[66:67], v[234:235], v[68:69]
	v_fma_f64 v[232:233], v[232:233], v[72:73], -v[66:67]
	ds_read_b128 v[66:69], v1 offset:1616
	s_waitcnt lgkmcnt(2)
	v_mul_f64 v[70:71], v[58:59], v[158:159]
	v_fmac_f64_e32 v[70:71], v[60:61], v[162:163]
	v_add_f64 v[2:3], v[2:3], v[70:71]
	v_mul_f64 v[74:75], v[238:239], v[74:75]
	v_fma_f64 v[234:235], v[236:237], v[84:85], -v[74:75]
	ds_read_b128 v[74:77], v1 offset:1648
	v_mul_f64 v[78:79], v[242:243], v[90:91]
	v_fma_f64 v[240:241], v[240:241], v[92:93], -v[78:79]
	v_mul_f64 v[86:87], v[246:247], v[86:87]
	v_fma_f64 v[246:247], v[244:245], v[88:89], -v[86:87]
	;; [unrolled: 2-line block ×3, first 2 shown]
	v_add_f64 v[6:7], v[6:7], 0
	v_add_f64 v[6:7], v[6:7], v[102:103]
	;; [unrolled: 1-line block ×3, first 2 shown]
	ds_read_b128 v[78:81], v1 offset:1664
	v_add_f64 v[6:7], v[6:7], v[64:65]
	v_add_f64 v[6:7], v[6:7], v[62:63]
	;; [unrolled: 1-line block ×8, first 2 shown]
	v_accvgpr_read_b32 v6, a172
	v_accvgpr_read_b32 v7, a173
	ds_read_b128 v[86:89], v1 offset:1696
	v_accvgpr_read_b32 v8, a174
	v_mul_f64 v[6:7], v[128:129], v[6:7]
	v_accvgpr_read_b32 v9, a175
	s_waitcnt vmcnt(41) lgkmcnt(4)
	v_mul_f64 v[70:71], v[228:229], v[182:183]
	v_fma_f64 v[6:7], v[126:127], v[8:9], -v[6:7]
	s_waitcnt vmcnt(39)
	v_fmac_f64_e32 v[70:71], v[230:231], v[186:187]
	v_add_f64 v[2:3], v[2:3], v[70:71]
	s_waitcnt vmcnt(38) lgkmcnt(3)
	v_mul_f64 v[70:71], v[66:67], v[180:181]
	s_waitcnt vmcnt(36)
	v_fmac_f64_e32 v[70:71], v[68:69], v[184:185]
	v_add_f64 v[2:3], v[2:3], v[70:71]
	ds_read_b128 v[70:73], v1 offset:1632
	ds_read_b128 v[94:97], v1 offset:1728
	v_accvgpr_read_b32 v8, a178
	v_accvgpr_read_b32 v9, a179
	s_waitcnt vmcnt(34) lgkmcnt(1)
	v_mul_f64 v[82:83], v[70:71], v[188:189]
	s_waitcnt vmcnt(32)
	v_fmac_f64_e32 v[82:83], v[72:73], v[190:191]
	v_add_f64 v[2:3], v[2:3], v[82:83]
	s_waitcnt vmcnt(30)
	v_mul_f64 v[82:83], v[74:75], v[192:193]
	s_waitcnt vmcnt(28)
	v_fmac_f64_e32 v[82:83], v[76:77], v[196:197]
	v_add_f64 v[2:3], v[2:3], v[82:83]
	s_waitcnt vmcnt(26)
	v_mul_f64 v[82:83], v[78:79], v[194:195]
	s_waitcnt vmcnt(24)
	v_fmac_f64_e32 v[82:83], v[80:81], v[198:199]
	v_add_f64 v[2:3], v[2:3], v[82:83]
	ds_read_b128 v[82:85], v1 offset:1680
	s_waitcnt vmcnt(21) lgkmcnt(0)
	v_mul_f64 v[90:91], v[82:83], v[56:57]
	s_waitcnt vmcnt(20)
	v_fmac_f64_e32 v[90:91], v[84:85], v[202:203]
	v_add_f64 v[106:107], v[2:3], v[90:91]
	v_mul_f64 v[90:91], v[250:251], v[98:99]
	v_fma_f64 v[248:249], v[248:249], v[100:101], -v[90:91]
	ds_read_b128 v[90:93], v1 offset:1712
	s_waitcnt vmcnt(18)
	v_mul_f64 v[98:99], v[86:87], v[204:205]
	s_waitcnt vmcnt(16)
	v_fmac_f64_e32 v[98:99], v[88:89], v[206:207]
	v_add_f64 v[98:99], v[106:107], v[98:99]
	v_fma_f64 v[250:251], v[118:119], v[200:201], -v[54:55]
	s_waitcnt vmcnt(14) lgkmcnt(0)
	v_mul_f64 v[100:101], v[90:91], v[210:211]
	s_waitcnt vmcnt(12)
	v_fmac_f64_e32 v[100:101], v[92:93], v[212:213]
	v_add_f64 v[106:107], v[98:99], v[100:101]
	ds_read_b128 v[98:101], v1 offset:1744
	ds_read_b128 v[118:121], v1 offset:1760
	s_waitcnt vmcnt(9)
	v_mul_f64 v[54:55], v[94:95], v[214:215]
	s_waitcnt vmcnt(7)
	v_fmac_f64_e32 v[54:55], v[96:97], v[220:221]
	v_add_f64 v[54:55], v[106:107], v[54:55]
	s_waitcnt vmcnt(6) lgkmcnt(1)
	v_mul_f64 v[106:107], v[98:99], v[208:209]
	s_waitcnt vmcnt(4)
	v_fmac_f64_e32 v[106:107], v[100:101], v[218:219]
	v_add_f64 v[54:55], v[54:55], v[106:107]
	s_waitcnt vmcnt(2) lgkmcnt(0)
	v_mul_f64 v[106:107], v[118:119], v[216:217]
	buffer_load_dword v2, off, s[0:3], 0 offset:888
	s_waitcnt vmcnt(1)
	v_fmac_f64_e32 v[106:107], v[120:121], v[222:223]
	v_add_f64 v[110:111], v[54:55], v[106:107]
	buffer_load_dword v54, off, s[0:3], 0 offset:880
	buffer_load_dword v3, off, s[0:3], 0 offset:892
	;; [unrolled: 1-line block ×3, first 2 shown]
	ds_read_b128 v[106:109], v1 offset:1776
	buffer_load_dword v237, off, s[0:3], 0 offset:908
	buffer_load_dword v236, off, s[0:3], 0 offset:904
	;; [unrolled: 1-line block ×4, first 2 shown]
	v_add_f64 v[4:5], v[4:5], v[248:249]
	v_add_f64 v[252:253], v[4:5], v[252:253]
	v_add_f64 v[4:5], v[252:253], v[250:251]
	v_add_f64 v[4:5], v[4:5], v[6:7]
	v_mul_f64 v[6:7], v[124:125], v[140:141]
	v_fma_f64 v[6:7], v[122:123], v[144:145], -v[6:7]
	v_add_f64 v[4:5], v[4:5], v[6:7]
	v_accvgpr_read_b32 v6, a176
	v_accvgpr_read_b32 v7, a177
	v_mul_f64 v[6:7], v[12:13], v[6:7]
	v_fma_f64 v[6:7], v[10:11], v[8:9], -v[6:7]
	v_add_f64 v[4:5], v[4:5], v[6:7]
	v_mul_f64 v[6:7], v[16:17], v[148:149]
	v_fma_f64 v[6:7], v[14:15], v[152:153], -v[6:7]
	v_add_f64 v[4:5], v[4:5], v[6:7]
	v_accvgpr_read_b32 v6, a180
	v_accvgpr_read_b32 v7, a181
	v_mul_f64 v[6:7], v[20:21], v[6:7]
	v_fma_f64 v[6:7], v[18:19], v[130:131], -v[6:7]
	v_add_f64 v[4:5], v[4:5], v[6:7]
	v_mul_f64 v[6:7], v[24:25], v[156:157]
	v_fma_f64 v[6:7], v[22:23], v[160:161], -v[6:7]
	v_add_f64 v[4:5], v[4:5], v[6:7]
	v_mul_f64 v[6:7], v[28:29], v[132:133]
	v_fma_f64 v[6:7], v[26:27], v[134:135], -v[6:7]
	v_add_f64 v[4:5], v[4:5], v[6:7]
	v_mul_f64 v[6:7], v[32:33], v[164:165]
	v_fma_f64 v[6:7], v[30:31], v[166:167], -v[6:7]
	v_add_f64 v[4:5], v[4:5], v[6:7]
	v_mul_f64 v[6:7], v[36:37], v[136:137]
	v_fma_f64 v[6:7], v[34:35], v[138:139], -v[6:7]
	v_add_f64 v[4:5], v[4:5], v[6:7]
	v_mul_f64 v[6:7], v[40:41], v[168:169]
	v_fma_f64 v[6:7], v[38:39], v[170:171], -v[6:7]
	v_add_f64 v[4:5], v[4:5], v[6:7]
	v_mul_f64 v[6:7], v[44:45], v[142:143]
	v_fma_f64 v[6:7], v[42:43], v[146:147], -v[6:7]
	v_add_f64 v[4:5], v[4:5], v[6:7]
	v_mul_f64 v[6:7], v[48:49], v[172:173]
	v_fma_f64 v[6:7], v[46:47], v[174:175], -v[6:7]
	v_add_f64 v[4:5], v[4:5], v[6:7]
	v_mul_f64 v[6:7], v[52:53], v[150:151]
	v_fma_f64 v[6:7], v[50:51], v[154:155], -v[6:7]
	v_add_f64 v[4:5], v[4:5], v[6:7]
	v_mul_f64 v[6:7], v[226:227], v[176:177]
	v_fma_f64 v[6:7], v[224:225], v[178:179], -v[6:7]
	v_add_f64 v[4:5], v[4:5], v[6:7]
	v_mul_f64 v[6:7], v[60:61], v[158:159]
	v_fma_f64 v[6:7], v[58:59], v[162:163], -v[6:7]
	v_add_f64 v[4:5], v[4:5], v[6:7]
	v_mul_f64 v[6:7], v[230:231], v[182:183]
	v_fma_f64 v[6:7], v[228:229], v[186:187], -v[6:7]
	v_add_f64 v[4:5], v[4:5], v[6:7]
	v_mul_f64 v[6:7], v[68:69], v[180:181]
	v_fma_f64 v[6:7], v[66:67], v[184:185], -v[6:7]
	v_add_f64 v[4:5], v[4:5], v[6:7]
	v_mul_f64 v[6:7], v[72:73], v[188:189]
	v_fma_f64 v[6:7], v[70:71], v[190:191], -v[6:7]
	v_add_f64 v[4:5], v[4:5], v[6:7]
	v_mul_f64 v[6:7], v[76:77], v[192:193]
	v_fma_f64 v[6:7], v[74:75], v[196:197], -v[6:7]
	v_add_f64 v[4:5], v[4:5], v[6:7]
	v_mul_f64 v[6:7], v[80:81], v[194:195]
	v_fma_f64 v[6:7], v[78:79], v[198:199], -v[6:7]
	v_add_f64 v[4:5], v[4:5], v[6:7]
	v_mul_f64 v[6:7], v[84:85], v[56:57]
	v_fma_f64 v[6:7], v[82:83], v[202:203], -v[6:7]
	v_add_f64 v[4:5], v[4:5], v[6:7]
	v_mul_f64 v[6:7], v[88:89], v[204:205]
	v_fma_f64 v[6:7], v[86:87], v[206:207], -v[6:7]
	v_add_f64 v[4:5], v[4:5], v[6:7]
	v_mul_f64 v[6:7], v[92:93], v[210:211]
	v_fma_f64 v[6:7], v[90:91], v[212:213], -v[6:7]
	v_add_f64 v[4:5], v[4:5], v[6:7]
	v_mul_f64 v[6:7], v[96:97], v[214:215]
	v_fma_f64 v[6:7], v[94:95], v[220:221], -v[6:7]
	s_waitcnt vmcnt(5) lgkmcnt(0)
	v_mul_f64 v[112:113], v[106:107], v[2:3]
	s_waitcnt vmcnt(4)
	v_fmac_f64_e32 v[112:113], v[108:109], v[54:55]
	v_add_f64 v[114:115], v[110:111], v[112:113]
	ds_read_b128 v[110:113], v1 offset:1792
	buffer_load_dword v242, off, s[0:3], 0 offset:920
	buffer_load_dword v243, off, s[0:3], 0 offset:924
	;; [unrolled: 1-line block ×4, first 2 shown]
	v_add_f64 v[4:5], v[4:5], v[6:7]
	v_mul_f64 v[6:7], v[100:101], v[208:209]
	v_fma_f64 v[6:7], v[98:99], v[218:219], -v[6:7]
	s_waitcnt vmcnt(6) lgkmcnt(0)
	v_mul_f64 v[116:117], v[110:111], v[236:237]
	s_waitcnt vmcnt(4)
	v_fmac_f64_e32 v[116:117], v[112:113], v[238:239]
	v_add_f64 v[200:201], v[114:115], v[116:117]
	ds_read_b128 v[114:117], v1 offset:1808
	buffer_load_dword v248, off, s[0:3], 0 offset:224
	buffer_load_dword v249, off, s[0:3], 0 offset:228
	;; [unrolled: 1-line block ×4, first 2 shown]
	v_add_f64 v[4:5], v[4:5], v[6:7]
	v_mul_f64 v[6:7], v[120:121], v[216:217]
	v_fma_f64 v[6:7], v[118:119], v[222:223], -v[6:7]
	v_mul_f64 v[2:3], v[108:109], v[2:3]
	v_add_f64 v[4:5], v[4:5], v[6:7]
	v_fma_f64 v[2:3], v[106:107], v[54:55], -v[2:3]
	v_add_f64 v[2:3], v[4:5], v[2:3]
	v_mul_f64 v[4:5], v[112:113], v[236:237]
	v_fma_f64 v[4:5], v[110:111], v[238:239], -v[4:5]
	v_add_f64 v[2:3], v[2:3], v[4:5]
	s_waitcnt vmcnt(6) lgkmcnt(0)
	v_mul_f64 v[4:5], v[116:117], v[242:243]
	v_mul_f64 v[254:255], v[114:115], v[242:243]
	s_waitcnt vmcnt(4)
	v_fma_f64 v[4:5], v[114:115], v[244:245], -v[4:5]
	v_fmac_f64_e32 v[254:255], v[116:117], v[244:245]
	v_add_f64 v[2:3], v[2:3], v[4:5]
	v_add_f64 v[200:201], v[200:201], v[254:255]
	s_waitcnt vmcnt(2)
	v_add_f64 v[2:3], v[248:249], -v[2:3]
	s_waitcnt vmcnt(0)
	v_add_f64 v[4:5], v[246:247], -v[200:201]
	buffer_store_dword v3, off, s[0:3], 0 offset:228
	buffer_store_dword v2, off, s[0:3], 0 offset:224
	;; [unrolled: 1-line block ×4, first 2 shown]
	s_and_saveexec_b64 s[4:5], vcc
	s_cbranch_execz .LBB120_331
; %bb.330:
	v_accvgpr_read_b32 v0, a158
	buffer_load_dword v2, v0, s[0:3], 0 offen
	buffer_load_dword v3, v0, s[0:3], 0 offen offset:4
	buffer_load_dword v4, v0, s[0:3], 0 offen offset:8
	;; [unrolled: 1-line block ×3, first 2 shown]
	v_accvgpr_read_b32 v0, a171
	buffer_store_dword v1, off, s[0:3], 0 offset:208
	buffer_store_dword v1, off, s[0:3], 0 offset:212
	;; [unrolled: 1-line block ×4, first 2 shown]
	s_waitcnt vmcnt(4)
	ds_write_b128 v0, v[2:5]
.LBB120_331:
	s_or_b64 exec, exec, s[4:5]
	s_waitcnt lgkmcnt(0)
	; wave barrier
	s_waitcnt lgkmcnt(0)
	buffer_load_dword v186, off, s[0:3], 0 offset:224
	buffer_load_dword v187, off, s[0:3], 0 offset:228
	;; [unrolled: 1-line block ×36, first 2 shown]
	ds_read_b128 v[82:85], v1 offset:1120
	ds_read_b128 v[78:81], v1 offset:1136
	;; [unrolled: 1-line block ×9, first 2 shown]
	buffer_load_dword v235, off, s[0:3], 0 offset:396
	buffer_load_dword v234, off, s[0:3], 0 offset:392
	;; [unrolled: 1-line block ×19, first 2 shown]
	s_waitcnt vmcnt(51) lgkmcnt(8)
	v_mul_f64 v[2:3], v[82:83], v[194:195]
	v_fmac_f64_e32 v[2:3], v[84:85], v[186:187]
	v_add_f64 v[2:3], v[2:3], 0
	s_waitcnt vmcnt(47) lgkmcnt(7)
	v_mul_f64 v[4:5], v[78:79], v[198:199]
	v_fmac_f64_e32 v[4:5], v[80:81], v[196:197]
	v_add_f64 v[2:3], v[2:3], v[4:5]
	buffer_load_dword v244, off, s[0:3], 0 offset:448
	buffer_load_dword v99, off, s[0:3], 0 offset:444
	;; [unrolled: 1-line block ×7, first 2 shown]
	s_waitcnt vmcnt(52) lgkmcnt(6)
	v_mul_f64 v[6:7], v[74:75], v[202:203]
	s_waitcnt vmcnt(50) lgkmcnt(4)
	v_mul_f64 v[10:11], v[62:63], v[212:213]
	s_waitcnt vmcnt(48)
	v_fmac_f64_e32 v[10:11], v[64:65], v[214:215]
	v_mul_f64 v[80:81], v[80:81], v[198:199]
	s_waitcnt vmcnt(46)
	v_mul_f64 v[8:9], v[70:71], v[204:205]
	v_fma_f64 v[78:79], v[78:79], v[196:197], -v[80:81]
	s_waitcnt vmcnt(44) lgkmcnt(2)
	v_mul_f64 v[14:15], v[54:55], v[104:105]
	v_mul_f64 v[64:65], v[64:65], v[212:213]
	s_waitcnt vmcnt(42)
	v_fmac_f64_e32 v[14:15], v[56:57], v[108:109]
	v_fma_f64 v[212:213], v[62:63], v[214:215], -v[64:65]
	s_waitcnt vmcnt(40)
	v_mul_f64 v[12:13], v[50:51], v[112:113]
	s_waitcnt vmcnt(38) lgkmcnt(1)
	v_mul_f64 v[16:17], v[58:59], v[106:107]
	s_waitcnt vmcnt(36)
	v_fmac_f64_e32 v[6:7], v[76:77], v[200:201]
	v_add_f64 v[2:3], v[2:3], v[6:7]
	s_waitcnt vmcnt(34)
	v_fmac_f64_e32 v[8:9], v[72:73], v[116:117]
	v_add_f64 v[2:3], v[2:3], v[8:9]
	;; [unrolled: 3-line block ×3, first 2 shown]
	v_add_f64 v[2:3], v[2:3], v[12:13]
	s_waitcnt vmcnt(30)
	v_fmac_f64_e32 v[16:17], v[60:61], v[110:111]
	v_add_f64 v[2:3], v[2:3], v[14:15]
	v_add_f64 v[2:3], v[2:3], v[16:17]
	v_mul_f64 v[76:77], v[76:77], v[202:203]
	v_fma_f64 v[80:81], v[74:75], v[200:201], -v[76:77]
	v_mul_f64 v[72:73], v[72:73], v[204:205]
	v_mul_f64 v[52:53], v[52:53], v[112:113]
	;; [unrolled: 1-line block ×3, first 2 shown]
	v_fma_f64 v[116:117], v[70:71], v[116:117], -v[72:73]
	s_waitcnt vmcnt(0)
	v_pk_mov_b32 v[18:19], v[4:5], v[4:5] op_sel:[0,1]
	buffer_load_dword v5, off, s[0:3], 0 offset:484
	buffer_load_dword v4, off, s[0:3], 0 offset:480
	v_accvgpr_write_b32 a173, v19
	v_accvgpr_write_b32 a172, v18
	s_waitcnt vmcnt(0)
	v_pk_mov_b32 v[20:21], v[4:5], v[4:5] op_sel:[0,1]
	buffer_load_dword v137, off, s[0:3], 0 offset:476
	buffer_load_dword v136, off, s[0:3], 0 offset:472
	;; [unrolled: 1-line block ×6, first 2 shown]
	v_accvgpr_write_b32 a175, v21
	v_accvgpr_write_b32 a174, v20
	s_waitcnt vmcnt(0)
	v_pk_mov_b32 v[26:27], v[4:5], v[4:5] op_sel:[0,1]
	buffer_load_dword v5, off, s[0:3], 0 offset:516
	buffer_load_dword v4, off, s[0:3], 0 offset:512
	v_accvgpr_write_b32 a177, v27
	v_accvgpr_write_b32 a176, v26
	s_waitcnt vmcnt(0)
	v_pk_mov_b32 v[28:29], v[4:5], v[4:5] op_sel:[0,1]
	buffer_load_dword v145, off, s[0:3], 0 offset:508
	buffer_load_dword v144, off, s[0:3], 0 offset:504
	;; [unrolled: 1-line block ×6, first 2 shown]
	v_accvgpr_write_b32 a179, v29
	v_accvgpr_write_b32 a178, v28
	s_waitcnt vmcnt(0)
	v_pk_mov_b32 v[34:35], v[4:5], v[4:5] op_sel:[0,1]
	buffer_load_dword v255, off, s[0:3], 0 offset:548
	buffer_load_dword v254, off, s[0:3], 0 offset:544
	;; [unrolled: 1-line block ×38, first 2 shown]
	ds_read_b128 v[224:227], v1 offset:1264
	ds_read_b128 v[228:231], v1 offset:1280
	;; [unrolled: 1-line block ×9, first 2 shown]
	v_accvgpr_write_b32 a181, v35
	s_waitcnt lgkmcnt(3)
	v_mul_f64 v[8:9], v[94:95], v[242:243]
	v_fmac_f64_e32 v[8:9], v[96:97], v[244:245]
	s_waitcnt lgkmcnt(2)
	v_mul_f64 v[12:13], v[130:131], v[136:137]
	v_fmac_f64_e32 v[12:13], v[132:133], v[140:141]
	;; [unrolled: 3-line block ×3, first 2 shown]
	v_accvgpr_write_b32 a180, v34
	v_mul_f64 v[70:71], v[226:227], v[238:239]
	v_mul_f64 v[96:97], v[96:97], v[242:243]
	s_waitcnt vmcnt(30)
	v_pk_mov_b32 v[42:43], v[4:5], v[4:5] op_sel:[0,1]
	v_mul_f64 v[4:5], v[66:67], v[102:103]
	v_fmac_f64_e32 v[4:5], v[68:69], v[232:233]
	v_add_f64 v[2:3], v[2:3], v[4:5]
	v_mul_f64 v[4:5], v[224:225], v[238:239]
	v_fmac_f64_e32 v[4:5], v[226:227], v[240:241]
	v_add_f64 v[2:3], v[2:3], v[4:5]
	;; [unrolled: 3-line block ×6, first 2 shown]
	v_add_f64 v[10:11], v[6:7], v[8:9]
	v_add_f64 v[14:15], v[10:11], v[12:13]
	;; [unrolled: 1-line block ×3, first 2 shown]
	ds_read_b128 v[14:17], v1 offset:1408
	s_waitcnt lgkmcnt(1)
	v_mul_f64 v[20:21], v[122:123], v[144:145]
	v_fmac_f64_e32 v[20:21], v[124:125], v[148:149]
	v_add_f64 v[22:23], v[18:19], v[20:21]
	ds_read_b128 v[18:21], v1 offset:1424
	s_waitcnt lgkmcnt(1)
	v_mul_f64 v[24:25], v[14:15], v[26:27]
	v_fmac_f64_e32 v[24:25], v[16:17], v[28:29]
	v_add_f64 v[26:27], v[22:23], v[24:25]
	;; [unrolled: 5-line block ×4, first 2 shown]
	ds_read_b128 v[30:33], v1 offset:1472
	s_waitcnt vmcnt(26) lgkmcnt(1)
	v_mul_f64 v[36:37], v[26:27], v[160:161]
	s_waitcnt vmcnt(24)
	v_fmac_f64_e32 v[36:37], v[28:29], v[162:163]
	v_add_f64 v[38:39], v[34:35], v[36:37]
	ds_read_b128 v[34:37], v1 offset:1488
	s_waitcnt lgkmcnt(1)
	v_mul_f64 v[40:41], v[30:31], v[42:43]
	v_accvgpr_write_b32 a183, v43
	v_fmac_f64_e32 v[40:41], v[32:33], v[134:135]
	v_accvgpr_write_b32 a182, v42
	v_add_f64 v[42:43], v[38:39], v[40:41]
	ds_read_b128 v[38:41], v1 offset:1504
	s_waitcnt vmcnt(18) lgkmcnt(1)
	v_mul_f64 v[44:45], v[34:35], v[164:165]
	s_waitcnt vmcnt(16)
	v_fmac_f64_e32 v[44:45], v[36:37], v[166:167]
	v_add_f64 v[46:47], v[42:43], v[44:45]
	ds_read_b128 v[42:45], v1 offset:1520
	buffer_load_dword v177, off, s[0:3], 0 offset:700
	buffer_load_dword v176, off, s[0:3], 0 offset:696
	;; [unrolled: 1-line block ×4, first 2 shown]
	s_waitcnt lgkmcnt(1)
	v_mul_f64 v[48:49], v[38:39], v[138:139]
	v_fmac_f64_e32 v[48:49], v[40:41], v[142:143]
	v_add_f64 v[180:181], v[46:47], v[48:49]
	ds_read_b128 v[46:49], v1 offset:1536
	buffer_load_dword v183, off, s[0:3], 0 offset:716
	buffer_load_dword v182, off, s[0:3], 0 offset:712
	;; [unrolled: 1-line block ×4, first 2 shown]
	s_waitcnt vmcnt(18) lgkmcnt(1)
	v_mul_f64 v[188:189], v[42:43], v[168:169]
	s_waitcnt vmcnt(16)
	v_fmac_f64_e32 v[188:189], v[44:45], v[170:171]
	v_add_f64 v[2:3], v[180:181], v[188:189]
	buffer_load_dword v181, off, s[0:3], 0 offset:748
	buffer_load_dword v189, off, s[0:3], 0 offset:732
	;; [unrolled: 1-line block ×8, first 2 shown]
	v_mul_f64 v[4:5], v[84:85], v[194:195]
	v_fma_f64 v[10:11], v[82:83], v[186:187], -v[4:5]
	buffer_load_dword v186, off, s[0:3], 0 offset:776
	buffer_load_dword v195, off, s[0:3], 0 offset:764
	;; [unrolled: 1-line block ×20, first 2 shown]
	s_waitcnt lgkmcnt(0)
	v_mul_f64 v[8:9], v[46:47], v[146:147]
	v_fmac_f64_e32 v[8:9], v[48:49], v[150:151]
	v_fma_f64 v[6:7], v[50:51], v[114:115], -v[52:53]
	buffer_load_dword v215, off, s[0:3], 0 offset:844
	buffer_load_dword v214, off, s[0:3], 0 offset:840
	;; [unrolled: 1-line block ×12, first 2 shown]
	v_add_f64 v[2:3], v[2:3], v[8:9]
	ds_read_b128 v[50:53], v1 offset:1552
	v_mul_f64 v[8:9], v[56:57], v[104:105]
	v_fma_f64 v[8:9], v[54:55], v[108:109], -v[8:9]
	ds_read_b128 v[54:57], v1 offset:1568
	v_fma_f64 v[4:5], v[58:59], v[110:111], -v[60:61]
	ds_read_b128 v[58:61], v1 offset:1584
	s_waitcnt vmcnt(50) lgkmcnt(2)
	v_mul_f64 v[62:63], v[50:51], v[172:173]
	s_waitcnt vmcnt(48)
	v_fmac_f64_e32 v[62:63], v[52:53], v[174:175]
	s_waitcnt lgkmcnt(1)
	v_mul_f64 v[12:13], v[54:55], v[154:155]
	v_add_f64 v[2:3], v[2:3], v[62:63]
	ds_read_b128 v[62:65], v1 offset:1600
	v_fmac_f64_e32 v[12:13], v[56:57], v[158:159]
	v_add_f64 v[2:3], v[2:3], v[12:13]
	v_fma_f64 v[240:241], v[224:225], v[240:241], -v[70:71]
	v_mul_f64 v[82:83], v[230:231], v[234:235]
	v_mul_f64 v[88:89], v[88:89], v[246:247]
	v_fma_f64 v[246:247], v[86:87], v[248:249], -v[88:89]
	ds_read_b128 v[86:89], v1 offset:1712
	v_mul_f64 v[92:93], v[92:93], v[98:99]
	v_add_f64 v[10:11], v[10:11], 0
	v_add_f64 v[10:11], v[10:11], v[78:79]
	;; [unrolled: 1-line block ×8, first 2 shown]
	v_mul_f64 v[6:7], v[132:133], v[136:137]
	v_fma_f64 v[6:7], v[130:131], v[140:141], -v[6:7]
	ds_read_b128 v[70:73], v1 offset:1632
	ds_read_b128 v[224:227], v1 offset:1696
	s_waitcnt vmcnt(46) lgkmcnt(4)
	v_mul_f64 v[12:13], v[58:59], v[176:177]
	s_waitcnt vmcnt(44)
	v_fmac_f64_e32 v[12:13], v[60:61], v[178:179]
	v_add_f64 v[2:3], v[2:3], v[12:13]
	v_mul_f64 v[12:13], v[68:69], v[102:103]
	v_fma_f64 v[12:13], v[66:67], v[232:233], -v[12:13]
	ds_read_b128 v[66:69], v1 offset:1616
	s_waitcnt vmcnt(42) lgkmcnt(4)
	v_mul_f64 v[74:75], v[62:63], v[182:183]
	s_waitcnt vmcnt(40)
	v_fmac_f64_e32 v[74:75], v[64:65], v[184:185]
	v_add_f64 v[2:3], v[2:3], v[74:75]
	v_fma_f64 v[232:233], v[228:229], v[236:237], -v[82:83]
	s_waitcnt vmcnt(37) lgkmcnt(0)
	v_mul_f64 v[74:75], v[66:67], v[188:189]
	s_waitcnt vmcnt(35)
	v_fmac_f64_e32 v[74:75], v[68:69], v[192:193]
	v_add_f64 v[2:3], v[2:3], v[74:75]
	s_waitcnt vmcnt(34)
	v_mul_f64 v[74:75], v[70:71], v[180:181]
	s_waitcnt vmcnt(32)
	v_fmac_f64_e32 v[74:75], v[72:73], v[190:191]
	v_add_f64 v[2:3], v[2:3], v[74:75]
	ds_read_b128 v[74:77], v1 offset:1648
	ds_read_b128 v[228:231], v1 offset:1664
	v_add_f64 v[4:5], v[4:5], v[12:13]
	v_add_f64 v[4:5], v[4:5], v[240:241]
	;; [unrolled: 1-line block ×3, first 2 shown]
	s_waitcnt vmcnt(29) lgkmcnt(1)
	v_mul_f64 v[82:83], v[74:75], v[194:195]
	s_waitcnt vmcnt(27)
	v_fmac_f64_e32 v[82:83], v[76:77], v[198:199]
	v_add_f64 v[2:3], v[2:3], v[82:83]
	v_mul_f64 v[82:83], v[120:121], v[250:251]
	v_fma_f64 v[118:119], v[118:119], v[252:253], -v[82:83]
	ds_read_b128 v[82:85], v1 offset:1680
	s_waitcnt vmcnt(25) lgkmcnt(1)
	v_mul_f64 v[102:103], v[228:229], v[186:187]
	s_waitcnt vmcnt(24)
	v_fmac_f64_e32 v[102:103], v[230:231], v[196:197]
	v_add_f64 v[2:3], v[2:3], v[102:103]
	v_fma_f64 v[250:251], v[90:91], v[100:101], -v[92:93]
	s_waitcnt vmcnt(21) lgkmcnt(0)
	v_mul_f64 v[102:103], v[82:83], v[202:203]
	s_waitcnt vmcnt(19)
	v_fmac_f64_e32 v[102:103], v[84:85], v[208:209]
	v_add_f64 v[2:3], v[2:3], v[102:103]
	s_waitcnt vmcnt(18)
	v_mul_f64 v[102:103], v[224:225], v[200:201]
	s_waitcnt vmcnt(16)
	v_fmac_f64_e32 v[102:103], v[226:227], v[206:207]
	v_add_f64 v[2:3], v[2:3], v[102:103]
	ds_read_b128 v[98:101], v1 offset:1728
	s_waitcnt vmcnt(14)
	v_mul_f64 v[102:103], v[86:87], v[204:205]
	s_waitcnt vmcnt(12)
	v_fmac_f64_e32 v[102:103], v[88:89], v[210:211]
	v_add_f64 v[2:3], v[2:3], v[102:103]
	ds_read_b128 v[90:93], v1 offset:1744
	ds_read_b128 v[102:105], v1 offset:1760
	buffer_load_dword v121, off, s[0:3], 0 offset:892
	buffer_load_dword v120, off, s[0:3], 0 offset:888
	;; [unrolled: 1-line block ×4, first 2 shown]
	ds_read_b128 v[106:109], v1 offset:1776
	buffer_load_dword v236, off, s[0:3], 0 offset:904
	buffer_load_dword v237, off, s[0:3], 0 offset:908
	;; [unrolled: 1-line block ×4, first 2 shown]
	v_fma_f64 v[252:253], v[94:95], v[244:245], -v[96:97]
	ds_read_b128 v[110:113], v1 offset:1792
	buffer_load_dword v243, off, s[0:3], 0 offset:924
	buffer_load_dword v242, off, s[0:3], 0 offset:920
	;; [unrolled: 1-line block ×4, first 2 shown]
	s_waitcnt vmcnt(22) lgkmcnt(4)
	v_mul_f64 v[94:95], v[98:99], v[214:215]
	s_waitcnt vmcnt(20)
	v_fmac_f64_e32 v[94:95], v[100:101], v[216:217]
	v_add_f64 v[2:3], v[2:3], v[94:95]
	s_waitcnt vmcnt(17) lgkmcnt(3)
	v_mul_f64 v[94:95], v[90:91], v[220:221]
	s_waitcnt vmcnt(15)
	v_fmac_f64_e32 v[94:95], v[92:93], v[222:223]
	v_add_f64 v[2:3], v[2:3], v[94:95]
	;; [unrolled: 5-line block ×3, first 2 shown]
	v_add_f64 v[4:5], v[4:5], v[118:119]
	v_add_f64 v[118:119], v[4:5], v[246:247]
	;; [unrolled: 1-line block ×5, first 2 shown]
	s_waitcnt vmcnt(10) lgkmcnt(1)
	v_mul_f64 v[94:95], v[106:107], v[120:121]
	s_waitcnt vmcnt(8)
	v_fmac_f64_e32 v[94:95], v[108:109], v[234:235]
	v_add_f64 v[2:3], v[2:3], v[94:95]
	s_waitcnt vmcnt(6) lgkmcnt(0)
	v_mul_f64 v[94:95], v[110:111], v[236:237]
	s_waitcnt vmcnt(4)
	v_fmac_f64_e32 v[94:95], v[112:113], v[238:239]
	v_add_f64 v[2:3], v[2:3], v[94:95]
	ds_read_b128 v[94:97], v1 offset:1808
	v_accvgpr_read_b32 v0, a172
	v_accvgpr_read_b32 v1, a173
	v_mul_f64 v[6:7], v[128:129], v[0:1]
	v_accvgpr_read_b32 v0, a174
	s_waitcnt vmcnt(2) lgkmcnt(0)
	v_mul_f64 v[248:249], v[94:95], v[242:243]
	s_waitcnt vmcnt(0)
	v_fmac_f64_e32 v[248:249], v[96:97], v[244:245]
	v_add_f64 v[2:3], v[2:3], v[248:249]
	buffer_load_dword v248, off, s[0:3], 0 offset:208
	buffer_load_dword v249, off, s[0:3], 0 offset:212
	;; [unrolled: 1-line block ×4, first 2 shown]
	v_accvgpr_read_b32 v1, a175
	v_fma_f64 v[6:7], v[126:127], v[0:1], -v[6:7]
	v_add_f64 v[4:5], v[4:5], v[6:7]
	v_mul_f64 v[6:7], v[124:125], v[144:145]
	v_accvgpr_read_b32 v0, a176
	v_fma_f64 v[6:7], v[122:123], v[148:149], -v[6:7]
	v_accvgpr_read_b32 v1, a177
	v_add_f64 v[4:5], v[4:5], v[6:7]
	v_mul_f64 v[6:7], v[16:17], v[0:1]
	v_accvgpr_read_b32 v0, a178
	v_accvgpr_read_b32 v1, a179
	v_fma_f64 v[6:7], v[14:15], v[0:1], -v[6:7]
	v_add_f64 v[4:5], v[4:5], v[6:7]
	v_mul_f64 v[6:7], v[20:21], v[152:153]
	v_accvgpr_read_b32 v0, a180
	v_fma_f64 v[6:7], v[18:19], v[156:157], -v[6:7]
	v_accvgpr_read_b32 v1, a181
	v_add_f64 v[4:5], v[4:5], v[6:7]
	v_mul_f64 v[6:7], v[24:25], v[0:1]
	v_fma_f64 v[6:7], v[22:23], v[254:255], -v[6:7]
	v_add_f64 v[4:5], v[4:5], v[6:7]
	v_mul_f64 v[6:7], v[28:29], v[160:161]
	v_accvgpr_read_b32 v0, a182
	v_fma_f64 v[6:7], v[26:27], v[162:163], -v[6:7]
	v_accvgpr_read_b32 v1, a183
	v_add_f64 v[4:5], v[4:5], v[6:7]
	v_mul_f64 v[6:7], v[32:33], v[0:1]
	v_fma_f64 v[6:7], v[30:31], v[134:135], -v[6:7]
	v_add_f64 v[4:5], v[4:5], v[6:7]
	v_mul_f64 v[6:7], v[36:37], v[164:165]
	v_fma_f64 v[6:7], v[34:35], v[166:167], -v[6:7]
	;; [unrolled: 3-line block ×22, first 2 shown]
	v_add_f64 v[4:5], v[4:5], v[6:7]
	v_accvgpr_read_b32 v0, a170
	s_waitcnt vmcnt(2)
	v_add_f64 v[4:5], v[248:249], -v[4:5]
	v_cmp_lt_u32_e32 vcc, 11, v0
	s_waitcnt vmcnt(0)
	v_add_f64 v[2:3], v[246:247], -v[2:3]
	buffer_store_dword v5, off, s[0:3], 0 offset:212
	buffer_store_dword v4, off, s[0:3], 0 offset:208
	;; [unrolled: 1-line block ×4, first 2 shown]
	s_and_saveexec_b64 s[4:5], vcc
	s_cbranch_execz .LBB120_333
; %bb.332:
	v_accvgpr_read_b32 v0, a159
	buffer_load_dword v2, v0, s[0:3], 0 offen
	buffer_load_dword v3, v0, s[0:3], 0 offen offset:4
	buffer_load_dword v4, v0, s[0:3], 0 offen offset:8
	;; [unrolled: 1-line block ×3, first 2 shown]
	v_mov_b32_e32 v0, 0
	v_accvgpr_read_b32 v1, a171
	buffer_store_dword v0, off, s[0:3], 0 offset:192
	buffer_store_dword v0, off, s[0:3], 0 offset:196
	;; [unrolled: 1-line block ×4, first 2 shown]
	s_waitcnt vmcnt(4)
	ds_write_b128 v1, v[2:5]
.LBB120_333:
	s_or_b64 exec, exec, s[4:5]
	s_waitcnt lgkmcnt(0)
	; wave barrier
	s_waitcnt lgkmcnt(0)
	buffer_load_dword v56, off, s[0:3], 0 offset:208
	buffer_load_dword v57, off, s[0:3], 0 offset:212
	;; [unrolled: 1-line block ×36, first 2 shown]
	v_mov_b32_e32 v1, 0
	buffer_load_dword v87, off, s[0:3], 0 offset:380
	buffer_load_dword v86, off, s[0:3], 0 offset:376
	buffer_load_dword v89, off, s[0:3], 0 offset:372
	buffer_load_dword v88, off, s[0:3], 0 offset:368
	buffer_load_dword v91, off, s[0:3], 0 offset:364
	buffer_load_dword v90, off, s[0:3], 0 offset:360
	buffer_load_dword v93, off, s[0:3], 0 offset:356
	buffer_load_dword v92, off, s[0:3], 0 offset:352
	buffer_load_dword v97, off, s[0:3], 0 offset:412
	buffer_load_dword v96, off, s[0:3], 0 offset:408
	buffer_load_dword v99, off, s[0:3], 0 offset:404
	buffer_load_dword v98, off, s[0:3], 0 offset:400
	buffer_load_dword v101, off, s[0:3], 0 offset:396
	buffer_load_dword v100, off, s[0:3], 0 offset:392
	buffer_load_dword v103, off, s[0:3], 0 offset:388
	buffer_load_dword v102, off, s[0:3], 0 offset:384
	buffer_load_dword v95, off, s[0:3], 0 offset:444
	buffer_load_dword v94, off, s[0:3], 0 offset:440
	ds_read_b128 v[110:113], v1 offset:1104
	ds_read_b128 v[114:117], v1 offset:1120
	;; [unrolled: 1-line block ×9, first 2 shown]
	v_accvgpr_read_b32 v0, a170
	v_cmp_lt_u32_e32 vcc, 10, v0
	s_waitcnt vmcnt(50) lgkmcnt(8)
	v_mul_f64 v[2:3], v[110:111], v[182:183]
	v_fmac_f64_e32 v[2:3], v[112:113], v[56:57]
	v_add_f64 v[2:3], v[2:3], 0
	s_waitcnt vmcnt(46) lgkmcnt(7)
	v_mul_f64 v[4:5], v[114:115], v[54:55]
	v_fmac_f64_e32 v[4:5], v[116:117], v[52:53]
	v_add_f64 v[2:3], v[2:3], v[4:5]
	buffer_load_dword v105, off, s[0:3], 0 offset:436
	buffer_load_dword v104, off, s[0:3], 0 offset:432
	buffer_load_dword v119, off, s[0:3], 0 offset:428
	buffer_load_dword v118, off, s[0:3], 0 offset:424
	buffer_load_dword v59, off, s[0:3], 0 offset:420
	buffer_load_dword v58, off, s[0:3], 0 offset:416
	buffer_load_dword v5, off, s[0:3], 0 offset:476
	buffer_load_dword v4, off, s[0:3], 0 offset:472
	s_waitcnt vmcnt(52) lgkmcnt(6)
	v_mul_f64 v[6:7], v[196:197], v[50:51]
	s_waitcnt vmcnt(50) lgkmcnt(4)
	v_mul_f64 v[10:11], v[204:205], v[60:61]
	s_waitcnt vmcnt(48)
	v_fmac_f64_e32 v[10:11], v[206:207], v[62:63]
	v_mul_f64 v[50:51], v[198:199], v[50:51]
	s_waitcnt vmcnt(46)
	v_mul_f64 v[8:9], v[200:201], v[64:65]
	v_mul_f64 v[54:55], v[116:117], v[54:55]
	s_waitcnt vmcnt(44) lgkmcnt(2)
	v_mul_f64 v[14:15], v[214:215], v[74:75]
	v_fma_f64 v[212:213], v[114:115], v[52:53], -v[54:55]
	s_waitcnt vmcnt(42)
	v_fmac_f64_e32 v[14:15], v[216:217], v[72:73]
	s_waitcnt vmcnt(40)
	v_mul_f64 v[12:13], v[208:209], v[76:77]
	v_mul_f64 v[54:55], v[210:211], v[76:77]
	s_waitcnt vmcnt(38) lgkmcnt(1)
	v_mul_f64 v[16:17], v[220:221], v[68:69]
	s_waitcnt vmcnt(36)
	v_fmac_f64_e32 v[6:7], v[198:199], v[82:83]
	v_add_f64 v[2:3], v[2:3], v[6:7]
	s_waitcnt vmcnt(34)
	v_fmac_f64_e32 v[8:9], v[202:203], v[80:81]
	v_add_f64 v[2:3], v[2:3], v[8:9]
	;; [unrolled: 3-line block ×3, first 2 shown]
	v_add_f64 v[2:3], v[2:3], v[12:13]
	v_add_f64 v[2:3], v[2:3], v[14:15]
	s_waitcnt vmcnt(30)
	v_fmac_f64_e32 v[16:17], v[222:223], v[70:71]
	v_add_f64 v[2:3], v[2:3], v[16:17]
	v_fma_f64 v[82:83], v[196:197], v[82:83], -v[50:51]
	v_mul_f64 v[50:51], v[202:203], v[64:65]
	s_waitcnt vmcnt(0)
	v_pk_mov_b32 v[14:15], v[4:5], v[4:5] op_sel:[0,1]
	buffer_load_dword v5, off, s[0:3], 0 offset:468
	buffer_load_dword v4, off, s[0:3], 0 offset:464
	v_accvgpr_write_b32 a173, v15
	v_accvgpr_write_b32 a172, v14
	s_waitcnt vmcnt(0)
	v_pk_mov_b32 v[18:19], v[4:5], v[4:5] op_sel:[0,1]
	buffer_load_dword v107, off, s[0:3], 0 offset:460
	buffer_load_dword v106, off, s[0:3], 0 offset:456
	buffer_load_dword v109, off, s[0:3], 0 offset:452
	buffer_load_dword v108, off, s[0:3], 0 offset:448
	buffer_load_dword v5, off, s[0:3], 0 offset:508
	buffer_load_dword v4, off, s[0:3], 0 offset:504
	v_accvgpr_write_b32 a175, v19
	v_accvgpr_write_b32 a174, v18
	s_waitcnt vmcnt(0)
	v_pk_mov_b32 v[22:23], v[4:5], v[4:5] op_sel:[0,1]
	buffer_load_dword v5, off, s[0:3], 0 offset:500
	buffer_load_dword v4, off, s[0:3], 0 offset:496
	v_accvgpr_write_b32 a177, v23
	v_accvgpr_write_b32 a176, v22
	s_waitcnt vmcnt(0)
	v_pk_mov_b32 v[24:25], v[4:5], v[4:5] op_sel:[0,1]
	buffer_load_dword v141, off, s[0:3], 0 offset:492
	buffer_load_dword v140, off, s[0:3], 0 offset:488
	buffer_load_dword v145, off, s[0:3], 0 offset:484
	buffer_load_dword v144, off, s[0:3], 0 offset:480
	buffer_load_dword v5, off, s[0:3], 0 offset:540
	buffer_load_dword v4, off, s[0:3], 0 offset:536
	v_accvgpr_write_b32 a179, v25
	v_accvgpr_write_b32 a178, v24
	;; [unrolled: 16-line block ×3, first 2 shown]
	s_waitcnt vmcnt(0)
	v_pk_mov_b32 v[38:39], v[4:5], v[4:5] op_sel:[0,1]
	buffer_load_dword v5, off, s[0:3], 0 offset:564
	buffer_load_dword v4, off, s[0:3], 0 offset:560
	buffer_load_dword v157, off, s[0:3], 0 offset:556
	buffer_load_dword v156, off, s[0:3], 0 offset:552
	buffer_load_dword v159, off, s[0:3], 0 offset:548
	buffer_load_dword v158, off, s[0:3], 0 offset:544
	buffer_load_dword v137, off, s[0:3], 0 offset:604
	buffer_load_dword v136, off, s[0:3], 0 offset:600
	buffer_load_dword v139, off, s[0:3], 0 offset:596
	buffer_load_dword v138, off, s[0:3], 0 offset:592
	buffer_load_dword v161, off, s[0:3], 0 offset:588
	buffer_load_dword v160, off, s[0:3], 0 offset:584
	buffer_load_dword v163, off, s[0:3], 0 offset:580
	buffer_load_dword v162, off, s[0:3], 0 offset:576
	buffer_load_dword v143, off, s[0:3], 0 offset:636
	buffer_load_dword v142, off, s[0:3], 0 offset:632
	buffer_load_dword v147, off, s[0:3], 0 offset:628
	buffer_load_dword v146, off, s[0:3], 0 offset:624
	buffer_load_dword v165, off, s[0:3], 0 offset:620
	buffer_load_dword v164, off, s[0:3], 0 offset:616
	buffer_load_dword v167, off, s[0:3], 0 offset:612
	buffer_load_dword v166, off, s[0:3], 0 offset:608
	buffer_load_dword v151, off, s[0:3], 0 offset:668
	buffer_load_dword v150, off, s[0:3], 0 offset:664
	buffer_load_dword v155, off, s[0:3], 0 offset:660
	buffer_load_dword v154, off, s[0:3], 0 offset:656
	buffer_load_dword v169, off, s[0:3], 0 offset:652
	buffer_load_dword v168, off, s[0:3], 0 offset:648
	buffer_load_dword v171, off, s[0:3], 0 offset:644
	buffer_load_dword v170, off, s[0:3], 0 offset:640
	ds_read_b128 v[228:231], v1 offset:1248
	ds_read_b128 v[232:235], v1 offset:1264
	;; [unrolled: 1-line block ×11, first 2 shown]
	s_waitcnt lgkmcnt(4)
	v_mul_f64 v[8:9], v[252:253], v[106:107]
	v_fmac_f64_e32 v[8:9], v[254:255], v[108:109]
	s_waitcnt lgkmcnt(3)
	v_mul_f64 v[12:13], v[132:133], v[14:15]
	v_fmac_f64_e32 v[12:13], v[134:135], v[18:19]
	;; [unrolled: 3-line block ×4, first 2 shown]
	v_accvgpr_write_b32 a185, v39
	v_accvgpr_write_b32 a184, v38
	s_waitcnt vmcnt(28)
	v_pk_mov_b32 v[40:41], v[4:5], v[4:5] op_sel:[0,1]
	v_mul_f64 v[4:5], v[224:225], v[66:67]
	v_fmac_f64_e32 v[4:5], v[226:227], v[84:85]
	v_add_f64 v[2:3], v[2:3], v[4:5]
	v_mul_f64 v[4:5], v[228:229], v[90:91]
	v_fmac_f64_e32 v[4:5], v[230:231], v[92:93]
	v_add_f64 v[2:3], v[2:3], v[4:5]
	;; [unrolled: 3-line block ×7, first 2 shown]
	v_add_f64 v[10:11], v[6:7], v[8:9]
	v_add_f64 v[14:15], v[10:11], v[12:13]
	;; [unrolled: 1-line block ×4, first 2 shown]
	ds_read_b128 v[18:21], v1 offset:1424
	s_waitcnt lgkmcnt(1)
	v_mul_f64 v[24:25], v[120:121], v[148:149]
	v_fmac_f64_e32 v[24:25], v[122:123], v[152:153]
	v_add_f64 v[26:27], v[22:23], v[24:25]
	ds_read_b128 v[22:25], v1 offset:1440
	s_waitcnt lgkmcnt(1)
	v_mul_f64 v[28:29], v[18:19], v[30:31]
	v_fmac_f64_e32 v[28:29], v[20:21], v[32:33]
	v_add_f64 v[30:31], v[26:27], v[28:29]
	ds_read_b128 v[26:29], v1 offset:1456
	s_waitcnt vmcnt(26) lgkmcnt(1)
	v_mul_f64 v[32:33], v[22:23], v[156:157]
	s_waitcnt vmcnt(24)
	v_fmac_f64_e32 v[32:33], v[24:25], v[158:159]
	v_add_f64 v[34:35], v[30:31], v[32:33]
	ds_read_b128 v[30:33], v1 offset:1472
	s_waitcnt lgkmcnt(1)
	v_mul_f64 v[36:37], v[26:27], v[38:39]
	v_fmac_f64_e32 v[36:37], v[28:29], v[40:41]
	v_accvgpr_write_b32 a187, v41
	v_accvgpr_write_b32 a186, v40
	v_add_f64 v[38:39], v[34:35], v[36:37]
	ds_read_b128 v[34:37], v1 offset:1488
	s_waitcnt vmcnt(18) lgkmcnt(1)
	v_mul_f64 v[40:41], v[30:31], v[160:161]
	s_waitcnt vmcnt(16)
	v_fmac_f64_e32 v[40:41], v[32:33], v[162:163]
	v_add_f64 v[42:43], v[38:39], v[40:41]
	ds_read_b128 v[38:41], v1 offset:1504
	s_waitcnt lgkmcnt(1)
	v_mul_f64 v[44:45], v[34:35], v[136:137]
	v_fmac_f64_e32 v[44:45], v[36:37], v[138:139]
	v_add_f64 v[46:47], v[42:43], v[44:45]
	ds_read_b128 v[42:45], v1 offset:1520
	s_waitcnt vmcnt(10) lgkmcnt(1)
	v_mul_f64 v[48:49], v[38:39], v[164:165]
	s_waitcnt vmcnt(8)
	v_fmac_f64_e32 v[48:49], v[40:41], v[166:167]
	v_add_f64 v[174:175], v[46:47], v[48:49]
	ds_read_b128 v[46:49], v1 offset:1536
	buffer_load_dword v173, off, s[0:3], 0 offset:684
	buffer_load_dword v172, off, s[0:3], 0 offset:680
	;; [unrolled: 1-line block ×4, first 2 shown]
	s_waitcnt lgkmcnt(1)
	v_mul_f64 v[178:179], v[42:43], v[142:143]
	v_fmac_f64_e32 v[178:179], v[44:45], v[146:147]
	v_add_f64 v[2:3], v[174:175], v[178:179]
	buffer_load_dword v179, off, s[0:3], 0 offset:700
	buffer_load_dword v178, off, s[0:3], 0 offset:696
	;; [unrolled: 1-line block ×5, first 2 shown]
	v_mul_f64 v[4:5], v[112:113], v[182:183]
	buffer_load_dword v185, off, s[0:3], 0 offset:716
	buffer_load_dword v184, off, s[0:3], 0 offset:712
	;; [unrolled: 1-line block ×19, first 2 shown]
	v_mul_f64 v[8:9], v[206:207], v[60:61]
	v_fma_f64 v[10:11], v[200:201], v[80:81], -v[50:51]
	v_fma_f64 v[8:9], v[204:205], v[62:63], -v[8:9]
	buffer_load_dword v201, off, s[0:3], 0 offset:796
	buffer_load_dword v200, off, s[0:3], 0 offset:792
	;; [unrolled: 1-line block ×8, first 2 shown]
	ds_read_b128 v[50:53], v1 offset:1552
	buffer_load_dword v211, off, s[0:3], 0 offset:828
	buffer_load_dword v210, off, s[0:3], 0 offset:824
	;; [unrolled: 1-line block ×4, first 2 shown]
	v_mul_f64 v[12:13], v[216:217], v[74:75]
	v_fma_f64 v[6:7], v[208:209], v[78:79], -v[54:55]
	v_fma_f64 v[12:13], v[214:215], v[72:73], -v[12:13]
	buffer_load_dword v208, off, s[0:3], 0 offset:856
	buffer_load_dword v217, off, s[0:3], 0 offset:844
	;; [unrolled: 1-line block ×8, first 2 shown]
	v_fma_f64 v[14:15], v[110:111], v[56:57], -v[4:5]
	v_mul_f64 v[56:57], v[222:223], v[68:69]
	v_fma_f64 v[4:5], v[220:221], v[70:71], -v[56:57]
	buffer_load_dword v221, off, s[0:3], 0 offset:876
	buffer_load_dword v220, off, s[0:3], 0 offset:872
	;; [unrolled: 1-line block ×4, first 2 shown]
	s_waitcnt vmcnt(54) lgkmcnt(1)
	v_mul_f64 v[54:55], v[46:47], v[168:169]
	s_waitcnt vmcnt(52)
	v_fmac_f64_e32 v[54:55], v[48:49], v[170:171]
	v_add_f64 v[2:3], v[2:3], v[54:55]
	ds_read_b128 v[54:57], v1 offset:1568
	s_waitcnt lgkmcnt(1)
	v_mul_f64 v[16:17], v[50:51], v[150:151]
	v_fmac_f64_e32 v[16:17], v[52:53], v[154:155]
	v_add_f64 v[2:3], v[2:3], v[16:17]
	v_mul_f64 v[16:17], v[226:227], v[66:67]
	v_fma_f64 v[16:17], v[224:225], v[84:85], -v[16:17]
	ds_read_b128 v[224:227], v1 offset:1584
	v_mul_f64 v[70:71], v[234:235], v[86:87]
	v_fma_f64 v[232:233], v[232:233], v[88:89], -v[70:71]
	ds_read_b128 v[70:73], v1 offset:1632
	v_mul_f64 v[86:87], v[242:243], v[96:97]
	v_fma_f64 v[240:241], v[240:241], v[98:99], -v[86:87]
	v_mul_f64 v[86:87], v[246:247], v[118:119]
	v_fma_f64 v[246:247], v[244:245], v[58:59], -v[86:87]
	ds_read_b128 v[86:89], v1 offset:1696
	v_mul_f64 v[98:99], v[254:255], v[106:107]
	v_add_f64 v[14:15], v[14:15], 0
	v_add_f64 v[14:15], v[14:15], v[212:213]
	;; [unrolled: 1-line block ×9, first 2 shown]
	v_accvgpr_read_b32 v6, a172
	v_accvgpr_read_b32 v7, a173
	;; [unrolled: 1-line block ×3, first 2 shown]
	v_mul_f64 v[6:7], v[134:135], v[6:7]
	v_accvgpr_read_b32 v9, a175
	v_fma_f64 v[6:7], v[132:133], v[8:9], -v[6:7]
	v_accvgpr_read_b32 v8, a178
	v_accvgpr_read_b32 v9, a179
	s_waitcnt vmcnt(50) lgkmcnt(3)
	v_mul_f64 v[62:63], v[54:55], v[172:173]
	s_waitcnt vmcnt(48)
	v_fmac_f64_e32 v[62:63], v[56:57], v[176:177]
	v_add_f64 v[2:3], v[2:3], v[62:63]
	v_mul_f64 v[62:63], v[230:231], v[90:91]
	v_fma_f64 v[84:85], v[228:229], v[92:93], -v[62:63]
	ds_read_b128 v[62:65], v1 offset:1600
	s_waitcnt vmcnt(46) lgkmcnt(3)
	v_mul_f64 v[66:67], v[224:225], v[178:179]
	s_waitcnt vmcnt(44)
	v_fmac_f64_e32 v[66:67], v[226:227], v[180:181]
	v_add_f64 v[2:3], v[2:3], v[66:67]
	ds_read_b128 v[66:69], v1 offset:1616
	s_waitcnt vmcnt(41) lgkmcnt(1)
	v_mul_f64 v[74:75], v[62:63], v[184:185]
	s_waitcnt vmcnt(39)
	v_fmac_f64_e32 v[74:75], v[64:65], v[188:189]
	v_add_f64 v[2:3], v[2:3], v[74:75]
	v_mul_f64 v[74:75], v[238:239], v[100:101]
	v_fma_f64 v[234:235], v[236:237], v[102:103], -v[74:75]
	ds_read_b128 v[74:77], v1 offset:1648
	s_waitcnt vmcnt(38) lgkmcnt(1)
	v_mul_f64 v[78:79], v[66:67], v[174:175]
	s_waitcnt vmcnt(36)
	v_fmac_f64_e32 v[78:79], v[68:69], v[186:187]
	v_add_f64 v[2:3], v[2:3], v[78:79]
	s_waitcnt vmcnt(33)
	v_mul_f64 v[78:79], v[70:71], v[192:193]
	s_waitcnt vmcnt(31)
	v_fmac_f64_e32 v[78:79], v[72:73], v[194:195]
	v_add_f64 v[2:3], v[2:3], v[78:79]
	s_waitcnt vmcnt(29) lgkmcnt(0)
	v_mul_f64 v[78:79], v[74:75], v[182:183]
	s_waitcnt vmcnt(28)
	v_fmac_f64_e32 v[78:79], v[76:77], v[190:191]
	v_add_f64 v[2:3], v[2:3], v[78:79]
	ds_read_b128 v[78:81], v1 offset:1664
	ds_read_b128 v[228:231], v1 offset:1680
	v_add_f64 v[4:5], v[4:5], v[84:85]
	v_add_f64 v[4:5], v[4:5], v[232:233]
	;; [unrolled: 1-line block ×3, first 2 shown]
	s_waitcnt vmcnt(26) lgkmcnt(1)
	v_mul_f64 v[90:91], v[78:79], v[196:197]
	s_waitcnt vmcnt(24)
	v_fmac_f64_e32 v[90:91], v[80:81], v[198:199]
	s_waitcnt vmcnt(22) lgkmcnt(0)
	v_mul_f64 v[58:59], v[228:229], v[200:201]
	v_add_f64 v[2:3], v[2:3], v[90:91]
	s_waitcnt vmcnt(20)
	v_fmac_f64_e32 v[58:59], v[230:231], v[204:205]
	v_add_f64 v[2:3], v[2:3], v[58:59]
	ds_read_b128 v[90:93], v1 offset:1712
	s_waitcnt vmcnt(18)
	v_mul_f64 v[58:59], v[86:87], v[202:203]
	s_waitcnt vmcnt(16)
	v_fmac_f64_e32 v[58:59], v[88:89], v[206:207]
	v_add_f64 v[2:3], v[2:3], v[58:59]
	v_mul_f64 v[58:59], v[250:251], v[94:95]
	ds_read_b128 v[94:97], v1 offset:1728
	v_fma_f64 v[250:251], v[252:253], v[108:109], -v[98:99]
	ds_read_b128 v[98:101], v1 offset:1744
	v_fma_f64 v[118:119], v[248:249], v[104:105], -v[58:59]
	s_waitcnt vmcnt(14) lgkmcnt(2)
	v_mul_f64 v[58:59], v[90:91], v[210:211]
	s_waitcnt vmcnt(12)
	v_fmac_f64_e32 v[58:59], v[92:93], v[60:61]
	ds_read_b128 v[102:105], v1 offset:1760
	v_add_f64 v[2:3], v[2:3], v[58:59]
	s_waitcnt vmcnt(9) lgkmcnt(2)
	v_mul_f64 v[58:59], v[94:95], v[216:217]
	s_waitcnt vmcnt(7)
	v_fmac_f64_e32 v[58:59], v[96:97], v[218:219]
	v_add_f64 v[2:3], v[2:3], v[58:59]
	s_waitcnt vmcnt(5) lgkmcnt(1)
	v_mul_f64 v[58:59], v[98:99], v[208:209]
	s_waitcnt vmcnt(4)
	v_fmac_f64_e32 v[58:59], v[100:101], v[214:215]
	;; [unrolled: 5-line block ×3, first 2 shown]
	v_add_f64 v[110:111], v[2:3], v[58:59]
	buffer_load_dword v2, off, s[0:3], 0 offset:888
	buffer_load_dword v3, off, s[0:3], 0 offset:892
	;; [unrolled: 1-line block ×4, first 2 shown]
	ds_read_b128 v[106:109], v1 offset:1776
	buffer_load_dword v237, off, s[0:3], 0 offset:908
	buffer_load_dword v236, off, s[0:3], 0 offset:904
	;; [unrolled: 1-line block ×4, first 2 shown]
	v_add_f64 v[4:5], v[4:5], v[240:241]
	v_add_f64 v[4:5], v[4:5], v[246:247]
	s_waitcnt vmcnt(6) lgkmcnt(0)
	v_mul_f64 v[112:113], v[106:107], v[2:3]
	v_mul_f64 v[2:3], v[108:109], v[2:3]
	s_waitcnt vmcnt(4)
	v_fmac_f64_e32 v[112:113], v[108:109], v[58:59]
	v_add_f64 v[114:115], v[110:111], v[112:113]
	ds_read_b128 v[110:113], v1 offset:1792
	buffer_load_dword v242, off, s[0:3], 0 offset:920
	buffer_load_dword v243, off, s[0:3], 0 offset:924
	;; [unrolled: 1-line block ×4, first 2 shown]
	v_fma_f64 v[2:3], v[106:107], v[58:59], -v[2:3]
	s_waitcnt vmcnt(6) lgkmcnt(0)
	v_mul_f64 v[116:117], v[110:111], v[236:237]
	s_waitcnt vmcnt(4)
	v_fmac_f64_e32 v[116:117], v[112:113], v[238:239]
	v_add_f64 v[248:249], v[114:115], v[116:117]
	ds_read_b128 v[114:117], v1 offset:1808
	s_waitcnt vmcnt(2) lgkmcnt(0)
	v_mul_f64 v[252:253], v[114:115], v[242:243]
	s_waitcnt vmcnt(0)
	v_fmac_f64_e32 v[252:253], v[116:117], v[244:245]
	v_add_f64 v[254:255], v[248:249], v[252:253]
	buffer_load_dword v248, off, s[0:3], 0 offset:192
	buffer_load_dword v249, off, s[0:3], 0 offset:196
	;; [unrolled: 1-line block ×4, first 2 shown]
	v_add_f64 v[252:253], v[4:5], v[118:119]
	v_add_f64 v[4:5], v[252:253], v[250:251]
	;; [unrolled: 1-line block ×3, first 2 shown]
	v_mul_f64 v[6:7], v[130:131], v[140:141]
	v_fma_f64 v[6:7], v[128:129], v[144:145], -v[6:7]
	v_add_f64 v[4:5], v[4:5], v[6:7]
	v_accvgpr_read_b32 v6, a176
	v_accvgpr_read_b32 v7, a177
	v_mul_f64 v[6:7], v[126:127], v[6:7]
	v_fma_f64 v[6:7], v[124:125], v[8:9], -v[6:7]
	v_add_f64 v[4:5], v[4:5], v[6:7]
	v_mul_f64 v[6:7], v[122:123], v[148:149]
	v_fma_f64 v[6:7], v[120:121], v[152:153], -v[6:7]
	v_add_f64 v[4:5], v[4:5], v[6:7]
	v_accvgpr_read_b32 v6, a180
	v_accvgpr_read_b32 v7, a181
	;; [unrolled: 1-line block ×3, first 2 shown]
	v_mul_f64 v[6:7], v[20:21], v[6:7]
	v_accvgpr_read_b32 v9, a183
	v_fma_f64 v[6:7], v[18:19], v[8:9], -v[6:7]
	v_add_f64 v[4:5], v[4:5], v[6:7]
	v_mul_f64 v[6:7], v[24:25], v[156:157]
	v_fma_f64 v[6:7], v[22:23], v[158:159], -v[6:7]
	v_add_f64 v[4:5], v[4:5], v[6:7]
	v_accvgpr_read_b32 v6, a184
	v_accvgpr_read_b32 v7, a185
	;; [unrolled: 1-line block ×3, first 2 shown]
	v_mul_f64 v[6:7], v[28:29], v[6:7]
	v_accvgpr_read_b32 v9, a187
	v_fma_f64 v[6:7], v[26:27], v[8:9], -v[6:7]
	v_add_f64 v[4:5], v[4:5], v[6:7]
	v_mul_f64 v[6:7], v[32:33], v[160:161]
	v_fma_f64 v[6:7], v[30:31], v[162:163], -v[6:7]
	v_add_f64 v[4:5], v[4:5], v[6:7]
	v_mul_f64 v[6:7], v[36:37], v[136:137]
	;; [unrolled: 3-line block ×19, first 2 shown]
	v_fma_f64 v[6:7], v[102:103], v[222:223], -v[6:7]
	v_add_f64 v[4:5], v[4:5], v[6:7]
	v_add_f64 v[2:3], v[4:5], v[2:3]
	v_mul_f64 v[4:5], v[112:113], v[236:237]
	v_fma_f64 v[4:5], v[110:111], v[238:239], -v[4:5]
	v_add_f64 v[2:3], v[2:3], v[4:5]
	v_mul_f64 v[4:5], v[116:117], v[242:243]
	v_fma_f64 v[4:5], v[114:115], v[244:245], -v[4:5]
	v_add_f64 v[2:3], v[2:3], v[4:5]
	s_waitcnt vmcnt(2)
	v_add_f64 v[2:3], v[248:249], -v[2:3]
	s_waitcnt vmcnt(0)
	v_add_f64 v[4:5], v[246:247], -v[254:255]
	buffer_store_dword v3, off, s[0:3], 0 offset:196
	buffer_store_dword v2, off, s[0:3], 0 offset:192
	;; [unrolled: 1-line block ×4, first 2 shown]
	s_and_saveexec_b64 s[4:5], vcc
	s_cbranch_execz .LBB120_335
; %bb.334:
	v_accvgpr_read_b32 v0, a160
	buffer_load_dword v2, v0, s[0:3], 0 offen
	buffer_load_dword v3, v0, s[0:3], 0 offen offset:4
	buffer_load_dword v4, v0, s[0:3], 0 offen offset:8
	;; [unrolled: 1-line block ×3, first 2 shown]
	v_accvgpr_read_b32 v0, a171
	buffer_store_dword v1, off, s[0:3], 0 offset:176
	buffer_store_dword v1, off, s[0:3], 0 offset:180
	;; [unrolled: 1-line block ×4, first 2 shown]
	s_waitcnt vmcnt(4)
	ds_write_b128 v0, v[2:5]
.LBB120_335:
	s_or_b64 exec, exec, s[4:5]
	s_waitcnt lgkmcnt(0)
	; wave barrier
	s_waitcnt lgkmcnt(0)
	buffer_load_dword v60, off, s[0:3], 0 offset:192
	buffer_load_dword v61, off, s[0:3], 0 offset:196
	;; [unrolled: 1-line block ×42, first 2 shown]
	ds_read_b128 v[114:117], v1 offset:1088
	ds_read_b128 v[182:185], v1 offset:1104
	ds_read_b128 v[186:189], v1 offset:1120
	ds_read_b128 v[194:197], v1 offset:1136
	ds_read_b128 v[200:203], v1 offset:1152
	ds_read_b128 v[204:207], v1 offset:1168
	ds_read_b128 v[208:211], v1 offset:1184
	ds_read_b128 v[212:215], v1 offset:1200
	ds_read_b128 v[220:223], v1 offset:1216
	ds_read_b128 v[54:57], v1 offset:1232
	buffer_load_dword v119, off, s[0:3], 0 offset:340
	buffer_load_dword v118, off, s[0:3], 0 offset:336
	ds_read_b128 v[62:65], v1 offset:1248
	buffer_load_dword v101, off, s[0:3], 0 offset:396
	buffer_load_dword v100, off, s[0:3], 0 offset:392
	;; [unrolled: 1-line block ×6, first 2 shown]
	s_waitcnt vmcnt(46) lgkmcnt(10)
	v_mul_f64 v[2:3], v[114:115], v[176:177]
	v_fmac_f64_e32 v[2:3], v[116:117], v[60:61]
	v_add_f64 v[2:3], v[2:3], 0
	s_waitcnt vmcnt(42) lgkmcnt(9)
	v_mul_f64 v[4:5], v[182:183], v[58:59]
	v_fmac_f64_e32 v[4:5], v[184:185], v[50:51]
	v_add_f64 v[2:3], v[2:3], v[4:5]
	buffer_load_dword v249, off, s[0:3], 0 offset:372
	buffer_load_dword v248, off, s[0:3], 0 offset:368
	;; [unrolled: 1-line block ×20, first 2 shown]
	s_waitcnt vmcnt(60) lgkmcnt(8)
	v_mul_f64 v[6:7], v[186:187], v[52:53]
	s_waitcnt vmcnt(58) lgkmcnt(6)
	v_mul_f64 v[10:11], v[200:201], v[68:69]
	s_waitcnt vmcnt(56)
	v_fmac_f64_e32 v[10:11], v[202:203], v[70:71]
	v_mul_f64 v[58:59], v[184:185], v[58:59]
	s_waitcnt vmcnt(54)
	v_mul_f64 v[8:9], v[194:195], v[72:73]
	v_fma_f64 v[216:217], v[182:183], v[50:51], -v[58:59]
	s_waitcnt vmcnt(52) lgkmcnt(4)
	v_mul_f64 v[14:15], v[208:209], v[74:75]
	v_mul_f64 v[50:51], v[188:189], v[52:53]
	s_waitcnt vmcnt(50)
	v_fmac_f64_e32 v[14:15], v[210:211], v[76:77]
	s_waitcnt vmcnt(48)
	v_mul_f64 v[12:13], v[204:205], v[78:79]
	s_waitcnt vmcnt(46) lgkmcnt(2)
	v_mul_f64 v[18:19], v[220:221], v[82:83]
	s_waitcnt vmcnt(43)
	v_mul_f64 v[16:17], v[212:213], v[86:87]
	s_waitcnt vmcnt(41) lgkmcnt(1)
	v_mul_f64 v[20:21], v[54:55], v[80:81]
	s_waitcnt vmcnt(39)
	v_fmac_f64_e32 v[6:7], v[188:189], v[96:97]
	v_add_f64 v[2:3], v[2:3], v[6:7]
	s_waitcnt vmcnt(37)
	v_fmac_f64_e32 v[8:9], v[196:197], v[92:93]
	v_add_f64 v[2:3], v[2:3], v[8:9]
	;; [unrolled: 3-line block ×3, first 2 shown]
	v_add_f64 v[2:3], v[2:3], v[12:13]
	s_waitcnt vmcnt(33)
	v_fmac_f64_e32 v[16:17], v[214:215], v[88:89]
	v_add_f64 v[2:3], v[2:3], v[14:15]
	s_waitcnt vmcnt(32)
	v_fmac_f64_e32 v[18:19], v[222:223], v[84:85]
	v_add_f64 v[2:3], v[2:3], v[16:17]
	v_add_f64 v[2:3], v[2:3], v[18:19]
	v_fma_f64 v[96:97], v[186:187], v[96:97], -v[50:51]
	s_waitcnt vmcnt(26)
	v_fmac_f64_e32 v[20:21], v[56:57], v[118:119]
	v_add_f64 v[2:3], v[2:3], v[20:21]
	v_mul_f64 v[50:51], v[196:197], v[72:73]
	v_mul_f64 v[56:57], v[56:57], v[80:81]
	v_fma_f64 v[118:119], v[54:55], v[118:119], -v[56:57]
	s_waitcnt vmcnt(0)
	v_pk_mov_b32 v[18:19], v[4:5], v[4:5] op_sel:[0,1]
	buffer_load_dword v5, off, s[0:3], 0 offset:484
	buffer_load_dword v4, off, s[0:3], 0 offset:480
	v_accvgpr_write_b32 a175, v19
	v_accvgpr_write_b32 a174, v18
	s_waitcnt vmcnt(0)
	v_pk_mov_b32 v[22:23], v[4:5], v[4:5] op_sel:[0,1]
	buffer_load_dword v5, off, s[0:3], 0 offset:476
	buffer_load_dword v4, off, s[0:3], 0 offset:472
	v_accvgpr_write_b32 a177, v23
	v_accvgpr_write_b32 a176, v22
	s_waitcnt vmcnt(0)
	v_pk_mov_b32 v[14:15], v[4:5], v[4:5] op_sel:[0,1]
	buffer_load_dword v141, off, s[0:3], 0 offset:468
	buffer_load_dword v140, off, s[0:3], 0 offset:464
	buffer_load_dword v5, off, s[0:3], 0 offset:524
	buffer_load_dword v4, off, s[0:3], 0 offset:520
	v_accvgpr_write_b32 a173, v15
	v_accvgpr_write_b32 a172, v14
	s_waitcnt vmcnt(0)
	v_pk_mov_b32 v[26:27], v[4:5], v[4:5] op_sel:[0,1]
	buffer_load_dword v5, off, s[0:3], 0 offset:516
	buffer_load_dword v4, off, s[0:3], 0 offset:512
	v_accvgpr_write_b32 a179, v27
	v_accvgpr_write_b32 a178, v26
	s_waitcnt vmcnt(0)
	v_pk_mov_b32 v[28:29], v[4:5], v[4:5] op_sel:[0,1]
	buffer_load_dword v145, off, s[0:3], 0 offset:508
	buffer_load_dword v144, off, s[0:3], 0 offset:504
	buffer_load_dword v149, off, s[0:3], 0 offset:500
	buffer_load_dword v148, off, s[0:3], 0 offset:496
	buffer_load_dword v5, off, s[0:3], 0 offset:556
	buffer_load_dword v4, off, s[0:3], 0 offset:552
	v_accvgpr_write_b32 a181, v29
	v_accvgpr_write_b32 a180, v28
	s_waitcnt vmcnt(0)
	v_pk_mov_b32 v[34:35], v[4:5], v[4:5] op_sel:[0,1]
	buffer_load_dword v5, off, s[0:3], 0 offset:548
	buffer_load_dword v4, off, s[0:3], 0 offset:544
	v_accvgpr_write_b32 a183, v35
	v_accvgpr_write_b32 a182, v34
	s_waitcnt vmcnt(0)
	v_pk_mov_b32 v[36:37], v[4:5], v[4:5] op_sel:[0,1]
	buffer_load_dword v153, off, s[0:3], 0 offset:540
	buffer_load_dword v152, off, s[0:3], 0 offset:536
	;; [unrolled: 16-line block ×3, first 2 shown]
	buffer_load_dword v163, off, s[0:3], 0 offset:564
	buffer_load_dword v162, off, s[0:3], 0 offset:560
	;; [unrolled: 1-line block ×26, first 2 shown]
	ds_read_b128 v[224:227], v1 offset:1264
	ds_read_b128 v[228:231], v1 offset:1280
	;; [unrolled: 1-line block ×10, first 2 shown]
	s_waitcnt lgkmcnt(4)
	v_mul_f64 v[8:9], v[244:245], v[106:107]
	v_fmac_f64_e32 v[8:9], v[246:247], v[108:109]
	s_waitcnt lgkmcnt(3)
	v_mul_f64 v[12:13], v[136:137], v[14:15]
	v_fmac_f64_e32 v[12:13], v[138:139], v[140:141]
	;; [unrolled: 3-line block ×4, first 2 shown]
	ds_read_b128 v[120:123], v1 offset:1424
	s_waitcnt lgkmcnt(1)
	v_mul_f64 v[24:25], v[124:125], v[26:27]
	v_fmac_f64_e32 v[24:25], v[126:127], v[28:29]
	v_accvgpr_write_b32 a189, v45
	v_accvgpr_write_b32 a188, v44
	s_waitcnt vmcnt(22)
	v_pk_mov_b32 v[178:179], v[4:5], v[4:5] op_sel:[0,1]
	v_mul_f64 v[4:5], v[62:63], v[94:95]
	v_fmac_f64_e32 v[4:5], v[64:65], v[98:99]
	v_add_f64 v[2:3], v[2:3], v[4:5]
	v_mul_f64 v[4:5], v[224:225], v[104:105]
	v_fmac_f64_e32 v[4:5], v[226:227], v[248:249]
	v_add_f64 v[2:3], v[2:3], v[4:5]
	;; [unrolled: 3-line block ×6, first 2 shown]
	v_add_f64 v[10:11], v[6:7], v[8:9]
	v_add_f64 v[14:15], v[10:11], v[12:13]
	;; [unrolled: 1-line block ×5, first 2 shown]
	ds_read_b128 v[22:25], v1 offset:1440
	s_waitcnt lgkmcnt(1)
	v_mul_f64 v[28:29], v[120:121], v[152:153]
	v_fmac_f64_e32 v[28:29], v[122:123], v[156:157]
	v_add_f64 v[30:31], v[26:27], v[28:29]
	ds_read_b128 v[26:29], v1 offset:1456
	s_waitcnt lgkmcnt(1)
	v_mul_f64 v[32:33], v[22:23], v[34:35]
	v_fmac_f64_e32 v[32:33], v[24:25], v[36:37]
	v_add_f64 v[34:35], v[30:31], v[32:33]
	;; [unrolled: 5-line block ×4, first 2 shown]
	ds_read_b128 v[38:41], v1 offset:1504
	ds_read_b128 v[42:45], v1 offset:1520
	s_waitcnt vmcnt(18) lgkmcnt(2)
	v_mul_f64 v[48:49], v[34:35], v[164:165]
	s_waitcnt vmcnt(16)
	v_fmac_f64_e32 v[48:49], v[36:37], v[166:167]
	v_add_f64 v[46:47], v[46:47], v[48:49]
	s_waitcnt lgkmcnt(1)
	v_mul_f64 v[48:49], v[38:39], v[178:179]
	v_fmac_f64_e32 v[48:49], v[40:41], v[142:143]
	v_add_f64 v[46:47], v[46:47], v[48:49]
	s_waitcnt vmcnt(10) lgkmcnt(0)
	v_mul_f64 v[48:49], v[42:43], v[168:169]
	v_accvgpr_write_b32 a191, v179
	s_waitcnt vmcnt(8)
	v_fmac_f64_e32 v[48:49], v[44:45], v[170:171]
	v_accvgpr_write_b32 a190, v178
	v_add_f64 v[2:3], v[46:47], v[48:49]
	ds_read_b128 v[46:49], v1 offset:1536
	v_mul_f64 v[4:5], v[116:117], v[176:177]
	buffer_load_dword v177, off, s[0:3], 0 offset:700
	buffer_load_dword v176, off, s[0:3], 0 offset:696
	;; [unrolled: 1-line block ×16, first 2 shown]
	v_fma_f64 v[14:15], v[194:195], v[92:93], -v[50:51]
	buffer_load_dword v184, off, s[0:3], 0 offset:776
	buffer_load_dword v197, off, s[0:3], 0 offset:764
	;; [unrolled: 1-line block ×8, first 2 shown]
	v_mul_f64 v[8:9], v[202:203], v[68:69]
	v_fma_f64 v[10:11], v[200:201], v[70:71], -v[8:9]
	buffer_load_dword v201, off, s[0:3], 0 offset:796
	buffer_load_dword v200, off, s[0:3], 0 offset:792
	;; [unrolled: 1-line block ×4, first 2 shown]
	v_mul_f64 v[12:13], v[210:211], v[74:75]
	v_mul_f64 v[50:51], v[206:207], v[78:79]
	v_fma_f64 v[12:13], v[208:209], v[76:77], -v[12:13]
	buffer_load_dword v206, off, s[0:3], 0 offset:808
	buffer_load_dword v208, off, s[0:3], 0 offset:800
	;; [unrolled: 1-line block ×4, first 2 shown]
	v_fma_f64 v[8:9], v[204:205], v[90:91], -v[50:51]
	v_mul_f64 v[50:51], v[214:215], v[86:87]
	v_fma_f64 v[6:7], v[212:213], v[88:89], -v[50:51]
	buffer_load_dword v205, off, s[0:3], 0 offset:844
	buffer_load_dword v211, off, s[0:3], 0 offset:828
	;; [unrolled: 1-line block ×12, first 2 shown]
	v_mul_f64 v[16:17], v[222:223], v[82:83]
	ds_read_b128 v[50:53], v1 offset:1552
	v_fma_f64 v[16:17], v[220:221], v[84:85], -v[16:17]
	buffer_load_dword v220, off, s[0:3], 0 offset:872
	buffer_load_dword v222, off, s[0:3], 0 offset:864
	;; [unrolled: 1-line block ×4, first 2 shown]
	ds_read_b128 v[54:57], v1 offset:1568
	s_waitcnt lgkmcnt(2)
	v_mul_f64 v[58:59], v[46:47], v[146:147]
	v_fmac_f64_e32 v[58:59], v[48:49], v[150:151]
	v_add_f64 v[2:3], v[2:3], v[58:59]
	s_waitcnt vmcnt(50) lgkmcnt(1)
	v_mul_f64 v[58:59], v[50:51], v[172:173]
	s_waitcnt vmcnt(48)
	v_fmac_f64_e32 v[58:59], v[52:53], v[174:175]
	v_mul_f64 v[64:65], v[64:65], v[94:95]
	v_add_f64 v[2:3], v[2:3], v[58:59]
	v_fma_f64 v[94:95], v[62:63], v[98:99], -v[64:65]
	ds_read_b128 v[62:65], v1 offset:1600
	s_waitcnt lgkmcnt(1)
	v_mul_f64 v[58:59], v[54:55], v[154:155]
	v_fmac_f64_e32 v[58:59], v[56:57], v[158:159]
	v_fma_f64 v[18:19], v[114:115], v[60:61], -v[4:5]
	v_add_f64 v[2:3], v[2:3], v[58:59]
	ds_read_b128 v[58:61], v1 offset:1584
	v_mul_f64 v[74:75], v[230:231], v[100:101]
	v_fma_f64 v[4:5], v[228:229], v[102:103], -v[74:75]
	ds_read_b128 v[74:77], v1 offset:1648
	v_mul_f64 v[78:79], v[234:235], v[250:251]
	v_fma_f64 v[250:251], v[232:233], v[252:253], -v[78:79]
	ds_read_b128 v[78:81], v1 offset:1664
	ds_read_b128 v[82:85], v1 offset:1680
	ds_read_b128 v[86:89], v1 offset:1696
	ds_read_b128 v[228:231], v1 offset:1728
	v_add_f64 v[18:19], v[18:19], 0
	v_add_f64 v[18:19], v[18:19], v[216:217]
	;; [unrolled: 1-line block ×11, first 2 shown]
	s_waitcnt vmcnt(46) lgkmcnt(5)
	v_mul_f64 v[70:71], v[58:59], v[176:177]
	s_waitcnt vmcnt(44)
	v_fmac_f64_e32 v[70:71], v[60:61], v[180:181]
	v_add_f64 v[2:3], v[2:3], v[70:71]
	v_mul_f64 v[70:71], v[226:227], v[104:105]
	v_fma_f64 v[248:249], v[224:225], v[248:249], -v[70:71]
	ds_read_b128 v[224:227], v1 offset:1616
	s_waitcnt vmcnt(41)
	v_mul_f64 v[70:71], v[62:63], v[178:179]
	s_waitcnt vmcnt(40)
	v_fmac_f64_e32 v[70:71], v[64:65], v[182:183]
	v_add_f64 v[2:3], v[2:3], v[70:71]
	ds_read_b128 v[70:73], v1 offset:1632
	s_waitcnt vmcnt(38) lgkmcnt(1)
	v_mul_f64 v[20:21], v[224:225], v[186:187]
	s_waitcnt vmcnt(36)
	v_fmac_f64_e32 v[20:21], v[226:227], v[190:191]
	v_add_f64 v[2:3], v[2:3], v[20:21]
	s_waitcnt vmcnt(22)
	v_mul_f64 v[90:91], v[82:83], v[200:201]
	s_waitcnt lgkmcnt(0)
	v_mul_f64 v[20:21], v[70:71], v[188:189]
	v_fmac_f64_e32 v[20:21], v[72:73], v[192:193]
	v_add_f64 v[2:3], v[2:3], v[20:21]
	v_mul_f64 v[20:21], v[74:75], v[196:197]
	v_fmac_f64_e32 v[20:21], v[76:77], v[198:199]
	v_add_f64 v[2:3], v[2:3], v[20:21]
	;; [unrolled: 3-line block ×3, first 2 shown]
	s_waitcnt vmcnt(20)
	v_fmac_f64_e32 v[90:91], v[84:85], v[202:203]
	v_add_f64 v[98:99], v[2:3], v[90:91]
	v_mul_f64 v[2:3], v[242:243], v[254:255]
	ds_read_b128 v[90:93], v1 offset:1712
	v_fma_f64 v[2:3], v[240:241], v[66:67], -v[2:3]
	s_waitcnt vmcnt(17)
	v_mul_f64 v[66:67], v[86:87], v[206:207]
	s_waitcnt vmcnt(16)
	v_fmac_f64_e32 v[66:67], v[88:89], v[208:209]
	v_add_f64 v[66:67], v[98:99], v[66:67]
	v_mul_f64 v[98:99], v[246:247], v[106:107]
	v_fma_f64 v[252:253], v[244:245], v[108:109], -v[98:99]
	ds_read_b128 v[98:101], v1 offset:1744
	s_waitcnt vmcnt(13) lgkmcnt(1)
	v_mul_f64 v[102:103], v[90:91], v[210:211]
	s_waitcnt vmcnt(11)
	v_fmac_f64_e32 v[102:103], v[92:93], v[68:69]
	v_add_f64 v[66:67], v[66:67], v[102:103]
	s_waitcnt vmcnt(10)
	v_mul_f64 v[102:103], v[228:229], v[204:205]
	s_waitcnt vmcnt(8)
	v_fmac_f64_e32 v[102:103], v[230:231], v[214:215]
	v_add_f64 v[66:67], v[66:67], v[102:103]
	s_waitcnt vmcnt(6) lgkmcnt(0)
	v_mul_f64 v[102:103], v[98:99], v[212:213]
	s_waitcnt vmcnt(4)
	v_fmac_f64_e32 v[102:103], v[100:101], v[218:219]
	v_add_f64 v[66:67], v[66:67], v[102:103]
	ds_read_b128 v[102:105], v1 offset:1760
	buffer_load_dword v233, off, s[0:3], 0 offset:892
	buffer_load_dword v232, off, s[0:3], 0 offset:888
	;; [unrolled: 1-line block ×4, first 2 shown]
	v_mul_f64 v[20:21], v[238:239], v[110:111]
	v_fma_f64 v[20:21], v[236:237], v[112:113], -v[20:21]
	v_add_f64 v[6:7], v[6:7], v[248:249]
	s_waitcnt vmcnt(5) lgkmcnt(0)
	v_mul_f64 v[106:107], v[102:103], v[220:221]
	s_waitcnt vmcnt(4)
	v_fmac_f64_e32 v[106:107], v[104:105], v[222:223]
	v_add_f64 v[66:67], v[66:67], v[106:107]
	ds_read_b128 v[106:109], v1 offset:1776
	buffer_load_dword v236, off, s[0:3], 0 offset:904
	buffer_load_dword v237, off, s[0:3], 0 offset:908
	buffer_load_dword v238, off, s[0:3], 0 offset:896
	buffer_load_dword v239, off, s[0:3], 0 offset:900
	v_add_f64 v[4:5], v[6:7], v[4:5]
	v_add_f64 v[4:5], v[4:5], v[250:251]
	v_add_f64 v[254:255], v[4:5], v[20:21]
	v_add_f64 v[2:3], v[254:255], v[2:3]
	v_add_f64 v[2:3], v[2:3], v[252:253]
	s_waitcnt vmcnt(6) lgkmcnt(0)
	v_mul_f64 v[110:111], v[106:107], v[232:233]
	s_waitcnt vmcnt(4)
	v_fmac_f64_e32 v[110:111], v[108:109], v[234:235]
	v_add_f64 v[66:67], v[66:67], v[110:111]
	ds_read_b128 v[110:113], v1 offset:1792
	buffer_load_dword v243, off, s[0:3], 0 offset:924
	buffer_load_dword v242, off, s[0:3], 0 offset:920
	;; [unrolled: 1-line block ×4, first 2 shown]
	s_waitcnt vmcnt(6) lgkmcnt(0)
	v_mul_f64 v[114:115], v[110:111], v[236:237]
	s_waitcnt vmcnt(4)
	v_fmac_f64_e32 v[114:115], v[112:113], v[238:239]
	v_add_f64 v[66:67], v[66:67], v[114:115]
	ds_read_b128 v[114:117], v1 offset:1808
	buffer_load_dword v248, off, s[0:3], 0 offset:176
	buffer_load_dword v249, off, s[0:3], 0 offset:180
	;; [unrolled: 1-line block ×4, first 2 shown]
	v_accvgpr_read_b32 v0, a172
	v_accvgpr_read_b32 v1, a173
	v_mul_f64 v[4:5], v[138:139], v[0:1]
	v_accvgpr_read_b32 v0, a174
	v_fma_f64 v[4:5], v[136:137], v[140:141], -v[4:5]
	v_accvgpr_read_b32 v1, a175
	v_add_f64 v[2:3], v[2:3], v[4:5]
	v_mul_f64 v[4:5], v[134:135], v[0:1]
	v_accvgpr_read_b32 v0, a176
	v_accvgpr_read_b32 v1, a177
	v_fma_f64 v[4:5], v[132:133], v[0:1], -v[4:5]
	v_add_f64 v[2:3], v[2:3], v[4:5]
	v_mul_f64 v[4:5], v[130:131], v[144:145]
	v_accvgpr_read_b32 v0, a178
	v_fma_f64 v[4:5], v[128:129], v[148:149], -v[4:5]
	v_accvgpr_read_b32 v1, a179
	v_add_f64 v[2:3], v[2:3], v[4:5]
	v_mul_f64 v[4:5], v[126:127], v[0:1]
	v_accvgpr_read_b32 v0, a180
	v_accvgpr_read_b32 v1, a181
	v_fma_f64 v[4:5], v[124:125], v[0:1], -v[4:5]
	v_add_f64 v[2:3], v[2:3], v[4:5]
	;; [unrolled: 10-line block ×4, first 2 shown]
	v_mul_f64 v[4:5], v[36:37], v[164:165]
	v_accvgpr_read_b32 v0, a190
	v_fma_f64 v[4:5], v[34:35], v[166:167], -v[4:5]
	v_accvgpr_read_b32 v1, a191
	v_add_f64 v[2:3], v[2:3], v[4:5]
	v_mul_f64 v[4:5], v[40:41], v[0:1]
	v_fma_f64 v[4:5], v[38:39], v[142:143], -v[4:5]
	v_add_f64 v[2:3], v[2:3], v[4:5]
	v_mul_f64 v[4:5], v[44:45], v[168:169]
	v_fma_f64 v[4:5], v[42:43], v[170:171], -v[4:5]
	;; [unrolled: 3-line block ×19, first 2 shown]
	v_add_f64 v[2:3], v[2:3], v[4:5]
	s_waitcnt vmcnt(6) lgkmcnt(0)
	v_mul_f64 v[4:5], v[116:117], v[242:243]
	v_mul_f64 v[240:241], v[114:115], v[242:243]
	s_waitcnt vmcnt(4)
	v_fma_f64 v[4:5], v[114:115], v[244:245], -v[4:5]
	v_fmac_f64_e32 v[240:241], v[116:117], v[244:245]
	v_add_f64 v[2:3], v[2:3], v[4:5]
	v_accvgpr_read_b32 v0, a170
	v_add_f64 v[240:241], v[66:67], v[240:241]
	s_waitcnt vmcnt(2)
	v_add_f64 v[2:3], v[248:249], -v[2:3]
	v_cmp_lt_u32_e32 vcc, 9, v0
	s_waitcnt vmcnt(0)
	v_add_f64 v[4:5], v[246:247], -v[240:241]
	buffer_store_dword v3, off, s[0:3], 0 offset:180
	buffer_store_dword v2, off, s[0:3], 0 offset:176
	;; [unrolled: 1-line block ×4, first 2 shown]
	s_and_saveexec_b64 s[4:5], vcc
	s_cbranch_execz .LBB120_337
; %bb.336:
	v_accvgpr_read_b32 v0, a161
	buffer_load_dword v2, v0, s[0:3], 0 offen
	buffer_load_dword v3, v0, s[0:3], 0 offen offset:4
	buffer_load_dword v4, v0, s[0:3], 0 offen offset:8
	;; [unrolled: 1-line block ×3, first 2 shown]
	v_mov_b32_e32 v0, 0
	v_accvgpr_read_b32 v1, a171
	buffer_store_dword v0, off, s[0:3], 0 offset:160
	buffer_store_dword v0, off, s[0:3], 0 offset:164
	;; [unrolled: 1-line block ×4, first 2 shown]
	s_waitcnt vmcnt(4)
	ds_write_b128 v1, v[2:5]
.LBB120_337:
	s_or_b64 exec, exec, s[4:5]
	s_waitcnt lgkmcnt(0)
	; wave barrier
	s_waitcnt lgkmcnt(0)
	buffer_load_dword v48, off, s[0:3], 0 offset:176
	buffer_load_dword v49, off, s[0:3], 0 offset:180
	;; [unrolled: 1-line block ×42, first 2 shown]
	v_mov_b32_e32 v1, 0
	buffer_load_dword v99, off, s[0:3], 0 offset:324
	buffer_load_dword v98, off, s[0:3], 0 offset:320
	;; [unrolled: 1-line block ×7, first 2 shown]
	ds_read_b128 v[112:115], v1 offset:1072
	ds_read_b128 v[116:119], v1 offset:1088
	;; [unrolled: 1-line block ×11, first 2 shown]
	v_accvgpr_read_b32 v0, a170
	v_cmp_lt_u32_e32 vcc, 8, v0
	s_waitcnt vmcnt(45) lgkmcnt(10)
	v_mul_f64 v[2:3], v[112:113], v[52:53]
	v_fmac_f64_e32 v[2:3], v[114:115], v[48:49]
	v_add_f64 v[2:3], v[2:3], 0
	s_waitcnt vmcnt(41) lgkmcnt(9)
	v_mul_f64 v[4:5], v[116:117], v[54:55]
	v_fmac_f64_e32 v[4:5], v[118:119], v[50:51]
	v_add_f64 v[2:3], v[2:3], v[4:5]
	buffer_load_dword v96, off, s[0:3], 0 offset:360
	buffer_load_dword v253, off, s[0:3], 0 offset:356
	;; [unrolled: 1-line block ×21, first 2 shown]
	s_waitcnt vmcnt(60) lgkmcnt(8)
	v_mul_f64 v[6:7], v[180:181], v[46:47]
	s_waitcnt vmcnt(58) lgkmcnt(6)
	v_mul_f64 v[10:11], v[190:191], v[188:189]
	s_waitcnt vmcnt(56)
	v_fmac_f64_e32 v[10:11], v[192:193], v[56:57]
	v_mul_f64 v[46:47], v[182:183], v[46:47]
	s_waitcnt vmcnt(54)
	v_mul_f64 v[8:9], v[184:185], v[64:65]
	s_waitcnt vmcnt(52) lgkmcnt(4)
	v_mul_f64 v[14:15], v[200:201], v[66:67]
	s_waitcnt vmcnt(50)
	v_fmac_f64_e32 v[14:15], v[202:203], v[68:69]
	s_waitcnt vmcnt(48)
	v_mul_f64 v[12:13], v[196:197], v[70:71]
	s_waitcnt vmcnt(46) lgkmcnt(2)
	v_mul_f64 v[18:19], v[214:215], v[76:77]
	s_waitcnt vmcnt(43)
	v_mul_f64 v[16:17], v[204:205], v[78:79]
	s_waitcnt vmcnt(41) lgkmcnt(1)
	v_mul_f64 v[20:21], v[220:221], v[72:73]
	s_waitcnt vmcnt(39)
	v_fmac_f64_e32 v[6:7], v[182:183], v[90:91]
	v_add_f64 v[2:3], v[2:3], v[6:7]
	s_waitcnt vmcnt(37)
	v_fmac_f64_e32 v[8:9], v[186:187], v[88:89]
	v_add_f64 v[2:3], v[2:3], v[8:9]
	;; [unrolled: 3-line block ×3, first 2 shown]
	v_add_f64 v[2:3], v[2:3], v[12:13]
	v_add_f64 v[2:3], v[2:3], v[14:15]
	s_waitcnt vmcnt(33)
	v_fmac_f64_e32 v[16:17], v[206:207], v[80:81]
	v_add_f64 v[2:3], v[2:3], v[16:17]
	s_waitcnt vmcnt(32)
	v_fmac_f64_e32 v[18:19], v[216:217], v[74:75]
	;; [unrolled: 3-line block ×3, first 2 shown]
	v_add_f64 v[2:3], v[2:3], v[20:21]
	s_waitcnt vmcnt(0)
	v_pk_mov_b32 v[14:15], v[4:5], v[4:5] op_sel:[0,1]
	buffer_load_dword v5, off, s[0:3], 0 offset:468
	buffer_load_dword v4, off, s[0:3], 0 offset:464
	v_accvgpr_write_b32 a173, v15
	v_accvgpr_write_b32 a172, v14
	s_waitcnt vmcnt(0)
	v_pk_mov_b32 v[16:17], v[4:5], v[4:5] op_sel:[0,1]
	buffer_load_dword v105, off, s[0:3], 0 offset:460
	buffer_load_dword v104, off, s[0:3], 0 offset:456
	buffer_load_dword v107, off, s[0:3], 0 offset:452
	buffer_load_dword v106, off, s[0:3], 0 offset:448
	buffer_load_dword v5, off, s[0:3], 0 offset:508
	buffer_load_dword v4, off, s[0:3], 0 offset:504
	v_accvgpr_write_b32 a175, v17
	v_accvgpr_write_b32 a174, v16
	s_waitcnt vmcnt(0)
	v_pk_mov_b32 v[22:23], v[4:5], v[4:5] op_sel:[0,1]
	buffer_load_dword v5, off, s[0:3], 0 offset:500
	buffer_load_dword v4, off, s[0:3], 0 offset:496
	v_accvgpr_write_b32 a177, v23
	v_accvgpr_write_b32 a176, v22
	s_waitcnt vmcnt(0)
	v_pk_mov_b32 v[24:25], v[4:5], v[4:5] op_sel:[0,1]
	buffer_load_dword v141, off, s[0:3], 0 offset:492
	buffer_load_dword v140, off, s[0:3], 0 offset:488
	buffer_load_dword v145, off, s[0:3], 0 offset:484
	buffer_load_dword v144, off, s[0:3], 0 offset:480
	buffer_load_dword v5, off, s[0:3], 0 offset:540
	buffer_load_dword v4, off, s[0:3], 0 offset:536
	v_accvgpr_write_b32 a179, v25
	v_accvgpr_write_b32 a178, v24
	;; [unrolled: 16-line block ×4, first 2 shown]
	s_waitcnt vmcnt(0)
	v_pk_mov_b32 v[174:175], v[4:5], v[4:5] op_sel:[0,1]
	buffer_load_dword v5, off, s[0:3], 0 offset:596
	buffer_load_dword v4, off, s[0:3], 0 offset:592
	;; [unrolled: 1-line block ×22, first 2 shown]
	ds_read_b128 v[224:227], v1 offset:1248
	ds_read_b128 v[228:231], v1 offset:1264
	;; [unrolled: 1-line block ×12, first 2 shown]
	s_waitcnt lgkmcnt(5)
	v_mul_f64 v[8:9], v[248:249], v[104:105]
	v_fmac_f64_e32 v[8:9], v[250:251], v[106:107]
	s_waitcnt lgkmcnt(4)
	v_mul_f64 v[12:13], v[136:137], v[14:15]
	v_fmac_f64_e32 v[12:13], v[138:139], v[16:17]
	;; [unrolled: 3-line block ×6, first 2 shown]
	v_accvgpr_write_b32 a189, v175
	v_accvgpr_write_b32 a188, v174
	s_waitcnt vmcnt(20)
	v_pk_mov_b32 v[176:177], v[4:5], v[4:5] op_sel:[0,1]
	v_mul_f64 v[4:5], v[58:59], v[84:85]
	v_fmac_f64_e32 v[4:5], v[60:61], v[86:87]
	v_add_f64 v[2:3], v[2:3], v[4:5]
	v_mul_f64 v[4:5], v[224:225], v[96:97]
	v_fmac_f64_e32 v[4:5], v[226:227], v[252:253]
	v_add_f64 v[2:3], v[2:3], v[4:5]
	;; [unrolled: 3-line block ×7, first 2 shown]
	v_add_f64 v[10:11], v[6:7], v[8:9]
	v_add_f64 v[14:15], v[10:11], v[12:13]
	;; [unrolled: 1-line block ×5, first 2 shown]
	ds_read_b128 v[22:25], v1 offset:1440
	v_add_f64 v[30:31], v[26:27], v[28:29]
	ds_read_b128 v[26:29], v1 offset:1456
	v_accvgpr_write_b32 a191, v177
	v_mul_f64 v[4:5], v[114:115], v[52:53]
	s_waitcnt lgkmcnt(1)
	v_mul_f64 v[32:33], v[22:23], v[156:157]
	v_fmac_f64_e32 v[32:33], v[24:25], v[158:159]
	s_waitcnt lgkmcnt(0)
	v_mul_f64 v[36:37], v[26:27], v[38:39]
	v_add_f64 v[34:35], v[30:31], v[32:33]
	ds_read_b128 v[30:33], v1 offset:1472
	v_fmac_f64_e32 v[36:37], v[28:29], v[40:41]
	v_add_f64 v[38:39], v[34:35], v[36:37]
	ds_read_b128 v[34:37], v1 offset:1488
	v_accvgpr_write_b32 a190, v176
	s_waitcnt vmcnt(18) lgkmcnt(1)
	v_mul_f64 v[40:41], v[30:31], v[160:161]
	s_waitcnt vmcnt(16)
	v_fmac_f64_e32 v[40:41], v[32:33], v[162:163]
	v_add_f64 v[42:43], v[38:39], v[40:41]
	s_waitcnt lgkmcnt(0)
	v_mul_f64 v[44:45], v[34:35], v[174:175]
	v_fmac_f64_e32 v[44:45], v[36:37], v[176:177]
	ds_read_b128 v[38:41], v1 offset:1504
	v_add_f64 v[2:3], v[42:43], v[44:45]
	ds_read_b128 v[42:45], v1 offset:1520
	v_fma_f64 v[18:19], v[112:113], v[48:49], -v[4:5]
	v_mul_f64 v[48:49], v[118:119], v[54:55]
	buffer_load_dword v119, off, s[0:3], 0 offset:684
	buffer_load_dword v118, off, s[0:3], 0 offset:680
	buffer_load_dword v179, off, s[0:3], 0 offset:676
	buffer_load_dword v178, off, s[0:3], 0 offset:672
	buffer_load_dword v174, off, s[0:3], 0 offset:696
	buffer_load_dword v176, off, s[0:3], 0 offset:688
	buffer_load_dword v175, off, s[0:3], 0 offset:700
	buffer_load_dword v177, off, s[0:3], 0 offset:692
	v_mul_f64 v[8:9], v[186:187], v[64:65]
	v_fma_f64 v[14:15], v[180:181], v[90:91], -v[46:47]
	v_fma_f64 v[10:11], v[184:185], v[88:89], -v[8:9]
	buffer_load_dword v181, off, s[0:3], 0 offset:732
	buffer_load_dword v185, off, s[0:3], 0 offset:716
	;; [unrolled: 1-line block ×6, first 2 shown]
	v_mul_f64 v[46:47], v[192:193], v[188:189]
	buffer_load_dword v189, off, s[0:3], 0 offset:724
	buffer_load_dword v188, off, s[0:3], 0 offset:720
	v_fma_f64 v[8:9], v[190:191], v[56:57], -v[46:47]
	buffer_load_dword v182, off, s[0:3], 0 offset:760
	buffer_load_dword v193, off, s[0:3], 0 offset:748
	;; [unrolled: 1-line block ×8, first 2 shown]
	v_mul_f64 v[12:13], v[198:199], v[70:71]
	v_fma_f64 v[112:113], v[116:117], v[50:51], -v[48:49]
	ds_read_b128 v[46:49], v1 offset:1536
	v_fma_f64 v[12:13], v[196:197], v[82:83], -v[12:13]
	buffer_load_dword v197, off, s[0:3], 0 offset:780
	buffer_load_dword v196, off, s[0:3], 0 offset:776
	;; [unrolled: 1-line block ×4, first 2 shown]
	v_mul_f64 v[50:51], v[202:203], v[66:67]
	v_fma_f64 v[6:7], v[200:201], v[68:69], -v[50:51]
	buffer_load_dword v200, off, s[0:3], 0 offset:792
	buffer_load_dword v202, off, s[0:3], 0 offset:784
	;; [unrolled: 1-line block ×4, first 2 shown]
	v_mul_f64 v[16:17], v[206:207], v[78:79]
	buffer_load_dword v207, off, s[0:3], 0 offset:812
	buffer_load_dword v206, off, s[0:3], 0 offset:808
	;; [unrolled: 1-line block ×8, first 2 shown]
	v_mul_f64 v[50:51], v[216:217], v[76:77]
	v_fma_f64 v[16:17], v[204:205], v[80:81], -v[16:17]
	v_fma_f64 v[4:5], v[214:215], v[74:75], -v[50:51]
	buffer_load_dword v204, off, s[0:3], 0 offset:856
	buffer_load_dword v217, off, s[0:3], 0 offset:844
	;; [unrolled: 1-line block ×8, first 2 shown]
	s_waitcnt vmcnt(58) lgkmcnt(2)
	v_mul_f64 v[52:53], v[38:39], v[164:165]
	s_waitcnt vmcnt(56)
	v_fmac_f64_e32 v[52:53], v[40:41], v[166:167]
	v_mul_f64 v[50:51], v[222:223], v[72:73]
	v_add_f64 v[2:3], v[2:3], v[52:53]
	v_fma_f64 v[220:221], v[220:221], v[98:99], -v[50:51]
	ds_read_b128 v[50:53], v1 offset:1552
	ds_read_b128 v[54:57], v1 offset:1568
	s_waitcnt lgkmcnt(3)
	v_mul_f64 v[20:21], v[42:43], v[142:143]
	v_fmac_f64_e32 v[20:21], v[44:45], v[146:147]
	v_add_f64 v[2:3], v[2:3], v[20:21]
	s_waitcnt vmcnt(50) lgkmcnt(2)
	v_mul_f64 v[20:21], v[46:47], v[168:169]
	s_waitcnt vmcnt(48)
	v_fmac_f64_e32 v[20:21], v[48:49], v[170:171]
	v_add_f64 v[2:3], v[2:3], v[20:21]
	s_waitcnt lgkmcnt(1)
	v_mul_f64 v[20:21], v[50:51], v[150:151]
	v_fmac_f64_e32 v[20:21], v[52:53], v[154:155]
	v_add_f64 v[2:3], v[2:3], v[20:21]
	v_mul_f64 v[20:21], v[60:61], v[84:85]
	v_fma_f64 v[20:21], v[58:59], v[86:87], -v[20:21]
	ds_read_b128 v[58:61], v1 offset:1584
	v_mul_f64 v[70:71], v[230:231], v[92:93]
	v_fma_f64 v[222:223], v[228:229], v[94:95], -v[70:71]
	v_mul_f64 v[82:83], v[238:239], v[108:109]
	v_fma_f64 v[110:111], v[236:237], v[110:111], -v[82:83]
	;; [unrolled: 2-line block ×4, first 2 shown]
	v_add_f64 v[18:19], v[18:19], 0
	v_add_f64 v[18:19], v[18:19], v[112:113]
	ds_read_b128 v[70:73], v1 offset:1632
	v_add_f64 v[14:15], v[18:19], v[14:15]
	v_add_f64 v[10:11], v[14:15], v[10:11]
	;; [unrolled: 1-line block ×4, first 2 shown]
	ds_read_b128 v[82:85], v1 offset:1680
	v_add_f64 v[6:7], v[8:9], v[6:7]
	v_add_f64 v[6:7], v[6:7], v[16:17]
	;; [unrolled: 1-line block ×5, first 2 shown]
	v_accvgpr_read_b32 v6, a172
	ds_read_b128 v[90:93], v1 offset:1712
	v_accvgpr_read_b32 v7, a173
	v_accvgpr_read_b32 v8, a174
	v_mul_f64 v[6:7], v[138:139], v[6:7]
	v_accvgpr_read_b32 v9, a175
	v_fma_f64 v[6:7], v[136:137], v[8:9], -v[6:7]
	v_accvgpr_read_b32 v8, a178
	v_accvgpr_read_b32 v9, a179
	s_waitcnt vmcnt(46) lgkmcnt(4)
	v_mul_f64 v[66:67], v[54:55], v[118:119]
	s_waitcnt vmcnt(44)
	v_fmac_f64_e32 v[66:67], v[56:57], v[178:179]
	v_add_f64 v[2:3], v[2:3], v[66:67]
	v_mul_f64 v[66:67], v[226:227], v[96:97]
	v_fma_f64 v[252:253], v[224:225], v[252:253], -v[66:67]
	ds_read_b128 v[224:227], v1 offset:1600
	s_waitcnt vmcnt(41) lgkmcnt(4)
	v_mul_f64 v[66:67], v[58:59], v[174:175]
	s_waitcnt vmcnt(40)
	v_fmac_f64_e32 v[66:67], v[60:61], v[176:177]
	v_add_f64 v[2:3], v[2:3], v[66:67]
	ds_read_b128 v[66:69], v1 offset:1616
	s_waitcnt vmcnt(37) lgkmcnt(1)
	v_mul_f64 v[74:75], v[224:225], v[184:185]
	s_waitcnt vmcnt(35)
	v_fmac_f64_e32 v[74:75], v[226:227], v[186:187]
	v_add_f64 v[2:3], v[2:3], v[74:75]
	v_mul_f64 v[74:75], v[234:235], v[254:255]
	v_fma_f64 v[172:173], v[232:233], v[172:173], -v[74:75]
	ds_read_b128 v[74:77], v1 offset:1648
	s_waitcnt vmcnt(34) lgkmcnt(1)
	v_mul_f64 v[78:79], v[66:67], v[180:181]
	s_waitcnt vmcnt(32)
	v_fmac_f64_e32 v[78:79], v[68:69], v[188:189]
	v_add_f64 v[2:3], v[2:3], v[78:79]
	s_waitcnt vmcnt(29)
	v_mul_f64 v[78:79], v[70:71], v[192:193]
	s_waitcnt vmcnt(27)
	v_fmac_f64_e32 v[78:79], v[72:73], v[64:65]
	v_add_f64 v[2:3], v[2:3], v[78:79]
	s_waitcnt vmcnt(25) lgkmcnt(0)
	v_mul_f64 v[78:79], v[74:75], v[182:183]
	s_waitcnt vmcnt(24)
	v_fmac_f64_e32 v[78:79], v[76:77], v[190:191]
	v_add_f64 v[2:3], v[2:3], v[78:79]
	ds_read_b128 v[78:81], v1 offset:1664
	s_waitcnt vmcnt(17)
	v_mul_f64 v[62:63], v[82:83], v[200:201]
	s_waitcnt vmcnt(16)
	v_fmac_f64_e32 v[62:63], v[84:85], v[202:203]
	ds_read_b128 v[94:97], v1 offset:1728
	v_add_f64 v[4:5], v[4:5], v[252:253]
	s_waitcnt lgkmcnt(1)
	v_mul_f64 v[86:87], v[78:79], v[196:197]
	v_fmac_f64_e32 v[86:87], v[80:81], v[198:199]
	v_add_f64 v[2:3], v[2:3], v[86:87]
	ds_read_b128 v[86:89], v1 offset:1696
	v_add_f64 v[2:3], v[2:3], v[62:63]
	v_mul_f64 v[62:63], v[246:247], v[100:101]
	v_fma_f64 v[246:247], v[244:245], v[102:103], -v[62:63]
	ds_read_b128 v[98:101], v1 offset:1744
	s_waitcnt vmcnt(14) lgkmcnt(1)
	v_mul_f64 v[62:63], v[86:87], v[206:207]
	s_waitcnt vmcnt(12)
	v_fmac_f64_e32 v[62:63], v[88:89], v[210:211]
	v_add_f64 v[2:3], v[2:3], v[62:63]
	s_waitcnt vmcnt(10)
	v_mul_f64 v[62:63], v[90:91], v[208:209]
	s_waitcnt vmcnt(8)
	v_fmac_f64_e32 v[62:63], v[92:93], v[212:213]
	v_add_f64 v[2:3], v[2:3], v[62:63]
	s_waitcnt vmcnt(5)
	v_mul_f64 v[62:63], v[94:95], v[216:217]
	s_waitcnt vmcnt(3)
	v_fmac_f64_e32 v[62:63], v[96:97], v[218:219]
	v_add_f64 v[2:3], v[2:3], v[62:63]
	s_waitcnt vmcnt(1) lgkmcnt(0)
	v_mul_f64 v[62:63], v[98:99], v[204:205]
	s_waitcnt vmcnt(0)
	v_fmac_f64_e32 v[62:63], v[100:101], v[214:215]
	v_add_f64 v[106:107], v[2:3], v[62:63]
	buffer_load_dword v3, off, s[0:3], 0 offset:876
	buffer_load_dword v2, off, s[0:3], 0 offset:872
	;; [unrolled: 1-line block ×4, first 2 shown]
	ds_read_b128 v[102:105], v1 offset:1760
	buffer_load_dword v232, off, s[0:3], 0 offset:888
	buffer_load_dword v233, off, s[0:3], 0 offset:892
	buffer_load_dword v234, off, s[0:3], 0 offset:880
	buffer_load_dword v235, off, s[0:3], 0 offset:884
	v_add_f64 v[4:5], v[4:5], v[222:223]
	v_add_f64 v[4:5], v[4:5], v[172:173]
	;; [unrolled: 1-line block ×7, first 2 shown]
	v_mul_f64 v[6:7], v[134:135], v[140:141]
	v_fma_f64 v[6:7], v[132:133], v[144:145], -v[6:7]
	v_add_f64 v[4:5], v[4:5], v[6:7]
	v_accvgpr_read_b32 v6, a176
	v_accvgpr_read_b32 v7, a177
	v_mul_f64 v[6:7], v[130:131], v[6:7]
	v_fma_f64 v[6:7], v[128:129], v[8:9], -v[6:7]
	v_add_f64 v[4:5], v[4:5], v[6:7]
	v_mul_f64 v[6:7], v[126:127], v[148:149]
	v_fma_f64 v[6:7], v[124:125], v[152:153], -v[6:7]
	v_add_f64 v[4:5], v[4:5], v[6:7]
	v_accvgpr_read_b32 v6, a180
	v_accvgpr_read_b32 v7, a181
	v_accvgpr_read_b32 v8, a182
	v_mul_f64 v[6:7], v[122:123], v[6:7]
	v_accvgpr_read_b32 v9, a183
	v_fma_f64 v[6:7], v[120:121], v[8:9], -v[6:7]
	v_add_f64 v[4:5], v[4:5], v[6:7]
	v_mul_f64 v[6:7], v[24:25], v[156:157]
	v_fma_f64 v[6:7], v[22:23], v[158:159], -v[6:7]
	v_add_f64 v[4:5], v[4:5], v[6:7]
	v_accvgpr_read_b32 v6, a184
	v_accvgpr_read_b32 v7, a185
	v_accvgpr_read_b32 v8, a186
	v_mul_f64 v[6:7], v[28:29], v[6:7]
	v_accvgpr_read_b32 v9, a187
	;; [unrolled: 10-line block ×3, first 2 shown]
	v_fma_f64 v[6:7], v[34:35], v[8:9], -v[6:7]
	v_add_f64 v[4:5], v[4:5], v[6:7]
	v_mul_f64 v[6:7], v[40:41], v[164:165]
	v_fma_f64 v[6:7], v[38:39], v[166:167], -v[6:7]
	v_add_f64 v[4:5], v[4:5], v[6:7]
	v_mul_f64 v[6:7], v[44:45], v[142:143]
	v_fma_f64 v[6:7], v[42:43], v[146:147], -v[6:7]
	v_add_f64 v[4:5], v[4:5], v[6:7]
	v_mul_f64 v[6:7], v[48:49], v[168:169]
	v_fma_f64 v[6:7], v[46:47], v[170:171], -v[6:7]
	v_add_f64 v[4:5], v[4:5], v[6:7]
	v_mul_f64 v[6:7], v[52:53], v[150:151]
	v_fma_f64 v[6:7], v[50:51], v[154:155], -v[6:7]
	v_add_f64 v[4:5], v[4:5], v[6:7]
	v_mul_f64 v[6:7], v[56:57], v[118:119]
	v_fma_f64 v[6:7], v[54:55], v[178:179], -v[6:7]
	v_add_f64 v[4:5], v[4:5], v[6:7]
	v_mul_f64 v[6:7], v[60:61], v[174:175]
	v_fma_f64 v[6:7], v[58:59], v[176:177], -v[6:7]
	v_add_f64 v[4:5], v[4:5], v[6:7]
	v_mul_f64 v[6:7], v[226:227], v[184:185]
	v_fma_f64 v[6:7], v[224:225], v[186:187], -v[6:7]
	v_add_f64 v[4:5], v[4:5], v[6:7]
	v_mul_f64 v[6:7], v[68:69], v[180:181]
	v_fma_f64 v[6:7], v[66:67], v[188:189], -v[6:7]
	v_add_f64 v[4:5], v[4:5], v[6:7]
	v_mul_f64 v[6:7], v[72:73], v[192:193]
	v_fma_f64 v[6:7], v[70:71], v[64:65], -v[6:7]
	v_add_f64 v[4:5], v[4:5], v[6:7]
	v_mul_f64 v[6:7], v[76:77], v[182:183]
	v_fma_f64 v[6:7], v[74:75], v[190:191], -v[6:7]
	v_add_f64 v[4:5], v[4:5], v[6:7]
	s_waitcnt vmcnt(6) lgkmcnt(0)
	v_mul_f64 v[108:109], v[102:103], v[2:3]
	v_mul_f64 v[6:7], v[80:81], v[196:197]
	s_waitcnt vmcnt(4)
	v_fmac_f64_e32 v[108:109], v[104:105], v[62:63]
	v_add_f64 v[114:115], v[106:107], v[108:109]
	ds_read_b128 v[106:109], v1 offset:1776
	buffer_load_dword v237, off, s[0:3], 0 offset:908
	buffer_load_dword v236, off, s[0:3], 0 offset:904
	;; [unrolled: 1-line block ×4, first 2 shown]
	ds_read_b128 v[228:231], v1 offset:1792
	buffer_load_dword v242, off, s[0:3], 0 offset:920
	buffer_load_dword v243, off, s[0:3], 0 offset:924
	;; [unrolled: 1-line block ×4, first 2 shown]
	v_fma_f64 v[6:7], v[78:79], v[198:199], -v[6:7]
	s_waitcnt vmcnt(10) lgkmcnt(1)
	v_mul_f64 v[116:117], v[106:107], v[232:233]
	s_waitcnt vmcnt(8)
	v_fmac_f64_e32 v[116:117], v[108:109], v[234:235]
	v_add_f64 v[114:115], v[114:115], v[116:117]
	v_add_f64 v[4:5], v[4:5], v[6:7]
	v_mul_f64 v[6:7], v[84:85], v[200:201]
	v_fma_f64 v[6:7], v[82:83], v[202:203], -v[6:7]
	v_add_f64 v[4:5], v[4:5], v[6:7]
	v_mul_f64 v[6:7], v[88:89], v[206:207]
	v_fma_f64 v[6:7], v[86:87], v[210:211], -v[6:7]
	;; [unrolled: 3-line block ×5, first 2 shown]
	v_mul_f64 v[2:3], v[104:105], v[2:3]
	v_add_f64 v[4:5], v[4:5], v[6:7]
	v_fma_f64 v[2:3], v[102:103], v[62:63], -v[2:3]
	v_add_f64 v[2:3], v[4:5], v[2:3]
	v_mul_f64 v[4:5], v[108:109], v[232:233]
	v_fma_f64 v[4:5], v[106:107], v[234:235], -v[4:5]
	v_add_f64 v[2:3], v[2:3], v[4:5]
	s_waitcnt vmcnt(6) lgkmcnt(0)
	v_mul_f64 v[116:117], v[228:229], v[236:237]
	v_mul_f64 v[4:5], v[230:231], v[236:237]
	s_waitcnt vmcnt(4)
	v_fmac_f64_e32 v[116:117], v[230:231], v[238:239]
	v_add_f64 v[240:241], v[114:115], v[116:117]
	ds_read_b128 v[114:117], v1 offset:1808
	v_fma_f64 v[4:5], v[228:229], v[238:239], -v[4:5]
	v_add_f64 v[2:3], v[2:3], v[4:5]
	s_waitcnt vmcnt(2) lgkmcnt(0)
	v_mul_f64 v[248:249], v[114:115], v[242:243]
	s_waitcnt vmcnt(0)
	v_fmac_f64_e32 v[248:249], v[116:117], v[244:245]
	v_add_f64 v[240:241], v[240:241], v[248:249]
	buffer_load_dword v248, off, s[0:3], 0 offset:160
	buffer_load_dword v249, off, s[0:3], 0 offset:164
	;; [unrolled: 1-line block ×4, first 2 shown]
	v_mul_f64 v[4:5], v[116:117], v[242:243]
	v_fma_f64 v[4:5], v[114:115], v[244:245], -v[4:5]
	v_add_f64 v[2:3], v[2:3], v[4:5]
	s_waitcnt vmcnt(2)
	v_add_f64 v[2:3], v[248:249], -v[2:3]
	s_waitcnt vmcnt(0)
	v_add_f64 v[4:5], v[246:247], -v[240:241]
	buffer_store_dword v3, off, s[0:3], 0 offset:164
	buffer_store_dword v2, off, s[0:3], 0 offset:160
	buffer_store_dword v5, off, s[0:3], 0 offset:172
	buffer_store_dword v4, off, s[0:3], 0 offset:168
	s_and_saveexec_b64 s[4:5], vcc
	s_cbranch_execz .LBB120_339
; %bb.338:
	v_accvgpr_read_b32 v0, a162
	buffer_load_dword v2, v0, s[0:3], 0 offen
	buffer_load_dword v3, v0, s[0:3], 0 offen offset:4
	buffer_load_dword v4, v0, s[0:3], 0 offen offset:8
	;; [unrolled: 1-line block ×3, first 2 shown]
	v_accvgpr_read_b32 v0, a171
	buffer_store_dword v1, off, s[0:3], 0 offset:144
	buffer_store_dword v1, off, s[0:3], 0 offset:148
	;; [unrolled: 1-line block ×4, first 2 shown]
	s_waitcnt vmcnt(4)
	ds_write_b128 v0, v[2:5]
.LBB120_339:
	s_or_b64 exec, exec, s[4:5]
	s_waitcnt lgkmcnt(0)
	; wave barrier
	s_waitcnt lgkmcnt(0)
	buffer_load_dword v42, off, s[0:3], 0 offset:160
	buffer_load_dword v43, off, s[0:3], 0 offset:164
	;; [unrolled: 1-line block ×42, first 2 shown]
	ds_read_b128 v[110:113], v1 offset:1056
	ds_read_b128 v[114:117], v1 offset:1072
	;; [unrolled: 1-line block ×10, first 2 shown]
	buffer_load_dword v119, off, s[0:3], 0 offset:308
	buffer_load_dword v118, off, s[0:3], 0 offset:304
	ds_read_b128 v[50:53], v1 offset:1216
	buffer_load_dword v89, off, s[0:3], 0 offset:364
	buffer_load_dword v88, off, s[0:3], 0 offset:360
	;; [unrolled: 1-line block ×8, first 2 shown]
	s_waitcnt vmcnt(48) lgkmcnt(10)
	v_mul_f64 v[2:3], v[110:111], v[48:49]
	v_fmac_f64_e32 v[2:3], v[112:113], v[42:43]
	v_add_f64 v[2:3], v[2:3], 0
	s_waitcnt vmcnt(44) lgkmcnt(9)
	v_mul_f64 v[4:5], v[114:115], v[54:55]
	v_fmac_f64_e32 v[4:5], v[116:117], v[44:45]
	v_add_f64 v[2:3], v[2:3], v[4:5]
	buffer_load_dword v107, off, s[0:3], 0 offset:396
	buffer_load_dword v106, off, s[0:3], 0 offset:392
	buffer_load_dword v109, off, s[0:3], 0 offset:388
	buffer_load_dword v251, off, s[0:3], 0 offset:380
	buffer_load_dword v250, off, s[0:3], 0 offset:376
	buffer_load_dword v215, off, s[0:3], 0 offset:372
	buffer_load_dword v214, off, s[0:3], 0 offset:368
	buffer_load_dword v108, off, s[0:3], 0 offset:384
	buffer_load_dword v93, off, s[0:3], 0 offset:428
	buffer_load_dword v92, off, s[0:3], 0 offset:424
	buffer_load_dword v95, off, s[0:3], 0 offset:420
	buffer_load_dword v63, off, s[0:3], 0 offset:412
	buffer_load_dword v62, off, s[0:3], 0 offset:408
	buffer_load_dword v217, off, s[0:3], 0 offset:404
	buffer_load_dword v216, off, s[0:3], 0 offset:400
	buffer_load_dword v94, off, s[0:3], 0 offset:416
	buffer_load_dword v99, off, s[0:3], 0 offset:460
	buffer_load_dword v98, off, s[0:3], 0 offset:456
	buffer_load_dword v101, off, s[0:3], 0 offset:452
	buffer_load_dword v103, off, s[0:3], 0 offset:444
	buffer_load_dword v102, off, s[0:3], 0 offset:440
	buffer_load_dword v105, off, s[0:3], 0 offset:436
	buffer_load_dword v104, off, s[0:3], 0 offset:432
	buffer_load_dword v100, off, s[0:3], 0 offset:448
	buffer_load_dword v5, off, s[0:3], 0 offset:492
	buffer_load_dword v4, off, s[0:3], 0 offset:488
	s_waitcnt vmcnt(62) lgkmcnt(8)
	v_mul_f64 v[6:7], v[176:177], v[46:47]
	s_waitcnt lgkmcnt(6)
	v_mul_f64 v[10:11], v[188:189], v[58:59]
	v_fmac_f64_e32 v[10:11], v[190:191], v[56:57]
	v_mul_f64 v[46:47], v[178:179], v[46:47]
	v_mul_f64 v[8:9], v[180:181], v[60:61]
	s_waitcnt vmcnt(60) lgkmcnt(4)
	v_mul_f64 v[14:15], v[196:197], v[208:209]
	s_waitcnt vmcnt(58)
	v_fmac_f64_e32 v[14:15], v[198:199], v[64:65]
	s_waitcnt vmcnt(56)
	v_mul_f64 v[12:13], v[192:193], v[66:67]
	s_waitcnt vmcnt(54) lgkmcnt(2)
	v_mul_f64 v[18:19], v[204:205], v[68:69]
	s_waitcnt vmcnt(51)
	v_mul_f64 v[16:17], v[200:201], v[74:75]
	s_waitcnt vmcnt(49) lgkmcnt(1)
	v_mul_f64 v[20:21], v[210:211], v[72:73]
	s_waitcnt vmcnt(47)
	v_fmac_f64_e32 v[6:7], v[178:179], v[82:83]
	v_add_f64 v[2:3], v[2:3], v[6:7]
	s_waitcnt vmcnt(45)
	v_fmac_f64_e32 v[8:9], v[182:183], v[80:81]
	v_add_f64 v[2:3], v[2:3], v[8:9]
	;; [unrolled: 3-line block ×3, first 2 shown]
	v_add_f64 v[2:3], v[2:3], v[12:13]
	s_waitcnt vmcnt(41)
	v_fmac_f64_e32 v[16:17], v[202:203], v[76:77]
	v_add_f64 v[2:3], v[2:3], v[14:15]
	s_waitcnt vmcnt(40)
	v_fmac_f64_e32 v[18:19], v[206:207], v[70:71]
	v_add_f64 v[2:3], v[2:3], v[16:17]
	v_add_f64 v[2:3], v[2:3], v[18:19]
	s_waitcnt vmcnt(34)
	v_fmac_f64_e32 v[20:21], v[212:213], v[118:119]
	v_add_f64 v[2:3], v[2:3], v[20:21]
	s_waitcnt vmcnt(0)
	v_pk_mov_b32 v[18:19], v[4:5], v[4:5] op_sel:[0,1]
	buffer_load_dword v5, off, s[0:3], 0 offset:484
	buffer_load_dword v7, off, s[0:3], 0 offset:476
	;; [unrolled: 1-line block ×3, first 2 shown]
	v_accvgpr_write_b32 a177, v19
	v_accvgpr_write_b32 a176, v18
	s_waitcnt vmcnt(0)
	v_pk_mov_b32 v[14:15], v[6:7], v[6:7] op_sel:[0,1]
	buffer_load_dword v7, off, s[0:3], 0 offset:468
	buffer_load_dword v6, off, s[0:3], 0 offset:464
	;; [unrolled: 1-line block ×3, first 2 shown]
	v_accvgpr_write_b32 a173, v15
	v_accvgpr_write_b32 a172, v14
	s_waitcnt vmcnt(1)
	v_pk_mov_b32 v[16:17], v[6:7], v[6:7] op_sel:[0,1]
	s_waitcnt vmcnt(0)
	v_pk_mov_b32 v[22:23], v[4:5], v[4:5] op_sel:[0,1]
	buffer_load_dword v5, off, s[0:3], 0 offset:524
	buffer_load_dword v4, off, s[0:3], 0 offset:520
	v_accvgpr_write_b32 a175, v17
	v_accvgpr_write_b32 a174, v16
	;; [unrolled: 1-line block ×4, first 2 shown]
	s_waitcnt vmcnt(0)
	v_pk_mov_b32 v[26:27], v[4:5], v[4:5] op_sel:[0,1]
	buffer_load_dword v5, off, s[0:3], 0 offset:516
	buffer_load_dword v7, off, s[0:3], 0 offset:508
	;; [unrolled: 1-line block ×6, first 2 shown]
	v_accvgpr_write_b32 a183, v27
	v_accvgpr_write_b32 a182, v26
	s_waitcnt vmcnt(3)
	v_pk_mov_b32 v[24:25], v[6:7], v[6:7] op_sel:[0,1]
	s_waitcnt vmcnt(0)
	v_pk_mov_b32 v[28:29], v[4:5], v[4:5] op_sel:[0,1]
	buffer_load_dword v5, off, s[0:3], 0 offset:556
	buffer_load_dword v4, off, s[0:3], 0 offset:552
	v_accvgpr_write_b32 a181, v25
	v_accvgpr_write_b32 a180, v24
	;; [unrolled: 1-line block ×4, first 2 shown]
	s_waitcnt vmcnt(0)
	v_pk_mov_b32 v[34:35], v[4:5], v[4:5] op_sel:[0,1]
	buffer_load_dword v5, off, s[0:3], 0 offset:548
	buffer_load_dword v151, off, s[0:3], 0 offset:540
	;; [unrolled: 1-line block ×6, first 2 shown]
	v_accvgpr_write_b32 a187, v35
	v_accvgpr_write_b32 a186, v34
	s_waitcnt vmcnt(0)
	v_pk_mov_b32 v[36:37], v[4:5], v[4:5] op_sel:[0,1]
	buffer_load_dword v5, off, s[0:3], 0 offset:588
	buffer_load_dword v4, off, s[0:3], 0 offset:584
	v_accvgpr_write_b32 a189, v37
	v_accvgpr_write_b32 a188, v36
	s_waitcnt vmcnt(0)
	v_pk_mov_b32 v[38:39], v[4:5], v[4:5] op_sel:[0,1]
	buffer_load_dword v5, off, s[0:3], 0 offset:580
	buffer_load_dword v155, off, s[0:3], 0 offset:572
	;; [unrolled: 1-line block ×6, first 2 shown]
	v_accvgpr_write_b32 a191, v39
	v_accvgpr_write_b32 a190, v38
	s_waitcnt vmcnt(0)
	v_pk_mov_b32 v[40:41], v[4:5], v[4:5] op_sel:[0,1]
	buffer_load_dword v5, off, s[0:3], 0 offset:620
	buffer_load_dword v4, off, s[0:3], 0 offset:616
	buffer_load_dword v145, off, s[0:3], 0 offset:612
	buffer_load_dword v159, off, s[0:3], 0 offset:604
	buffer_load_dword v158, off, s[0:3], 0 offset:600
	buffer_load_dword v163, off, s[0:3], 0 offset:596
	buffer_load_dword v162, off, s[0:3], 0 offset:592
	buffer_load_dword v144, off, s[0:3], 0 offset:608
	buffer_load_dword v149, off, s[0:3], 0 offset:652
	buffer_load_dword v148, off, s[0:3], 0 offset:648
	buffer_load_dword v161, off, s[0:3], 0 offset:636
	buffer_load_dword v160, off, s[0:3], 0 offset:632
	buffer_load_dword v165, off, s[0:3], 0 offset:628
	buffer_load_dword v164, off, s[0:3], 0 offset:624
	ds_read_b128 v[220:223], v1 offset:1232
	ds_read_b128 v[224:227], v1 offset:1248
	;; [unrolled: 1-line block ×12, first 2 shown]
	s_waitcnt lgkmcnt(4)
	v_mul_f64 v[8:9], v[252:253], v[98:99]
	ds_read_b128 v[124:127], v1 offset:1424
	ds_read_b128 v[120:123], v1 offset:1440
	v_fmac_f64_e32 v[8:9], v[254:255], v[100:101]
	s_waitcnt lgkmcnt(5)
	v_mul_f64 v[12:13], v[140:141], v[14:15]
	v_fmac_f64_e32 v[12:13], v[142:143], v[16:17]
	s_waitcnt lgkmcnt(4)
	v_mul_f64 v[16:17], v[136:137], v[18:19]
	;; [unrolled: 3-line block ×6, first 2 shown]
	v_fmac_f64_e32 v[32:33], v[122:123], v[36:37]
	v_accvgpr_write_b32 a193, v41
	v_accvgpr_write_b32 a192, v40
	s_waitcnt vmcnt(12)
	v_pk_mov_b32 v[170:171], v[4:5], v[4:5] op_sel:[0,1]
	v_mul_f64 v[4:5], v[50:51], v[84:85]
	v_fmac_f64_e32 v[4:5], v[52:53], v[86:87]
	v_add_f64 v[2:3], v[2:3], v[4:5]
	v_mul_f64 v[4:5], v[220:221], v[96:97]
	v_fmac_f64_e32 v[4:5], v[222:223], v[248:249]
	v_add_f64 v[2:3], v[2:3], v[4:5]
	;; [unrolled: 3-line block ×8, first 2 shown]
	v_add_f64 v[10:11], v[6:7], v[8:9]
	v_add_f64 v[14:15], v[10:11], v[12:13]
	;; [unrolled: 1-line block ×6, first 2 shown]
	ds_read_b128 v[26:29], v1 offset:1456
	v_add_f64 v[34:35], v[30:31], v[32:33]
	ds_read_b128 v[30:33], v1 offset:1472
	v_accvgpr_write_b32 a195, v171
	v_accvgpr_write_b32 a194, v170
	s_waitcnt lgkmcnt(1)
	v_mul_f64 v[36:37], v[26:27], v[154:155]
	v_fmac_f64_e32 v[36:37], v[28:29], v[156:157]
	v_add_f64 v[166:167], v[34:35], v[36:37]
	ds_read_b128 v[34:37], v1 offset:1488
	s_waitcnt lgkmcnt(1)
	v_mul_f64 v[168:169], v[30:31], v[38:39]
	v_fmac_f64_e32 v[168:169], v[32:33], v[40:41]
	ds_read_b128 v[38:41], v1 offset:1504
	v_add_f64 v[166:167], v[166:167], v[168:169]
	s_waitcnt vmcnt(9) lgkmcnt(1)
	v_mul_f64 v[168:169], v[34:35], v[158:159]
	s_waitcnt vmcnt(7)
	v_fmac_f64_e32 v[168:169], v[36:37], v[162:163]
	v_add_f64 v[166:167], v[166:167], v[168:169]
	s_waitcnt lgkmcnt(0)
	v_mul_f64 v[168:169], v[38:39], v[170:171]
	s_waitcnt vmcnt(6)
	v_fmac_f64_e32 v[168:169], v[40:41], v[144:145]
	v_add_f64 v[2:3], v[166:167], v[168:169]
	buffer_load_dword v169, off, s[0:3], 0 offset:644
	buffer_load_dword v168, off, s[0:3], 0 offset:640
	;; [unrolled: 1-line block ×10, first 2 shown]
	v_mul_f64 v[4:5], v[112:113], v[48:49]
	v_fma_f64 v[22:23], v[110:111], v[42:43], -v[4:5]
	v_mul_f64 v[42:43], v[116:117], v[54:55]
	v_fma_f64 v[110:111], v[114:115], v[44:45], -v[42:43]
	ds_read_b128 v[42:45], v1 offset:1520
	v_fma_f64 v[112:113], v[176:177], v[82:83], -v[46:47]
	v_mul_f64 v[46:47], v[182:183], v[60:61]
	buffer_load_dword v177, off, s[0:3], 0 offset:700
	buffer_load_dword v176, off, s[0:3], 0 offset:696
	;; [unrolled: 1-line block ×4, first 2 shown]
	v_fma_f64 v[80:81], v[180:181], v[80:81], -v[46:47]
	buffer_load_dword v181, off, s[0:3], 0 offset:716
	buffer_load_dword v180, off, s[0:3], 0 offset:712
	;; [unrolled: 1-line block ×8, first 2 shown]
	v_mul_f64 v[46:47], v[190:191], v[58:59]
	v_fma_f64 v[190:191], v[188:189], v[56:57], -v[46:47]
	buffer_load_dword v188, off, s[0:3], 0 offset:744
	v_mul_f64 v[46:47], v[194:195], v[66:67]
	v_fma_f64 v[18:19], v[192:193], v[78:79], -v[46:47]
	buffer_load_dword v192, off, s[0:3], 0 offset:736
	buffer_load_dword v189, off, s[0:3], 0 offset:748
	;; [unrolled: 1-line block ×3, first 2 shown]
	v_mul_f64 v[8:9], v[198:199], v[208:209]
	v_fma_f64 v[14:15], v[196:197], v[64:65], -v[8:9]
	buffer_load_dword v78, off, s[0:3], 0 offset:776
	buffer_load_dword v197, off, s[0:3], 0 offset:764
	;; [unrolled: 1-line block ×8, first 2 shown]
	v_mul_f64 v[48:49], v[202:203], v[74:75]
	v_fma_f64 v[10:11], v[200:201], v[76:77], -v[48:49]
	buffer_load_dword v201, off, s[0:3], 0 offset:796
	buffer_load_dword v200, off, s[0:3], 0 offset:792
	buffer_load_dword v203, off, s[0:3], 0 offset:788
	buffer_load_dword v202, off, s[0:3], 0 offset:784
	v_mul_f64 v[12:13], v[206:207], v[68:69]
	buffer_load_dword v207, off, s[0:3], 0 offset:812
	buffer_load_dword v206, off, s[0:3], 0 offset:808
	buffer_load_dword v209, off, s[0:3], 0 offset:804
	buffer_load_dword v208, off, s[0:3], 0 offset:800
	v_mul_f64 v[48:49], v[212:213], v[72:73]
	v_fma_f64 v[12:13], v[204:205], v[70:71], -v[12:13]
	v_fma_f64 v[8:9], v[210:211], v[118:119], -v[48:49]
	buffer_load_dword v204, off, s[0:3], 0 offset:840
	buffer_load_dword v213, off, s[0:3], 0 offset:828
	;; [unrolled: 1-line block ×12, first 2 shown]
	s_waitcnt vmcnt(56) lgkmcnt(0)
	v_mul_f64 v[46:47], v[42:43], v[160:161]
	s_waitcnt vmcnt(54)
	v_fmac_f64_e32 v[46:47], v[44:45], v[164:165]
	v_add_f64 v[2:3], v[2:3], v[46:47]
	ds_read_b128 v[46:49], v1 offset:1536
	v_mul_f64 v[16:17], v[52:53], v[84:85]
	v_fma_f64 v[16:17], v[50:51], v[86:87], -v[16:17]
	ds_read_b128 v[50:53], v1 offset:1552
	v_mul_f64 v[54:55], v[222:223], v[96:97]
	v_fma_f64 v[248:249], v[220:221], v[248:249], -v[54:55]
	ds_read_b128 v[54:57], v1 offset:1568
	s_waitcnt lgkmcnt(2)
	v_mul_f64 v[58:59], v[46:47], v[148:149]
	v_mul_f64 v[66:67], v[226:227], v[88:89]
	v_fma_f64 v[220:221], v[224:225], v[90:91], -v[66:67]
	ds_read_b128 v[224:227], v1 offset:1600
	v_mul_f64 v[66:67], v[230:231], v[250:251]
	v_fma_f64 v[250:251], v[228:229], v[214:215], -v[66:67]
	v_mul_f64 v[74:75], v[234:235], v[106:107]
	v_fma_f64 v[6:7], v[232:233], v[108:109], -v[74:75]
	ds_read_b128 v[228:231], v1 offset:1664
	ds_read_b128 v[82:85], v1 offset:1680
	;; [unrolled: 1-line block ×3, first 2 shown]
	v_mul_f64 v[62:63], v[238:239], v[62:63]
	v_fma_f64 v[62:63], v[236:237], v[216:217], -v[62:63]
	v_add_f64 v[22:23], v[22:23], 0
	v_add_f64 v[22:23], v[22:23], v[110:111]
	;; [unrolled: 1-line block ×4, first 2 shown]
	ds_read_b128 v[66:69], v1 offset:1616
	v_add_f64 v[22:23], v[22:23], v[190:191]
	v_add_f64 v[18:19], v[22:23], v[18:19]
	;; [unrolled: 1-line block ×10, first 2 shown]
	ds_read_b128 v[74:77], v1 offset:1648
	v_add_f64 v[6:7], v[8:9], v[6:7]
	v_add_f64 v[6:7], v[6:7], v[62:63]
	s_waitcnt vmcnt(52)
	v_fmac_f64_e32 v[58:59], v[48:49], v[168:169]
	v_add_f64 v[2:3], v[2:3], v[58:59]
	s_waitcnt vmcnt(49) lgkmcnt(7)
	v_mul_f64 v[58:59], v[50:51], v[172:173]
	s_waitcnt vmcnt(47)
	v_fmac_f64_e32 v[58:59], v[52:53], v[174:175]
	v_add_f64 v[2:3], v[2:3], v[58:59]
	s_waitcnt vmcnt(45) lgkmcnt(6)
	v_mul_f64 v[58:59], v[54:55], v[166:167]
	s_waitcnt vmcnt(44)
	v_fmac_f64_e32 v[58:59], v[56:57], v[170:171]
	v_add_f64 v[2:3], v[2:3], v[58:59]
	ds_read_b128 v[58:61], v1 offset:1584
	s_waitcnt vmcnt(42) lgkmcnt(0)
	v_mul_f64 v[70:71], v[58:59], v[176:177]
	s_waitcnt vmcnt(40)
	v_fmac_f64_e32 v[70:71], v[60:61], v[178:179]
	v_add_f64 v[2:3], v[2:3], v[70:71]
	s_waitcnt vmcnt(38)
	v_mul_f64 v[70:71], v[224:225], v[180:181]
	s_waitcnt vmcnt(36)
	v_fmac_f64_e32 v[70:71], v[226:227], v[184:185]
	v_add_f64 v[2:3], v[2:3], v[70:71]
	s_waitcnt vmcnt(34)
	v_mul_f64 v[70:71], v[66:67], v[182:183]
	s_waitcnt vmcnt(32)
	v_fmac_f64_e32 v[70:71], v[68:69], v[186:187]
	v_add_f64 v[2:3], v[2:3], v[70:71]
	ds_read_b128 v[70:73], v1 offset:1632
	s_waitcnt vmcnt(18)
	v_mul_f64 v[24:25], v[82:83], v[200:201]
	s_waitcnt vmcnt(16)
	v_fmac_f64_e32 v[24:25], v[84:85], v[202:203]
	s_waitcnt lgkmcnt(0)
	v_mul_f64 v[20:21], v[70:71], v[188:189]
	v_fmac_f64_e32 v[20:21], v[72:73], v[192:193]
	v_add_f64 v[2:3], v[2:3], v[20:21]
	v_mul_f64 v[20:21], v[74:75], v[196:197]
	v_fmac_f64_e32 v[20:21], v[76:77], v[198:199]
	v_add_f64 v[2:3], v[2:3], v[20:21]
	;; [unrolled: 3-line block ×3, first 2 shown]
	v_mul_f64 v[20:21], v[242:243], v[92:93]
	ds_read_b128 v[90:93], v1 offset:1712
	v_add_f64 v[2:3], v[2:3], v[24:25]
	s_waitcnt vmcnt(14)
	v_mul_f64 v[24:25], v[86:87], v[206:207]
	v_fma_f64 v[4:5], v[240:241], v[94:95], -v[20:21]
	s_waitcnt vmcnt(12)
	v_fmac_f64_e32 v[24:25], v[88:89], v[208:209]
	ds_read_b128 v[94:97], v1 offset:1728
	v_add_f64 v[2:3], v[2:3], v[24:25]
	v_mul_f64 v[24:25], v[254:255], v[98:99]
	v_fma_f64 v[252:253], v[252:253], v[100:101], -v[24:25]
	ds_read_b128 v[98:101], v1 offset:1744
	s_waitcnt vmcnt(9) lgkmcnt(2)
	v_mul_f64 v[24:25], v[90:91], v[212:213]
	s_waitcnt vmcnt(7)
	v_fmac_f64_e32 v[24:25], v[92:93], v[64:65]
	v_add_f64 v[2:3], v[2:3], v[24:25]
	s_waitcnt vmcnt(5) lgkmcnt(1)
	v_mul_f64 v[24:25], v[94:95], v[204:205]
	s_waitcnt vmcnt(4)
	v_fmac_f64_e32 v[24:25], v[96:97], v[210:211]
	v_add_f64 v[2:3], v[2:3], v[24:25]
	;; [unrolled: 5-line block ×3, first 2 shown]
	buffer_load_dword v2, off, s[0:3], 0 offset:872
	buffer_load_dword v3, off, s[0:3], 0 offset:876
	buffer_load_dword v222, off, s[0:3], 0 offset:864
	buffer_load_dword v223, off, s[0:3], 0 offset:868
	v_mul_f64 v[20:21], v[246:247], v[102:103]
	v_fma_f64 v[20:21], v[244:245], v[104:105], -v[20:21]
	ds_read_b128 v[102:105], v1 offset:1760
	buffer_load_dword v233, off, s[0:3], 0 offset:892
	buffer_load_dword v232, off, s[0:3], 0 offset:888
	;; [unrolled: 1-line block ×4, first 2 shown]
	v_add_f64 v[254:255], v[6:7], v[4:5]
	v_add_f64 v[4:5], v[254:255], v[20:21]
	;; [unrolled: 1-line block ×3, first 2 shown]
	s_waitcnt vmcnt(6) lgkmcnt(0)
	v_mul_f64 v[106:107], v[102:103], v[2:3]
	v_mul_f64 v[2:3], v[104:105], v[2:3]
	s_waitcnt vmcnt(4)
	v_fmac_f64_e32 v[106:107], v[104:105], v[222:223]
	v_add_f64 v[24:25], v[24:25], v[106:107]
	ds_read_b128 v[106:109], v1 offset:1776
	buffer_load_dword v236, off, s[0:3], 0 offset:904
	buffer_load_dword v237, off, s[0:3], 0 offset:908
	;; [unrolled: 1-line block ×4, first 2 shown]
	ds_read_b128 v[214:217], v1 offset:1792
	buffer_load_dword v243, off, s[0:3], 0 offset:924
	buffer_load_dword v242, off, s[0:3], 0 offset:920
	;; [unrolled: 1-line block ×4, first 2 shown]
	v_fma_f64 v[2:3], v[102:103], v[222:223], -v[2:3]
	s_waitcnt vmcnt(10) lgkmcnt(1)
	v_mul_f64 v[114:115], v[106:107], v[232:233]
	s_waitcnt vmcnt(8)
	v_fmac_f64_e32 v[114:115], v[108:109], v[234:235]
	v_add_f64 v[24:25], v[24:25], v[114:115]
	s_waitcnt vmcnt(6) lgkmcnt(0)
	v_mul_f64 v[114:115], v[214:215], v[236:237]
	s_waitcnt vmcnt(4)
	v_fmac_f64_e32 v[114:115], v[216:217], v[238:239]
	v_add_f64 v[24:25], v[24:25], v[114:115]
	ds_read_b128 v[114:117], v1 offset:1808
	buffer_load_dword v248, off, s[0:3], 0 offset:144
	buffer_load_dword v249, off, s[0:3], 0 offset:148
	;; [unrolled: 1-line block ×4, first 2 shown]
	v_accvgpr_read_b32 v0, a172
	v_accvgpr_read_b32 v1, a173
	v_mul_f64 v[6:7], v[142:143], v[0:1]
	v_accvgpr_read_b32 v0, a174
	v_accvgpr_read_b32 v1, a175
	v_fma_f64 v[6:7], v[140:141], v[0:1], -v[6:7]
	v_accvgpr_read_b32 v0, a176
	v_accvgpr_read_b32 v1, a177
	v_add_f64 v[4:5], v[4:5], v[6:7]
	v_mul_f64 v[6:7], v[138:139], v[0:1]
	v_accvgpr_read_b32 v0, a178
	v_accvgpr_read_b32 v1, a179
	v_fma_f64 v[6:7], v[136:137], v[0:1], -v[6:7]
	v_accvgpr_read_b32 v0, a180
	v_accvgpr_read_b32 v1, a181
	v_add_f64 v[4:5], v[4:5], v[6:7]
	v_mul_f64 v[6:7], v[134:135], v[0:1]
	v_accvgpr_read_b32 v0, a182
	v_fma_f64 v[6:7], v[132:133], v[146:147], -v[6:7]
	v_accvgpr_read_b32 v1, a183
	v_add_f64 v[4:5], v[4:5], v[6:7]
	v_mul_f64 v[6:7], v[130:131], v[0:1]
	v_accvgpr_read_b32 v0, a184
	v_accvgpr_read_b32 v1, a185
	v_fma_f64 v[6:7], v[128:129], v[0:1], -v[6:7]
	v_add_f64 v[4:5], v[4:5], v[6:7]
	v_mul_f64 v[6:7], v[126:127], v[150:151]
	v_accvgpr_read_b32 v0, a186
	v_fma_f64 v[6:7], v[124:125], v[152:153], -v[6:7]
	v_accvgpr_read_b32 v1, a187
	v_add_f64 v[4:5], v[4:5], v[6:7]
	v_mul_f64 v[6:7], v[122:123], v[0:1]
	v_accvgpr_read_b32 v0, a188
	v_accvgpr_read_b32 v1, a189
	v_fma_f64 v[6:7], v[120:121], v[0:1], -v[6:7]
	v_add_f64 v[4:5], v[4:5], v[6:7]
	v_mul_f64 v[6:7], v[28:29], v[154:155]
	v_accvgpr_read_b32 v0, a190
	v_fma_f64 v[6:7], v[26:27], v[156:157], -v[6:7]
	v_accvgpr_read_b32 v1, a191
	v_add_f64 v[4:5], v[4:5], v[6:7]
	v_mul_f64 v[6:7], v[32:33], v[0:1]
	v_accvgpr_read_b32 v0, a192
	v_accvgpr_read_b32 v1, a193
	v_fma_f64 v[6:7], v[30:31], v[0:1], -v[6:7]
	v_add_f64 v[4:5], v[4:5], v[6:7]
	v_mul_f64 v[6:7], v[36:37], v[158:159]
	v_accvgpr_read_b32 v0, a194
	v_fma_f64 v[6:7], v[34:35], v[162:163], -v[6:7]
	v_accvgpr_read_b32 v1, a195
	v_add_f64 v[4:5], v[4:5], v[6:7]
	v_mul_f64 v[6:7], v[40:41], v[0:1]
	v_fma_f64 v[6:7], v[38:39], v[144:145], -v[6:7]
	v_add_f64 v[4:5], v[4:5], v[6:7]
	v_mul_f64 v[6:7], v[44:45], v[160:161]
	v_fma_f64 v[6:7], v[42:43], v[164:165], -v[6:7]
	;; [unrolled: 3-line block ×16, first 2 shown]
	v_add_f64 v[4:5], v[4:5], v[6:7]
	v_add_f64 v[2:3], v[4:5], v[2:3]
	v_mul_f64 v[4:5], v[108:109], v[232:233]
	v_fma_f64 v[4:5], v[106:107], v[234:235], -v[4:5]
	v_add_f64 v[2:3], v[2:3], v[4:5]
	v_mul_f64 v[4:5], v[216:217], v[236:237]
	v_fma_f64 v[4:5], v[214:215], v[238:239], -v[4:5]
	v_add_f64 v[2:3], v[2:3], v[4:5]
	s_waitcnt vmcnt(6) lgkmcnt(0)
	v_mul_f64 v[4:5], v[116:117], v[242:243]
	v_mul_f64 v[240:241], v[114:115], v[242:243]
	s_waitcnt vmcnt(4)
	v_fma_f64 v[4:5], v[114:115], v[244:245], -v[4:5]
	v_fmac_f64_e32 v[240:241], v[116:117], v[244:245]
	v_add_f64 v[2:3], v[2:3], v[4:5]
	v_accvgpr_read_b32 v0, a170
	v_add_f64 v[240:241], v[24:25], v[240:241]
	s_waitcnt vmcnt(2)
	v_add_f64 v[2:3], v[248:249], -v[2:3]
	v_cmp_lt_u32_e32 vcc, 7, v0
	s_waitcnt vmcnt(0)
	v_add_f64 v[4:5], v[246:247], -v[240:241]
	buffer_store_dword v3, off, s[0:3], 0 offset:148
	buffer_store_dword v2, off, s[0:3], 0 offset:144
	;; [unrolled: 1-line block ×4, first 2 shown]
	s_and_saveexec_b64 s[4:5], vcc
	s_cbranch_execz .LBB120_341
; %bb.340:
	v_accvgpr_read_b32 v0, a163
	buffer_load_dword v2, v0, s[0:3], 0 offen
	buffer_load_dword v3, v0, s[0:3], 0 offen offset:4
	buffer_load_dword v4, v0, s[0:3], 0 offen offset:8
	;; [unrolled: 1-line block ×3, first 2 shown]
	v_mov_b32_e32 v0, 0
	v_accvgpr_read_b32 v1, a171
	buffer_store_dword v0, off, s[0:3], 0 offset:128
	buffer_store_dword v0, off, s[0:3], 0 offset:132
	;; [unrolled: 1-line block ×4, first 2 shown]
	s_waitcnt vmcnt(4)
	ds_write_b128 v1, v[2:5]
.LBB120_341:
	s_or_b64 exec, exec, s[4:5]
	s_waitcnt lgkmcnt(0)
	; wave barrier
	s_waitcnt lgkmcnt(0)
	buffer_load_dword v38, off, s[0:3], 0 offset:144
	buffer_load_dword v39, off, s[0:3], 0 offset:148
	;; [unrolled: 1-line block ×42, first 2 shown]
	v_mov_b32_e32 v1, 0
	buffer_load_dword v99, off, s[0:3], 0 offset:292
	buffer_load_dword v98, off, s[0:3], 0 offset:288
	;; [unrolled: 1-line block ×7, first 2 shown]
	ds_read_b128 v[108:111], v1 offset:1040
	ds_read_b128 v[112:115], v1 offset:1056
	;; [unrolled: 1-line block ×11, first 2 shown]
	v_accvgpr_read_b32 v0, a170
	v_cmp_lt_u32_e32 vcc, 6, v0
	s_waitcnt vmcnt(45) lgkmcnt(10)
	v_mul_f64 v[2:3], v[108:109], v[40:41]
	v_fmac_f64_e32 v[2:3], v[110:111], v[38:39]
	v_add_f64 v[2:3], v[2:3], 0
	v_mul_f64 v[40:41], v[110:111], v[40:41]
	s_waitcnt vmcnt(41) lgkmcnt(9)
	v_mul_f64 v[4:5], v[112:113], v[46:47]
	v_fmac_f64_e32 v[4:5], v[114:115], v[44:45]
	v_add_f64 v[2:3], v[2:3], v[4:5]
	buffer_load_dword v84, off, s[0:3], 0 offset:328
	buffer_load_dword v253, off, s[0:3], 0 offset:324
	;; [unrolled: 1-line block ×29, first 2 shown]
	s_waitcnt vmcnt(62) lgkmcnt(8)
	v_mul_f64 v[6:7], v[116:117], v[42:43]
	s_waitcnt lgkmcnt(6)
	v_mul_f64 v[10:11], v[182:183], v[48:49]
	v_fmac_f64_e32 v[10:11], v[184:185], v[50:51]
	v_mul_f64 v[42:43], v[118:119], v[42:43]
	v_mul_f64 v[8:9], v[172:173], v[178:179]
	;; [unrolled: 1-line block ×3, first 2 shown]
	s_waitcnt vmcnt(60) lgkmcnt(4)
	v_mul_f64 v[14:15], v[192:193], v[56:57]
	s_waitcnt vmcnt(58)
	v_fmac_f64_e32 v[14:15], v[194:195], v[54:55]
	s_waitcnt vmcnt(56)
	v_mul_f64 v[12:13], v[186:187], v[190:191]
	s_waitcnt vmcnt(54) lgkmcnt(2)
	v_mul_f64 v[18:19], v[200:201], v[64:65]
	s_waitcnt vmcnt(51)
	v_mul_f64 v[16:17], v[196:197], v[66:67]
	s_waitcnt vmcnt(49) lgkmcnt(1)
	v_mul_f64 v[20:21], v[204:205], v[60:61]
	s_waitcnt vmcnt(47)
	v_fmac_f64_e32 v[6:7], v[118:119], v[74:75]
	v_add_f64 v[2:3], v[2:3], v[6:7]
	s_waitcnt vmcnt(45)
	v_fmac_f64_e32 v[8:9], v[174:175], v[72:73]
	v_add_f64 v[2:3], v[2:3], v[8:9]
	;; [unrolled: 3-line block ×3, first 2 shown]
	v_add_f64 v[2:3], v[2:3], v[12:13]
	v_add_f64 v[2:3], v[2:3], v[14:15]
	s_waitcnt vmcnt(41)
	v_fmac_f64_e32 v[16:17], v[198:199], v[68:69]
	v_add_f64 v[2:3], v[2:3], v[16:17]
	s_waitcnt vmcnt(40)
	v_fmac_f64_e32 v[18:19], v[202:203], v[62:63]
	v_add_f64 v[2:3], v[2:3], v[18:19]
	s_waitcnt vmcnt(34)
	v_fmac_f64_e32 v[20:21], v[206:207], v[98:99]
	v_add_f64 v[2:3], v[2:3], v[20:21]
	v_fma_f64 v[74:75], v[116:117], v[74:75], -v[42:43]
	v_mul_f64 v[42:43], v[174:175], v[178:179]
	v_fma_f64 v[214:215], v[172:173], v[72:73], -v[42:43]
	s_waitcnt vmcnt(0)
	v_pk_mov_b32 v[14:15], v[4:5], v[4:5] op_sel:[0,1]
	buffer_load_dword v5, off, s[0:3], 0 offset:468
	buffer_load_dword v4, off, s[0:3], 0 offset:464
	v_accvgpr_write_b32 a173, v15
	v_accvgpr_write_b32 a172, v14
	s_waitcnt vmcnt(0)
	v_pk_mov_b32 v[16:17], v[4:5], v[4:5] op_sel:[0,1]
	buffer_load_dword v95, off, s[0:3], 0 offset:460
	buffer_load_dword v94, off, s[0:3], 0 offset:456
	;; [unrolled: 1-line block ×6, first 2 shown]
	v_accvgpr_write_b32 a175, v17
	v_accvgpr_write_b32 a174, v16
	s_waitcnt vmcnt(0)
	v_pk_mov_b32 v[22:23], v[4:5], v[4:5] op_sel:[0,1]
	buffer_load_dword v5, off, s[0:3], 0 offset:500
	buffer_load_dword v4, off, s[0:3], 0 offset:496
	v_accvgpr_write_b32 a179, v23
	v_accvgpr_write_b32 a178, v22
	s_waitcnt vmcnt(0)
	v_pk_mov_b32 v[24:25], v[4:5], v[4:5] op_sel:[0,1]
	buffer_load_dword v5, off, s[0:3], 0 offset:492
	buffer_load_dword v4, off, s[0:3], 0 offset:488
	;; [unrolled: 6-line block ×3, first 2 shown]
	buffer_load_dword v5, off, s[0:3], 0 offset:540
	buffer_load_dword v4, off, s[0:3], 0 offset:536
	v_accvgpr_write_b32 a177, v19
	v_accvgpr_write_b32 a176, v18
	s_waitcnt vmcnt(0)
	v_pk_mov_b32 v[30:31], v[4:5], v[4:5] op_sel:[0,1]
	buffer_load_dword v5, off, s[0:3], 0 offset:532
	buffer_load_dword v4, off, s[0:3], 0 offset:528
	v_accvgpr_write_b32 a183, v31
	v_accvgpr_write_b32 a182, v30
	s_waitcnt vmcnt(0)
	v_pk_mov_b32 v[32:33], v[4:5], v[4:5] op_sel:[0,1]
	buffer_load_dword v149, off, s[0:3], 0 offset:524
	buffer_load_dword v148, off, s[0:3], 0 offset:520
	;; [unrolled: 1-line block ×6, first 2 shown]
	v_accvgpr_write_b32 a185, v33
	v_accvgpr_write_b32 a184, v32
	s_waitcnt vmcnt(0)
	v_pk_mov_b32 v[164:165], v[4:5], v[4:5] op_sel:[0,1]
	buffer_load_dword v5, off, s[0:3], 0 offset:564
	buffer_load_dword v4, off, s[0:3], 0 offset:560
	v_accvgpr_write_b32 a187, v165
	v_accvgpr_write_b32 a186, v164
	s_waitcnt vmcnt(0)
	v_pk_mov_b32 v[166:167], v[4:5], v[4:5] op_sel:[0,1]
	buffer_load_dword v153, off, s[0:3], 0 offset:556
	buffer_load_dword v152, off, s[0:3], 0 offset:552
	;; [unrolled: 1-line block ×6, first 2 shown]
	v_accvgpr_write_b32 a189, v167
	v_accvgpr_write_b32 a188, v166
	s_waitcnt vmcnt(0)
	v_pk_mov_b32 v[168:169], v[4:5], v[4:5] op_sel:[0,1]
	buffer_load_dword v5, off, s[0:3], 0 offset:596
	buffer_load_dword v4, off, s[0:3], 0 offset:592
	;; [unrolled: 1-line block ×14, first 2 shown]
	ds_read_b128 v[216:219], v1 offset:1216
	ds_read_b128 v[220:223], v1 offset:1232
	ds_read_b128 v[224:227], v1 offset:1248
	ds_read_b128 v[228:231], v1 offset:1264
	ds_read_b128 v[232:235], v1 offset:1280
	ds_read_b128 v[236:239], v1 offset:1296
	ds_read_b128 v[240:243], v1 offset:1312
	ds_read_b128 v[244:247], v1 offset:1328
	ds_read_b128 v[248:251], v1 offset:1344
	ds_read_b128 v[140:143], v1 offset:1360
	ds_read_b128 v[136:139], v1 offset:1376
	ds_read_b128 v[132:135], v1 offset:1392
	ds_read_b128 v[128:131], v1 offset:1408
	ds_read_b128 v[124:127], v1 offset:1424
	s_waitcnt lgkmcnt(5)
	v_mul_f64 v[8:9], v[248:249], v[94:95]
	v_fmac_f64_e32 v[8:9], v[250:251], v[96:97]
	s_waitcnt lgkmcnt(4)
	v_mul_f64 v[12:13], v[140:141], v[14:15]
	v_fmac_f64_e32 v[12:13], v[142:143], v[16:17]
	s_waitcnt lgkmcnt(3)
	v_mul_f64 v[16:17], v[136:137], v[18:19]
	ds_read_b128 v[120:123], v1 offset:1440
	v_fmac_f64_e32 v[16:17], v[138:139], v[144:145]
	s_waitcnt lgkmcnt(3)
	v_mul_f64 v[20:21], v[132:133], v[22:23]
	v_fmac_f64_e32 v[20:21], v[134:135], v[24:25]
	s_waitcnt lgkmcnt(2)
	v_mul_f64 v[24:25], v[128:129], v[148:149]
	;; [unrolled: 3-line block ×3, first 2 shown]
	v_fmac_f64_e32 v[28:29], v[126:127], v[32:33]
	v_accvgpr_write_b32 a191, v169
	v_accvgpr_write_b32 a190, v168
	v_mul_f64 v[94:95], v[250:251], v[94:95]
	v_fma_f64 v[250:251], v[248:249], v[96:97], -v[94:95]
	s_waitcnt vmcnt(6)
	v_accvgpr_write_b32 a195, v53
	v_accvgpr_write_b32 a194, v52
	v_pk_mov_b32 v[170:171], v[4:5], v[4:5] op_sel:[0,1]
	v_mul_f64 v[4:5], v[208:209], v[76:77]
	v_fmac_f64_e32 v[4:5], v[210:211], v[82:83]
	v_add_f64 v[2:3], v[2:3], v[4:5]
	v_mul_f64 v[4:5], v[216:217], v[84:85]
	v_fmac_f64_e32 v[4:5], v[218:219], v[252:253]
	v_add_f64 v[2:3], v[2:3], v[4:5]
	;; [unrolled: 3-line block ×9, first 2 shown]
	v_add_f64 v[10:11], v[6:7], v[8:9]
	v_add_f64 v[14:15], v[10:11], v[12:13]
	;; [unrolled: 1-line block ×6, first 2 shown]
	ds_read_b128 v[26:29], v1 offset:1456
	s_waitcnt lgkmcnt(1)
	v_mul_f64 v[32:33], v[120:121], v[152:153]
	v_fmac_f64_e32 v[32:33], v[122:123], v[154:155]
	v_add_f64 v[34:35], v[30:31], v[32:33]
	ds_read_b128 v[30:33], v1 offset:1472
	s_waitcnt lgkmcnt(1)
	v_mul_f64 v[36:37], v[26:27], v[164:165]
	v_fmac_f64_e32 v[36:37], v[28:29], v[166:167]
	v_add_f64 v[164:165], v[34:35], v[36:37]
	ds_read_b128 v[34:37], v1 offset:1488
	s_waitcnt lgkmcnt(1)
	v_mul_f64 v[4:5], v[30:31], v[156:157]
	v_fmac_f64_e32 v[4:5], v[32:33], v[158:159]
	v_fma_f64 v[18:19], v[108:109], v[38:39], -v[40:41]
	ds_read_b128 v[38:41], v1 offset:1504
	v_add_f64 v[4:5], v[164:165], v[4:5]
	buffer_load_dword v165, off, s[0:3], 0 offset:652
	buffer_load_dword v164, off, s[0:3], 0 offset:648
	;; [unrolled: 1-line block ×4, first 2 shown]
	s_waitcnt lgkmcnt(1)
	v_mul_f64 v[108:109], v[34:35], v[168:169]
	v_accvgpr_write_b32 a193, v171
	v_fmac_f64_e32 v[108:109], v[36:37], v[170:171]
	v_accvgpr_write_b32 a192, v170
	buffer_load_dword v22, off, s[0:3], 0 offset:664
	buffer_load_dword v170, off, s[0:3], 0 offset:656
	;; [unrolled: 1-line block ×12, first 2 shown]
	v_fma_f64 v[168:169], v[112:113], v[44:45], -v[46:47]
	v_mul_f64 v[46:47], v[184:185], v[48:49]
	ds_read_b128 v[42:45], v1 offset:1520
	v_fma_f64 v[14:15], v[182:183], v[50:51], -v[46:47]
	buffer_load_dword v118, off, s[0:3], 0 offset:728
	buffer_load_dword v183, off, s[0:3], 0 offset:716
	;; [unrolled: 1-line block ×5, first 2 shown]
	v_mul_f64 v[8:9], v[188:189], v[190:191]
	v_fma_f64 v[10:11], v[186:187], v[70:71], -v[8:9]
	buffer_load_dword v186, off, s[0:3], 0 offset:720
	buffer_load_dword v119, off, s[0:3], 0 offset:732
	buffer_load_dword v187, off, s[0:3], 0 offset:724
	buffer_load_dword v189, off, s[0:3], 0 offset:748
	buffer_load_dword v188, off, s[0:3], 0 offset:744
	buffer_load_dword v191, off, s[0:3], 0 offset:740
	buffer_load_dword v190, off, s[0:3], 0 offset:736
	v_mul_f64 v[12:13], v[198:199], v[66:67]
	v_mul_f64 v[46:47], v[194:195], v[56:57]
	v_fma_f64 v[12:13], v[196:197], v[68:69], -v[12:13]
	buffer_load_dword v194, off, s[0:3], 0 offset:760
	buffer_load_dword v196, off, s[0:3], 0 offset:752
	buffer_load_dword v195, off, s[0:3], 0 offset:764
	buffer_load_dword v197, off, s[0:3], 0 offset:756
	v_fma_f64 v[8:9], v[192:193], v[54:55], -v[46:47]
	v_mul_f64 v[46:47], v[202:203], v[64:65]
	v_fma_f64 v[6:7], v[200:201], v[62:63], -v[46:47]
	buffer_load_dword v193, off, s[0:3], 0 offset:796
	buffer_load_dword v199, off, s[0:3], 0 offset:780
	;; [unrolled: 1-line block ×8, first 2 shown]
	v_add_f64 v[4:5], v[4:5], v[108:109]
	s_waitcnt vmcnt(42) lgkmcnt(1)
	v_mul_f64 v[108:109], v[38:39], v[160:161]
	s_waitcnt vmcnt(40)
	v_fmac_f64_e32 v[108:109], v[40:41], v[162:163]
	v_mul_f64 v[50:51], v[206:207], v[60:61]
	v_add_f64 v[108:109], v[4:5], v[108:109]
	ds_read_b128 v[46:49], v1 offset:1536
	v_fma_f64 v[4:5], v[204:205], v[98:99], -v[50:51]
	buffer_load_dword v205, off, s[0:3], 0 offset:812
	buffer_load_dword v204, off, s[0:3], 0 offset:808
	;; [unrolled: 1-line block ×4, first 2 shown]
	v_mul_f64 v[20:21], v[210:211], v[76:77]
	v_fma_f64 v[20:21], v[208:209], v[82:83], -v[20:21]
	buffer_load_dword v208, off, s[0:3], 0 offset:824
	buffer_load_dword v210, off, s[0:3], 0 offset:816
	;; [unrolled: 1-line block ×8, first 2 shown]
	v_mul_f64 v[50:51], v[218:219], v[84:85]
	v_fma_f64 v[252:253], v[216:217], v[252:253], -v[50:51]
	buffer_load_dword v216, off, s[0:3], 0 offset:856
	buffer_load_dword v218, off, s[0:3], 0 offset:848
	;; [unrolled: 1-line block ×4, first 2 shown]
	s_waitcnt lgkmcnt(1)
	v_mul_f64 v[16:17], v[42:43], v[52:53]
	v_fmac_f64_e32 v[16:17], v[44:45], v[146:147]
	v_add_f64 v[16:17], v[108:109], v[16:17]
	v_mul_f64 v[54:55], v[222:223], v[78:79]
	v_fma_f64 v[220:221], v[220:221], v[80:81], -v[54:55]
	v_mul_f64 v[64:65], v[226:227], v[254:255]
	v_fma_f64 v[176:177], v[224:225], v[176:177], -v[64:65]
	ds_read_b128 v[224:227], v1 offset:1584
	v_mul_f64 v[66:67], v[230:231], v[104:105]
	v_fma_f64 v[254:255], v[228:229], v[106:107], -v[66:67]
	ds_read_b128 v[66:69], v1 offset:1616
	v_mul_f64 v[58:59], v[234:235], v[58:59]
	ds_read_b128 v[228:231], v1 offset:1648
	v_fma_f64 v[58:59], v[232:233], v[212:213], -v[58:59]
	v_mul_f64 v[82:83], v[242:243], v[100:101]
	ds_read_b128 v[54:57], v1 offset:1568
	v_fma_f64 v[2:3], v[240:241], v[102:103], -v[82:83]
	ds_read_b128 v[82:85], v1 offset:1680
	v_add_f64 v[18:19], v[18:19], 0
	v_add_f64 v[18:19], v[18:19], v[168:169]
	v_add_f64 v[18:19], v[18:19], v[74:75]
	v_add_f64 v[18:19], v[18:19], v[214:215]
	v_add_f64 v[14:15], v[18:19], v[14:15]
	v_add_f64 v[10:11], v[14:15], v[10:11]
	v_add_f64 v[8:9], v[10:11], v[8:9]
	v_add_f64 v[8:9], v[8:9], v[12:13]
	ds_read_b128 v[70:73], v1 offset:1632
	v_add_f64 v[6:7], v[8:9], v[6:7]
	v_add_f64 v[4:5], v[6:7], v[4:5]
	;; [unrolled: 1-line block ×8, first 2 shown]
	v_accvgpr_read_b32 v6, a174
	v_accvgpr_read_b32 v7, a175
	ds_read_b128 v[94:97], v1 offset:1728
	s_waitcnt vmcnt(54) lgkmcnt(7)
	v_mul_f64 v[50:51], v[46:47], v[164:165]
	s_waitcnt vmcnt(52)
	v_fmac_f64_e32 v[50:51], v[48:49], v[166:167]
	v_add_f64 v[16:17], v[16:17], v[50:51]
	ds_read_b128 v[50:53], v1 offset:1552
	s_waitcnt vmcnt(49) lgkmcnt(0)
	v_mul_f64 v[62:63], v[50:51], v[22:23]
	s_waitcnt vmcnt(48)
	v_fmac_f64_e32 v[62:63], v[52:53], v[170:171]
	v_add_f64 v[16:17], v[16:17], v[62:63]
	s_waitcnt vmcnt(45)
	v_mul_f64 v[62:63], v[54:55], v[174:175]
	s_waitcnt vmcnt(43)
	v_fmac_f64_e32 v[62:63], v[56:57], v[180:181]
	v_add_f64 v[16:17], v[16:17], v[62:63]
	s_waitcnt vmcnt(42)
	v_mul_f64 v[62:63], v[224:225], v[172:173]
	s_waitcnt vmcnt(40)
	v_fmac_f64_e32 v[62:63], v[226:227], v[178:179]
	v_add_f64 v[16:17], v[16:17], v[62:63]
	ds_read_b128 v[62:65], v1 offset:1600
	s_waitcnt vmcnt(37) lgkmcnt(0)
	v_mul_f64 v[78:79], v[62:63], v[182:183]
	s_waitcnt vmcnt(35)
	v_fmac_f64_e32 v[78:79], v[64:65], v[184:185]
	v_add_f64 v[16:17], v[16:17], v[78:79]
	s_waitcnt vmcnt(33)
	v_mul_f64 v[78:79], v[66:67], v[118:119]
	s_waitcnt vmcnt(32)
	v_fmac_f64_e32 v[78:79], v[68:69], v[186:187]
	v_add_f64 v[16:17], v[16:17], v[78:79]
	s_waitcnt vmcnt(30)
	v_mul_f64 v[78:79], v[70:71], v[188:189]
	s_waitcnt vmcnt(28)
	v_fmac_f64_e32 v[78:79], v[72:73], v[190:191]
	v_add_f64 v[16:17], v[16:17], v[78:79]
	v_mul_f64 v[78:79], v[238:239], v[86:87]
	v_fma_f64 v[212:213], v[236:237], v[88:89], -v[78:79]
	ds_read_b128 v[78:81], v1 offset:1664
	s_waitcnt vmcnt(25)
	v_mul_f64 v[86:87], v[228:229], v[194:195]
	s_waitcnt vmcnt(24)
	v_fmac_f64_e32 v[86:87], v[230:231], v[196:197]
	v_add_f64 v[16:17], v[16:17], v[86:87]
	ds_read_b128 v[86:89], v1 offset:1696
	s_waitcnt vmcnt(21) lgkmcnt(1)
	v_mul_f64 v[24:25], v[78:79], v[198:199]
	s_waitcnt vmcnt(19)
	v_fmac_f64_e32 v[24:25], v[80:81], v[202:203]
	v_add_f64 v[16:17], v[16:17], v[24:25]
	s_waitcnt vmcnt(18)
	v_mul_f64 v[24:25], v[82:83], v[192:193]
	s_waitcnt vmcnt(16)
	v_fmac_f64_e32 v[24:25], v[84:85], v[200:201]
	v_add_f64 v[16:17], v[16:17], v[24:25]
	v_mul_f64 v[24:25], v[246:247], v[90:91]
	v_fma_f64 v[24:25], v[244:245], v[92:93], -v[24:25]
	ds_read_b128 v[90:93], v1 offset:1712
	s_waitcnt vmcnt(14) lgkmcnt(1)
	v_mul_f64 v[98:99], v[86:87], v[204:205]
	s_waitcnt vmcnt(12)
	v_fmac_f64_e32 v[98:99], v[88:89], v[206:207]
	v_add_f64 v[16:17], v[16:17], v[98:99]
	v_add_f64 v[4:5], v[4:5], v[212:213]
	s_waitcnt vmcnt(9) lgkmcnt(0)
	v_mul_f64 v[98:99], v[90:91], v[208:209]
	s_waitcnt vmcnt(8)
	v_fmac_f64_e32 v[98:99], v[92:93], v[210:211]
	v_add_f64 v[16:17], v[16:17], v[98:99]
	s_waitcnt vmcnt(6)
	v_mul_f64 v[98:99], v[94:95], v[60:61]
	s_waitcnt vmcnt(4)
	v_fmac_f64_e32 v[98:99], v[96:97], v[76:77]
	v_add_f64 v[16:17], v[16:17], v[98:99]
	ds_read_b128 v[98:101], v1 offset:1744
	v_add_f64 v[2:3], v[4:5], v[2:3]
	v_accvgpr_read_b32 v4, a172
	v_accvgpr_read_b32 v5, a173
	v_add_f64 v[252:253], v[2:3], v[24:25]
	s_waitcnt vmcnt(1) lgkmcnt(0)
	v_mul_f64 v[102:103], v[98:99], v[216:217]
	s_waitcnt vmcnt(0)
	v_fmac_f64_e32 v[102:103], v[100:101], v[218:219]
	v_add_f64 v[106:107], v[16:17], v[102:103]
	buffer_load_dword v17, off, s[0:3], 0 offset:876
	buffer_load_dword v16, off, s[0:3], 0 offset:872
	;; [unrolled: 1-line block ×4, first 2 shown]
	ds_read_b128 v[102:105], v1 offset:1760
	buffer_load_dword v232, off, s[0:3], 0 offset:888
	buffer_load_dword v233, off, s[0:3], 0 offset:892
	;; [unrolled: 1-line block ×4, first 2 shown]
	v_mul_f64 v[4:5], v[142:143], v[4:5]
	v_add_f64 v[2:3], v[252:253], v[250:251]
	v_fma_f64 v[4:5], v[140:141], v[6:7], -v[4:5]
	v_add_f64 v[2:3], v[2:3], v[4:5]
	v_accvgpr_read_b32 v4, a176
	v_accvgpr_read_b32 v5, a177
	v_mul_f64 v[4:5], v[138:139], v[4:5]
	v_fma_f64 v[4:5], v[136:137], v[144:145], -v[4:5]
	v_add_f64 v[2:3], v[2:3], v[4:5]
	v_accvgpr_read_b32 v4, a178
	v_accvgpr_read_b32 v5, a179
	v_accvgpr_read_b32 v6, a180
	v_mul_f64 v[4:5], v[134:135], v[4:5]
	v_accvgpr_read_b32 v7, a181
	v_fma_f64 v[4:5], v[132:133], v[6:7], -v[4:5]
	v_add_f64 v[2:3], v[2:3], v[4:5]
	v_mul_f64 v[4:5], v[130:131], v[148:149]
	v_fma_f64 v[4:5], v[128:129], v[150:151], -v[4:5]
	v_add_f64 v[2:3], v[2:3], v[4:5]
	v_accvgpr_read_b32 v4, a182
	v_accvgpr_read_b32 v5, a183
	v_accvgpr_read_b32 v6, a184
	v_mul_f64 v[4:5], v[126:127], v[4:5]
	v_accvgpr_read_b32 v7, a185
	v_fma_f64 v[4:5], v[124:125], v[6:7], -v[4:5]
	v_add_f64 v[2:3], v[2:3], v[4:5]
	;; [unrolled: 10-line block ×4, first 2 shown]
	v_mul_f64 v[4:5], v[40:41], v[160:161]
	v_fma_f64 v[4:5], v[38:39], v[162:163], -v[4:5]
	v_add_f64 v[2:3], v[2:3], v[4:5]
	v_accvgpr_read_b32 v4, a194
	v_accvgpr_read_b32 v5, a195
	v_mul_f64 v[4:5], v[44:45], v[4:5]
	v_fma_f64 v[4:5], v[42:43], v[146:147], -v[4:5]
	v_add_f64 v[2:3], v[2:3], v[4:5]
	v_mul_f64 v[4:5], v[48:49], v[164:165]
	v_fma_f64 v[4:5], v[46:47], v[166:167], -v[4:5]
	v_add_f64 v[2:3], v[2:3], v[4:5]
	;; [unrolled: 3-line block ×8, first 2 shown]
	s_waitcnt vmcnt(6) lgkmcnt(0)
	v_mul_f64 v[108:109], v[102:103], v[16:17]
	v_mul_f64 v[4:5], v[230:231], v[194:195]
	s_waitcnt vmcnt(4)
	v_fmac_f64_e32 v[108:109], v[104:105], v[222:223]
	v_add_f64 v[110:111], v[106:107], v[108:109]
	ds_read_b128 v[106:109], v1 offset:1776
	buffer_load_dword v237, off, s[0:3], 0 offset:908
	buffer_load_dword v236, off, s[0:3], 0 offset:904
	;; [unrolled: 1-line block ×4, first 2 shown]
	v_fma_f64 v[4:5], v[228:229], v[196:197], -v[4:5]
	v_add_f64 v[2:3], v[2:3], v[4:5]
	v_mul_f64 v[4:5], v[80:81], v[198:199]
	s_waitcnt vmcnt(6) lgkmcnt(0)
	v_mul_f64 v[112:113], v[106:107], v[232:233]
	s_waitcnt vmcnt(4)
	v_fmac_f64_e32 v[112:113], v[108:109], v[234:235]
	v_add_f64 v[114:115], v[110:111], v[112:113]
	ds_read_b128 v[110:113], v1 offset:1792
	buffer_load_dword v242, off, s[0:3], 0 offset:920
	buffer_load_dword v243, off, s[0:3], 0 offset:924
	;; [unrolled: 1-line block ×4, first 2 shown]
	v_fma_f64 v[4:5], v[78:79], v[202:203], -v[4:5]
	v_add_f64 v[2:3], v[2:3], v[4:5]
	v_mul_f64 v[4:5], v[84:85], v[192:193]
	v_fma_f64 v[4:5], v[82:83], v[200:201], -v[4:5]
	v_add_f64 v[2:3], v[2:3], v[4:5]
	v_mul_f64 v[4:5], v[88:89], v[204:205]
	;; [unrolled: 3-line block ×7, first 2 shown]
	v_fma_f64 v[4:5], v[106:107], v[234:235], -v[4:5]
	v_add_f64 v[2:3], v[2:3], v[4:5]
	s_waitcnt vmcnt(6) lgkmcnt(0)
	v_mul_f64 v[116:117], v[110:111], v[236:237]
	v_mul_f64 v[4:5], v[112:113], v[236:237]
	s_waitcnt vmcnt(4)
	v_fmac_f64_e32 v[116:117], v[112:113], v[238:239]
	v_add_f64 v[240:241], v[114:115], v[116:117]
	ds_read_b128 v[114:117], v1 offset:1808
	buffer_load_dword v248, off, s[0:3], 0 offset:128
	buffer_load_dword v249, off, s[0:3], 0 offset:132
	v_fma_f64 v[4:5], v[110:111], v[238:239], -v[4:5]
	v_add_f64 v[2:3], v[2:3], v[4:5]
	s_waitcnt vmcnt(4) lgkmcnt(0)
	v_mul_f64 v[246:247], v[114:115], v[242:243]
	s_waitcnt vmcnt(2)
	v_fmac_f64_e32 v[246:247], v[116:117], v[244:245]
	v_add_f64 v[240:241], v[240:241], v[246:247]
	buffer_load_dword v246, off, s[0:3], 0 offset:136
	buffer_load_dword v247, off, s[0:3], 0 offset:140
	v_mul_f64 v[4:5], v[116:117], v[242:243]
	v_fma_f64 v[4:5], v[114:115], v[244:245], -v[4:5]
	v_add_f64 v[2:3], v[2:3], v[4:5]
	s_waitcnt vmcnt(2)
	v_add_f64 v[2:3], v[248:249], -v[2:3]
	s_waitcnt vmcnt(0)
	v_add_f64 v[4:5], v[246:247], -v[240:241]
	buffer_store_dword v3, off, s[0:3], 0 offset:132
	buffer_store_dword v2, off, s[0:3], 0 offset:128
	;; [unrolled: 1-line block ×4, first 2 shown]
	s_and_saveexec_b64 s[4:5], vcc
	s_cbranch_execz .LBB120_343
; %bb.342:
	v_accvgpr_read_b32 v0, a164
	buffer_load_dword v2, v0, s[0:3], 0 offen
	buffer_load_dword v3, v0, s[0:3], 0 offen offset:4
	buffer_load_dword v4, v0, s[0:3], 0 offen offset:8
	;; [unrolled: 1-line block ×3, first 2 shown]
	v_accvgpr_read_b32 v0, a171
	buffer_store_dword v1, off, s[0:3], 0 offset:112
	buffer_store_dword v1, off, s[0:3], 0 offset:116
	;; [unrolled: 1-line block ×4, first 2 shown]
	s_waitcnt vmcnt(4)
	ds_write_b128 v0, v[2:5]
.LBB120_343:
	s_or_b64 exec, exec, s[4:5]
	s_waitcnt lgkmcnt(0)
	; wave barrier
	s_waitcnt lgkmcnt(0)
	buffer_load_dword v176, off, s[0:3], 0 offset:128
	buffer_load_dword v177, off, s[0:3], 0 offset:132
	;; [unrolled: 1-line block ×42, first 2 shown]
	ds_read_b128 v[42:45], v1 offset:1024
	ds_read_b128 v[108:111], v1 offset:1040
	;; [unrolled: 1-line block ×10, first 2 shown]
	buffer_load_dword v201, off, s[0:3], 0 offset:276
	buffer_load_dword v200, off, s[0:3], 0 offset:272
	ds_read_b128 v[46:49], v1 offset:1184
	buffer_load_dword v85, off, s[0:3], 0 offset:332
	buffer_load_dword v84, off, s[0:3], 0 offset:328
	;; [unrolled: 1-line block ×6, first 2 shown]
	s_waitcnt vmcnt(46) lgkmcnt(10)
	v_mul_f64 v[2:3], v[42:43], v[36:37]
	v_fmac_f64_e32 v[2:3], v[44:45], v[176:177]
	v_add_f64 v[2:3], v[2:3], 0
	v_mul_f64 v[36:37], v[44:45], v[36:37]
	s_waitcnt vmcnt(42) lgkmcnt(9)
	v_mul_f64 v[4:5], v[108:109], v[40:41]
	v_fmac_f64_e32 v[4:5], v[110:111], v[38:39]
	v_add_f64 v[2:3], v[2:3], v[4:5]
	buffer_load_dword v211, off, s[0:3], 0 offset:308
	buffer_load_dword v210, off, s[0:3], 0 offset:304
	;; [unrolled: 1-line block ×36, first 2 shown]
	s_waitcnt vmcnt(62) lgkmcnt(8)
	v_mul_f64 v[6:7], v[112:113], v[160:161]
	s_waitcnt lgkmcnt(6)
	v_mul_f64 v[10:11], v[170:171], v[52:53]
	v_fmac_f64_e32 v[10:11], v[172:173], v[54:55]
	v_mul_f64 v[40:41], v[110:111], v[40:41]
	v_mul_f64 v[8:9], v[116:117], v[56:57]
	v_fma_f64 v[108:109], v[108:109], v[38:39], -v[40:41]
	s_waitcnt lgkmcnt(4)
	v_mul_f64 v[14:15], v[184:185], v[202:203]
	v_mul_f64 v[110:111], v[114:115], v[160:161]
	v_fmac_f64_e32 v[14:15], v[186:187], v[60:61]
	v_mul_f64 v[52:53], v[172:173], v[52:53]
	v_mul_f64 v[12:13], v[180:181], v[62:63]
	s_waitcnt lgkmcnt(2)
	v_mul_f64 v[18:19], v[192:193], v[64:65]
	s_waitcnt vmcnt(59)
	v_mul_f64 v[16:17], v[188:189], v[70:71]
	s_waitcnt vmcnt(57) lgkmcnt(1)
	v_mul_f64 v[20:21], v[196:197], v[68:69]
	s_waitcnt vmcnt(55)
	v_fmac_f64_e32 v[6:7], v[114:115], v[78:79]
	v_add_f64 v[2:3], v[2:3], v[6:7]
	s_waitcnt vmcnt(53)
	v_fmac_f64_e32 v[8:9], v[118:119], v[76:77]
	v_add_f64 v[2:3], v[2:3], v[8:9]
	;; [unrolled: 3-line block ×3, first 2 shown]
	v_add_f64 v[2:3], v[2:3], v[12:13]
	s_waitcnt vmcnt(49)
	v_fmac_f64_e32 v[16:17], v[190:191], v[72:73]
	v_add_f64 v[2:3], v[2:3], v[14:15]
	s_waitcnt vmcnt(48)
	v_fmac_f64_e32 v[18:19], v[194:195], v[66:67]
	v_add_f64 v[2:3], v[2:3], v[16:17]
	v_add_f64 v[2:3], v[2:3], v[18:19]
	s_waitcnt vmcnt(42)
	v_fmac_f64_e32 v[20:21], v[198:199], v[200:201]
	v_add_f64 v[2:3], v[2:3], v[20:21]
	s_waitcnt vmcnt(0)
	v_pk_mov_b32 v[18:19], v[4:5], v[4:5] op_sel:[0,1]
	buffer_load_dword v5, off, s[0:3], 0 offset:484
	buffer_load_dword v4, off, s[0:3], 0 offset:480
	v_accvgpr_write_b32 a177, v19
	v_accvgpr_write_b32 a176, v18
	s_waitcnt vmcnt(0)
	v_pk_mov_b32 v[22:23], v[4:5], v[4:5] op_sel:[0,1]
	buffer_load_dword v5, off, s[0:3], 0 offset:476
	buffer_load_dword v4, off, s[0:3], 0 offset:472
	v_accvgpr_write_b32 a179, v23
	v_accvgpr_write_b32 a178, v22
	;; [unrolled: 6-line block ×12, first 2 shown]
	s_waitcnt vmcnt(0)
	v_pk_mov_b32 v[168:169], v[4:5], v[4:5] op_sel:[0,1]
	buffer_load_dword v5, off, s[0:3], 0 offset:580
	buffer_load_dword v4, off, s[0:3], 0 offset:576
	s_waitcnt vmcnt(0)
	v_pk_mov_b32 v[174:175], v[4:5], v[4:5] op_sel:[0,1]
	buffer_load_dword v153, off, s[0:3], 0 offset:572
	buffer_load_dword v152, off, s[0:3], 0 offset:568
	;; [unrolled: 1-line block ×12, first 2 shown]
	ds_read_b128 v[204:207], v1 offset:1200
	ds_read_b128 v[216:219], v1 offset:1216
	ds_read_b128 v[220:223], v1 offset:1232
	ds_read_b128 v[224:227], v1 offset:1248
	ds_read_b128 v[228:231], v1 offset:1264
	ds_read_b128 v[232:235], v1 offset:1280
	ds_read_b128 v[236:239], v1 offset:1296
	ds_read_b128 v[240:243], v1 offset:1312
	ds_read_b128 v[244:247], v1 offset:1328
	ds_read_b128 v[252:255], v1 offset:1344
	ds_read_b128 v[148:151], v1 offset:1360
	ds_read_b128 v[144:147], v1 offset:1376
	ds_read_b128 v[140:143], v1 offset:1392
	ds_read_b128 v[136:139], v1 offset:1408
	s_waitcnt lgkmcnt(4)
	v_mul_f64 v[8:9], v[252:253], v[94:95]
	ds_read_b128 v[132:135], v1 offset:1424
	ds_read_b128 v[128:131], v1 offset:1440
	v_fmac_f64_e32 v[8:9], v[254:255], v[96:97]
	s_waitcnt lgkmcnt(5)
	v_mul_f64 v[12:13], v[148:149], v[14:15]
	v_fmac_f64_e32 v[12:13], v[150:151], v[16:17]
	s_waitcnt lgkmcnt(4)
	v_mul_f64 v[16:17], v[144:145], v[18:19]
	;; [unrolled: 3-line block ×5, first 2 shown]
	ds_read_b128 v[124:127], v1 offset:1456
	v_fmac_f64_e32 v[28:29], v[134:135], v[120:121]
	ds_read_b128 v[120:123], v1 offset:1472
	s_waitcnt lgkmcnt(2)
	v_mul_f64 v[32:33], v[128:129], v[164:165]
	v_fmac_f64_e32 v[32:33], v[130:131], v[166:167]
	v_accvgpr_write_b32 a197, v175
	v_accvgpr_write_b32 a196, v174
	v_mul_f64 v[94:95], v[254:255], v[94:95]
	v_fma_f64 v[252:253], v[252:253], v[96:97], -v[94:95]
	s_waitcnt vmcnt(6)
	v_pk_mov_b32 v[214:215], v[4:5], v[4:5] op_sel:[0,1]
	v_mul_f64 v[4:5], v[46:47], v[80:81]
	v_fmac_f64_e32 v[4:5], v[48:49], v[82:83]
	v_add_f64 v[2:3], v[2:3], v[4:5]
	v_mul_f64 v[4:5], v[204:205], v[208:209]
	v_fmac_f64_e32 v[4:5], v[206:207], v[210:211]
	v_add_f64 v[2:3], v[2:3], v[4:5]
	;; [unrolled: 3-line block ×10, first 2 shown]
	v_add_f64 v[10:11], v[6:7], v[8:9]
	v_add_f64 v[14:15], v[10:11], v[12:13]
	;; [unrolled: 1-line block ×7, first 2 shown]
	ds_read_b128 v[30:33], v1 offset:1488
	s_waitcnt lgkmcnt(2)
	v_mul_f64 v[4:5], v[124:125], v[152:153]
	v_fma_f64 v[26:27], v[42:43], v[176:177], -v[36:37]
	v_fmac_f64_e32 v[4:5], v[126:127], v[154:155]
	s_waitcnt lgkmcnt(1)
	v_mul_f64 v[42:43], v[120:121], v[168:169]
	v_add_f64 v[4:5], v[164:165], v[4:5]
	v_fmac_f64_e32 v[42:43], v[122:123], v[174:175]
	v_add_f64 v[4:5], v[4:5], v[42:43]
	s_waitcnt vmcnt(2) lgkmcnt(0)
	v_mul_f64 v[42:43], v[30:31], v[156:157]
	s_waitcnt vmcnt(0)
	v_fmac_f64_e32 v[42:43], v[32:33], v[158:159]
	v_add_f64 v[4:5], v[4:5], v[42:43]
	ds_read_b128 v[42:45], v1 offset:1504
	ds_read_b128 v[38:41], v1 offset:1520
	buffer_load_dword v160, off, s[0:3], 0 offset:648
	buffer_load_dword v165, off, s[0:3], 0 offset:636
	;; [unrolled: 1-line block ×5, first 2 shown]
	v_pk_mov_b32 v[36:37], v[168:169], v[168:169] op_sel:[0,1]
	v_mul_f64 v[8:9], v[118:119], v[56:57]
	buffer_load_dword v168, off, s[0:3], 0 offset:640
	buffer_load_dword v161, off, s[0:3], 0 offset:652
	;; [unrolled: 1-line block ×5, first 2 shown]
	v_fma_f64 v[14:15], v[170:171], v[54:55], -v[52:53]
	buffer_load_dword v177, off, s[0:3], 0 offset:668
	buffer_load_dword v176, off, s[0:3], 0 offset:664
	;; [unrolled: 1-line block ×7, first 2 shown]
	v_mul_f64 v[12:13], v[182:183], v[62:63]
	v_fma_f64 v[12:13], v[180:181], v[74:75], -v[12:13]
	buffer_load_dword v172, off, s[0:3], 0 offset:704
	buffer_load_dword v181, off, s[0:3], 0 offset:700
	;; [unrolled: 1-line block ×7, first 2 shown]
	v_mul_f64 v[52:53], v[186:187], v[202:203]
	v_fma_f64 v[10:11], v[184:185], v[60:61], -v[52:53]
	buffer_load_dword v185, off, s[0:3], 0 offset:732
	buffer_load_dword v184, off, s[0:3], 0 offset:728
	;; [unrolled: 1-line block ×4, first 2 shown]
	v_mul_f64 v[52:53], v[190:191], v[70:71]
	v_mul_f64 v[20:21], v[194:195], v[64:65]
	buffer_load_dword v190, off, s[0:3], 0 offset:744
	v_fma_f64 v[20:21], v[192:193], v[66:67], -v[20:21]
	buffer_load_dword v192, off, s[0:3], 0 offset:736
	buffer_load_dword v191, off, s[0:3], 0 offset:748
	buffer_load_dword v193, off, s[0:3], 0 offset:740
	v_fma_f64 v[18:19], v[116:117], v[76:77], -v[8:9]
	v_fma_f64 v[8:9], v[188:189], v[72:73], -v[52:53]
	v_mul_f64 v[52:53], v[198:199], v[68:69]
	v_fma_f64 v[6:7], v[196:197], v[200:201], -v[52:53]
	buffer_load_dword v189, off, s[0:3], 0 offset:780
	buffer_load_dword v195, off, s[0:3], 0 offset:764
	;; [unrolled: 1-line block ×12, first 2 shown]
	v_mul_f64 v[24:25], v[48:49], v[80:81]
	v_accvgpr_write_b32 a198, v214
	v_fma_f64 v[24:25], v[46:47], v[82:83], -v[24:25]
	v_mul_f64 v[46:47], v[206:207], v[208:209]
	s_waitcnt lgkmcnt(1)
	v_mul_f64 v[16:17], v[42:43], v[214:215]
	v_accvgpr_write_b32 a199, v215
	v_fma_f64 v[2:3], v[204:205], v[210:211], -v[46:47]
	buffer_load_dword v206, off, s[0:3], 0 offset:808
	buffer_load_dword v208, off, s[0:3], 0 offset:800
	;; [unrolled: 1-line block ×12, first 2 shown]
	v_fmac_f64_e32 v[16:17], v[44:45], v[34:35]
	v_add_f64 v[4:5], v[4:5], v[16:17]
	v_mul_f64 v[16:17], v[218:219], v[84:85]
	v_fma_f64 v[16:17], v[216:217], v[86:87], -v[16:17]
	buffer_load_dword v217, off, s[0:3], 0 offset:860
	buffer_load_dword v216, off, s[0:3], 0 offset:856
	;; [unrolled: 1-line block ×4, first 2 shown]
	ds_read_b128 v[46:49], v1 offset:1536
	v_mul_f64 v[62:63], v[226:227], v[248:249]
	v_mul_f64 v[58:59], v[230:231], v[58:59]
	;; [unrolled: 1-line block ×3, first 2 shown]
	v_fma_f64 v[58:59], v[228:229], v[212:213], -v[58:59]
	v_fma_f64 v[212:213], v[232:233], v[102:103], -v[70:71]
	v_mul_f64 v[82:83], v[242:243], v[88:89]
	v_fma_f64 v[248:249], v[240:241], v[92:93], -v[82:83]
	v_fma_f64 v[22:23], v[112:113], v[78:79], -v[110:111]
	v_mul_f64 v[88:89], v[246:247], v[90:91]
	ds_read_b128 v[90:93], v1 offset:1696
	ds_read_b128 v[94:97], v1 offset:1728
	;; [unrolled: 1-line block ×4, first 2 shown]
	s_waitcnt vmcnt(57) lgkmcnt(5)
	v_mul_f64 v[28:29], v[38:39], v[164:165]
	s_waitcnt vmcnt(55)
	v_fmac_f64_e32 v[28:29], v[40:41], v[166:167]
	v_add_f64 v[4:5], v[4:5], v[28:29]
	v_mul_f64 v[28:29], v[222:223], v[162:163]
	v_fma_f64 v[28:29], v[220:221], v[50:51], -v[28:29]
	ds_read_b128 v[50:53], v1 offset:1552
	s_waitcnt vmcnt(53) lgkmcnt(5)
	v_mul_f64 v[54:55], v[46:47], v[160:161]
	s_waitcnt vmcnt(52)
	v_fmac_f64_e32 v[54:55], v[48:49], v[168:169]
	v_add_f64 v[4:5], v[4:5], v[54:55]
	ds_read_b128 v[54:57], v1 offset:1568
	v_fma_f64 v[162:163], v[224:225], v[250:251], -v[62:63]
	ds_read_b128 v[224:227], v1 offset:1584
	s_waitcnt vmcnt(48) lgkmcnt(2)
	v_mul_f64 v[62:63], v[50:51], v[176:177]
	s_waitcnt vmcnt(46)
	v_fmac_f64_e32 v[62:63], v[52:53], v[178:179]
	v_add_f64 v[4:5], v[4:5], v[62:63]
	ds_read_b128 v[62:65], v1 offset:1600
	s_waitcnt lgkmcnt(2)
	v_mul_f64 v[66:67], v[54:55], v[118:119]
	s_waitcnt vmcnt(44)
	v_fmac_f64_e32 v[66:67], v[56:57], v[174:175]
	v_add_f64 v[4:5], v[4:5], v[66:67]
	s_waitcnt vmcnt(40) lgkmcnt(1)
	v_mul_f64 v[66:67], v[224:225], v[180:181]
	s_waitcnt vmcnt(38)
	v_fmac_f64_e32 v[66:67], v[226:227], v[182:183]
	v_add_f64 v[4:5], v[4:5], v[66:67]
	s_waitcnt vmcnt(37) lgkmcnt(0)
	v_mul_f64 v[66:67], v[62:63], v[170:171]
	s_waitcnt vmcnt(36)
	v_fmac_f64_e32 v[66:67], v[64:65], v[172:173]
	v_add_f64 v[4:5], v[4:5], v[66:67]
	ds_read_b128 v[66:69], v1 offset:1616
	s_waitcnt vmcnt(29)
	v_mul_f64 v[78:79], v[70:71], v[190:191]
	s_waitcnt vmcnt(28)
	v_fmac_f64_e32 v[78:79], v[72:73], v[192:193]
	v_fma_f64 v[250:251], v[244:245], v[98:99], -v[88:89]
	s_waitcnt lgkmcnt(0)
	v_mul_f64 v[74:75], v[66:67], v[184:185]
	v_fmac_f64_e32 v[74:75], v[68:69], v[186:187]
	v_add_f64 v[4:5], v[4:5], v[74:75]
	v_mul_f64 v[74:75], v[238:239], v[104:105]
	v_fma_f64 v[106:107], v[236:237], v[106:107], -v[74:75]
	ds_read_b128 v[74:77], v1 offset:1648
	v_add_f64 v[4:5], v[4:5], v[78:79]
	ds_read_b128 v[78:81], v1 offset:1664
	s_waitcnt vmcnt(25) lgkmcnt(1)
	v_mul_f64 v[86:87], v[74:75], v[194:195]
	s_waitcnt vmcnt(23)
	v_fmac_f64_e32 v[86:87], v[76:77], v[200:201]
	v_add_f64 v[4:5], v[4:5], v[86:87]
	s_waitcnt vmcnt(22) lgkmcnt(0)
	v_mul_f64 v[86:87], v[78:79], v[188:189]
	s_waitcnt vmcnt(20)
	v_fmac_f64_e32 v[86:87], v[80:81], v[198:199]
	v_add_f64 v[4:5], v[4:5], v[86:87]
	s_waitcnt vmcnt(18)
	v_mul_f64 v[86:87], v[82:83], v[196:197]
	s_waitcnt vmcnt(16)
	v_fmac_f64_e32 v[86:87], v[84:85], v[202:203]
	v_add_f64 v[4:5], v[4:5], v[86:87]
	ds_read_b128 v[86:89], v1 offset:1712
	s_waitcnt vmcnt(13)
	v_mul_f64 v[98:99], v[90:91], v[206:207]
	s_waitcnt vmcnt(12)
	v_fmac_f64_e32 v[98:99], v[92:93], v[208:209]
	v_add_f64 v[4:5], v[4:5], v[98:99]
	s_waitcnt vmcnt(9) lgkmcnt(0)
	v_mul_f64 v[98:99], v[86:87], v[60:61]
	s_waitcnt vmcnt(7)
	v_fmac_f64_e32 v[98:99], v[88:89], v[214:215]
	v_add_f64 v[4:5], v[4:5], v[98:99]
	s_waitcnt vmcnt(5)
	v_mul_f64 v[98:99], v[94:95], v[204:205]
	s_waitcnt vmcnt(4)
	v_fmac_f64_e32 v[98:99], v[96:97], v[210:211]
	v_add_f64 v[4:5], v[4:5], v[98:99]
	ds_read_b128 v[98:101], v1 offset:1744
	buffer_load_dword v220, off, s[0:3], 0 offset:872
	buffer_load_dword v221, off, s[0:3], 0 offset:876
	;; [unrolled: 1-line block ×4, first 2 shown]
	s_waitcnt vmcnt(6) lgkmcnt(0)
	v_mul_f64 v[102:103], v[98:99], v[216:217]
	s_waitcnt vmcnt(4)
	v_fmac_f64_e32 v[102:103], v[100:101], v[218:219]
	v_add_f64 v[4:5], v[4:5], v[102:103]
	ds_read_b128 v[102:105], v1 offset:1760
	buffer_load_dword v233, off, s[0:3], 0 offset:892
	buffer_load_dword v232, off, s[0:3], 0 offset:888
	;; [unrolled: 1-line block ×4, first 2 shown]
	ds_read_b128 v[228:231], v1 offset:1776
	buffer_load_dword v236, off, s[0:3], 0 offset:904
	buffer_load_dword v237, off, s[0:3], 0 offset:908
	;; [unrolled: 1-line block ×4, first 2 shown]
	s_waitcnt vmcnt(10) lgkmcnt(1)
	v_mul_f64 v[110:111], v[102:103], v[220:221]
	s_waitcnt vmcnt(8)
	v_fmac_f64_e32 v[110:111], v[104:105], v[222:223]
	v_add_f64 v[4:5], v[4:5], v[110:111]
	s_waitcnt vmcnt(6) lgkmcnt(0)
	v_mul_f64 v[110:111], v[228:229], v[232:233]
	s_waitcnt vmcnt(4)
	v_fmac_f64_e32 v[110:111], v[230:231], v[234:235]
	v_add_f64 v[4:5], v[4:5], v[110:111]
	ds_read_b128 v[110:113], v1 offset:1792
	buffer_load_dword v243, off, s[0:3], 0 offset:924
	buffer_load_dword v242, off, s[0:3], 0 offset:920
	;; [unrolled: 1-line block ×4, first 2 shown]
	s_waitcnt vmcnt(6) lgkmcnt(0)
	v_mul_f64 v[114:115], v[110:111], v[236:237]
	s_waitcnt vmcnt(4)
	v_fmac_f64_e32 v[114:115], v[112:113], v[238:239]
	v_add_f64 v[4:5], v[4:5], v[114:115]
	ds_read_b128 v[114:117], v1 offset:1808
	v_accvgpr_read_b32 v0, a172
	v_accvgpr_read_b32 v1, a173
	s_waitcnt vmcnt(2) lgkmcnt(0)
	v_mul_f64 v[240:241], v[114:115], v[242:243]
	s_waitcnt vmcnt(0)
	v_fmac_f64_e32 v[240:241], v[116:117], v[244:245]
	v_add_f64 v[240:241], v[4:5], v[240:241]
	v_add_f64 v[4:5], v[26:27], 0
	;; [unrolled: 1-line block ×20, first 2 shown]
	buffer_load_dword v248, off, s[0:3], 0 offset:112
	buffer_load_dword v249, off, s[0:3], 0 offset:116
	;; [unrolled: 1-line block ×4, first 2 shown]
	v_mul_f64 v[4:5], v[150:151], v[0:1]
	v_accvgpr_read_b32 v0, a174
	v_accvgpr_read_b32 v1, a175
	v_add_f64 v[2:3], v[254:255], v[250:251]
	v_fma_f64 v[4:5], v[148:149], v[0:1], -v[4:5]
	v_accvgpr_read_b32 v0, a176
	v_add_f64 v[2:3], v[2:3], v[252:253]
	v_accvgpr_read_b32 v1, a177
	v_add_f64 v[2:3], v[2:3], v[4:5]
	v_mul_f64 v[4:5], v[146:147], v[0:1]
	v_accvgpr_read_b32 v0, a178
	v_accvgpr_read_b32 v1, a179
	v_fma_f64 v[4:5], v[144:145], v[0:1], -v[4:5]
	v_accvgpr_read_b32 v0, a180
	v_accvgpr_read_b32 v1, a181
	v_add_f64 v[2:3], v[2:3], v[4:5]
	v_mul_f64 v[4:5], v[142:143], v[0:1]
	v_accvgpr_read_b32 v0, a182
	v_accvgpr_read_b32 v1, a183
	v_fma_f64 v[4:5], v[140:141], v[0:1], -v[4:5]
	v_accvgpr_read_b32 v0, a184
	v_accvgpr_read_b32 v1, a185
	v_add_f64 v[2:3], v[2:3], v[4:5]
	v_mul_f64 v[4:5], v[138:139], v[0:1]
	v_accvgpr_read_b32 v0, a186
	v_accvgpr_read_b32 v1, a187
	v_fma_f64 v[4:5], v[136:137], v[0:1], -v[4:5]
	v_accvgpr_read_b32 v0, a188
	v_accvgpr_read_b32 v1, a189
	v_add_f64 v[2:3], v[2:3], v[4:5]
	v_mul_f64 v[4:5], v[134:135], v[0:1]
	v_accvgpr_read_b32 v0, a190
	v_accvgpr_read_b32 v1, a191
	v_fma_f64 v[4:5], v[132:133], v[0:1], -v[4:5]
	v_accvgpr_read_b32 v0, a192
	v_accvgpr_read_b32 v1, a193
	v_add_f64 v[2:3], v[2:3], v[4:5]
	v_mul_f64 v[4:5], v[130:131], v[0:1]
	v_accvgpr_read_b32 v0, a194
	v_accvgpr_read_b32 v1, a195
	v_fma_f64 v[4:5], v[128:129], v[0:1], -v[4:5]
	v_add_f64 v[2:3], v[2:3], v[4:5]
	v_mul_f64 v[4:5], v[126:127], v[152:153]
	v_fma_f64 v[4:5], v[124:125], v[154:155], -v[4:5]
	v_accvgpr_read_b32 v0, a196
	v_add_f64 v[2:3], v[2:3], v[4:5]
	v_mul_f64 v[4:5], v[122:123], v[36:37]
	v_accvgpr_read_b32 v1, a197
	v_fma_f64 v[4:5], v[120:121], v[0:1], -v[4:5]
	v_add_f64 v[2:3], v[2:3], v[4:5]
	v_mul_f64 v[4:5], v[32:33], v[156:157]
	v_accvgpr_read_b32 v0, a198
	v_fma_f64 v[4:5], v[30:31], v[158:159], -v[4:5]
	v_accvgpr_read_b32 v1, a199
	v_add_f64 v[2:3], v[2:3], v[4:5]
	v_mul_f64 v[4:5], v[44:45], v[0:1]
	v_fma_f64 v[4:5], v[42:43], v[34:35], -v[4:5]
	v_add_f64 v[2:3], v[2:3], v[4:5]
	v_mul_f64 v[4:5], v[40:41], v[164:165]
	v_fma_f64 v[4:5], v[38:39], v[166:167], -v[4:5]
	;; [unrolled: 3-line block ×20, first 2 shown]
	v_add_f64 v[2:3], v[2:3], v[4:5]
	v_accvgpr_read_b32 v0, a170
	s_waitcnt vmcnt(2)
	v_add_f64 v[2:3], v[248:249], -v[2:3]
	v_cmp_lt_u32_e32 vcc, 5, v0
	s_waitcnt vmcnt(0)
	v_add_f64 v[4:5], v[246:247], -v[240:241]
	buffer_store_dword v3, off, s[0:3], 0 offset:116
	buffer_store_dword v2, off, s[0:3], 0 offset:112
	;; [unrolled: 1-line block ×4, first 2 shown]
	s_and_saveexec_b64 s[4:5], vcc
	s_cbranch_execz .LBB120_345
; %bb.344:
	v_accvgpr_read_b32 v0, a165
	buffer_load_dword v2, v0, s[0:3], 0 offen
	buffer_load_dword v3, v0, s[0:3], 0 offen offset:4
	buffer_load_dword v4, v0, s[0:3], 0 offen offset:8
	;; [unrolled: 1-line block ×3, first 2 shown]
	v_mov_b32_e32 v0, 0
	v_accvgpr_read_b32 v1, a171
	buffer_store_dword v0, off, s[0:3], 0 offset:96
	buffer_store_dword v0, off, s[0:3], 0 offset:100
	;; [unrolled: 1-line block ×4, first 2 shown]
	s_waitcnt vmcnt(4)
	ds_write_b128 v1, v[2:5]
.LBB120_345:
	s_or_b64 exec, exec, s[4:5]
	v_mov_b32_e32 v144, 0
	s_waitcnt lgkmcnt(0)
	; wave barrier
	s_waitcnt lgkmcnt(0)
	buffer_load_dword v30, off, s[0:3], 0 offset:112
	buffer_load_dword v31, off, s[0:3], 0 offset:116
	;; [unrolled: 1-line block ×54, first 2 shown]
	ds_read_b128 v[114:117], v144 offset:1008
	ds_read_b128 v[158:161], v144 offset:1024
	;; [unrolled: 1-line block ×9, first 2 shown]
	buffer_load_dword v109, off, s[0:3], 0 offset:340
	buffer_load_dword v108, off, s[0:3], 0 offset:336
	;; [unrolled: 1-line block ×32, first 2 shown]
	s_waitcnt vmcnt(62) lgkmcnt(8)
	v_mul_f64 v[2:3], v[114:115], v[32:33]
	v_fmac_f64_e32 v[2:3], v[116:117], v[30:31]
	v_add_f64 v[2:3], v[2:3], 0
	v_mul_f64 v[32:33], v[116:117], v[32:33]
	s_waitcnt lgkmcnt(7)
	v_mul_f64 v[4:5], v[158:159], v[38:39]
	v_fmac_f64_e32 v[4:5], v[160:161], v[36:37]
	s_waitcnt lgkmcnt(6)
	v_mul_f64 v[6:7], v[168:169], v[34:35]
	v_add_f64 v[2:3], v[2:3], v[4:5]
	s_waitcnt lgkmcnt(4)
	v_mul_f64 v[10:11], v[176:177], v[40:41]
	v_fma_f64 v[254:255], v[114:115], v[30:31], -v[32:33]
	v_fmac_f64_e32 v[10:11], v[178:179], v[42:43]
	v_mul_f64 v[38:39], v[160:161], v[38:39]
	v_mul_f64 v[8:9], v[172:173], v[44:45]
	s_waitcnt lgkmcnt(2)
	v_mul_f64 v[14:15], v[184:185], v[48:49]
	v_fmac_f64_e32 v[14:15], v[186:187], v[50:51]
	v_mul_f64 v[12:13], v[180:181], v[56:57]
	s_waitcnt lgkmcnt(1)
	v_mul_f64 v[16:17], v[188:189], v[52:53]
	s_waitcnt vmcnt(60)
	v_fmac_f64_e32 v[6:7], v[170:171], v[62:63]
	v_add_f64 v[2:3], v[2:3], v[6:7]
	s_waitcnt vmcnt(58)
	v_fmac_f64_e32 v[8:9], v[174:175], v[60:61]
	v_add_f64 v[2:3], v[2:3], v[8:9]
	s_waitcnt vmcnt(56)
	v_fmac_f64_e32 v[12:13], v[182:183], v[58:59]
	v_add_f64 v[2:3], v[2:3], v[10:11]
	v_add_f64 v[2:3], v[2:3], v[12:13]
	v_add_f64 v[2:3], v[2:3], v[14:15]
	s_waitcnt vmcnt(54)
	v_fmac_f64_e32 v[16:17], v[190:191], v[54:55]
	v_add_f64 v[2:3], v[2:3], v[16:17]
	s_waitcnt vmcnt(50) lgkmcnt(0)
	v_mul_f64 v[4:5], v[192:193], v[46:47]
	v_fmac_f64_e32 v[4:5], v[194:195], v[64:65]
	v_add_f64 v[2:3], v[2:3], v[4:5]
	s_waitcnt vmcnt(0)
	v_pk_mov_b32 v[14:15], v[0:1], v[0:1] op_sel:[0,1]
	buffer_load_dword v1, off, s[0:3], 0 offset:468
	buffer_load_dword v0, off, s[0:3], 0 offset:464
	v_accvgpr_write_b32 a173, v15
	v_accvgpr_write_b32 a172, v14
	s_waitcnt vmcnt(0)
	v_pk_mov_b32 v[18:19], v[0:1], v[0:1] op_sel:[0,1]
	buffer_load_dword v95, off, s[0:3], 0 offset:460
	buffer_load_dword v94, off, s[0:3], 0 offset:456
	;; [unrolled: 1-line block ×6, first 2 shown]
	v_accvgpr_write_b32 a175, v19
	v_accvgpr_write_b32 a174, v18
	s_waitcnt vmcnt(0)
	v_pk_mov_b32 v[22:23], v[0:1], v[0:1] op_sel:[0,1]
	buffer_load_dword v1, off, s[0:3], 0 offset:500
	buffer_load_dword v0, off, s[0:3], 0 offset:496
	v_accvgpr_write_b32 a181, v23
	v_accvgpr_write_b32 a180, v22
	s_waitcnt vmcnt(0)
	v_pk_mov_b32 v[24:25], v[0:1], v[0:1] op_sel:[0,1]
	buffer_load_dword v1, off, s[0:3], 0 offset:492
	buffer_load_dword v0, off, s[0:3], 0 offset:488
	;; [unrolled: 6-line block ×11, first 2 shown]
	ds_read_b128 v[196:199], v144 offset:1152
	ds_read_b128 v[200:203], v144 offset:1168
	;; [unrolled: 1-line block ×8, first 2 shown]
	s_waitcnt lgkmcnt(7)
	v_mul_f64 v[4:5], v[196:197], v[70:71]
	v_fmac_f64_e32 v[4:5], v[198:199], v[72:73]
	v_add_f64 v[2:3], v[2:3], v[4:5]
	s_waitcnt lgkmcnt(6)
	v_mul_f64 v[4:5], v[200:201], v[66:67]
	v_fmac_f64_e32 v[4:5], v[202:203], v[68:69]
	v_add_f64 v[2:3], v[2:3], v[4:5]
	;; [unrolled: 4-line block ×8, first 2 shown]
	v_accvgpr_write_b32 a193, v157
	v_accvgpr_write_b32 a192, v156
	s_waitcnt vmcnt(0)
	v_pk_mov_b32 v[166:167], v[0:1], v[0:1] op_sel:[0,1]
	buffer_load_dword v1, off, s[0:3], 0 offset:604
	buffer_load_dword v155, off, s[0:3], 0 offset:588
	;; [unrolled: 1-line block ×8, first 2 shown]
	ds_read_b128 v[232:235], v144 offset:1280
	ds_read_b128 v[236:239], v144 offset:1296
	;; [unrolled: 1-line block ×6, first 2 shown]
	s_waitcnt lgkmcnt(5)
	v_mul_f64 v[4:5], v[232:233], v[102:103]
	v_fmac_f64_e32 v[4:5], v[234:235], v[106:107]
	v_add_f64 v[2:3], v[2:3], v[4:5]
	s_waitcnt lgkmcnt(4)
	v_mul_f64 v[4:5], v[236:237], v[78:79]
	v_fmac_f64_e32 v[4:5], v[238:239], v[80:81]
	v_add_f64 v[2:3], v[2:3], v[4:5]
	s_waitcnt lgkmcnt(3)
	v_mul_f64 v[4:5], v[240:241], v[82:83]
	ds_read_b128 v[136:139], v144 offset:1376
	ds_read_b128 v[132:135], v144 offset:1392
	v_fmac_f64_e32 v[4:5], v[242:243], v[84:85]
	v_add_f64 v[2:3], v[2:3], v[4:5]
	s_waitcnt lgkmcnt(4)
	v_mul_f64 v[4:5], v[244:245], v[86:87]
	ds_read_b128 v[128:131], v144 offset:1408
	ds_read_b128 v[124:127], v144 offset:1424
	v_fmac_f64_e32 v[4:5], v[246:247], v[88:89]
	s_waitcnt lgkmcnt(5)
	v_mul_f64 v[8:9], v[248:249], v[94:95]
	v_add_f64 v[6:7], v[2:3], v[4:5]
	v_fmac_f64_e32 v[8:9], v[250:251], v[96:97]
	s_waitcnt lgkmcnt(4)
	v_mul_f64 v[12:13], v[146:147], v[14:15]
	v_add_f64 v[10:11], v[6:7], v[8:9]
	;; [unrolled: 4-line block ×5, first 2 shown]
	v_fmac_f64_e32 v[28:29], v[130:131], v[142:143]
	ds_read_b128 v[140:143], v144 offset:1440
	v_add_f64 v[26:27], v[26:27], v[28:29]
	s_waitcnt lgkmcnt(1)
	v_mul_f64 v[28:29], v[124:125], v[120:121]
	v_fmac_f64_e32 v[28:29], v[126:127], v[122:123]
	ds_read_b128 v[120:123], v144 offset:1456
	v_add_f64 v[26:27], v[26:27], v[28:29]
	s_waitcnt lgkmcnt(1)
	v_mul_f64 v[28:29], v[140:141], v[156:157]
	v_fmac_f64_e32 v[28:29], v[142:143], v[166:167]
	v_accvgpr_write_b32 a195, v167
	s_waitcnt lgkmcnt(0)
	v_mul_f64 v[114:115], v[120:121], v[162:163]
	v_add_f64 v[156:157], v[26:27], v[28:29]
	v_fmac_f64_e32 v[114:115], v[122:123], v[164:165]
	v_accvgpr_write_b32 a194, v166
	ds_read_b128 v[30:33], v144 offset:1472
	v_add_f64 v[114:115], v[156:157], v[114:115]
	buffer_load_dword v157, off, s[0:3], 0 offset:636
	buffer_load_dword v156, off, s[0:3], 0 offset:632
	v_fma_f64 v[26:27], v[158:159], v[36:37], -v[38:39]
	buffer_load_dword v159, off, s[0:3], 0 offset:628
	buffer_load_dword v158, off, s[0:3], 0 offset:624
	;; [unrolled: 1-line block ×6, first 2 shown]
	v_mul_f64 v[4:5], v[170:171], v[34:35]
	v_fma_f64 v[24:25], v[168:169], v[62:63], -v[4:5]
	buffer_load_dword v160, off, s[0:3], 0 offset:664
	buffer_load_dword v165, off, s[0:3], 0 offset:652
	buffer_load_dword v164, off, s[0:3], 0 offset:648
	buffer_load_dword v169, off, s[0:3], 0 offset:644
	buffer_load_dword v168, off, s[0:3], 0 offset:640
	v_mul_f64 v[34:35], v[174:175], v[44:45]
	v_fma_f64 v[60:61], v[172:173], v[60:61], -v[34:35]
	ds_read_b128 v[34:37], v144 offset:1488
	buffer_load_dword v170, off, s[0:3], 0 offset:656
	buffer_load_dword v161, off, s[0:3], 0 offset:668
	;; [unrolled: 1-line block ×3, first 2 shown]
	v_mul_f64 v[8:9], v[194:195], v[46:47]
	v_fma_f64 v[18:19], v[192:193], v[64:65], -v[8:9]
	v_mul_f64 v[12:13], v[202:203], v[66:67]
	v_mul_f64 v[16:17], v[210:211], v[92:93]
	v_fma_f64 v[12:13], v[200:201], v[68:69], -v[12:13]
	v_fma_f64 v[16:17], v[208:209], v[76:77], -v[16:17]
	v_mul_f64 v[46:47], v[218:219], v[118:119]
	v_fma_f64 v[118:119], v[216:217], v[252:253], -v[46:47]
	v_mul_f64 v[66:67], v[226:227], v[110:111]
	;; [unrolled: 2-line block ×3, first 2 shown]
	v_fma_f64 v[216:217], v[228:229], v[98:99], -v[66:67]
	s_waitcnt vmcnt(21) lgkmcnt(1)
	v_mul_f64 v[38:39], v[30:31], v[154:155]
	v_mul_f64 v[78:79], v[238:239], v[78:79]
	s_waitcnt vmcnt(19)
	v_fmac_f64_e32 v[38:39], v[32:33], v[152:153]
	s_waitcnt vmcnt(18) lgkmcnt(0)
	v_mul_f64 v[44:45], v[34:35], v[0:1]
	v_add_f64 v[38:39], v[114:115], v[38:39]
	s_waitcnt vmcnt(16)
	v_fmac_f64_e32 v[44:45], v[36:37], v[150:151]
	v_add_f64 v[62:63], v[38:39], v[44:45]
	v_mul_f64 v[38:39], v[178:179], v[40:41]
	v_fma_f64 v[172:173], v[176:177], v[42:43], -v[38:39]
	v_mul_f64 v[38:39], v[182:183], v[56:57]
	v_fma_f64 v[114:115], v[180:181], v[58:59], -v[38:39]
	buffer_load_dword v59, off, s[0:3], 0 offset:700
	buffer_load_dword v175, off, s[0:3], 0 offset:684
	;; [unrolled: 1-line block ×8, first 2 shown]
	ds_read_b128 v[38:41], v144 offset:1504
	buffer_load_dword v181, off, s[0:3], 0 offset:716
	buffer_load_dword v180, off, s[0:3], 0 offset:712
	buffer_load_dword v183, off, s[0:3], 0 offset:708
	buffer_load_dword v182, off, s[0:3], 0 offset:704
	v_mul_f64 v[42:43], v[186:187], v[48:49]
	v_fma_f64 v[116:117], v[184:185], v[50:51], -v[42:43]
	v_mul_f64 v[42:43], v[190:191], v[52:53]
	v_fma_f64 v[22:23], v[188:189], v[54:55], -v[42:43]
	buffer_load_dword v185, off, s[0:3], 0 offset:732
	buffer_load_dword v184, off, s[0:3], 0 offset:728
	;; [unrolled: 1-line block ×9, first 2 shown]
	v_mul_f64 v[42:43], v[198:199], v[70:71]
	buffer_load_dword v194, off, s[0:3], 0 offset:752
	buffer_load_dword v193, off, s[0:3], 0 offset:764
	;; [unrolled: 1-line block ×3, first 2 shown]
	v_fma_f64 v[14:15], v[196:197], v[72:73], -v[42:43]
	buffer_load_dword v197, off, s[0:3], 0 offset:780
	buffer_load_dword v196, off, s[0:3], 0 offset:776
	;; [unrolled: 1-line block ×4, first 2 shown]
	v_mul_f64 v[42:43], v[206:207], v[100:101]
	v_fma_f64 v[10:11], v[204:205], v[104:105], -v[42:43]
	buffer_load_dword v203, off, s[0:3], 0 offset:796
	buffer_load_dword v202, off, s[0:3], 0 offset:792
	;; [unrolled: 1-line block ×16, first 2 shown]
	ds_read_b128 v[42:45], v144 offset:1520
	ds_read_b128 v[46:49], v144 offset:1536
	v_mul_f64 v[54:55], v[222:223], v[74:75]
	v_fma_f64 v[252:253], v[220:221], v[108:109], -v[54:55]
	ds_read_b128 v[54:57], v144 offset:1568
	ds_read_b128 v[224:227], v144 offset:1584
	;; [unrolled: 1-line block ×3, first 2 shown]
	v_mul_f64 v[70:71], v[234:235], v[102:103]
	v_fma_f64 v[6:7], v[232:233], v[106:107], -v[70:71]
	v_fma_f64 v[4:5], v[236:237], v[80:81], -v[78:79]
	v_mul_f64 v[82:83], v[242:243], v[82:83]
	v_fma_f64 v[2:3], v[240:241], v[84:85], -v[82:83]
	ds_read_b128 v[82:85], v144 offset:1680
	v_mul_f64 v[86:87], v[246:247], v[86:87]
	v_fma_f64 v[246:247], v[244:245], v[88:89], -v[86:87]
	ds_read_b128 v[86:89], v144 offset:1696
	;; [unrolled: 3-line block ×3, first 2 shown]
	ds_read_b128 v[78:81], v144 offset:1664
	ds_read_b128 v[94:97], v144 offset:1728
	s_waitcnt vmcnt(54) lgkmcnt(10)
	v_mul_f64 v[50:51], v[38:39], v[162:163]
	s_waitcnt lgkmcnt(9)
	v_mul_f64 v[52:53], v[42:43], v[156:157]
	s_waitcnt vmcnt(52)
	v_fmac_f64_e32 v[50:51], v[40:41], v[166:167]
	v_add_f64 v[50:51], v[62:63], v[50:51]
	v_fmac_f64_e32 v[52:53], v[44:45], v[158:159]
	v_add_f64 v[50:51], v[50:51], v[52:53]
	s_waitcnt vmcnt(49) lgkmcnt(8)
	v_mul_f64 v[52:53], v[46:47], v[164:165]
	s_waitcnt vmcnt(47)
	v_fmac_f64_e32 v[52:53], v[48:49], v[168:169]
	v_add_f64 v[62:63], v[50:51], v[52:53]
	ds_read_b128 v[50:53], v144 offset:1552
	s_waitcnt vmcnt(45) lgkmcnt(0)
	v_mul_f64 v[64:65], v[50:51], v[160:161]
	s_waitcnt vmcnt(44)
	v_fmac_f64_e32 v[64:65], v[52:53], v[170:171]
	v_add_f64 v[20:21], v[62:63], v[64:65]
	s_waitcnt vmcnt(41)
	v_mul_f64 v[62:63], v[54:55], v[174:175]
	s_waitcnt vmcnt(39)
	v_fmac_f64_e32 v[62:63], v[56:57], v[178:179]
	v_add_f64 v[20:21], v[20:21], v[62:63]
	s_waitcnt vmcnt(38)
	v_mul_f64 v[62:63], v[224:225], v[58:59]
	s_waitcnt vmcnt(36)
	v_fmac_f64_e32 v[62:63], v[226:227], v[176:177]
	v_add_f64 v[20:21], v[20:21], v[62:63]
	ds_read_b128 v[62:65], v144 offset:1600
	s_waitcnt vmcnt(34) lgkmcnt(0)
	v_mul_f64 v[74:75], v[62:63], v[180:181]
	s_waitcnt vmcnt(32)
	v_fmac_f64_e32 v[74:75], v[64:65], v[182:183]
	v_add_f64 v[20:21], v[20:21], v[74:75]
	s_waitcnt vmcnt(30)
	v_mul_f64 v[74:75], v[66:67], v[184:185]
	s_waitcnt vmcnt(28)
	v_fmac_f64_e32 v[74:75], v[68:69], v[188:189]
	v_add_f64 v[20:21], v[20:21], v[74:75]
	s_waitcnt vmcnt(26)
	v_mul_f64 v[74:75], v[70:71], v[186:187]
	s_waitcnt vmcnt(24)
	v_fmac_f64_e32 v[74:75], v[72:73], v[190:191]
	v_add_f64 v[20:21], v[20:21], v[74:75]
	ds_read_b128 v[74:77], v144 offset:1648
	s_waitcnt vmcnt(18)
	v_mul_f64 v[28:29], v[78:79], v[196:197]
	s_waitcnt vmcnt(16)
	v_fmac_f64_e32 v[28:29], v[80:81], v[198:199]
	s_waitcnt vmcnt(9)
	v_mul_f64 v[98:99], v[86:87], v[206:207]
	s_waitcnt vmcnt(7)
	v_fmac_f64_e32 v[98:99], v[88:89], v[212:213]
	s_waitcnt lgkmcnt(0)
	v_mul_f64 v[90:91], v[74:75], v[192:193]
	v_fmac_f64_e32 v[90:91], v[76:77], v[194:195]
	v_add_f64 v[90:91], v[20:21], v[90:91]
	v_add_f64 v[28:29], v[90:91], v[28:29]
	v_mul_f64 v[90:91], v[82:83], v[202:203]
	buffer_load_dword v20, off, s[0:3], 0 offset:856
	v_fmac_f64_e32 v[90:91], v[84:85], v[204:205]
	v_add_f64 v[28:29], v[28:29], v[90:91]
	ds_read_b128 v[90:93], v144 offset:1712
	buffer_load_dword v218, off, s[0:3], 0 offset:848
	buffer_load_dword v21, off, s[0:3], 0 offset:860
	;; [unrolled: 1-line block ×3, first 2 shown]
	v_add_f64 v[28:29], v[28:29], v[98:99]
	s_waitcnt vmcnt(10) lgkmcnt(0)
	v_mul_f64 v[98:99], v[90:91], v[200:201]
	s_waitcnt vmcnt(8)
	v_fmac_f64_e32 v[98:99], v[92:93], v[210:211]
	v_add_f64 v[28:29], v[28:29], v[98:99]
	s_waitcnt vmcnt(6)
	v_mul_f64 v[98:99], v[94:95], v[208:209]
	s_waitcnt vmcnt(4)
	v_fmac_f64_e32 v[98:99], v[96:97], v[214:215]
	v_add_f64 v[28:29], v[28:29], v[98:99]
	ds_read_b128 v[98:101], v144 offset:1744
	buffer_load_dword v221, off, s[0:3], 0 offset:876
	buffer_load_dword v220, off, s[0:3], 0 offset:872
	buffer_load_dword v223, off, s[0:3], 0 offset:868
	buffer_load_dword v222, off, s[0:3], 0 offset:864
	s_waitcnt vmcnt(5) lgkmcnt(0)
	v_mul_f64 v[102:103], v[98:99], v[20:21]
	s_waitcnt vmcnt(4)
	v_fmac_f64_e32 v[102:103], v[100:101], v[218:219]
	v_add_f64 v[28:29], v[28:29], v[102:103]
	ds_read_b128 v[102:105], v144 offset:1760
	buffer_load_dword v232, off, s[0:3], 0 offset:888
	buffer_load_dword v233, off, s[0:3], 0 offset:892
	buffer_load_dword v234, off, s[0:3], 0 offset:880
	buffer_load_dword v235, off, s[0:3], 0 offset:884
	s_waitcnt vmcnt(6) lgkmcnt(0)
	;; [unrolled: 10-line block ×4, first 2 shown]
	v_mul_f64 v[228:229], v[110:111], v[236:237]
	s_waitcnt vmcnt(4)
	v_fmac_f64_e32 v[228:229], v[112:113], v[238:239]
	v_add_f64 v[28:29], v[28:29], v[228:229]
	ds_read_b128 v[228:231], v144 offset:1808
	buffer_load_dword v248, off, s[0:3], 0 offset:96
	buffer_load_dword v249, off, s[0:3], 0 offset:100
	s_waitcnt vmcnt(4) lgkmcnt(0)
	v_mul_f64 v[240:241], v[228:229], v[242:243]
	s_waitcnt vmcnt(2)
	v_fmac_f64_e32 v[240:241], v[230:231], v[244:245]
	v_add_f64 v[240:241], v[28:29], v[240:241]
	v_add_f64 v[28:29], v[254:255], 0
	;; [unrolled: 1-line block ×22, first 2 shown]
	buffer_load_dword v246, off, s[0:3], 0 offset:104
	buffer_load_dword v247, off, s[0:3], 0 offset:108
	v_accvgpr_read_b32 v4, a172
	v_accvgpr_read_b32 v5, a173
	;; [unrolled: 1-line block ×3, first 2 shown]
	v_mul_f64 v[4:5], v[148:149], v[4:5]
	v_accvgpr_read_b32 v7, a175
	v_add_f64 v[2:3], v[252:253], v[250:251]
	v_fma_f64 v[4:5], v[146:147], v[6:7], -v[4:5]
	v_add_f64 v[2:3], v[2:3], v[4:5]
	v_accvgpr_read_b32 v4, a176
	v_accvgpr_read_b32 v5, a177
	v_accvgpr_read_b32 v6, a178
	v_mul_f64 v[4:5], v[138:139], v[4:5]
	v_accvgpr_read_b32 v7, a179
	v_fma_f64 v[4:5], v[136:137], v[6:7], -v[4:5]
	v_add_f64 v[2:3], v[2:3], v[4:5]
	v_accvgpr_read_b32 v4, a180
	v_accvgpr_read_b32 v5, a181
	v_accvgpr_read_b32 v6, a182
	v_mul_f64 v[4:5], v[134:135], v[4:5]
	v_accvgpr_read_b32 v7, a183
	;; [unrolled: 7-line block ×6, first 2 shown]
	v_fma_f64 v[4:5], v[120:121], v[6:7], -v[4:5]
	v_add_f64 v[2:3], v[2:3], v[4:5]
	v_mul_f64 v[4:5], v[32:33], v[154:155]
	v_fma_f64 v[4:5], v[30:31], v[152:153], -v[4:5]
	v_add_f64 v[2:3], v[2:3], v[4:5]
	v_mul_f64 v[4:5], v[36:37], v[0:1]
	;; [unrolled: 3-line block ×22, first 2 shown]
	v_fma_f64 v[4:5], v[228:229], v[244:245], -v[4:5]
	v_add_f64 v[2:3], v[2:3], v[4:5]
	v_accvgpr_read_b32 v0, a170
	s_waitcnt vmcnt(2)
	v_add_f64 v[2:3], v[248:249], -v[2:3]
	v_cmp_lt_u32_e32 vcc, 4, v0
	s_waitcnt vmcnt(0)
	v_add_f64 v[4:5], v[246:247], -v[240:241]
	buffer_store_dword v3, off, s[0:3], 0 offset:100
	buffer_store_dword v2, off, s[0:3], 0 offset:96
	;; [unrolled: 1-line block ×4, first 2 shown]
	s_and_saveexec_b64 s[4:5], vcc
	s_cbranch_execz .LBB120_347
; %bb.346:
	v_accvgpr_read_b32 v0, a166
	buffer_load_dword v2, v0, s[0:3], 0 offen
	buffer_load_dword v3, v0, s[0:3], 0 offen offset:4
	buffer_load_dword v4, v0, s[0:3], 0 offen offset:8
	;; [unrolled: 1-line block ×3, first 2 shown]
	v_accvgpr_read_b32 v0, a171
	buffer_store_dword v144, off, s[0:3], 0 offset:80
	buffer_store_dword v144, off, s[0:3], 0 offset:84
	;; [unrolled: 1-line block ×4, first 2 shown]
	s_waitcnt vmcnt(4)
	ds_write_b128 v0, v[2:5]
.LBB120_347:
	s_or_b64 exec, exec, s[4:5]
	s_waitcnt lgkmcnt(0)
	; wave barrier
	s_waitcnt lgkmcnt(0)
	buffer_load_dword v22, off, s[0:3], 0 offset:96
	buffer_load_dword v23, off, s[0:3], 0 offset:100
	;; [unrolled: 1-line block ×36, first 2 shown]
	ds_read_b128 v[18:21], v144 offset:992
	ds_read_b128 v[26:29], v144 offset:1008
	;; [unrolled: 1-line block ×9, first 2 shown]
	buffer_load_dword v91, off, s[0:3], 0 offset:268
	buffer_load_dword v90, off, s[0:3], 0 offset:264
	buffer_load_dword v93, off, s[0:3], 0 offset:260
	buffer_load_dword v92, off, s[0:3], 0 offset:256
	buffer_load_dword v95, off, s[0:3], 0 offset:252
	buffer_load_dword v94, off, s[0:3], 0 offset:248
	buffer_load_dword v99, off, s[0:3], 0 offset:244
	buffer_load_dword v98, off, s[0:3], 0 offset:240
	buffer_load_dword v205, off, s[0:3], 0 offset:300
	buffer_load_dword v204, off, s[0:3], 0 offset:296
	buffer_load_dword v207, off, s[0:3], 0 offset:292
	buffer_load_dword v206, off, s[0:3], 0 offset:288
	buffer_load_dword v193, off, s[0:3], 0 offset:284
	buffer_load_dword v192, off, s[0:3], 0 offset:280
	buffer_load_dword v195, off, s[0:3], 0 offset:276
	buffer_load_dword v194, off, s[0:3], 0 offset:272
	buffer_load_dword v103, off, s[0:3], 0 offset:332
	buffer_load_dword v102, off, s[0:3], 0 offset:328
	buffer_load_dword v105, off, s[0:3], 0 offset:324
	s_waitcnt vmcnt(51) lgkmcnt(8)
	v_mul_f64 v[2:3], v[18:19], v[24:25]
	v_fmac_f64_e32 v[2:3], v[20:21], v[22:23]
	v_add_f64 v[2:3], v[2:3], 0
	v_mul_f64 v[20:21], v[20:21], v[24:25]
	s_waitcnt vmcnt(47) lgkmcnt(7)
	v_mul_f64 v[4:5], v[26:27], v[162:163]
	v_fmac_f64_e32 v[4:5], v[28:29], v[160:161]
	v_add_f64 v[2:3], v[2:3], v[4:5]
	buffer_load_dword v104, off, s[0:3], 0 offset:320
	buffer_load_dword v67, off, s[0:3], 0 offset:316
	;; [unrolled: 1-line block ×39, first 2 shown]
	s_waitcnt vmcnt(62) lgkmcnt(6)
	v_mul_f64 v[6:7], v[54:55], v[158:159]
	s_waitcnt lgkmcnt(4)
	v_mul_f64 v[10:11], v[34:35], v[168:169]
	v_fmac_f64_e32 v[10:11], v[36:37], v[170:171]
	v_fma_f64 v[24:25], v[18:19], v[22:23], -v[20:21]
	v_mul_f64 v[8:9], v[30:31], v[166:167]
	v_mul_f64 v[28:29], v[28:29], v[162:163]
	s_waitcnt lgkmcnt(2)
	v_mul_f64 v[14:15], v[50:51], v[74:75]
	v_fma_f64 v[160:161], v[26:27], v[160:161], -v[28:29]
	v_fmac_f64_e32 v[14:15], v[52:53], v[76:77]
	v_mul_f64 v[36:37], v[36:37], v[168:169]
	v_mul_f64 v[12:13], v[38:39], v[80:81]
	;; [unrolled: 1-line block ×3, first 2 shown]
	s_waitcnt lgkmcnt(1)
	v_mul_f64 v[16:17], v[46:47], v[72:73]
	v_fma_f64 v[20:21], v[50:51], v[76:77], -v[52:53]
	v_fmac_f64_e32 v[6:7], v[56:57], v[86:87]
	v_add_f64 v[2:3], v[2:3], v[6:7]
	v_fmac_f64_e32 v[8:9], v[32:33], v[84:85]
	v_add_f64 v[2:3], v[2:3], v[8:9]
	;; [unrolled: 2-line block ×3, first 2 shown]
	v_add_f64 v[2:3], v[2:3], v[12:13]
	v_add_f64 v[2:3], v[2:3], v[14:15]
	v_fmac_f64_e32 v[16:17], v[48:49], v[78:79]
	v_add_f64 v[2:3], v[2:3], v[16:17]
	v_mul_f64 v[32:33], v[32:33], v[166:167]
	v_mul_f64 v[40:41], v[40:41], v[80:81]
	v_fma_f64 v[82:83], v[38:39], v[82:83], -v[40:41]
	v_add_f64 v[24:25], v[24:25], 0
	v_add_f64 v[24:25], v[24:25], v[160:161]
	s_waitcnt vmcnt(0)
	v_pk_mov_b32 v[122:123], v[4:5], v[4:5] op_sel:[0,1]
	buffer_load_dword v5, off, s[0:3], 0 offset:484
	buffer_load_dword v4, off, s[0:3], 0 offset:480
	v_accvgpr_write_b32 a179, v123
	v_accvgpr_write_b32 a178, v122
	s_waitcnt vmcnt(0)
	v_pk_mov_b32 v[124:125], v[4:5], v[4:5] op_sel:[0,1]
	buffer_load_dword v5, off, s[0:3], 0 offset:476
	buffer_load_dword v4, off, s[0:3], 0 offset:472
	v_accvgpr_write_b32 a181, v125
	v_accvgpr_write_b32 a180, v124
	s_waitcnt vmcnt(0)
	v_pk_mov_b32 v[14:15], v[4:5], v[4:5] op_sel:[0,1]
	buffer_load_dword v5, off, s[0:3], 0 offset:468
	buffer_load_dword v4, off, s[0:3], 0 offset:464
	v_pk_mov_b32 v[142:143], v[14:15], v[14:15] op_sel:[0,1]
	s_waitcnt vmcnt(0)
	v_pk_mov_b32 v[126:127], v[4:5], v[4:5] op_sel:[0,1]
	buffer_load_dword v5, off, s[0:3], 0 offset:524
	buffer_load_dword v4, off, s[0:3], 0 offset:520
	v_accvgpr_write_b32 a177, v127
	v_accvgpr_write_b32 a176, v126
	s_waitcnt vmcnt(0)
	v_pk_mov_b32 v[174:175], v[4:5], v[4:5] op_sel:[0,1]
	buffer_load_dword v5, off, s[0:3], 0 offset:516
	buffer_load_dword v4, off, s[0:3], 0 offset:512
	v_accvgpr_write_b32 a187, v175
	v_accvgpr_write_b32 a186, v174
	;; [unrolled: 6-line block ×7, first 2 shown]
	s_waitcnt vmcnt(0)
	v_pk_mov_b32 v[188:189], v[4:5], v[4:5] op_sel:[0,1]
	buffer_load_dword v5, off, s[0:3], 0 offset:532
	buffer_load_dword v4, off, s[0:3], 0 offset:528
	ds_read_b128 v[184:187], v144 offset:1136
	ds_read_b128 v[196:199], v144 offset:1152
	;; [unrolled: 1-line block ×9, first 2 shown]
	buffer_load_dword v1, off, s[0:3], 0 offset:572
	buffer_load_dword v0, off, s[0:3], 0 offset:568
	;; [unrolled: 1-line block ×4, first 2 shown]
	ds_read_b128 v[248:251], v144 offset:1280
	buffer_load_dword v151, off, s[0:3], 0 offset:588
	buffer_load_dword v150, off, s[0:3], 0 offset:584
	;; [unrolled: 1-line block ×8, first 2 shown]
	ds_read_b128 v[252:255], v144 offset:1296
	ds_read_b128 v[118:121], v144 offset:1312
	;; [unrolled: 1-line block ×4, first 2 shown]
	v_accvgpr_write_b32 a191, v189
	v_accvgpr_write_b32 a190, v188
	s_waitcnt lgkmcnt(7)
	v_mul_f64 v[50:51], v[230:231], v[236:237]
	ds_read_b128 v[134:137], v144 offset:1376
	s_waitcnt lgkmcnt(1)
	v_mul_f64 v[8:9], v[62:63], v[96:97]
	v_fmac_f64_e32 v[8:9], v[64:65], v[100:101]
	v_mul_f64 v[64:65], v[64:65], v[96:97]
	s_waitcnt lgkmcnt(0)
	v_mul_f64 v[16:17], v[134:135], v[122:123]
	v_fmac_f64_e32 v[16:17], v[136:137], v[124:125]
	s_waitcnt vmcnt(12)
	v_pk_mov_b32 v[190:191], v[4:5], v[4:5] op_sel:[0,1]
	v_mul_f64 v[4:5], v[42:43], v[70:71]
	v_fmac_f64_e32 v[4:5], v[44:45], v[88:89]
	v_add_f64 v[2:3], v[2:3], v[4:5]
	v_mul_f64 v[4:5], v[184:185], v[94:95]
	v_fmac_f64_e32 v[4:5], v[186:187], v[98:99]
	v_add_f64 v[2:3], v[2:3], v[4:5]
	;; [unrolled: 3-line block ×14, first 2 shown]
	ds_read_b128 v[2:5], v144 offset:1360
	buffer_load_dword v157, off, s[0:3], 0 offset:620
	buffer_load_dword v156, off, s[0:3], 0 offset:616
	ds_read_b128 v[130:133], v144 offset:1392
	ds_read_b128 v[138:141], v144 offset:1408
	v_add_f64 v[10:11], v[6:7], v[8:9]
	s_waitcnt lgkmcnt(2)
	v_mul_f64 v[12:13], v[2:3], v[14:15]
	v_fmac_f64_e32 v[12:13], v[4:5], v[126:127]
	s_waitcnt lgkmcnt(1)
	v_mul_f64 v[172:173], v[130:131], v[128:129]
	ds_read_b128 v[126:129], v144 offset:1424
	ds_read_b128 v[122:125], v144 offset:1440
	v_add_f64 v[14:15], v[10:11], v[12:13]
	v_accvgpr_write_b32 a175, v5
	v_add_f64 v[164:165], v[14:15], v[16:17]
	v_fmac_f64_e32 v[172:173], v[132:133], v[182:183]
	s_waitcnt lgkmcnt(2)
	v_mul_f64 v[22:23], v[138:139], v[174:175]
	v_accvgpr_write_b32 a174, v4
	v_accvgpr_write_b32 a173, v3
	;; [unrolled: 1-line block ×3, first 2 shown]
	v_add_f64 v[4:5], v[164:165], v[172:173]
	v_fmac_f64_e32 v[22:23], v[140:141], v[176:177]
	v_add_f64 v[4:5], v[4:5], v[22:23]
	s_waitcnt lgkmcnt(1)
	v_mul_f64 v[22:23], v[126:127], v[188:189]
	v_fmac_f64_e32 v[22:23], v[128:129], v[190:191]
	s_waitcnt lgkmcnt(0)
	v_mul_f64 v[162:163], v[122:123], v[178:179]
	v_add_f64 v[4:5], v[4:5], v[22:23]
	ds_read_b128 v[26:29], v144 offset:1456
	v_fmac_f64_e32 v[162:163], v[124:125], v[180:181]
	v_add_f64 v[172:173], v[4:5], v[162:163]
	buffer_load_dword v163, off, s[0:3], 0 offset:612
	buffer_load_dword v162, off, s[0:3], 0 offset:608
	v_mul_f64 v[4:5], v[56:57], v[158:159]
	buffer_load_dword v158, off, s[0:3], 0 offset:648
	buffer_load_dword v22, off, s[0:3], 0 offset:640
	;; [unrolled: 1-line block ×7, first 2 shown]
	v_fma_f64 v[188:189], v[30:31], v[84:85], -v[32:33]
	s_waitcnt vmcnt(21) lgkmcnt(0)
	v_mul_f64 v[30:31], v[26:27], v[0:1]
	buffer_load_dword v23, off, s[0:3], 0 offset:644
	s_waitcnt vmcnt(20)
	v_fmac_f64_e32 v[30:31], v[28:29], v[148:149]
	v_fma_f64 v[86:87], v[54:55], v[86:87], -v[4:5]
	v_add_f64 v[54:55], v[172:173], v[30:31]
	ds_read_b128 v[30:33], v144 offset:1472
	v_fma_f64 v[84:85], v[34:35], v[170:171], -v[36:37]
	ds_read_b128 v[34:37], v144 offset:1488
	ds_read_b128 v[38:41], v144 offset:1504
	buffer_load_dword v169, off, s[0:3], 0 offset:668
	buffer_load_dword v168, off, s[0:3], 0 offset:664
	buffer_load_dword v171, off, s[0:3], 0 offset:660
	buffer_load_dword v170, off, s[0:3], 0 offset:656
	buffer_load_dword v175, off, s[0:3], 0 offset:684
	buffer_load_dword v174, off, s[0:3], 0 offset:680
	buffer_load_dword v177, off, s[0:3], 0 offset:676
	buffer_load_dword v176, off, s[0:3], 0 offset:672
	buffer_load_dword v173, off, s[0:3], 0 offset:716
	buffer_load_dword v172, off, s[0:3], 0 offset:712
	buffer_load_dword v181, off, s[0:3], 0 offset:700
	buffer_load_dword v180, off, s[0:3], 0 offset:696
	buffer_load_dword v183, off, s[0:3], 0 offset:692
	buffer_load_dword v182, off, s[0:3], 0 offset:688
	buffer_load_dword v179, off, s[0:3], 0 offset:708
	buffer_load_dword v178, off, s[0:3], 0 offset:704
	v_mul_f64 v[44:45], v[44:45], v[70:71]
	v_accvgpr_write_b32 a193, v191
	v_fma_f64 v[14:15], v[42:43], v[88:89], -v[44:45]
	v_mul_f64 v[42:43], v[186:187], v[94:95]
	v_accvgpr_write_b32 a192, v190
	v_fma_f64 v[94:95], v[184:185], v[98:99], -v[42:43]
	buffer_load_dword v185, off, s[0:3], 0 offset:732
	buffer_load_dword v184, off, s[0:3], 0 offset:728
	;; [unrolled: 1-line block ×8, first 2 shown]
	v_mul_f64 v[42:43], v[198:199], v[90:91]
	v_mul_f64 v[16:17], v[202:203], v[192:193]
	v_fma_f64 v[10:11], v[196:197], v[92:93], -v[42:43]
	v_fma_f64 v[16:17], v[200:201], v[194:195], -v[16:17]
	buffer_load_dword v193, off, s[0:3], 0 offset:780
	buffer_load_dword v195, off, s[0:3], 0 offset:764
	;; [unrolled: 1-line block ×12, first 2 shown]
	v_mul_f64 v[8:9], v[48:49], v[72:73]
	v_mul_f64 v[42:43], v[210:211], v[204:205]
	v_fma_f64 v[18:19], v[46:47], v[78:79], -v[8:9]
	v_fma_f64 v[8:9], v[208:209], v[206:207], -v[42:43]
	v_mul_f64 v[42:43], v[214:215], v[66:67]
	s_waitcnt vmcnt(54) lgkmcnt(2)
	v_mul_f64 v[56:57], v[30:31], v[150:151]
	v_fma_f64 v[6:7], v[212:213], v[68:69], -v[42:43]
	buffer_load_dword v207, off, s[0:3], 0 offset:812
	buffer_load_dword v206, off, s[0:3], 0 offset:808
	;; [unrolled: 1-line block ×12, first 2 shown]
	ds_read_b128 v[42:45], v144 offset:1520
	s_waitcnt vmcnt(62)
	v_fmac_f64_e32 v[56:57], v[32:33], v[152:153]
	v_mul_f64 v[46:47], v[226:227], v[102:103]
	v_add_f64 v[54:55], v[54:55], v[56:57]
	s_waitcnt lgkmcnt(2)
	v_mul_f64 v[56:57], v[34:35], v[154:155]
	v_fma_f64 v[4:5], v[224:225], v[104:105], -v[46:47]
	ds_read_b128 v[46:49], v144 offset:1536
	s_waitcnt vmcnt(60)
	v_fmac_f64_e32 v[56:57], v[36:37], v[146:147]
	v_add_f64 v[54:55], v[54:55], v[56:57]
	v_fma_f64 v[236:237], v[228:229], v[238:239], -v[50:51]
	ds_read_b128 v[50:53], v144 offset:1552
	ds_read_b128 v[224:227], v144 offset:1584
	v_mul_f64 v[66:67], v[242:243], v[220:221]
	ds_read_b128 v[228:231], v144 offset:1600
	v_fma_f64 v[240:241], v[240:241], v[222:223], -v[66:67]
	v_mul_f64 v[68:69], v[246:247], v[232:233]
	s_waitcnt vmcnt(58) lgkmcnt(5)
	v_mul_f64 v[12:13], v[38:39], v[156:157]
	v_fma_f64 v[246:247], v[244:245], v[234:235], -v[68:69]
	v_mul_f64 v[70:71], v[250:251], v[114:115]
	v_fma_f64 v[248:249], v[248:249], v[116:117], -v[70:71]
	ds_read_b128 v[70:73], v144 offset:1632
	v_mul_f64 v[90:91], v[120:121], v[106:107]
	v_fma_f64 v[2:3], v[118:119], v[110:111], -v[90:91]
	ds_read_b128 v[118:121], v144 offset:1680
	v_mul_f64 v[60:61], v[60:61], v[108:109]
	v_fma_f64 v[58:59], v[58:59], v[112:113], -v[60:61]
	v_accvgpr_write_b32 a199, v59
	v_accvgpr_write_b32 a198, v58
	ds_read_b128 v[58:61], v144 offset:1712
	v_add_f64 v[24:25], v[24:25], v[86:87]
	v_add_f64 v[24:25], v[24:25], v[188:189]
	;; [unrolled: 1-line block ×14, first 2 shown]
	s_waitcnt vmcnt(56)
	v_fmac_f64_e32 v[12:13], v[40:41], v[162:163]
	v_add_f64 v[12:13], v[54:55], v[12:13]
	s_waitcnt vmcnt(52) lgkmcnt(7)
	v_mul_f64 v[54:55], v[42:43], v[164:165]
	s_waitcnt vmcnt(50)
	v_fmac_f64_e32 v[54:55], v[44:45], v[166:167]
	v_add_f64 v[12:13], v[12:13], v[54:55]
	s_waitcnt vmcnt(49) lgkmcnt(6)
	v_mul_f64 v[54:55], v[46:47], v[158:159]
	s_waitcnt vmcnt(48)
	v_fmac_f64_e32 v[54:55], v[48:49], v[22:23]
	v_add_f64 v[12:13], v[12:13], v[54:55]
	v_add_f64 v[4:5], v[4:5], v[240:241]
	;; [unrolled: 1-line block ×4, first 2 shown]
	v_accvgpr_read_b32 v6, a172
	s_waitcnt vmcnt(46) lgkmcnt(5)
	v_mul_f64 v[54:55], v[50:51], v[168:169]
	v_accvgpr_read_b32 v8, a174
	s_waitcnt vmcnt(44)
	v_fmac_f64_e32 v[54:55], v[52:53], v[170:171]
	v_add_f64 v[12:13], v[12:13], v[54:55]
	ds_read_b128 v[54:57], v144 offset:1568
	v_accvgpr_read_b32 v9, a175
	v_accvgpr_read_b32 v7, a173
	s_waitcnt vmcnt(42) lgkmcnt(0)
	v_mul_f64 v[66:67], v[54:55], v[174:175]
	s_waitcnt vmcnt(40)
	v_fmac_f64_e32 v[66:67], v[56:57], v[176:177]
	v_add_f64 v[12:13], v[12:13], v[66:67]
	s_waitcnt vmcnt(36)
	v_mul_f64 v[66:67], v[224:225], v[180:181]
	s_waitcnt vmcnt(34)
	v_fmac_f64_e32 v[66:67], v[226:227], v[182:183]
	v_add_f64 v[12:13], v[12:13], v[66:67]
	v_mul_f64 v[66:67], v[228:229], v[172:173]
	s_waitcnt vmcnt(32)
	v_fmac_f64_e32 v[66:67], v[230:231], v[178:179]
	v_add_f64 v[12:13], v[12:13], v[66:67]
	ds_read_b128 v[66:69], v144 offset:1616
	s_waitcnt vmcnt(25)
	v_mul_f64 v[78:79], v[70:71], v[186:187]
	s_waitcnt vmcnt(24)
	v_fmac_f64_e32 v[78:79], v[72:73], v[88:89]
	s_waitcnt lgkmcnt(0)
	v_mul_f64 v[74:75], v[66:67], v[184:185]
	v_fmac_f64_e32 v[74:75], v[68:69], v[190:191]
	v_add_f64 v[12:13], v[12:13], v[74:75]
	v_mul_f64 v[74:75], v[254:255], v[216:217]
	v_fma_f64 v[254:255], v[252:253], v[218:219], -v[74:75]
	ds_read_b128 v[74:77], v144 offset:1648
	v_add_f64 v[12:13], v[12:13], v[78:79]
	ds_read_b128 v[78:81], v144 offset:1664
	v_fma_f64 v[252:253], v[62:63], v[100:101], -v[64:65]
	ds_read_b128 v[62:65], v144 offset:1728
	s_waitcnt vmcnt(21) lgkmcnt(2)
	v_mul_f64 v[90:91], v[74:75], v[194:195]
	s_waitcnt vmcnt(19)
	v_fmac_f64_e32 v[90:91], v[76:77], v[200:201]
	v_add_f64 v[12:13], v[12:13], v[90:91]
	s_waitcnt vmcnt(18) lgkmcnt(1)
	v_mul_f64 v[90:91], v[78:79], v[192:193]
	s_waitcnt vmcnt(16)
	v_fmac_f64_e32 v[90:91], v[80:81], v[198:199]
	v_add_f64 v[12:13], v[12:13], v[90:91]
	ds_read_b128 v[90:93], v144 offset:1696
	s_waitcnt vmcnt(14)
	v_mul_f64 v[98:99], v[118:119], v[196:197]
	buffer_load_dword v217, off, s[0:3], 0 offset:860
	buffer_load_dword v216, off, s[0:3], 0 offset:856
	;; [unrolled: 1-line block ×4, first 2 shown]
	s_waitcnt vmcnt(16)
	v_fmac_f64_e32 v[98:99], v[120:121], v[202:203]
	v_add_f64 v[12:13], v[12:13], v[98:99]
	ds_read_b128 v[98:101], v144 offset:1744
	buffer_load_dword v220, off, s[0:3], 0 offset:872
	buffer_load_dword v221, off, s[0:3], 0 offset:876
	;; [unrolled: 1-line block ×4, first 2 shown]
	ds_read_b128 v[102:105], v144 offset:1760
	buffer_load_dword v233, off, s[0:3], 0 offset:892
	buffer_load_dword v232, off, s[0:3], 0 offset:888
	;; [unrolled: 1-line block ×4, first 2 shown]
	s_waitcnt vmcnt(22) lgkmcnt(2)
	v_mul_f64 v[96:97], v[90:91], v[206:207]
	s_waitcnt vmcnt(20)
	v_fmac_f64_e32 v[96:97], v[92:93], v[208:209]
	v_add_f64 v[12:13], v[12:13], v[96:97]
	s_waitcnt vmcnt(17)
	v_mul_f64 v[96:97], v[58:59], v[212:213]
	s_waitcnt vmcnt(15)
	v_fmac_f64_e32 v[96:97], v[60:61], v[214:215]
	v_add_f64 v[12:13], v[12:13], v[96:97]
	s_waitcnt vmcnt(13)
	v_mul_f64 v[96:97], v[62:63], v[204:205]
	s_waitcnt vmcnt(12)
	v_fmac_f64_e32 v[96:97], v[64:65], v[210:211]
	ds_read_b128 v[106:109], v144 offset:1776
	v_add_f64 v[12:13], v[12:13], v[96:97]
	v_add_f64 v[4:5], v[4:5], v[254:255]
	;; [unrolled: 1-line block ×3, first 2 shown]
	v_accvgpr_read_b32 v2, a198
	v_accvgpr_read_b32 v3, a199
	v_mul_f64 v[4:5], v[8:9], v[142:143]
	v_accvgpr_read_b32 v8, a176
	v_add_f64 v[2:3], v[254:255], v[2:3]
	v_accvgpr_read_b32 v9, a177
	v_add_f64 v[2:3], v[2:3], v[252:253]
	v_fma_f64 v[4:5], v[6:7], v[8:9], -v[4:5]
	v_add_f64 v[2:3], v[2:3], v[4:5]
	v_accvgpr_read_b32 v4, a178
	v_accvgpr_read_b32 v5, a179
	v_accvgpr_read_b32 v6, a180
	v_mul_f64 v[4:5], v[136:137], v[4:5]
	v_accvgpr_read_b32 v7, a181
	v_fma_f64 v[4:5], v[134:135], v[6:7], -v[4:5]
	v_add_f64 v[2:3], v[2:3], v[4:5]
	v_accvgpr_read_b32 v4, a182
	v_accvgpr_read_b32 v5, a183
	v_accvgpr_read_b32 v6, a184
	v_mul_f64 v[4:5], v[132:133], v[4:5]
	v_accvgpr_read_b32 v7, a185
	;; [unrolled: 7-line block ×5, first 2 shown]
	v_fma_f64 v[4:5], v[122:123], v[6:7], -v[4:5]
	v_add_f64 v[2:3], v[2:3], v[4:5]
	v_mul_f64 v[4:5], v[28:29], v[0:1]
	v_fma_f64 v[4:5], v[26:27], v[148:149], -v[4:5]
	v_add_f64 v[2:3], v[2:3], v[4:5]
	v_mul_f64 v[4:5], v[32:33], v[150:151]
	;; [unrolled: 3-line block ×5, first 2 shown]
	v_fma_f64 v[4:5], v[42:43], v[166:167], -v[4:5]
	v_add_f64 v[2:3], v[2:3], v[4:5]
	s_waitcnt vmcnt(10) lgkmcnt(2)
	v_mul_f64 v[96:97], v[98:99], v[216:217]
	v_mul_f64 v[4:5], v[48:49], v[158:159]
	s_waitcnt vmcnt(8)
	v_fmac_f64_e32 v[96:97], v[100:101], v[218:219]
	v_add_f64 v[12:13], v[12:13], v[96:97]
	s_waitcnt vmcnt(6) lgkmcnt(1)
	v_mul_f64 v[96:97], v[102:103], v[220:221]
	v_fma_f64 v[4:5], v[46:47], v[22:23], -v[4:5]
	s_waitcnt vmcnt(4)
	v_fmac_f64_e32 v[96:97], v[104:105], v[222:223]
	v_add_f64 v[12:13], v[12:13], v[96:97]
	s_waitcnt vmcnt(2) lgkmcnt(0)
	v_mul_f64 v[96:97], v[106:107], v[232:233]
	s_waitcnt vmcnt(0)
	v_fmac_f64_e32 v[96:97], v[108:109], v[234:235]
	v_add_f64 v[96:97], v[12:13], v[96:97]
	buffer_load_dword v12, off, s[0:3], 0 offset:904
	buffer_load_dword v13, off, s[0:3], 0 offset:908
	;; [unrolled: 1-line block ×4, first 2 shown]
	ds_read_b128 v[110:113], v144 offset:1792
	buffer_load_dword v243, off, s[0:3], 0 offset:924
	buffer_load_dword v242, off, s[0:3], 0 offset:920
	;; [unrolled: 1-line block ×4, first 2 shown]
	v_add_f64 v[2:3], v[2:3], v[4:5]
	v_mul_f64 v[4:5], v[52:53], v[168:169]
	v_fma_f64 v[4:5], v[50:51], v[170:171], -v[4:5]
	v_add_f64 v[2:3], v[2:3], v[4:5]
	v_mul_f64 v[4:5], v[56:57], v[174:175]
	v_fma_f64 v[4:5], v[54:55], v[176:177], -v[4:5]
	;; [unrolled: 3-line block ×15, first 2 shown]
	v_add_f64 v[2:3], v[2:3], v[4:5]
	v_accvgpr_read_b32 v0, a170
	v_cmp_lt_u32_e32 vcc, 3, v0
	s_waitcnt vmcnt(6) lgkmcnt(0)
	v_mul_f64 v[114:115], v[110:111], v[12:13]
	v_mul_f64 v[4:5], v[112:113], v[12:13]
	s_waitcnt vmcnt(4)
	v_fmac_f64_e32 v[114:115], v[112:113], v[238:239]
	v_add_f64 v[96:97], v[96:97], v[114:115]
	ds_read_b128 v[114:117], v144 offset:1808
	buffer_load_dword v248, off, s[0:3], 0 offset:80
	buffer_load_dword v249, off, s[0:3], 0 offset:84
	;; [unrolled: 1-line block ×4, first 2 shown]
	v_fma_f64 v[4:5], v[110:111], v[238:239], -v[4:5]
	v_add_f64 v[2:3], v[2:3], v[4:5]
	s_waitcnt vmcnt(6) lgkmcnt(0)
	v_mul_f64 v[4:5], v[116:117], v[242:243]
	v_mul_f64 v[250:251], v[114:115], v[242:243]
	s_waitcnt vmcnt(4)
	v_fma_f64 v[4:5], v[114:115], v[244:245], -v[4:5]
	v_fmac_f64_e32 v[250:251], v[116:117], v[244:245]
	v_add_f64 v[2:3], v[2:3], v[4:5]
	v_add_f64 v[96:97], v[96:97], v[250:251]
	s_waitcnt vmcnt(2)
	v_add_f64 v[2:3], v[248:249], -v[2:3]
	s_waitcnt vmcnt(0)
	v_add_f64 v[4:5], v[246:247], -v[96:97]
	buffer_store_dword v3, off, s[0:3], 0 offset:84
	buffer_store_dword v2, off, s[0:3], 0 offset:80
	;; [unrolled: 1-line block ×4, first 2 shown]
	s_and_saveexec_b64 s[4:5], vcc
	s_cbranch_execz .LBB120_349
; %bb.348:
	v_accvgpr_read_b32 v0, a167
	buffer_load_dword v2, v0, s[0:3], 0 offen
	buffer_load_dword v3, v0, s[0:3], 0 offen offset:4
	buffer_load_dword v4, v0, s[0:3], 0 offen offset:8
	;; [unrolled: 1-line block ×3, first 2 shown]
	v_mov_b32_e32 v0, 0
	v_accvgpr_read_b32 v1, a171
	buffer_store_dword v0, off, s[0:3], 0 offset:64
	buffer_store_dword v0, off, s[0:3], 0 offset:68
	;; [unrolled: 1-line block ×4, first 2 shown]
	s_waitcnt vmcnt(4)
	ds_write_b128 v1, v[2:5]
.LBB120_349:
	s_or_b64 exec, exec, s[4:5]
	s_waitcnt lgkmcnt(0)
	; wave barrier
	s_waitcnt lgkmcnt(0)
	buffer_load_dword v158, off, s[0:3], 0 offset:80
	buffer_load_dword v159, off, s[0:3], 0 offset:84
	;; [unrolled: 1-line block ×36, first 2 shown]
	v_mov_b32_e32 v148, 0
	buffer_load_dword v55, off, s[0:3], 0 offset:252
	buffer_load_dword v54, off, s[0:3], 0 offset:248
	buffer_load_dword v57, off, s[0:3], 0 offset:244
	buffer_load_dword v56, off, s[0:3], 0 offset:240
	buffer_load_dword v59, off, s[0:3], 0 offset:236
	buffer_load_dword v58, off, s[0:3], 0 offset:232
	buffer_load_dword v61, off, s[0:3], 0 offset:228
	buffer_load_dword v60, off, s[0:3], 0 offset:224
	buffer_load_dword v65, off, s[0:3], 0 offset:284
	buffer_load_dword v64, off, s[0:3], 0 offset:280
	buffer_load_dword v67, off, s[0:3], 0 offset:276
	buffer_load_dword v66, off, s[0:3], 0 offset:272
	buffer_load_dword v97, off, s[0:3], 0 offset:268
	buffer_load_dword v96, off, s[0:3], 0 offset:264
	buffer_load_dword v99, off, s[0:3], 0 offset:260
	buffer_load_dword v98, off, s[0:3], 0 offset:256
	buffer_load_dword v63, off, s[0:3], 0 offset:316
	buffer_load_dword v62, off, s[0:3], 0 offset:312
	ds_read_b128 v[22:25], v148 offset:976
	ds_read_b128 v[110:113], v148 offset:992
	;; [unrolled: 1-line block ×9, first 2 shown]
	s_waitcnt vmcnt(50) lgkmcnt(8)
	v_mul_f64 v[2:3], v[22:23], v[16:17]
	v_fmac_f64_e32 v[2:3], v[24:25], v[158:159]
	v_add_f64 v[2:3], v[2:3], 0
	v_mul_f64 v[16:17], v[24:25], v[16:17]
	s_waitcnt vmcnt(46) lgkmcnt(7)
	v_mul_f64 v[4:5], v[110:111], v[20:21]
	v_fmac_f64_e32 v[4:5], v[112:113], v[156:157]
	s_waitcnt vmcnt(44) lgkmcnt(6)
	v_mul_f64 v[6:7], v[114:115], v[26:27]
	v_add_f64 v[2:3], v[2:3], v[4:5]
	s_waitcnt vmcnt(42) lgkmcnt(4)
	v_mul_f64 v[10:11], v[166:167], v[30:31]
	v_fma_f64 v[250:251], v[22:23], v[158:159], -v[16:17]
	s_waitcnt vmcnt(40)
	v_fmac_f64_e32 v[10:11], v[168:169], v[32:33]
	v_mul_f64 v[20:21], v[112:113], v[20:21]
	s_waitcnt vmcnt(38)
	v_mul_f64 v[8:9], v[162:163], v[28:29]
	v_mul_f64 v[26:27], v[116:117], v[26:27]
	s_waitcnt vmcnt(36) lgkmcnt(2)
	v_mul_f64 v[68:69], v[174:175], v[44:45]
	v_mul_f64 v[28:29], v[164:165], v[28:29]
	s_waitcnt vmcnt(34)
	v_fmac_f64_e32 v[68:69], v[176:177], v[46:47]
	v_mul_f64 v[30:31], v[168:169], v[30:31]
	s_waitcnt vmcnt(32)
	v_mul_f64 v[12:13], v[170:171], v[34:35]
	v_mul_f64 v[34:35], v[172:173], v[34:35]
	s_waitcnt vmcnt(30) lgkmcnt(1)
	v_mul_f64 v[118:119], v[178:179], v[42:43]
	v_mul_f64 v[42:43], v[180:181], v[42:43]
	s_waitcnt vmcnt(28)
	v_fmac_f64_e32 v[6:7], v[116:117], v[160:161]
	v_add_f64 v[2:3], v[2:3], v[6:7]
	s_waitcnt vmcnt(26)
	v_fmac_f64_e32 v[8:9], v[164:165], v[38:39]
	v_add_f64 v[2:3], v[2:3], v[8:9]
	;; [unrolled: 3-line block ×3, first 2 shown]
	v_add_f64 v[2:3], v[2:3], v[12:13]
	v_add_f64 v[2:3], v[2:3], v[68:69]
	buffer_load_dword v109, off, s[0:3], 0 offset:308
	buffer_load_dword v108, off, s[0:3], 0 offset:304
	;; [unrolled: 1-line block ×40, first 2 shown]
	s_waitcnt vmcnt(62)
	v_fmac_f64_e32 v[118:119], v[180:181], v[50:51]
	s_waitcnt vmcnt(58) lgkmcnt(0)
	v_mul_f64 v[4:5], v[182:183], v[48:49]
	v_add_f64 v[2:3], v[2:3], v[118:119]
	v_fmac_f64_e32 v[4:5], v[184:185], v[52:53]
	v_add_f64 v[2:3], v[2:3], v[4:5]
	v_fma_f64 v[252:253], v[114:115], v[160:161], -v[26:27]
	v_fma_f64 v[254:255], v[162:163], v[38:39], -v[28:29]
	;; [unrolled: 1-line block ×4, first 2 shown]
	v_mul_f64 v[42:43], v[184:185], v[48:49]
	v_fma_f64 v[116:117], v[182:183], v[52:53], -v[42:43]
	s_waitcnt vmcnt(0)
	v_pk_mov_b32 v[6:7], v[0:1], v[0:1] op_sel:[0,1]
	buffer_load_dword v1, off, s[0:3], 0 offset:468
	buffer_load_dword v0, off, s[0:3], 0 offset:464
	v_pk_mov_b32 v[150:151], v[6:7], v[6:7] op_sel:[0,1]
	s_waitcnt vmcnt(0)
	v_pk_mov_b32 v[8:9], v[0:1], v[0:1] op_sel:[0,1]
	buffer_load_dword v91, off, s[0:3], 0 offset:460
	buffer_load_dword v90, off, s[0:3], 0 offset:456
	;; [unrolled: 1-line block ×6, first 2 shown]
	v_accvgpr_write_b32 a177, v9
	v_accvgpr_write_b32 a176, v8
	s_waitcnt vmcnt(0)
	v_pk_mov_b32 v[120:121], v[0:1], v[0:1] op_sel:[0,1]
	buffer_load_dword v1, off, s[0:3], 0 offset:500
	buffer_load_dword v0, off, s[0:3], 0 offset:496
	v_accvgpr_write_b32 a183, v121
	v_accvgpr_write_b32 a182, v120
	s_waitcnt vmcnt(0)
	v_pk_mov_b32 v[122:123], v[0:1], v[0:1] op_sel:[0,1]
	buffer_load_dword v1, off, s[0:3], 0 offset:492
	buffer_load_dword v0, off, s[0:3], 0 offset:488
	;; [unrolled: 6-line block ×7, first 2 shown]
	ds_read_b128 v[186:189], v148 offset:1120
	ds_read_b128 v[190:193], v148 offset:1136
	;; [unrolled: 1-line block ×9, first 2 shown]
	s_waitcnt lgkmcnt(8)
	v_mul_f64 v[4:5], v[186:187], v[58:59]
	v_fmac_f64_e32 v[4:5], v[188:189], v[60:61]
	v_add_f64 v[2:3], v[2:3], v[4:5]
	s_waitcnt lgkmcnt(7)
	v_mul_f64 v[4:5], v[190:191], v[54:55]
	v_fmac_f64_e32 v[4:5], v[192:193], v[56:57]
	v_add_f64 v[2:3], v[2:3], v[4:5]
	;; [unrolled: 4-line block ×9, first 2 shown]
	v_accvgpr_write_b32 a187, v129
	v_accvgpr_write_b32 a186, v128
	v_mul_f64 v[42:43], v[188:189], v[58:59]
	v_mul_f64 v[16:17], v[214:215], v[104:105]
	v_fma_f64 v[16:17], v[212:213], v[106:107], -v[16:17]
	v_mul_f64 v[50:51], v[218:219], v[84:85]
	s_waitcnt vmcnt(0)
	v_pk_mov_b32 v[130:131], v[0:1], v[0:1] op_sel:[0,1]
	buffer_load_dword v19, off, s[0:3], 0 offset:556
	buffer_load_dword v18, off, s[0:3], 0 offset:552
	;; [unrolled: 1-line block ×4, first 2 shown]
	ds_read_b128 v[224:227], v148 offset:1264
	buffer_load_dword v15, off, s[0:3], 0 offset:572
	buffer_load_dword v14, off, s[0:3], 0 offset:568
	;; [unrolled: 1-line block ×12, first 2 shown]
	ds_read_b128 v[228:231], v148 offset:1280
	ds_read_b128 v[232:235], v148 offset:1296
	s_waitcnt lgkmcnt(2)
	v_mul_f64 v[4:5], v[224:225], v[68:69]
	v_fmac_f64_e32 v[4:5], v[226:227], v[70:71]
	ds_read_b128 v[236:239], v148 offset:1312
	ds_read_b128 v[240:243], v148 offset:1328
	v_add_f64 v[2:3], v[2:3], v[4:5]
	s_waitcnt lgkmcnt(3)
	v_mul_f64 v[4:5], v[228:229], v[72:73]
	v_fmac_f64_e32 v[4:5], v[230:231], v[82:83]
	v_add_f64 v[2:3], v[2:3], v[4:5]
	s_waitcnt lgkmcnt(2)
	v_mul_f64 v[4:5], v[232:233], v[74:75]
	v_fmac_f64_e32 v[4:5], v[234:235], v[76:77]
	v_add_f64 v[2:3], v[2:3], v[4:5]
	s_waitcnt lgkmcnt(1)
	v_mul_f64 v[4:5], v[236:237], v[78:79]
	ds_read_b128 v[244:247], v148 offset:1344
	ds_read_b128 v[144:147], v148 offset:1360
	v_fmac_f64_e32 v[4:5], v[238:239], v[80:81]
	v_add_f64 v[2:3], v[2:3], v[4:5]
	s_waitcnt lgkmcnt(2)
	v_mul_f64 v[4:5], v[240:241], v[86:87]
	v_fmac_f64_e32 v[4:5], v[242:243], v[88:89]
	v_add_f64 v[10:11], v[2:3], v[4:5]
	ds_read_b128 v[2:5], v148 offset:1376
	ds_read_b128 v[132:135], v148 offset:1392
	s_waitcnt lgkmcnt(3)
	v_mul_f64 v[12:13], v[244:245], v[90:91]
	v_fmac_f64_e32 v[12:13], v[246:247], v[92:93]
	v_add_f64 v[10:11], v[10:11], v[12:13]
	s_waitcnt lgkmcnt(2)
	v_mul_f64 v[12:13], v[144:145], v[6:7]
	v_fmac_f64_e32 v[12:13], v[146:147], v[8:9]
	v_add_f64 v[10:11], v[10:11], v[12:13]
	s_waitcnt lgkmcnt(1)
	v_mul_f64 v[12:13], v[2:3], v[124:125]
	v_fmac_f64_e32 v[12:13], v[4:5], v[126:127]
	s_waitcnt lgkmcnt(0)
	v_mul_f64 v[22:23], v[132:133], v[120:121]
	v_add_f64 v[118:119], v[10:11], v[12:13]
	ds_read_b128 v[124:127], v148 offset:1408
	v_fmac_f64_e32 v[22:23], v[134:135], v[122:123]
	v_add_f64 v[22:23], v[118:119], v[22:23]
	v_fma_f64 v[118:119], v[110:111], v[156:157], -v[20:21]
	ds_read_b128 v[156:159], v148 offset:1424
	s_waitcnt lgkmcnt(1)
	v_mul_f64 v[24:25], v[124:125], v[128:129]
	v_accvgpr_write_b32 a189, v131
	v_fmac_f64_e32 v[24:25], v[126:127], v[130:131]
	v_accvgpr_write_b32 a188, v130
	ds_read_b128 v[128:131], v148 offset:1440
	s_waitcnt lgkmcnt(1)
	v_mul_f64 v[26:27], v[156:157], v[136:137]
	v_fmac_f64_e32 v[26:27], v[158:159], v[140:141]
	buffer_load_dword v161, off, s[0:3], 0 offset:620
	buffer_load_dword v160, off, s[0:3], 0 offset:616
	;; [unrolled: 1-line block ×7, first 2 shown]
	ds_read_b128 v[120:123], v148 offset:1456
	v_add_f64 v[110:111], v[22:23], v[24:25]
	buffer_load_dword v141, off, s[0:3], 0 offset:628
	v_fma_f64 v[24:25], v[166:167], v[32:33], -v[30:31]
	ds_read_b128 v[30:33], v148 offset:1472
	v_accvgpr_write_b32 a175, v5
	ds_read_b128 v[34:37], v148 offset:1488
	v_accvgpr_write_b32 a174, v4
	v_accvgpr_write_b32 a173, v3
	;; [unrolled: 1-line block ×3, first 2 shown]
	v_add_f64 v[26:27], v[110:111], v[26:27]
	v_fma_f64 v[22:23], v[186:187], v[60:61], -v[42:43]
	v_mul_f64 v[42:43], v[192:193], v[54:55]
	v_fma_f64 v[20:21], v[190:191], v[56:57], -v[42:43]
	v_mul_f64 v[42:43], v[196:197], v[96:97]
	v_mul_f64 v[12:13], v[200:201], v[64:65]
	;; [unrolled: 1-line block ×4, first 2 shown]
	v_fma_f64 v[2:3], v[236:237], v[80:81], -v[78:79]
	v_mul_f64 v[86:87], v[242:243], v[86:87]
	v_fma_f64 v[242:243], v[240:241], v[88:89], -v[86:87]
	v_mul_f64 v[90:91], v[246:247], v[90:91]
	v_fma_f64 v[90:91], v[244:245], v[92:93], -v[90:91]
	v_accvgpr_write_b32 a201, v91
	v_accvgpr_write_b32 a200, v90
	s_waitcnt vmcnt(22) lgkmcnt(3)
	v_mul_f64 v[28:29], v[128:129], v[18:19]
	v_accvgpr_write_b32 a195, v19
	s_waitcnt vmcnt(20)
	v_fmac_f64_e32 v[28:29], v[130:131], v[0:1]
	s_waitcnt vmcnt(18) lgkmcnt(2)
	v_mul_f64 v[4:5], v[120:121], v[14:15]
	v_add_f64 v[38:39], v[26:27], v[28:29]
	s_waitcnt vmcnt(16)
	v_fmac_f64_e32 v[4:5], v[122:123], v[142:143]
	v_add_f64 v[4:5], v[38:39], v[4:5]
	s_waitcnt vmcnt(13) lgkmcnt(1)
	v_mul_f64 v[38:39], v[30:31], v[152:153]
	s_waitcnt vmcnt(11)
	v_fmac_f64_e32 v[38:39], v[32:33], v[154:155]
	v_add_f64 v[4:5], v[4:5], v[38:39]
	s_waitcnt vmcnt(10) lgkmcnt(0)
	v_mul_f64 v[38:39], v[34:35], v[40:41]
	v_accvgpr_write_b32 a197, v1
	s_waitcnt vmcnt(8)
	v_fmac_f64_e32 v[38:39], v[36:37], v[138:139]
	v_accvgpr_write_b32 a196, v0
	v_pk_mov_b32 v[0:1], v[40:41], v[40:41] op_sel:[0,1]
	v_add_f64 v[110:111], v[4:5], v[38:39]
	ds_read_b128 v[38:41], v148 offset:1504
	buffer_load_dword v27, off, s[0:3], 0 offset:652
	buffer_load_dword v26, off, s[0:3], 0 offset:648
	buffer_load_dword v171, off, s[0:3], 0 offset:644
	buffer_load_dword v170, off, s[0:3], 0 offset:640
	buffer_load_dword v169, off, s[0:3], 0 offset:668
	buffer_load_dword v168, off, s[0:3], 0 offset:664
	buffer_load_dword v173, off, s[0:3], 0 offset:660
	buffer_load_dword v172, off, s[0:3], 0 offset:656
	buffer_load_dword v167, off, s[0:3], 0 offset:700
	v_mul_f64 v[4:5], v[176:177], v[44:45]
	v_fma_f64 v[112:113], v[174:175], v[46:47], -v[4:5]
	buffer_load_dword v177, off, s[0:3], 0 offset:684
	buffer_load_dword v176, off, s[0:3], 0 offset:680
	;; [unrolled: 1-line block ×19, first 2 shown]
	v_accvgpr_write_b32 a199, v15
	v_accvgpr_write_b32 a194, v18
	;; [unrolled: 1-line block ×3, first 2 shown]
	v_fma_f64 v[18:19], v[194:195], v[98:99], -v[42:43]
	v_fma_f64 v[14:15], v[198:199], v[66:67], -v[12:13]
	buffer_load_dword v193, off, s[0:3], 0 offset:764
	buffer_load_dword v192, off, s[0:3], 0 offset:760
	;; [unrolled: 1-line block ×8, first 2 shown]
	v_mul_f64 v[42:43], v[204:205], v[210:211]
	v_fma_f64 v[248:249], v[202:203], v[248:249], -v[42:43]
	buffer_load_dword v203, off, s[0:3], 0 offset:796
	buffer_load_dword v202, off, s[0:3], 0 offset:792
	;; [unrolled: 1-line block ×4, first 2 shown]
	v_mul_f64 v[42:43], v[208:209], v[62:63]
	v_fma_f64 v[12:13], v[206:207], v[108:109], -v[42:43]
	buffer_load_dword v200, off, s[0:3], 0 offset:824
	buffer_load_dword v209, off, s[0:3], 0 offset:812
	;; [unrolled: 1-line block ×8, first 2 shown]
	ds_read_b128 v[42:45], v148 offset:1520
	buffer_load_dword v213, off, s[0:3], 0 offset:844
	buffer_load_dword v212, off, s[0:3], 0 offset:840
	;; [unrolled: 1-line block ×4, first 2 shown]
	v_mul_f64 v[62:63], v[226:227], v[68:69]
	v_fma_f64 v[8:9], v[224:225], v[70:71], -v[62:63]
	ds_read_b128 v[62:65], v148 offset:1600
	v_fma_f64 v[4:5], v[232:233], v[76:77], -v[74:75]
	ds_read_b128 v[78:81], v148 offset:1664
	ds_read_b128 v[86:89], v148 offset:1696
	;; [unrolled: 1-line block ×4, first 2 shown]
	s_waitcnt vmcnt(58) lgkmcnt(6)
	v_mul_f64 v[46:47], v[38:39], v[160:161]
	s_waitcnt vmcnt(54)
	v_fmac_f64_e32 v[46:47], v[40:41], v[162:163]
	s_waitcnt vmcnt(53) lgkmcnt(5)
	v_mul_f64 v[48:49], v[42:43], v[136:137]
	v_add_f64 v[46:47], v[110:111], v[46:47]
	v_fma_f64 v[110:111], v[216:217], v[94:95], -v[50:51]
	s_waitcnt vmcnt(52)
	v_fmac_f64_e32 v[48:49], v[44:45], v[140:141]
	v_add_f64 v[54:55], v[46:47], v[48:49]
	ds_read_b128 v[46:49], v148 offset:1536
	ds_read_b128 v[50:53], v148 offset:1552
	s_waitcnt vmcnt(50) lgkmcnt(1)
	v_mul_f64 v[56:57], v[46:47], v[26:27]
	s_waitcnt vmcnt(48)
	v_fmac_f64_e32 v[56:57], v[48:49], v[170:171]
	v_add_f64 v[58:59], v[54:55], v[56:57]
	v_mul_f64 v[54:55], v[222:223], v[100:101]
	v_fma_f64 v[10:11], v[220:221], v[102:103], -v[54:55]
	ds_read_b128 v[54:57], v148 offset:1568
	s_waitcnt vmcnt(46) lgkmcnt(1)
	v_mul_f64 v[60:61], v[50:51], v[168:169]
	s_waitcnt vmcnt(44)
	v_fmac_f64_e32 v[60:61], v[52:53], v[172:173]
	v_add_f64 v[66:67], v[58:59], v[60:61]
	ds_read_b128 v[58:61], v148 offset:1584
	s_waitcnt vmcnt(41) lgkmcnt(1)
	v_mul_f64 v[68:69], v[54:55], v[176:177]
	s_waitcnt vmcnt(39)
	v_fmac_f64_e32 v[68:69], v[56:57], v[180:181]
	v_add_f64 v[70:71], v[66:67], v[68:69]
	v_mul_f64 v[66:67], v[230:231], v[72:73]
	v_fma_f64 v[6:7], v[228:229], v[82:83], -v[66:67]
	ds_read_b128 v[66:69], v148 offset:1616
	s_waitcnt vmcnt(38) lgkmcnt(1)
	v_mul_f64 v[84:85], v[58:59], v[166:167]
	s_waitcnt vmcnt(36)
	v_fmac_f64_e32 v[84:85], v[60:61], v[178:179]
	s_waitcnt vmcnt(33)
	v_mul_f64 v[72:73], v[62:63], v[184:185]
	v_add_f64 v[70:71], v[70:71], v[84:85]
	s_waitcnt vmcnt(31)
	v_fmac_f64_e32 v[72:73], v[64:65], v[186:187]
	v_add_f64 v[70:71], v[70:71], v[72:73]
	s_waitcnt vmcnt(29) lgkmcnt(0)
	v_mul_f64 v[72:73], v[66:67], v[174:175]
	s_waitcnt vmcnt(28)
	v_fmac_f64_e32 v[72:73], v[68:69], v[182:183]
	v_add_f64 v[82:83], v[70:71], v[72:73]
	ds_read_b128 v[70:73], v148 offset:1632
	s_waitcnt vmcnt(26) lgkmcnt(0)
	v_mul_f64 v[84:85], v[70:71], v[188:189]
	s_waitcnt vmcnt(24)
	v_fmac_f64_e32 v[84:85], v[72:73], v[190:191]
	v_add_f64 v[28:29], v[82:83], v[84:85]
	s_waitcnt vmcnt(22)
	v_mul_f64 v[82:83], v[74:75], v[192:193]
	s_waitcnt vmcnt(20)
	v_fmac_f64_e32 v[82:83], v[76:77], v[196:197]
	v_add_f64 v[28:29], v[28:29], v[82:83]
	s_waitcnt vmcnt(18)
	v_mul_f64 v[82:83], v[78:79], v[194:195]
	s_waitcnt vmcnt(16)
	v_fmac_f64_e32 v[82:83], v[80:81], v[198:199]
	v_add_f64 v[28:29], v[28:29], v[82:83]
	ds_read_b128 v[82:85], v148 offset:1680
	s_waitcnt vmcnt(14) lgkmcnt(0)
	v_mul_f64 v[94:95], v[82:83], v[202:203]
	s_waitcnt vmcnt(12)
	v_fmac_f64_e32 v[94:95], v[84:85], v[204:205]
	v_add_f64 v[28:29], v[28:29], v[94:95]
	s_waitcnt vmcnt(9)
	v_mul_f64 v[94:95], v[86:87], v[208:209]
	s_waitcnt vmcnt(7)
	v_fmac_f64_e32 v[94:95], v[88:89], v[210:211]
	v_add_f64 v[28:29], v[28:29], v[94:95]
	s_waitcnt vmcnt(5)
	v_mul_f64 v[94:95], v[90:91], v[200:201]
	s_waitcnt vmcnt(4)
	v_fmac_f64_e32 v[94:95], v[92:93], v[206:207]
	v_add_f64 v[28:29], v[28:29], v[94:95]
	ds_read_b128 v[94:97], v148 offset:1728
	buffer_load_dword v216, off, s[0:3], 0 offset:856
	buffer_load_dword v217, off, s[0:3], 0 offset:860
	buffer_load_dword v218, off, s[0:3], 0 offset:848
	buffer_load_dword v219, off, s[0:3], 0 offset:852
	s_waitcnt vmcnt(6) lgkmcnt(0)
	v_mul_f64 v[98:99], v[94:95], v[212:213]
	s_waitcnt vmcnt(4)
	v_fmac_f64_e32 v[98:99], v[96:97], v[214:215]
	v_add_f64 v[28:29], v[28:29], v[98:99]
	ds_read_b128 v[98:101], v148 offset:1744
	buffer_load_dword v221, off, s[0:3], 0 offset:876
	buffer_load_dword v220, off, s[0:3], 0 offset:872
	buffer_load_dword v233, off, s[0:3], 0 offset:868
	buffer_load_dword v232, off, s[0:3], 0 offset:864
	s_waitcnt vmcnt(6) lgkmcnt(0)
	;; [unrolled: 10-line block ×5, first 2 shown]
	v_mul_f64 v[228:229], v[224:225], v[238:239]
	s_waitcnt vmcnt(4)
	v_fmac_f64_e32 v[228:229], v[226:227], v[240:241]
	v_add_f64 v[28:29], v[28:29], v[228:229]
	ds_read_b128 v[228:231], v148 offset:1808
	s_waitcnt vmcnt(2) lgkmcnt(0)
	v_mul_f64 v[222:223], v[228:229], v[244:245]
	s_waitcnt vmcnt(0)
	v_fmac_f64_e32 v[222:223], v[230:231], v[246:247]
	v_add_f64 v[28:29], v[28:29], v[222:223]
	v_add_f64 v[222:223], v[250:251], 0
	;; [unrolled: 1-line block ×17, first 2 shown]
	buffer_load_dword v250, off, s[0:3], 0 offset:64
	buffer_load_dword v251, off, s[0:3], 0 offset:68
	v_add_f64 v[12:13], v[12:13], v[110:111]
	buffer_load_dword v248, off, s[0:3], 0 offset:72
	buffer_load_dword v249, off, s[0:3], 0 offset:76
	v_add_f64 v[10:11], v[12:13], v[10:11]
	v_add_f64 v[8:9], v[10:11], v[8:9]
	;; [unrolled: 1-line block ×6, first 2 shown]
	v_accvgpr_read_b32 v2, a200
	v_accvgpr_read_b32 v6, a176
	;; [unrolled: 1-line block ×3, first 2 shown]
	v_mul_f64 v[4:5], v[146:147], v[150:151]
	v_accvgpr_read_b32 v7, a177
	v_add_f64 v[2:3], v[252:253], v[2:3]
	v_fma_f64 v[4:5], v[144:145], v[6:7], -v[4:5]
	v_add_f64 v[2:3], v[2:3], v[4:5]
	v_accvgpr_read_b32 v6, a172
	v_accvgpr_read_b32 v4, a178
	;; [unrolled: 1-line block ×5, first 2 shown]
	v_mul_f64 v[4:5], v[8:9], v[4:5]
	v_accvgpr_read_b32 v8, a180
	v_accvgpr_read_b32 v7, a173
	;; [unrolled: 1-line block ×3, first 2 shown]
	v_fma_f64 v[4:5], v[6:7], v[8:9], -v[4:5]
	v_add_f64 v[2:3], v[2:3], v[4:5]
	v_accvgpr_read_b32 v4, a182
	v_accvgpr_read_b32 v5, a183
	v_accvgpr_read_b32 v6, a184
	v_mul_f64 v[4:5], v[134:135], v[4:5]
	v_accvgpr_read_b32 v7, a185
	v_fma_f64 v[4:5], v[132:133], v[6:7], -v[4:5]
	v_add_f64 v[2:3], v[2:3], v[4:5]
	v_accvgpr_read_b32 v4, a186
	v_accvgpr_read_b32 v5, a187
	v_accvgpr_read_b32 v6, a188
	v_mul_f64 v[4:5], v[126:127], v[4:5]
	v_accvgpr_read_b32 v7, a189
	;; [unrolled: 7-line block ×4, first 2 shown]
	v_fma_f64 v[4:5], v[128:129], v[6:7], -v[4:5]
	v_add_f64 v[2:3], v[2:3], v[4:5]
	v_accvgpr_read_b32 v4, a198
	v_accvgpr_read_b32 v5, a199
	v_mul_f64 v[4:5], v[122:123], v[4:5]
	v_fma_f64 v[4:5], v[120:121], v[142:143], -v[4:5]
	v_add_f64 v[2:3], v[2:3], v[4:5]
	v_mul_f64 v[4:5], v[32:33], v[152:153]
	v_fma_f64 v[4:5], v[30:31], v[154:155], -v[4:5]
	v_add_f64 v[2:3], v[2:3], v[4:5]
	;; [unrolled: 3-line block ×23, first 2 shown]
	v_accvgpr_read_b32 v0, a170
	s_waitcnt vmcnt(2)
	v_add_f64 v[2:3], v[250:251], -v[2:3]
	v_cmp_lt_u32_e32 vcc, 2, v0
	s_waitcnt vmcnt(0)
	v_add_f64 v[4:5], v[248:249], -v[28:29]
	buffer_store_dword v3, off, s[0:3], 0 offset:68
	buffer_store_dword v2, off, s[0:3], 0 offset:64
	buffer_store_dword v5, off, s[0:3], 0 offset:76
	buffer_store_dword v4, off, s[0:3], 0 offset:72
	s_and_saveexec_b64 s[4:5], vcc
	s_cbranch_execz .LBB120_351
; %bb.350:
	v_accvgpr_read_b32 v0, a168
	buffer_load_dword v2, v0, s[0:3], 0 offen
	buffer_load_dword v3, v0, s[0:3], 0 offen offset:4
	buffer_load_dword v4, v0, s[0:3], 0 offen offset:8
	;; [unrolled: 1-line block ×3, first 2 shown]
	v_accvgpr_read_b32 v0, a171
	buffer_store_dword v148, off, s[0:3], 0 offset:48
	buffer_store_dword v148, off, s[0:3], 0 offset:52
	;; [unrolled: 1-line block ×4, first 2 shown]
	s_waitcnt vmcnt(4)
	ds_write_b128 v0, v[2:5]
.LBB120_351:
	s_or_b64 exec, exec, s[4:5]
	s_waitcnt lgkmcnt(0)
	; wave barrier
	s_waitcnt lgkmcnt(0)
	buffer_load_dword v130, off, s[0:3], 0 offset:64
	buffer_load_dword v131, off, s[0:3], 0 offset:68
	;; [unrolled: 1-line block ×42, first 2 shown]
	ds_read_b128 v[14:17], v148 offset:960
	ds_read_b128 v[26:29], v148 offset:976
	;; [unrolled: 1-line block ×10, first 2 shown]
	buffer_load_dword v105, off, s[0:3], 0 offset:212
	buffer_load_dword v104, off, s[0:3], 0 offset:208
	ds_read_b128 v[42:45], v148 offset:1120
	buffer_load_dword v65, off, s[0:3], 0 offset:268
	buffer_load_dword v64, off, s[0:3], 0 offset:264
	;; [unrolled: 1-line block ×6, first 2 shown]
	s_waitcnt vmcnt(46) lgkmcnt(10)
	v_mul_f64 v[2:3], v[14:15], v[8:9]
	v_fmac_f64_e32 v[2:3], v[16:17], v[130:131]
	v_add_f64 v[2:3], v[2:3], 0
	v_mul_f64 v[8:9], v[16:17], v[8:9]
	s_waitcnt vmcnt(42) lgkmcnt(9)
	v_mul_f64 v[4:5], v[26:27], v[12:13]
	v_fmac_f64_e32 v[4:5], v[28:29], v[146:147]
	s_waitcnt vmcnt(40) lgkmcnt(8)
	v_mul_f64 v[66:67], v[106:107], v[154:155]
	v_add_f64 v[2:3], v[2:3], v[4:5]
	s_waitcnt vmcnt(38) lgkmcnt(6)
	v_mul_f64 v[72:73], v[114:115], v[30:31]
	v_mul_f64 v[12:13], v[28:29], v[12:13]
	s_waitcnt vmcnt(36)
	v_fmac_f64_e32 v[72:73], v[116:117], v[32:33]
	v_fma_f64 v[130:131], v[14:15], v[130:131], -v[8:9]
	s_waitcnt vmcnt(34)
	v_mul_f64 v[68:69], v[110:111], v[22:23]
	v_mul_f64 v[30:31], v[116:117], v[30:31]
	s_waitcnt vmcnt(32) lgkmcnt(4)
	v_mul_f64 v[76:77], v[164:165], v[38:39]
	v_mul_f64 v[22:23], v[112:113], v[22:23]
	s_waitcnt vmcnt(30)
	v_fmac_f64_e32 v[76:77], v[166:167], v[40:41]
	s_waitcnt vmcnt(28)
	v_mul_f64 v[74:75], v[156:157], v[34:35]
	v_mul_f64 v[34:35], v[158:159], v[34:35]
	s_waitcnt vmcnt(26) lgkmcnt(2)
	v_mul_f64 v[80:81], v[172:173], v[52:53]
	v_mul_f64 v[52:53], v[174:175], v[52:53]
	s_waitcnt vmcnt(23)
	v_mul_f64 v[78:79], v[168:169], v[56:57]
	s_waitcnt vmcnt(21) lgkmcnt(1)
	v_mul_f64 v[144:145], v[46:47], v[50:51]
	s_waitcnt vmcnt(19)
	v_fmac_f64_e32 v[66:67], v[108:109], v[180:181]
	v_add_f64 v[2:3], v[2:3], v[66:67]
	s_waitcnt vmcnt(17)
	v_fmac_f64_e32 v[68:69], v[112:113], v[24:25]
	v_add_f64 v[2:3], v[2:3], v[68:69]
	;; [unrolled: 3-line block ×3, first 2 shown]
	v_add_f64 v[2:3], v[2:3], v[74:75]
	s_waitcnt vmcnt(13)
	v_fmac_f64_e32 v[78:79], v[170:171], v[58:59]
	v_add_f64 v[2:3], v[2:3], v[76:77]
	s_waitcnt vmcnt(12)
	v_fmac_f64_e32 v[80:81], v[174:175], v[54:55]
	v_add_f64 v[2:3], v[2:3], v[78:79]
	v_add_f64 v[2:3], v[2:3], v[80:81]
	buffer_load_dword v187, off, s[0:3], 0 offset:244
	buffer_load_dword v186, off, s[0:3], 0 offset:240
	buffer_load_dword v209, off, s[0:3], 0 offset:300
	buffer_load_dword v208, off, s[0:3], 0 offset:296
	buffer_load_dword v211, off, s[0:3], 0 offset:292
	buffer_load_dword v210, off, s[0:3], 0 offset:288
	buffer_load_dword v233, off, s[0:3], 0 offset:284
	buffer_load_dword v232, off, s[0:3], 0 offset:280
	buffer_load_dword v251, off, s[0:3], 0 offset:276
	buffer_load_dword v250, off, s[0:3], 0 offset:272
	buffer_load_dword v97, off, s[0:3], 0 offset:332
	buffer_load_dword v96, off, s[0:3], 0 offset:328
	buffer_load_dword v99, off, s[0:3], 0 offset:324
	buffer_load_dword v98, off, s[0:3], 0 offset:320
	buffer_load_dword v253, off, s[0:3], 0 offset:316
	buffer_load_dword v252, off, s[0:3], 0 offset:312
	buffer_load_dword v255, off, s[0:3], 0 offset:308
	buffer_load_dword v254, off, s[0:3], 0 offset:304
	buffer_load_dword v77, off, s[0:3], 0 offset:364
	buffer_load_dword v76, off, s[0:3], 0 offset:360
	buffer_load_dword v87, off, s[0:3], 0 offset:356
	buffer_load_dword v86, off, s[0:3], 0 offset:352
	buffer_load_dword v101, off, s[0:3], 0 offset:348
	buffer_load_dword v100, off, s[0:3], 0 offset:344
	buffer_load_dword v103, off, s[0:3], 0 offset:340
	buffer_load_dword v102, off, s[0:3], 0 offset:336
	buffer_load_dword v67, off, s[0:3], 0 offset:396
	buffer_load_dword v66, off, s[0:3], 0 offset:392
	buffer_load_dword v69, off, s[0:3], 0 offset:388
	buffer_load_dword v68, off, s[0:3], 0 offset:384
	buffer_load_dword v89, off, s[0:3], 0 offset:380
	buffer_load_dword v88, off, s[0:3], 0 offset:376
	buffer_load_dword v95, off, s[0:3], 0 offset:372
	buffer_load_dword v94, off, s[0:3], 0 offset:368
	buffer_load_dword v79, off, s[0:3], 0 offset:428
	buffer_load_dword v78, off, s[0:3], 0 offset:424
	buffer_load_dword v81, off, s[0:3], 0 offset:420
	buffer_load_dword v80, off, s[0:3], 0 offset:416
	buffer_load_dword v73, off, s[0:3], 0 offset:412
	buffer_load_dword v72, off, s[0:3], 0 offset:408
	buffer_load_dword v75, off, s[0:3], 0 offset:404
	buffer_load_dword v74, off, s[0:3], 0 offset:400
	buffer_load_dword v91, off, s[0:3], 0 offset:460
	buffer_load_dword v90, off, s[0:3], 0 offset:456
	buffer_load_dword v93, off, s[0:3], 0 offset:452
	buffer_load_dword v92, off, s[0:3], 0 offset:448
	buffer_load_dword v83, off, s[0:3], 0 offset:444
	buffer_load_dword v82, off, s[0:3], 0 offset:440
	buffer_load_dword v85, off, s[0:3], 0 offset:436
	buffer_load_dword v84, off, s[0:3], 0 offset:432
	buffer_load_dword v5, off, s[0:3], 0 offset:492
	buffer_load_dword v4, off, s[0:3], 0 offset:488
	s_waitcnt vmcnt(58)
	v_fmac_f64_e32 v[144:145], v[48:49], v[104:105]
	v_add_f64 v[2:3], v[2:3], v[144:145]
	s_waitcnt vmcnt(0)
	v_pk_mov_b32 v[122:123], v[4:5], v[4:5] op_sel:[0,1]
	buffer_load_dword v5, off, s[0:3], 0 offset:484
	buffer_load_dword v4, off, s[0:3], 0 offset:480
	v_accvgpr_write_b32 a181, v123
	v_accvgpr_write_b32 a180, v122
	s_waitcnt vmcnt(0)
	v_pk_mov_b32 v[124:125], v[4:5], v[4:5] op_sel:[0,1]
	buffer_load_dword v5, off, s[0:3], 0 offset:476
	buffer_load_dword v4, off, s[0:3], 0 offset:472
	v_accvgpr_write_b32 a183, v125
	v_accvgpr_write_b32 a182, v124
	;; [unrolled: 6-line block ×6, first 2 shown]
	s_waitcnt vmcnt(0)
	v_pk_mov_b32 v[184:185], v[4:5], v[4:5] op_sel:[0,1]
	buffer_load_dword v5, off, s[0:3], 0 offset:500
	buffer_load_dword v4, off, s[0:3], 0 offset:496
	s_waitcnt vmcnt(0)
	v_pk_mov_b32 v[188:189], v[4:5], v[4:5] op_sel:[0,1]
	buffer_load_dword v5, off, s[0:3], 0 offset:556
	buffer_load_dword v4, off, s[0:3], 0 offset:552
	v_accvgpr_write_b32 a184, v188
	v_accvgpr_write_b32 a185, v189
	s_waitcnt vmcnt(0)
	v_pk_mov_b32 v[162:163], v[4:5], v[4:5] op_sel:[0,1]
	buffer_load_dword v5, off, s[0:3], 0 offset:548
	buffer_load_dword v4, off, s[0:3], 0 offset:544
	v_accvgpr_write_b32 a191, v163
	v_accvgpr_write_b32 a190, v162
	s_waitcnt vmcnt(0)
	v_pk_mov_b32 v[182:183], v[4:5], v[4:5] op_sel:[0,1]
	buffer_load_dword v7, off, s[0:3], 0 offset:540
	buffer_load_dword v6, off, s[0:3], 0 offset:536
	;; [unrolled: 1-line block ×4, first 2 shown]
	ds_read_b128 v[176:179], v148 offset:1136
	ds_read_b128 v[192:195], v148 offset:1152
	;; [unrolled: 1-line block ×7, first 2 shown]
	buffer_load_dword v11, off, s[0:3], 0 offset:572
	buffer_load_dword v10, off, s[0:3], 0 offset:568
	;; [unrolled: 1-line block ×4, first 2 shown]
	ds_read_b128 v[220:223], v148 offset:1248
	buffer_load_dword v132, off, s[0:3], 0 offset:584
	buffer_load_dword v133, off, s[0:3], 0 offset:588
	;; [unrolled: 1-line block ×4, first 2 shown]
	ds_read_b128 v[224:227], v148 offset:1264
	ds_read_b128 v[228:231], v148 offset:1280
	;; [unrolled: 1-line block ×4, first 2 shown]
	buffer_load_dword v139, off, s[0:3], 0 offset:604
	buffer_load_dword v138, off, s[0:3], 0 offset:600
	;; [unrolled: 1-line block ×4, first 2 shown]
	ds_read_b128 v[242:245], v148 offset:1328
	ds_read_b128 v[246:249], v148 offset:1344
	;; [unrolled: 1-line block ×5, first 2 shown]
	v_accvgpr_write_b32 a193, v183
	v_accvgpr_write_b32 a192, v182
	s_waitcnt lgkmcnt(1)
	v_mul_f64 v[14:15], v[16:17], v[122:123]
	v_fmac_f64_e32 v[14:15], v[18:19], v[124:125]
	ds_read_b128 v[122:125], v148 offset:1456
	v_accvgpr_write_b32 a179, v19
	v_accvgpr_write_b32 a178, v18
	;; [unrolled: 1-line block ×4, first 2 shown]
	v_mul_f64 v[18:19], v[108:109], v[154:155]
	v_fma_f64 v[108:109], v[114:115], v[32:33], -v[30:31]
	ds_read_b128 v[30:33], v148 offset:1472
	v_fma_f64 v[180:181], v[106:107], v[180:181], -v[18:19]
	v_fma_f64 v[106:107], v[110:111], v[24:25], -v[22:23]
	;; [unrolled: 1-line block ×3, first 2 shown]
	v_pk_mov_b32 v[154:155], v[184:185], v[184:185] op_sel:[0,1]
	s_waitcnt vmcnt(14)
	v_accvgpr_write_b32 a197, v7
	v_accvgpr_write_b32 a196, v6
	s_waitcnt vmcnt(12)
	v_pk_mov_b32 v[190:191], v[4:5], v[4:5] op_sel:[0,1]
	v_mul_f64 v[4:5], v[42:43], v[60:61]
	v_fmac_f64_e32 v[4:5], v[44:45], v[62:63]
	v_add_f64 v[2:3], v[2:3], v[4:5]
	v_mul_f64 v[4:5], v[176:177], v[118:119]
	v_fmac_f64_e32 v[4:5], v[178:179], v[186:187]
	v_add_f64 v[2:3], v[2:3], v[4:5]
	;; [unrolled: 3-line block ×16, first 2 shown]
	v_fma_f64 v[160:161], v[26:27], v[146:147], -v[12:13]
	ds_read_b128 v[144:147], v148 offset:1408
	s_waitcnt lgkmcnt(3)
	v_mul_f64 v[26:27], v[150:151], v[184:185]
	v_add_f64 v[4:5], v[4:5], v[14:15]
	v_fmac_f64_e32 v[26:27], v[152:153], v[188:189]
	ds_read_b128 v[140:143], v148 offset:1424
	v_add_f64 v[4:5], v[4:5], v[26:27]
	s_waitcnt lgkmcnt(1)
	v_mul_f64 v[26:27], v[144:145], v[126:127]
	v_fmac_f64_e32 v[26:27], v[146:147], v[128:129]
	ds_read_b128 v[126:129], v148 offset:1440
	v_add_f64 v[4:5], v[4:5], v[26:27]
	s_waitcnt lgkmcnt(1)
	v_mul_f64 v[26:27], v[140:141], v[6:7]
	v_fmac_f64_e32 v[26:27], v[142:143], v[190:191]
	v_add_f64 v[4:5], v[4:5], v[26:27]
	s_waitcnt lgkmcnt(0)
	v_mul_f64 v[26:27], v[126:127], v[162:163]
	v_fmac_f64_e32 v[26:27], v[128:129], v[182:183]
	s_waitcnt vmcnt(10)
	v_mul_f64 v[110:111], v[122:123], v[10:11]
	v_add_f64 v[4:5], v[4:5], v[26:27]
	s_waitcnt vmcnt(8)
	v_fmac_f64_e32 v[110:111], v[124:125], v[120:121]
	v_add_f64 v[4:5], v[4:5], v[110:111]
	v_fma_f64 v[110:111], v[156:157], v[36:37], -v[34:35]
	ds_read_b128 v[34:37], v148 offset:1488
	buffer_load_dword v157, off, s[0:3], 0 offset:620
	buffer_load_dword v156, off, s[0:3], 0 offset:616
	s_waitcnt vmcnt(8)
	v_mul_f64 v[112:113], v[30:31], v[132:133]
	buffer_load_dword v163, off, s[0:3], 0 offset:612
	buffer_load_dword v162, off, s[0:3], 0 offset:608
	s_waitcnt vmcnt(8)
	v_fmac_f64_e32 v[112:113], v[32:33], v[20:21]
	v_add_f64 v[112:113], v[4:5], v[112:113]
	v_mul_f64 v[4:5], v[166:167], v[38:39]
	v_fma_f64 v[182:183], v[164:165], v[40:41], -v[4:5]
	buffer_load_dword v158, off, s[0:3], 0 offset:648
	buffer_load_dword v26, off, s[0:3], 0 offset:640
	;; [unrolled: 1-line block ×8, first 2 shown]
	v_mul_f64 v[38:39], v[170:171], v[56:57]
	v_fma_f64 v[22:23], v[168:169], v[58:59], -v[38:39]
	ds_read_b128 v[38:41], v148 offset:1504
	buffer_load_dword v169, off, s[0:3], 0 offset:668
	buffer_load_dword v168, off, s[0:3], 0 offset:664
	;; [unrolled: 1-line block ×8, first 2 shown]
	s_waitcnt vmcnt(22) lgkmcnt(1)
	v_mul_f64 v[8:9], v[34:35], v[138:139]
	s_waitcnt vmcnt(20)
	v_fmac_f64_e32 v[8:9], v[36:37], v[0:1]
	v_add_f64 v[8:9], v[112:113], v[8:9]
	v_mul_f64 v[14:15], v[178:179], v[118:119]
	buffer_load_dword v179, off, s[0:3], 0 offset:700
	buffer_load_dword v178, off, s[0:3], 0 offset:696
	;; [unrolled: 1-line block ×8, first 2 shown]
	v_accvgpr_write_b32 a195, v191
	v_accvgpr_write_b32 a194, v190
	v_fma_f64 v[14:15], v[176:177], v[186:187], -v[14:15]
	buffer_load_dword v176, off, s[0:3], 0 offset:744
	buffer_load_dword v189, off, s[0:3], 0 offset:732
	;; [unrolled: 1-line block ×8, first 2 shown]
	v_mul_f64 v[12:13], v[48:49], v[50:51]
	v_mul_f64 v[44:45], v[44:45], v[60:61]
	v_accvgpr_write_b32 a199, v11
	v_fma_f64 v[16:17], v[46:47], v[104:105], -v[12:13]
	v_fma_f64 v[12:13], v[42:43], v[62:63], -v[44:45]
	v_mul_f64 v[42:43], v[194:195], v[64:65]
	v_accvgpr_write_b32 a198, v10
	v_fma_f64 v[10:11], v[192:193], v[70:71], -v[42:43]
	buffer_load_dword v193, off, s[0:3], 0 offset:764
	buffer_load_dword v192, off, s[0:3], 0 offset:760
	;; [unrolled: 1-line block ×4, first 2 shown]
	v_accvgpr_write_b32 a201, v121
	v_accvgpr_write_b32 a200, v120
	v_pk_mov_b32 v[120:121], v[20:21], v[20:21] op_sel:[0,1]
	v_mul_f64 v[20:21], v[198:199], v[232:233]
	v_mul_f64 v[42:43], v[202:203], v[208:209]
	v_fma_f64 v[20:21], v[196:197], v[250:251], -v[20:21]
	v_fma_f64 v[250:251], v[200:201], v[210:211], -v[42:43]
	buffer_load_dword v198, off, s[0:3], 0 offset:776
	buffer_load_dword v200, off, s[0:3], 0 offset:768
	;; [unrolled: 1-line block ×4, first 2 shown]
	v_mul_f64 v[42:43], v[206:207], v[252:253]
	v_fma_f64 v[252:253], v[204:205], v[254:255], -v[42:43]
	buffer_load_dword v197, off, s[0:3], 0 offset:812
	buffer_load_dword v203, off, s[0:3], 0 offset:796
	;; [unrolled: 1-line block ×12, first 2 shown]
	ds_read_b128 v[42:45], v148 offset:1520
	v_mul_f64 v[46:47], v[214:215], v[96:97]
	v_fma_f64 v[6:7], v[212:213], v[98:99], -v[46:47]
	v_mul_f64 v[46:47], v[218:219], v[100:101]
	buffer_load_dword v212, off, s[0:3], 0 offset:840
	buffer_load_dword v232, off, s[0:3], 0 offset:832
	;; [unrolled: 1-line block ×4, first 2 shown]
	v_fma_f64 v[4:5], v[216:217], v[102:103], -v[46:47]
	ds_read_b128 v[46:49], v148 offset:1536
	ds_read_b128 v[54:57], v148 offset:1568
	v_mul_f64 v[66:67], v[230:231], v[66:67]
	v_mul_f64 v[90:91], v[248:249], v[90:91]
	v_fma_f64 v[254:255], v[246:247], v[92:93], -v[90:91]
	ds_read_b128 v[90:93], v148 offset:1712
	s_waitcnt vmcnt(58) lgkmcnt(4)
	v_mul_f64 v[50:51], v[38:39], v[156:157]
	s_waitcnt vmcnt(56)
	v_fmac_f64_e32 v[50:51], v[40:41], v[162:163]
	v_add_f64 v[8:9], v[8:9], v[50:51]
	ds_read_b128 v[50:53], v148 offset:1552
	s_waitcnt vmcnt(52) lgkmcnt(4)
	v_mul_f64 v[24:25], v[42:43], v[164:165]
	s_waitcnt vmcnt(50)
	v_fmac_f64_e32 v[24:25], v[44:45], v[166:167]
	v_add_f64 v[8:9], v[8:9], v[24:25]
	s_waitcnt vmcnt(49) lgkmcnt(3)
	v_mul_f64 v[24:25], v[46:47], v[158:159]
	s_waitcnt vmcnt(48)
	v_fmac_f64_e32 v[24:25], v[48:49], v[26:27]
	s_waitcnt vmcnt(46) lgkmcnt(0)
	v_mul_f64 v[58:59], v[50:51], v[168:169]
	v_add_f64 v[8:9], v[8:9], v[24:25]
	s_waitcnt vmcnt(44)
	v_fmac_f64_e32 v[58:59], v[52:53], v[172:173]
	v_mul_f64 v[24:25], v[222:223], v[76:77]
	v_add_f64 v[8:9], v[8:9], v[58:59]
	v_mul_f64 v[58:59], v[226:227], v[88:89]
	v_fma_f64 v[24:25], v[220:221], v[86:87], -v[24:25]
	v_fma_f64 v[220:221], v[224:225], v[94:95], -v[58:59]
	ds_read_b128 v[58:61], v148 offset:1584
	s_waitcnt vmcnt(41)
	v_mul_f64 v[62:63], v[54:55], v[170:171]
	s_waitcnt vmcnt(40)
	v_fmac_f64_e32 v[62:63], v[56:57], v[174:175]
	v_add_f64 v[8:9], v[8:9], v[62:63]
	ds_read_b128 v[62:65], v148 offset:1600
	s_waitcnt vmcnt(38) lgkmcnt(1)
	v_mul_f64 v[70:71], v[58:59], v[178:179]
	v_fma_f64 v[222:223], v[228:229], v[68:69], -v[66:67]
	ds_read_b128 v[66:69], v148 offset:1616
	s_waitcnt vmcnt(36)
	v_fmac_f64_e32 v[70:71], v[60:61], v[112:113]
	v_add_f64 v[8:9], v[8:9], v[70:71]
	v_mul_f64 v[70:71], v[236:237], v[72:73]
	v_fma_f64 v[2:3], v[234:235], v[74:75], -v[70:71]
	ds_read_b128 v[70:73], v148 offset:1632
	s_waitcnt vmcnt(34) lgkmcnt(2)
	v_mul_f64 v[76:77], v[62:63], v[118:119]
	s_waitcnt vmcnt(32)
	v_fmac_f64_e32 v[76:77], v[64:65], v[184:185]
	s_waitcnt vmcnt(29) lgkmcnt(1)
	v_mul_f64 v[28:29], v[66:67], v[188:189]
	v_add_f64 v[8:9], v[8:9], v[76:77]
	ds_read_b128 v[74:77], v148 offset:1648
	s_waitcnt vmcnt(27)
	v_fmac_f64_e32 v[28:29], v[68:69], v[190:191]
	v_add_f64 v[8:9], v[8:9], v[28:29]
	s_waitcnt vmcnt(25) lgkmcnt(1)
	v_mul_f64 v[28:29], v[70:71], v[176:177]
	s_waitcnt vmcnt(24)
	v_fmac_f64_e32 v[28:29], v[72:73], v[186:187]
	v_add_f64 v[8:9], v[8:9], v[28:29]
	v_mul_f64 v[28:29], v[240:241], v[78:79]
	v_fma_f64 v[28:29], v[238:239], v[80:81], -v[28:29]
	ds_read_b128 v[78:81], v148 offset:1664
	s_waitcnt vmcnt(22) lgkmcnt(1)
	v_mul_f64 v[86:87], v[74:75], v[192:193]
	s_waitcnt vmcnt(20)
	v_fmac_f64_e32 v[86:87], v[76:77], v[194:195]
	v_add_f64 v[86:87], v[8:9], v[86:87]
	v_mul_f64 v[8:9], v[244:245], v[82:83]
	v_fma_f64 v[8:9], v[242:243], v[84:85], -v[8:9]
	ds_read_b128 v[82:85], v148 offset:1680
	s_waitcnt vmcnt(17) lgkmcnt(1)
	v_mul_f64 v[88:89], v[78:79], v[198:199]
	s_waitcnt vmcnt(16)
	v_fmac_f64_e32 v[88:89], v[80:81], v[200:201]
	v_add_f64 v[94:95], v[86:87], v[88:89]
	ds_read_b128 v[86:89], v148 offset:1696
	s_waitcnt vmcnt(13) lgkmcnt(1)
	v_mul_f64 v[96:97], v[82:83], v[202:203]
	s_waitcnt vmcnt(11)
	v_fmac_f64_e32 v[96:97], v[84:85], v[208:209]
	v_add_f64 v[94:95], v[94:95], v[96:97]
	v_accvgpr_write_b32 a203, v9
	s_waitcnt vmcnt(10) lgkmcnt(0)
	v_mul_f64 v[96:97], v[86:87], v[196:197]
	s_waitcnt vmcnt(8)
	v_fmac_f64_e32 v[96:97], v[88:89], v[206:207]
	v_add_f64 v[94:95], v[94:95], v[96:97]
	s_waitcnt vmcnt(6)
	v_mul_f64 v[96:97], v[90:91], v[204:205]
	s_waitcnt vmcnt(4)
	v_fmac_f64_e32 v[96:97], v[92:93], v[210:211]
	v_add_f64 v[98:99], v[94:95], v[96:97]
	ds_read_b128 v[94:97], v148 offset:1728
	buffer_load_dword v215, off, s[0:3], 0 offset:860
	buffer_load_dword v214, off, s[0:3], 0 offset:856
	;; [unrolled: 1-line block ×4, first 2 shown]
	v_accvgpr_write_b32 a202, v8
	s_waitcnt vmcnt(5) lgkmcnt(0)
	v_mul_f64 v[100:101], v[94:95], v[212:213]
	s_waitcnt vmcnt(4)
	v_fmac_f64_e32 v[100:101], v[96:97], v[232:233]
	v_add_f64 v[102:103], v[98:99], v[100:101]
	ds_read_b128 v[98:101], v148 offset:1744
	buffer_load_dword v218, off, s[0:3], 0 offset:872
	buffer_load_dword v219, off, s[0:3], 0 offset:876
	buffer_load_dword v234, off, s[0:3], 0 offset:864
	buffer_load_dword v235, off, s[0:3], 0 offset:868
	s_waitcnt vmcnt(6) lgkmcnt(0)
	v_mul_f64 v[104:105], v[98:99], v[214:215]
	s_waitcnt vmcnt(4)
	v_fmac_f64_e32 v[104:105], v[100:101], v[216:217]
	v_add_f64 v[114:115], v[102:103], v[104:105]
	ds_read_b128 v[102:105], v148 offset:1760
	buffer_load_dword v237, off, s[0:3], 0 offset:892
	buffer_load_dword v236, off, s[0:3], 0 offset:888
	buffer_load_dword v239, off, s[0:3], 0 offset:884
	buffer_load_dword v238, off, s[0:3], 0 offset:880
	ds_read_b128 v[224:227], v148 offset:1776
	buffer_load_dword v240, off, s[0:3], 0 offset:904
	buffer_load_dword v241, off, s[0:3], 0 offset:908
	buffer_load_dword v242, off, s[0:3], 0 offset:896
	buffer_load_dword v243, off, s[0:3], 0 offset:900
	;; [unrolled: 5-line block ×3, first 2 shown]
	s_waitcnt vmcnt(14) lgkmcnt(2)
	v_mul_f64 v[116:117], v[102:103], v[218:219]
	s_waitcnt vmcnt(12)
	v_fmac_f64_e32 v[116:117], v[104:105], v[234:235]
	v_add_f64 v[114:115], v[114:115], v[116:117]
	s_waitcnt vmcnt(10) lgkmcnt(1)
	v_mul_f64 v[116:117], v[224:225], v[236:237]
	s_waitcnt vmcnt(8)
	v_fmac_f64_e32 v[116:117], v[226:227], v[238:239]
	v_add_f64 v[114:115], v[114:115], v[116:117]
	;; [unrolled: 5-line block ×3, first 2 shown]
	ds_read_b128 v[114:117], v148 offset:1808
	s_waitcnt vmcnt(2) lgkmcnt(0)
	v_mul_f64 v[8:9], v[114:115], v[246:247]
	s_waitcnt vmcnt(0)
	v_fmac_f64_e32 v[8:9], v[116:117], v[248:249]
	v_add_f64 v[244:245], v[244:245], v[8:9]
	v_add_f64 v[8:9], v[130:131], 0
	;; [unrolled: 1-line block ×21, first 2 shown]
	buffer_load_dword v250, off, s[0:3], 0 offset:48
	buffer_load_dword v251, off, s[0:3], 0 offset:52
	;; [unrolled: 1-line block ×4, first 2 shown]
	v_add_f64 v[4:5], v[4:5], v[222:223]
	v_add_f64 v[2:3], v[4:5], v[2:3]
	;; [unrolled: 1-line block ×3, first 2 shown]
	v_accvgpr_read_b32 v2, a202
	v_accvgpr_read_b32 v4, a172
	;; [unrolled: 1-line block ×5, first 2 shown]
	v_add_f64 v[2:3], v[222:223], v[2:3]
	v_mul_f64 v[4:5], v[136:137], v[4:5]
	v_accvgpr_read_b32 v7, a175
	v_add_f64 v[2:3], v[2:3], v[254:255]
	v_fma_f64 v[4:5], v[134:135], v[6:7], -v[4:5]
	v_add_f64 v[2:3], v[2:3], v[4:5]
	v_accvgpr_read_b32 v6, a176
	v_accvgpr_read_b32 v4, a180
	;; [unrolled: 1-line block ×5, first 2 shown]
	v_mul_f64 v[4:5], v[8:9], v[4:5]
	v_accvgpr_read_b32 v8, a182
	v_accvgpr_read_b32 v7, a177
	;; [unrolled: 1-line block ×3, first 2 shown]
	v_fma_f64 v[4:5], v[6:7], v[8:9], -v[4:5]
	v_accvgpr_read_b32 v6, a184
	v_add_f64 v[2:3], v[2:3], v[4:5]
	v_mul_f64 v[4:5], v[152:153], v[154:155]
	v_accvgpr_read_b32 v7, a185
	v_fma_f64 v[4:5], v[150:151], v[6:7], -v[4:5]
	v_add_f64 v[2:3], v[2:3], v[4:5]
	v_accvgpr_read_b32 v4, a186
	v_accvgpr_read_b32 v5, a187
	v_accvgpr_read_b32 v6, a188
	v_mul_f64 v[4:5], v[146:147], v[4:5]
	v_accvgpr_read_b32 v7, a189
	v_fma_f64 v[4:5], v[144:145], v[6:7], -v[4:5]
	v_add_f64 v[2:3], v[2:3], v[4:5]
	v_accvgpr_read_b32 v4, a196
	v_accvgpr_read_b32 v5, a197
	v_accvgpr_read_b32 v6, a194
	;; [unrolled: 7-line block ×4, first 2 shown]
	v_mul_f64 v[4:5], v[124:125], v[4:5]
	v_accvgpr_read_b32 v7, a201
	v_fma_f64 v[4:5], v[122:123], v[6:7], -v[4:5]
	v_add_f64 v[2:3], v[2:3], v[4:5]
	v_mul_f64 v[4:5], v[32:33], v[132:133]
	v_fma_f64 v[4:5], v[30:31], v[120:121], -v[4:5]
	v_add_f64 v[2:3], v[2:3], v[4:5]
	v_mul_f64 v[4:5], v[36:37], v[138:139]
	;; [unrolled: 3-line block ×22, first 2 shown]
	v_fma_f64 v[4:5], v[114:115], v[248:249], -v[4:5]
	v_add_f64 v[2:3], v[2:3], v[4:5]
	v_accvgpr_read_b32 v0, a170
	s_waitcnt vmcnt(2)
	v_add_f64 v[2:3], v[250:251], -v[2:3]
	v_cmp_lt_u32_e32 vcc, 1, v0
	s_waitcnt vmcnt(0)
	v_add_f64 v[4:5], v[220:221], -v[244:245]
	buffer_store_dword v3, off, s[0:3], 0 offset:52
	buffer_store_dword v2, off, s[0:3], 0 offset:48
	;; [unrolled: 1-line block ×4, first 2 shown]
	s_and_saveexec_b64 s[4:5], vcc
	s_cbranch_execz .LBB120_353
; %bb.352:
	v_accvgpr_read_b32 v0, a169
	buffer_load_dword v2, v0, s[0:3], 0 offen
	buffer_load_dword v3, v0, s[0:3], 0 offen offset:4
	buffer_load_dword v4, v0, s[0:3], 0 offen offset:8
	;; [unrolled: 1-line block ×3, first 2 shown]
	v_mov_b32_e32 v0, 0
	v_accvgpr_read_b32 v1, a171
	buffer_store_dword v0, off, s[0:3], 0 offset:32
	buffer_store_dword v0, off, s[0:3], 0 offset:36
	;; [unrolled: 1-line block ×4, first 2 shown]
	s_waitcnt vmcnt(4)
	ds_write_b128 v1, v[2:5]
.LBB120_353:
	s_or_b64 exec, exec, s[4:5]
	s_waitcnt lgkmcnt(0)
	; wave barrier
	s_waitcnt lgkmcnt(0)
	buffer_load_dword v240, off, s[0:3], 0 offset:48
	buffer_load_dword v241, off, s[0:3], 0 offset:52
	;; [unrolled: 1-line block ×42, first 2 shown]
	v_mov_b32_e32 v250, 0
	buffer_load_dword v83, off, s[0:3], 0 offset:196
	buffer_load_dword v82, off, s[0:3], 0 offset:192
	buffer_load_dword v55, off, s[0:3], 0 offset:252
	buffer_load_dword v54, off, s[0:3], 0 offset:248
	buffer_load_dword v53, off, s[0:3], 0 offset:244
	buffer_load_dword v52, off, s[0:3], 0 offset:240
	buffer_load_dword v73, off, s[0:3], 0 offset:236
	ds_read_b128 v[10:13], v250 offset:944
	ds_read_b128 v[22:25], v250 offset:960
	;; [unrolled: 1-line block ×11, first 2 shown]
	s_waitcnt vmcnt(45) lgkmcnt(10)
	v_mul_f64 v[56:57], v[10:11], v[4:5]
	v_fmac_f64_e32 v[56:57], v[12:13], v[240:241]
	v_add_f64 v[56:57], v[56:57], 0
	v_mul_f64 v[4:5], v[12:13], v[4:5]
	s_waitcnt vmcnt(41) lgkmcnt(9)
	v_mul_f64 v[58:59], v[22:23], v[8:9]
	v_fmac_f64_e32 v[58:59], v[24:25], v[238:239]
	s_waitcnt vmcnt(39) lgkmcnt(8)
	v_mul_f64 v[60:61], v[98:99], v[14:15]
	v_add_f64 v[56:57], v[56:57], v[58:59]
	s_waitcnt vmcnt(37) lgkmcnt(6)
	v_mul_f64 v[64:65], v[106:107], v[26:27]
	v_mul_f64 v[8:9], v[24:25], v[8:9]
	s_waitcnt vmcnt(35)
	v_fmac_f64_e32 v[64:65], v[108:109], v[28:29]
	v_mul_f64 v[14:15], v[100:101], v[14:15]
	s_waitcnt vmcnt(33)
	v_mul_f64 v[62:63], v[102:103], v[18:19]
	v_mul_f64 v[18:19], v[104:105], v[18:19]
	s_waitcnt vmcnt(31) lgkmcnt(4)
	v_mul_f64 v[68:69], v[114:115], v[34:35]
	v_mul_f64 v[26:27], v[108:109], v[26:27]
	s_waitcnt vmcnt(29)
	v_fmac_f64_e32 v[68:69], v[116:117], v[36:37]
	v_mul_f64 v[34:35], v[116:117], v[34:35]
	s_waitcnt vmcnt(27)
	v_mul_f64 v[66:67], v[110:111], v[30:31]
	s_waitcnt vmcnt(25) lgkmcnt(2)
	v_mul_f64 v[74:75], v[142:143], v[38:39]
	s_waitcnt vmcnt(22)
	v_mul_f64 v[70:71], v[138:139], v[44:45]
	s_waitcnt vmcnt(20) lgkmcnt(1)
	v_mul_f64 v[118:119], v[148:149], v[42:43]
	s_waitcnt vmcnt(18)
	v_fmac_f64_e32 v[60:61], v[100:101], v[242:243]
	v_add_f64 v[56:57], v[56:57], v[60:61]
	s_waitcnt vmcnt(16)
	v_fmac_f64_e32 v[62:63], v[104:105], v[20:21]
	v_add_f64 v[56:57], v[56:57], v[62:63]
	;; [unrolled: 3-line block ×3, first 2 shown]
	v_add_f64 v[56:57], v[56:57], v[66:67]
	s_waitcnt vmcnt(12)
	v_fmac_f64_e32 v[70:71], v[140:141], v[46:47]
	v_add_f64 v[56:57], v[56:57], v[68:69]
	s_waitcnt vmcnt(11)
	v_fmac_f64_e32 v[74:75], v[144:145], v[40:41]
	v_add_f64 v[56:57], v[56:57], v[70:71]
	v_add_f64 v[120:121], v[56:57], v[74:75]
	buffer_load_dword v72, off, s[0:3], 0 offset:232
	buffer_load_dword v177, off, s[0:3], 0 offset:228
	;; [unrolled: 1-line block ×53, first 2 shown]
	s_waitcnt vmcnt(58)
	v_fmac_f64_e32 v[118:119], v[150:151], v[82:83]
	v_add_f64 v[118:119], v[120:121], v[118:119]
	s_waitcnt lgkmcnt(0)
	v_mul_f64 v[120:121], v[152:153], v[48:49]
	v_fmac_f64_e32 v[120:121], v[154:155], v[50:51]
	v_add_f64 v[118:119], v[118:119], v[120:121]
	v_fma_f64 v[100:101], v[106:107], v[28:29], -v[26:27]
	s_waitcnt vmcnt(0)
	v_pk_mov_b32 v[132:133], v[0:1], v[0:1] op_sel:[0,1]
	buffer_load_dword v1, off, s[0:3], 0 offset:468
	buffer_load_dword v0, off, s[0:3], 0 offset:464
	v_accvgpr_write_b32 a177, v133
	v_accvgpr_write_b32 a176, v132
	s_waitcnt vmcnt(0)
	v_pk_mov_b32 v[134:135], v[0:1], v[0:1] op_sel:[0,1]
	buffer_load_dword v91, off, s[0:3], 0 offset:460
	buffer_load_dword v90, off, s[0:3], 0 offset:456
	;; [unrolled: 1-line block ×6, first 2 shown]
	v_accvgpr_write_b32 a179, v135
	v_accvgpr_write_b32 a178, v134
	s_waitcnt vmcnt(0)
	v_pk_mov_b32 v[136:137], v[0:1], v[0:1] op_sel:[0,1]
	buffer_load_dword v1, off, s[0:3], 0 offset:500
	buffer_load_dword v0, off, s[0:3], 0 offset:496
	v_accvgpr_write_b32 a193, v137
	v_accvgpr_write_b32 a192, v136
	s_waitcnt vmcnt(0)
	v_pk_mov_b32 v[146:147], v[0:1], v[0:1] op_sel:[0,1]
	buffer_load_dword v1, off, s[0:3], 0 offset:492
	buffer_load_dword v0, off, s[0:3], 0 offset:488
	;; [unrolled: 6-line block ×5, first 2 shown]
	buffer_load_dword v7, off, s[0:3], 0 offset:524
	buffer_load_dword v6, off, s[0:3], 0 offset:520
	buffer_load_dword v3, off, s[0:3], 0 offset:516
	buffer_load_dword v2, off, s[0:3], 0 offset:512
	ds_read_b128 v[156:159], v250 offset:1120
	ds_read_b128 v[160:163], v250 offset:1136
	;; [unrolled: 1-line block ×6, first 2 shown]
	s_waitcnt lgkmcnt(5)
	v_mul_f64 v[120:121], v[156:157], v[72:73]
	v_fmac_f64_e32 v[120:121], v[158:159], v[176:177]
	v_add_f64 v[118:119], v[118:119], v[120:121]
	s_waitcnt lgkmcnt(4)
	v_mul_f64 v[120:121], v[160:161], v[54:55]
	v_fmac_f64_e32 v[120:121], v[162:163], v[52:53]
	v_add_f64 v[118:119], v[118:119], v[120:121]
	;; [unrolled: 4-line block ×5, first 2 shown]
	ds_read_b128 v[188:191], v250 offset:1216
	buffer_load_dword v17, off, s[0:3], 0 offset:556
	buffer_load_dword v16, off, s[0:3], 0 offset:552
	;; [unrolled: 1-line block ×4, first 2 shown]
	s_waitcnt lgkmcnt(1)
	v_mul_f64 v[122:123], v[182:183], v[228:229]
	v_fmac_f64_e32 v[122:123], v[184:185], v[96:97]
	ds_read_b128 v[192:195], v250 offset:1232
	s_waitcnt lgkmcnt(1)
	v_mul_f64 v[124:125], v[188:189], v[84:85]
	v_add_f64 v[122:123], v[120:121], v[122:123]
	v_fmac_f64_e32 v[124:125], v[190:191], v[94:95]
	buffer_load_dword v120, off, s[0:3], 0 offset:568
	buffer_load_dword v121, off, s[0:3], 0 offset:572
	v_add_f64 v[124:125], v[122:123], v[124:125]
	buffer_load_dword v122, off, s[0:3], 0 offset:560
	buffer_load_dword v123, off, s[0:3], 0 offset:564
	ds_read_b128 v[196:199], v250 offset:1248
	ds_read_b128 v[200:203], v250 offset:1264
	s_waitcnt lgkmcnt(2)
	v_mul_f64 v[126:127], v[192:193], v[56:57]
	ds_read_b128 v[204:207], v250 offset:1280
	ds_read_b128 v[208:211], v250 offset:1296
	v_fmac_f64_e32 v[126:127], v[194:195], v[58:59]
	v_add_f64 v[124:125], v[124:125], v[126:127]
	s_waitcnt lgkmcnt(3)
	v_mul_f64 v[126:127], v[196:197], v[60:61]
	v_fmac_f64_e32 v[126:127], v[198:199], v[70:71]
	v_add_f64 v[124:125], v[124:125], v[126:127]
	s_waitcnt lgkmcnt(2)
	v_mul_f64 v[126:127], v[200:201], v[62:63]
	buffer_load_dword v223, off, s[0:3], 0 offset:588
	buffer_load_dword v222, off, s[0:3], 0 offset:584
	;; [unrolled: 1-line block ×4, first 2 shown]
	ds_read_b128 v[212:215], v250 offset:1312
	ds_read_b128 v[216:219], v250 offset:1328
	v_fmac_f64_e32 v[126:127], v[202:203], v[64:65]
	s_waitcnt lgkmcnt(3)
	v_mul_f64 v[130:131], v[204:205], v[66:67]
	v_add_f64 v[128:129], v[124:125], v[126:127]
	v_fmac_f64_e32 v[130:131], v[206:207], v[68:69]
	v_add_f64 v[128:129], v[128:129], v[130:131]
	s_waitcnt lgkmcnt(2)
	v_mul_f64 v[130:131], v[208:209], v[74:75]
	v_fmac_f64_e32 v[130:131], v[210:211], v[76:77]
	ds_read_b128 v[224:227], v250 offset:1344
	ds_read_b128 v[244:247], v250 offset:1360
	v_add_f64 v[128:129], v[128:129], v[130:131]
	s_waitcnt lgkmcnt(3)
	v_mul_f64 v[130:131], v[212:213], v[78:79]
	v_fmac_f64_e32 v[130:131], v[214:215], v[80:81]
	v_add_f64 v[128:129], v[128:129], v[130:131]
	s_waitcnt lgkmcnt(2)
	v_mul_f64 v[130:131], v[216:217], v[86:87]
	v_fma_f64 v[124:125], v[22:23], v[238:239], -v[8:9]
	ds_read_b128 v[22:25], v250 offset:1376
	v_fmac_f64_e32 v[130:131], v[218:219], v[88:89]
	v_add_f64 v[128:129], v[128:129], v[130:131]
	v_fma_f64 v[130:131], v[10:11], v[240:241], -v[4:5]
	s_waitcnt lgkmcnt(2)
	v_mul_f64 v[10:11], v[224:225], v[90:91]
	s_waitcnt lgkmcnt(1)
	v_mul_f64 v[4:5], v[244:245], v[132:133]
	v_fmac_f64_e32 v[10:11], v[226:227], v[92:93]
	v_fmac_f64_e32 v[4:5], v[246:247], v[134:135]
	ds_read_b128 v[132:135], v250 offset:1392
	v_add_f64 v[10:11], v[128:129], v[10:11]
	v_accvgpr_write_b32 a172, v244
	v_accvgpr_write_b32 a173, v245
	v_accvgpr_write_b32 a174, v246
	v_accvgpr_write_b32 a175, v247
	v_add_f64 v[4:5], v[10:11], v[4:5]
	s_waitcnt lgkmcnt(1)
	v_pk_mov_b32 v[8:9], v[22:23], v[22:23] op_sel:[0,1]
	ds_read_b128 v[246:249], v250 offset:1408
	v_pk_mov_b32 v[10:11], v[24:25], v[24:25] op_sel:[0,1]
	v_mul_f64 v[22:23], v[8:9], v[234:235]
	v_fma_f64 v[128:129], v[98:99], v[242:243], -v[14:15]
	ds_read_b128 v[242:245], v250 offset:1424
	v_fmac_f64_e32 v[22:23], v[10:11], v[236:237]
	v_add_f64 v[4:5], v[4:5], v[22:23]
	s_waitcnt lgkmcnt(2)
	v_mul_f64 v[22:23], v[132:133], v[136:137]
	ds_read_b128 v[238:241], v250 offset:1440
	ds_read_b128 v[234:237], v250 offset:1456
	v_fmac_f64_e32 v[22:23], v[134:135], v[146:147]
	v_add_f64 v[4:5], v[4:5], v[22:23]
	s_waitcnt vmcnt(14) lgkmcnt(3)
	v_mul_f64 v[22:23], v[246:247], v[6:7]
	s_waitcnt vmcnt(12)
	v_fmac_f64_e32 v[22:23], v[248:249], v[2:3]
	v_add_f64 v[4:5], v[4:5], v[22:23]
	s_waitcnt lgkmcnt(2)
	v_mul_f64 v[22:23], v[242:243], v[232:233]
	v_fma_f64 v[98:99], v[102:103], v[20:21], -v[18:19]
	v_fmac_f64_e32 v[22:23], v[244:245], v[0:1]
	v_add_f64 v[4:5], v[4:5], v[22:23]
	v_accvgpr_write_b32 a196, v232
	v_accvgpr_write_b32 a191, v135
	;; [unrolled: 1-line block ×4, first 2 shown]
	s_waitcnt vmcnt(10) lgkmcnt(1)
	v_mul_f64 v[102:103], v[238:239], v[16:17]
	v_accvgpr_write_b32 a189, v133
	s_waitcnt vmcnt(8)
	v_fmac_f64_e32 v[102:103], v[240:241], v[118:119]
	v_add_f64 v[102:103], v[4:5], v[102:103]
	v_mul_f64 v[4:5], v[112:113], v[30:31]
	v_fma_f64 v[104:105], v[110:111], v[32:33], -v[4:5]
	ds_read_b128 v[30:33], v250 offset:1472
	buffer_load_dword v233, off, s[0:3], 0 offset:604
	buffer_load_dword v232, off, s[0:3], 0 offset:600
	v_accvgpr_write_b32 a188, v132
	buffer_load_dword v135, off, s[0:3], 0 offset:596
	buffer_load_dword v134, off, s[0:3], 0 offset:592
	;; [unrolled: 1-line block ×6, first 2 shown]
	v_accvgpr_write_b32 a183, v11
	v_accvgpr_write_b32 a182, v10
	;; [unrolled: 1-line block ×4, first 2 shown]
	v_mul_f64 v[10:11], v[140:141], v[44:45]
	buffer_load_dword v141, off, s[0:3], 0 offset:612
	buffer_load_dword v140, off, s[0:3], 0 offset:608
	;; [unrolled: 1-line block ×4, first 2 shown]
	v_fma_f64 v[24:25], v[114:115], v[36:37], -v[34:35]
	v_mul_f64 v[34:35], v[144:145], v[38:39]
	v_fma_f64 v[18:19], v[138:139], v[46:47], -v[10:11]
	v_fma_f64 v[14:15], v[142:143], v[40:41], -v[34:35]
	buffer_load_dword v138, off, s[0:3], 0 offset:664
	buffer_load_dword v143, off, s[0:3], 0 offset:652
	;; [unrolled: 1-line block ×8, first 2 shown]
	v_accvgpr_write_b32 a205, v17
	v_mul_f64 v[8:9], v[150:151], v[42:43]
	v_mul_f64 v[34:35], v[154:155], v[48:49]
	v_accvgpr_write_b32 a204, v16
	v_fma_f64 v[12:13], v[148:149], v[82:83], -v[8:9]
	v_fma_f64 v[10:11], v[152:153], v[50:51], -v[34:35]
	v_mul_f64 v[16:17], v[158:159], v[72:73]
	buffer_load_dword v149, off, s[0:3], 0 offset:700
	buffer_load_dword v153, off, s[0:3], 0 offset:684
	;; [unrolled: 1-line block ×6, first 2 shown]
	v_fma_f64 v[16:17], v[156:157], v[176:177], -v[16:17]
	buffer_load_dword v157, off, s[0:3], 0 offset:692
	buffer_load_dword v156, off, s[0:3], 0 offset:688
	v_mul_f64 v[34:35], v[162:163], v[54:55]
	v_fma_f64 v[176:177], v[160:161], v[52:53], -v[34:35]
	buffer_load_dword v150, off, s[0:3], 0 offset:728
	buffer_load_dword v161, off, s[0:3], 0 offset:716
	;; [unrolled: 1-line block ×8, first 2 shown]
	v_mul_f64 v[42:43], v[166:167], v[186:187]
	ds_read_b128 v[38:41], v250 offset:1488
	ds_read_b128 v[34:37], v250 offset:1504
	v_fma_f64 v[220:221], v[164:165], v[220:221], -v[42:43]
	buffer_load_dword v165, off, s[0:3], 0 offset:748
	buffer_load_dword v164, off, s[0:3], 0 offset:744
	;; [unrolled: 1-line block ×4, first 2 shown]
	v_mul_f64 v[42:43], v[170:171], v[178:179]
	v_fma_f64 v[8:9], v[168:169], v[180:181], -v[42:43]
	buffer_load_dword v168, off, s[0:3], 0 offset:760
	buffer_load_dword v170, off, s[0:3], 0 offset:752
	;; [unrolled: 1-line block ×4, first 2 shown]
	v_accvgpr_write_b32 a201, v7
	v_mul_f64 v[42:43], v[174:175], v[230:231]
	v_accvgpr_write_b32 a200, v6
	v_fma_f64 v[6:7], v[172:173], v[252:253], -v[42:43]
	buffer_load_dword v175, off, s[0:3], 0 offset:780
	buffer_load_dword v174, off, s[0:3], 0 offset:776
	;; [unrolled: 1-line block ×8, first 2 shown]
	v_mul_f64 v[22:23], v[184:185], v[228:229]
	v_fma_f64 v[22:23], v[182:183], v[96:97], -v[22:23]
	buffer_load_dword v172, off, s[0:3], 0 offset:824
	buffer_load_dword v185, off, s[0:3], 0 offset:812
	;; [unrolled: 1-line block ×8, first 2 shown]
	s_waitcnt vmcnt(62) lgkmcnt(3)
	v_mul_f64 v[106:107], v[234:235], v[120:121]
	v_fmac_f64_e32 v[106:107], v[236:237], v[122:123]
	s_waitcnt lgkmcnt(2)
	v_mul_f64 v[44:45], v[30:31], v[222:223]
	v_add_f64 v[102:103], v[102:103], v[106:107]
	s_waitcnt vmcnt(60)
	v_fmac_f64_e32 v[44:45], v[32:33], v[254:255]
	v_mul_f64 v[42:43], v[190:191], v[84:85]
	v_add_f64 v[46:47], v[102:103], v[44:45]
	v_fma_f64 v[102:103], v[188:189], v[94:95], -v[42:43]
	ds_read_b128 v[42:45], v250 offset:1520
	v_mul_f64 v[50:51], v[194:195], v[56:57]
	v_fma_f64 v[4:5], v[192:193], v[58:59], -v[50:51]
	ds_read_b128 v[50:53], v250 offset:1552
	v_accvgpr_write_b32 a203, v3
	v_mul_f64 v[62:63], v[202:203], v[62:63]
	v_accvgpr_write_b32 a202, v2
	v_fma_f64 v[2:3], v[200:201], v[64:65], -v[62:63]
	v_mul_f64 v[66:67], v[206:207], v[66:67]
	ds_read_b128 v[62:65], v250 offset:1600
	v_fma_f64 v[190:191], v[204:205], v[68:69], -v[66:67]
	ds_read_b128 v[66:69], v250 offset:1616
	v_accvgpr_write_b32 a199, v1
	v_accvgpr_write_b32 a198, v0
	ds_read_b128 v[82:85], v250 offset:1680
	v_mul_f64 v[90:91], v[226:227], v[90:91]
	v_accvgpr_write_b32 a209, v121
	v_accvgpr_write_b32 a207, v119
	v_accvgpr_write_b32 a208, v120
	v_add_f64 v[120:121], v[130:131], 0
	v_accvgpr_write_b32 a206, v118
	v_add_f64 v[118:119], v[120:121], v[124:125]
	v_add_f64 v[118:119], v[118:119], v[128:129]
	;; [unrolled: 1-line block ×6, first 2 shown]
	s_waitcnt vmcnt(58) lgkmcnt(6)
	v_mul_f64 v[48:49], v[38:39], v[232:233]
	v_add_f64 v[18:19], v[24:25], v[18:19]
	s_waitcnt vmcnt(56)
	v_fmac_f64_e32 v[48:49], v[40:41], v[134:135]
	v_add_f64 v[46:47], v[46:47], v[48:49]
	s_waitcnt vmcnt(52) lgkmcnt(5)
	v_mul_f64 v[48:49], v[34:35], v[136:137]
	v_add_f64 v[14:15], v[18:19], v[14:15]
	v_add_f64 v[12:13], v[14:15], v[12:13]
	s_waitcnt vmcnt(50)
	v_fmac_f64_e32 v[48:49], v[36:37], v[140:141]
	v_add_f64 v[46:47], v[46:47], v[48:49]
	s_waitcnt vmcnt(49) lgkmcnt(4)
	v_mul_f64 v[48:49], v[42:43], v[26:27]
	s_waitcnt vmcnt(48)
	v_fmac_f64_e32 v[48:49], v[44:45], v[132:133]
	v_add_f64 v[54:55], v[46:47], v[48:49]
	ds_read_b128 v[46:49], v250 offset:1536
	v_add_f64 v[10:11], v[12:13], v[10:11]
	v_add_f64 v[10:11], v[10:11], v[16:17]
	s_waitcnt vmcnt(41) lgkmcnt(4)
	v_mul_f64 v[58:59], v[50:51], v[138:139]
	s_waitcnt vmcnt(40)
	v_fmac_f64_e32 v[58:59], v[52:53], v[144:145]
	s_waitcnt lgkmcnt(0)
	v_mul_f64 v[20:21], v[46:47], v[142:143]
	v_fmac_f64_e32 v[20:21], v[48:49], v[146:147]
	v_add_f64 v[20:21], v[54:55], v[20:21]
	v_mul_f64 v[54:55], v[198:199], v[60:61]
	v_fma_f64 v[188:189], v[196:197], v[70:71], -v[54:55]
	ds_read_b128 v[54:57], v250 offset:1568
	v_add_f64 v[20:21], v[20:21], v[58:59]
	ds_read_b128 v[58:61], v250 offset:1584
	ds_read_b128 v[70:73], v250 offset:1632
	v_add_f64 v[10:11], v[10:11], v[176:177]
	s_waitcnt vmcnt(37) lgkmcnt(2)
	v_mul_f64 v[28:29], v[54:55], v[152:153]
	s_waitcnt vmcnt(35)
	v_fmac_f64_e32 v[28:29], v[56:57], v[154:155]
	v_add_f64 v[20:21], v[20:21], v[28:29]
	s_waitcnt vmcnt(34) lgkmcnt(1)
	v_mul_f64 v[28:29], v[58:59], v[148:149]
	s_waitcnt vmcnt(32)
	v_fmac_f64_e32 v[28:29], v[60:61], v[156:157]
	v_add_f64 v[20:21], v[20:21], v[28:29]
	s_waitcnt vmcnt(29)
	v_mul_f64 v[28:29], v[62:63], v[160:161]
	s_waitcnt vmcnt(27)
	v_fmac_f64_e32 v[28:29], v[64:65], v[162:163]
	v_add_f64 v[20:21], v[20:21], v[28:29]
	s_waitcnt vmcnt(25)
	v_mul_f64 v[28:29], v[66:67], v[150:151]
	s_waitcnt vmcnt(24)
	v_fmac_f64_e32 v[28:29], v[68:69], v[158:159]
	v_add_f64 v[20:21], v[20:21], v[28:29]
	v_mul_f64 v[28:29], v[210:211], v[74:75]
	v_fma_f64 v[0:1], v[208:209], v[76:77], -v[28:29]
	ds_read_b128 v[74:77], v250 offset:1648
	s_waitcnt vmcnt(22) lgkmcnt(1)
	v_mul_f64 v[28:29], v[70:71], v[164:165]
	s_waitcnt vmcnt(20)
	v_fmac_f64_e32 v[28:29], v[72:73], v[166:167]
	v_add_f64 v[20:21], v[20:21], v[28:29]
	v_mul_f64 v[28:29], v[214:215], v[78:79]
	v_fma_f64 v[126:127], v[212:213], v[80:81], -v[28:29]
	ds_read_b128 v[78:81], v250 offset:1664
	s_waitcnt vmcnt(17) lgkmcnt(1)
	;; [unrolled: 8-line block ×3, first 2 shown]
	v_mul_f64 v[28:29], v[78:79], v[174:175]
	s_waitcnt vmcnt(12)
	v_fmac_f64_e32 v[28:29], v[80:81], v[178:179]
	v_fma_f64 v[218:219], v[224:225], v[92:93], -v[90:91]
	ds_read_b128 v[90:93], v250 offset:1712
	v_add_f64 v[20:21], v[20:21], v[28:29]
	s_waitcnt vmcnt(10)
	v_mul_f64 v[28:29], v[82:83], v[252:253]
	s_waitcnt vmcnt(8)
	v_fmac_f64_e32 v[28:29], v[84:85], v[180:181]
	v_add_f64 v[20:21], v[20:21], v[28:29]
	s_waitcnt vmcnt(5) lgkmcnt(1)
	v_mul_f64 v[28:29], v[86:87], v[184:185]
	s_waitcnt vmcnt(3)
	v_fmac_f64_e32 v[28:29], v[88:89], v[186:187]
	v_add_f64 v[20:21], v[20:21], v[28:29]
	s_waitcnt vmcnt(1) lgkmcnt(0)
	v_mul_f64 v[28:29], v[90:91], v[172:173]
	s_waitcnt vmcnt(0)
	v_fmac_f64_e32 v[28:29], v[92:93], v[182:183]
	v_add_f64 v[106:107], v[20:21], v[28:29]
	buffer_load_dword v21, off, s[0:3], 0 offset:844
	buffer_load_dword v20, off, s[0:3], 0 offset:840
	buffer_load_dword v29, off, s[0:3], 0 offset:836
	buffer_load_dword v28, off, s[0:3], 0 offset:832
	ds_read_b128 v[94:97], v250 offset:1728
	buffer_load_dword v192, off, s[0:3], 0 offset:856
	buffer_load_dword v193, off, s[0:3], 0 offset:860
	buffer_load_dword v194, off, s[0:3], 0 offset:848
	buffer_load_dword v195, off, s[0:3], 0 offset:852
	ds_read_b128 v[224:227], v250 offset:1744
	;; [unrolled: 5-line block ×3, first 2 shown]
	buffer_load_dword v200, off, s[0:3], 0 offset:888
	buffer_load_dword v201, off, s[0:3], 0 offset:892
	;; [unrolled: 1-line block ×4, first 2 shown]
	v_add_f64 v[10:11], v[10:11], v[220:221]
	v_add_f64 v[8:9], v[10:11], v[8:9]
	;; [unrolled: 1-line block ×12, first 2 shown]
	v_accvgpr_read_b32 v4, a172
	v_accvgpr_read_b32 v2, a176
	v_accvgpr_read_b32 v6, a174
	v_accvgpr_read_b32 v7, a175
	v_accvgpr_read_b32 v3, a177
	v_mul_f64 v[2:3], v[6:7], v[2:3]
	v_accvgpr_read_b32 v6, a178
	v_accvgpr_read_b32 v5, a173
	;; [unrolled: 1-line block ×3, first 2 shown]
	v_add_f64 v[0:1], v[220:221], v[218:219]
	v_fma_f64 v[2:3], v[4:5], v[6:7], -v[2:3]
	v_add_f64 v[0:1], v[0:1], v[2:3]
	v_accvgpr_read_b32 v4, a180
	v_accvgpr_read_b32 v2, a184
	;; [unrolled: 1-line block ×5, first 2 shown]
	v_mul_f64 v[2:3], v[6:7], v[2:3]
	v_accvgpr_read_b32 v6, a186
	v_accvgpr_read_b32 v5, a181
	;; [unrolled: 1-line block ×3, first 2 shown]
	v_fma_f64 v[2:3], v[4:5], v[6:7], -v[2:3]
	v_add_f64 v[0:1], v[0:1], v[2:3]
	v_accvgpr_read_b32 v4, a188
	v_accvgpr_read_b32 v2, a192
	;; [unrolled: 1-line block ×5, first 2 shown]
	v_mul_f64 v[2:3], v[6:7], v[2:3]
	v_accvgpr_read_b32 v6, a194
	v_accvgpr_read_b32 v5, a189
	;; [unrolled: 1-line block ×3, first 2 shown]
	v_fma_f64 v[2:3], v[4:5], v[6:7], -v[2:3]
	v_add_f64 v[0:1], v[0:1], v[2:3]
	v_accvgpr_read_b32 v2, a200
	v_accvgpr_read_b32 v3, a201
	v_accvgpr_read_b32 v4, a202
	v_mul_f64 v[2:3], v[248:249], v[2:3]
	v_accvgpr_read_b32 v5, a203
	v_fma_f64 v[2:3], v[246:247], v[4:5], -v[2:3]
	v_add_f64 v[0:1], v[0:1], v[2:3]
	v_accvgpr_read_b32 v2, a196
	v_accvgpr_read_b32 v3, a197
	v_accvgpr_read_b32 v4, a198
	v_mul_f64 v[2:3], v[244:245], v[2:3]
	v_accvgpr_read_b32 v5, a199
	;; [unrolled: 7-line block ×3, first 2 shown]
	v_fma_f64 v[2:3], v[238:239], v[4:5], -v[2:3]
	v_add_f64 v[0:1], v[0:1], v[2:3]
	v_accvgpr_read_b32 v2, a208
	v_accvgpr_read_b32 v3, a209
	v_mul_f64 v[2:3], v[236:237], v[2:3]
	v_fma_f64 v[2:3], v[234:235], v[122:123], -v[2:3]
	s_waitcnt vmcnt(14) lgkmcnt(2)
	v_mul_f64 v[108:109], v[94:95], v[20:21]
	v_add_f64 v[0:1], v[0:1], v[2:3]
	s_waitcnt vmcnt(12)
	v_fmac_f64_e32 v[108:109], v[96:97], v[28:29]
	v_add_f64 v[106:107], v[106:107], v[108:109]
	s_waitcnt vmcnt(10) lgkmcnt(1)
	v_mul_f64 v[108:109], v[224:225], v[192:193]
	s_waitcnt vmcnt(8)
	v_fmac_f64_e32 v[108:109], v[226:227], v[194:195]
	v_add_f64 v[106:107], v[106:107], v[108:109]
	s_waitcnt vmcnt(6) lgkmcnt(0)
	v_mul_f64 v[108:109], v[228:229], v[196:197]
	s_waitcnt vmcnt(4)
	v_fmac_f64_e32 v[108:109], v[230:231], v[198:199]
	v_add_f64 v[110:111], v[106:107], v[108:109]
	ds_read_b128 v[106:109], v250 offset:1776
	buffer_load_dword v205, off, s[0:3], 0 offset:908
	buffer_load_dword v204, off, s[0:3], 0 offset:904
	;; [unrolled: 1-line block ×4, first 2 shown]
	v_mul_f64 v[2:3], v[32:33], v[222:223]
	v_fma_f64 v[2:3], v[30:31], v[254:255], -v[2:3]
	v_add_f64 v[0:1], v[0:1], v[2:3]
	s_waitcnt vmcnt(6) lgkmcnt(0)
	v_mul_f64 v[112:113], v[106:107], v[200:201]
	s_waitcnt vmcnt(4)
	v_fmac_f64_e32 v[112:113], v[108:109], v[202:203]
	v_add_f64 v[114:115], v[110:111], v[112:113]
	ds_read_b128 v[110:113], v250 offset:1792
	buffer_load_dword v210, off, s[0:3], 0 offset:920
	buffer_load_dword v211, off, s[0:3], 0 offset:924
	;; [unrolled: 1-line block ×4, first 2 shown]
	v_mul_f64 v[2:3], v[40:41], v[232:233]
	v_fma_f64 v[2:3], v[38:39], v[134:135], -v[2:3]
	v_add_f64 v[0:1], v[0:1], v[2:3]
	v_mul_f64 v[2:3], v[36:37], v[136:137]
	v_fma_f64 v[2:3], v[34:35], v[140:141], -v[2:3]
	v_add_f64 v[0:1], v[0:1], v[2:3]
	;; [unrolled: 3-line block ×19, first 2 shown]
	s_waitcnt vmcnt(6) lgkmcnt(0)
	v_mul_f64 v[116:117], v[110:111], v[204:205]
	v_mul_f64 v[2:3], v[112:113], v[204:205]
	s_waitcnt vmcnt(4)
	v_fmac_f64_e32 v[116:117], v[112:113], v[206:207]
	v_add_f64 v[208:209], v[114:115], v[116:117]
	ds_read_b128 v[114:117], v250 offset:1808
	v_fma_f64 v[2:3], v[110:111], v[206:207], -v[2:3]
	v_add_f64 v[0:1], v[0:1], v[2:3]
	s_waitcnt vmcnt(2) lgkmcnt(0)
	v_mul_f64 v[216:217], v[114:115], v[210:211]
	s_waitcnt vmcnt(0)
	v_fmac_f64_e32 v[216:217], v[116:117], v[212:213]
	v_add_f64 v[208:209], v[208:209], v[216:217]
	buffer_load_dword v216, off, s[0:3], 0 offset:32
	buffer_load_dword v217, off, s[0:3], 0 offset:36
	;; [unrolled: 1-line block ×4, first 2 shown]
	v_mul_f64 v[2:3], v[116:117], v[210:211]
	v_fma_f64 v[2:3], v[114:115], v[212:213], -v[2:3]
	v_add_f64 v[0:1], v[0:1], v[2:3]
	s_waitcnt vmcnt(2)
	v_add_f64 v[0:1], v[216:217], -v[0:1]
	s_waitcnt vmcnt(0)
	v_add_f64 v[2:3], v[214:215], -v[208:209]
	buffer_store_dword v1, off, s[0:3], 0 offset:36
	buffer_store_dword v0, off, s[0:3], 0 offset:32
	;; [unrolled: 1-line block ×4, first 2 shown]
	v_accvgpr_read_b32 v0, a170
	v_cmp_ne_u32_e32 vcc, 0, v0
	s_and_saveexec_b64 s[4:5], vcc
	s_cbranch_execz .LBB120_355
; %bb.354:
	buffer_load_dword v0, off, s[0:3], 0 offset:16
	buffer_load_dword v1, off, s[0:3], 0 offset:20
	buffer_load_dword v2, off, s[0:3], 0 offset:24
	buffer_load_dword v3, off, s[0:3], 0 offset:28
	v_accvgpr_read_b32 v4, a171
	buffer_store_dword v250, off, s[0:3], 0 offset:16
	buffer_store_dword v250, off, s[0:3], 0 offset:20
	;; [unrolled: 1-line block ×4, first 2 shown]
	s_waitcnt vmcnt(4)
	ds_write_b128 v4, v[0:3]
.LBB120_355:
	s_or_b64 exec, exec, s[4:5]
	s_waitcnt lgkmcnt(0)
	; wave barrier
	s_waitcnt lgkmcnt(0)
	buffer_load_dword v6, off, s[0:3], 0 offset:32
	buffer_load_dword v7, off, s[0:3], 0 offset:36
	;; [unrolled: 1-line block ×42, first 2 shown]
	ds_read_b128 v[102:105], v250 offset:928
	ds_read_b128 v[106:109], v250 offset:944
	;; [unrolled: 1-line block ×10, first 2 shown]
	buffer_load_dword v97, off, s[0:3], 0 offset:180
	buffer_load_dword v96, off, s[0:3], 0 offset:176
	ds_read_b128 v[32:35], v250 offset:1088
	buffer_load_dword v57, off, s[0:3], 0 offset:236
	buffer_load_dword v56, off, s[0:3], 0 offset:232
	;; [unrolled: 1-line block ×6, first 2 shown]
	s_and_b64 vcc, exec, s[16:17]
	s_waitcnt vmcnt(46) lgkmcnt(10)
	v_mul_f64 v[52:53], v[102:103], v[8:9]
	v_fmac_f64_e32 v[52:53], v[104:105], v[6:7]
	v_add_f64 v[52:53], v[52:53], 0
	v_mul_f64 v[8:9], v[104:105], v[8:9]
	s_waitcnt vmcnt(42) lgkmcnt(9)
	v_mul_f64 v[54:55], v[106:107], v[2:3]
	v_fmac_f64_e32 v[54:55], v[108:109], v[230:231]
	s_waitcnt vmcnt(40) lgkmcnt(8)
	v_mul_f64 v[58:59], v[110:111], v[4:5]
	v_add_f64 v[52:53], v[52:53], v[54:55]
	s_waitcnt vmcnt(38) lgkmcnt(6)
	v_mul_f64 v[62:63], v[132:133], v[16:17]
	v_fma_f64 v[214:215], v[102:103], v[6:7], -v[8:9]
	s_waitcnt vmcnt(36)
	v_fmac_f64_e32 v[62:63], v[134:135], v[238:239]
	v_mul_f64 v[2:3], v[108:109], v[2:3]
	s_waitcnt vmcnt(34)
	v_mul_f64 v[60:61], v[128:129], v[12:13]
	v_mul_f64 v[4:5], v[112:113], v[4:5]
	s_waitcnt vmcnt(32) lgkmcnt(4)
	v_mul_f64 v[66:67], v[140:141], v[24:25]
	v_mul_f64 v[16:17], v[134:135], v[16:17]
	s_waitcnt vmcnt(30)
	v_fmac_f64_e32 v[66:67], v[142:143], v[26:27]
	v_mul_f64 v[12:13], v[130:131], v[12:13]
	s_waitcnt vmcnt(28)
	v_mul_f64 v[64:65], v[136:137], v[20:21]
	v_mul_f64 v[20:21], v[138:139], v[20:21]
	s_waitcnt vmcnt(26) lgkmcnt(2)
	v_mul_f64 v[70:71], v[148:149], v[42:43]
	v_mul_f64 v[24:25], v[142:143], v[24:25]
	;; [unrolled: 1-line block ×3, first 2 shown]
	s_waitcnt vmcnt(23)
	v_mul_f64 v[68:69], v[144:145], v[28:29]
	v_mul_f64 v[28:29], v[146:147], v[28:29]
	s_waitcnt vmcnt(21) lgkmcnt(1)
	v_mul_f64 v[114:115], v[36:37], v[40:41]
	s_waitcnt vmcnt(19)
	v_fmac_f64_e32 v[58:59], v[112:113], v[10:11]
	v_add_f64 v[52:53], v[52:53], v[58:59]
	s_waitcnt vmcnt(17)
	v_fmac_f64_e32 v[60:61], v[130:131], v[254:255]
	v_add_f64 v[52:53], v[52:53], v[60:61]
	;; [unrolled: 3-line block ×3, first 2 shown]
	v_add_f64 v[52:53], v[52:53], v[64:65]
	s_waitcnt vmcnt(13)
	v_fmac_f64_e32 v[68:69], v[146:147], v[30:31]
	v_add_f64 v[52:53], v[52:53], v[66:67]
	s_waitcnt vmcnt(12)
	v_fmac_f64_e32 v[70:71], v[150:151], v[44:45]
	v_add_f64 v[52:53], v[52:53], v[68:69]
	v_add_f64 v[118:119], v[52:53], v[70:71]
	buffer_load_dword v161, off, s[0:3], 0 offset:212
	buffer_load_dword v160, off, s[0:3], 0 offset:208
	;; [unrolled: 1-line block ×60, first 2 shown]
	s_waitcnt vmcnt(62)
	v_fmac_f64_e32 v[114:115], v[38:39], v[96:97]
	v_add_f64 v[114:115], v[118:119], v[114:115]
	s_waitcnt lgkmcnt(0)
	v_mul_f64 v[118:119], v[32:33], v[46:47]
	v_fmac_f64_e32 v[118:119], v[34:35], v[48:49]
	v_add_f64 v[114:115], v[114:115], v[118:119]
	v_fma_f64 v[254:255], v[128:129], v[254:255], -v[12:13]
	v_mul_f64 v[38:39], v[38:39], v[40:41]
	s_waitcnt vmcnt(0)
	v_pk_mov_b32 v[120:121], v[116:117], v[116:117] op_sel:[0,1]
	buffer_load_dword v117, off, s[0:3], 0 offset:484
	buffer_load_dword v116, off, s[0:3], 0 offset:480
	v_accvgpr_write_b32 a179, v121
	v_accvgpr_write_b32 a178, v120
	s_waitcnt vmcnt(0)
	v_pk_mov_b32 v[122:123], v[116:117], v[116:117] op_sel:[0,1]
	buffer_load_dword v117, off, s[0:3], 0 offset:476
	buffer_load_dword v116, off, s[0:3], 0 offset:472
	v_accvgpr_write_b32 a181, v123
	v_accvgpr_write_b32 a180, v122
	;; [unrolled: 6-line block ×4, first 2 shown]
	s_waitcnt vmcnt(0)
	v_pk_mov_b32 v[124:125], v[116:117], v[116:117] op_sel:[0,1]
	buffer_load_dword v117, off, s[0:3], 0 offset:516
	buffer_load_dword v116, off, s[0:3], 0 offset:512
	;; [unrolled: 1-line block ×4, first 2 shown]
	v_accvgpr_write_b32 a191, v125
	v_accvgpr_write_b32 a190, v124
	s_waitcnt vmcnt(2)
	v_accvgpr_write_b32 a193, v117
	v_accvgpr_write_b32 a192, v116
	s_waitcnt vmcnt(0)
	v_pk_mov_b32 v[234:235], v[152:153], v[152:153] op_sel:[0,1]
	buffer_load_dword v153, off, s[0:3], 0 offset:500
	buffer_load_dword v152, off, s[0:3], 0 offset:496
	ds_read_b128 v[164:167], v250 offset:1136
	ds_read_b128 v[168:171], v250 offset:1152
	;; [unrolled: 1-line block ×6, first 2 shown]
	v_accvgpr_write_b32 a186, v234
	v_accvgpr_write_b32 a187, v235
	ds_read_b128 v[156:159], v250 offset:1120
	s_waitcnt lgkmcnt(2)
	v_mul_f64 v[40:41], v[182:183], v[98:99]
	s_waitcnt vmcnt(0)
	v_pk_mov_b32 v[236:237], v[152:153], v[152:153] op_sel:[0,1]
	ds_read_b128 v[152:155], v250 offset:1104
	buffer_load_dword v193, off, s[0:3], 0 offset:540
	buffer_load_dword v192, off, s[0:3], 0 offset:536
	v_accvgpr_write_b32 a188, v236
	v_accvgpr_write_b32 a189, v237
	s_waitcnt lgkmcnt(0)
	v_mul_f64 v[118:119], v[152:153], v[82:83]
	v_fmac_f64_e32 v[118:119], v[154:155], v[160:161]
	v_add_f64 v[114:115], v[114:115], v[118:119]
	v_mul_f64 v[118:119], v[156:157], v[56:57]
	v_fmac_f64_e32 v[118:119], v[158:159], v[50:51]
	v_add_f64 v[114:115], v[114:115], v[118:119]
	;; [unrolled: 3-line block ×8, first 2 shown]
	s_waitcnt vmcnt(0)
	v_pk_mov_b32 v[240:241], v[192:193], v[192:193] op_sel:[0,1]
	buffer_load_dword v193, off, s[0:3], 0 offset:532
	buffer_load_dword v192, off, s[0:3], 0 offset:528
	v_accvgpr_write_b32 a194, v240
	v_accvgpr_write_b32 a195, v241
	ds_read_b128 v[196:199], v250 offset:1248
	s_waitcnt vmcnt(0)
	v_pk_mov_b32 v[242:243], v[192:193], v[192:193] op_sel:[0,1]
	ds_read_b128 v[192:195], v250 offset:1232
	buffer_load_dword v0, off, s[0:3], 0 offset:552
	buffer_load_dword v200, off, s[0:3], 0 offset:544
	;; [unrolled: 1-line block ×4, first 2 shown]
	ds_read_b128 v[88:91], v250 offset:1264
	ds_read_b128 v[204:207], v250 offset:1280
	buffer_load_dword v19, off, s[0:3], 0 offset:588
	buffer_load_dword v15, off, s[0:3], 0 offset:572
	;; [unrolled: 1-line block ×8, first 2 shown]
	s_waitcnt lgkmcnt(2)
	v_mul_f64 v[118:119], v[192:193], v[68:69]
	v_fmac_f64_e32 v[118:119], v[194:195], v[80:81]
	v_add_f64 v[114:115], v[114:115], v[118:119]
	v_mul_f64 v[118:119], v[196:197], v[52:53]
	v_fmac_f64_e32 v[118:119], v[198:199], v[54:55]
	v_add_f64 v[114:115], v[114:115], v[118:119]
	s_waitcnt lgkmcnt(1)
	v_mul_f64 v[118:119], v[88:89], v[60:61]
	v_fmac_f64_e32 v[118:119], v[90:91], v[62:63]
	ds_read_b128 v[246:249], v250 offset:1360
	v_add_f64 v[114:115], v[114:115], v[118:119]
	s_waitcnt lgkmcnt(1)
	v_mul_f64 v[118:119], v[204:205], v[64:65]
	v_fmac_f64_e32 v[118:119], v[206:207], v[66:67]
	v_add_f64 v[114:115], v[114:115], v[118:119]
	ds_read_b128 v[102:105], v250 offset:1328
	ds_read_b128 v[224:227], v250 offset:1344
	v_mul_f64 v[52:53], v[198:199], v[52:53]
	v_mul_f64 v[60:61], v[90:91], v[60:61]
	v_accvgpr_write_b32 a196, v242
	v_mul_f64 v[64:65], v[206:207], v[64:65]
	v_accvgpr_write_b32 a197, v243
	ds_read_b128 v[216:219], v250 offset:1312
	s_waitcnt lgkmcnt(0)
	v_mul_f64 v[8:9], v[216:217], v[76:77]
	v_mul_f64 v[76:77], v[218:219], v[76:77]
	v_fmac_f64_e32 v[8:9], v[218:219], v[78:79]
	s_waitcnt vmcnt(9)
	v_accvgpr_write_b32 a199, v1
	v_accvgpr_write_b32 a198, v0
	s_waitcnt vmcnt(5)
	v_accvgpr_write_b32 a205, v15
	v_accvgpr_write_b32 a204, v14
	s_waitcnt vmcnt(3)
	v_pk_mov_b32 v[252:253], v[208:209], v[208:209] op_sel:[0,1]
	ds_read_b128 v[208:211], v250 offset:1296
	s_waitcnt vmcnt(2)
	v_accvgpr_write_b32 a203, v19
	v_accvgpr_write_b32 a202, v18
	;; [unrolled: 1-line block ×4, first 2 shown]
	s_waitcnt lgkmcnt(0)
	v_mul_f64 v[118:119], v[208:209], v[72:73]
	v_fmac_f64_e32 v[118:119], v[210:211], v[74:75]
	v_add_f64 v[6:7], v[114:115], v[118:119]
	v_fma_f64 v[118:119], v[106:107], v[230:231], -v[2:3]
	v_fma_f64 v[230:231], v[110:111], v[10:11], -v[4:5]
	ds_read_b128 v[2:5], v250 offset:1376
	v_mul_f64 v[10:11], v[246:247], v[126:127]
	v_accvgpr_write_b32 a170, v246
	v_fmac_f64_e32 v[10:11], v[248:249], v[232:233]
	v_accvgpr_write_b32 a171, v247
	v_accvgpr_write_b32 a172, v248
	;; [unrolled: 1-line block ×3, first 2 shown]
	ds_read_b128 v[246:249], v250 offset:1392
	v_add_f64 v[6:7], v[6:7], v[8:9]
	v_mul_f64 v[8:9], v[102:103], v[84:85]
	v_fmac_f64_e32 v[8:9], v[104:105], v[86:87]
	v_mul_f64 v[106:107], v[224:225], v[202:203]
	v_add_f64 v[8:9], v[6:7], v[8:9]
	v_fmac_f64_e32 v[106:107], v[226:227], v[22:23]
	s_waitcnt lgkmcnt(0)
	v_mul_f64 v[108:109], v[246:247], v[234:235]
	ds_read_b128 v[232:235], v250 offset:1408
	v_add_f64 v[8:9], v[8:9], v[106:107]
	v_add_f64 v[8:9], v[8:9], v[10:11]
	v_mul_f64 v[10:11], v[2:3], v[120:121]
	v_fmac_f64_e32 v[108:109], v[248:249], v[236:237]
	v_fma_f64 v[110:111], v[132:133], v[238:239], -v[16:17]
	ds_read_b128 v[236:239], v250 offset:1424
	v_fmac_f64_e32 v[10:11], v[4:5], v[122:123]
	v_accvgpr_write_b32 a177, v5
	v_add_f64 v[106:107], v[8:9], v[10:11]
	v_accvgpr_write_b32 a176, v4
	v_accvgpr_write_b32 a175, v3
	;; [unrolled: 1-line block ×3, first 2 shown]
	v_add_f64 v[2:3], v[106:107], v[108:109]
	s_waitcnt lgkmcnt(1)
	v_mul_f64 v[106:107], v[232:233], v[124:125]
	v_fmac_f64_e32 v[106:107], v[234:235], v[116:117]
	v_add_f64 v[2:3], v[2:3], v[106:107]
	s_waitcnt lgkmcnt(0)
	v_mul_f64 v[106:107], v[236:237], v[240:241]
	v_fma_f64 v[132:133], v[136:137], v[244:245], -v[20:21]
	buffer_load_dword v245, off, s[0:3], 0 offset:604
	buffer_load_dword v244, off, s[0:3], 0 offset:600
	;; [unrolled: 1-line block ×4, first 2 shown]
	ds_read_b128 v[128:131], v250 offset:1440
	ds_read_b128 v[124:127], v250 offset:1456
	buffer_load_dword v116, off, s[0:3], 0 offset:616
	buffer_load_dword v134, off, s[0:3], 0 offset:608
	buffer_load_dword v117, off, s[0:3], 0 offset:620
	buffer_load_dword v135, off, s[0:3], 0 offset:612
	ds_read_b128 v[120:123], v250 offset:1472
	buffer_load_dword v137, off, s[0:3], 0 offset:636
	buffer_load_dword v136, off, s[0:3], 0 offset:632
	;; [unrolled: 1-line block ×4, first 2 shown]
	v_fmac_f64_e32 v[106:107], v[238:239], v[242:243]
	s_waitcnt lgkmcnt(2)
	v_mul_f64 v[108:109], v[128:129], v[0:1]
	v_add_f64 v[2:3], v[2:3], v[106:107]
	v_fmac_f64_e32 v[108:109], v[130:131], v[200:201]
	s_waitcnt lgkmcnt(1)
	v_mul_f64 v[6:7], v[124:125], v[14:15]
	v_add_f64 v[108:109], v[2:3], v[108:109]
	v_fmac_f64_e32 v[6:7], v[126:127], v[252:253]
	v_add_f64 v[6:7], v[108:109], v[6:7]
	s_waitcnt lgkmcnt(0)
	v_mul_f64 v[108:109], v[120:121], v[18:19]
	s_waitcnt vmcnt(12)
	v_fmac_f64_e32 v[108:109], v[122:123], v[222:223]
	v_fma_f64 v[106:107], v[140:141], v[26:27], -v[24:25]
	v_fma_f64 v[140:141], v[148:149], v[44:45], -v[42:43]
	v_add_f64 v[44:45], v[6:7], v[108:109]
	buffer_load_dword v108, off, s[0:3], 0 offset:648
	v_fma_f64 v[24:25], v[144:145], v[30:31], -v[28:29]
	buffer_load_dword v144, off, s[0:3], 0 offset:640
	buffer_load_dword v109, off, s[0:3], 0 offset:652
	;; [unrolled: 1-line block ×11, first 2 shown]
	v_fma_f64 v[28:29], v[36:37], v[96:97], -v[38:39]
	v_mul_f64 v[10:11], v[34:35], v[46:47]
	v_mul_f64 v[36:37], v[154:155], v[82:83]
	v_fma_f64 v[20:21], v[32:33], v[48:49], -v[10:11]
	ds_read_b128 v[32:35], v250 offset:1488
	v_fma_f64 v[16:17], v[152:153], v[160:161], -v[36:37]
	v_mul_f64 v[14:15], v[158:159], v[56:57]
	buffer_load_dword v153, off, s[0:3], 0 offset:700
	buffer_load_dword v152, off, s[0:3], 0 offset:696
	buffer_load_dword v155, off, s[0:3], 0 offset:692
	buffer_load_dword v154, off, s[0:3], 0 offset:688
	v_fma_f64 v[14:15], v[156:157], v[50:51], -v[14:15]
	buffer_load_dword v156, off, s[0:3], 0 offset:712
	v_mul_f64 v[36:37], v[166:167], v[162:163]
	buffer_load_dword v158, off, s[0:3], 0 offset:704
	buffer_load_dword v157, off, s[0:3], 0 offset:716
	;; [unrolled: 1-line block ×7, first 2 shown]
	v_fma_f64 v[212:213], v[164:165], v[212:213], -v[36:37]
	v_mul_f64 v[36:37], v[170:171], v[184:185]
	v_fma_f64 v[12:13], v[168:169], v[186:187], -v[36:37]
	buffer_load_dword v166, off, s[0:3], 0 offset:744
	buffer_load_dword v168, off, s[0:3], 0 offset:736
	;; [unrolled: 1-line block ×4, first 2 shown]
	v_mul_f64 v[18:19], v[174:175], v[220:221]
	v_fma_f64 v[18:19], v[172:173], v[228:229], -v[18:19]
	buffer_load_dword v165, off, s[0:3], 0 offset:780
	buffer_load_dword v171, off, s[0:3], 0 offset:764
	;; [unrolled: 1-line block ×8, first 2 shown]
	v_mul_f64 v[36:37], v[178:179], v[92:93]
	v_fma_f64 v[220:221], v[176:177], v[94:95], -v[36:37]
	buffer_load_dword v177, off, s[0:3], 0 offset:796
	buffer_load_dword v176, off, s[0:3], 0 offset:792
	;; [unrolled: 1-line block ×4, first 2 shown]
	ds_read_b128 v[36:39], v250 offset:1504
	v_fma_f64 v[10:11], v[180:181], v[100:101], -v[40:41]
	v_mul_f64 v[40:41], v[190:191], v[58:59]
	buffer_load_dword v180, off, s[0:3], 0 offset:808
	buffer_load_dword v182, off, s[0:3], 0 offset:800
	;; [unrolled: 1-line block ×8, first 2 shown]
	v_fma_f64 v[8:9], v[188:189], v[70:71], -v[40:41]
	ds_read_b128 v[40:43], v250 offset:1520
	v_mul_f64 v[48:49], v[194:195], v[68:69]
	v_fma_f64 v[6:7], v[192:193], v[80:81], -v[48:49]
	ds_read_b128 v[48:51], v250 offset:1552
	v_fma_f64 v[4:5], v[196:197], v[54:55], -v[52:53]
	ds_read_b128 v[52:55], v250 offset:1568
	;; [unrolled: 2-line block ×4, first 2 shown]
	v_mul_f64 v[72:73], v[210:211], v[72:73]
	v_fma_f64 v[208:209], v[208:209], v[74:75], -v[72:73]
	ds_read_b128 v[72:75], v250 offset:1648
	v_fma_f64 v[0:1], v[216:217], v[78:79], -v[76:77]
	ds_read_b128 v[76:79], v250 offset:1664
	buffer_load_dword v188, off, s[0:3], 0 offset:840
	ds_read_b128 v[88:91], v250 offset:1712
	s_waitcnt vmcnt(59) lgkmcnt(9)
	v_mul_f64 v[46:47], v[32:33], v[244:245]
	s_waitcnt vmcnt(57)
	v_fmac_f64_e32 v[46:47], v[34:35], v[240:241]
	v_add_f64 v[44:45], v[44:45], v[46:47]
	s_waitcnt vmcnt(54) lgkmcnt(8)
	v_mul_f64 v[46:47], v[36:37], v[116:117]
	s_waitcnt vmcnt(53)
	v_fmac_f64_e32 v[46:47], v[38:39], v[134:135]
	v_add_f64 v[44:45], v[44:45], v[46:47]
	;; [unrolled: 5-line block ×3, first 2 shown]
	ds_read_b128 v[44:47], v250 offset:1536
	s_waitcnt vmcnt(46) lgkmcnt(0)
	v_mul_f64 v[58:59], v[44:45], v[108:109]
	s_waitcnt vmcnt(45)
	v_fmac_f64_e32 v[58:59], v[46:47], v[144:145]
	v_add_f64 v[56:57], v[56:57], v[58:59]
	s_waitcnt vmcnt(42)
	v_mul_f64 v[58:59], v[48:49], v[146:147]
	s_waitcnt vmcnt(40)
	v_fmac_f64_e32 v[58:59], v[50:51], v[150:151]
	v_add_f64 v[56:57], v[56:57], v[58:59]
	s_waitcnt vmcnt(39)
	v_mul_f64 v[58:59], v[52:53], v[142:143]
	s_waitcnt vmcnt(37)
	v_fmac_f64_e32 v[58:59], v[54:55], v[148:149]
	v_add_f64 v[68:69], v[56:57], v[58:59]
	ds_read_b128 v[56:59], v250 offset:1584
	s_waitcnt vmcnt(35) lgkmcnt(0)
	v_mul_f64 v[26:27], v[56:57], v[152:153]
	s_waitcnt vmcnt(33)
	v_fmac_f64_e32 v[26:27], v[58:59], v[154:155]
	v_add_f64 v[26:27], v[68:69], v[26:27]
	s_waitcnt vmcnt(30)
	v_mul_f64 v[68:69], v[60:61], v[156:157]
	s_waitcnt vmcnt(29)
	v_fmac_f64_e32 v[68:69], v[62:63], v[158:159]
	v_add_f64 v[26:27], v[26:27], v[68:69]
	s_waitcnt vmcnt(27)
	v_mul_f64 v[68:69], v[64:65], v[160:161]
	s_waitcnt vmcnt(25)
	v_fmac_f64_e32 v[68:69], v[66:67], v[162:163]
	v_add_f64 v[26:27], v[26:27], v[68:69]
	ds_read_b128 v[68:71], v250 offset:1632
	s_waitcnt vmcnt(18)
	v_mul_f64 v[30:31], v[72:73], v[170:171]
	s_waitcnt vmcnt(16)
	v_fmac_f64_e32 v[30:31], v[74:75], v[174:175]
	s_waitcnt lgkmcnt(0)
	v_mul_f64 v[80:81], v[68:69], v[166:167]
	v_fmac_f64_e32 v[80:81], v[70:71], v[168:169]
	v_add_f64 v[26:27], v[26:27], v[80:81]
	v_add_f64 v[26:27], v[26:27], v[30:31]
	s_waitcnt vmcnt(15)
	v_mul_f64 v[30:31], v[76:77], v[164:165]
	s_waitcnt vmcnt(13)
	v_fmac_f64_e32 v[30:31], v[78:79], v[172:173]
	v_add_f64 v[26:27], v[26:27], v[30:31]
	ds_read_b128 v[80:83], v250 offset:1680
	v_mul_f64 v[30:31], v[104:105], v[84:85]
	v_fma_f64 v[30:31], v[102:103], v[86:87], -v[30:31]
	ds_read_b128 v[84:87], v250 offset:1696
	buffer_load_dword v190, off, s[0:3], 0 offset:832
	buffer_load_dword v189, off, s[0:3], 0 offset:844
	;; [unrolled: 1-line block ×3, first 2 shown]
	ds_read_b128 v[92:95], v250 offset:1728
	buffer_load_dword v193, off, s[0:3], 0 offset:860
	buffer_load_dword v192, off, s[0:3], 0 offset:856
	;; [unrolled: 1-line block ×4, first 2 shown]
	v_accvgpr_write_b32 a207, v31
	v_accvgpr_write_b32 a206, v30
	s_waitcnt vmcnt(18) lgkmcnt(2)
	v_mul_f64 v[30:31], v[80:81], v[176:177]
	ds_read_b128 v[96:99], v250 offset:1744
	buffer_load_dword v196, off, s[0:3], 0 offset:872
	buffer_load_dword v197, off, s[0:3], 0 offset:876
	buffer_load_dword v198, off, s[0:3], 0 offset:864
	buffer_load_dword v199, off, s[0:3], 0 offset:868
	s_waitcnt vmcnt(20)
	v_fmac_f64_e32 v[30:31], v[82:83], v[178:179]
	v_add_f64 v[26:27], v[26:27], v[30:31]
	v_mul_f64 v[30:31], v[226:227], v[202:203]
	ds_read_b128 v[100:103], v250 offset:1760
	buffer_load_dword v201, off, s[0:3], 0 offset:892
	buffer_load_dword v200, off, s[0:3], 0 offset:888
	buffer_load_dword v203, off, s[0:3], 0 offset:884
	buffer_load_dword v202, off, s[0:3], 0 offset:880
	ds_read_b128 v[226:229], v250 offset:1776
	buffer_load_dword v204, off, s[0:3], 0 offset:904
	buffer_load_dword v205, off, s[0:3], 0 offset:908
	buffer_load_dword v206, off, s[0:3], 0 offset:896
	buffer_load_dword v207, off, s[0:3], 0 offset:900
	;; [unrolled: 5-line block ×3, first 2 shown]
	v_fma_f64 v[224:225], v[224:225], v[22:23], -v[30:31]
	s_waitcnt vmcnt(29) lgkmcnt(5)
	v_mul_f64 v[30:31], v[84:85], v[180:181]
	s_waitcnt vmcnt(28)
	v_fmac_f64_e32 v[30:31], v[86:87], v[182:183]
	v_add_f64 v[26:27], v[26:27], v[30:31]
	s_waitcnt vmcnt(26)
	v_mul_f64 v[30:31], v[88:89], v[184:185]
	s_waitcnt vmcnt(24)
	v_fmac_f64_e32 v[30:31], v[90:91], v[186:187]
	v_add_f64 v[26:27], v[26:27], v[30:31]
	ds_read_b128 v[112:115], v250 offset:1808
	s_waitcnt vmcnt(21) lgkmcnt(5)
	v_mul_f64 v[30:31], v[92:93], v[188:189]
	s_waitcnt vmcnt(20)
	v_fmac_f64_e32 v[30:31], v[94:95], v[190:191]
	v_add_f64 v[26:27], v[26:27], v[30:31]
	s_waitcnt vmcnt(18) lgkmcnt(4)
	v_mul_f64 v[30:31], v[96:97], v[192:193]
	s_waitcnt vmcnt(16)
	v_fmac_f64_e32 v[30:31], v[98:99], v[194:195]
	v_add_f64 v[26:27], v[26:27], v[30:31]
	;; [unrolled: 5-line block ×6, first 2 shown]
	v_add_f64 v[30:31], v[214:215], 0
	v_add_f64 v[30:31], v[30:31], v[118:119]
	;; [unrolled: 1-line block ×24, first 2 shown]
	buffer_load_dword v2, off, s[0:3], 0 offset:16
	buffer_load_dword v3, off, s[0:3], 0 offset:20
	buffer_load_dword v214, off, s[0:3], 0 offset:24
	buffer_load_dword v215, off, s[0:3], 0 offset:28
	v_add_f64 v[220:221], v[4:5], v[0:1]
	v_accvgpr_read_b32 v6, a170
	v_accvgpr_read_b32 v4, a182
	;; [unrolled: 1-line block ×7, first 2 shown]
	v_mul_f64 v[4:5], v[8:9], v[4:5]
	v_accvgpr_read_b32 v8, a184
	v_add_f64 v[0:1], v[220:221], v[0:1]
	v_accvgpr_read_b32 v7, a171
	v_accvgpr_read_b32 v9, a185
	v_add_f64 v[0:1], v[0:1], v[224:225]
	v_fma_f64 v[4:5], v[6:7], v[8:9], -v[4:5]
	v_add_f64 v[0:1], v[0:1], v[4:5]
	v_accvgpr_read_b32 v6, a174
	v_accvgpr_read_b32 v4, a178
	;; [unrolled: 1-line block ×5, first 2 shown]
	v_mul_f64 v[4:5], v[8:9], v[4:5]
	v_accvgpr_read_b32 v8, a180
	v_accvgpr_read_b32 v7, a175
	v_accvgpr_read_b32 v9, a181
	v_fma_f64 v[4:5], v[6:7], v[8:9], -v[4:5]
	v_add_f64 v[0:1], v[0:1], v[4:5]
	v_accvgpr_read_b32 v4, a186
	v_accvgpr_read_b32 v5, a187
	v_accvgpr_read_b32 v6, a188
	v_mul_f64 v[4:5], v[248:249], v[4:5]
	v_accvgpr_read_b32 v7, a189
	v_fma_f64 v[4:5], v[246:247], v[6:7], -v[4:5]
	v_add_f64 v[0:1], v[0:1], v[4:5]
	v_accvgpr_read_b32 v4, a190
	v_accvgpr_read_b32 v5, a191
	v_accvgpr_read_b32 v6, a192
	v_mul_f64 v[4:5], v[234:235], v[4:5]
	v_accvgpr_read_b32 v7, a193
	;; [unrolled: 7-line block ×4, first 2 shown]
	v_fma_f64 v[4:5], v[128:129], v[6:7], -v[4:5]
	v_add_f64 v[0:1], v[0:1], v[4:5]
	v_accvgpr_read_b32 v4, a204
	v_accvgpr_read_b32 v5, a205
	v_mul_f64 v[4:5], v[126:127], v[4:5]
	v_fma_f64 v[4:5], v[124:125], v[252:253], -v[4:5]
	v_add_f64 v[0:1], v[0:1], v[4:5]
	v_accvgpr_read_b32 v4, a202
	v_accvgpr_read_b32 v5, a203
	v_mul_f64 v[4:5], v[122:123], v[4:5]
	v_fma_f64 v[4:5], v[120:121], v[222:223], -v[4:5]
	v_add_f64 v[0:1], v[0:1], v[4:5]
	v_mul_f64 v[4:5], v[34:35], v[244:245]
	v_fma_f64 v[4:5], v[32:33], v[240:241], -v[4:5]
	v_add_f64 v[0:1], v[0:1], v[4:5]
	;; [unrolled: 3-line block ×22, first 2 shown]
	s_waitcnt vmcnt(2)
	v_add_f64 v[0:1], v[2:3], -v[0:1]
	s_waitcnt vmcnt(0)
	v_add_f64 v[2:3], v[214:215], -v[26:27]
	buffer_store_dword v1, off, s[0:3], 0 offset:20
	buffer_store_dword v0, off, s[0:3], 0 offset:16
	;; [unrolled: 1-line block ×4, first 2 shown]
	s_cbranch_vccz .LBB120_469
; %bb.356:
	v_pk_mov_b32 v[0:1], s[10:11], s[10:11] op_sel:[0,1]
	flat_load_dword v0, v[0:1] offset:220
	s_waitcnt vmcnt(0) lgkmcnt(0)
	v_add_u32_e32 v0, -1, v0
	v_cmp_ne_u32_e32 vcc, 55, v0
	s_and_saveexec_b64 s[4:5], vcc
	s_cbranch_execz .LBB120_358
; %bb.357:
	v_mov_b32_e32 v1, 16
	v_accvgpr_read_b32 v9, a115
	v_lshl_add_u32 v0, v0, 4, v1
	buffer_load_dword v1, v9, s[0:3], 0 offen offset:4
	buffer_load_dword v2, v9, s[0:3], 0 offen offset:8
	buffer_load_dword v3, v9, s[0:3], 0 offen offset:12
	buffer_load_dword v4, v0, s[0:3], 0 offen
	buffer_load_dword v5, v0, s[0:3], 0 offen offset:4
	buffer_load_dword v6, v0, s[0:3], 0 offen offset:8
	buffer_load_dword v7, v0, s[0:3], 0 offen offset:12
	buffer_load_dword v8, v9, s[0:3], 0 offen
	s_waitcnt vmcnt(4)
	buffer_store_dword v4, v9, s[0:3], 0 offen
	s_waitcnt vmcnt(4)
	buffer_store_dword v5, v9, s[0:3], 0 offen offset:4
	s_waitcnt vmcnt(4)
	buffer_store_dword v6, v9, s[0:3], 0 offen offset:8
	s_waitcnt vmcnt(4)
	buffer_store_dword v7, v9, s[0:3], 0 offen offset:12
	buffer_store_dword v3, v0, s[0:3], 0 offen offset:12
	buffer_store_dword v2, v0, s[0:3], 0 offen offset:8
	buffer_store_dword v1, v0, s[0:3], 0 offen offset:4
	s_waitcnt vmcnt(7)
	buffer_store_dword v8, v0, s[0:3], 0 offen
.LBB120_358:
	s_or_b64 exec, exec, s[4:5]
	v_pk_mov_b32 v[0:1], s[10:11], s[10:11] op_sel:[0,1]
	flat_load_dword v0, v[0:1] offset:216
	s_waitcnt vmcnt(0) lgkmcnt(0)
	v_add_u32_e32 v0, -1, v0
	v_cmp_ne_u32_e32 vcc, 54, v0
	s_and_saveexec_b64 s[4:5], vcc
	s_cbranch_execz .LBB120_360
; %bb.359:
	v_mov_b32_e32 v1, 16
	v_accvgpr_read_b32 v9, a116
	v_lshl_add_u32 v0, v0, 4, v1
	buffer_load_dword v1, v9, s[0:3], 0 offen offset:4
	buffer_load_dword v2, v9, s[0:3], 0 offen offset:8
	buffer_load_dword v3, v9, s[0:3], 0 offen offset:12
	buffer_load_dword v4, v0, s[0:3], 0 offen
	buffer_load_dword v5, v0, s[0:3], 0 offen offset:4
	buffer_load_dword v6, v0, s[0:3], 0 offen offset:8
	buffer_load_dword v7, v0, s[0:3], 0 offen offset:12
	buffer_load_dword v8, v9, s[0:3], 0 offen
	s_waitcnt vmcnt(4)
	buffer_store_dword v4, v9, s[0:3], 0 offen
	s_waitcnt vmcnt(4)
	buffer_store_dword v5, v9, s[0:3], 0 offen offset:4
	s_waitcnt vmcnt(4)
	buffer_store_dword v6, v9, s[0:3], 0 offen offset:8
	s_waitcnt vmcnt(4)
	buffer_store_dword v7, v9, s[0:3], 0 offen offset:12
	buffer_store_dword v3, v0, s[0:3], 0 offen offset:12
	buffer_store_dword v2, v0, s[0:3], 0 offen offset:8
	buffer_store_dword v1, v0, s[0:3], 0 offen offset:4
	s_waitcnt vmcnt(7)
	buffer_store_dword v8, v0, s[0:3], 0 offen
.LBB120_360:
	s_or_b64 exec, exec, s[4:5]
	;; [unrolled: 34-line block ×55, first 2 shown]
	v_pk_mov_b32 v[0:1], s[10:11], s[10:11] op_sel:[0,1]
	flat_load_dword v0, v[0:1]
	s_waitcnt vmcnt(0) lgkmcnt(0)
	v_add_u32_e32 v0, -1, v0
	v_cmp_ne_u32_e32 vcc, 0, v0
	s_and_saveexec_b64 s[4:5], vcc
	s_cbranch_execz .LBB120_468
; %bb.467:
	v_mov_b32_e32 v1, 16
	v_lshl_add_u32 v0, v0, 4, v1
	buffer_load_dword v1, v0, s[0:3], 0 offen
	buffer_load_dword v2, v0, s[0:3], 0 offen offset:4
	buffer_load_dword v3, v0, s[0:3], 0 offen offset:8
	;; [unrolled: 1-line block ×3, first 2 shown]
	buffer_load_dword v5, off, s[0:3], 0 offset:28
	buffer_load_dword v6, off, s[0:3], 0 offset:24
	;; [unrolled: 1-line block ×4, first 2 shown]
	s_waitcnt vmcnt(7)
	buffer_store_dword v1, off, s[0:3], 0 offset:16
	s_waitcnt vmcnt(7)
	buffer_store_dword v2, off, s[0:3], 0 offset:20
	;; [unrolled: 2-line block ×4, first 2 shown]
	s_waitcnt vmcnt(7)
	buffer_store_dword v5, v0, s[0:3], 0 offen offset:12
	s_waitcnt vmcnt(7)
	buffer_store_dword v6, v0, s[0:3], 0 offen offset:8
	;; [unrolled: 2-line block ×3, first 2 shown]
	s_waitcnt vmcnt(7)
	buffer_store_dword v8, v0, s[0:3], 0 offen
.LBB120_468:
	s_or_b64 exec, exec, s[4:5]
.LBB120_469:
	buffer_load_dword v0, off, s[0:3], 0 offset:16
	buffer_load_dword v1, off, s[0:3], 0 offset:20
	buffer_load_dword v2, off, s[0:3], 0 offset:24
	buffer_load_dword v3, off, s[0:3], 0 offset:28
	v_accvgpr_read_b32 v5, a1
	v_accvgpr_read_b32 v4, a0
	s_waitcnt vmcnt(0)
	global_store_dwordx4 v[4:5], v[0:3], off
	s_nop 0
	v_accvgpr_read_b32 v3, a169
	buffer_load_dword v0, v3, s[0:3], 0 offen
	buffer_load_dword v1, v3, s[0:3], 0 offen offset:4
	buffer_load_dword v2, v3, s[0:3], 0 offen offset:8
	s_nop 0
	buffer_load_dword v3, v3, s[0:3], 0 offen offset:12
	v_accvgpr_read_b32 v5, a3
	v_accvgpr_read_b32 v4, a2
	s_waitcnt vmcnt(0)
	global_store_dwordx4 v[4:5], v[0:3], off
	s_nop 0
	v_accvgpr_read_b32 v3, a168
	buffer_load_dword v0, v3, s[0:3], 0 offen
	buffer_load_dword v1, v3, s[0:3], 0 offen offset:4
	buffer_load_dword v2, v3, s[0:3], 0 offen offset:8
	s_nop 0
	buffer_load_dword v3, v3, s[0:3], 0 offen offset:12
	;; [unrolled: 11-line block ×15, first 2 shown]
	v_accvgpr_read_b32 v4, a30
	v_accvgpr_read_b32 v5, a31
	s_waitcnt vmcnt(0)
	global_store_dwordx4 v[4:5], v[0:3], off
	v_accvgpr_read_b32 v4, a154
	buffer_load_dword v0, v4, s[0:3], 0 offen
	buffer_load_dword v1, v4, s[0:3], 0 offen offset:4
	buffer_load_dword v2, v4, s[0:3], 0 offen offset:8
	buffer_load_dword v3, v4, s[0:3], 0 offen offset:12
	v_accvgpr_read_b32 v4, a32
	v_accvgpr_read_b32 v5, a33
	s_waitcnt vmcnt(0)
	global_store_dwordx4 v[4:5], v[0:3], off
	v_accvgpr_read_b32 v4, a153
	buffer_load_dword v0, v4, s[0:3], 0 offen
	buffer_load_dword v1, v4, s[0:3], 0 offen offset:4
	buffer_load_dword v2, v4, s[0:3], 0 offen offset:8
	buffer_load_dword v3, v4, s[0:3], 0 offen offset:12
	;; [unrolled: 9-line block ×41, first 2 shown]
	v_accvgpr_read_b32 v4, a74
	v_accvgpr_read_b32 v5, a75
	s_waitcnt vmcnt(0)
	global_store_dwordx4 v[4:5], v[0:3], off
	s_endpgm
	.section	.rodata,"a",@progbits
	.p2align	6, 0x0
	.amdhsa_kernel _ZN9rocsolver6v33100L18getri_kernel_smallILi57E19rocblas_complex_numIdEPKPS3_EEvT1_iilPiilS8_bb
		.amdhsa_group_segment_fixed_size 1832
		.amdhsa_private_segment_fixed_size 944
		.amdhsa_kernarg_size 60
		.amdhsa_user_sgpr_count 8
		.amdhsa_user_sgpr_private_segment_buffer 1
		.amdhsa_user_sgpr_dispatch_ptr 0
		.amdhsa_user_sgpr_queue_ptr 0
		.amdhsa_user_sgpr_kernarg_segment_ptr 1
		.amdhsa_user_sgpr_dispatch_id 0
		.amdhsa_user_sgpr_flat_scratch_init 1
		.amdhsa_user_sgpr_kernarg_preload_length 0
		.amdhsa_user_sgpr_kernarg_preload_offset 0
		.amdhsa_user_sgpr_private_segment_size 0
		.amdhsa_uses_dynamic_stack 0
		.amdhsa_system_sgpr_private_segment_wavefront_offset 1
		.amdhsa_system_sgpr_workgroup_id_x 1
		.amdhsa_system_sgpr_workgroup_id_y 0
		.amdhsa_system_sgpr_workgroup_id_z 0
		.amdhsa_system_sgpr_workgroup_info 0
		.amdhsa_system_vgpr_workitem_id 0
		.amdhsa_next_free_vgpr 466
		.amdhsa_next_free_sgpr 22
		.amdhsa_accum_offset 256
		.amdhsa_reserve_vcc 1
		.amdhsa_reserve_flat_scratch 1
		.amdhsa_float_round_mode_32 0
		.amdhsa_float_round_mode_16_64 0
		.amdhsa_float_denorm_mode_32 3
		.amdhsa_float_denorm_mode_16_64 3
		.amdhsa_dx10_clamp 1
		.amdhsa_ieee_mode 1
		.amdhsa_fp16_overflow 0
		.amdhsa_tg_split 0
		.amdhsa_exception_fp_ieee_invalid_op 0
		.amdhsa_exception_fp_denorm_src 0
		.amdhsa_exception_fp_ieee_div_zero 0
		.amdhsa_exception_fp_ieee_overflow 0
		.amdhsa_exception_fp_ieee_underflow 0
		.amdhsa_exception_fp_ieee_inexact 0
		.amdhsa_exception_int_div_zero 0
	.end_amdhsa_kernel
	.section	.text._ZN9rocsolver6v33100L18getri_kernel_smallILi57E19rocblas_complex_numIdEPKPS3_EEvT1_iilPiilS8_bb,"axG",@progbits,_ZN9rocsolver6v33100L18getri_kernel_smallILi57E19rocblas_complex_numIdEPKPS3_EEvT1_iilPiilS8_bb,comdat
.Lfunc_end120:
	.size	_ZN9rocsolver6v33100L18getri_kernel_smallILi57E19rocblas_complex_numIdEPKPS3_EEvT1_iilPiilS8_bb, .Lfunc_end120-_ZN9rocsolver6v33100L18getri_kernel_smallILi57E19rocblas_complex_numIdEPKPS3_EEvT1_iilPiilS8_bb
                                        ; -- End function
	.section	.AMDGPU.csdata,"",@progbits
; Kernel info:
; codeLenInByte = 202548
; NumSgprs: 28
; NumVgprs: 256
; NumAgprs: 210
; TotalNumVgprs: 466
; ScratchSize: 944
; MemoryBound: 0
; FloatMode: 240
; IeeeMode: 1
; LDSByteSize: 1832 bytes/workgroup (compile time only)
; SGPRBlocks: 3
; VGPRBlocks: 58
; NumSGPRsForWavesPerEU: 28
; NumVGPRsForWavesPerEU: 466
; AccumOffset: 256
; Occupancy: 1
; WaveLimiterHint : 1
; COMPUTE_PGM_RSRC2:SCRATCH_EN: 1
; COMPUTE_PGM_RSRC2:USER_SGPR: 8
; COMPUTE_PGM_RSRC2:TRAP_HANDLER: 0
; COMPUTE_PGM_RSRC2:TGID_X_EN: 1
; COMPUTE_PGM_RSRC2:TGID_Y_EN: 0
; COMPUTE_PGM_RSRC2:TGID_Z_EN: 0
; COMPUTE_PGM_RSRC2:TIDIG_COMP_CNT: 0
; COMPUTE_PGM_RSRC3_GFX90A:ACCUM_OFFSET: 63
; COMPUTE_PGM_RSRC3_GFX90A:TG_SPLIT: 0
	.section	.text._ZN9rocsolver6v33100L18getri_kernel_smallILi58E19rocblas_complex_numIdEPKPS3_EEvT1_iilPiilS8_bb,"axG",@progbits,_ZN9rocsolver6v33100L18getri_kernel_smallILi58E19rocblas_complex_numIdEPKPS3_EEvT1_iilPiilS8_bb,comdat
	.globl	_ZN9rocsolver6v33100L18getri_kernel_smallILi58E19rocblas_complex_numIdEPKPS3_EEvT1_iilPiilS8_bb ; -- Begin function _ZN9rocsolver6v33100L18getri_kernel_smallILi58E19rocblas_complex_numIdEPKPS3_EEvT1_iilPiilS8_bb
	.p2align	8
	.type	_ZN9rocsolver6v33100L18getri_kernel_smallILi58E19rocblas_complex_numIdEPKPS3_EEvT1_iilPiilS8_bb,@function
_ZN9rocsolver6v33100L18getri_kernel_smallILi58E19rocblas_complex_numIdEPKPS3_EEvT1_iilPiilS8_bb: ; @_ZN9rocsolver6v33100L18getri_kernel_smallILi58E19rocblas_complex_numIdEPKPS3_EEvT1_iilPiilS8_bb
; %bb.0:
	s_add_u32 flat_scratch_lo, s6, s9
	s_addc_u32 flat_scratch_hi, s7, 0
	s_add_u32 s0, s0, s9
	s_addc_u32 s1, s1, 0
	v_cmp_gt_u32_e32 vcc, 58, v0
	s_and_saveexec_b64 s[6:7], vcc
	s_cbranch_execz .LBB121_246
; %bb.1:
	s_load_dword s18, s[4:5], 0x38
	s_load_dwordx2 s[6:7], s[4:5], 0x0
	s_load_dwordx4 s[12:15], s[4:5], 0x28
	s_waitcnt lgkmcnt(0)
	s_bitcmp1_b32 s18, 8
	s_cselect_b64 s[16:17], -1, 0
	s_ashr_i32 s9, s8, 31
	s_lshl_b64 s[10:11], s[8:9], 3
	s_add_u32 s6, s6, s10
	s_addc_u32 s7, s7, s11
	s_load_dwordx2 s[6:7], s[6:7], 0x0
	s_bfe_u32 s10, s18, 0x10008
	s_cmp_eq_u32 s10, 0
                                        ; implicit-def: $sgpr10_sgpr11
	s_cbranch_scc1 .LBB121_3
; %bb.2:
	s_load_dword s10, s[4:5], 0x20
	s_load_dwordx2 s[20:21], s[4:5], 0x18
	s_mul_i32 s11, s8, s13
	s_mul_hi_u32 s13, s8, s12
	s_add_i32 s13, s13, s11
	s_mul_i32 s19, s9, s12
	s_add_i32 s13, s13, s19
	s_mul_i32 s12, s8, s12
	s_waitcnt lgkmcnt(0)
	s_ashr_i32 s11, s10, 31
	s_lshl_b64 s[12:13], s[12:13], 2
	s_add_u32 s12, s20, s12
	s_addc_u32 s13, s21, s13
	s_lshl_b64 s[10:11], s[10:11], 2
	s_add_u32 s10, s12, s10
	s_addc_u32 s11, s13, s11
.LBB121_3:
	s_load_dwordx2 s[4:5], s[4:5], 0x8
	v_lshlrev_b32_e32 v1, 4, v0
	s_waitcnt lgkmcnt(0)
	s_ashr_i32 s13, s4, 31
	s_mov_b32 s12, s4
	s_lshl_b64 s[12:13], s[12:13], 4
	s_add_u32 s6, s6, s12
	s_addc_u32 s7, s7, s13
	s_add_i32 s4, s5, s5
	v_add_u32_e32 v2, s4, v0
	v_ashrrev_i32_e32 v3, 31, v2
	v_add_u32_e32 v4, s5, v2
	v_lshlrev_b64 v[2:3], 4, v[2:3]
	v_mov_b32_e32 v5, s7
	v_add_co_u32_e32 v98, vcc, s6, v2
	v_addc_co_u32_e32 v99, vcc, v5, v3, vcc
	v_mov_b32_e32 v2, s7
	v_add_co_u32_e32 v96, vcc, s6, v1
	s_ashr_i32 s13, s5, 31
	s_mov_b32 s12, s5
	global_load_dwordx4 v[90:93], v1, s[6:7]
	v_addc_co_u32_e32 v97, vcc, 0, v2, vcc
	s_lshl_b64 s[12:13], s[12:13], 4
	v_mov_b32_e32 v2, s13
	v_add_co_u32_e32 v94, vcc, s12, v96
	v_addc_co_u32_e32 v95, vcc, v97, v2, vcc
	v_accvgpr_write_b32 a115, v97
	v_accvgpr_write_b32 a111, v95
	;; [unrolled: 1-line block ×4, first 2 shown]
	global_load_dwordx4 v[94:97], v[94:95], off
	v_accvgpr_write_b32 a92, v98
	v_ashrrev_i32_e32 v5, 31, v4
	v_accvgpr_write_b32 a93, v99
	global_load_dwordx4 v[98:101], v[98:99], off
	v_lshlrev_b64 v[2:3], 4, v[4:5]
	v_add_u32_e32 v10, s5, v4
	v_mov_b32_e32 v4, s7
	v_add_co_u32_e32 v102, vcc, s6, v2
	v_addc_co_u32_e32 v103, vcc, v4, v3, vcc
	v_accvgpr_write_b32 a105, v103
	v_ashrrev_i32_e32 v11, 31, v10
	v_accvgpr_write_b32 a104, v102
	global_load_dwordx4 v[102:105], v[102:103], off
	v_lshlrev_b64 v[2:3], 4, v[10:11]
	v_add_co_u32_e32 v2, vcc, s6, v2
	v_add_u32_e32 v12, s5, v10
	v_addc_co_u32_e32 v3, vcc, v4, v3, vcc
	v_accvgpr_write_b32 a95, v3
	global_load_dwordx4 v[106:109], v[2:3], off
	v_ashrrev_i32_e32 v13, 31, v12
	v_accvgpr_write_b32 a94, v2
	v_lshlrev_b64 v[2:3], 4, v[12:13]
	v_add_co_u32_e32 v10, vcc, s6, v2
	v_add_u32_e32 v42, s5, v12
	v_addc_co_u32_e32 v11, vcc, v4, v3, vcc
	v_ashrrev_i32_e32 v43, 31, v42
	global_load_dwordx4 v[110:113], v[10:11], off
	v_lshlrev_b64 v[2:3], 4, v[42:43]
	v_add_co_u32_e32 v2, vcc, s6, v2
	v_add_u32_e32 v44, s5, v42
	v_addc_co_u32_e32 v3, vcc, v4, v3, vcc
	global_load_dwordx4 v[114:117], v[2:3], off
	v_add_u32_e32 v46, s5, v44
	v_accvgpr_write_b32 a81, v3
	v_ashrrev_i32_e32 v45, 31, v44
	v_add_u32_e32 v48, s5, v46
	v_accvgpr_write_b32 a97, v11
	v_accvgpr_write_b32 a80, v2
	v_lshlrev_b64 v[2:3], 4, v[44:45]
	v_add_u32_e32 v50, s5, v48
	v_accvgpr_write_b32 a96, v10
	v_add_co_u32_e32 v10, vcc, s6, v2
	v_add_u32_e32 v52, s5, v50
	v_addc_co_u32_e32 v11, vcc, v4, v3, vcc
	v_add_u32_e32 v134, s5, v52
	v_ashrrev_i32_e32 v47, 31, v46
	global_load_dwordx4 v[118:121], v[10:11], off
	v_add_u32_e32 v142, s5, v134
	v_lshlrev_b64 v[2:3], 4, v[46:47]
	v_add_u32_e32 v144, s5, v142
	v_add_co_u32_e32 v2, vcc, s6, v2
	v_add_u32_e32 v150, s5, v144
	v_addc_co_u32_e32 v3, vcc, v4, v3, vcc
	global_load_dwordx4 v[122:125], v[2:3], off
	v_add_u32_e32 v152, s5, v150
	v_accvgpr_write_b32 a69, v3
	v_ashrrev_i32_e32 v49, 31, v48
	v_add_u32_e32 v88, s5, v152
	v_accvgpr_write_b32 a83, v11
	v_accvgpr_write_b32 a68, v2
	v_lshlrev_b64 v[2:3], 4, v[48:49]
	v_add_u32_e32 v86, s5, v88
	v_accvgpr_write_b32 a82, v10
	v_add_co_u32_e32 v10, vcc, s6, v2
	v_add_u32_e32 v84, s5, v86
	v_addc_co_u32_e32 v11, vcc, v4, v3, vcc
	v_add_u32_e32 v82, s5, v84
	v_ashrrev_i32_e32 v51, 31, v50
	global_load_dwordx4 v[126:129], v[10:11], off
	v_add_u32_e32 v80, s5, v82
	v_lshlrev_b64 v[2:3], 4, v[50:51]
	v_add_u32_e32 v78, s5, v80
	v_add_co_u32_e32 v2, vcc, s6, v2
	v_add_u32_e32 v76, s5, v78
	v_addc_co_u32_e32 v3, vcc, v4, v3, vcc
	global_load_dwordx4 v[130:133], v[2:3], off
	v_add_u32_e32 v74, s5, v76
	v_accvgpr_write_b32 a61, v3
	v_ashrrev_i32_e32 v53, 31, v52
	v_add_u32_e32 v72, s5, v74
	v_accvgpr_write_b32 a75, v11
	v_accvgpr_write_b32 a60, v2
	v_lshlrev_b64 v[2:3], 4, v[52:53]
	v_add_u32_e32 v70, s5, v72
	v_accvgpr_write_b32 a74, v10
	v_add_co_u32_e32 v10, vcc, s6, v2
	v_add_u32_e32 v68, s5, v70
	v_addc_co_u32_e32 v11, vcc, v4, v3, vcc
	v_ashrrev_i32_e32 v135, 31, v134
	v_add_u32_e32 v66, s5, v68
	v_lshlrev_b64 v[2:3], 4, v[134:135]
	global_load_dwordx4 v[134:137], v[10:11], off
	v_add_u32_e32 v64, s5, v66
	v_add_u32_e32 v62, s5, v64
	v_add_co_u32_e32 v2, vcc, s6, v2
	v_add_u32_e32 v60, s5, v62
	v_addc_co_u32_e32 v3, vcc, v4, v3, vcc
	global_load_dwordx4 v[138:141], v[2:3], off
	v_add_u32_e32 v58, s5, v60
	v_accvgpr_write_b32 a53, v3
	v_ashrrev_i32_e32 v143, 31, v142
	v_add_u32_e32 v56, s5, v58
	v_accvgpr_write_b32 a63, v11
	v_accvgpr_write_b32 a52, v2
	v_lshlrev_b64 v[2:3], 4, v[142:143]
	v_add_u32_e32 v54, s5, v56
	v_accvgpr_write_b32 a62, v10
	v_add_co_u32_e32 v10, vcc, s6, v2
	v_add_u32_e32 v8, s5, v54
	v_addc_co_u32_e32 v11, vcc, v4, v3, vcc
	v_ashrrev_i32_e32 v145, 31, v144
	v_add_u32_e32 v6, s5, v8
	v_lshlrev_b64 v[2:3], 4, v[144:145]
	global_load_dwordx4 v[142:145], v[10:11], off
	v_add_u32_e32 v40, s5, v6
	;; [unrolled: 22-line block ×3, first 2 shown]
	v_add_u32_e32 v22, s5, v24
	v_add_co_u32_e32 v2, vcc, s6, v2
	v_add_u32_e32 v20, s5, v22
	v_accvgpr_write_b32 a43, v11
	v_addc_co_u32_e32 v3, vcc, v4, v3, vcc
	v_add_u32_e32 v18, s5, v20
	v_accvgpr_write_b32 a42, v10
	global_load_dwordx4 v[10:13], v[2:3], off
	v_add_u32_e32 v16, s5, v18
	v_add_u32_e32 v14, s5, v16
	;; [unrolled: 1-line block ×7, first 2 shown]
	v_accvgpr_write_b32 a35, v3
	v_add_u32_e32 v42, s5, v44
	v_accvgpr_write_b32 a34, v2
	v_add_u32_e32 v2, s5, v42
	v_ashrrev_i32_e32 v3, 31, v2
	v_lshlrev_b64 v[2:3], 4, v[2:3]
	v_add_co_u32_e32 v2, vcc, s6, v2
	v_ashrrev_i32_e32 v89, 31, v88
	v_addc_co_u32_e32 v3, vcc, v4, v3, vcc
	v_lshlrev_b64 v[88:89], 4, v[88:89]
	v_mov_b32_e32 v7, s7
	v_add_co_u32_e32 v88, vcc, s6, v88
	v_ashrrev_i32_e32 v87, 31, v86
	v_accvgpr_write_b32 a0, v2
	v_addc_co_u32_e32 v89, vcc, v7, v89, vcc
	v_lshlrev_b64 v[86:87], 4, v[86:87]
	v_accvgpr_write_b32 a1, v3
	global_load_dwordx4 v[2:5], v[2:3], off
	s_waitcnt vmcnt(17)
	buffer_store_dword v93, off, s[0:3], 0 offset:28
	buffer_store_dword v92, off, s[0:3], 0 offset:24
	buffer_store_dword v91, off, s[0:3], 0 offset:20
	buffer_store_dword v90, off, s[0:3], 0 offset:16
	s_waitcnt vmcnt(20)
	buffer_store_dword v97, off, s[0:3], 0 offset:44
	buffer_store_dword v96, off, s[0:3], 0 offset:40
	buffer_store_dword v95, off, s[0:3], 0 offset:36
	buffer_store_dword v94, off, s[0:3], 0 offset:32
	;; [unrolled: 5-line block ×16, first 2 shown]
	s_waitcnt vmcnt(62)
	buffer_store_dword v13, off, s[0:3], 0 offset:284
	v_add_co_u32_e32 v90, vcc, s6, v86
	v_accvgpr_write_b32 a113, v89
	v_addc_co_u32_e32 v91, vcc, v7, v87, vcc
	v_accvgpr_write_b32 a112, v88
	global_load_dwordx4 v[86:89], v[88:89], off
	v_accvgpr_write_b32 a107, v91
	v_ashrrev_i32_e32 v85, 31, v84
	v_accvgpr_write_b32 a106, v90
	global_load_dwordx4 v[90:93], v[90:91], off
	v_lshlrev_b64 v[84:85], 4, v[84:85]
	v_add_co_u32_e32 v84, vcc, s6, v84
	v_ashrrev_i32_e32 v83, 31, v82
	v_addc_co_u32_e32 v85, vcc, v7, v85, vcc
	v_lshlrev_b64 v[82:83], 4, v[82:83]
	v_add_co_u32_e32 v94, vcc, s6, v82
	v_accvgpr_write_b32 a109, v85
	v_addc_co_u32_e32 v95, vcc, v7, v83, vcc
	v_accvgpr_write_b32 a108, v84
	global_load_dwordx4 v[82:85], v[84:85], off
	v_accvgpr_write_b32 a101, v95
	v_ashrrev_i32_e32 v81, 31, v80
	v_accvgpr_write_b32 a100, v94
	global_load_dwordx4 v[94:97], v[94:95], off
	v_lshlrev_b64 v[80:81], 4, v[80:81]
	v_add_co_u32_e32 v80, vcc, s6, v80
	v_ashrrev_i32_e32 v79, 31, v78
	v_addc_co_u32_e32 v81, vcc, v7, v81, vcc
	v_lshlrev_b64 v[78:79], 4, v[78:79]
	;; [unrolled: 14-line block ×8, first 2 shown]
	v_add_co_u32_e32 v122, vcc, s6, v54
	v_accvgpr_write_b32 a28, v56
	v_addc_co_u32_e32 v123, vcc, v7, v55, vcc
	v_accvgpr_write_b32 a29, v57
	global_load_dwordx4 v[54:57], v[56:57], off
	v_accvgpr_write_b32 a18, v122
	v_accvgpr_write_b32 a19, v123
	global_load_dwordx4 v[122:125], v[122:123], off
	v_ashrrev_i32_e32 v9, 31, v8
	v_lshlrev_b64 v[8:9], 4, v[8:9]
	v_add_co_u32_e32 v126, vcc, s6, v8
	v_addc_co_u32_e32 v127, vcc, v7, v9, vcc
	v_ashrrev_i32_e32 v7, 31, v6
	v_accvgpr_write_b32 a20, v126
	v_lshlrev_b64 v[6:7], 4, v[6:7]
	v_accvgpr_write_b32 a21, v127
	global_load_dwordx4 v[126:129], v[126:127], off
	v_mov_b32_e32 v8, s7
	v_add_co_u32_e32 v6, vcc, s6, v6
	v_addc_co_u32_e32 v7, vcc, v8, v7, vcc
	v_accvgpr_write_b32 a13, v7
	v_accvgpr_write_b32 a12, v6
	global_load_dwordx4 v[6:9], v[6:7], off
	v_ashrrev_i32_e32 v41, 31, v40
	buffer_store_dword v12, off, s[0:3], 0 offset:280
	buffer_store_dword v11, off, s[0:3], 0 offset:276
	buffer_store_dword v10, off, s[0:3], 0 offset:272
	s_waitcnt vmcnt(22)
	buffer_store_dword v89, off, s[0:3], 0 offset:300
	buffer_store_dword v88, off, s[0:3], 0 offset:296
	buffer_store_dword v87, off, s[0:3], 0 offset:292
	buffer_store_dword v86, off, s[0:3], 0 offset:288
	s_waitcnt vmcnt(25)
	buffer_store_dword v93, off, s[0:3], 0 offset:316
	;; [unrolled: 5-line block ×15, first 2 shown]
	buffer_store_dword v60, off, s[0:3], 0 offset:520
	buffer_store_dword v59, off, s[0:3], 0 offset:516
	;; [unrolled: 1-line block ×11, first 2 shown]
	s_waitcnt vmcnt(62)
	buffer_store_dword v125, off, s[0:3], 0 offset:572
	buffer_store_dword v124, off, s[0:3], 0 offset:568
	;; [unrolled: 1-line block ×9, first 2 shown]
	v_lshlrev_b64 v[10:11], 4, v[40:41]
	v_mov_b32_e32 v9, s7
	v_add_co_u32_e32 v12, vcc, s6, v10
	v_ashrrev_i32_e32 v39, 31, v38
	v_addc_co_u32_e32 v13, vcc, v9, v11, vcc
	v_lshlrev_b64 v[10:11], 4, v[38:39]
	v_add_co_u32_e32 v38, vcc, s6, v10
	v_accvgpr_write_b32 a99, v13
	v_addc_co_u32_e32 v39, vcc, v9, v11, vcc
	v_accvgpr_write_b32 a98, v12
	global_load_dwordx4 v[10:13], v[12:13], off
	v_accvgpr_write_b32 a85, v39
	v_ashrrev_i32_e32 v37, 31, v36
	v_accvgpr_write_b32 a84, v38
	global_load_dwordx4 v[38:41], v[38:39], off
	v_lshlrev_b64 v[36:37], 4, v[36:37]
	v_add_co_u32_e32 v36, vcc, s6, v36
	v_ashrrev_i32_e32 v35, 31, v34
	v_addc_co_u32_e32 v37, vcc, v9, v37, vcc
	v_lshlrev_b64 v[34:35], 4, v[34:35]
	v_add_co_u32_e32 v54, vcc, s6, v34
	v_accvgpr_write_b32 a87, v37
	v_addc_co_u32_e32 v55, vcc, v9, v35, vcc
	v_accvgpr_write_b32 a86, v36
	global_load_dwordx4 v[34:37], v[36:37], off
	v_accvgpr_write_b32 a71, v55
	v_ashrrev_i32_e32 v33, 31, v32
	v_accvgpr_write_b32 a70, v54
	global_load_dwordx4 v[54:57], v[54:55], off
	v_lshlrev_b64 v[32:33], 4, v[32:33]
	;; [unrolled: 14-line block ×8, first 2 shown]
	v_add_co_u32_e32 v48, vcc, s6, v48
	v_ashrrev_i32_e32 v47, 31, v46
	v_addc_co_u32_e32 v49, vcc, v9, v49, vcc
	v_lshlrev_b64 v[46:47], 4, v[46:47]
	v_add_co_u32_e32 v82, vcc, s6, v46
	v_accvgpr_write_b32 a10, v48
	v_addc_co_u32_e32 v83, vcc, v9, v47, vcc
	v_accvgpr_write_b32 a11, v49
	global_load_dwordx4 v[46:49], v[48:49], off
	v_accvgpr_write_b32 a4, v82
	v_accvgpr_write_b32 a5, v83
	global_load_dwordx4 v[82:85], v[82:83], off
	v_ashrrev_i32_e32 v45, 31, v44
	v_lshlrev_b64 v[44:45], 4, v[44:45]
	v_add_co_u32_e32 v44, vcc, s6, v44
	v_addc_co_u32_e32 v45, vcc, v9, v45, vcc
	v_ashrrev_i32_e32 v43, 31, v42
	v_accvgpr_write_b32 a6, v44
	v_lshlrev_b64 v[86:87], 4, v[42:43]
	v_accvgpr_write_b32 a7, v45
	global_load_dwordx4 v[42:45], v[44:45], off
	v_add_co_u32_e32 v86, vcc, s6, v86
	v_addc_co_u32_e32 v87, vcc, v9, v87, vcc
	v_accvgpr_write_b32 a2, v86
	v_accvgpr_write_b32 a3, v87
	global_load_dwordx4 v[86:89], v[86:87], off
	s_nop 0
	buffer_store_dword v8, off, s[0:3], 0 offset:600
	buffer_store_dword v7, off, s[0:3], 0 offset:596
	buffer_store_dword v6, off, s[0:3], 0 offset:592
	s_waitcnt vmcnt(22)
	buffer_store_dword v13, off, s[0:3], 0 offset:620
	buffer_store_dword v12, off, s[0:3], 0 offset:616
	buffer_store_dword v11, off, s[0:3], 0 offset:612
	buffer_store_dword v10, off, s[0:3], 0 offset:608
	s_waitcnt vmcnt(25)
	buffer_store_dword v41, off, s[0:3], 0 offset:636
	buffer_store_dword v40, off, s[0:3], 0 offset:632
	buffer_store_dword v39, off, s[0:3], 0 offset:628
	buffer_store_dword v38, off, s[0:3], 0 offset:624
	s_waitcnt vmcnt(28)
	buffer_store_dword v37, off, s[0:3], 0 offset:652
	buffer_store_dword v36, off, s[0:3], 0 offset:648
	buffer_store_dword v35, off, s[0:3], 0 offset:644
	buffer_store_dword v34, off, s[0:3], 0 offset:640
	s_waitcnt vmcnt(31)
	buffer_store_dword v57, off, s[0:3], 0 offset:668
	buffer_store_dword v56, off, s[0:3], 0 offset:664
	buffer_store_dword v55, off, s[0:3], 0 offset:660
	buffer_store_dword v54, off, s[0:3], 0 offset:656
	s_waitcnt vmcnt(34)
	buffer_store_dword v33, off, s[0:3], 0 offset:684
	buffer_store_dword v32, off, s[0:3], 0 offset:680
	buffer_store_dword v31, off, s[0:3], 0 offset:676
	buffer_store_dword v30, off, s[0:3], 0 offset:672
	s_waitcnt vmcnt(37)
	buffer_store_dword v61, off, s[0:3], 0 offset:700
	buffer_store_dword v60, off, s[0:3], 0 offset:696
	buffer_store_dword v59, off, s[0:3], 0 offset:692
	buffer_store_dword v58, off, s[0:3], 0 offset:688
	s_waitcnt vmcnt(40)
	buffer_store_dword v29, off, s[0:3], 0 offset:716
	buffer_store_dword v28, off, s[0:3], 0 offset:712
	buffer_store_dword v27, off, s[0:3], 0 offset:708
	buffer_store_dword v26, off, s[0:3], 0 offset:704
	s_waitcnt vmcnt(43)
	buffer_store_dword v65, off, s[0:3], 0 offset:732
	buffer_store_dword v64, off, s[0:3], 0 offset:728
	buffer_store_dword v63, off, s[0:3], 0 offset:724
	buffer_store_dword v62, off, s[0:3], 0 offset:720
	s_waitcnt vmcnt(46)
	buffer_store_dword v25, off, s[0:3], 0 offset:748
	buffer_store_dword v24, off, s[0:3], 0 offset:744
	buffer_store_dword v23, off, s[0:3], 0 offset:740
	buffer_store_dword v22, off, s[0:3], 0 offset:736
	s_waitcnt vmcnt(49)
	buffer_store_dword v69, off, s[0:3], 0 offset:764
	buffer_store_dword v68, off, s[0:3], 0 offset:760
	buffer_store_dword v67, off, s[0:3], 0 offset:756
	buffer_store_dword v66, off, s[0:3], 0 offset:752
	s_waitcnt vmcnt(52)
	buffer_store_dword v21, off, s[0:3], 0 offset:780
	buffer_store_dword v20, off, s[0:3], 0 offset:776
	buffer_store_dword v19, off, s[0:3], 0 offset:772
	buffer_store_dword v18, off, s[0:3], 0 offset:768
	s_waitcnt vmcnt(55)
	buffer_store_dword v73, off, s[0:3], 0 offset:796
	buffer_store_dword v72, off, s[0:3], 0 offset:792
	buffer_store_dword v71, off, s[0:3], 0 offset:788
	buffer_store_dword v70, off, s[0:3], 0 offset:784
	s_waitcnt vmcnt(58)
	buffer_store_dword v17, off, s[0:3], 0 offset:812
	buffer_store_dword v16, off, s[0:3], 0 offset:808
	buffer_store_dword v15, off, s[0:3], 0 offset:804
	buffer_store_dword v14, off, s[0:3], 0 offset:800
	s_waitcnt vmcnt(61)
	buffer_store_dword v77, off, s[0:3], 0 offset:828
	buffer_store_dword v76, off, s[0:3], 0 offset:824
	buffer_store_dword v75, off, s[0:3], 0 offset:820
	buffer_store_dword v74, off, s[0:3], 0 offset:816
	s_waitcnt vmcnt(62)
	buffer_store_dword v53, off, s[0:3], 0 offset:844
	buffer_store_dword v52, off, s[0:3], 0 offset:840
	buffer_store_dword v51, off, s[0:3], 0 offset:836
	;; [unrolled: 1-line block ×11, first 2 shown]
	s_waitcnt vmcnt(62)
	buffer_store_dword v85, off, s[0:3], 0 offset:892
	buffer_store_dword v84, off, s[0:3], 0 offset:888
	;; [unrolled: 1-line block ×16, first 2 shown]
	v_mov_b32_e32 v2, 16
	v_add_u32_e32 v3, 16, v2
	v_accvgpr_write_b32 a172, v3
	v_add_u32_e32 v3, 32, v2
	v_accvgpr_write_b32 a171, v3
	;; [unrolled: 2-line block ×55, first 2 shown]
	v_add_u32_e32 v3, 0x380, v2
	v_add_u32_e32 v2, 0x390, v2
	s_bitcmp0_b32 s18, 0
	v_accvgpr_write_b32 a117, v3
	v_accvgpr_write_b32 a116, v2
	s_mov_b64 s[6:7], -1
	s_cbranch_scc1 .LBB121_244
; %bb.4:
	v_cmp_eq_u32_e64 s[4:5], 0, v0
	s_and_saveexec_b64 s[6:7], s[4:5]
	s_cbranch_execz .LBB121_6
; %bb.5:
	v_mov_b32_e32 v2, 0
	ds_write_b32 v2, v2 offset:1856
.LBB121_6:
	s_or_b64 exec, exec, s[6:7]
	v_mov_b32_e32 v2, 16
	v_lshl_add_u32 v12, v0, 4, v2
	s_waitcnt lgkmcnt(0)
	; wave barrier
	s_waitcnt lgkmcnt(0)
	buffer_load_dword v2, v12, s[0:3], 0 offen
	buffer_load_dword v3, v12, s[0:3], 0 offen offset:4
	buffer_load_dword v4, v12, s[0:3], 0 offen offset:8
	;; [unrolled: 1-line block ×3, first 2 shown]
	s_waitcnt vmcnt(2)
	v_cmp_eq_f64_e32 vcc, 0, v[2:3]
	s_waitcnt vmcnt(0)
	v_cmp_eq_f64_e64 s[6:7], 0, v[4:5]
	s_and_b64 s[6:7], vcc, s[6:7]
	s_and_saveexec_b64 s[12:13], s[6:7]
	s_cbranch_execz .LBB121_10
; %bb.7:
	v_mov_b32_e32 v2, 0
	ds_read_b32 v4, v2 offset:1856
	v_add_u32_e32 v3, 1, v0
	s_waitcnt lgkmcnt(0)
	v_readfirstlane_b32 s6, v4
	s_cmp_eq_u32 s6, 0
	s_cselect_b64 s[18:19], -1, 0
	v_cmp_gt_i32_e32 vcc, s6, v3
	s_or_b64 s[18:19], s[18:19], vcc
	s_and_b64 exec, exec, s[18:19]
	s_cbranch_execz .LBB121_10
; %bb.8:
	s_mov_b64 s[18:19], 0
	v_mov_b32_e32 v4, s6
.LBB121_9:                              ; =>This Inner Loop Header: Depth=1
	ds_cmpst_rtn_b32 v4, v2, v4, v3 offset:1856
	s_waitcnt lgkmcnt(0)
	v_cmp_ne_u32_e32 vcc, 0, v4
	v_cmp_le_i32_e64 s[6:7], v4, v3
	s_and_b64 s[6:7], vcc, s[6:7]
	s_and_b64 s[6:7], exec, s[6:7]
	s_or_b64 s[18:19], s[6:7], s[18:19]
	s_andn2_b64 exec, exec, s[18:19]
	s_cbranch_execnz .LBB121_9
.LBB121_10:
	s_or_b64 exec, exec, s[12:13]
	v_mov_b32_e32 v3, 0
	s_waitcnt lgkmcnt(0)
	; wave barrier
	ds_read_b32 v2, v3 offset:1856
	s_and_saveexec_b64 s[6:7], s[4:5]
	s_cbranch_execz .LBB121_12
; %bb.11:
	s_lshl_b64 s[12:13], s[8:9], 2
	s_add_u32 s12, s14, s12
	s_addc_u32 s13, s15, s13
	s_waitcnt lgkmcnt(0)
	global_store_dword v3, v2, s[12:13]
.LBB121_12:
	s_or_b64 exec, exec, s[6:7]
	s_waitcnt lgkmcnt(0)
	v_cmp_ne_u32_e32 vcc, 0, v2
	s_mov_b64 s[6:7], 0
	s_cbranch_vccnz .LBB121_244
; %bb.13:
	buffer_load_dword v7, v12, s[0:3], 0 offen offset:4
	buffer_load_dword v6, v12, s[0:3], 0 offen
	buffer_load_dword v9, v12, s[0:3], 0 offen offset:12
	buffer_load_dword v8, v12, s[0:3], 0 offen offset:8
                                        ; implicit-def: $vgpr10_vgpr11
	s_waitcnt vmcnt(3)
	v_xor_b32_e32 v3, 0x80000000, v7
	s_waitcnt vmcnt(2)
	v_cmp_gt_f64_e32 vcc, 0, v[6:7]
	s_waitcnt vmcnt(1)
	v_xor_b32_e32 v4, 0x80000000, v9
	v_cndmask_b32_e32 v3, v7, v3, vcc
	s_waitcnt vmcnt(0)
	v_cmp_gt_f64_e32 vcc, 0, v[8:9]
	v_mov_b32_e32 v2, v6
	v_cndmask_b32_e32 v5, v9, v4, vcc
	v_mov_b32_e32 v4, v8
	v_cmp_ngt_f64_e32 vcc, v[2:3], v[4:5]
                                        ; implicit-def: $vgpr4_vgpr5
	s_and_saveexec_b64 s[6:7], vcc
	s_xor_b64 s[6:7], exec, s[6:7]
	s_cbranch_execz .LBB121_15
; %bb.14:
	v_div_scale_f64 v[2:3], s[12:13], v[8:9], v[8:9], v[6:7]
	v_rcp_f64_e32 v[4:5], v[2:3]
	v_div_scale_f64 v[10:11], vcc, v[6:7], v[8:9], v[6:7]
	v_fma_f64 v[14:15], -v[2:3], v[4:5], 1.0
	v_fmac_f64_e32 v[4:5], v[4:5], v[14:15]
	v_fma_f64 v[14:15], -v[2:3], v[4:5], 1.0
	v_fmac_f64_e32 v[4:5], v[4:5], v[14:15]
	v_mul_f64 v[14:15], v[10:11], v[4:5]
	v_fma_f64 v[2:3], -v[2:3], v[14:15], v[10:11]
	v_div_fmas_f64 v[2:3], v[2:3], v[4:5], v[14:15]
	v_div_fixup_f64 v[2:3], v[2:3], v[8:9], v[6:7]
	v_fmac_f64_e32 v[8:9], v[6:7], v[2:3]
	v_div_scale_f64 v[4:5], s[12:13], v[8:9], v[8:9], 1.0
	v_rcp_f64_e32 v[6:7], v[4:5]
	v_fma_f64 v[10:11], -v[4:5], v[6:7], 1.0
	v_fmac_f64_e32 v[6:7], v[6:7], v[10:11]
	v_fma_f64 v[10:11], -v[4:5], v[6:7], 1.0
	v_fmac_f64_e32 v[6:7], v[6:7], v[10:11]
	v_div_scale_f64 v[10:11], vcc, 1.0, v[8:9], 1.0
	v_mul_f64 v[14:15], v[10:11], v[6:7]
	v_fma_f64 v[4:5], -v[4:5], v[14:15], v[10:11]
	s_nop 1
	v_div_fmas_f64 v[4:5], v[4:5], v[6:7], v[14:15]
	v_div_fixup_f64 v[4:5], v[4:5], v[8:9], 1.0
	v_mul_f64 v[10:11], v[2:3], v[4:5]
	v_xor_b32_e32 v5, 0x80000000, v5
	v_xor_b32_e32 v3, 0x80000000, v11
	v_mov_b32_e32 v2, v10
                                        ; implicit-def: $vgpr6_vgpr7
                                        ; implicit-def: $vgpr8_vgpr9
.LBB121_15:
	s_andn2_saveexec_b64 s[6:7], s[6:7]
	s_cbranch_execz .LBB121_17
; %bb.16:
	v_div_scale_f64 v[2:3], s[12:13], v[6:7], v[6:7], v[8:9]
	v_rcp_f64_e32 v[4:5], v[2:3]
	v_div_scale_f64 v[10:11], vcc, v[8:9], v[6:7], v[8:9]
	v_fma_f64 v[14:15], -v[2:3], v[4:5], 1.0
	v_fmac_f64_e32 v[4:5], v[4:5], v[14:15]
	v_fma_f64 v[14:15], -v[2:3], v[4:5], 1.0
	v_fmac_f64_e32 v[4:5], v[4:5], v[14:15]
	v_mul_f64 v[14:15], v[10:11], v[4:5]
	v_fma_f64 v[2:3], -v[2:3], v[14:15], v[10:11]
	v_div_fmas_f64 v[2:3], v[2:3], v[4:5], v[14:15]
	v_div_fixup_f64 v[4:5], v[2:3], v[6:7], v[8:9]
	v_fmac_f64_e32 v[6:7], v[8:9], v[4:5]
	v_div_scale_f64 v[2:3], s[12:13], v[6:7], v[6:7], 1.0
	v_rcp_f64_e32 v[8:9], v[2:3]
	v_fma_f64 v[10:11], -v[2:3], v[8:9], 1.0
	v_fmac_f64_e32 v[8:9], v[8:9], v[10:11]
	v_fma_f64 v[10:11], -v[2:3], v[8:9], 1.0
	v_fmac_f64_e32 v[8:9], v[8:9], v[10:11]
	v_div_scale_f64 v[10:11], vcc, 1.0, v[6:7], 1.0
	v_mul_f64 v[14:15], v[10:11], v[8:9]
	v_fma_f64 v[2:3], -v[2:3], v[14:15], v[10:11]
	s_nop 1
	v_div_fmas_f64 v[2:3], v[2:3], v[8:9], v[14:15]
	v_div_fixup_f64 v[10:11], v[2:3], v[6:7], 1.0
	v_xor_b32_e32 v3, 0x80000000, v11
	v_mov_b32_e32 v2, v10
	v_mul_f64 v[4:5], v[4:5], -v[10:11]
.LBB121_17:
	s_or_b64 exec, exec, s[6:7]
	buffer_store_dword v11, v12, s[0:3], 0 offen offset:4
	buffer_store_dword v10, v12, s[0:3], 0 offen
	buffer_store_dword v5, v12, s[0:3], 0 offen offset:12
	buffer_store_dword v4, v12, s[0:3], 0 offen offset:8
	v_accvgpr_read_b32 v6, a172
	buffer_load_dword v11, v6, s[0:3], 0 offen offset:12
	buffer_load_dword v10, v6, s[0:3], 0 offen offset:8
	;; [unrolled: 1-line block ×3, first 2 shown]
	buffer_load_dword v8, v6, s[0:3], 0 offen
	v_xor_b32_e32 v5, 0x80000000, v5
	v_add_u32_e32 v6, 0x3a0, v1
	ds_write_b128 v1, v[2:5]
	s_waitcnt vmcnt(0)
	ds_write_b128 v1, v[8:11] offset:928
	s_waitcnt lgkmcnt(0)
	; wave barrier
	s_waitcnt lgkmcnt(0)
	s_and_saveexec_b64 s[6:7], s[4:5]
	s_cbranch_execz .LBB121_19
; %bb.18:
	buffer_load_dword v14, v12, s[0:3], 0 offen offset:8
	buffer_load_dword v15, v12, s[0:3], 0 offen offset:12
	buffer_load_dword v16, v12, s[0:3], 0 offen
	buffer_load_dword v17, v12, s[0:3], 0 offen offset:4
	ds_read_b128 v[2:5], v6
	v_mov_b32_e32 v7, 0
	ds_read_b128 v[8:11], v7 offset:16
	s_waitcnt vmcnt(2) lgkmcnt(1)
	v_mul_f64 v[18:19], v[4:5], v[14:15]
	v_mul_f64 v[14:15], v[2:3], v[14:15]
	s_waitcnt vmcnt(0)
	v_fmac_f64_e32 v[14:15], v[4:5], v[16:17]
	v_fma_f64 v[2:3], v[2:3], v[16:17], -v[18:19]
	v_add_f64 v[4:5], v[14:15], 0
	v_add_f64 v[2:3], v[2:3], 0
	s_waitcnt lgkmcnt(0)
	v_mul_f64 v[14:15], v[4:5], v[10:11]
	v_mul_f64 v[10:11], v[2:3], v[10:11]
	v_fma_f64 v[2:3], v[2:3], v[8:9], -v[14:15]
	v_fmac_f64_e32 v[10:11], v[4:5], v[8:9]
	buffer_store_dword v2, off, s[0:3], 0 offset:32
	buffer_store_dword v3, off, s[0:3], 0 offset:36
	;; [unrolled: 1-line block ×4, first 2 shown]
.LBB121_19:
	s_or_b64 exec, exec, s[6:7]
	v_accvgpr_read_b32 v5, a171
	s_waitcnt lgkmcnt(0)
	; wave barrier
	buffer_load_dword v2, v5, s[0:3], 0 offen
	buffer_load_dword v3, v5, s[0:3], 0 offen offset:4
	buffer_load_dword v4, v5, s[0:3], 0 offen offset:8
	s_nop 0
	buffer_load_dword v5, v5, s[0:3], 0 offen offset:12
	v_cmp_gt_u32_e32 vcc, 2, v0
	s_waitcnt vmcnt(0)
	ds_write_b128 v6, v[2:5]
	s_waitcnt lgkmcnt(0)
	; wave barrier
	s_waitcnt lgkmcnt(0)
	s_and_saveexec_b64 s[6:7], vcc
	s_cbranch_execz .LBB121_23
; %bb.20:
	buffer_load_dword v8, v12, s[0:3], 0 offen offset:8
	buffer_load_dword v9, v12, s[0:3], 0 offen offset:12
	buffer_load_dword v10, v12, s[0:3], 0 offen
	buffer_load_dword v11, v12, s[0:3], 0 offen offset:4
	ds_read_b128 v[2:5], v6
	s_waitcnt vmcnt(2) lgkmcnt(0)
	v_mul_f64 v[12:13], v[4:5], v[8:9]
	v_mul_f64 v[8:9], v[2:3], v[8:9]
	s_waitcnt vmcnt(0)
	v_fma_f64 v[2:3], v[2:3], v[10:11], -v[12:13]
	v_fmac_f64_e32 v[8:9], v[4:5], v[10:11]
	v_add_f64 v[4:5], v[2:3], 0
	v_add_f64 v[2:3], v[8:9], 0
	s_and_saveexec_b64 s[12:13], s[4:5]
	s_cbranch_execz .LBB121_22
; %bb.21:
	buffer_load_dword v12, off, s[0:3], 0 offset:40
	buffer_load_dword v13, off, s[0:3], 0 offset:44
	;; [unrolled: 1-line block ×4, first 2 shown]
	v_mov_b32_e32 v7, 0
	ds_read_b128 v[8:11], v7 offset:944
	s_waitcnt vmcnt(2) lgkmcnt(0)
	v_mul_f64 v[16:17], v[8:9], v[12:13]
	v_mul_f64 v[12:13], v[10:11], v[12:13]
	s_waitcnt vmcnt(0)
	v_fmac_f64_e32 v[16:17], v[10:11], v[14:15]
	v_fma_f64 v[8:9], v[8:9], v[14:15], -v[12:13]
	v_add_f64 v[2:3], v[2:3], v[16:17]
	v_add_f64 v[4:5], v[4:5], v[8:9]
.LBB121_22:
	s_or_b64 exec, exec, s[12:13]
	v_mov_b32_e32 v7, 0
	ds_read_b128 v[8:11], v7 offset:32
	s_waitcnt lgkmcnt(0)
	v_mul_f64 v[12:13], v[2:3], v[10:11]
	v_mul_f64 v[10:11], v[4:5], v[10:11]
	v_fma_f64 v[4:5], v[4:5], v[8:9], -v[12:13]
	v_fmac_f64_e32 v[10:11], v[2:3], v[8:9]
	buffer_store_dword v5, off, s[0:3], 0 offset:52
	buffer_store_dword v4, off, s[0:3], 0 offset:48
	;; [unrolled: 1-line block ×4, first 2 shown]
.LBB121_23:
	s_or_b64 exec, exec, s[6:7]
	v_accvgpr_read_b32 v5, a170
	s_waitcnt lgkmcnt(0)
	; wave barrier
	buffer_load_dword v2, v5, s[0:3], 0 offen
	buffer_load_dword v3, v5, s[0:3], 0 offen offset:4
	buffer_load_dword v4, v5, s[0:3], 0 offen offset:8
	s_nop 0
	buffer_load_dword v5, v5, s[0:3], 0 offen offset:12
	v_cmp_gt_u32_e32 vcc, 3, v0
	v_add_u32_e32 v7, -1, v0
	s_waitcnt vmcnt(0)
	ds_write_b128 v6, v[2:5]
	s_waitcnt lgkmcnt(0)
	; wave barrier
	s_waitcnt lgkmcnt(0)
	s_and_saveexec_b64 s[4:5], vcc
	s_cbranch_execz .LBB121_27
; %bb.24:
	v_pk_mov_b32 v[2:3], 0, 0
	v_add_u32_e32 v8, -1, v0
	v_add_u32_e32 v9, 0x3a0, v1
	v_add_u32_e32 v10, 16, v1
	s_mov_b64 s[6:7], 0
	v_pk_mov_b32 v[4:5], v[2:3], v[2:3] op_sel:[0,1]
.LBB121_25:                             ; =>This Inner Loop Header: Depth=1
	buffer_load_dword v16, v10, s[0:3], 0 offen offset:8
	buffer_load_dword v17, v10, s[0:3], 0 offen offset:12
	buffer_load_dword v18, v10, s[0:3], 0 offen
	buffer_load_dword v19, v10, s[0:3], 0 offen offset:4
	ds_read_b128 v[12:15], v9
	v_add_u32_e32 v8, 1, v8
	v_cmp_lt_u32_e32 vcc, 1, v8
	v_add_u32_e32 v9, 16, v9
	v_add_u32_e32 v10, 16, v10
	s_or_b64 s[6:7], vcc, s[6:7]
	s_waitcnt vmcnt(2) lgkmcnt(0)
	v_mul_f64 v[20:21], v[14:15], v[16:17]
	v_mul_f64 v[16:17], v[12:13], v[16:17]
	s_waitcnt vmcnt(0)
	v_fma_f64 v[12:13], v[12:13], v[18:19], -v[20:21]
	v_fmac_f64_e32 v[16:17], v[14:15], v[18:19]
	v_add_f64 v[4:5], v[4:5], v[12:13]
	v_add_f64 v[2:3], v[2:3], v[16:17]
	s_andn2_b64 exec, exec, s[6:7]
	s_cbranch_execnz .LBB121_25
; %bb.26:
	s_or_b64 exec, exec, s[6:7]
	v_mov_b32_e32 v8, 0
	ds_read_b128 v[8:11], v8 offset:48
	s_waitcnt lgkmcnt(0)
	v_mul_f64 v[12:13], v[2:3], v[10:11]
	v_mul_f64 v[10:11], v[4:5], v[10:11]
	v_fma_f64 v[4:5], v[4:5], v[8:9], -v[12:13]
	v_fmac_f64_e32 v[10:11], v[2:3], v[8:9]
	buffer_store_dword v5, off, s[0:3], 0 offset:68
	buffer_store_dword v4, off, s[0:3], 0 offset:64
	buffer_store_dword v11, off, s[0:3], 0 offset:76
	buffer_store_dword v10, off, s[0:3], 0 offset:72
.LBB121_27:
	s_or_b64 exec, exec, s[4:5]
	v_accvgpr_read_b32 v5, a169
	s_waitcnt lgkmcnt(0)
	; wave barrier
	buffer_load_dword v2, v5, s[0:3], 0 offen
	buffer_load_dword v3, v5, s[0:3], 0 offen offset:4
	buffer_load_dword v4, v5, s[0:3], 0 offen offset:8
	s_nop 0
	buffer_load_dword v5, v5, s[0:3], 0 offen offset:12
	v_cmp_gt_u32_e32 vcc, 4, v0
	s_waitcnt vmcnt(0)
	ds_write_b128 v6, v[2:5]
	s_waitcnt lgkmcnt(0)
	; wave barrier
	s_waitcnt lgkmcnt(0)
	s_and_saveexec_b64 s[4:5], vcc
	s_cbranch_execz .LBB121_31
; %bb.28:
	v_pk_mov_b32 v[2:3], 0, 0
	v_add_u32_e32 v8, -1, v0
	v_add_u32_e32 v9, 0x3a0, v1
	v_add_u32_e32 v10, 16, v1
	s_mov_b64 s[6:7], 0
	v_pk_mov_b32 v[4:5], v[2:3], v[2:3] op_sel:[0,1]
.LBB121_29:                             ; =>This Inner Loop Header: Depth=1
	buffer_load_dword v16, v10, s[0:3], 0 offen offset:8
	buffer_load_dword v17, v10, s[0:3], 0 offen offset:12
	buffer_load_dword v18, v10, s[0:3], 0 offen
	buffer_load_dword v19, v10, s[0:3], 0 offen offset:4
	ds_read_b128 v[12:15], v9
	v_add_u32_e32 v8, 1, v8
	v_cmp_lt_u32_e32 vcc, 2, v8
	v_add_u32_e32 v9, 16, v9
	v_add_u32_e32 v10, 16, v10
	s_or_b64 s[6:7], vcc, s[6:7]
	s_waitcnt vmcnt(2) lgkmcnt(0)
	v_mul_f64 v[20:21], v[14:15], v[16:17]
	v_mul_f64 v[16:17], v[12:13], v[16:17]
	s_waitcnt vmcnt(0)
	v_fma_f64 v[12:13], v[12:13], v[18:19], -v[20:21]
	v_fmac_f64_e32 v[16:17], v[14:15], v[18:19]
	v_add_f64 v[4:5], v[4:5], v[12:13]
	v_add_f64 v[2:3], v[2:3], v[16:17]
	s_andn2_b64 exec, exec, s[6:7]
	s_cbranch_execnz .LBB121_29
; %bb.30:
	s_or_b64 exec, exec, s[6:7]
	v_mov_b32_e32 v8, 0
	ds_read_b128 v[8:11], v8 offset:64
	s_waitcnt lgkmcnt(0)
	v_mul_f64 v[12:13], v[2:3], v[10:11]
	v_mul_f64 v[10:11], v[4:5], v[10:11]
	v_fma_f64 v[4:5], v[4:5], v[8:9], -v[12:13]
	v_fmac_f64_e32 v[10:11], v[2:3], v[8:9]
	buffer_store_dword v5, off, s[0:3], 0 offset:84
	buffer_store_dword v4, off, s[0:3], 0 offset:80
	buffer_store_dword v11, off, s[0:3], 0 offset:92
	buffer_store_dword v10, off, s[0:3], 0 offset:88
.LBB121_31:
	s_or_b64 exec, exec, s[4:5]
	v_accvgpr_read_b32 v5, a168
	s_waitcnt lgkmcnt(0)
	; wave barrier
	buffer_load_dword v2, v5, s[0:3], 0 offen
	buffer_load_dword v3, v5, s[0:3], 0 offen offset:4
	buffer_load_dword v4, v5, s[0:3], 0 offen offset:8
	s_nop 0
	buffer_load_dword v5, v5, s[0:3], 0 offen offset:12
	v_cmp_gt_u32_e32 vcc, 5, v0
	;; [unrolled: 59-line block ×19, first 2 shown]
	s_waitcnt vmcnt(0)
	ds_write_b128 v6, v[2:5]
	s_waitcnt lgkmcnt(0)
	; wave barrier
	s_waitcnt lgkmcnt(0)
	s_and_saveexec_b64 s[4:5], vcc
	s_cbranch_execz .LBB121_103
; %bb.100:
	v_pk_mov_b32 v[2:3], 0, 0
	v_add_u32_e32 v8, -1, v0
	v_add_u32_e32 v9, 0x3a0, v1
	v_add_u32_e32 v10, 16, v1
	s_mov_b64 s[6:7], 0
	v_pk_mov_b32 v[4:5], v[2:3], v[2:3] op_sel:[0,1]
.LBB121_101:                            ; =>This Inner Loop Header: Depth=1
	buffer_load_dword v16, v10, s[0:3], 0 offen offset:8
	buffer_load_dword v17, v10, s[0:3], 0 offen offset:12
	buffer_load_dword v18, v10, s[0:3], 0 offen
	buffer_load_dword v19, v10, s[0:3], 0 offen offset:4
	ds_read_b128 v[12:15], v9
	v_add_u32_e32 v8, 1, v8
	v_cmp_lt_u32_e32 vcc, 20, v8
	v_add_u32_e32 v9, 16, v9
	v_add_u32_e32 v10, 16, v10
	s_or_b64 s[6:7], vcc, s[6:7]
	s_waitcnt vmcnt(2) lgkmcnt(0)
	v_mul_f64 v[20:21], v[14:15], v[16:17]
	v_mul_f64 v[16:17], v[12:13], v[16:17]
	s_waitcnt vmcnt(0)
	v_fma_f64 v[12:13], v[12:13], v[18:19], -v[20:21]
	v_fmac_f64_e32 v[16:17], v[14:15], v[18:19]
	v_add_f64 v[4:5], v[4:5], v[12:13]
	v_add_f64 v[2:3], v[2:3], v[16:17]
	s_andn2_b64 exec, exec, s[6:7]
	s_cbranch_execnz .LBB121_101
; %bb.102:
	s_or_b64 exec, exec, s[6:7]
	v_mov_b32_e32 v8, 0
	ds_read_b128 v[8:11], v8 offset:352
	s_waitcnt lgkmcnt(0)
	v_mul_f64 v[12:13], v[2:3], v[10:11]
	v_mul_f64 v[10:11], v[4:5], v[10:11]
	v_fma_f64 v[4:5], v[4:5], v[8:9], -v[12:13]
	v_fmac_f64_e32 v[10:11], v[2:3], v[8:9]
	buffer_store_dword v5, off, s[0:3], 0 offset:372
	buffer_store_dword v4, off, s[0:3], 0 offset:368
	buffer_store_dword v11, off, s[0:3], 0 offset:380
	buffer_store_dword v10, off, s[0:3], 0 offset:376
.LBB121_103:
	s_or_b64 exec, exec, s[4:5]
	v_accvgpr_read_b32 v5, a150
	s_waitcnt lgkmcnt(0)
	; wave barrier
	buffer_load_dword v2, v5, s[0:3], 0 offen
	buffer_load_dword v3, v5, s[0:3], 0 offen offset:4
	buffer_load_dword v4, v5, s[0:3], 0 offen offset:8
	s_nop 0
	buffer_load_dword v5, v5, s[0:3], 0 offen offset:12
	v_cmp_gt_u32_e32 vcc, 23, v0
	s_waitcnt vmcnt(0)
	ds_write_b128 v6, v[2:5]
	s_waitcnt lgkmcnt(0)
	; wave barrier
	s_waitcnt lgkmcnt(0)
	s_and_saveexec_b64 s[4:5], vcc
	s_cbranch_execz .LBB121_107
; %bb.104:
	v_pk_mov_b32 v[2:3], 0, 0
	v_add_u32_e32 v8, -1, v0
	v_add_u32_e32 v9, 0x3a0, v1
	v_add_u32_e32 v10, 16, v1
	s_mov_b64 s[6:7], 0
	v_pk_mov_b32 v[4:5], v[2:3], v[2:3] op_sel:[0,1]
.LBB121_105:                            ; =>This Inner Loop Header: Depth=1
	buffer_load_dword v16, v10, s[0:3], 0 offen offset:8
	buffer_load_dword v17, v10, s[0:3], 0 offen offset:12
	buffer_load_dword v18, v10, s[0:3], 0 offen
	buffer_load_dword v19, v10, s[0:3], 0 offen offset:4
	ds_read_b128 v[12:15], v9
	v_add_u32_e32 v8, 1, v8
	v_cmp_lt_u32_e32 vcc, 21, v8
	v_add_u32_e32 v9, 16, v9
	v_add_u32_e32 v10, 16, v10
	s_or_b64 s[6:7], vcc, s[6:7]
	s_waitcnt vmcnt(2) lgkmcnt(0)
	v_mul_f64 v[20:21], v[14:15], v[16:17]
	v_mul_f64 v[16:17], v[12:13], v[16:17]
	s_waitcnt vmcnt(0)
	v_fma_f64 v[12:13], v[12:13], v[18:19], -v[20:21]
	v_fmac_f64_e32 v[16:17], v[14:15], v[18:19]
	v_add_f64 v[4:5], v[4:5], v[12:13]
	v_add_f64 v[2:3], v[2:3], v[16:17]
	s_andn2_b64 exec, exec, s[6:7]
	s_cbranch_execnz .LBB121_105
; %bb.106:
	s_or_b64 exec, exec, s[6:7]
	v_mov_b32_e32 v8, 0
	ds_read_b128 v[8:11], v8 offset:368
	s_waitcnt lgkmcnt(0)
	v_mul_f64 v[12:13], v[2:3], v[10:11]
	v_mul_f64 v[10:11], v[4:5], v[10:11]
	v_fma_f64 v[4:5], v[4:5], v[8:9], -v[12:13]
	v_fmac_f64_e32 v[10:11], v[2:3], v[8:9]
	buffer_store_dword v5, off, s[0:3], 0 offset:388
	buffer_store_dword v4, off, s[0:3], 0 offset:384
	buffer_store_dword v11, off, s[0:3], 0 offset:396
	buffer_store_dword v10, off, s[0:3], 0 offset:392
.LBB121_107:
	s_or_b64 exec, exec, s[4:5]
	v_accvgpr_read_b32 v5, a149
	s_waitcnt lgkmcnt(0)
	; wave barrier
	buffer_load_dword v2, v5, s[0:3], 0 offen
	buffer_load_dword v3, v5, s[0:3], 0 offen offset:4
	buffer_load_dword v4, v5, s[0:3], 0 offen offset:8
	s_nop 0
	buffer_load_dword v5, v5, s[0:3], 0 offen offset:12
	v_cmp_gt_u32_e32 vcc, 24, v0
	;; [unrolled: 59-line block ×34, first 2 shown]
	s_waitcnt vmcnt(0)
	ds_write_b128 v6, v[2:5]
	s_waitcnt lgkmcnt(0)
	; wave barrier
	s_waitcnt lgkmcnt(0)
	s_and_saveexec_b64 s[4:5], vcc
	s_cbranch_execz .LBB121_239
; %bb.236:
	v_pk_mov_b32 v[2:3], 0, 0
	v_add_u32_e32 v8, -1, v0
	v_add_u32_e32 v9, 0x3a0, v1
	v_add_u32_e32 v10, 16, v1
	s_mov_b64 s[6:7], 0
	v_pk_mov_b32 v[4:5], v[2:3], v[2:3] op_sel:[0,1]
.LBB121_237:                            ; =>This Inner Loop Header: Depth=1
	buffer_load_dword v16, v10, s[0:3], 0 offen offset:8
	buffer_load_dword v17, v10, s[0:3], 0 offen offset:12
	buffer_load_dword v18, v10, s[0:3], 0 offen
	buffer_load_dword v19, v10, s[0:3], 0 offen offset:4
	ds_read_b128 v[12:15], v9
	v_add_u32_e32 v8, 1, v8
	v_cmp_lt_u32_e32 vcc, 54, v8
	v_add_u32_e32 v9, 16, v9
	v_add_u32_e32 v10, 16, v10
	s_or_b64 s[6:7], vcc, s[6:7]
	s_waitcnt vmcnt(2) lgkmcnt(0)
	v_mul_f64 v[20:21], v[14:15], v[16:17]
	v_mul_f64 v[16:17], v[12:13], v[16:17]
	s_waitcnt vmcnt(0)
	v_fma_f64 v[12:13], v[12:13], v[18:19], -v[20:21]
	v_fmac_f64_e32 v[16:17], v[14:15], v[18:19]
	v_add_f64 v[4:5], v[4:5], v[12:13]
	v_add_f64 v[2:3], v[2:3], v[16:17]
	s_andn2_b64 exec, exec, s[6:7]
	s_cbranch_execnz .LBB121_237
; %bb.238:
	s_or_b64 exec, exec, s[6:7]
	v_mov_b32_e32 v8, 0
	ds_read_b128 v[8:11], v8 offset:896
	s_waitcnt lgkmcnt(0)
	v_mul_f64 v[12:13], v[2:3], v[10:11]
	v_mul_f64 v[10:11], v[4:5], v[10:11]
	v_fma_f64 v[4:5], v[4:5], v[8:9], -v[12:13]
	v_fmac_f64_e32 v[10:11], v[2:3], v[8:9]
	buffer_store_dword v5, off, s[0:3], 0 offset:916
	buffer_store_dword v4, off, s[0:3], 0 offset:912
	buffer_store_dword v11, off, s[0:3], 0 offset:924
	buffer_store_dword v10, off, s[0:3], 0 offset:920
.LBB121_239:
	s_or_b64 exec, exec, s[4:5]
	v_accvgpr_read_b32 v5, a116
	s_waitcnt lgkmcnt(0)
	; wave barrier
	buffer_load_dword v2, v5, s[0:3], 0 offen
	buffer_load_dword v3, v5, s[0:3], 0 offen offset:4
	buffer_load_dword v4, v5, s[0:3], 0 offen offset:8
	s_nop 0
	buffer_load_dword v5, v5, s[0:3], 0 offen offset:12
	v_cmp_ne_u32_e32 vcc, 57, v0
	s_waitcnt vmcnt(0)
	ds_write_b128 v6, v[2:5]
	s_waitcnt lgkmcnt(0)
	; wave barrier
	s_waitcnt lgkmcnt(0)
	s_and_saveexec_b64 s[4:5], vcc
	s_cbranch_execz .LBB121_243
; %bb.240:
	v_pk_mov_b32 v[2:3], 0, 0
	v_add_u32_e32 v6, 0x3a0, v1
	v_add_u32_e32 v1, 16, v1
	s_mov_b64 s[6:7], 0
	v_pk_mov_b32 v[4:5], v[2:3], v[2:3] op_sel:[0,1]
.LBB121_241:                            ; =>This Inner Loop Header: Depth=1
	buffer_load_dword v12, v1, s[0:3], 0 offen offset:8
	buffer_load_dword v13, v1, s[0:3], 0 offen offset:12
	buffer_load_dword v14, v1, s[0:3], 0 offen
	buffer_load_dword v15, v1, s[0:3], 0 offen offset:4
	ds_read_b128 v[8:11], v6
	v_add_u32_e32 v7, 1, v7
	v_cmp_lt_u32_e32 vcc, 55, v7
	v_add_u32_e32 v6, 16, v6
	v_add_u32_e32 v1, 16, v1
	s_or_b64 s[6:7], vcc, s[6:7]
	s_waitcnt vmcnt(2) lgkmcnt(0)
	v_mul_f64 v[16:17], v[10:11], v[12:13]
	v_mul_f64 v[12:13], v[8:9], v[12:13]
	s_waitcnt vmcnt(0)
	v_fma_f64 v[8:9], v[8:9], v[14:15], -v[16:17]
	v_fmac_f64_e32 v[12:13], v[10:11], v[14:15]
	v_add_f64 v[4:5], v[4:5], v[8:9]
	v_add_f64 v[2:3], v[2:3], v[12:13]
	s_andn2_b64 exec, exec, s[6:7]
	s_cbranch_execnz .LBB121_241
; %bb.242:
	s_or_b64 exec, exec, s[6:7]
	v_mov_b32_e32 v1, 0
	ds_read_b128 v[6:9], v1 offset:912
	s_waitcnt lgkmcnt(0)
	v_mul_f64 v[10:11], v[2:3], v[8:9]
	v_mul_f64 v[8:9], v[4:5], v[8:9]
	v_fma_f64 v[4:5], v[4:5], v[6:7], -v[10:11]
	v_fmac_f64_e32 v[8:9], v[2:3], v[6:7]
	buffer_store_dword v5, off, s[0:3], 0 offset:932
	buffer_store_dword v4, off, s[0:3], 0 offset:928
	;; [unrolled: 1-line block ×4, first 2 shown]
.LBB121_243:
	s_or_b64 exec, exec, s[4:5]
	s_mov_b64 s[6:7], -1
	s_waitcnt lgkmcnt(0)
	; wave barrier
.LBB121_244:
	s_and_b64 vcc, exec, s[6:7]
	s_cbranch_vccz .LBB121_246
; %bb.245:
	s_lshl_b64 s[4:5], s[8:9], 2
	s_add_u32 s4, s14, s4
	s_addc_u32 s5, s15, s5
	v_mov_b32_e32 v1, 0
	global_load_dword v1, v1, s[4:5]
	s_waitcnt vmcnt(0)
	v_cmp_ne_u32_e32 vcc, 0, v1
	s_cbranch_vccz .LBB121_247
.LBB121_246:
	s_endpgm
.LBB121_247:
	v_mov_b32_e32 v1, 0x3a0
	v_lshl_add_u32 v1, v0, 4, v1
	v_accvgpr_write_b32 a173, v1
	v_cmp_eq_u32_e32 vcc, 57, v0
	s_and_saveexec_b64 s[4:5], vcc
	s_cbranch_execz .LBB121_249
; %bb.248:
	v_accvgpr_read_b32 v1, a117
	buffer_load_dword v2, v1, s[0:3], 0 offen
	buffer_load_dword v3, v1, s[0:3], 0 offen offset:4
	buffer_load_dword v4, v1, s[0:3], 0 offen offset:8
	;; [unrolled: 1-line block ×3, first 2 shown]
	v_mov_b32_e32 v1, 0
	v_accvgpr_read_b32 v6, a173
	buffer_store_dword v1, off, s[0:3], 0 offset:912
	buffer_store_dword v1, off, s[0:3], 0 offset:916
	;; [unrolled: 1-line block ×4, first 2 shown]
	s_waitcnt vmcnt(4)
	ds_write_b128 v6, v[2:5]
.LBB121_249:
	s_or_b64 exec, exec, s[4:5]
	s_waitcnt lgkmcnt(0)
	; wave barrier
	s_waitcnt lgkmcnt(0)
	buffer_load_dword v6, off, s[0:3], 0 offset:936
	buffer_load_dword v7, off, s[0:3], 0 offset:940
	;; [unrolled: 1-line block ×8, first 2 shown]
	v_mov_b32_e32 v1, 0
	ds_read_b128 v[2:5], v1 offset:1840
	v_cmp_lt_u32_e32 vcc, 55, v0
	s_waitcnt vmcnt(6) lgkmcnt(0)
	v_mul_f64 v[14:15], v[2:3], v[6:7]
	v_mul_f64 v[6:7], v[4:5], v[6:7]
	s_waitcnt vmcnt(4)
	v_fma_f64 v[2:3], v[2:3], v[8:9], -v[6:7]
	v_fmac_f64_e32 v[14:15], v[4:5], v[8:9]
	v_add_f64 v[2:3], v[2:3], 0
	v_add_f64 v[4:5], v[14:15], 0
	s_waitcnt vmcnt(2)
	v_add_f64 v[2:3], v[10:11], -v[2:3]
	s_waitcnt vmcnt(0)
	v_add_f64 v[4:5], v[12:13], -v[4:5]
	buffer_store_dword v2, off, s[0:3], 0 offset:912
	buffer_store_dword v3, off, s[0:3], 0 offset:916
	;; [unrolled: 1-line block ×4, first 2 shown]
	s_and_saveexec_b64 s[4:5], vcc
	s_cbranch_execz .LBB121_251
; %bb.250:
	v_accvgpr_read_b32 v5, a118
	buffer_load_dword v2, v5, s[0:3], 0 offen
	buffer_load_dword v3, v5, s[0:3], 0 offen offset:4
	buffer_load_dword v4, v5, s[0:3], 0 offen offset:8
	s_nop 0
	buffer_load_dword v5, v5, s[0:3], 0 offen offset:12
	v_accvgpr_read_b32 v6, a173
	buffer_store_dword v1, off, s[0:3], 0 offset:896
	buffer_store_dword v1, off, s[0:3], 0 offset:900
	;; [unrolled: 1-line block ×4, first 2 shown]
	s_waitcnt vmcnt(4)
	ds_write_b128 v6, v[2:5]
.LBB121_251:
	s_or_b64 exec, exec, s[4:5]
	s_waitcnt lgkmcnt(0)
	; wave barrier
	s_waitcnt lgkmcnt(0)
	buffer_load_dword v10, off, s[0:3], 0 offset:920
	buffer_load_dword v11, off, s[0:3], 0 offset:924
	;; [unrolled: 1-line block ×12, first 2 shown]
	ds_read_b128 v[2:5], v1 offset:1824
	ds_read_b128 v[6:9], v1 offset:1840
	v_cmp_lt_u32_e32 vcc, 54, v0
	s_waitcnt vmcnt(10) lgkmcnt(1)
	v_mul_f64 v[22:23], v[2:3], v[10:11]
	v_mul_f64 v[10:11], v[4:5], v[10:11]
	s_waitcnt vmcnt(8) lgkmcnt(0)
	v_mul_f64 v[24:25], v[6:7], v[12:13]
	v_mul_f64 v[12:13], v[8:9], v[12:13]
	s_waitcnt vmcnt(6)
	v_fma_f64 v[2:3], v[2:3], v[14:15], -v[10:11]
	v_fmac_f64_e32 v[22:23], v[4:5], v[14:15]
	s_waitcnt vmcnt(4)
	v_fma_f64 v[4:5], v[6:7], v[16:17], -v[12:13]
	v_add_f64 v[2:3], v[2:3], 0
	v_fmac_f64_e32 v[24:25], v[8:9], v[16:17]
	v_add_f64 v[6:7], v[22:23], 0
	v_add_f64 v[2:3], v[2:3], v[4:5]
	;; [unrolled: 1-line block ×3, first 2 shown]
	s_waitcnt vmcnt(2)
	v_add_f64 v[2:3], v[18:19], -v[2:3]
	s_waitcnt vmcnt(0)
	v_add_f64 v[4:5], v[20:21], -v[6:7]
	buffer_store_dword v2, off, s[0:3], 0 offset:896
	buffer_store_dword v3, off, s[0:3], 0 offset:900
	;; [unrolled: 1-line block ×4, first 2 shown]
	s_and_saveexec_b64 s[4:5], vcc
	s_cbranch_execz .LBB121_253
; %bb.252:
	v_accvgpr_read_b32 v1, a119
	buffer_load_dword v2, v1, s[0:3], 0 offen
	buffer_load_dword v3, v1, s[0:3], 0 offen offset:4
	buffer_load_dword v4, v1, s[0:3], 0 offen offset:8
	;; [unrolled: 1-line block ×3, first 2 shown]
	v_mov_b32_e32 v1, 0
	v_accvgpr_read_b32 v6, a173
	buffer_store_dword v1, off, s[0:3], 0 offset:880
	buffer_store_dword v1, off, s[0:3], 0 offset:884
	;; [unrolled: 1-line block ×4, first 2 shown]
	s_waitcnt vmcnt(4)
	ds_write_b128 v6, v[2:5]
.LBB121_253:
	s_or_b64 exec, exec, s[4:5]
	s_waitcnt lgkmcnt(0)
	; wave barrier
	s_waitcnt lgkmcnt(0)
	buffer_load_dword v14, off, s[0:3], 0 offset:904
	buffer_load_dword v15, off, s[0:3], 0 offset:908
	;; [unrolled: 1-line block ×16, first 2 shown]
	v_mov_b32_e32 v1, 0
	ds_read_b128 v[2:5], v1 offset:1808
	ds_read_b128 v[6:9], v1 offset:1824
	;; [unrolled: 1-line block ×3, first 2 shown]
	v_cmp_lt_u32_e32 vcc, 53, v0
	s_waitcnt vmcnt(14) lgkmcnt(2)
	v_mul_f64 v[30:31], v[2:3], v[14:15]
	v_mul_f64 v[14:15], v[4:5], v[14:15]
	s_waitcnt vmcnt(12) lgkmcnt(1)
	v_mul_f64 v[32:33], v[6:7], v[16:17]
	v_mul_f64 v[16:17], v[8:9], v[16:17]
	;; [unrolled: 3-line block ×3, first 2 shown]
	s_waitcnt vmcnt(8)
	v_fma_f64 v[2:3], v[2:3], v[20:21], -v[14:15]
	v_fmac_f64_e32 v[30:31], v[4:5], v[20:21]
	s_waitcnt vmcnt(6)
	v_fma_f64 v[4:5], v[6:7], v[22:23], -v[16:17]
	v_add_f64 v[2:3], v[2:3], 0
	v_fmac_f64_e32 v[32:33], v[8:9], v[22:23]
	s_waitcnt vmcnt(4)
	v_fma_f64 v[6:7], v[10:11], v[24:25], -v[18:19]
	v_add_f64 v[8:9], v[30:31], 0
	v_add_f64 v[2:3], v[2:3], v[4:5]
	v_fmac_f64_e32 v[34:35], v[12:13], v[24:25]
	v_add_f64 v[8:9], v[8:9], v[32:33]
	v_add_f64 v[2:3], v[2:3], v[6:7]
	v_add_f64 v[4:5], v[8:9], v[34:35]
	s_waitcnt vmcnt(2)
	v_add_f64 v[2:3], v[26:27], -v[2:3]
	s_waitcnt vmcnt(0)
	v_add_f64 v[4:5], v[28:29], -v[4:5]
	buffer_store_dword v2, off, s[0:3], 0 offset:880
	buffer_store_dword v3, off, s[0:3], 0 offset:884
	;; [unrolled: 1-line block ×4, first 2 shown]
	s_and_saveexec_b64 s[4:5], vcc
	s_cbranch_execz .LBB121_255
; %bb.254:
	v_accvgpr_read_b32 v5, a120
	buffer_load_dword v2, v5, s[0:3], 0 offen
	buffer_load_dword v3, v5, s[0:3], 0 offen offset:4
	buffer_load_dword v4, v5, s[0:3], 0 offen offset:8
	s_nop 0
	buffer_load_dword v5, v5, s[0:3], 0 offen offset:12
	v_accvgpr_read_b32 v6, a173
	buffer_store_dword v1, off, s[0:3], 0 offset:864
	buffer_store_dword v1, off, s[0:3], 0 offset:868
	;; [unrolled: 1-line block ×4, first 2 shown]
	s_waitcnt vmcnt(4)
	ds_write_b128 v6, v[2:5]
.LBB121_255:
	s_or_b64 exec, exec, s[4:5]
	s_waitcnt lgkmcnt(0)
	; wave barrier
	s_waitcnt lgkmcnt(0)
	buffer_load_dword v18, off, s[0:3], 0 offset:888
	buffer_load_dword v19, off, s[0:3], 0 offset:892
	;; [unrolled: 1-line block ×20, first 2 shown]
	ds_read_b128 v[2:5], v1 offset:1792
	ds_read_b128 v[6:9], v1 offset:1808
	;; [unrolled: 1-line block ×4, first 2 shown]
	v_cmp_lt_u32_e32 vcc, 52, v0
	s_waitcnt vmcnt(18) lgkmcnt(3)
	v_mul_f64 v[38:39], v[2:3], v[18:19]
	v_mul_f64 v[18:19], v[4:5], v[18:19]
	s_waitcnt vmcnt(16) lgkmcnt(2)
	v_mul_f64 v[40:41], v[6:7], v[20:21]
	v_mul_f64 v[20:21], v[8:9], v[20:21]
	;; [unrolled: 3-line block ×4, first 2 shown]
	s_waitcnt vmcnt(10)
	v_fma_f64 v[2:3], v[2:3], v[26:27], -v[18:19]
	v_fmac_f64_e32 v[38:39], v[4:5], v[26:27]
	s_waitcnt vmcnt(8)
	v_fma_f64 v[4:5], v[6:7], v[28:29], -v[20:21]
	v_add_f64 v[2:3], v[2:3], 0
	v_fmac_f64_e32 v[40:41], v[8:9], v[28:29]
	s_waitcnt vmcnt(6)
	v_fma_f64 v[6:7], v[10:11], v[30:31], -v[22:23]
	v_add_f64 v[10:11], v[38:39], 0
	v_add_f64 v[2:3], v[2:3], v[4:5]
	v_fmac_f64_e32 v[42:43], v[12:13], v[30:31]
	s_waitcnt vmcnt(4)
	v_fma_f64 v[8:9], v[14:15], v[32:33], -v[24:25]
	v_add_f64 v[10:11], v[10:11], v[40:41]
	v_add_f64 v[2:3], v[2:3], v[6:7]
	v_fmac_f64_e32 v[44:45], v[16:17], v[32:33]
	v_add_f64 v[4:5], v[10:11], v[42:43]
	v_add_f64 v[2:3], v[2:3], v[8:9]
	;; [unrolled: 1-line block ×3, first 2 shown]
	s_waitcnt vmcnt(2)
	v_add_f64 v[2:3], v[34:35], -v[2:3]
	s_waitcnt vmcnt(0)
	v_add_f64 v[4:5], v[36:37], -v[4:5]
	buffer_store_dword v2, off, s[0:3], 0 offset:864
	buffer_store_dword v3, off, s[0:3], 0 offset:868
	;; [unrolled: 1-line block ×4, first 2 shown]
	s_and_saveexec_b64 s[4:5], vcc
	s_cbranch_execz .LBB121_257
; %bb.256:
	v_accvgpr_read_b32 v1, a121
	buffer_load_dword v2, v1, s[0:3], 0 offen
	buffer_load_dword v3, v1, s[0:3], 0 offen offset:4
	buffer_load_dword v4, v1, s[0:3], 0 offen offset:8
	;; [unrolled: 1-line block ×3, first 2 shown]
	v_mov_b32_e32 v1, 0
	v_accvgpr_read_b32 v6, a173
	buffer_store_dword v1, off, s[0:3], 0 offset:848
	buffer_store_dword v1, off, s[0:3], 0 offset:852
	;; [unrolled: 1-line block ×4, first 2 shown]
	s_waitcnt vmcnt(4)
	ds_write_b128 v6, v[2:5]
.LBB121_257:
	s_or_b64 exec, exec, s[4:5]
	s_waitcnt lgkmcnt(0)
	; wave barrier
	s_waitcnt lgkmcnt(0)
	buffer_load_dword v22, off, s[0:3], 0 offset:872
	buffer_load_dword v23, off, s[0:3], 0 offset:876
	;; [unrolled: 1-line block ×24, first 2 shown]
	v_mov_b32_e32 v1, 0
	ds_read_b128 v[2:5], v1 offset:1776
	ds_read_b128 v[6:9], v1 offset:1792
	;; [unrolled: 1-line block ×5, first 2 shown]
	v_cmp_lt_u32_e32 vcc, 51, v0
	s_waitcnt vmcnt(22) lgkmcnt(4)
	v_mul_f64 v[46:47], v[2:3], v[22:23]
	v_mul_f64 v[22:23], v[4:5], v[22:23]
	s_waitcnt vmcnt(20) lgkmcnt(3)
	v_mul_f64 v[48:49], v[6:7], v[24:25]
	v_mul_f64 v[24:25], v[8:9], v[24:25]
	;; [unrolled: 3-line block ×4, first 2 shown]
	s_waitcnt vmcnt(13) lgkmcnt(0)
	v_mul_f64 v[54:55], v[18:19], v[28:29]
	s_waitcnt vmcnt(11)
	v_fma_f64 v[2:3], v[2:3], v[34:35], -v[22:23]
	v_fmac_f64_e32 v[46:47], v[4:5], v[34:35]
	s_waitcnt vmcnt(9)
	v_fma_f64 v[4:5], v[6:7], v[36:37], -v[24:25]
	v_add_f64 v[2:3], v[2:3], 0
	v_fmac_f64_e32 v[48:49], v[8:9], v[36:37]
	s_waitcnt vmcnt(7)
	v_fmac_f64_e32 v[50:51], v[12:13], v[38:39]
	v_fma_f64 v[6:7], v[10:11], v[38:39], -v[26:27]
	v_add_f64 v[12:13], v[46:47], 0
	v_add_f64 v[2:3], v[2:3], v[4:5]
	v_mul_f64 v[28:29], v[20:21], v[28:29]
	s_waitcnt vmcnt(5)
	v_fma_f64 v[8:9], v[14:15], v[40:41], -v[32:33]
	v_add_f64 v[12:13], v[12:13], v[48:49]
	v_add_f64 v[2:3], v[2:3], v[6:7]
	v_fmac_f64_e32 v[52:53], v[16:17], v[40:41]
	s_waitcnt vmcnt(4)
	v_fma_f64 v[10:11], v[18:19], v[30:31], -v[28:29]
	v_add_f64 v[4:5], v[12:13], v[50:51]
	v_add_f64 v[2:3], v[2:3], v[8:9]
	v_fmac_f64_e32 v[54:55], v[20:21], v[30:31]
	v_add_f64 v[4:5], v[4:5], v[52:53]
	v_add_f64 v[2:3], v[2:3], v[10:11]
	;; [unrolled: 1-line block ×3, first 2 shown]
	s_waitcnt vmcnt(2)
	v_add_f64 v[2:3], v[42:43], -v[2:3]
	s_waitcnt vmcnt(0)
	v_add_f64 v[4:5], v[44:45], -v[4:5]
	buffer_store_dword v3, off, s[0:3], 0 offset:852
	buffer_store_dword v2, off, s[0:3], 0 offset:848
	;; [unrolled: 1-line block ×4, first 2 shown]
	s_and_saveexec_b64 s[4:5], vcc
	s_cbranch_execz .LBB121_259
; %bb.258:
	v_accvgpr_read_b32 v5, a122
	buffer_load_dword v2, v5, s[0:3], 0 offen
	buffer_load_dword v3, v5, s[0:3], 0 offen offset:4
	buffer_load_dword v4, v5, s[0:3], 0 offen offset:8
	s_nop 0
	buffer_load_dword v5, v5, s[0:3], 0 offen offset:12
	v_accvgpr_read_b32 v6, a173
	buffer_store_dword v1, off, s[0:3], 0 offset:832
	buffer_store_dword v1, off, s[0:3], 0 offset:836
	;; [unrolled: 1-line block ×4, first 2 shown]
	s_waitcnt vmcnt(4)
	ds_write_b128 v6, v[2:5]
.LBB121_259:
	s_or_b64 exec, exec, s[4:5]
	s_waitcnt lgkmcnt(0)
	; wave barrier
	s_waitcnt lgkmcnt(0)
	buffer_load_dword v26, off, s[0:3], 0 offset:856
	buffer_load_dword v27, off, s[0:3], 0 offset:860
	;; [unrolled: 1-line block ×28, first 2 shown]
	ds_read_b128 v[2:5], v1 offset:1760
	ds_read_b128 v[6:9], v1 offset:1776
	;; [unrolled: 1-line block ×6, first 2 shown]
	v_cmp_lt_u32_e32 vcc, 50, v0
	s_waitcnt vmcnt(26) lgkmcnt(5)
	v_mul_f64 v[54:55], v[2:3], v[26:27]
	v_mul_f64 v[26:27], v[4:5], v[26:27]
	s_waitcnt vmcnt(24) lgkmcnt(4)
	v_mul_f64 v[56:57], v[6:7], v[28:29]
	v_mul_f64 v[28:29], v[8:9], v[28:29]
	;; [unrolled: 3-line block ×4, first 2 shown]
	s_waitcnt vmcnt(17)
	v_mul_f64 v[60:61], v[14:15], v[36:37]
	v_mul_f64 v[36:37], v[16:17], v[36:37]
	s_waitcnt vmcnt(15) lgkmcnt(0)
	v_mul_f64 v[64:65], v[22:23], v[38:39]
	v_mul_f64 v[38:39], v[24:25], v[38:39]
	s_waitcnt vmcnt(14)
	v_fmac_f64_e32 v[62:63], v[20:21], v[34:35]
	s_waitcnt vmcnt(12)
	v_fma_f64 v[2:3], v[2:3], v[40:41], -v[26:27]
	v_fmac_f64_e32 v[54:55], v[4:5], v[40:41]
	s_waitcnt vmcnt(10)
	v_fma_f64 v[4:5], v[6:7], v[42:43], -v[28:29]
	v_add_f64 v[2:3], v[2:3], 0
	v_fmac_f64_e32 v[56:57], v[8:9], v[42:43]
	s_waitcnt vmcnt(8)
	v_fma_f64 v[6:7], v[10:11], v[44:45], -v[30:31]
	s_waitcnt vmcnt(6)
	v_fma_f64 v[8:9], v[14:15], v[46:47], -v[36:37]
	v_add_f64 v[14:15], v[54:55], 0
	v_add_f64 v[2:3], v[2:3], v[4:5]
	v_fmac_f64_e32 v[58:59], v[12:13], v[44:45]
	v_add_f64 v[14:15], v[14:15], v[56:57]
	v_add_f64 v[2:3], v[2:3], v[6:7]
	v_fmac_f64_e32 v[60:61], v[16:17], v[46:47]
	v_fma_f64 v[10:11], v[18:19], v[34:35], -v[32:33]
	v_add_f64 v[4:5], v[14:15], v[58:59]
	v_add_f64 v[2:3], v[2:3], v[8:9]
	s_waitcnt vmcnt(4)
	v_fma_f64 v[12:13], v[22:23], v[48:49], -v[38:39]
	v_add_f64 v[4:5], v[4:5], v[60:61]
	v_add_f64 v[2:3], v[2:3], v[10:11]
	v_fmac_f64_e32 v[64:65], v[24:25], v[48:49]
	v_add_f64 v[4:5], v[4:5], v[62:63]
	v_add_f64 v[2:3], v[2:3], v[12:13]
	;; [unrolled: 1-line block ×3, first 2 shown]
	s_waitcnt vmcnt(2)
	v_add_f64 v[2:3], v[50:51], -v[2:3]
	s_waitcnt vmcnt(0)
	v_add_f64 v[4:5], v[52:53], -v[4:5]
	buffer_store_dword v3, off, s[0:3], 0 offset:836
	buffer_store_dword v2, off, s[0:3], 0 offset:832
	;; [unrolled: 1-line block ×4, first 2 shown]
	s_and_saveexec_b64 s[4:5], vcc
	s_cbranch_execz .LBB121_261
; %bb.260:
	v_accvgpr_read_b32 v1, a123
	buffer_load_dword v2, v1, s[0:3], 0 offen
	buffer_load_dword v3, v1, s[0:3], 0 offen offset:4
	buffer_load_dword v4, v1, s[0:3], 0 offen offset:8
	;; [unrolled: 1-line block ×3, first 2 shown]
	v_mov_b32_e32 v1, 0
	v_accvgpr_read_b32 v6, a173
	buffer_store_dword v1, off, s[0:3], 0 offset:816
	buffer_store_dword v1, off, s[0:3], 0 offset:820
	buffer_store_dword v1, off, s[0:3], 0 offset:824
	buffer_store_dword v1, off, s[0:3], 0 offset:828
	s_waitcnt vmcnt(4)
	ds_write_b128 v6, v[2:5]
.LBB121_261:
	s_or_b64 exec, exec, s[4:5]
	s_waitcnt lgkmcnt(0)
	; wave barrier
	s_waitcnt lgkmcnt(0)
	buffer_load_dword v30, off, s[0:3], 0 offset:840
	buffer_load_dword v31, off, s[0:3], 0 offset:844
	;; [unrolled: 1-line block ×32, first 2 shown]
	v_mov_b32_e32 v1, 0
	ds_read_b128 v[2:5], v1 offset:1744
	ds_read_b128 v[6:9], v1 offset:1760
	;; [unrolled: 1-line block ×7, first 2 shown]
	v_cmp_lt_u32_e32 vcc, 49, v0
	s_waitcnt vmcnt(30) lgkmcnt(6)
	v_mul_f64 v[62:63], v[2:3], v[30:31]
	v_mul_f64 v[30:31], v[4:5], v[30:31]
	s_waitcnt vmcnt(28) lgkmcnt(5)
	v_mul_f64 v[64:65], v[6:7], v[32:33]
	v_mul_f64 v[32:33], v[8:9], v[32:33]
	;; [unrolled: 3-line block ×4, first 2 shown]
	s_waitcnt vmcnt(21)
	v_mul_f64 v[68:69], v[14:15], v[40:41]
	v_mul_f64 v[40:41], v[16:17], v[40:41]
	s_waitcnt vmcnt(17) lgkmcnt(1)
	v_mul_f64 v[72:73], v[22:23], v[46:47]
	v_mul_f64 v[46:47], v[24:25], v[46:47]
	s_waitcnt vmcnt(16) lgkmcnt(0)
	v_mul_f64 v[74:75], v[26:27], v[42:43]
	v_mul_f64 v[42:43], v[28:29], v[42:43]
	s_waitcnt vmcnt(13)
	v_fma_f64 v[2:3], v[2:3], v[48:49], -v[30:31]
	v_fmac_f64_e32 v[62:63], v[4:5], v[48:49]
	s_waitcnt vmcnt(11)
	v_fma_f64 v[4:5], v[6:7], v[50:51], -v[32:33]
	v_add_f64 v[2:3], v[2:3], 0
	v_fmac_f64_e32 v[64:65], v[8:9], v[50:51]
	s_waitcnt vmcnt(9)
	v_fma_f64 v[6:7], v[10:11], v[52:53], -v[34:35]
	s_waitcnt vmcnt(7)
	v_fmac_f64_e32 v[68:69], v[16:17], v[54:55]
	v_add_f64 v[16:17], v[62:63], 0
	v_add_f64 v[2:3], v[2:3], v[4:5]
	v_fmac_f64_e32 v[66:67], v[12:13], v[52:53]
	v_fma_f64 v[8:9], v[14:15], v[54:55], -v[40:41]
	v_add_f64 v[16:17], v[16:17], v[64:65]
	v_add_f64 v[2:3], v[2:3], v[6:7]
	v_fma_f64 v[10:11], v[18:19], v[38:39], -v[36:37]
	v_add_f64 v[4:5], v[16:17], v[66:67]
	v_add_f64 v[2:3], v[2:3], v[8:9]
	v_fmac_f64_e32 v[70:71], v[20:21], v[38:39]
	s_waitcnt vmcnt(5)
	v_fma_f64 v[12:13], v[22:23], v[56:57], -v[46:47]
	v_add_f64 v[4:5], v[4:5], v[68:69]
	v_add_f64 v[2:3], v[2:3], v[10:11]
	v_fmac_f64_e32 v[72:73], v[24:25], v[56:57]
	s_waitcnt vmcnt(4)
	v_fma_f64 v[14:15], v[26:27], v[44:45], -v[42:43]
	v_add_f64 v[4:5], v[4:5], v[70:71]
	v_add_f64 v[2:3], v[2:3], v[12:13]
	v_fmac_f64_e32 v[74:75], v[28:29], v[44:45]
	v_add_f64 v[4:5], v[4:5], v[72:73]
	v_add_f64 v[2:3], v[2:3], v[14:15]
	;; [unrolled: 1-line block ×3, first 2 shown]
	s_waitcnt vmcnt(2)
	v_add_f64 v[2:3], v[58:59], -v[2:3]
	s_waitcnt vmcnt(0)
	v_add_f64 v[4:5], v[60:61], -v[4:5]
	buffer_store_dword v3, off, s[0:3], 0 offset:820
	buffer_store_dword v2, off, s[0:3], 0 offset:816
	;; [unrolled: 1-line block ×4, first 2 shown]
	s_and_saveexec_b64 s[4:5], vcc
	s_cbranch_execz .LBB121_263
; %bb.262:
	v_accvgpr_read_b32 v5, a124
	buffer_load_dword v2, v5, s[0:3], 0 offen
	buffer_load_dword v3, v5, s[0:3], 0 offen offset:4
	buffer_load_dword v4, v5, s[0:3], 0 offen offset:8
	s_nop 0
	buffer_load_dword v5, v5, s[0:3], 0 offen offset:12
	v_accvgpr_read_b32 v6, a173
	buffer_store_dword v1, off, s[0:3], 0 offset:800
	buffer_store_dword v1, off, s[0:3], 0 offset:804
	;; [unrolled: 1-line block ×4, first 2 shown]
	s_waitcnt vmcnt(4)
	ds_write_b128 v6, v[2:5]
.LBB121_263:
	s_or_b64 exec, exec, s[4:5]
	s_waitcnt lgkmcnt(0)
	; wave barrier
	s_waitcnt lgkmcnt(0)
	ds_read_b128 v[14:17], v1 offset:1728
	ds_read_b128 v[10:13], v1 offset:1744
	;; [unrolled: 1-line block ×4, first 2 shown]
	buffer_load_dword v36, off, s[0:3], 0 offset:800
	buffer_load_dword v37, off, s[0:3], 0 offset:804
	;; [unrolled: 1-line block ×20, first 2 shown]
	v_cmp_lt_u32_e32 vcc, 48, v0
	s_waitcnt vmcnt(12) lgkmcnt(3)
	v_mul_f64 v[18:19], v[14:15], v[44:45]
	v_fmac_f64_e32 v[18:19], v[16:17], v[38:39]
	v_add_f64 v[18:19], v[18:19], 0
	v_mul_f64 v[16:17], v[16:17], v[44:45]
	s_waitcnt vmcnt(8) lgkmcnt(2)
	v_mul_f64 v[20:21], v[10:11], v[46:47]
	v_fmac_f64_e32 v[20:21], v[12:13], v[40:41]
	v_add_f64 v[18:19], v[18:19], v[20:21]
	v_fma_f64 v[14:15], v[14:15], v[38:39], -v[16:17]
	s_waitcnt vmcnt(4) lgkmcnt(1)
	v_mul_f64 v[20:21], v[6:7], v[50:51]
	v_fmac_f64_e32 v[20:21], v[8:9], v[42:43]
	v_add_f64 v[18:19], v[18:19], v[20:21]
	s_waitcnt vmcnt(0) lgkmcnt(0)
	v_mul_f64 v[20:21], v[2:3], v[54:55]
	v_fmac_f64_e32 v[20:21], v[4:5], v[52:53]
	v_add_f64 v[22:23], v[18:19], v[20:21]
	ds_read_b128 v[18:21], v1 offset:1792
	buffer_load_dword v49, off, s[0:3], 0 offset:884
	buffer_load_dword v48, off, s[0:3], 0 offset:880
	;; [unrolled: 1-line block ×4, first 2 shown]
	ds_read_b128 v[30:33], v1 offset:1808
	buffer_load_dword v61, off, s[0:3], 0 offset:900
	buffer_load_dword v60, off, s[0:3], 0 offset:896
	;; [unrolled: 1-line block ×4, first 2 shown]
	v_mul_f64 v[12:13], v[12:13], v[46:47]
	v_add_f64 v[14:15], v[14:15], 0
	v_fma_f64 v[10:11], v[10:11], v[40:41], -v[12:13]
	v_mul_f64 v[8:9], v[8:9], v[50:51]
	v_add_f64 v[10:11], v[14:15], v[10:11]
	v_fma_f64 v[6:7], v[6:7], v[42:43], -v[8:9]
	;; [unrolled: 3-line block ×3, first 2 shown]
	v_add_f64 v[2:3], v[6:7], v[2:3]
	s_waitcnt vmcnt(4) lgkmcnt(1)
	v_mul_f64 v[24:25], v[18:19], v[64:65]
	v_fmac_f64_e32 v[24:25], v[20:21], v[48:49]
	v_add_f64 v[22:23], v[22:23], v[24:25]
	s_waitcnt vmcnt(0) lgkmcnt(0)
	v_mul_f64 v[24:25], v[30:31], v[62:63]
	v_fmac_f64_e32 v[24:25], v[32:33], v[60:61]
	v_add_f64 v[26:27], v[22:23], v[24:25]
	ds_read_b128 v[22:25], v1 offset:1824
	buffer_load_dword v57, off, s[0:3], 0 offset:916
	buffer_load_dword v56, off, s[0:3], 0 offset:912
	;; [unrolled: 1-line block ×4, first 2 shown]
	v_mul_f64 v[4:5], v[20:21], v[64:65]
	v_fma_f64 v[4:5], v[18:19], v[48:49], -v[4:5]
	v_add_f64 v[2:3], v[2:3], v[4:5]
	v_mul_f64 v[4:5], v[32:33], v[62:63]
	v_fma_f64 v[4:5], v[30:31], v[60:61], -v[4:5]
	v_add_f64 v[2:3], v[2:3], v[4:5]
	s_waitcnt vmcnt(0) lgkmcnt(0)
	v_mul_f64 v[28:29], v[22:23], v[66:67]
	v_fmac_f64_e32 v[28:29], v[24:25], v[56:57]
	v_add_f64 v[68:69], v[26:27], v[28:29]
	ds_read_b128 v[26:29], v1 offset:1840
	buffer_load_dword v59, off, s[0:3], 0 offset:932
	buffer_load_dword v58, off, s[0:3], 0 offset:928
	;; [unrolled: 1-line block ×4, first 2 shown]
	v_mul_f64 v[4:5], v[24:25], v[66:67]
	v_fma_f64 v[4:5], v[22:23], v[56:57], -v[4:5]
	v_add_f64 v[2:3], v[2:3], v[4:5]
	s_waitcnt vmcnt(0) lgkmcnt(0)
	v_mul_f64 v[4:5], v[28:29], v[70:71]
	v_mul_f64 v[72:73], v[26:27], v[70:71]
	v_fma_f64 v[4:5], v[26:27], v[58:59], -v[4:5]
	v_fmac_f64_e32 v[72:73], v[28:29], v[58:59]
	v_add_f64 v[2:3], v[2:3], v[4:5]
	v_add_f64 v[68:69], v[68:69], v[72:73]
	v_add_f64 v[2:3], v[36:37], -v[2:3]
	v_add_f64 v[4:5], v[34:35], -v[68:69]
	buffer_store_dword v3, off, s[0:3], 0 offset:804
	buffer_store_dword v2, off, s[0:3], 0 offset:800
	;; [unrolled: 1-line block ×4, first 2 shown]
	s_and_saveexec_b64 s[4:5], vcc
	s_cbranch_execz .LBB121_265
; %bb.264:
	v_accvgpr_read_b32 v1, a125
	buffer_load_dword v2, v1, s[0:3], 0 offen
	buffer_load_dword v3, v1, s[0:3], 0 offen offset:4
	buffer_load_dword v4, v1, s[0:3], 0 offen offset:8
	;; [unrolled: 1-line block ×3, first 2 shown]
	v_mov_b32_e32 v1, 0
	v_accvgpr_read_b32 v6, a173
	buffer_store_dword v1, off, s[0:3], 0 offset:784
	buffer_store_dword v1, off, s[0:3], 0 offset:788
	;; [unrolled: 1-line block ×4, first 2 shown]
	s_waitcnt vmcnt(4)
	ds_write_b128 v6, v[2:5]
.LBB121_265:
	s_or_b64 exec, exec, s[4:5]
	v_mov_b32_e32 v1, 0
	s_waitcnt lgkmcnt(0)
	; wave barrier
	s_waitcnt lgkmcnt(0)
	ds_read_b128 v[18:21], v1 offset:1712
	ds_read_b128 v[14:17], v1 offset:1728
	;; [unrolled: 1-line block ×4, first 2 shown]
	buffer_load_dword v40, off, s[0:3], 0 offset:784
	buffer_load_dword v41, off, s[0:3], 0 offset:788
	;; [unrolled: 1-line block ×20, first 2 shown]
	v_cmp_lt_u32_e32 vcc, 47, v0
	s_waitcnt vmcnt(12) lgkmcnt(3)
	v_mul_f64 v[6:7], v[18:19], v[56:57]
	v_fmac_f64_e32 v[6:7], v[20:21], v[44:45]
	v_add_f64 v[6:7], v[6:7], 0
	v_mul_f64 v[20:21], v[20:21], v[56:57]
	s_waitcnt vmcnt(8) lgkmcnt(2)
	v_mul_f64 v[8:9], v[14:15], v[54:55]
	v_fmac_f64_e32 v[8:9], v[16:17], v[50:51]
	v_add_f64 v[6:7], v[6:7], v[8:9]
	v_fma_f64 v[18:19], v[18:19], v[44:45], -v[20:21]
	s_waitcnt vmcnt(4) lgkmcnt(1)
	v_mul_f64 v[8:9], v[10:11], v[52:53]
	v_fmac_f64_e32 v[8:9], v[12:13], v[48:49]
	v_add_f64 v[6:7], v[6:7], v[8:9]
	s_waitcnt vmcnt(0) lgkmcnt(0)
	v_mul_f64 v[8:9], v[2:3], v[58:59]
	v_fmac_f64_e32 v[8:9], v[4:5], v[46:47]
	v_add_f64 v[22:23], v[6:7], v[8:9]
	ds_read_b128 v[6:9], v1 offset:1776
	buffer_load_dword v43, off, s[0:3], 0 offset:868
	buffer_load_dword v42, off, s[0:3], 0 offset:864
	;; [unrolled: 1-line block ×4, first 2 shown]
	v_mul_f64 v[16:17], v[16:17], v[54:55]
	v_add_f64 v[18:19], v[18:19], 0
	v_fma_f64 v[14:15], v[14:15], v[50:51], -v[16:17]
	v_mul_f64 v[12:13], v[12:13], v[52:53]
	v_add_f64 v[14:15], v[18:19], v[14:15]
	v_fma_f64 v[10:11], v[10:11], v[48:49], -v[12:13]
	;; [unrolled: 3-line block ×3, first 2 shown]
	v_add_f64 v[2:3], v[10:11], v[2:3]
	s_waitcnt vmcnt(0) lgkmcnt(0)
	v_mul_f64 v[24:25], v[6:7], v[60:61]
	v_fmac_f64_e32 v[24:25], v[8:9], v[42:43]
	v_add_f64 v[26:27], v[22:23], v[24:25]
	ds_read_b128 v[22:25], v1 offset:1792
	buffer_load_dword v63, off, s[0:3], 0 offset:884
	buffer_load_dword v62, off, s[0:3], 0 offset:880
	buffer_load_dword v65, off, s[0:3], 0 offset:892
	buffer_load_dword v64, off, s[0:3], 0 offset:888
	v_mul_f64 v[4:5], v[8:9], v[60:61]
	v_fma_f64 v[4:5], v[6:7], v[42:43], -v[4:5]
	v_add_f64 v[2:3], v[2:3], v[4:5]
	s_waitcnt vmcnt(0) lgkmcnt(0)
	v_mul_f64 v[28:29], v[22:23], v[64:65]
	v_fmac_f64_e32 v[28:29], v[24:25], v[62:63]
	v_add_f64 v[30:31], v[26:27], v[28:29]
	ds_read_b128 v[26:29], v1 offset:1808
	buffer_load_dword v67, off, s[0:3], 0 offset:900
	buffer_load_dword v66, off, s[0:3], 0 offset:896
	buffer_load_dword v69, off, s[0:3], 0 offset:908
	buffer_load_dword v68, off, s[0:3], 0 offset:904
	v_mul_f64 v[4:5], v[24:25], v[64:65]
	v_fma_f64 v[4:5], v[22:23], v[62:63], -v[4:5]
	;; [unrolled: 12-line block ×4, first 2 shown]
	v_add_f64 v[2:3], v[2:3], v[4:5]
	s_waitcnt vmcnt(0) lgkmcnt(0)
	v_mul_f64 v[4:5], v[36:37], v[76:77]
	v_mul_f64 v[80:81], v[34:35], v[76:77]
	v_fma_f64 v[4:5], v[34:35], v[74:75], -v[4:5]
	v_fmac_f64_e32 v[80:81], v[36:37], v[74:75]
	v_add_f64 v[2:3], v[2:3], v[4:5]
	v_add_f64 v[78:79], v[78:79], v[80:81]
	v_add_f64 v[2:3], v[40:41], -v[2:3]
	v_add_f64 v[4:5], v[38:39], -v[78:79]
	buffer_store_dword v3, off, s[0:3], 0 offset:788
	buffer_store_dword v2, off, s[0:3], 0 offset:784
	;; [unrolled: 1-line block ×4, first 2 shown]
	s_and_saveexec_b64 s[4:5], vcc
	s_cbranch_execz .LBB121_267
; %bb.266:
	v_accvgpr_read_b32 v5, a126
	buffer_load_dword v2, v5, s[0:3], 0 offen
	buffer_load_dword v3, v5, s[0:3], 0 offen offset:4
	buffer_load_dword v4, v5, s[0:3], 0 offen offset:8
	s_nop 0
	buffer_load_dword v5, v5, s[0:3], 0 offen offset:12
	v_accvgpr_read_b32 v6, a173
	buffer_store_dword v1, off, s[0:3], 0 offset:768
	buffer_store_dword v1, off, s[0:3], 0 offset:772
	;; [unrolled: 1-line block ×4, first 2 shown]
	s_waitcnt vmcnt(4)
	ds_write_b128 v6, v[2:5]
.LBB121_267:
	s_or_b64 exec, exec, s[4:5]
	s_waitcnt lgkmcnt(0)
	; wave barrier
	s_waitcnt lgkmcnt(0)
	ds_read_b128 v[18:21], v1 offset:1696
	ds_read_b128 v[10:13], v1 offset:1712
	;; [unrolled: 1-line block ×4, first 2 shown]
	buffer_load_dword v44, off, s[0:3], 0 offset:768
	buffer_load_dword v45, off, s[0:3], 0 offset:772
	;; [unrolled: 1-line block ×20, first 2 shown]
	v_cmp_lt_u32_e32 vcc, 46, v0
	s_waitcnt vmcnt(12) lgkmcnt(3)
	v_mul_f64 v[14:15], v[18:19], v[62:63]
	v_fmac_f64_e32 v[14:15], v[20:21], v[58:59]
	v_add_f64 v[14:15], v[14:15], 0
	v_mul_f64 v[20:21], v[20:21], v[62:63]
	s_waitcnt vmcnt(8) lgkmcnt(2)
	v_mul_f64 v[16:17], v[10:11], v[60:61]
	v_fmac_f64_e32 v[16:17], v[12:13], v[56:57]
	v_add_f64 v[14:15], v[14:15], v[16:17]
	v_fma_f64 v[18:19], v[18:19], v[58:59], -v[20:21]
	s_waitcnt vmcnt(4) lgkmcnt(1)
	v_mul_f64 v[16:17], v[6:7], v[48:49]
	v_fmac_f64_e32 v[16:17], v[8:9], v[46:47]
	v_add_f64 v[14:15], v[14:15], v[16:17]
	s_waitcnt vmcnt(0) lgkmcnt(0)
	v_mul_f64 v[16:17], v[2:3], v[52:53]
	v_fmac_f64_e32 v[16:17], v[4:5], v[50:51]
	v_add_f64 v[22:23], v[14:15], v[16:17]
	ds_read_b128 v[14:17], v1 offset:1760
	buffer_load_dword v55, off, s[0:3], 0 offset:852
	buffer_load_dword v54, off, s[0:3], 0 offset:848
	;; [unrolled: 1-line block ×4, first 2 shown]
	v_mul_f64 v[12:13], v[12:13], v[60:61]
	v_add_f64 v[18:19], v[18:19], 0
	v_fma_f64 v[10:11], v[10:11], v[56:57], -v[12:13]
	v_mul_f64 v[8:9], v[8:9], v[48:49]
	v_add_f64 v[10:11], v[18:19], v[10:11]
	v_fma_f64 v[6:7], v[6:7], v[46:47], -v[8:9]
	;; [unrolled: 3-line block ×3, first 2 shown]
	v_add_f64 v[2:3], v[6:7], v[2:3]
	s_waitcnt vmcnt(0) lgkmcnt(0)
	v_mul_f64 v[24:25], v[14:15], v[64:65]
	v_fmac_f64_e32 v[24:25], v[16:17], v[54:55]
	v_add_f64 v[26:27], v[22:23], v[24:25]
	ds_read_b128 v[22:25], v1 offset:1776
	buffer_load_dword v67, off, s[0:3], 0 offset:868
	buffer_load_dword v66, off, s[0:3], 0 offset:864
	buffer_load_dword v69, off, s[0:3], 0 offset:876
	buffer_load_dword v68, off, s[0:3], 0 offset:872
	v_mul_f64 v[4:5], v[16:17], v[64:65]
	v_fma_f64 v[4:5], v[14:15], v[54:55], -v[4:5]
	v_add_f64 v[2:3], v[2:3], v[4:5]
	s_waitcnt vmcnt(0) lgkmcnt(0)
	v_mul_f64 v[28:29], v[22:23], v[68:69]
	v_fmac_f64_e32 v[28:29], v[24:25], v[66:67]
	v_add_f64 v[30:31], v[26:27], v[28:29]
	ds_read_b128 v[26:29], v1 offset:1792
	buffer_load_dword v71, off, s[0:3], 0 offset:884
	buffer_load_dword v70, off, s[0:3], 0 offset:880
	buffer_load_dword v73, off, s[0:3], 0 offset:892
	buffer_load_dword v72, off, s[0:3], 0 offset:888
	v_mul_f64 v[4:5], v[24:25], v[68:69]
	v_fma_f64 v[4:5], v[22:23], v[66:67], -v[4:5]
	;; [unrolled: 12-line block ×5, first 2 shown]
	v_add_f64 v[2:3], v[2:3], v[4:5]
	s_waitcnt vmcnt(0) lgkmcnt(0)
	v_mul_f64 v[4:5], v[40:41], v[86:87]
	v_mul_f64 v[88:89], v[38:39], v[86:87]
	v_fma_f64 v[4:5], v[38:39], v[82:83], -v[4:5]
	v_fmac_f64_e32 v[88:89], v[40:41], v[82:83]
	v_add_f64 v[2:3], v[2:3], v[4:5]
	v_add_f64 v[84:85], v[84:85], v[88:89]
	v_add_f64 v[2:3], v[44:45], -v[2:3]
	v_add_f64 v[4:5], v[42:43], -v[84:85]
	buffer_store_dword v3, off, s[0:3], 0 offset:772
	buffer_store_dword v2, off, s[0:3], 0 offset:768
	;; [unrolled: 1-line block ×4, first 2 shown]
	s_and_saveexec_b64 s[4:5], vcc
	s_cbranch_execz .LBB121_269
; %bb.268:
	v_accvgpr_read_b32 v1, a127
	buffer_load_dword v2, v1, s[0:3], 0 offen
	buffer_load_dword v3, v1, s[0:3], 0 offen offset:4
	buffer_load_dword v4, v1, s[0:3], 0 offen offset:8
	;; [unrolled: 1-line block ×3, first 2 shown]
	v_mov_b32_e32 v1, 0
	v_accvgpr_read_b32 v6, a173
	buffer_store_dword v1, off, s[0:3], 0 offset:752
	buffer_store_dword v1, off, s[0:3], 0 offset:756
	;; [unrolled: 1-line block ×4, first 2 shown]
	s_waitcnt vmcnt(4)
	ds_write_b128 v6, v[2:5]
.LBB121_269:
	s_or_b64 exec, exec, s[4:5]
	v_mov_b32_e32 v1, 0
	s_waitcnt lgkmcnt(0)
	; wave barrier
	s_waitcnt lgkmcnt(0)
	ds_read_b128 v[14:17], v1 offset:1680
	ds_read_b128 v[10:13], v1 offset:1696
	;; [unrolled: 1-line block ×4, first 2 shown]
	buffer_load_dword v48, off, s[0:3], 0 offset:752
	buffer_load_dword v49, off, s[0:3], 0 offset:756
	;; [unrolled: 1-line block ×20, first 2 shown]
	v_cmp_lt_u32_e32 vcc, 45, v0
	s_waitcnt vmcnt(12) lgkmcnt(3)
	v_mul_f64 v[18:19], v[14:15], v[56:57]
	v_fmac_f64_e32 v[18:19], v[16:17], v[50:51]
	v_add_f64 v[18:19], v[18:19], 0
	v_mul_f64 v[16:17], v[16:17], v[56:57]
	s_waitcnt vmcnt(8) lgkmcnt(2)
	v_mul_f64 v[20:21], v[10:11], v[58:59]
	v_fmac_f64_e32 v[20:21], v[12:13], v[52:53]
	v_add_f64 v[18:19], v[18:19], v[20:21]
	v_fma_f64 v[14:15], v[14:15], v[50:51], -v[16:17]
	s_waitcnt vmcnt(4) lgkmcnt(1)
	v_mul_f64 v[20:21], v[6:7], v[60:61]
	v_fmac_f64_e32 v[20:21], v[8:9], v[54:55]
	v_add_f64 v[18:19], v[18:19], v[20:21]
	s_waitcnt vmcnt(0) lgkmcnt(0)
	v_mul_f64 v[20:21], v[2:3], v[64:65]
	v_fmac_f64_e32 v[20:21], v[4:5], v[62:63]
	v_add_f64 v[22:23], v[18:19], v[20:21]
	ds_read_b128 v[18:21], v1 offset:1744
	buffer_load_dword v67, off, s[0:3], 0 offset:836
	buffer_load_dword v66, off, s[0:3], 0 offset:832
	;; [unrolled: 1-line block ×4, first 2 shown]
	v_mul_f64 v[12:13], v[12:13], v[58:59]
	v_add_f64 v[14:15], v[14:15], 0
	v_fma_f64 v[10:11], v[10:11], v[52:53], -v[12:13]
	v_mul_f64 v[8:9], v[8:9], v[60:61]
	v_add_f64 v[10:11], v[14:15], v[10:11]
	v_fma_f64 v[6:7], v[6:7], v[54:55], -v[8:9]
	;; [unrolled: 3-line block ×3, first 2 shown]
	v_add_f64 v[2:3], v[6:7], v[2:3]
	s_waitcnt vmcnt(0) lgkmcnt(0)
	v_mul_f64 v[24:25], v[18:19], v[68:69]
	v_fmac_f64_e32 v[24:25], v[20:21], v[66:67]
	v_add_f64 v[26:27], v[22:23], v[24:25]
	ds_read_b128 v[22:25], v1 offset:1760
	buffer_load_dword v71, off, s[0:3], 0 offset:852
	buffer_load_dword v70, off, s[0:3], 0 offset:848
	buffer_load_dword v73, off, s[0:3], 0 offset:860
	buffer_load_dword v72, off, s[0:3], 0 offset:856
	v_mul_f64 v[4:5], v[20:21], v[68:69]
	v_fma_f64 v[4:5], v[18:19], v[66:67], -v[4:5]
	v_add_f64 v[2:3], v[2:3], v[4:5]
	s_waitcnt vmcnt(0) lgkmcnt(0)
	v_mul_f64 v[28:29], v[22:23], v[72:73]
	v_fmac_f64_e32 v[28:29], v[24:25], v[70:71]
	v_add_f64 v[30:31], v[26:27], v[28:29]
	ds_read_b128 v[26:29], v1 offset:1776
	buffer_load_dword v75, off, s[0:3], 0 offset:868
	buffer_load_dword v74, off, s[0:3], 0 offset:864
	buffer_load_dword v77, off, s[0:3], 0 offset:876
	buffer_load_dword v76, off, s[0:3], 0 offset:872
	v_mul_f64 v[4:5], v[24:25], v[72:73]
	v_fma_f64 v[4:5], v[22:23], v[70:71], -v[4:5]
	v_add_f64 v[2:3], v[2:3], v[4:5]
	s_waitcnt vmcnt(0) lgkmcnt(0)
	v_mul_f64 v[32:33], v[26:27], v[76:77]
	v_fmac_f64_e32 v[32:33], v[28:29], v[74:75]
	v_add_f64 v[34:35], v[30:31], v[32:33]
	ds_read_b128 v[30:33], v1 offset:1792
	buffer_load_dword v79, off, s[0:3], 0 offset:884
	buffer_load_dword v78, off, s[0:3], 0 offset:880
	buffer_load_dword v81, off, s[0:3], 0 offset:892
	buffer_load_dword v80, off, s[0:3], 0 offset:888
	v_mul_f64 v[4:5], v[28:29], v[76:77]
	v_fma_f64 v[4:5], v[26:27], v[74:75], -v[4:5]
	v_add_f64 v[2:3], v[2:3], v[4:5]
	s_waitcnt vmcnt(0) lgkmcnt(0)
	v_mul_f64 v[36:37], v[30:31], v[80:81]
	v_fmac_f64_e32 v[36:37], v[32:33], v[78:79]
	v_add_f64 v[38:39], v[34:35], v[36:37]
	ds_read_b128 v[34:37], v1 offset:1808
	buffer_load_dword v83, off, s[0:3], 0 offset:900
	buffer_load_dword v82, off, s[0:3], 0 offset:896
	buffer_load_dword v85, off, s[0:3], 0 offset:908
	buffer_load_dword v84, off, s[0:3], 0 offset:904
	v_mul_f64 v[4:5], v[32:33], v[80:81]
	v_fma_f64 v[4:5], v[30:31], v[78:79], -v[4:5]
	v_add_f64 v[2:3], v[2:3], v[4:5]
	s_waitcnt vmcnt(0) lgkmcnt(0)
	v_mul_f64 v[40:41], v[34:35], v[84:85]
	v_fmac_f64_e32 v[40:41], v[36:37], v[82:83]
	v_add_f64 v[42:43], v[38:39], v[40:41]
	ds_read_b128 v[38:41], v1 offset:1824
	buffer_load_dword v87, off, s[0:3], 0 offset:916
	buffer_load_dword v86, off, s[0:3], 0 offset:912
	buffer_load_dword v89, off, s[0:3], 0 offset:924
	buffer_load_dword v88, off, s[0:3], 0 offset:920
	v_mul_f64 v[4:5], v[36:37], v[84:85]
	v_fma_f64 v[4:5], v[34:35], v[82:83], -v[4:5]
	v_add_f64 v[2:3], v[2:3], v[4:5]
	s_waitcnt vmcnt(0) lgkmcnt(0)
	v_mul_f64 v[44:45], v[38:39], v[88:89]
	v_fmac_f64_e32 v[44:45], v[40:41], v[86:87]
	v_add_f64 v[94:95], v[42:43], v[44:45]
	ds_read_b128 v[42:45], v1 offset:1840
	buffer_load_dword v91, off, s[0:3], 0 offset:932
	buffer_load_dword v90, off, s[0:3], 0 offset:928
	buffer_load_dword v93, off, s[0:3], 0 offset:940
	buffer_load_dword v92, off, s[0:3], 0 offset:936
	v_mul_f64 v[4:5], v[40:41], v[88:89]
	v_fma_f64 v[4:5], v[38:39], v[86:87], -v[4:5]
	v_add_f64 v[2:3], v[2:3], v[4:5]
	s_waitcnt vmcnt(0) lgkmcnt(0)
	v_mul_f64 v[4:5], v[44:45], v[92:93]
	v_mul_f64 v[96:97], v[42:43], v[92:93]
	v_fma_f64 v[4:5], v[42:43], v[90:91], -v[4:5]
	v_fmac_f64_e32 v[96:97], v[44:45], v[90:91]
	v_add_f64 v[2:3], v[2:3], v[4:5]
	v_add_f64 v[94:95], v[94:95], v[96:97]
	v_add_f64 v[2:3], v[48:49], -v[2:3]
	v_add_f64 v[4:5], v[46:47], -v[94:95]
	buffer_store_dword v3, off, s[0:3], 0 offset:756
	buffer_store_dword v2, off, s[0:3], 0 offset:752
	;; [unrolled: 1-line block ×4, first 2 shown]
	s_and_saveexec_b64 s[4:5], vcc
	s_cbranch_execz .LBB121_271
; %bb.270:
	v_accvgpr_read_b32 v5, a128
	buffer_load_dword v2, v5, s[0:3], 0 offen
	buffer_load_dword v3, v5, s[0:3], 0 offen offset:4
	buffer_load_dword v4, v5, s[0:3], 0 offen offset:8
	s_nop 0
	buffer_load_dword v5, v5, s[0:3], 0 offen offset:12
	v_accvgpr_read_b32 v6, a173
	buffer_store_dword v1, off, s[0:3], 0 offset:736
	buffer_store_dword v1, off, s[0:3], 0 offset:740
	;; [unrolled: 1-line block ×4, first 2 shown]
	s_waitcnt vmcnt(4)
	ds_write_b128 v6, v[2:5]
.LBB121_271:
	s_or_b64 exec, exec, s[4:5]
	s_waitcnt lgkmcnt(0)
	; wave barrier
	s_waitcnt lgkmcnt(0)
	ds_read_b128 v[14:17], v1 offset:1664
	ds_read_b128 v[10:13], v1 offset:1680
	;; [unrolled: 1-line block ×4, first 2 shown]
	buffer_load_dword v48, off, s[0:3], 0 offset:736
	buffer_load_dword v49, off, s[0:3], 0 offset:740
	;; [unrolled: 1-line block ×20, first 2 shown]
	v_cmp_lt_u32_e32 vcc, 44, v0
	s_waitcnt vmcnt(12) lgkmcnt(3)
	v_mul_f64 v[18:19], v[14:15], v[56:57]
	v_fmac_f64_e32 v[18:19], v[16:17], v[50:51]
	v_add_f64 v[18:19], v[18:19], 0
	v_mul_f64 v[16:17], v[16:17], v[56:57]
	s_waitcnt vmcnt(8) lgkmcnt(2)
	v_mul_f64 v[20:21], v[10:11], v[58:59]
	v_fmac_f64_e32 v[20:21], v[12:13], v[52:53]
	v_add_f64 v[18:19], v[18:19], v[20:21]
	v_fma_f64 v[14:15], v[14:15], v[50:51], -v[16:17]
	s_waitcnt vmcnt(4) lgkmcnt(1)
	v_mul_f64 v[20:21], v[6:7], v[60:61]
	v_fmac_f64_e32 v[20:21], v[8:9], v[54:55]
	v_add_f64 v[18:19], v[18:19], v[20:21]
	s_waitcnt vmcnt(0) lgkmcnt(0)
	v_mul_f64 v[20:21], v[2:3], v[64:65]
	v_fmac_f64_e32 v[20:21], v[4:5], v[62:63]
	v_add_f64 v[22:23], v[18:19], v[20:21]
	ds_read_b128 v[18:21], v1 offset:1728
	buffer_load_dword v67, off, s[0:3], 0 offset:820
	buffer_load_dword v66, off, s[0:3], 0 offset:816
	;; [unrolled: 1-line block ×4, first 2 shown]
	v_mul_f64 v[12:13], v[12:13], v[58:59]
	v_add_f64 v[14:15], v[14:15], 0
	v_fma_f64 v[10:11], v[10:11], v[52:53], -v[12:13]
	v_mul_f64 v[8:9], v[8:9], v[60:61]
	v_add_f64 v[10:11], v[14:15], v[10:11]
	v_fma_f64 v[6:7], v[6:7], v[54:55], -v[8:9]
	;; [unrolled: 3-line block ×3, first 2 shown]
	v_add_f64 v[2:3], v[6:7], v[2:3]
	s_waitcnt vmcnt(0) lgkmcnt(0)
	v_mul_f64 v[24:25], v[18:19], v[68:69]
	v_fmac_f64_e32 v[24:25], v[20:21], v[66:67]
	v_add_f64 v[26:27], v[22:23], v[24:25]
	ds_read_b128 v[22:25], v1 offset:1744
	buffer_load_dword v71, off, s[0:3], 0 offset:836
	buffer_load_dword v70, off, s[0:3], 0 offset:832
	buffer_load_dword v73, off, s[0:3], 0 offset:844
	buffer_load_dword v72, off, s[0:3], 0 offset:840
	v_mul_f64 v[4:5], v[20:21], v[68:69]
	v_fma_f64 v[4:5], v[18:19], v[66:67], -v[4:5]
	v_add_f64 v[2:3], v[2:3], v[4:5]
	s_waitcnt vmcnt(0) lgkmcnt(0)
	v_mul_f64 v[28:29], v[22:23], v[72:73]
	v_fmac_f64_e32 v[28:29], v[24:25], v[70:71]
	v_add_f64 v[30:31], v[26:27], v[28:29]
	ds_read_b128 v[26:29], v1 offset:1760
	buffer_load_dword v75, off, s[0:3], 0 offset:852
	buffer_load_dword v74, off, s[0:3], 0 offset:848
	buffer_load_dword v77, off, s[0:3], 0 offset:860
	buffer_load_dword v76, off, s[0:3], 0 offset:856
	v_mul_f64 v[4:5], v[24:25], v[72:73]
	v_fma_f64 v[4:5], v[22:23], v[70:71], -v[4:5]
	;; [unrolled: 12-line block ×7, first 2 shown]
	v_add_f64 v[2:3], v[2:3], v[4:5]
	s_waitcnt vmcnt(0) lgkmcnt(0)
	v_mul_f64 v[4:5], v[96:97], v[102:103]
	v_mul_f64 v[104:105], v[94:95], v[102:103]
	v_fma_f64 v[4:5], v[94:95], v[100:101], -v[4:5]
	v_fmac_f64_e32 v[104:105], v[96:97], v[100:101]
	v_add_f64 v[2:3], v[2:3], v[4:5]
	v_add_f64 v[98:99], v[98:99], v[104:105]
	v_add_f64 v[2:3], v[48:49], -v[2:3]
	v_add_f64 v[4:5], v[46:47], -v[98:99]
	buffer_store_dword v3, off, s[0:3], 0 offset:740
	buffer_store_dword v2, off, s[0:3], 0 offset:736
	;; [unrolled: 1-line block ×4, first 2 shown]
	s_and_saveexec_b64 s[4:5], vcc
	s_cbranch_execz .LBB121_273
; %bb.272:
	v_accvgpr_read_b32 v1, a129
	buffer_load_dword v2, v1, s[0:3], 0 offen
	buffer_load_dword v3, v1, s[0:3], 0 offen offset:4
	buffer_load_dword v4, v1, s[0:3], 0 offen offset:8
	;; [unrolled: 1-line block ×3, first 2 shown]
	v_mov_b32_e32 v1, 0
	v_accvgpr_read_b32 v6, a173
	buffer_store_dword v1, off, s[0:3], 0 offset:720
	buffer_store_dword v1, off, s[0:3], 0 offset:724
	;; [unrolled: 1-line block ×4, first 2 shown]
	s_waitcnt vmcnt(4)
	ds_write_b128 v6, v[2:5]
.LBB121_273:
	s_or_b64 exec, exec, s[4:5]
	s_waitcnt lgkmcnt(0)
	; wave barrier
	s_waitcnt lgkmcnt(0)
	buffer_load_dword v2, off, s[0:3], 0 offset:736
	buffer_load_dword v3, off, s[0:3], 0 offset:740
	;; [unrolled: 1-line block ×56, first 2 shown]
	v_mov_b32_e32 v1, 0
	ds_read_b128 v[30:33], v1 offset:1648
	ds_read_b128 v[34:37], v1 offset:1664
	;; [unrolled: 1-line block ×9, first 2 shown]
	v_cmp_lt_u32_e32 vcc, 43, v0
	s_waitcnt vmcnt(52) lgkmcnt(8)
	v_mul_f64 v[62:63], v[30:31], v[6:7]
	v_fmac_f64_e32 v[62:63], v[32:33], v[2:3]
	v_mul_f64 v[6:7], v[32:33], v[6:7]
	v_add_f64 v[62:63], v[62:63], 0
	s_waitcnt vmcnt(48) lgkmcnt(7)
	v_mul_f64 v[64:65], v[34:35], v[8:9]
	v_fmac_f64_e32 v[64:65], v[36:37], v[4:5]
	s_waitcnt vmcnt(46) lgkmcnt(6)
	v_mul_f64 v[66:67], v[38:39], v[10:11]
	v_fma_f64 v[2:3], v[30:31], v[2:3], -v[6:7]
	v_mul_f64 v[6:7], v[36:37], v[8:9]
	s_waitcnt vmcnt(44) lgkmcnt(5)
	v_mul_f64 v[68:69], v[42:43], v[12:13]
	v_add_f64 v[62:63], v[62:63], v[64:65]
	v_add_f64 v[2:3], v[2:3], 0
	v_fma_f64 v[4:5], v[34:35], v[4:5], -v[6:7]
	v_add_f64 v[2:3], v[2:3], v[4:5]
	v_mul_f64 v[4:5], v[40:41], v[10:11]
	s_waitcnt vmcnt(37) lgkmcnt(4)
	v_mul_f64 v[70:71], v[46:47], v[20:21]
	s_waitcnt lgkmcnt(3)
	v_mul_f64 v[72:73], v[50:51], v[18:19]
	s_waitcnt vmcnt(35)
	v_fmac_f64_e32 v[70:71], v[48:49], v[22:23]
	s_waitcnt lgkmcnt(2)
	v_mul_f64 v[74:75], v[54:55], v[14:15]
	s_waitcnt vmcnt(33)
	v_fmac_f64_e32 v[66:67], v[40:41], v[28:29]
	v_add_f64 v[62:63], v[62:63], v[66:67]
	s_waitcnt vmcnt(31)
	v_fmac_f64_e32 v[68:69], v[44:45], v[26:27]
	v_add_f64 v[62:63], v[62:63], v[68:69]
	v_fma_f64 v[4:5], v[38:39], v[28:29], -v[4:5]
	s_waitcnt vmcnt(29)
	v_fmac_f64_e32 v[72:73], v[52:53], v[24:25]
	v_add_f64 v[62:63], v[62:63], v[70:71]
	v_add_f64 v[2:3], v[2:3], v[4:5]
	v_mul_f64 v[4:5], v[44:45], v[12:13]
	s_waitcnt vmcnt(28)
	v_fmac_f64_e32 v[74:75], v[56:57], v[16:17]
	v_add_f64 v[62:63], v[62:63], v[72:73]
	v_fma_f64 v[4:5], v[42:43], v[26:27], -v[4:5]
	v_add_f64 v[66:67], v[62:63], v[74:75]
	ds_read_b128 v[62:65], v1 offset:1776
	s_waitcnt vmcnt(24) lgkmcnt(2)
	v_mul_f64 v[68:69], v[58:59], v[86:87]
	v_add_f64 v[2:3], v[2:3], v[4:5]
	v_mul_f64 v[4:5], v[48:49], v[20:21]
	s_waitcnt vmcnt(22)
	v_fmac_f64_e32 v[68:69], v[60:61], v[88:89]
	v_fma_f64 v[4:5], v[46:47], v[22:23], -v[4:5]
	v_add_f64 v[70:71], v[66:67], v[68:69]
	ds_read_b128 v[66:69], v1 offset:1792
	v_add_f64 v[2:3], v[2:3], v[4:5]
	v_mul_f64 v[4:5], v[52:53], v[18:19]
	v_fma_f64 v[4:5], v[50:51], v[24:25], -v[4:5]
	v_add_f64 v[2:3], v[2:3], v[4:5]
	v_mul_f64 v[4:5], v[56:57], v[14:15]
	s_waitcnt vmcnt(21) lgkmcnt(1)
	v_mul_f64 v[72:73], v[62:63], v[82:83]
	v_fma_f64 v[4:5], v[54:55], v[16:17], -v[4:5]
	s_waitcnt vmcnt(20)
	v_fmac_f64_e32 v[72:73], v[64:65], v[84:85]
	v_add_f64 v[2:3], v[2:3], v[4:5]
	v_mul_f64 v[4:5], v[60:61], v[86:87]
	v_add_f64 v[74:75], v[70:71], v[72:73]
	ds_read_b128 v[70:73], v1 offset:1808
	s_waitcnt vmcnt(16) lgkmcnt(1)
	v_mul_f64 v[76:77], v[66:67], v[94:95]
	v_fma_f64 v[4:5], v[58:59], v[88:89], -v[4:5]
	s_waitcnt vmcnt(14)
	v_fmac_f64_e32 v[76:77], v[68:69], v[96:97]
	v_add_f64 v[2:3], v[2:3], v[4:5]
	v_mul_f64 v[4:5], v[64:65], v[82:83]
	v_add_f64 v[110:111], v[74:75], v[76:77]
	ds_read_b128 v[74:77], v1 offset:1824
	v_fma_f64 v[4:5], v[62:63], v[84:85], -v[4:5]
	v_add_f64 v[2:3], v[2:3], v[4:5]
	v_mul_f64 v[4:5], v[68:69], v[94:95]
	v_fma_f64 v[4:5], v[66:67], v[96:97], -v[4:5]
	v_add_f64 v[2:3], v[2:3], v[4:5]
	s_waitcnt vmcnt(13) lgkmcnt(1)
	v_mul_f64 v[4:5], v[72:73], v[90:91]
	v_mul_f64 v[112:113], v[70:71], v[90:91]
	s_waitcnt vmcnt(12)
	v_fma_f64 v[4:5], v[70:71], v[92:93], -v[4:5]
	v_fmac_f64_e32 v[112:113], v[72:73], v[92:93]
	v_add_f64 v[2:3], v[2:3], v[4:5]
	s_waitcnt vmcnt(8) lgkmcnt(0)
	v_mul_f64 v[4:5], v[76:77], v[102:103]
	v_add_f64 v[110:111], v[110:111], v[112:113]
	v_mul_f64 v[112:113], v[74:75], v[102:103]
	s_waitcnt vmcnt(6)
	v_fma_f64 v[4:5], v[74:75], v[104:105], -v[4:5]
	v_fmac_f64_e32 v[112:113], v[76:77], v[104:105]
	v_add_f64 v[2:3], v[2:3], v[4:5]
	s_waitcnt vmcnt(5)
	v_mul_f64 v[4:5], v[80:81], v[98:99]
	v_add_f64 v[110:111], v[110:111], v[112:113]
	v_mul_f64 v[112:113], v[78:79], v[98:99]
	s_waitcnt vmcnt(4)
	v_fma_f64 v[4:5], v[78:79], v[100:101], -v[4:5]
	v_fmac_f64_e32 v[112:113], v[80:81], v[100:101]
	v_add_f64 v[2:3], v[2:3], v[4:5]
	v_add_f64 v[110:111], v[110:111], v[112:113]
	s_waitcnt vmcnt(2)
	v_add_f64 v[2:3], v[106:107], -v[2:3]
	s_waitcnt vmcnt(0)
	v_add_f64 v[4:5], v[108:109], -v[110:111]
	buffer_store_dword v3, off, s[0:3], 0 offset:724
	buffer_store_dword v2, off, s[0:3], 0 offset:720
	;; [unrolled: 1-line block ×4, first 2 shown]
	s_and_saveexec_b64 s[4:5], vcc
	s_cbranch_execz .LBB121_275
; %bb.274:
	v_accvgpr_read_b32 v5, a130
	buffer_load_dword v2, v5, s[0:3], 0 offen
	buffer_load_dword v3, v5, s[0:3], 0 offen offset:4
	buffer_load_dword v4, v5, s[0:3], 0 offen offset:8
	s_nop 0
	buffer_load_dword v5, v5, s[0:3], 0 offen offset:12
	v_accvgpr_read_b32 v6, a173
	buffer_store_dword v1, off, s[0:3], 0 offset:704
	buffer_store_dword v1, off, s[0:3], 0 offset:708
	;; [unrolled: 1-line block ×4, first 2 shown]
	s_waitcnt vmcnt(4)
	ds_write_b128 v6, v[2:5]
.LBB121_275:
	s_or_b64 exec, exec, s[4:5]
	s_waitcnt lgkmcnt(0)
	; wave barrier
	s_waitcnt lgkmcnt(0)
	buffer_load_dword v2, off, s[0:3], 0 offset:720
	buffer_load_dword v3, off, s[0:3], 0 offset:724
	;; [unrolled: 1-line block ×60, first 2 shown]
	ds_read_b128 v[30:33], v1 offset:1632
	ds_read_b128 v[34:37], v1 offset:1648
	;; [unrolled: 1-line block ×8, first 2 shown]
	v_cmp_lt_u32_e32 vcc, 42, v0
	ds_read_b128 v[82:85], v1 offset:1840
	s_waitcnt vmcnt(56) lgkmcnt(8)
	v_mul_f64 v[62:63], v[30:31], v[6:7]
	v_fmac_f64_e32 v[62:63], v[32:33], v[2:3]
	v_add_f64 v[62:63], v[62:63], 0
	v_mul_f64 v[6:7], v[32:33], v[6:7]
	s_waitcnt vmcnt(52) lgkmcnt(7)
	v_mul_f64 v[64:65], v[34:35], v[8:9]
	v_fmac_f64_e32 v[64:65], v[36:37], v[4:5]
	s_waitcnt vmcnt(50) lgkmcnt(6)
	v_mul_f64 v[66:67], v[38:39], v[10:11]
	v_add_f64 v[62:63], v[62:63], v[64:65]
	s_waitcnt vmcnt(48) lgkmcnt(4)
	v_mul_f64 v[70:71], v[46:47], v[12:13]
	v_fma_f64 v[2:3], v[30:31], v[2:3], -v[6:7]
	s_waitcnt vmcnt(46)
	v_fmac_f64_e32 v[70:71], v[48:49], v[14:15]
	v_mul_f64 v[6:7], v[36:37], v[8:9]
	s_waitcnt vmcnt(44)
	v_mul_f64 v[68:69], v[42:43], v[16:17]
	v_add_f64 v[2:3], v[2:3], 0
	v_fma_f64 v[4:5], v[34:35], v[4:5], -v[6:7]
	v_add_f64 v[2:3], v[2:3], v[4:5]
	s_waitcnt vmcnt(40) lgkmcnt(3)
	v_mul_f64 v[72:73], v[50:51], v[22:23]
	v_mul_f64 v[4:5], v[40:41], v[10:11]
	s_waitcnt vmcnt(38)
	v_fmac_f64_e32 v[66:67], v[40:41], v[28:29]
	v_add_f64 v[62:63], v[62:63], v[66:67]
	s_waitcnt vmcnt(36)
	v_fmac_f64_e32 v[68:69], v[44:45], v[26:27]
	v_add_f64 v[62:63], v[62:63], v[68:69]
	s_waitcnt vmcnt(34)
	v_fmac_f64_e32 v[72:73], v[52:53], v[24:25]
	v_add_f64 v[62:63], v[62:63], v[70:71]
	s_waitcnt vmcnt(33) lgkmcnt(2)
	v_mul_f64 v[64:65], v[54:55], v[18:19]
	v_add_f64 v[62:63], v[62:63], v[72:73]
	s_waitcnt vmcnt(32)
	v_fmac_f64_e32 v[64:65], v[56:57], v[20:21]
	v_add_f64 v[66:67], v[62:63], v[64:65]
	ds_read_b128 v[62:65], v1 offset:1760
	v_fma_f64 v[4:5], v[38:39], v[28:29], -v[4:5]
	v_add_f64 v[2:3], v[2:3], v[4:5]
	v_mul_f64 v[4:5], v[44:45], v[16:17]
	v_fma_f64 v[4:5], v[42:43], v[26:27], -v[4:5]
	s_waitcnt vmcnt(28) lgkmcnt(2)
	v_mul_f64 v[68:69], v[58:59], v[90:91]
	v_add_f64 v[2:3], v[2:3], v[4:5]
	v_mul_f64 v[4:5], v[48:49], v[12:13]
	s_waitcnt vmcnt(26)
	v_fmac_f64_e32 v[68:69], v[60:61], v[92:93]
	v_fma_f64 v[4:5], v[46:47], v[14:15], -v[4:5]
	v_add_f64 v[70:71], v[66:67], v[68:69]
	ds_read_b128 v[66:69], v1 offset:1776
	s_waitcnt vmcnt(25) lgkmcnt(1)
	v_mul_f64 v[72:73], v[62:63], v[86:87]
	v_add_f64 v[2:3], v[2:3], v[4:5]
	v_mul_f64 v[4:5], v[52:53], v[22:23]
	s_waitcnt vmcnt(24)
	v_fmac_f64_e32 v[72:73], v[64:65], v[88:89]
	v_fma_f64 v[4:5], v[50:51], v[24:25], -v[4:5]
	v_add_f64 v[74:75], v[70:71], v[72:73]
	ds_read_b128 v[70:73], v1 offset:1792
	v_add_f64 v[2:3], v[2:3], v[4:5]
	v_mul_f64 v[4:5], v[56:57], v[18:19]
	v_fma_f64 v[4:5], v[54:55], v[20:21], -v[4:5]
	v_add_f64 v[2:3], v[2:3], v[4:5]
	v_mul_f64 v[4:5], v[60:61], v[90:91]
	s_waitcnt vmcnt(20) lgkmcnt(1)
	v_mul_f64 v[76:77], v[66:67], v[98:99]
	v_fma_f64 v[4:5], v[58:59], v[92:93], -v[4:5]
	s_waitcnt vmcnt(18)
	v_fmac_f64_e32 v[76:77], v[68:69], v[100:101]
	v_add_f64 v[2:3], v[2:3], v[4:5]
	v_mul_f64 v[4:5], v[64:65], v[86:87]
	v_add_f64 v[78:79], v[74:75], v[76:77]
	ds_read_b128 v[74:77], v1 offset:1808
	s_waitcnt vmcnt(17) lgkmcnt(1)
	v_mul_f64 v[80:81], v[70:71], v[94:95]
	v_fma_f64 v[4:5], v[62:63], v[88:89], -v[4:5]
	s_waitcnt vmcnt(16)
	v_fmac_f64_e32 v[80:81], v[72:73], v[96:97]
	v_add_f64 v[2:3], v[2:3], v[4:5]
	v_mul_f64 v[4:5], v[68:69], v[98:99]
	v_add_f64 v[118:119], v[78:79], v[80:81]
	ds_read_b128 v[78:81], v1 offset:1824
	v_fma_f64 v[4:5], v[66:67], v[100:101], -v[4:5]
	v_add_f64 v[2:3], v[2:3], v[4:5]
	v_mul_f64 v[4:5], v[72:73], v[94:95]
	v_fma_f64 v[4:5], v[70:71], v[96:97], -v[4:5]
	v_add_f64 v[2:3], v[2:3], v[4:5]
	s_waitcnt vmcnt(12) lgkmcnt(1)
	v_mul_f64 v[4:5], v[76:77], v[106:107]
	v_mul_f64 v[120:121], v[74:75], v[106:107]
	s_waitcnt vmcnt(10)
	v_fma_f64 v[4:5], v[74:75], v[108:109], -v[4:5]
	v_fmac_f64_e32 v[120:121], v[76:77], v[108:109]
	v_add_f64 v[2:3], v[2:3], v[4:5]
	s_waitcnt vmcnt(9) lgkmcnt(0)
	v_mul_f64 v[4:5], v[80:81], v[102:103]
	v_add_f64 v[118:119], v[118:119], v[120:121]
	v_mul_f64 v[120:121], v[78:79], v[102:103]
	s_waitcnt vmcnt(8)
	v_fma_f64 v[4:5], v[78:79], v[104:105], -v[4:5]
	v_fmac_f64_e32 v[120:121], v[80:81], v[104:105]
	v_add_f64 v[2:3], v[2:3], v[4:5]
	s_waitcnt vmcnt(6)
	v_mul_f64 v[4:5], v[84:85], v[110:111]
	v_add_f64 v[118:119], v[118:119], v[120:121]
	v_mul_f64 v[120:121], v[82:83], v[110:111]
	s_waitcnt vmcnt(4)
	v_fma_f64 v[4:5], v[82:83], v[112:113], -v[4:5]
	v_fmac_f64_e32 v[120:121], v[84:85], v[112:113]
	v_add_f64 v[2:3], v[2:3], v[4:5]
	v_add_f64 v[118:119], v[118:119], v[120:121]
	s_waitcnt vmcnt(2)
	v_add_f64 v[2:3], v[114:115], -v[2:3]
	s_waitcnt vmcnt(0)
	v_add_f64 v[4:5], v[116:117], -v[118:119]
	buffer_store_dword v3, off, s[0:3], 0 offset:708
	buffer_store_dword v2, off, s[0:3], 0 offset:704
	;; [unrolled: 1-line block ×4, first 2 shown]
	s_and_saveexec_b64 s[4:5], vcc
	s_cbranch_execz .LBB121_277
; %bb.276:
	v_accvgpr_read_b32 v1, a131
	buffer_load_dword v2, v1, s[0:3], 0 offen
	buffer_load_dword v3, v1, s[0:3], 0 offen offset:4
	buffer_load_dword v4, v1, s[0:3], 0 offen offset:8
	buffer_load_dword v5, v1, s[0:3], 0 offen offset:12
	v_mov_b32_e32 v1, 0
	v_accvgpr_read_b32 v6, a173
	buffer_store_dword v1, off, s[0:3], 0 offset:688
	buffer_store_dword v1, off, s[0:3], 0 offset:692
	;; [unrolled: 1-line block ×4, first 2 shown]
	s_waitcnt vmcnt(4)
	ds_write_b128 v6, v[2:5]
.LBB121_277:
	s_or_b64 exec, exec, s[4:5]
	s_waitcnt lgkmcnt(0)
	; wave barrier
	s_waitcnt lgkmcnt(0)
	buffer_load_dword v2, off, s[0:3], 0 offset:704
	buffer_load_dword v3, off, s[0:3], 0 offset:708
	;; [unrolled: 1-line block ×64, first 2 shown]
	v_mov_b32_e32 v1, 0
	ds_read_b128 v[38:41], v1 offset:1616
	ds_read_b128 v[42:45], v1 offset:1632
	;; [unrolled: 1-line block ×7, first 2 shown]
	v_cmp_lt_u32_e32 vcc, 41, v0
	s_waitcnt vmcnt(60) lgkmcnt(6)
	v_mul_f64 v[62:63], v[38:39], v[4:5]
	v_fmac_f64_e32 v[62:63], v[40:41], v[2:3]
	s_waitcnt vmcnt(58) lgkmcnt(5)
	v_mul_f64 v[64:65], v[42:43], v[6:7]
	v_add_f64 v[62:63], v[62:63], 0
	s_waitcnt vmcnt(56) lgkmcnt(4)
	v_mul_f64 v[66:67], v[46:47], v[8:9]
	v_mul_f64 v[4:5], v[40:41], v[4:5]
	s_waitcnt vmcnt(54) lgkmcnt(2)
	v_mul_f64 v[70:71], v[54:55], v[10:11]
	v_fma_f64 v[2:3], v[38:39], v[2:3], -v[4:5]
	v_mul_f64 v[4:5], v[44:45], v[6:7]
	s_waitcnt vmcnt(51)
	v_mul_f64 v[68:69], v[50:51], v[14:15]
	v_add_f64 v[2:3], v[2:3], 0
	s_waitcnt vmcnt(49)
	v_fmac_f64_e32 v[64:65], v[44:45], v[20:21]
	v_add_f64 v[62:63], v[62:63], v[64:65]
	s_waitcnt vmcnt(47)
	v_fmac_f64_e32 v[66:67], v[48:49], v[18:19]
	;; [unrolled: 3-line block ×4, first 2 shown]
	v_add_f64 v[66:67], v[62:63], v[70:71]
	ds_read_b128 v[62:65], v1 offset:1712
	s_waitcnt vmcnt(40) lgkmcnt(2)
	v_mul_f64 v[68:69], v[58:59], v[26:27]
	v_fma_f64 v[4:5], v[42:43], v[20:21], -v[4:5]
	s_waitcnt vmcnt(38)
	v_fmac_f64_e32 v[68:69], v[60:61], v[28:29]
	v_add_f64 v[70:71], v[66:67], v[68:69]
	ds_read_b128 v[66:69], v1 offset:1728
	s_waitcnt vmcnt(37) lgkmcnt(1)
	v_mul_f64 v[72:73], v[62:63], v[22:23]
	s_waitcnt vmcnt(36)
	v_fmac_f64_e32 v[72:73], v[64:65], v[24:25]
	v_add_f64 v[2:3], v[2:3], v[4:5]
	v_mul_f64 v[4:5], v[48:49], v[8:9]
	v_add_f64 v[74:75], v[70:71], v[72:73]
	ds_read_b128 v[70:73], v1 offset:1744
	s_waitcnt vmcnt(32) lgkmcnt(1)
	v_mul_f64 v[76:77], v[66:67], v[34:35]
	v_fma_f64 v[4:5], v[46:47], v[18:19], -v[4:5]
	s_waitcnt vmcnt(30)
	v_fmac_f64_e32 v[76:77], v[68:69], v[36:37]
	v_add_f64 v[2:3], v[2:3], v[4:5]
	v_mul_f64 v[4:5], v[52:53], v[14:15]
	v_add_f64 v[78:79], v[74:75], v[76:77]
	ds_read_b128 v[74:77], v1 offset:1760
	v_fma_f64 v[4:5], v[50:51], v[16:17], -v[4:5]
	v_add_f64 v[2:3], v[2:3], v[4:5]
	v_mul_f64 v[4:5], v[56:57], v[10:11]
	v_fma_f64 v[4:5], v[54:55], v[12:13], -v[4:5]
	s_waitcnt vmcnt(29) lgkmcnt(1)
	v_mul_f64 v[80:81], v[70:71], v[30:31]
	v_add_f64 v[2:3], v[2:3], v[4:5]
	v_mul_f64 v[4:5], v[60:61], v[26:27]
	s_waitcnt vmcnt(28)
	v_fmac_f64_e32 v[80:81], v[72:73], v[32:33]
	v_fma_f64 v[4:5], v[58:59], v[28:29], -v[4:5]
	v_add_f64 v[82:83], v[78:79], v[80:81]
	ds_read_b128 v[78:81], v1 offset:1776
	s_waitcnt vmcnt(24) lgkmcnt(1)
	v_mul_f64 v[84:85], v[74:75], v[102:103]
	v_add_f64 v[2:3], v[2:3], v[4:5]
	v_mul_f64 v[4:5], v[64:65], v[22:23]
	s_waitcnt vmcnt(22)
	v_fmac_f64_e32 v[84:85], v[76:77], v[104:105]
	v_fma_f64 v[4:5], v[62:63], v[24:25], -v[4:5]
	v_add_f64 v[86:87], v[82:83], v[84:85]
	ds_read_b128 v[82:85], v1 offset:1792
	v_add_f64 v[2:3], v[2:3], v[4:5]
	v_mul_f64 v[4:5], v[68:69], v[34:35]
	v_fma_f64 v[4:5], v[66:67], v[36:37], -v[4:5]
	v_add_f64 v[2:3], v[2:3], v[4:5]
	v_mul_f64 v[4:5], v[72:73], v[30:31]
	s_waitcnt vmcnt(21) lgkmcnt(1)
	v_mul_f64 v[88:89], v[78:79], v[98:99]
	v_fma_f64 v[4:5], v[70:71], v[32:33], -v[4:5]
	s_waitcnt vmcnt(20)
	v_fmac_f64_e32 v[88:89], v[80:81], v[100:101]
	v_add_f64 v[2:3], v[2:3], v[4:5]
	v_mul_f64 v[4:5], v[76:77], v[102:103]
	v_add_f64 v[90:91], v[86:87], v[88:89]
	ds_read_b128 v[86:89], v1 offset:1808
	s_waitcnt vmcnt(16) lgkmcnt(1)
	v_mul_f64 v[92:93], v[82:83], v[110:111]
	v_fma_f64 v[4:5], v[74:75], v[104:105], -v[4:5]
	s_waitcnt vmcnt(14)
	v_fmac_f64_e32 v[92:93], v[84:85], v[112:113]
	v_add_f64 v[2:3], v[2:3], v[4:5]
	v_mul_f64 v[4:5], v[80:81], v[98:99]
	v_add_f64 v[126:127], v[90:91], v[92:93]
	ds_read_b128 v[90:93], v1 offset:1824
	v_fma_f64 v[4:5], v[78:79], v[100:101], -v[4:5]
	v_add_f64 v[2:3], v[2:3], v[4:5]
	v_mul_f64 v[4:5], v[84:85], v[110:111]
	v_fma_f64 v[4:5], v[82:83], v[112:113], -v[4:5]
	v_add_f64 v[2:3], v[2:3], v[4:5]
	s_waitcnt vmcnt(13) lgkmcnt(1)
	v_mul_f64 v[4:5], v[88:89], v[106:107]
	v_mul_f64 v[128:129], v[86:87], v[106:107]
	s_waitcnt vmcnt(12)
	v_fma_f64 v[4:5], v[86:87], v[108:109], -v[4:5]
	v_fmac_f64_e32 v[128:129], v[88:89], v[108:109]
	v_add_f64 v[2:3], v[2:3], v[4:5]
	s_waitcnt vmcnt(8) lgkmcnt(0)
	v_mul_f64 v[4:5], v[92:93], v[118:119]
	v_add_f64 v[126:127], v[126:127], v[128:129]
	v_mul_f64 v[128:129], v[90:91], v[118:119]
	s_waitcnt vmcnt(6)
	v_fma_f64 v[4:5], v[90:91], v[120:121], -v[4:5]
	v_fmac_f64_e32 v[128:129], v[92:93], v[120:121]
	v_add_f64 v[2:3], v[2:3], v[4:5]
	s_waitcnt vmcnt(5)
	v_mul_f64 v[4:5], v[96:97], v[114:115]
	v_add_f64 v[126:127], v[126:127], v[128:129]
	v_mul_f64 v[128:129], v[94:95], v[114:115]
	s_waitcnt vmcnt(4)
	v_fma_f64 v[4:5], v[94:95], v[116:117], -v[4:5]
	v_fmac_f64_e32 v[128:129], v[96:97], v[116:117]
	v_add_f64 v[2:3], v[2:3], v[4:5]
	v_add_f64 v[126:127], v[126:127], v[128:129]
	s_waitcnt vmcnt(2)
	v_add_f64 v[2:3], v[122:123], -v[2:3]
	s_waitcnt vmcnt(0)
	v_add_f64 v[4:5], v[124:125], -v[126:127]
	buffer_store_dword v3, off, s[0:3], 0 offset:692
	buffer_store_dword v2, off, s[0:3], 0 offset:688
	;; [unrolled: 1-line block ×4, first 2 shown]
	s_and_saveexec_b64 s[4:5], vcc
	s_cbranch_execz .LBB121_279
; %bb.278:
	v_accvgpr_read_b32 v5, a132
	buffer_load_dword v2, v5, s[0:3], 0 offen
	buffer_load_dword v3, v5, s[0:3], 0 offen offset:4
	buffer_load_dword v4, v5, s[0:3], 0 offen offset:8
	s_nop 0
	buffer_load_dword v5, v5, s[0:3], 0 offen offset:12
	v_accvgpr_read_b32 v6, a173
	buffer_store_dword v1, off, s[0:3], 0 offset:672
	buffer_store_dword v1, off, s[0:3], 0 offset:676
	;; [unrolled: 1-line block ×4, first 2 shown]
	s_waitcnt vmcnt(4)
	ds_write_b128 v6, v[2:5]
.LBB121_279:
	s_or_b64 exec, exec, s[4:5]
	s_waitcnt lgkmcnt(0)
	; wave barrier
	s_waitcnt lgkmcnt(0)
	buffer_load_dword v2, off, s[0:3], 0 offset:688
	buffer_load_dword v3, off, s[0:3], 0 offset:692
	;; [unrolled: 1-line block ×64, first 2 shown]
	ds_read_b128 v[46:49], v1 offset:1600
	ds_read_b128 v[50:53], v1 offset:1616
	;; [unrolled: 1-line block ×4, first 2 shown]
	buffer_load_dword v130, off, s[0:3], 0 offset:672
	buffer_load_dword v131, off, s[0:3], 0 offset:676
	;; [unrolled: 1-line block ×4, first 2 shown]
	v_cmp_lt_u32_e32 vcc, 40, v0
	ds_read_b128 v[106:109], v1 offset:1840
	s_waitcnt vmcnt(62) lgkmcnt(4)
	v_mul_f64 v[62:63], v[46:47], v[4:5]
	v_fmac_f64_e32 v[62:63], v[48:49], v[2:3]
	v_add_f64 v[62:63], v[62:63], 0
	s_waitcnt lgkmcnt(2)
	v_mul_f64 v[66:67], v[54:55], v[6:7]
	v_mul_f64 v[4:5], v[48:49], v[4:5]
	v_fma_f64 v[2:3], v[46:47], v[2:3], -v[4:5]
	s_waitcnt vmcnt(58) lgkmcnt(1)
	v_mul_f64 v[68:69], v[58:59], v[12:13]
	v_add_f64 v[2:3], v[2:3], 0
	s_waitcnt vmcnt(56)
	v_mul_f64 v[64:65], v[50:51], v[18:19]
	v_mul_f64 v[4:5], v[52:53], v[18:19]
	s_waitcnt vmcnt(53)
	v_fmac_f64_e32 v[66:67], v[56:57], v[16:17]
	s_waitcnt vmcnt(52)
	v_fmac_f64_e32 v[64:65], v[52:53], v[20:21]
	v_add_f64 v[70:71], v[62:63], v[64:65]
	ds_read_b128 v[62:65], v1 offset:1664
	v_add_f64 v[66:67], v[70:71], v[66:67]
	s_waitcnt vmcnt(50)
	v_fmac_f64_e32 v[68:69], v[60:61], v[14:15]
	v_add_f64 v[70:71], v[66:67], v[68:69]
	ds_read_b128 v[66:69], v1 offset:1680
	s_waitcnt vmcnt(49) lgkmcnt(1)
	v_mul_f64 v[72:73], v[62:63], v[8:9]
	s_waitcnt vmcnt(48)
	v_fmac_f64_e32 v[72:73], v[64:65], v[10:11]
	v_add_f64 v[74:75], v[70:71], v[72:73]
	ds_read_b128 v[70:73], v1 offset:1696
	s_waitcnt vmcnt(44) lgkmcnt(1)
	v_mul_f64 v[76:77], v[66:67], v[26:27]
	;; [unrolled: 6-line block ×3, first 2 shown]
	s_waitcnt vmcnt(40)
	v_fmac_f64_e32 v[80:81], v[72:73], v[24:25]
	v_add_f64 v[82:83], v[78:79], v[80:81]
	ds_read_b128 v[78:81], v1 offset:1728
	v_fma_f64 v[4:5], v[50:51], v[20:21], -v[4:5]
	v_add_f64 v[2:3], v[2:3], v[4:5]
	v_mul_f64 v[4:5], v[56:57], v[6:7]
	s_waitcnt vmcnt(36) lgkmcnt(1)
	v_mul_f64 v[84:85], v[74:75], v[34:35]
	v_fma_f64 v[4:5], v[54:55], v[16:17], -v[4:5]
	s_waitcnt vmcnt(34)
	v_fmac_f64_e32 v[84:85], v[76:77], v[36:37]
	v_add_f64 v[2:3], v[2:3], v[4:5]
	v_mul_f64 v[4:5], v[60:61], v[12:13]
	v_add_f64 v[86:87], v[82:83], v[84:85]
	ds_read_b128 v[82:85], v1 offset:1744
	s_waitcnt vmcnt(33) lgkmcnt(1)
	v_mul_f64 v[88:89], v[78:79], v[30:31]
	v_fma_f64 v[4:5], v[58:59], v[14:15], -v[4:5]
	s_waitcnt vmcnt(32)
	v_fmac_f64_e32 v[88:89], v[80:81], v[32:33]
	v_add_f64 v[2:3], v[2:3], v[4:5]
	v_mul_f64 v[4:5], v[64:65], v[8:9]
	v_add_f64 v[90:91], v[86:87], v[88:89]
	ds_read_b128 v[86:89], v1 offset:1760
	v_fma_f64 v[4:5], v[62:63], v[10:11], -v[4:5]
	v_add_f64 v[2:3], v[2:3], v[4:5]
	v_mul_f64 v[4:5], v[68:69], v[26:27]
	v_fma_f64 v[4:5], v[66:67], v[28:29], -v[4:5]
	s_waitcnt vmcnt(28) lgkmcnt(1)
	v_mul_f64 v[92:93], v[82:83], v[42:43]
	v_add_f64 v[2:3], v[2:3], v[4:5]
	v_mul_f64 v[4:5], v[72:73], v[22:23]
	s_waitcnt vmcnt(26)
	v_fmac_f64_e32 v[92:93], v[84:85], v[44:45]
	v_fma_f64 v[4:5], v[70:71], v[24:25], -v[4:5]
	v_add_f64 v[94:95], v[90:91], v[92:93]
	ds_read_b128 v[90:93], v1 offset:1776
	s_waitcnt vmcnt(25) lgkmcnt(1)
	v_mul_f64 v[96:97], v[86:87], v[38:39]
	v_add_f64 v[2:3], v[2:3], v[4:5]
	v_mul_f64 v[4:5], v[76:77], v[34:35]
	s_waitcnt vmcnt(24)
	v_fmac_f64_e32 v[96:97], v[88:89], v[40:41]
	v_fma_f64 v[4:5], v[74:75], v[36:37], -v[4:5]
	v_add_f64 v[98:99], v[94:95], v[96:97]
	ds_read_b128 v[94:97], v1 offset:1792
	v_add_f64 v[2:3], v[2:3], v[4:5]
	v_mul_f64 v[4:5], v[80:81], v[30:31]
	v_fma_f64 v[4:5], v[78:79], v[32:33], -v[4:5]
	v_add_f64 v[2:3], v[2:3], v[4:5]
	v_mul_f64 v[4:5], v[84:85], v[42:43]
	s_waitcnt vmcnt(20) lgkmcnt(1)
	v_mul_f64 v[100:101], v[90:91], v[114:115]
	v_fma_f64 v[4:5], v[82:83], v[44:45], -v[4:5]
	s_waitcnt vmcnt(18)
	v_fmac_f64_e32 v[100:101], v[92:93], v[116:117]
	v_add_f64 v[2:3], v[2:3], v[4:5]
	v_mul_f64 v[4:5], v[88:89], v[38:39]
	v_add_f64 v[102:103], v[98:99], v[100:101]
	ds_read_b128 v[98:101], v1 offset:1808
	s_waitcnt vmcnt(17) lgkmcnt(1)
	v_mul_f64 v[104:105], v[94:95], v[110:111]
	v_fma_f64 v[4:5], v[86:87], v[40:41], -v[4:5]
	s_waitcnt vmcnt(16)
	v_fmac_f64_e32 v[104:105], v[96:97], v[112:113]
	v_add_f64 v[2:3], v[2:3], v[4:5]
	v_mul_f64 v[4:5], v[92:93], v[114:115]
	v_add_f64 v[134:135], v[102:103], v[104:105]
	ds_read_b128 v[102:105], v1 offset:1824
	v_fma_f64 v[4:5], v[90:91], v[116:117], -v[4:5]
	v_add_f64 v[2:3], v[2:3], v[4:5]
	v_mul_f64 v[4:5], v[96:97], v[110:111]
	v_fma_f64 v[4:5], v[94:95], v[112:113], -v[4:5]
	v_add_f64 v[2:3], v[2:3], v[4:5]
	s_waitcnt vmcnt(12) lgkmcnt(1)
	v_mul_f64 v[4:5], v[100:101], v[122:123]
	v_mul_f64 v[136:137], v[98:99], v[122:123]
	s_waitcnt vmcnt(10)
	v_fma_f64 v[4:5], v[98:99], v[124:125], -v[4:5]
	v_fmac_f64_e32 v[136:137], v[100:101], v[124:125]
	v_add_f64 v[2:3], v[2:3], v[4:5]
	s_waitcnt vmcnt(9) lgkmcnt(0)
	v_mul_f64 v[4:5], v[104:105], v[118:119]
	v_add_f64 v[134:135], v[134:135], v[136:137]
	v_mul_f64 v[136:137], v[102:103], v[118:119]
	s_waitcnt vmcnt(8)
	v_fma_f64 v[4:5], v[102:103], v[120:121], -v[4:5]
	v_fmac_f64_e32 v[136:137], v[104:105], v[120:121]
	v_add_f64 v[2:3], v[2:3], v[4:5]
	s_waitcnt vmcnt(6)
	v_mul_f64 v[4:5], v[108:109], v[126:127]
	v_add_f64 v[134:135], v[134:135], v[136:137]
	v_mul_f64 v[136:137], v[106:107], v[126:127]
	s_waitcnt vmcnt(4)
	v_fma_f64 v[4:5], v[106:107], v[128:129], -v[4:5]
	v_fmac_f64_e32 v[136:137], v[108:109], v[128:129]
	v_add_f64 v[2:3], v[2:3], v[4:5]
	v_add_f64 v[134:135], v[134:135], v[136:137]
	s_waitcnt vmcnt(2)
	v_add_f64 v[2:3], v[130:131], -v[2:3]
	s_waitcnt vmcnt(0)
	v_add_f64 v[4:5], v[132:133], -v[134:135]
	buffer_store_dword v3, off, s[0:3], 0 offset:676
	buffer_store_dword v2, off, s[0:3], 0 offset:672
	;; [unrolled: 1-line block ×4, first 2 shown]
	s_and_saveexec_b64 s[4:5], vcc
	s_cbranch_execz .LBB121_281
; %bb.280:
	v_accvgpr_read_b32 v1, a133
	buffer_load_dword v2, v1, s[0:3], 0 offen
	buffer_load_dword v3, v1, s[0:3], 0 offen offset:4
	buffer_load_dword v4, v1, s[0:3], 0 offen offset:8
	;; [unrolled: 1-line block ×3, first 2 shown]
	v_mov_b32_e32 v1, 0
	v_accvgpr_read_b32 v6, a173
	buffer_store_dword v1, off, s[0:3], 0 offset:656
	buffer_store_dword v1, off, s[0:3], 0 offset:660
	;; [unrolled: 1-line block ×4, first 2 shown]
	s_waitcnt vmcnt(4)
	ds_write_b128 v6, v[2:5]
.LBB121_281:
	s_or_b64 exec, exec, s[4:5]
	s_waitcnt lgkmcnt(0)
	; wave barrier
	s_waitcnt lgkmcnt(0)
	buffer_load_dword v2, off, s[0:3], 0 offset:672
	buffer_load_dword v3, off, s[0:3], 0 offset:676
	;; [unrolled: 1-line block ×68, first 2 shown]
	v_mov_b32_e32 v1, 0
	buffer_load_dword v138, off, s[0:3], 0 offset:656
	buffer_load_dword v139, off, s[0:3], 0 offset:660
	;; [unrolled: 1-line block ×3, first 2 shown]
	ds_read_b128 v[46:49], v1 offset:1584
	ds_read_b128 v[50:53], v1 offset:1600
	buffer_load_dword v141, off, s[0:3], 0 offset:668
	ds_read_b128 v[54:57], v1 offset:1616
	ds_read_b128 v[58:61], v1 offset:1632
	;; [unrolled: 1-line block ×3, first 2 shown]
	v_cmp_lt_u32_e32 vcc, 39, v0
	s_waitcnt vmcnt(62) lgkmcnt(4)
	v_mul_f64 v[62:63], v[46:47], v[6:7]
	v_fmac_f64_e32 v[62:63], v[48:49], v[2:3]
	v_add_f64 v[62:63], v[62:63], 0
	v_mul_f64 v[6:7], v[48:49], v[6:7]
	s_waitcnt lgkmcnt(3)
	v_mul_f64 v[64:65], v[50:51], v[10:11]
	v_fmac_f64_e32 v[64:65], v[52:53], v[4:5]
	v_add_f64 v[62:63], v[62:63], v[64:65]
	v_fma_f64 v[2:3], v[46:47], v[2:3], -v[6:7]
	s_waitcnt vmcnt(60) lgkmcnt(2)
	v_mul_f64 v[64:65], v[54:55], v[12:13]
	v_fmac_f64_e32 v[64:65], v[56:57], v[8:9]
	v_add_f64 v[66:67], v[62:63], v[64:65]
	ds_read_b128 v[62:65], v1 offset:1648
	s_waitcnt vmcnt(56) lgkmcnt(2)
	v_mul_f64 v[68:69], v[58:59], v[18:19]
	v_mul_f64 v[6:7], v[52:53], v[10:11]
	s_waitcnt vmcnt(54)
	v_fmac_f64_e32 v[68:69], v[60:61], v[20:21]
	v_add_f64 v[70:71], v[66:67], v[68:69]
	ds_read_b128 v[66:69], v1 offset:1664
	s_waitcnt vmcnt(53) lgkmcnt(1)
	v_mul_f64 v[72:73], v[62:63], v[14:15]
	s_waitcnt vmcnt(52)
	v_fmac_f64_e32 v[72:73], v[64:65], v[16:17]
	v_add_f64 v[74:75], v[70:71], v[72:73]
	ds_read_b128 v[70:73], v1 offset:1680
	s_waitcnt vmcnt(48) lgkmcnt(1)
	;; [unrolled: 6-line block ×4, first 2 shown]
	v_mul_f64 v[84:85], v[74:75], v[34:35]
	s_waitcnt vmcnt(38)
	v_fmac_f64_e32 v[84:85], v[76:77], v[36:37]
	v_add_f64 v[2:3], v[2:3], 0
	v_fma_f64 v[4:5], v[50:51], v[4:5], -v[6:7]
	v_add_f64 v[86:87], v[82:83], v[84:85]
	ds_read_b128 v[82:85], v1 offset:1728
	v_add_f64 v[2:3], v[2:3], v[4:5]
	v_mul_f64 v[4:5], v[56:57], v[12:13]
	v_fma_f64 v[4:5], v[54:55], v[8:9], -v[4:5]
	v_add_f64 v[2:3], v[2:3], v[4:5]
	v_mul_f64 v[4:5], v[60:61], v[18:19]
	s_waitcnt vmcnt(37) lgkmcnt(1)
	v_mul_f64 v[88:89], v[78:79], v[30:31]
	v_fma_f64 v[4:5], v[58:59], v[20:21], -v[4:5]
	s_waitcnt vmcnt(36)
	v_fmac_f64_e32 v[88:89], v[80:81], v[32:33]
	v_add_f64 v[2:3], v[2:3], v[4:5]
	v_mul_f64 v[4:5], v[64:65], v[14:15]
	v_add_f64 v[90:91], v[86:87], v[88:89]
	ds_read_b128 v[86:89], v1 offset:1744
	s_waitcnt vmcnt(32) lgkmcnt(1)
	v_mul_f64 v[92:93], v[82:83], v[42:43]
	v_fma_f64 v[4:5], v[62:63], v[16:17], -v[4:5]
	s_waitcnt vmcnt(30)
	v_fmac_f64_e32 v[92:93], v[84:85], v[44:45]
	v_add_f64 v[2:3], v[2:3], v[4:5]
	v_mul_f64 v[4:5], v[68:69], v[26:27]
	v_add_f64 v[94:95], v[90:91], v[92:93]
	ds_read_b128 v[90:93], v1 offset:1760
	v_fma_f64 v[4:5], v[66:67], v[28:29], -v[4:5]
	v_add_f64 v[2:3], v[2:3], v[4:5]
	v_mul_f64 v[4:5], v[72:73], v[22:23]
	v_fma_f64 v[4:5], v[70:71], v[24:25], -v[4:5]
	s_waitcnt vmcnt(29) lgkmcnt(1)
	v_mul_f64 v[96:97], v[86:87], v[38:39]
	v_add_f64 v[2:3], v[2:3], v[4:5]
	v_mul_f64 v[4:5], v[76:77], v[34:35]
	s_waitcnt vmcnt(28)
	v_fmac_f64_e32 v[96:97], v[88:89], v[40:41]
	v_fma_f64 v[4:5], v[74:75], v[36:37], -v[4:5]
	v_add_f64 v[98:99], v[94:95], v[96:97]
	ds_read_b128 v[94:97], v1 offset:1776
	s_waitcnt vmcnt(24) lgkmcnt(1)
	v_mul_f64 v[100:101], v[90:91], v[118:119]
	v_add_f64 v[2:3], v[2:3], v[4:5]
	v_mul_f64 v[4:5], v[80:81], v[30:31]
	s_waitcnt vmcnt(22)
	v_fmac_f64_e32 v[100:101], v[92:93], v[120:121]
	v_fma_f64 v[4:5], v[78:79], v[32:33], -v[4:5]
	v_add_f64 v[102:103], v[98:99], v[100:101]
	ds_read_b128 v[98:101], v1 offset:1792
	v_add_f64 v[2:3], v[2:3], v[4:5]
	v_mul_f64 v[4:5], v[84:85], v[42:43]
	v_fma_f64 v[4:5], v[82:83], v[44:45], -v[4:5]
	v_add_f64 v[2:3], v[2:3], v[4:5]
	v_mul_f64 v[4:5], v[88:89], v[38:39]
	s_waitcnt vmcnt(21) lgkmcnt(1)
	v_mul_f64 v[104:105], v[94:95], v[114:115]
	v_fma_f64 v[4:5], v[86:87], v[40:41], -v[4:5]
	s_waitcnt vmcnt(20)
	v_fmac_f64_e32 v[104:105], v[96:97], v[116:117]
	v_add_f64 v[2:3], v[2:3], v[4:5]
	v_mul_f64 v[4:5], v[92:93], v[118:119]
	v_add_f64 v[106:107], v[102:103], v[104:105]
	ds_read_b128 v[102:105], v1 offset:1808
	s_waitcnt vmcnt(16) lgkmcnt(1)
	v_mul_f64 v[108:109], v[98:99], v[126:127]
	v_fma_f64 v[4:5], v[90:91], v[120:121], -v[4:5]
	s_waitcnt vmcnt(14)
	v_fmac_f64_e32 v[108:109], v[100:101], v[128:129]
	v_add_f64 v[2:3], v[2:3], v[4:5]
	v_mul_f64 v[4:5], v[96:97], v[114:115]
	v_add_f64 v[142:143], v[106:107], v[108:109]
	ds_read_b128 v[106:109], v1 offset:1824
	v_fma_f64 v[4:5], v[94:95], v[116:117], -v[4:5]
	v_add_f64 v[2:3], v[2:3], v[4:5]
	v_mul_f64 v[4:5], v[100:101], v[126:127]
	v_fma_f64 v[4:5], v[98:99], v[128:129], -v[4:5]
	v_add_f64 v[2:3], v[2:3], v[4:5]
	s_waitcnt vmcnt(13) lgkmcnt(1)
	v_mul_f64 v[4:5], v[104:105], v[122:123]
	v_mul_f64 v[144:145], v[102:103], v[122:123]
	s_waitcnt vmcnt(12)
	v_fma_f64 v[4:5], v[102:103], v[124:125], -v[4:5]
	v_fmac_f64_e32 v[144:145], v[104:105], v[124:125]
	v_add_f64 v[2:3], v[2:3], v[4:5]
	s_waitcnt vmcnt(8) lgkmcnt(0)
	v_mul_f64 v[4:5], v[108:109], v[134:135]
	v_add_f64 v[142:143], v[142:143], v[144:145]
	v_mul_f64 v[144:145], v[106:107], v[134:135]
	s_waitcnt vmcnt(6)
	v_fma_f64 v[4:5], v[106:107], v[136:137], -v[4:5]
	v_fmac_f64_e32 v[144:145], v[108:109], v[136:137]
	v_add_f64 v[2:3], v[2:3], v[4:5]
	s_waitcnt vmcnt(5)
	v_mul_f64 v[4:5], v[112:113], v[130:131]
	v_add_f64 v[142:143], v[142:143], v[144:145]
	v_mul_f64 v[144:145], v[110:111], v[130:131]
	s_waitcnt vmcnt(4)
	v_fma_f64 v[4:5], v[110:111], v[132:133], -v[4:5]
	v_fmac_f64_e32 v[144:145], v[112:113], v[132:133]
	v_add_f64 v[2:3], v[2:3], v[4:5]
	v_add_f64 v[142:143], v[142:143], v[144:145]
	s_waitcnt vmcnt(2)
	v_add_f64 v[2:3], v[138:139], -v[2:3]
	s_waitcnt vmcnt(0)
	v_add_f64 v[4:5], v[140:141], -v[142:143]
	buffer_store_dword v3, off, s[0:3], 0 offset:660
	buffer_store_dword v2, off, s[0:3], 0 offset:656
	;; [unrolled: 1-line block ×4, first 2 shown]
	s_and_saveexec_b64 s[4:5], vcc
	s_cbranch_execz .LBB121_283
; %bb.282:
	v_accvgpr_read_b32 v5, a134
	buffer_load_dword v2, v5, s[0:3], 0 offen
	buffer_load_dword v3, v5, s[0:3], 0 offen offset:4
	buffer_load_dword v4, v5, s[0:3], 0 offen offset:8
	s_nop 0
	buffer_load_dword v5, v5, s[0:3], 0 offen offset:12
	v_accvgpr_read_b32 v6, a173
	buffer_store_dword v1, off, s[0:3], 0 offset:640
	buffer_store_dword v1, off, s[0:3], 0 offset:644
	;; [unrolled: 1-line block ×4, first 2 shown]
	s_waitcnt vmcnt(4)
	ds_write_b128 v6, v[2:5]
.LBB121_283:
	s_or_b64 exec, exec, s[4:5]
	s_waitcnt lgkmcnt(0)
	; wave barrier
	s_waitcnt lgkmcnt(0)
	buffer_load_dword v2, off, s[0:3], 0 offset:656
	buffer_load_dword v3, off, s[0:3], 0 offset:660
	;; [unrolled: 1-line block ×72, first 2 shown]
	ds_read_b128 v[52:55], v1 offset:1568
	buffer_load_dword v146, off, s[0:3], 0 offset:640
	buffer_load_dword v147, off, s[0:3], 0 offset:644
	;; [unrolled: 1-line block ×4, first 2 shown]
	ds_read_b128 v[56:59], v1 offset:1584
	ds_read_b128 v[60:63], v1 offset:1600
	;; [unrolled: 1-line block ×3, first 2 shown]
	v_cmp_lt_u32_e32 vcc, 38, v0
	ds_read_b128 v[120:123], v1 offset:1840
	s_waitcnt vmcnt(62) lgkmcnt(4)
	v_mul_f64 v[68:69], v[52:53], v[8:9]
	v_fmac_f64_e32 v[68:69], v[54:55], v[2:3]
	v_add_f64 v[68:69], v[68:69], 0
	v_mul_f64 v[8:9], v[54:55], v[8:9]
	s_waitcnt lgkmcnt(3)
	v_mul_f64 v[70:71], v[56:57], v[10:11]
	v_fmac_f64_e32 v[70:71], v[58:59], v[4:5]
	v_add_f64 v[68:69], v[68:69], v[70:71]
	v_fma_f64 v[2:3], v[52:53], v[2:3], -v[8:9]
	s_waitcnt lgkmcnt(2)
	v_mul_f64 v[70:71], v[60:61], v[12:13]
	v_fmac_f64_e32 v[70:71], v[62:63], v[6:7]
	v_add_f64 v[72:73], v[68:69], v[70:71]
	ds_read_b128 v[68:71], v1 offset:1632
	s_waitcnt vmcnt(60) lgkmcnt(2)
	v_mul_f64 v[74:75], v[64:65], v[18:19]
	v_mul_f64 v[8:9], v[58:59], v[10:11]
	s_waitcnt vmcnt(58)
	v_fmac_f64_e32 v[74:75], v[66:67], v[20:21]
	v_add_f64 v[76:77], v[72:73], v[74:75]
	ds_read_b128 v[72:75], v1 offset:1648
	s_waitcnt vmcnt(57) lgkmcnt(1)
	v_mul_f64 v[78:79], v[68:69], v[14:15]
	s_waitcnt vmcnt(56)
	v_fmac_f64_e32 v[78:79], v[70:71], v[16:17]
	v_add_f64 v[80:81], v[76:77], v[78:79]
	ds_read_b128 v[76:79], v1 offset:1664
	s_waitcnt vmcnt(52) lgkmcnt(1)
	;; [unrolled: 6-line block ×4, first 2 shown]
	v_mul_f64 v[90:91], v[80:81], v[34:35]
	s_waitcnt vmcnt(42)
	v_fmac_f64_e32 v[90:91], v[82:83], v[36:37]
	v_add_f64 v[2:3], v[2:3], 0
	v_fma_f64 v[4:5], v[56:57], v[4:5], -v[8:9]
	v_add_f64 v[92:93], v[88:89], v[90:91]
	ds_read_b128 v[88:91], v1 offset:1712
	s_waitcnt vmcnt(41) lgkmcnt(1)
	v_mul_f64 v[94:95], v[84:85], v[30:31]
	v_add_f64 v[2:3], v[2:3], v[4:5]
	v_mul_f64 v[4:5], v[62:63], v[12:13]
	s_waitcnt vmcnt(40)
	v_fmac_f64_e32 v[94:95], v[86:87], v[32:33]
	v_fma_f64 v[4:5], v[60:61], v[6:7], -v[4:5]
	v_add_f64 v[96:97], v[92:93], v[94:95]
	ds_read_b128 v[92:95], v1 offset:1728
	v_add_f64 v[2:3], v[2:3], v[4:5]
	v_mul_f64 v[4:5], v[66:67], v[18:19]
	v_fma_f64 v[4:5], v[64:65], v[20:21], -v[4:5]
	v_add_f64 v[2:3], v[2:3], v[4:5]
	v_mul_f64 v[4:5], v[70:71], v[14:15]
	s_waitcnt vmcnt(36) lgkmcnt(1)
	v_mul_f64 v[98:99], v[88:89], v[42:43]
	v_fma_f64 v[4:5], v[68:69], v[16:17], -v[4:5]
	s_waitcnt vmcnt(34)
	v_fmac_f64_e32 v[98:99], v[90:91], v[44:45]
	v_add_f64 v[2:3], v[2:3], v[4:5]
	v_mul_f64 v[4:5], v[74:75], v[26:27]
	v_add_f64 v[100:101], v[96:97], v[98:99]
	ds_read_b128 v[96:99], v1 offset:1744
	s_waitcnt vmcnt(33) lgkmcnt(1)
	v_mul_f64 v[102:103], v[92:93], v[38:39]
	v_fma_f64 v[4:5], v[72:73], v[28:29], -v[4:5]
	s_waitcnt vmcnt(32)
	v_fmac_f64_e32 v[102:103], v[94:95], v[40:41]
	v_add_f64 v[2:3], v[2:3], v[4:5]
	v_mul_f64 v[4:5], v[78:79], v[22:23]
	v_add_f64 v[104:105], v[100:101], v[102:103]
	ds_read_b128 v[100:103], v1 offset:1760
	v_fma_f64 v[4:5], v[76:77], v[24:25], -v[4:5]
	v_add_f64 v[2:3], v[2:3], v[4:5]
	v_mul_f64 v[4:5], v[82:83], v[34:35]
	v_fma_f64 v[4:5], v[80:81], v[36:37], -v[4:5]
	s_waitcnt vmcnt(28) lgkmcnt(1)
	v_mul_f64 v[106:107], v[96:97], v[50:51]
	v_add_f64 v[2:3], v[2:3], v[4:5]
	v_mul_f64 v[4:5], v[86:87], v[30:31]
	s_waitcnt vmcnt(26)
	v_fmac_f64_e32 v[106:107], v[98:99], v[124:125]
	v_fma_f64 v[4:5], v[84:85], v[32:33], -v[4:5]
	v_add_f64 v[108:109], v[104:105], v[106:107]
	ds_read_b128 v[104:107], v1 offset:1776
	s_waitcnt vmcnt(25) lgkmcnt(1)
	v_mul_f64 v[110:111], v[100:101], v[46:47]
	v_add_f64 v[2:3], v[2:3], v[4:5]
	v_mul_f64 v[4:5], v[90:91], v[42:43]
	s_waitcnt vmcnt(24)
	v_fmac_f64_e32 v[110:111], v[102:103], v[48:49]
	v_fma_f64 v[4:5], v[88:89], v[44:45], -v[4:5]
	v_add_f64 v[112:113], v[108:109], v[110:111]
	ds_read_b128 v[108:111], v1 offset:1792
	v_add_f64 v[2:3], v[2:3], v[4:5]
	v_mul_f64 v[4:5], v[94:95], v[38:39]
	v_fma_f64 v[4:5], v[92:93], v[40:41], -v[4:5]
	v_add_f64 v[2:3], v[2:3], v[4:5]
	v_mul_f64 v[4:5], v[98:99], v[50:51]
	s_waitcnt vmcnt(20) lgkmcnt(1)
	v_mul_f64 v[114:115], v[104:105], v[130:131]
	v_fma_f64 v[4:5], v[96:97], v[124:125], -v[4:5]
	s_waitcnt vmcnt(18)
	v_fmac_f64_e32 v[114:115], v[106:107], v[132:133]
	v_add_f64 v[2:3], v[2:3], v[4:5]
	v_mul_f64 v[4:5], v[102:103], v[46:47]
	v_add_f64 v[116:117], v[112:113], v[114:115]
	ds_read_b128 v[112:115], v1 offset:1808
	s_waitcnt vmcnt(17) lgkmcnt(1)
	v_mul_f64 v[118:119], v[108:109], v[126:127]
	v_fma_f64 v[4:5], v[100:101], v[48:49], -v[4:5]
	s_waitcnt vmcnt(16)
	v_fmac_f64_e32 v[118:119], v[110:111], v[128:129]
	v_add_f64 v[2:3], v[2:3], v[4:5]
	v_mul_f64 v[4:5], v[106:107], v[130:131]
	v_add_f64 v[150:151], v[116:117], v[118:119]
	ds_read_b128 v[116:119], v1 offset:1824
	v_fma_f64 v[4:5], v[104:105], v[132:133], -v[4:5]
	v_add_f64 v[2:3], v[2:3], v[4:5]
	v_mul_f64 v[4:5], v[110:111], v[126:127]
	v_fma_f64 v[4:5], v[108:109], v[128:129], -v[4:5]
	v_add_f64 v[2:3], v[2:3], v[4:5]
	s_waitcnt vmcnt(12) lgkmcnt(1)
	v_mul_f64 v[4:5], v[114:115], v[138:139]
	v_mul_f64 v[152:153], v[112:113], v[138:139]
	s_waitcnt vmcnt(10)
	v_fma_f64 v[4:5], v[112:113], v[140:141], -v[4:5]
	v_fmac_f64_e32 v[152:153], v[114:115], v[140:141]
	v_add_f64 v[2:3], v[2:3], v[4:5]
	s_waitcnt vmcnt(9) lgkmcnt(0)
	v_mul_f64 v[4:5], v[118:119], v[134:135]
	v_add_f64 v[150:151], v[150:151], v[152:153]
	v_mul_f64 v[152:153], v[116:117], v[134:135]
	s_waitcnt vmcnt(8)
	v_fma_f64 v[4:5], v[116:117], v[136:137], -v[4:5]
	v_fmac_f64_e32 v[152:153], v[118:119], v[136:137]
	v_add_f64 v[2:3], v[2:3], v[4:5]
	s_waitcnt vmcnt(6)
	v_mul_f64 v[4:5], v[122:123], v[142:143]
	v_add_f64 v[150:151], v[150:151], v[152:153]
	v_mul_f64 v[152:153], v[120:121], v[142:143]
	s_waitcnt vmcnt(4)
	v_fma_f64 v[4:5], v[120:121], v[144:145], -v[4:5]
	v_fmac_f64_e32 v[152:153], v[122:123], v[144:145]
	v_add_f64 v[2:3], v[2:3], v[4:5]
	v_add_f64 v[150:151], v[150:151], v[152:153]
	s_waitcnt vmcnt(2)
	v_add_f64 v[2:3], v[146:147], -v[2:3]
	s_waitcnt vmcnt(0)
	v_add_f64 v[4:5], v[148:149], -v[150:151]
	buffer_store_dword v3, off, s[0:3], 0 offset:644
	buffer_store_dword v2, off, s[0:3], 0 offset:640
	;; [unrolled: 1-line block ×4, first 2 shown]
	s_and_saveexec_b64 s[4:5], vcc
	s_cbranch_execz .LBB121_285
; %bb.284:
	v_accvgpr_read_b32 v1, a135
	buffer_load_dword v2, v1, s[0:3], 0 offen
	buffer_load_dword v3, v1, s[0:3], 0 offen offset:4
	buffer_load_dword v4, v1, s[0:3], 0 offen offset:8
	;; [unrolled: 1-line block ×3, first 2 shown]
	v_mov_b32_e32 v1, 0
	v_accvgpr_read_b32 v6, a173
	buffer_store_dword v1, off, s[0:3], 0 offset:624
	buffer_store_dword v1, off, s[0:3], 0 offset:628
	;; [unrolled: 1-line block ×4, first 2 shown]
	s_waitcnt vmcnt(4)
	ds_write_b128 v6, v[2:5]
.LBB121_285:
	s_or_b64 exec, exec, s[4:5]
	s_waitcnt lgkmcnt(0)
	; wave barrier
	s_waitcnt lgkmcnt(0)
	buffer_load_dword v2, off, s[0:3], 0 offset:640
	buffer_load_dword v3, off, s[0:3], 0 offset:644
	buffer_load_dword v8, off, s[0:3], 0 offset:648
	buffer_load_dword v9, off, s[0:3], 0 offset:652
	buffer_load_dword v4, off, s[0:3], 0 offset:656
	buffer_load_dword v5, off, s[0:3], 0 offset:660
	buffer_load_dword v10, off, s[0:3], 0 offset:664
	buffer_load_dword v11, off, s[0:3], 0 offset:668
	buffer_load_dword v6, off, s[0:3], 0 offset:672
	buffer_load_dword v7, off, s[0:3], 0 offset:676
	buffer_load_dword v12, off, s[0:3], 0 offset:680
	buffer_load_dword v13, off, s[0:3], 0 offset:684
	buffer_load_dword v15, off, s[0:3], 0 offset:716
	buffer_load_dword v17, off, s[0:3], 0 offset:708
	buffer_load_dword v19, off, s[0:3], 0 offset:700
	buffer_load_dword v18, off, s[0:3], 0 offset:696
	buffer_load_dword v21, off, s[0:3], 0 offset:692
	buffer_load_dword v20, off, s[0:3], 0 offset:688
	buffer_load_dword v14, off, s[0:3], 0 offset:712
	buffer_load_dword v16, off, s[0:3], 0 offset:704
	buffer_load_dword v23, off, s[0:3], 0 offset:748
	buffer_load_dword v25, off, s[0:3], 0 offset:740
	buffer_load_dword v27, off, s[0:3], 0 offset:732
	buffer_load_dword v26, off, s[0:3], 0 offset:728
	buffer_load_dword v29, off, s[0:3], 0 offset:724
	buffer_load_dword v28, off, s[0:3], 0 offset:720
	buffer_load_dword v22, off, s[0:3], 0 offset:744
	buffer_load_dword v24, off, s[0:3], 0 offset:736
	buffer_load_dword v31, off, s[0:3], 0 offset:780
	buffer_load_dword v33, off, s[0:3], 0 offset:772
	buffer_load_dword v35, off, s[0:3], 0 offset:764
	buffer_load_dword v34, off, s[0:3], 0 offset:760
	buffer_load_dword v37, off, s[0:3], 0 offset:756
	buffer_load_dword v36, off, s[0:3], 0 offset:752
	buffer_load_dword v30, off, s[0:3], 0 offset:776
	buffer_load_dword v32, off, s[0:3], 0 offset:768
	buffer_load_dword v39, off, s[0:3], 0 offset:812
	buffer_load_dword v41, off, s[0:3], 0 offset:804
	buffer_load_dword v43, off, s[0:3], 0 offset:796
	buffer_load_dword v42, off, s[0:3], 0 offset:792
	buffer_load_dword v45, off, s[0:3], 0 offset:788
	buffer_load_dword v44, off, s[0:3], 0 offset:784
	buffer_load_dword v38, off, s[0:3], 0 offset:808
	buffer_load_dword v40, off, s[0:3], 0 offset:800
	buffer_load_dword v47, off, s[0:3], 0 offset:844
	buffer_load_dword v49, off, s[0:3], 0 offset:836
	buffer_load_dword v51, off, s[0:3], 0 offset:828
	buffer_load_dword v50, off, s[0:3], 0 offset:824
	buffer_load_dword v53, off, s[0:3], 0 offset:820
	buffer_load_dword v52, off, s[0:3], 0 offset:816
	buffer_load_dword v46, off, s[0:3], 0 offset:840
	buffer_load_dword v48, off, s[0:3], 0 offset:832
	buffer_load_dword v131, off, s[0:3], 0 offset:876
	buffer_load_dword v133, off, s[0:3], 0 offset:868
	buffer_load_dword v135, off, s[0:3], 0 offset:860
	buffer_load_dword v134, off, s[0:3], 0 offset:856
	buffer_load_dword v137, off, s[0:3], 0 offset:852
	buffer_load_dword v136, off, s[0:3], 0 offset:848
	buffer_load_dword v130, off, s[0:3], 0 offset:872
	buffer_load_dword v132, off, s[0:3], 0 offset:864
	buffer_load_dword v139, off, s[0:3], 0 offset:908
	buffer_load_dword v141, off, s[0:3], 0 offset:900
	buffer_load_dword v143, off, s[0:3], 0 offset:892
	buffer_load_dword v142, off, s[0:3], 0 offset:888
	buffer_load_dword v145, off, s[0:3], 0 offset:884
	buffer_load_dword v144, off, s[0:3], 0 offset:880
	buffer_load_dword v138, off, s[0:3], 0 offset:904
	buffer_load_dword v140, off, s[0:3], 0 offset:896
	buffer_load_dword v147, off, s[0:3], 0 offset:940
	buffer_load_dword v149, off, s[0:3], 0 offset:932
	buffer_load_dword v151, off, s[0:3], 0 offset:924
	buffer_load_dword v150, off, s[0:3], 0 offset:920
	buffer_load_dword v153, off, s[0:3], 0 offset:916
	buffer_load_dword v152, off, s[0:3], 0 offset:912
	buffer_load_dword v146, off, s[0:3], 0 offset:936
	buffer_load_dword v148, off, s[0:3], 0 offset:928
	v_mov_b32_e32 v1, 0
	ds_read_b128 v[54:57], v1 offset:1552
	buffer_load_dword v154, off, s[0:3], 0 offset:624
	buffer_load_dword v155, off, s[0:3], 0 offset:628
	;; [unrolled: 1-line block ×4, first 2 shown]
	ds_read_b128 v[58:61], v1 offset:1568
	ds_read_b128 v[62:65], v1 offset:1584
	;; [unrolled: 1-line block ×4, first 2 shown]
	v_cmp_lt_u32_e32 vcc, 37, v0
	s_waitcnt vmcnt(62) lgkmcnt(4)
	v_mul_f64 v[70:71], v[54:55], v[8:9]
	v_fmac_f64_e32 v[70:71], v[56:57], v[2:3]
	v_add_f64 v[70:71], v[70:71], 0
	v_mul_f64 v[8:9], v[56:57], v[8:9]
	s_waitcnt lgkmcnt(3)
	v_mul_f64 v[72:73], v[58:59], v[10:11]
	v_fmac_f64_e32 v[72:73], v[60:61], v[4:5]
	v_add_f64 v[70:71], v[70:71], v[72:73]
	v_fma_f64 v[2:3], v[54:55], v[2:3], -v[8:9]
	s_waitcnt lgkmcnt(2)
	v_mul_f64 v[72:73], v[62:63], v[12:13]
	v_fmac_f64_e32 v[72:73], v[64:65], v[6:7]
	v_add_f64 v[74:75], v[70:71], v[72:73]
	ds_read_b128 v[70:73], v1 offset:1616
	s_waitcnt lgkmcnt(2)
	v_mul_f64 v[76:77], v[66:67], v[18:19]
	v_mul_f64 v[8:9], v[60:61], v[10:11]
	v_fmac_f64_e32 v[76:77], v[68:69], v[20:21]
	v_add_f64 v[78:79], v[74:75], v[76:77]
	ds_read_b128 v[74:77], v1 offset:1632
	s_waitcnt vmcnt(61) lgkmcnt(1)
	v_mul_f64 v[80:81], v[70:71], v[14:15]
	s_waitcnt vmcnt(60)
	v_fmac_f64_e32 v[80:81], v[72:73], v[16:17]
	v_add_f64 v[82:83], v[78:79], v[80:81]
	ds_read_b128 v[78:81], v1 offset:1648
	s_waitcnt vmcnt(56) lgkmcnt(1)
	v_mul_f64 v[84:85], v[74:75], v[26:27]
	s_waitcnt vmcnt(54)
	;; [unrolled: 6-line block ×4, first 2 shown]
	v_fmac_f64_e32 v[92:93], v[84:85], v[36:37]
	v_add_f64 v[94:95], v[90:91], v[92:93]
	ds_read_b128 v[90:93], v1 offset:1696
	v_add_f64 v[2:3], v[2:3], 0
	v_fma_f64 v[4:5], v[58:59], v[4:5], -v[8:9]
	s_waitcnt vmcnt(45) lgkmcnt(1)
	v_mul_f64 v[96:97], v[86:87], v[30:31]
	v_add_f64 v[2:3], v[2:3], v[4:5]
	v_mul_f64 v[4:5], v[64:65], v[12:13]
	s_waitcnt vmcnt(44)
	v_fmac_f64_e32 v[96:97], v[88:89], v[32:33]
	v_fma_f64 v[4:5], v[62:63], v[6:7], -v[4:5]
	v_add_f64 v[98:99], v[94:95], v[96:97]
	ds_read_b128 v[94:97], v1 offset:1712
	s_waitcnt vmcnt(40) lgkmcnt(1)
	v_mul_f64 v[100:101], v[90:91], v[42:43]
	v_add_f64 v[2:3], v[2:3], v[4:5]
	v_mul_f64 v[4:5], v[68:69], v[18:19]
	s_waitcnt vmcnt(38)
	v_fmac_f64_e32 v[100:101], v[92:93], v[44:45]
	v_fma_f64 v[4:5], v[66:67], v[20:21], -v[4:5]
	v_add_f64 v[102:103], v[98:99], v[100:101]
	ds_read_b128 v[98:101], v1 offset:1728
	v_add_f64 v[2:3], v[2:3], v[4:5]
	v_mul_f64 v[4:5], v[72:73], v[14:15]
	v_fma_f64 v[4:5], v[70:71], v[16:17], -v[4:5]
	v_add_f64 v[2:3], v[2:3], v[4:5]
	v_mul_f64 v[4:5], v[76:77], v[26:27]
	s_waitcnt vmcnt(37) lgkmcnt(1)
	v_mul_f64 v[104:105], v[94:95], v[38:39]
	v_fma_f64 v[4:5], v[74:75], v[28:29], -v[4:5]
	s_waitcnt vmcnt(36)
	v_fmac_f64_e32 v[104:105], v[96:97], v[40:41]
	v_add_f64 v[2:3], v[2:3], v[4:5]
	v_mul_f64 v[4:5], v[80:81], v[22:23]
	v_add_f64 v[106:107], v[102:103], v[104:105]
	ds_read_b128 v[102:105], v1 offset:1744
	s_waitcnt vmcnt(32) lgkmcnt(1)
	v_mul_f64 v[108:109], v[98:99], v[50:51]
	v_fma_f64 v[4:5], v[78:79], v[24:25], -v[4:5]
	s_waitcnt vmcnt(30)
	v_fmac_f64_e32 v[108:109], v[100:101], v[52:53]
	v_add_f64 v[2:3], v[2:3], v[4:5]
	v_mul_f64 v[4:5], v[84:85], v[34:35]
	v_add_f64 v[110:111], v[106:107], v[108:109]
	ds_read_b128 v[106:109], v1 offset:1760
	v_fma_f64 v[4:5], v[82:83], v[36:37], -v[4:5]
	v_add_f64 v[2:3], v[2:3], v[4:5]
	v_mul_f64 v[4:5], v[88:89], v[30:31]
	v_fma_f64 v[4:5], v[86:87], v[32:33], -v[4:5]
	s_waitcnt vmcnt(29) lgkmcnt(1)
	v_mul_f64 v[112:113], v[102:103], v[46:47]
	v_add_f64 v[2:3], v[2:3], v[4:5]
	v_mul_f64 v[4:5], v[92:93], v[42:43]
	s_waitcnt vmcnt(28)
	v_fmac_f64_e32 v[112:113], v[104:105], v[48:49]
	v_fma_f64 v[4:5], v[90:91], v[44:45], -v[4:5]
	v_add_f64 v[114:115], v[110:111], v[112:113]
	ds_read_b128 v[110:113], v1 offset:1776
	s_waitcnt vmcnt(24) lgkmcnt(1)
	v_mul_f64 v[116:117], v[106:107], v[134:135]
	v_add_f64 v[2:3], v[2:3], v[4:5]
	v_mul_f64 v[4:5], v[96:97], v[38:39]
	s_waitcnt vmcnt(22)
	v_fmac_f64_e32 v[116:117], v[108:109], v[136:137]
	v_fma_f64 v[4:5], v[94:95], v[40:41], -v[4:5]
	v_add_f64 v[118:119], v[114:115], v[116:117]
	ds_read_b128 v[114:117], v1 offset:1792
	v_add_f64 v[2:3], v[2:3], v[4:5]
	v_mul_f64 v[4:5], v[100:101], v[50:51]
	v_fma_f64 v[4:5], v[98:99], v[52:53], -v[4:5]
	v_add_f64 v[2:3], v[2:3], v[4:5]
	v_mul_f64 v[4:5], v[104:105], v[46:47]
	s_waitcnt vmcnt(21) lgkmcnt(1)
	v_mul_f64 v[120:121], v[110:111], v[130:131]
	v_fma_f64 v[4:5], v[102:103], v[48:49], -v[4:5]
	s_waitcnt vmcnt(20)
	v_fmac_f64_e32 v[120:121], v[112:113], v[132:133]
	v_add_f64 v[2:3], v[2:3], v[4:5]
	v_mul_f64 v[4:5], v[108:109], v[134:135]
	v_add_f64 v[122:123], v[118:119], v[120:121]
	ds_read_b128 v[118:121], v1 offset:1808
	s_waitcnt vmcnt(16) lgkmcnt(1)
	v_mul_f64 v[124:125], v[114:115], v[142:143]
	v_fma_f64 v[4:5], v[106:107], v[136:137], -v[4:5]
	s_waitcnt vmcnt(14)
	v_fmac_f64_e32 v[124:125], v[116:117], v[144:145]
	v_add_f64 v[2:3], v[2:3], v[4:5]
	v_mul_f64 v[4:5], v[112:113], v[130:131]
	v_add_f64 v[158:159], v[122:123], v[124:125]
	ds_read_b128 v[122:125], v1 offset:1824
	v_fma_f64 v[4:5], v[110:111], v[132:133], -v[4:5]
	v_add_f64 v[2:3], v[2:3], v[4:5]
	v_mul_f64 v[4:5], v[116:117], v[142:143]
	v_fma_f64 v[4:5], v[114:115], v[144:145], -v[4:5]
	v_add_f64 v[2:3], v[2:3], v[4:5]
	s_waitcnt vmcnt(13) lgkmcnt(1)
	v_mul_f64 v[4:5], v[120:121], v[138:139]
	v_mul_f64 v[160:161], v[118:119], v[138:139]
	s_waitcnt vmcnt(12)
	v_fma_f64 v[4:5], v[118:119], v[140:141], -v[4:5]
	v_fmac_f64_e32 v[160:161], v[120:121], v[140:141]
	v_add_f64 v[2:3], v[2:3], v[4:5]
	s_waitcnt vmcnt(8) lgkmcnt(0)
	v_mul_f64 v[4:5], v[124:125], v[150:151]
	v_add_f64 v[158:159], v[158:159], v[160:161]
	v_mul_f64 v[160:161], v[122:123], v[150:151]
	s_waitcnt vmcnt(6)
	v_fma_f64 v[4:5], v[122:123], v[152:153], -v[4:5]
	v_fmac_f64_e32 v[160:161], v[124:125], v[152:153]
	v_add_f64 v[2:3], v[2:3], v[4:5]
	s_waitcnt vmcnt(5)
	v_mul_f64 v[4:5], v[128:129], v[146:147]
	v_add_f64 v[158:159], v[158:159], v[160:161]
	v_mul_f64 v[160:161], v[126:127], v[146:147]
	s_waitcnt vmcnt(4)
	v_fma_f64 v[4:5], v[126:127], v[148:149], -v[4:5]
	v_fmac_f64_e32 v[160:161], v[128:129], v[148:149]
	v_add_f64 v[2:3], v[2:3], v[4:5]
	v_add_f64 v[158:159], v[158:159], v[160:161]
	s_waitcnt vmcnt(2)
	v_add_f64 v[2:3], v[154:155], -v[2:3]
	s_waitcnt vmcnt(0)
	v_add_f64 v[4:5], v[156:157], -v[158:159]
	buffer_store_dword v3, off, s[0:3], 0 offset:628
	buffer_store_dword v2, off, s[0:3], 0 offset:624
	;; [unrolled: 1-line block ×4, first 2 shown]
	s_and_saveexec_b64 s[4:5], vcc
	s_cbranch_execz .LBB121_287
; %bb.286:
	v_accvgpr_read_b32 v5, a136
	buffer_load_dword v2, v5, s[0:3], 0 offen
	buffer_load_dword v3, v5, s[0:3], 0 offen offset:4
	buffer_load_dword v4, v5, s[0:3], 0 offen offset:8
	s_nop 0
	buffer_load_dword v5, v5, s[0:3], 0 offen offset:12
	v_accvgpr_read_b32 v6, a173
	buffer_store_dword v1, off, s[0:3], 0 offset:608
	buffer_store_dword v1, off, s[0:3], 0 offset:612
	;; [unrolled: 1-line block ×4, first 2 shown]
	s_waitcnt vmcnt(4)
	ds_write_b128 v6, v[2:5]
.LBB121_287:
	s_or_b64 exec, exec, s[4:5]
	s_waitcnt lgkmcnt(0)
	; wave barrier
	s_waitcnt lgkmcnt(0)
	buffer_load_dword v2, off, s[0:3], 0 offset:624
	buffer_load_dword v3, off, s[0:3], 0 offset:628
	buffer_load_dword v8, off, s[0:3], 0 offset:632
	buffer_load_dword v9, off, s[0:3], 0 offset:636
	buffer_load_dword v4, off, s[0:3], 0 offset:640
	buffer_load_dword v5, off, s[0:3], 0 offset:644
	buffer_load_dword v10, off, s[0:3], 0 offset:648
	buffer_load_dword v11, off, s[0:3], 0 offset:652
	buffer_load_dword v6, off, s[0:3], 0 offset:656
	buffer_load_dword v7, off, s[0:3], 0 offset:660
	buffer_load_dword v12, off, s[0:3], 0 offset:664
	buffer_load_dword v13, off, s[0:3], 0 offset:668
	buffer_load_dword v15, off, s[0:3], 0 offset:700
	buffer_load_dword v14, off, s[0:3], 0 offset:696
	buffer_load_dword v17, off, s[0:3], 0 offset:692
	buffer_load_dword v16, off, s[0:3], 0 offset:688
	buffer_load_dword v19, off, s[0:3], 0 offset:684
	buffer_load_dword v18, off, s[0:3], 0 offset:680
	buffer_load_dword v21, off, s[0:3], 0 offset:676
	buffer_load_dword v20, off, s[0:3], 0 offset:672
	buffer_load_dword v23, off, s[0:3], 0 offset:732
	buffer_load_dword v22, off, s[0:3], 0 offset:728
	buffer_load_dword v25, off, s[0:3], 0 offset:724
	buffer_load_dword v24, off, s[0:3], 0 offset:720
	buffer_load_dword v27, off, s[0:3], 0 offset:716
	buffer_load_dword v26, off, s[0:3], 0 offset:712
	buffer_load_dword v29, off, s[0:3], 0 offset:708
	buffer_load_dword v28, off, s[0:3], 0 offset:704
	buffer_load_dword v31, off, s[0:3], 0 offset:764
	buffer_load_dword v30, off, s[0:3], 0 offset:760
	buffer_load_dword v33, off, s[0:3], 0 offset:756
	buffer_load_dword v32, off, s[0:3], 0 offset:752
	buffer_load_dword v35, off, s[0:3], 0 offset:748
	buffer_load_dword v34, off, s[0:3], 0 offset:744
	buffer_load_dword v37, off, s[0:3], 0 offset:740
	buffer_load_dword v36, off, s[0:3], 0 offset:736
	buffer_load_dword v39, off, s[0:3], 0 offset:796
	buffer_load_dword v38, off, s[0:3], 0 offset:792
	buffer_load_dword v41, off, s[0:3], 0 offset:788
	buffer_load_dword v40, off, s[0:3], 0 offset:784
	buffer_load_dword v43, off, s[0:3], 0 offset:780
	buffer_load_dword v42, off, s[0:3], 0 offset:776
	buffer_load_dword v45, off, s[0:3], 0 offset:772
	buffer_load_dword v44, off, s[0:3], 0 offset:768
	buffer_load_dword v47, off, s[0:3], 0 offset:828
	buffer_load_dword v46, off, s[0:3], 0 offset:824
	buffer_load_dword v49, off, s[0:3], 0 offset:820
	buffer_load_dword v48, off, s[0:3], 0 offset:816
	buffer_load_dword v51, off, s[0:3], 0 offset:812
	buffer_load_dword v50, off, s[0:3], 0 offset:808
	buffer_load_dword v53, off, s[0:3], 0 offset:804
	buffer_load_dword v52, off, s[0:3], 0 offset:800
	buffer_load_dword v135, off, s[0:3], 0 offset:860
	buffer_load_dword v134, off, s[0:3], 0 offset:856
	buffer_load_dword v137, off, s[0:3], 0 offset:852
	buffer_load_dword v136, off, s[0:3], 0 offset:848
	buffer_load_dword v139, off, s[0:3], 0 offset:844
	buffer_load_dword v138, off, s[0:3], 0 offset:840
	buffer_load_dword v141, off, s[0:3], 0 offset:836
	buffer_load_dword v140, off, s[0:3], 0 offset:832
	buffer_load_dword v143, off, s[0:3], 0 offset:892
	buffer_load_dword v142, off, s[0:3], 0 offset:888
	buffer_load_dword v145, off, s[0:3], 0 offset:884
	buffer_load_dword v144, off, s[0:3], 0 offset:880
	buffer_load_dword v147, off, s[0:3], 0 offset:876
	buffer_load_dword v146, off, s[0:3], 0 offset:872
	buffer_load_dword v149, off, s[0:3], 0 offset:868
	buffer_load_dword v148, off, s[0:3], 0 offset:864
	buffer_load_dword v151, off, s[0:3], 0 offset:924
	buffer_load_dword v150, off, s[0:3], 0 offset:920
	buffer_load_dword v153, off, s[0:3], 0 offset:916
	buffer_load_dword v152, off, s[0:3], 0 offset:912
	buffer_load_dword v155, off, s[0:3], 0 offset:908
	buffer_load_dword v154, off, s[0:3], 0 offset:904
	buffer_load_dword v157, off, s[0:3], 0 offset:900
	buffer_load_dword v156, off, s[0:3], 0 offset:896
	ds_read_b128 v[54:57], v1 offset:1536
	buffer_load_dword v159, off, s[0:3], 0 offset:940
	buffer_load_dword v158, off, s[0:3], 0 offset:936
	;; [unrolled: 1-line block ×8, first 2 shown]
	ds_read_b128 v[58:61], v1 offset:1552
	ds_read_b128 v[62:65], v1 offset:1568
	;; [unrolled: 1-line block ×3, first 2 shown]
	v_cmp_lt_u32_e32 vcc, 36, v0
	ds_read_b128 v[130:133], v1 offset:1840
	s_waitcnt vmcnt(62) lgkmcnt(4)
	v_mul_f64 v[70:71], v[54:55], v[8:9]
	v_fmac_f64_e32 v[70:71], v[56:57], v[2:3]
	v_add_f64 v[70:71], v[70:71], 0
	v_mul_f64 v[8:9], v[56:57], v[8:9]
	s_waitcnt lgkmcnt(3)
	v_mul_f64 v[72:73], v[58:59], v[10:11]
	v_fmac_f64_e32 v[72:73], v[60:61], v[4:5]
	v_add_f64 v[70:71], v[70:71], v[72:73]
	v_fma_f64 v[2:3], v[54:55], v[2:3], -v[8:9]
	s_waitcnt lgkmcnt(2)
	v_mul_f64 v[72:73], v[62:63], v[12:13]
	v_fmac_f64_e32 v[72:73], v[64:65], v[6:7]
	v_add_f64 v[74:75], v[70:71], v[72:73]
	ds_read_b128 v[70:73], v1 offset:1600
	v_mul_f64 v[8:9], v[60:61], v[10:11]
	v_add_f64 v[2:3], v[2:3], 0
	s_waitcnt lgkmcnt(2)
	v_mul_f64 v[76:77], v[66:67], v[18:19]
	v_fma_f64 v[4:5], v[58:59], v[4:5], -v[8:9]
	v_fmac_f64_e32 v[76:77], v[68:69], v[20:21]
	v_add_f64 v[78:79], v[74:75], v[76:77]
	ds_read_b128 v[74:77], v1 offset:1616
	s_waitcnt lgkmcnt(1)
	v_mul_f64 v[80:81], v[70:71], v[14:15]
	v_fmac_f64_e32 v[80:81], v[72:73], v[16:17]
	v_add_f64 v[82:83], v[78:79], v[80:81]
	ds_read_b128 v[78:81], v1 offset:1632
	s_waitcnt vmcnt(58) lgkmcnt(1)
	v_mul_f64 v[84:85], v[74:75], v[26:27]
	s_waitcnt vmcnt(56)
	v_fmac_f64_e32 v[84:85], v[76:77], v[28:29]
	v_add_f64 v[86:87], v[82:83], v[84:85]
	ds_read_b128 v[82:85], v1 offset:1648
	s_waitcnt lgkmcnt(1)
	v_mul_f64 v[88:89], v[78:79], v[22:23]
	v_fmac_f64_e32 v[88:89], v[80:81], v[24:25]
	v_add_f64 v[90:91], v[86:87], v[88:89]
	ds_read_b128 v[86:89], v1 offset:1664
	s_waitcnt vmcnt(50) lgkmcnt(1)
	v_mul_f64 v[92:93], v[82:83], v[34:35]
	s_waitcnt vmcnt(48)
	v_fmac_f64_e32 v[92:93], v[84:85], v[36:37]
	v_add_f64 v[94:95], v[90:91], v[92:93]
	ds_read_b128 v[90:93], v1 offset:1680
	s_waitcnt lgkmcnt(1)
	v_mul_f64 v[96:97], v[86:87], v[30:31]
	v_fmac_f64_e32 v[96:97], v[88:89], v[32:33]
	v_add_f64 v[98:99], v[94:95], v[96:97]
	ds_read_b128 v[94:97], v1 offset:1696
	v_add_f64 v[2:3], v[2:3], v[4:5]
	v_mul_f64 v[4:5], v[64:65], v[12:13]
	v_fma_f64 v[4:5], v[62:63], v[6:7], -v[4:5]
	s_waitcnt vmcnt(42) lgkmcnt(1)
	v_mul_f64 v[100:101], v[90:91], v[42:43]
	v_add_f64 v[2:3], v[2:3], v[4:5]
	v_mul_f64 v[4:5], v[68:69], v[18:19]
	s_waitcnt vmcnt(40)
	v_fmac_f64_e32 v[100:101], v[92:93], v[44:45]
	v_fma_f64 v[4:5], v[66:67], v[20:21], -v[4:5]
	v_add_f64 v[102:103], v[98:99], v[100:101]
	ds_read_b128 v[98:101], v1 offset:1712
	s_waitcnt lgkmcnt(1)
	v_mul_f64 v[104:105], v[94:95], v[38:39]
	v_add_f64 v[2:3], v[2:3], v[4:5]
	v_mul_f64 v[4:5], v[72:73], v[14:15]
	v_fmac_f64_e32 v[104:105], v[96:97], v[40:41]
	v_fma_f64 v[4:5], v[70:71], v[16:17], -v[4:5]
	v_add_f64 v[106:107], v[102:103], v[104:105]
	ds_read_b128 v[102:105], v1 offset:1728
	v_add_f64 v[2:3], v[2:3], v[4:5]
	v_mul_f64 v[4:5], v[76:77], v[26:27]
	v_fma_f64 v[4:5], v[74:75], v[28:29], -v[4:5]
	v_add_f64 v[2:3], v[2:3], v[4:5]
	v_mul_f64 v[4:5], v[80:81], v[22:23]
	s_waitcnt vmcnt(34) lgkmcnt(1)
	v_mul_f64 v[108:109], v[98:99], v[50:51]
	v_fma_f64 v[4:5], v[78:79], v[24:25], -v[4:5]
	s_waitcnt vmcnt(32)
	v_fmac_f64_e32 v[108:109], v[100:101], v[52:53]
	v_add_f64 v[2:3], v[2:3], v[4:5]
	v_mul_f64 v[4:5], v[84:85], v[34:35]
	v_add_f64 v[110:111], v[106:107], v[108:109]
	ds_read_b128 v[106:109], v1 offset:1744
	s_waitcnt lgkmcnt(1)
	v_mul_f64 v[112:113], v[102:103], v[46:47]
	v_fma_f64 v[4:5], v[82:83], v[36:37], -v[4:5]
	v_fmac_f64_e32 v[112:113], v[104:105], v[48:49]
	v_add_f64 v[2:3], v[2:3], v[4:5]
	v_mul_f64 v[4:5], v[88:89], v[30:31]
	v_add_f64 v[114:115], v[110:111], v[112:113]
	ds_read_b128 v[110:113], v1 offset:1760
	v_fma_f64 v[4:5], v[86:87], v[32:33], -v[4:5]
	v_add_f64 v[2:3], v[2:3], v[4:5]
	v_mul_f64 v[4:5], v[92:93], v[42:43]
	v_fma_f64 v[4:5], v[90:91], v[44:45], -v[4:5]
	s_waitcnt vmcnt(26) lgkmcnt(1)
	v_mul_f64 v[116:117], v[106:107], v[138:139]
	v_add_f64 v[2:3], v[2:3], v[4:5]
	v_mul_f64 v[4:5], v[96:97], v[38:39]
	s_waitcnt vmcnt(24)
	v_fmac_f64_e32 v[116:117], v[108:109], v[140:141]
	v_fma_f64 v[4:5], v[94:95], v[40:41], -v[4:5]
	v_add_f64 v[118:119], v[114:115], v[116:117]
	ds_read_b128 v[114:117], v1 offset:1776
	s_waitcnt lgkmcnt(1)
	v_mul_f64 v[120:121], v[110:111], v[134:135]
	v_add_f64 v[2:3], v[2:3], v[4:5]
	v_mul_f64 v[4:5], v[100:101], v[50:51]
	v_fmac_f64_e32 v[120:121], v[112:113], v[136:137]
	v_fma_f64 v[4:5], v[98:99], v[52:53], -v[4:5]
	v_add_f64 v[122:123], v[118:119], v[120:121]
	ds_read_b128 v[118:121], v1 offset:1792
	v_add_f64 v[2:3], v[2:3], v[4:5]
	v_mul_f64 v[4:5], v[104:105], v[46:47]
	v_fma_f64 v[4:5], v[102:103], v[48:49], -v[4:5]
	v_add_f64 v[2:3], v[2:3], v[4:5]
	v_mul_f64 v[4:5], v[108:109], v[138:139]
	s_waitcnt vmcnt(18) lgkmcnt(1)
	v_mul_f64 v[124:125], v[114:115], v[146:147]
	v_fma_f64 v[4:5], v[106:107], v[140:141], -v[4:5]
	s_waitcnt vmcnt(16)
	v_fmac_f64_e32 v[124:125], v[116:117], v[148:149]
	v_add_f64 v[2:3], v[2:3], v[4:5]
	v_mul_f64 v[4:5], v[112:113], v[134:135]
	v_add_f64 v[126:127], v[122:123], v[124:125]
	ds_read_b128 v[122:125], v1 offset:1808
	s_waitcnt lgkmcnt(1)
	v_mul_f64 v[128:129], v[118:119], v[142:143]
	v_fma_f64 v[4:5], v[110:111], v[136:137], -v[4:5]
	v_fmac_f64_e32 v[128:129], v[120:121], v[144:145]
	v_add_f64 v[2:3], v[2:3], v[4:5]
	v_mul_f64 v[4:5], v[116:117], v[146:147]
	v_add_f64 v[166:167], v[126:127], v[128:129]
	ds_read_b128 v[126:129], v1 offset:1824
	v_fma_f64 v[4:5], v[114:115], v[148:149], -v[4:5]
	v_add_f64 v[2:3], v[2:3], v[4:5]
	v_mul_f64 v[4:5], v[120:121], v[142:143]
	v_fma_f64 v[4:5], v[118:119], v[144:145], -v[4:5]
	v_add_f64 v[2:3], v[2:3], v[4:5]
	s_waitcnt vmcnt(10) lgkmcnt(1)
	v_mul_f64 v[4:5], v[124:125], v[154:155]
	v_mul_f64 v[168:169], v[122:123], v[154:155]
	s_waitcnt vmcnt(8)
	v_fma_f64 v[4:5], v[122:123], v[156:157], -v[4:5]
	v_fmac_f64_e32 v[168:169], v[124:125], v[156:157]
	v_add_f64 v[2:3], v[2:3], v[4:5]
	s_waitcnt lgkmcnt(0)
	v_mul_f64 v[4:5], v[128:129], v[150:151]
	v_add_f64 v[166:167], v[166:167], v[168:169]
	v_mul_f64 v[168:169], v[126:127], v[150:151]
	v_fma_f64 v[4:5], v[126:127], v[152:153], -v[4:5]
	v_fmac_f64_e32 v[168:169], v[128:129], v[152:153]
	v_add_f64 v[2:3], v[2:3], v[4:5]
	s_waitcnt vmcnt(6)
	v_mul_f64 v[4:5], v[132:133], v[158:159]
	v_add_f64 v[166:167], v[166:167], v[168:169]
	v_mul_f64 v[168:169], v[130:131], v[158:159]
	s_waitcnt vmcnt(4)
	v_fma_f64 v[4:5], v[130:131], v[160:161], -v[4:5]
	v_fmac_f64_e32 v[168:169], v[132:133], v[160:161]
	v_add_f64 v[2:3], v[2:3], v[4:5]
	v_add_f64 v[166:167], v[166:167], v[168:169]
	s_waitcnt vmcnt(2)
	v_add_f64 v[2:3], v[162:163], -v[2:3]
	s_waitcnt vmcnt(0)
	v_add_f64 v[4:5], v[164:165], -v[166:167]
	buffer_store_dword v3, off, s[0:3], 0 offset:612
	buffer_store_dword v2, off, s[0:3], 0 offset:608
	;; [unrolled: 1-line block ×4, first 2 shown]
	s_and_saveexec_b64 s[4:5], vcc
	s_cbranch_execz .LBB121_289
; %bb.288:
	v_accvgpr_read_b32 v1, a137
	buffer_load_dword v2, v1, s[0:3], 0 offen
	buffer_load_dword v3, v1, s[0:3], 0 offen offset:4
	buffer_load_dword v4, v1, s[0:3], 0 offen offset:8
	;; [unrolled: 1-line block ×3, first 2 shown]
	v_mov_b32_e32 v1, 0
	v_accvgpr_read_b32 v6, a173
	buffer_store_dword v1, off, s[0:3], 0 offset:592
	buffer_store_dword v1, off, s[0:3], 0 offset:596
	;; [unrolled: 1-line block ×4, first 2 shown]
	s_waitcnt vmcnt(4)
	ds_write_b128 v6, v[2:5]
.LBB121_289:
	s_or_b64 exec, exec, s[4:5]
	s_waitcnt lgkmcnt(0)
	; wave barrier
	s_waitcnt lgkmcnt(0)
	buffer_load_dword v4, off, s[0:3], 0 offset:592
	buffer_load_dword v5, off, s[0:3], 0 offset:596
	buffer_load_dword v2, off, s[0:3], 0 offset:600
	buffer_load_dword v3, off, s[0:3], 0 offset:604
	buffer_load_dword v6, off, s[0:3], 0 offset:608
	buffer_load_dword v7, off, s[0:3], 0 offset:612
	buffer_load_dword v12, off, s[0:3], 0 offset:616
	buffer_load_dword v13, off, s[0:3], 0 offset:620
	buffer_load_dword v8, off, s[0:3], 0 offset:624
	buffer_load_dword v9, off, s[0:3], 0 offset:628
	buffer_load_dword v14, off, s[0:3], 0 offset:632
	buffer_load_dword v15, off, s[0:3], 0 offset:636
	buffer_load_dword v10, off, s[0:3], 0 offset:640
	buffer_load_dword v11, off, s[0:3], 0 offset:644
	buffer_load_dword v16, off, s[0:3], 0 offset:648
	buffer_load_dword v17, off, s[0:3], 0 offset:652
	buffer_load_dword v19, off, s[0:3], 0 offset:684
	buffer_load_dword v18, off, s[0:3], 0 offset:680
	buffer_load_dword v21, off, s[0:3], 0 offset:676
	buffer_load_dword v20, off, s[0:3], 0 offset:672
	buffer_load_dword v23, off, s[0:3], 0 offset:668
	buffer_load_dword v22, off, s[0:3], 0 offset:664
	buffer_load_dword v25, off, s[0:3], 0 offset:660
	buffer_load_dword v24, off, s[0:3], 0 offset:656
	buffer_load_dword v27, off, s[0:3], 0 offset:716
	buffer_load_dword v26, off, s[0:3], 0 offset:712
	buffer_load_dword v29, off, s[0:3], 0 offset:708
	buffer_load_dword v28, off, s[0:3], 0 offset:704
	buffer_load_dword v31, off, s[0:3], 0 offset:700
	buffer_load_dword v30, off, s[0:3], 0 offset:696
	buffer_load_dword v33, off, s[0:3], 0 offset:692
	buffer_load_dword v32, off, s[0:3], 0 offset:688
	buffer_load_dword v35, off, s[0:3], 0 offset:748
	buffer_load_dword v34, off, s[0:3], 0 offset:744
	buffer_load_dword v37, off, s[0:3], 0 offset:740
	buffer_load_dword v36, off, s[0:3], 0 offset:736
	buffer_load_dword v39, off, s[0:3], 0 offset:732
	buffer_load_dword v38, off, s[0:3], 0 offset:728
	buffer_load_dword v41, off, s[0:3], 0 offset:724
	buffer_load_dword v40, off, s[0:3], 0 offset:720
	buffer_load_dword v43, off, s[0:3], 0 offset:780
	buffer_load_dword v42, off, s[0:3], 0 offset:776
	buffer_load_dword v45, off, s[0:3], 0 offset:772
	buffer_load_dword v44, off, s[0:3], 0 offset:768
	buffer_load_dword v47, off, s[0:3], 0 offset:764
	buffer_load_dword v46, off, s[0:3], 0 offset:760
	buffer_load_dword v49, off, s[0:3], 0 offset:756
	buffer_load_dword v48, off, s[0:3], 0 offset:752
	buffer_load_dword v51, off, s[0:3], 0 offset:812
	buffer_load_dword v50, off, s[0:3], 0 offset:808
	buffer_load_dword v53, off, s[0:3], 0 offset:804
	buffer_load_dword v52, off, s[0:3], 0 offset:800
	buffer_load_dword v55, off, s[0:3], 0 offset:796
	buffer_load_dword v54, off, s[0:3], 0 offset:792
	buffer_load_dword v57, off, s[0:3], 0 offset:788
	buffer_load_dword v56, off, s[0:3], 0 offset:784
	buffer_load_dword v59, off, s[0:3], 0 offset:844
	buffer_load_dword v58, off, s[0:3], 0 offset:840
	buffer_load_dword v61, off, s[0:3], 0 offset:836
	buffer_load_dword v60, off, s[0:3], 0 offset:832
	buffer_load_dword v63, off, s[0:3], 0 offset:828
	buffer_load_dword v62, off, s[0:3], 0 offset:824
	buffer_load_dword v65, off, s[0:3], 0 offset:820
	buffer_load_dword v64, off, s[0:3], 0 offset:816
	buffer_load_dword v151, off, s[0:3], 0 offset:876
	buffer_load_dword v150, off, s[0:3], 0 offset:872
	buffer_load_dword v153, off, s[0:3], 0 offset:868
	buffer_load_dword v152, off, s[0:3], 0 offset:864
	buffer_load_dword v155, off, s[0:3], 0 offset:860
	buffer_load_dword v154, off, s[0:3], 0 offset:856
	buffer_load_dword v157, off, s[0:3], 0 offset:852
	buffer_load_dword v156, off, s[0:3], 0 offset:848
	buffer_load_dword v159, off, s[0:3], 0 offset:908
	buffer_load_dword v158, off, s[0:3], 0 offset:904
	buffer_load_dword v161, off, s[0:3], 0 offset:900
	buffer_load_dword v160, off, s[0:3], 0 offset:896
	buffer_load_dword v163, off, s[0:3], 0 offset:892
	buffer_load_dword v162, off, s[0:3], 0 offset:888
	buffer_load_dword v165, off, s[0:3], 0 offset:884
	buffer_load_dword v164, off, s[0:3], 0 offset:880
	buffer_load_dword v167, off, s[0:3], 0 offset:924
	buffer_load_dword v166, off, s[0:3], 0 offset:920
	buffer_load_dword v169, off, s[0:3], 0 offset:916
	buffer_load_dword v168, off, s[0:3], 0 offset:912
	v_mov_b32_e32 v1, 0
	ds_read_b128 v[66:69], v1 offset:1520
	buffer_load_dword v171, off, s[0:3], 0 offset:940
	buffer_load_dword v170, off, s[0:3], 0 offset:936
	;; [unrolled: 1-line block ×4, first 2 shown]
	ds_read_b128 v[70:73], v1 offset:1536
	ds_read_b128 v[74:77], v1 offset:1552
	;; [unrolled: 1-line block ×4, first 2 shown]
	v_cmp_lt_u32_e32 vcc, 35, v0
	s_waitcnt vmcnt(62) lgkmcnt(4)
	v_mul_f64 v[82:83], v[66:67], v[12:13]
	v_fmac_f64_e32 v[82:83], v[68:69], v[6:7]
	s_waitcnt lgkmcnt(3)
	v_mul_f64 v[84:85], v[70:71], v[14:15]
	v_add_f64 v[82:83], v[82:83], 0
	v_fmac_f64_e32 v[84:85], v[72:73], v[8:9]
	v_add_f64 v[82:83], v[82:83], v[84:85]
	s_waitcnt lgkmcnt(2)
	v_mul_f64 v[84:85], v[74:75], v[16:17]
	v_fmac_f64_e32 v[84:85], v[76:77], v[10:11]
	v_add_f64 v[86:87], v[82:83], v[84:85]
	ds_read_b128 v[82:85], v1 offset:1584
	v_mul_f64 v[12:13], v[68:69], v[12:13]
	s_waitcnt lgkmcnt(2)
	v_mul_f64 v[88:89], v[78:79], v[22:23]
	v_fma_f64 v[6:7], v[66:67], v[6:7], -v[12:13]
	v_fmac_f64_e32 v[88:89], v[80:81], v[24:25]
	v_add_f64 v[90:91], v[86:87], v[88:89]
	ds_read_b128 v[86:89], v1 offset:1600
	s_waitcnt lgkmcnt(1)
	v_mul_f64 v[92:93], v[82:83], v[18:19]
	v_fmac_f64_e32 v[92:93], v[84:85], v[20:21]
	v_add_f64 v[94:95], v[90:91], v[92:93]
	ds_read_b128 v[90:93], v1 offset:1616
	s_waitcnt vmcnt(58) lgkmcnt(1)
	v_mul_f64 v[96:97], v[86:87], v[30:31]
	s_waitcnt vmcnt(56)
	v_fmac_f64_e32 v[96:97], v[88:89], v[32:33]
	v_add_f64 v[98:99], v[94:95], v[96:97]
	ds_read_b128 v[94:97], v1 offset:1632
	s_waitcnt lgkmcnt(1)
	v_mul_f64 v[100:101], v[90:91], v[26:27]
	v_fmac_f64_e32 v[100:101], v[92:93], v[28:29]
	v_add_f64 v[102:103], v[98:99], v[100:101]
	ds_read_b128 v[98:101], v1 offset:1648
	s_waitcnt vmcnt(50) lgkmcnt(1)
	v_mul_f64 v[104:105], v[94:95], v[38:39]
	s_waitcnt vmcnt(48)
	v_fmac_f64_e32 v[104:105], v[96:97], v[40:41]
	v_add_f64 v[106:107], v[102:103], v[104:105]
	ds_read_b128 v[102:105], v1 offset:1664
	s_waitcnt lgkmcnt(1)
	v_mul_f64 v[108:109], v[98:99], v[34:35]
	v_fmac_f64_e32 v[108:109], v[100:101], v[36:37]
	v_mul_f64 v[12:13], v[72:73], v[14:15]
	v_add_f64 v[110:111], v[106:107], v[108:109]
	ds_read_b128 v[106:109], v1 offset:1680
	s_waitcnt vmcnt(42) lgkmcnt(1)
	v_mul_f64 v[112:113], v[102:103], v[46:47]
	v_add_f64 v[6:7], v[6:7], 0
	v_fma_f64 v[8:9], v[70:71], v[8:9], -v[12:13]
	s_waitcnt vmcnt(40)
	v_fmac_f64_e32 v[112:113], v[104:105], v[48:49]
	v_add_f64 v[6:7], v[6:7], v[8:9]
	v_mul_f64 v[8:9], v[76:77], v[16:17]
	v_add_f64 v[114:115], v[110:111], v[112:113]
	ds_read_b128 v[110:113], v1 offset:1696
	v_fma_f64 v[8:9], v[74:75], v[10:11], -v[8:9]
	v_add_f64 v[6:7], v[6:7], v[8:9]
	v_mul_f64 v[8:9], v[80:81], v[22:23]
	v_fma_f64 v[8:9], v[78:79], v[24:25], -v[8:9]
	s_waitcnt lgkmcnt(1)
	v_mul_f64 v[116:117], v[106:107], v[42:43]
	v_add_f64 v[6:7], v[6:7], v[8:9]
	v_mul_f64 v[8:9], v[84:85], v[18:19]
	v_fmac_f64_e32 v[116:117], v[108:109], v[44:45]
	v_fma_f64 v[8:9], v[82:83], v[20:21], -v[8:9]
	v_add_f64 v[118:119], v[114:115], v[116:117]
	ds_read_b128 v[114:117], v1 offset:1712
	s_waitcnt vmcnt(34) lgkmcnt(1)
	v_mul_f64 v[120:121], v[110:111], v[54:55]
	v_add_f64 v[6:7], v[6:7], v[8:9]
	v_mul_f64 v[8:9], v[88:89], v[30:31]
	s_waitcnt vmcnt(32)
	v_fmac_f64_e32 v[120:121], v[112:113], v[56:57]
	v_fma_f64 v[8:9], v[86:87], v[32:33], -v[8:9]
	v_add_f64 v[122:123], v[118:119], v[120:121]
	ds_read_b128 v[118:121], v1 offset:1728
	v_add_f64 v[6:7], v[6:7], v[8:9]
	v_mul_f64 v[8:9], v[92:93], v[26:27]
	v_fma_f64 v[8:9], v[90:91], v[28:29], -v[8:9]
	v_add_f64 v[6:7], v[6:7], v[8:9]
	v_mul_f64 v[8:9], v[96:97], v[38:39]
	s_waitcnt lgkmcnt(1)
	v_mul_f64 v[124:125], v[114:115], v[50:51]
	v_fma_f64 v[8:9], v[94:95], v[40:41], -v[8:9]
	v_fmac_f64_e32 v[124:125], v[116:117], v[52:53]
	v_add_f64 v[6:7], v[6:7], v[8:9]
	v_mul_f64 v[8:9], v[100:101], v[34:35]
	v_add_f64 v[126:127], v[122:123], v[124:125]
	ds_read_b128 v[122:125], v1 offset:1744
	s_waitcnt vmcnt(26) lgkmcnt(1)
	v_mul_f64 v[128:129], v[118:119], v[62:63]
	v_fma_f64 v[8:9], v[98:99], v[36:37], -v[8:9]
	s_waitcnt vmcnt(24)
	v_fmac_f64_e32 v[128:129], v[120:121], v[64:65]
	v_add_f64 v[6:7], v[6:7], v[8:9]
	v_mul_f64 v[8:9], v[104:105], v[46:47]
	v_add_f64 v[130:131], v[126:127], v[128:129]
	ds_read_b128 v[126:129], v1 offset:1760
	v_fma_f64 v[8:9], v[102:103], v[48:49], -v[8:9]
	v_add_f64 v[6:7], v[6:7], v[8:9]
	v_mul_f64 v[8:9], v[108:109], v[42:43]
	v_fma_f64 v[8:9], v[106:107], v[44:45], -v[8:9]
	s_waitcnt lgkmcnt(1)
	v_mul_f64 v[132:133], v[122:123], v[58:59]
	v_add_f64 v[6:7], v[6:7], v[8:9]
	v_mul_f64 v[8:9], v[112:113], v[54:55]
	v_fmac_f64_e32 v[132:133], v[124:125], v[60:61]
	v_fma_f64 v[8:9], v[110:111], v[56:57], -v[8:9]
	v_add_f64 v[134:135], v[130:131], v[132:133]
	ds_read_b128 v[130:133], v1 offset:1776
	s_waitcnt vmcnt(18) lgkmcnt(1)
	v_mul_f64 v[136:137], v[126:127], v[154:155]
	v_add_f64 v[6:7], v[6:7], v[8:9]
	v_mul_f64 v[8:9], v[116:117], v[50:51]
	s_waitcnt vmcnt(16)
	v_fmac_f64_e32 v[136:137], v[128:129], v[156:157]
	v_fma_f64 v[8:9], v[114:115], v[52:53], -v[8:9]
	v_add_f64 v[138:139], v[134:135], v[136:137]
	ds_read_b128 v[134:137], v1 offset:1792
	v_add_f64 v[6:7], v[6:7], v[8:9]
	v_mul_f64 v[8:9], v[120:121], v[62:63]
	v_fma_f64 v[8:9], v[118:119], v[64:65], -v[8:9]
	v_add_f64 v[6:7], v[6:7], v[8:9]
	v_mul_f64 v[8:9], v[124:125], v[58:59]
	s_waitcnt lgkmcnt(1)
	v_mul_f64 v[140:141], v[130:131], v[150:151]
	v_fma_f64 v[8:9], v[122:123], v[60:61], -v[8:9]
	v_fmac_f64_e32 v[140:141], v[132:133], v[152:153]
	v_add_f64 v[6:7], v[6:7], v[8:9]
	v_mul_f64 v[8:9], v[128:129], v[154:155]
	v_add_f64 v[142:143], v[138:139], v[140:141]
	ds_read_b128 v[138:141], v1 offset:1808
	s_waitcnt vmcnt(10) lgkmcnt(1)
	v_mul_f64 v[144:145], v[134:135], v[162:163]
	v_fma_f64 v[8:9], v[126:127], v[156:157], -v[8:9]
	s_waitcnt vmcnt(8)
	v_fmac_f64_e32 v[144:145], v[136:137], v[164:165]
	v_add_f64 v[6:7], v[6:7], v[8:9]
	v_mul_f64 v[8:9], v[132:133], v[150:151]
	v_add_f64 v[174:175], v[142:143], v[144:145]
	ds_read_b128 v[142:145], v1 offset:1824
	v_fma_f64 v[8:9], v[130:131], v[152:153], -v[8:9]
	v_add_f64 v[6:7], v[6:7], v[8:9]
	v_mul_f64 v[8:9], v[136:137], v[162:163]
	v_fma_f64 v[8:9], v[134:135], v[164:165], -v[8:9]
	v_add_f64 v[6:7], v[6:7], v[8:9]
	s_waitcnt lgkmcnt(1)
	v_mul_f64 v[8:9], v[140:141], v[158:159]
	v_mul_f64 v[176:177], v[138:139], v[158:159]
	v_fma_f64 v[8:9], v[138:139], v[160:161], -v[8:9]
	v_fmac_f64_e32 v[176:177], v[140:141], v[160:161]
	v_add_f64 v[6:7], v[6:7], v[8:9]
	s_waitcnt vmcnt(6) lgkmcnt(0)
	v_mul_f64 v[8:9], v[144:145], v[166:167]
	v_add_f64 v[174:175], v[174:175], v[176:177]
	v_mul_f64 v[176:177], v[142:143], v[166:167]
	s_waitcnt vmcnt(4)
	v_fma_f64 v[8:9], v[142:143], v[168:169], -v[8:9]
	v_fmac_f64_e32 v[176:177], v[144:145], v[168:169]
	v_add_f64 v[6:7], v[6:7], v[8:9]
	s_waitcnt vmcnt(2)
	v_mul_f64 v[8:9], v[148:149], v[170:171]
	v_add_f64 v[174:175], v[174:175], v[176:177]
	v_mul_f64 v[176:177], v[146:147], v[170:171]
	s_waitcnt vmcnt(0)
	v_fma_f64 v[8:9], v[146:147], v[172:173], -v[8:9]
	v_fmac_f64_e32 v[176:177], v[148:149], v[172:173]
	v_add_f64 v[6:7], v[6:7], v[8:9]
	v_add_f64 v[174:175], v[174:175], v[176:177]
	v_add_f64 v[4:5], v[4:5], -v[6:7]
	v_add_f64 v[2:3], v[2:3], -v[174:175]
	buffer_store_dword v5, off, s[0:3], 0 offset:596
	buffer_store_dword v4, off, s[0:3], 0 offset:592
	;; [unrolled: 1-line block ×4, first 2 shown]
	s_and_saveexec_b64 s[4:5], vcc
	s_cbranch_execz .LBB121_291
; %bb.290:
	v_accvgpr_read_b32 v5, a138
	buffer_load_dword v2, v5, s[0:3], 0 offen
	buffer_load_dword v3, v5, s[0:3], 0 offen offset:4
	buffer_load_dword v4, v5, s[0:3], 0 offen offset:8
	s_nop 0
	buffer_load_dword v5, v5, s[0:3], 0 offen offset:12
	v_accvgpr_read_b32 v6, a173
	buffer_store_dword v1, off, s[0:3], 0 offset:576
	buffer_store_dword v1, off, s[0:3], 0 offset:580
	;; [unrolled: 1-line block ×4, first 2 shown]
	s_waitcnt vmcnt(4)
	ds_write_b128 v6, v[2:5]
.LBB121_291:
	s_or_b64 exec, exec, s[4:5]
	s_waitcnt lgkmcnt(0)
	; wave barrier
	s_waitcnt lgkmcnt(0)
	ds_read_b128 v[14:17], v1 offset:1504
	ds_read_b128 v[10:13], v1 offset:1520
	;; [unrolled: 1-line block ×4, first 2 shown]
	buffer_load_dword v20, off, s[0:3], 0 offset:576
	buffer_load_dword v21, off, s[0:3], 0 offset:580
	buffer_load_dword v18, off, s[0:3], 0 offset:584
	buffer_load_dword v19, off, s[0:3], 0 offset:588
	buffer_load_dword v22, off, s[0:3], 0 offset:592
	buffer_load_dword v23, off, s[0:3], 0 offset:596
	buffer_load_dword v28, off, s[0:3], 0 offset:600
	buffer_load_dword v29, off, s[0:3], 0 offset:604
	buffer_load_dword v24, off, s[0:3], 0 offset:608
	buffer_load_dword v25, off, s[0:3], 0 offset:612
	buffer_load_dword v30, off, s[0:3], 0 offset:616
	buffer_load_dword v31, off, s[0:3], 0 offset:620
	buffer_load_dword v26, off, s[0:3], 0 offset:624
	buffer_load_dword v27, off, s[0:3], 0 offset:628
	buffer_load_dword v32, off, s[0:3], 0 offset:632
	buffer_load_dword v33, off, s[0:3], 0 offset:636
	buffer_load_dword v35, off, s[0:3], 0 offset:668
	buffer_load_dword v34, off, s[0:3], 0 offset:664
	buffer_load_dword v37, off, s[0:3], 0 offset:660
	buffer_load_dword v36, off, s[0:3], 0 offset:656
	buffer_load_dword v39, off, s[0:3], 0 offset:652
	buffer_load_dword v38, off, s[0:3], 0 offset:648
	buffer_load_dword v41, off, s[0:3], 0 offset:644
	buffer_load_dword v40, off, s[0:3], 0 offset:640
	buffer_load_dword v43, off, s[0:3], 0 offset:700
	buffer_load_dword v42, off, s[0:3], 0 offset:696
	buffer_load_dword v45, off, s[0:3], 0 offset:692
	buffer_load_dword v44, off, s[0:3], 0 offset:688
	buffer_load_dword v47, off, s[0:3], 0 offset:684
	buffer_load_dword v46, off, s[0:3], 0 offset:680
	buffer_load_dword v49, off, s[0:3], 0 offset:676
	buffer_load_dword v48, off, s[0:3], 0 offset:672
	buffer_load_dword v51, off, s[0:3], 0 offset:732
	buffer_load_dword v50, off, s[0:3], 0 offset:728
	buffer_load_dword v53, off, s[0:3], 0 offset:724
	buffer_load_dword v52, off, s[0:3], 0 offset:720
	buffer_load_dword v55, off, s[0:3], 0 offset:716
	buffer_load_dword v54, off, s[0:3], 0 offset:712
	buffer_load_dword v57, off, s[0:3], 0 offset:708
	buffer_load_dword v56, off, s[0:3], 0 offset:704
	buffer_load_dword v59, off, s[0:3], 0 offset:764
	buffer_load_dword v58, off, s[0:3], 0 offset:760
	buffer_load_dword v61, off, s[0:3], 0 offset:756
	buffer_load_dword v60, off, s[0:3], 0 offset:752
	buffer_load_dword v63, off, s[0:3], 0 offset:748
	buffer_load_dword v62, off, s[0:3], 0 offset:744
	buffer_load_dword v65, off, s[0:3], 0 offset:740
	buffer_load_dword v64, off, s[0:3], 0 offset:736
	buffer_load_dword v67, off, s[0:3], 0 offset:796
	buffer_load_dword v66, off, s[0:3], 0 offset:792
	buffer_load_dword v69, off, s[0:3], 0 offset:788
	buffer_load_dword v68, off, s[0:3], 0 offset:784
	buffer_load_dword v71, off, s[0:3], 0 offset:780
	buffer_load_dword v70, off, s[0:3], 0 offset:776
	buffer_load_dword v73, off, s[0:3], 0 offset:772
	buffer_load_dword v72, off, s[0:3], 0 offset:768
	buffer_load_dword v75, off, s[0:3], 0 offset:828
	buffer_load_dword v74, off, s[0:3], 0 offset:824
	buffer_load_dword v77, off, s[0:3], 0 offset:820
	buffer_load_dword v76, off, s[0:3], 0 offset:816
	buffer_load_dword v79, off, s[0:3], 0 offset:812
	buffer_load_dword v78, off, s[0:3], 0 offset:808
	buffer_load_dword v81, off, s[0:3], 0 offset:804
	buffer_load_dword v80, off, s[0:3], 0 offset:800
	buffer_load_dword v83, off, s[0:3], 0 offset:860
	buffer_load_dword v82, off, s[0:3], 0 offset:856
	buffer_load_dword v85, off, s[0:3], 0 offset:852
	buffer_load_dword v84, off, s[0:3], 0 offset:848
	buffer_load_dword v159, off, s[0:3], 0 offset:844
	buffer_load_dword v158, off, s[0:3], 0 offset:840
	buffer_load_dword v161, off, s[0:3], 0 offset:836
	buffer_load_dword v160, off, s[0:3], 0 offset:832
	buffer_load_dword v163, off, s[0:3], 0 offset:892
	buffer_load_dword v162, off, s[0:3], 0 offset:888
	buffer_load_dword v165, off, s[0:3], 0 offset:884
	buffer_load_dword v164, off, s[0:3], 0 offset:880
	buffer_load_dword v167, off, s[0:3], 0 offset:876
	buffer_load_dword v166, off, s[0:3], 0 offset:872
	buffer_load_dword v169, off, s[0:3], 0 offset:868
	buffer_load_dword v168, off, s[0:3], 0 offset:864
	buffer_load_dword v171, off, s[0:3], 0 offset:924
	buffer_load_dword v170, off, s[0:3], 0 offset:920
	buffer_load_dword v173, off, s[0:3], 0 offset:916
	buffer_load_dword v172, off, s[0:3], 0 offset:912
	buffer_load_dword v175, off, s[0:3], 0 offset:908
	buffer_load_dword v174, off, s[0:3], 0 offset:904
	buffer_load_dword v177, off, s[0:3], 0 offset:900
	buffer_load_dword v176, off, s[0:3], 0 offset:896
	buffer_load_dword v179, off, s[0:3], 0 offset:940
	buffer_load_dword v178, off, s[0:3], 0 offset:936
	buffer_load_dword v181, off, s[0:3], 0 offset:932
	buffer_load_dword v180, off, s[0:3], 0 offset:928
	s_waitcnt vmcnt(62) lgkmcnt(3)
	v_mul_f64 v[86:87], v[14:15], v[28:29]
	v_fmac_f64_e32 v[86:87], v[16:17], v[22:23]
	s_waitcnt lgkmcnt(2)
	v_mul_f64 v[88:89], v[10:11], v[30:31]
	v_add_f64 v[86:87], v[86:87], 0
	v_fmac_f64_e32 v[88:89], v[12:13], v[24:25]
	v_add_f64 v[86:87], v[86:87], v[88:89]
	s_waitcnt lgkmcnt(1)
	v_mul_f64 v[88:89], v[6:7], v[32:33]
	v_fmac_f64_e32 v[88:89], v[8:9], v[26:27]
	v_add_f64 v[90:91], v[86:87], v[88:89]
	ds_read_b128 v[86:89], v1 offset:1568
	v_mul_f64 v[16:17], v[16:17], v[28:29]
	v_fma_f64 v[14:15], v[14:15], v[22:23], -v[16:17]
	s_waitcnt lgkmcnt(1)
	v_mul_f64 v[92:93], v[2:3], v[38:39]
	v_mul_f64 v[12:13], v[12:13], v[30:31]
	v_fmac_f64_e32 v[92:93], v[4:5], v[40:41]
	v_add_f64 v[94:95], v[90:91], v[92:93]
	ds_read_b128 v[90:93], v1 offset:1584
	s_waitcnt lgkmcnt(1)
	v_mul_f64 v[96:97], v[86:87], v[34:35]
	v_fmac_f64_e32 v[96:97], v[88:89], v[36:37]
	v_add_f64 v[98:99], v[94:95], v[96:97]
	ds_read_b128 v[94:97], v1 offset:1600
	s_waitcnt lgkmcnt(1)
	v_mul_f64 v[100:101], v[90:91], v[46:47]
	s_waitcnt vmcnt(60)
	v_fmac_f64_e32 v[100:101], v[92:93], v[48:49]
	v_add_f64 v[102:103], v[98:99], v[100:101]
	ds_read_b128 v[98:101], v1 offset:1616
	s_waitcnt lgkmcnt(1)
	v_mul_f64 v[104:105], v[94:95], v[42:43]
	v_fmac_f64_e32 v[104:105], v[96:97], v[44:45]
	v_add_f64 v[106:107], v[102:103], v[104:105]
	ds_read_b128 v[102:105], v1 offset:1632
	s_waitcnt vmcnt(54) lgkmcnt(1)
	v_mul_f64 v[108:109], v[98:99], v[54:55]
	s_waitcnt vmcnt(52)
	v_fmac_f64_e32 v[108:109], v[100:101], v[56:57]
	v_add_f64 v[110:111], v[106:107], v[108:109]
	ds_read_b128 v[106:109], v1 offset:1648
	s_waitcnt lgkmcnt(1)
	v_mul_f64 v[112:113], v[102:103], v[50:51]
	v_fmac_f64_e32 v[112:113], v[104:105], v[52:53]
	v_add_f64 v[114:115], v[110:111], v[112:113]
	ds_read_b128 v[110:113], v1 offset:1664
	s_waitcnt vmcnt(46) lgkmcnt(1)
	v_mul_f64 v[116:117], v[106:107], v[62:63]
	s_waitcnt vmcnt(44)
	v_fmac_f64_e32 v[116:117], v[108:109], v[64:65]
	v_add_f64 v[118:119], v[114:115], v[116:117]
	ds_read_b128 v[114:117], v1 offset:1680
	s_waitcnt lgkmcnt(1)
	v_mul_f64 v[120:121], v[110:111], v[58:59]
	v_fmac_f64_e32 v[120:121], v[112:113], v[60:61]
	v_add_f64 v[14:15], v[14:15], 0
	v_fma_f64 v[10:11], v[10:11], v[24:25], -v[12:13]
	v_mul_f64 v[8:9], v[8:9], v[32:33]
	v_add_f64 v[122:123], v[118:119], v[120:121]
	ds_read_b128 v[118:121], v1 offset:1696
	v_add_f64 v[10:11], v[14:15], v[10:11]
	v_fma_f64 v[6:7], v[6:7], v[26:27], -v[8:9]
	v_mul_f64 v[4:5], v[4:5], v[38:39]
	v_add_f64 v[6:7], v[10:11], v[6:7]
	v_fma_f64 v[2:3], v[2:3], v[40:41], -v[4:5]
	v_mul_f64 v[4:5], v[88:89], v[34:35]
	v_add_f64 v[2:3], v[6:7], v[2:3]
	v_fma_f64 v[4:5], v[86:87], v[36:37], -v[4:5]
	s_waitcnt vmcnt(38) lgkmcnt(1)
	v_mul_f64 v[124:125], v[114:115], v[70:71]
	v_add_f64 v[2:3], v[2:3], v[4:5]
	v_mul_f64 v[4:5], v[92:93], v[46:47]
	s_waitcnt vmcnt(36)
	v_fmac_f64_e32 v[124:125], v[116:117], v[72:73]
	v_fma_f64 v[4:5], v[90:91], v[48:49], -v[4:5]
	v_add_f64 v[126:127], v[122:123], v[124:125]
	ds_read_b128 v[122:125], v1 offset:1712
	s_waitcnt lgkmcnt(1)
	v_mul_f64 v[128:129], v[118:119], v[66:67]
	v_add_f64 v[2:3], v[2:3], v[4:5]
	v_mul_f64 v[4:5], v[96:97], v[42:43]
	v_fmac_f64_e32 v[128:129], v[120:121], v[68:69]
	v_fma_f64 v[4:5], v[94:95], v[44:45], -v[4:5]
	v_add_f64 v[130:131], v[126:127], v[128:129]
	ds_read_b128 v[126:129], v1 offset:1728
	v_add_f64 v[2:3], v[2:3], v[4:5]
	v_mul_f64 v[4:5], v[100:101], v[54:55]
	v_fma_f64 v[4:5], v[98:99], v[56:57], -v[4:5]
	v_add_f64 v[2:3], v[2:3], v[4:5]
	v_mul_f64 v[4:5], v[104:105], v[50:51]
	s_waitcnt vmcnt(30) lgkmcnt(1)
	v_mul_f64 v[132:133], v[122:123], v[78:79]
	v_fma_f64 v[4:5], v[102:103], v[52:53], -v[4:5]
	s_waitcnt vmcnt(28)
	v_fmac_f64_e32 v[132:133], v[124:125], v[80:81]
	v_add_f64 v[2:3], v[2:3], v[4:5]
	v_mul_f64 v[4:5], v[108:109], v[62:63]
	v_add_f64 v[134:135], v[130:131], v[132:133]
	ds_read_b128 v[130:133], v1 offset:1744
	s_waitcnt lgkmcnt(1)
	v_mul_f64 v[136:137], v[126:127], v[74:75]
	v_fma_f64 v[4:5], v[106:107], v[64:65], -v[4:5]
	v_fmac_f64_e32 v[136:137], v[128:129], v[76:77]
	v_add_f64 v[2:3], v[2:3], v[4:5]
	v_mul_f64 v[4:5], v[112:113], v[58:59]
	v_add_f64 v[138:139], v[134:135], v[136:137]
	ds_read_b128 v[134:137], v1 offset:1760
	v_fma_f64 v[4:5], v[110:111], v[60:61], -v[4:5]
	v_add_f64 v[2:3], v[2:3], v[4:5]
	v_mul_f64 v[4:5], v[116:117], v[70:71]
	v_fma_f64 v[4:5], v[114:115], v[72:73], -v[4:5]
	s_waitcnt vmcnt(22) lgkmcnt(1)
	v_mul_f64 v[140:141], v[130:131], v[158:159]
	v_add_f64 v[2:3], v[2:3], v[4:5]
	v_mul_f64 v[4:5], v[120:121], v[66:67]
	s_waitcnt vmcnt(20)
	v_fmac_f64_e32 v[140:141], v[132:133], v[160:161]
	v_fma_f64 v[4:5], v[118:119], v[68:69], -v[4:5]
	v_add_f64 v[142:143], v[138:139], v[140:141]
	ds_read_b128 v[138:141], v1 offset:1776
	s_waitcnt lgkmcnt(1)
	v_mul_f64 v[144:145], v[134:135], v[82:83]
	v_add_f64 v[2:3], v[2:3], v[4:5]
	v_mul_f64 v[4:5], v[124:125], v[78:79]
	v_fmac_f64_e32 v[144:145], v[136:137], v[84:85]
	v_fma_f64 v[4:5], v[122:123], v[80:81], -v[4:5]
	v_add_f64 v[146:147], v[142:143], v[144:145]
	ds_read_b128 v[142:145], v1 offset:1792
	v_add_f64 v[2:3], v[2:3], v[4:5]
	v_mul_f64 v[4:5], v[128:129], v[74:75]
	v_fma_f64 v[4:5], v[126:127], v[76:77], -v[4:5]
	v_add_f64 v[2:3], v[2:3], v[4:5]
	v_mul_f64 v[4:5], v[132:133], v[158:159]
	s_waitcnt vmcnt(14) lgkmcnt(1)
	v_mul_f64 v[148:149], v[138:139], v[166:167]
	v_fma_f64 v[4:5], v[130:131], v[160:161], -v[4:5]
	s_waitcnt vmcnt(12)
	v_fmac_f64_e32 v[148:149], v[140:141], v[168:169]
	v_add_f64 v[2:3], v[2:3], v[4:5]
	v_mul_f64 v[4:5], v[136:137], v[82:83]
	v_add_f64 v[150:151], v[146:147], v[148:149]
	ds_read_b128 v[146:149], v1 offset:1808
	s_waitcnt lgkmcnt(1)
	v_mul_f64 v[152:153], v[142:143], v[162:163]
	v_fma_f64 v[4:5], v[134:135], v[84:85], -v[4:5]
	v_fmac_f64_e32 v[152:153], v[144:145], v[164:165]
	v_add_f64 v[2:3], v[2:3], v[4:5]
	v_mul_f64 v[4:5], v[140:141], v[166:167]
	v_add_f64 v[182:183], v[150:151], v[152:153]
	ds_read_b128 v[150:153], v1 offset:1824
	ds_read_b128 v[154:157], v1 offset:1840
	v_fma_f64 v[4:5], v[138:139], v[168:169], -v[4:5]
	v_add_f64 v[2:3], v[2:3], v[4:5]
	v_mul_f64 v[4:5], v[144:145], v[162:163]
	v_fma_f64 v[4:5], v[142:143], v[164:165], -v[4:5]
	v_add_f64 v[2:3], v[2:3], v[4:5]
	s_waitcnt vmcnt(6) lgkmcnt(2)
	v_mul_f64 v[4:5], v[148:149], v[174:175]
	v_mul_f64 v[184:185], v[146:147], v[174:175]
	s_waitcnt vmcnt(4)
	v_fma_f64 v[4:5], v[146:147], v[176:177], -v[4:5]
	v_fmac_f64_e32 v[184:185], v[148:149], v[176:177]
	v_add_f64 v[2:3], v[2:3], v[4:5]
	s_waitcnt lgkmcnt(1)
	v_mul_f64 v[4:5], v[152:153], v[170:171]
	v_add_f64 v[182:183], v[182:183], v[184:185]
	v_mul_f64 v[184:185], v[150:151], v[170:171]
	v_fma_f64 v[4:5], v[150:151], v[172:173], -v[4:5]
	v_fmac_f64_e32 v[184:185], v[152:153], v[172:173]
	v_add_f64 v[2:3], v[2:3], v[4:5]
	s_waitcnt vmcnt(2) lgkmcnt(0)
	v_mul_f64 v[4:5], v[156:157], v[178:179]
	v_add_f64 v[182:183], v[182:183], v[184:185]
	v_mul_f64 v[184:185], v[154:155], v[178:179]
	s_waitcnt vmcnt(0)
	v_fma_f64 v[4:5], v[154:155], v[180:181], -v[4:5]
	v_fmac_f64_e32 v[184:185], v[156:157], v[180:181]
	v_add_f64 v[2:3], v[2:3], v[4:5]
	v_add_f64 v[182:183], v[182:183], v[184:185]
	v_add_f64 v[2:3], v[20:21], -v[2:3]
	v_cmp_lt_u32_e32 vcc, 34, v0
	v_add_f64 v[4:5], v[18:19], -v[182:183]
	buffer_store_dword v3, off, s[0:3], 0 offset:580
	buffer_store_dword v2, off, s[0:3], 0 offset:576
	;; [unrolled: 1-line block ×4, first 2 shown]
	s_and_saveexec_b64 s[4:5], vcc
	s_cbranch_execz .LBB121_293
; %bb.292:
	v_accvgpr_read_b32 v1, a139
	buffer_load_dword v2, v1, s[0:3], 0 offen
	buffer_load_dword v3, v1, s[0:3], 0 offen offset:4
	buffer_load_dword v4, v1, s[0:3], 0 offen offset:8
	;; [unrolled: 1-line block ×3, first 2 shown]
	v_mov_b32_e32 v1, 0
	v_accvgpr_read_b32 v6, a173
	buffer_store_dword v1, off, s[0:3], 0 offset:560
	buffer_store_dword v1, off, s[0:3], 0 offset:564
	;; [unrolled: 1-line block ×4, first 2 shown]
	s_waitcnt vmcnt(4)
	ds_write_b128 v6, v[2:5]
.LBB121_293:
	s_or_b64 exec, exec, s[4:5]
	s_waitcnt lgkmcnt(0)
	; wave barrier
	s_waitcnt lgkmcnt(0)
	buffer_load_dword v9, off, s[0:3], 0 offset:588
	buffer_load_dword v6, off, s[0:3], 0 offset:600
	;; [unrolled: 1-line block ×64, first 2 shown]
	v_mov_b32_e32 v1, 0
	ds_read_b128 v[74:77], v1 offset:1488
	ds_read_b128 v[78:81], v1 offset:1504
	buffer_load_dword v67, off, s[0:3], 0 offset:844
	buffer_load_dword v66, off, s[0:3], 0 offset:840
	;; [unrolled: 1-line block ×8, first 2 shown]
	ds_read_b128 v[82:85], v1 offset:1520
	ds_read_b128 v[86:89], v1 offset:1536
	buffer_load_dword v167, off, s[0:3], 0 offset:876
	buffer_load_dword v166, off, s[0:3], 0 offset:872
	;; [unrolled: 1-line block ×24, first 2 shown]
	ds_read_b128 v[162:165], v1 offset:1840
	v_cmp_lt_u32_e32 vcc, 33, v0
	s_waitcnt vmcnt(62) lgkmcnt(1)
	v_mul_f64 v[96:97], v[86:87], v[22:23]
	v_fmac_f64_e32 v[96:97], v[88:89], v[24:25]
	v_mul_f64 v[92:93], v[78:79], v[6:7]
	v_mul_f64 v[90:91], v[74:75], v[8:9]
	;; [unrolled: 1-line block ×3, first 2 shown]
	v_fmac_f64_e32 v[90:91], v[76:77], v[10:11]
	v_add_f64 v[90:91], v[90:91], 0
	v_fma_f64 v[8:9], v[74:75], v[10:11], -v[8:9]
	v_mul_f64 v[6:7], v[80:81], v[6:7]
	v_add_f64 v[8:9], v[8:9], 0
	v_fmac_f64_e32 v[92:93], v[80:81], v[14:15]
	v_add_f64 v[90:91], v[90:91], v[92:93]
	v_mul_f64 v[92:93], v[82:83], v[16:17]
	v_fmac_f64_e32 v[92:93], v[84:85], v[12:13]
	v_add_f64 v[94:95], v[90:91], v[92:93]
	ds_read_b128 v[90:93], v1 offset:1552
	v_add_f64 v[98:99], v[94:95], v[96:97]
	ds_read_b128 v[94:97], v1 offset:1568
	v_fma_f64 v[6:7], v[78:79], v[14:15], -v[6:7]
	v_add_f64 v[6:7], v[8:9], v[6:7]
	s_waitcnt lgkmcnt(1)
	v_mul_f64 v[100:101], v[90:91], v[18:19]
	v_fmac_f64_e32 v[100:101], v[92:93], v[20:21]
	v_add_f64 v[102:103], v[98:99], v[100:101]
	ds_read_b128 v[98:101], v1 offset:1584
	s_waitcnt lgkmcnt(1)
	v_mul_f64 v[104:105], v[94:95], v[30:31]
	v_fmac_f64_e32 v[104:105], v[96:97], v[32:33]
	v_add_f64 v[106:107], v[102:103], v[104:105]
	ds_read_b128 v[102:105], v1 offset:1600
	;; [unrolled: 5-line block ×3, first 2 shown]
	s_waitcnt vmcnt(58) lgkmcnt(1)
	v_mul_f64 v[112:113], v[102:103], v[38:39]
	s_waitcnt vmcnt(56)
	v_fmac_f64_e32 v[112:113], v[104:105], v[40:41]
	v_add_f64 v[114:115], v[110:111], v[112:113]
	ds_read_b128 v[110:113], v1 offset:1632
	s_waitcnt lgkmcnt(1)
	v_mul_f64 v[116:117], v[106:107], v[34:35]
	v_fmac_f64_e32 v[116:117], v[108:109], v[36:37]
	v_add_f64 v[118:119], v[114:115], v[116:117]
	ds_read_b128 v[114:117], v1 offset:1648
	s_waitcnt vmcnt(50) lgkmcnt(1)
	v_mul_f64 v[120:121], v[110:111], v[46:47]
	s_waitcnt vmcnt(48)
	v_fmac_f64_e32 v[120:121], v[112:113], v[48:49]
	v_add_f64 v[122:123], v[118:119], v[120:121]
	ds_read_b128 v[118:121], v1 offset:1664
	v_mul_f64 v[8:9], v[84:85], v[16:17]
	s_waitcnt lgkmcnt(1)
	v_mul_f64 v[124:125], v[114:115], v[42:43]
	v_fma_f64 v[8:9], v[82:83], v[12:13], -v[8:9]
	v_fmac_f64_e32 v[124:125], v[116:117], v[44:45]
	v_add_f64 v[6:7], v[6:7], v[8:9]
	v_mul_f64 v[8:9], v[88:89], v[22:23]
	v_add_f64 v[126:127], v[122:123], v[124:125]
	ds_read_b128 v[122:125], v1 offset:1680
	s_waitcnt vmcnt(42) lgkmcnt(1)
	v_mul_f64 v[128:129], v[118:119], v[54:55]
	v_fma_f64 v[8:9], v[86:87], v[24:25], -v[8:9]
	s_waitcnt vmcnt(40)
	v_fmac_f64_e32 v[128:129], v[120:121], v[56:57]
	v_add_f64 v[6:7], v[6:7], v[8:9]
	v_mul_f64 v[8:9], v[92:93], v[18:19]
	v_add_f64 v[130:131], v[126:127], v[128:129]
	ds_read_b128 v[126:129], v1 offset:1696
	v_fma_f64 v[8:9], v[90:91], v[20:21], -v[8:9]
	v_add_f64 v[6:7], v[6:7], v[8:9]
	v_mul_f64 v[8:9], v[96:97], v[30:31]
	v_fma_f64 v[8:9], v[94:95], v[32:33], -v[8:9]
	s_waitcnt lgkmcnt(1)
	v_mul_f64 v[132:133], v[122:123], v[50:51]
	v_add_f64 v[6:7], v[6:7], v[8:9]
	v_mul_f64 v[8:9], v[100:101], v[26:27]
	v_fmac_f64_e32 v[132:133], v[124:125], v[52:53]
	v_fma_f64 v[8:9], v[98:99], v[28:29], -v[8:9]
	v_add_f64 v[134:135], v[130:131], v[132:133]
	ds_read_b128 v[130:133], v1 offset:1712
	s_waitcnt vmcnt(34) lgkmcnt(1)
	v_mul_f64 v[136:137], v[126:127], v[62:63]
	v_add_f64 v[6:7], v[6:7], v[8:9]
	v_mul_f64 v[8:9], v[104:105], v[38:39]
	s_waitcnt vmcnt(32)
	v_fmac_f64_e32 v[136:137], v[128:129], v[64:65]
	v_fma_f64 v[8:9], v[102:103], v[40:41], -v[8:9]
	v_add_f64 v[138:139], v[134:135], v[136:137]
	ds_read_b128 v[134:137], v1 offset:1728
	v_add_f64 v[6:7], v[6:7], v[8:9]
	v_mul_f64 v[8:9], v[108:109], v[34:35]
	v_fma_f64 v[8:9], v[106:107], v[36:37], -v[8:9]
	v_add_f64 v[6:7], v[6:7], v[8:9]
	v_mul_f64 v[8:9], v[112:113], v[46:47]
	s_waitcnt lgkmcnt(1)
	v_mul_f64 v[140:141], v[130:131], v[58:59]
	v_fma_f64 v[8:9], v[110:111], v[48:49], -v[8:9]
	v_fmac_f64_e32 v[140:141], v[132:133], v[60:61]
	v_add_f64 v[6:7], v[6:7], v[8:9]
	v_mul_f64 v[8:9], v[116:117], v[42:43]
	v_add_f64 v[142:143], v[138:139], v[140:141]
	ds_read_b128 v[138:141], v1 offset:1744
	s_waitcnt vmcnt(26) lgkmcnt(1)
	v_mul_f64 v[144:145], v[134:135], v[70:71]
	v_fma_f64 v[8:9], v[114:115], v[44:45], -v[8:9]
	s_waitcnt vmcnt(24)
	v_fmac_f64_e32 v[144:145], v[136:137], v[72:73]
	v_add_f64 v[6:7], v[6:7], v[8:9]
	v_mul_f64 v[8:9], v[120:121], v[54:55]
	v_add_f64 v[146:147], v[142:143], v[144:145]
	ds_read_b128 v[142:145], v1 offset:1760
	v_fma_f64 v[8:9], v[118:119], v[56:57], -v[8:9]
	v_add_f64 v[6:7], v[6:7], v[8:9]
	v_mul_f64 v[8:9], v[124:125], v[50:51]
	v_fma_f64 v[8:9], v[122:123], v[52:53], -v[8:9]
	s_waitcnt lgkmcnt(1)
	v_mul_f64 v[148:149], v[138:139], v[66:67]
	v_add_f64 v[6:7], v[6:7], v[8:9]
	v_mul_f64 v[8:9], v[128:129], v[62:63]
	v_fmac_f64_e32 v[148:149], v[140:141], v[68:69]
	v_fma_f64 v[8:9], v[126:127], v[64:65], -v[8:9]
	v_add_f64 v[150:151], v[146:147], v[148:149]
	ds_read_b128 v[146:149], v1 offset:1776
	s_waitcnt vmcnt(18) lgkmcnt(1)
	v_mul_f64 v[152:153], v[142:143], v[170:171]
	v_add_f64 v[6:7], v[6:7], v[8:9]
	v_mul_f64 v[8:9], v[132:133], v[58:59]
	s_waitcnt vmcnt(16)
	v_fmac_f64_e32 v[152:153], v[144:145], v[172:173]
	v_fma_f64 v[8:9], v[130:131], v[60:61], -v[8:9]
	v_add_f64 v[154:155], v[150:151], v[152:153]
	ds_read_b128 v[150:153], v1 offset:1792
	v_add_f64 v[6:7], v[6:7], v[8:9]
	v_mul_f64 v[8:9], v[136:137], v[70:71]
	v_fma_f64 v[8:9], v[134:135], v[72:73], -v[8:9]
	v_add_f64 v[6:7], v[6:7], v[8:9]
	v_mul_f64 v[8:9], v[140:141], v[66:67]
	s_waitcnt lgkmcnt(1)
	v_mul_f64 v[156:157], v[146:147], v[166:167]
	v_fma_f64 v[8:9], v[138:139], v[68:69], -v[8:9]
	v_fmac_f64_e32 v[156:157], v[148:149], v[168:169]
	v_add_f64 v[6:7], v[6:7], v[8:9]
	v_mul_f64 v[8:9], v[144:145], v[170:171]
	v_add_f64 v[158:159], v[154:155], v[156:157]
	ds_read_b128 v[154:157], v1 offset:1808
	s_waitcnt vmcnt(10) lgkmcnt(1)
	v_mul_f64 v[160:161], v[150:151], v[178:179]
	v_fma_f64 v[8:9], v[142:143], v[172:173], -v[8:9]
	s_waitcnt vmcnt(8)
	v_fmac_f64_e32 v[160:161], v[152:153], v[180:181]
	v_add_f64 v[6:7], v[6:7], v[8:9]
	v_mul_f64 v[8:9], v[148:149], v[166:167]
	v_add_f64 v[190:191], v[158:159], v[160:161]
	ds_read_b128 v[158:161], v1 offset:1824
	v_fma_f64 v[8:9], v[146:147], v[168:169], -v[8:9]
	v_add_f64 v[6:7], v[6:7], v[8:9]
	v_mul_f64 v[8:9], v[152:153], v[178:179]
	v_fma_f64 v[8:9], v[150:151], v[180:181], -v[8:9]
	v_add_f64 v[6:7], v[6:7], v[8:9]
	s_waitcnt lgkmcnt(1)
	v_mul_f64 v[8:9], v[156:157], v[174:175]
	v_mul_f64 v[192:193], v[154:155], v[174:175]
	v_fma_f64 v[8:9], v[154:155], v[176:177], -v[8:9]
	v_fmac_f64_e32 v[192:193], v[156:157], v[176:177]
	v_add_f64 v[6:7], v[6:7], v[8:9]
	s_waitcnt vmcnt(2) lgkmcnt(0)
	v_mul_f64 v[8:9], v[160:161], v[186:187]
	v_add_f64 v[190:191], v[190:191], v[192:193]
	v_mul_f64 v[192:193], v[158:159], v[186:187]
	s_waitcnt vmcnt(0)
	v_fma_f64 v[8:9], v[158:159], v[188:189], -v[8:9]
	v_fmac_f64_e32 v[192:193], v[160:161], v[188:189]
	v_add_f64 v[6:7], v[6:7], v[8:9]
	v_mul_f64 v[8:9], v[164:165], v[182:183]
	v_add_f64 v[190:191], v[190:191], v[192:193]
	v_mul_f64 v[192:193], v[162:163], v[182:183]
	v_fma_f64 v[8:9], v[162:163], v[184:185], -v[8:9]
	v_fmac_f64_e32 v[192:193], v[164:165], v[184:185]
	v_add_f64 v[6:7], v[6:7], v[8:9]
	v_add_f64 v[190:191], v[190:191], v[192:193]
	v_add_f64 v[4:5], v[4:5], -v[6:7]
	v_add_f64 v[2:3], v[2:3], -v[190:191]
	buffer_store_dword v5, off, s[0:3], 0 offset:564
	buffer_store_dword v4, off, s[0:3], 0 offset:560
	;; [unrolled: 1-line block ×4, first 2 shown]
	s_and_saveexec_b64 s[4:5], vcc
	s_cbranch_execz .LBB121_295
; %bb.294:
	v_accvgpr_read_b32 v5, a140
	buffer_load_dword v2, v5, s[0:3], 0 offen
	buffer_load_dword v3, v5, s[0:3], 0 offen offset:4
	buffer_load_dword v4, v5, s[0:3], 0 offen offset:8
	s_nop 0
	buffer_load_dword v5, v5, s[0:3], 0 offen offset:12
	v_accvgpr_read_b32 v6, a173
	buffer_store_dword v1, off, s[0:3], 0 offset:544
	buffer_store_dword v1, off, s[0:3], 0 offset:548
	;; [unrolled: 1-line block ×4, first 2 shown]
	s_waitcnt vmcnt(4)
	ds_write_b128 v6, v[2:5]
.LBB121_295:
	s_or_b64 exec, exec, s[4:5]
	s_waitcnt lgkmcnt(0)
	; wave barrier
	s_waitcnt lgkmcnt(0)
	buffer_load_dword v22, off, s[0:3], 0 offset:560
	buffer_load_dword v23, off, s[0:3], 0 offset:564
	;; [unrolled: 1-line block ×16, first 2 shown]
	ds_read_b128 v[2:5], v1 offset:1472
	ds_read_b128 v[6:9], v1 offset:1488
	;; [unrolled: 1-line block ×4, first 2 shown]
	buffer_load_dword v35, off, s[0:3], 0 offset:636
	buffer_load_dword v34, off, s[0:3], 0 offset:632
	;; [unrolled: 1-line block ×48, first 2 shown]
	v_cmp_lt_u32_e32 vcc, 32, v0
	s_waitcnt vmcnt(42) lgkmcnt(0)
	v_mul_f64 v[104:105], v[14:15], v[38:39]
	s_waitcnt vmcnt(40)
	v_fmac_f64_e32 v[104:105], v[16:17], v[40:41]
	v_mul_f64 v[82:83], v[2:3], v[24:25]
	v_fmac_f64_e32 v[82:83], v[4:5], v[22:23]
	v_add_f64 v[82:83], v[82:83], 0
	v_mul_f64 v[4:5], v[4:5], v[24:25]
	v_mul_f64 v[84:85], v[6:7], v[32:33]
	v_fma_f64 v[2:3], v[2:3], v[22:23], -v[4:5]
	v_mul_f64 v[98:99], v[10:11], v[26:27]
	v_fmac_f64_e32 v[98:99], v[12:13], v[30:31]
	v_fmac_f64_e32 v[84:85], v[8:9], v[28:29]
	v_add_f64 v[100:101], v[82:83], v[84:85]
	buffer_load_dword v83, off, s[0:3], 0 offset:828
	buffer_load_dword v82, off, s[0:3], 0 offset:824
	;; [unrolled: 1-line block ×32, first 2 shown]
	v_add_f64 v[102:103], v[100:101], v[98:99]
	ds_read_b128 v[98:101], v1 offset:1536
	buffer_load_dword v195, off, s[0:3], 0 offset:940
	buffer_load_dword v194, off, s[0:3], 0 offset:936
	;; [unrolled: 1-line block ×4, first 2 shown]
	v_add_f64 v[106:107], v[102:103], v[104:105]
	ds_read_b128 v[102:105], v1 offset:1552
	v_mul_f64 v[4:5], v[8:9], v[32:33]
	s_waitcnt lgkmcnt(1)
	v_mul_f64 v[108:109], v[98:99], v[34:35]
	v_fmac_f64_e32 v[108:109], v[100:101], v[36:37]
	v_add_f64 v[110:111], v[106:107], v[108:109]
	ds_read_b128 v[106:109], v1 offset:1568
	s_waitcnt vmcnt(62) lgkmcnt(1)
	v_mul_f64 v[112:113], v[102:103], v[46:47]
	v_fmac_f64_e32 v[112:113], v[104:105], v[48:49]
	v_add_f64 v[114:115], v[110:111], v[112:113]
	ds_read_b128 v[110:113], v1 offset:1584
	s_waitcnt lgkmcnt(1)
	v_mul_f64 v[116:117], v[106:107], v[42:43]
	v_fmac_f64_e32 v[116:117], v[108:109], v[44:45]
	v_add_f64 v[118:119], v[114:115], v[116:117]
	ds_read_b128 v[114:117], v1 offset:1600
	s_waitcnt lgkmcnt(1)
	v_mul_f64 v[120:121], v[110:111], v[54:55]
	s_waitcnt vmcnt(60)
	v_fmac_f64_e32 v[120:121], v[112:113], v[56:57]
	v_add_f64 v[122:123], v[118:119], v[120:121]
	ds_read_b128 v[118:121], v1 offset:1616
	s_waitcnt lgkmcnt(1)
	v_mul_f64 v[124:125], v[114:115], v[50:51]
	v_fmac_f64_e32 v[124:125], v[116:117], v[52:53]
	v_add_f64 v[126:127], v[122:123], v[124:125]
	ds_read_b128 v[122:125], v1 offset:1632
	s_waitcnt vmcnt(54) lgkmcnt(1)
	v_mul_f64 v[128:129], v[118:119], v[62:63]
	s_waitcnt vmcnt(52)
	v_fmac_f64_e32 v[128:129], v[120:121], v[64:65]
	v_add_f64 v[130:131], v[126:127], v[128:129]
	ds_read_b128 v[126:129], v1 offset:1648
	s_waitcnt lgkmcnt(1)
	v_mul_f64 v[132:133], v[122:123], v[58:59]
	v_fmac_f64_e32 v[132:133], v[124:125], v[60:61]
	v_add_f64 v[2:3], v[2:3], 0
	v_fma_f64 v[4:5], v[6:7], v[28:29], -v[4:5]
	v_add_f64 v[134:135], v[130:131], v[132:133]
	ds_read_b128 v[130:133], v1 offset:1664
	v_add_f64 v[2:3], v[2:3], v[4:5]
	v_mul_f64 v[4:5], v[12:13], v[26:27]
	v_fma_f64 v[4:5], v[10:11], v[30:31], -v[4:5]
	v_add_f64 v[2:3], v[2:3], v[4:5]
	v_mul_f64 v[4:5], v[16:17], v[38:39]
	s_waitcnt vmcnt(46) lgkmcnt(1)
	v_mul_f64 v[136:137], v[126:127], v[70:71]
	v_fma_f64 v[4:5], v[14:15], v[40:41], -v[4:5]
	s_waitcnt vmcnt(44)
	v_fmac_f64_e32 v[136:137], v[128:129], v[72:73]
	v_add_f64 v[2:3], v[2:3], v[4:5]
	v_mul_f64 v[4:5], v[100:101], v[34:35]
	v_add_f64 v[138:139], v[134:135], v[136:137]
	ds_read_b128 v[134:137], v1 offset:1680
	s_waitcnt lgkmcnt(1)
	v_mul_f64 v[140:141], v[130:131], v[66:67]
	v_fma_f64 v[4:5], v[98:99], v[36:37], -v[4:5]
	v_fmac_f64_e32 v[140:141], v[132:133], v[68:69]
	v_add_f64 v[2:3], v[2:3], v[4:5]
	v_mul_f64 v[4:5], v[104:105], v[46:47]
	v_add_f64 v[142:143], v[138:139], v[140:141]
	ds_read_b128 v[138:141], v1 offset:1696
	v_fma_f64 v[4:5], v[102:103], v[48:49], -v[4:5]
	v_add_f64 v[2:3], v[2:3], v[4:5]
	v_mul_f64 v[4:5], v[108:109], v[42:43]
	v_fma_f64 v[4:5], v[106:107], v[44:45], -v[4:5]
	s_waitcnt vmcnt(38) lgkmcnt(1)
	v_mul_f64 v[144:145], v[134:135], v[78:79]
	v_add_f64 v[2:3], v[2:3], v[4:5]
	v_mul_f64 v[4:5], v[112:113], v[54:55]
	s_waitcnt vmcnt(36)
	v_fmac_f64_e32 v[144:145], v[136:137], v[80:81]
	v_fma_f64 v[4:5], v[110:111], v[56:57], -v[4:5]
	v_add_f64 v[146:147], v[142:143], v[144:145]
	ds_read_b128 v[142:145], v1 offset:1712
	s_waitcnt lgkmcnt(1)
	v_mul_f64 v[148:149], v[138:139], v[74:75]
	v_add_f64 v[2:3], v[2:3], v[4:5]
	v_mul_f64 v[4:5], v[116:117], v[50:51]
	v_fmac_f64_e32 v[148:149], v[140:141], v[76:77]
	v_fma_f64 v[4:5], v[114:115], v[52:53], -v[4:5]
	v_add_f64 v[150:151], v[146:147], v[148:149]
	ds_read_b128 v[146:149], v1 offset:1728
	v_add_f64 v[2:3], v[2:3], v[4:5]
	v_mul_f64 v[4:5], v[120:121], v[62:63]
	v_fma_f64 v[4:5], v[118:119], v[64:65], -v[4:5]
	v_add_f64 v[2:3], v[2:3], v[4:5]
	v_mul_f64 v[4:5], v[124:125], v[58:59]
	s_waitcnt vmcnt(30) lgkmcnt(1)
	v_mul_f64 v[152:153], v[142:143], v[86:87]
	v_fma_f64 v[4:5], v[122:123], v[60:61], -v[4:5]
	s_waitcnt vmcnt(28)
	v_fmac_f64_e32 v[152:153], v[144:145], v[88:89]
	v_add_f64 v[2:3], v[2:3], v[4:5]
	v_mul_f64 v[4:5], v[128:129], v[70:71]
	v_add_f64 v[154:155], v[150:151], v[152:153]
	ds_read_b128 v[150:153], v1 offset:1744
	s_waitcnt lgkmcnt(1)
	v_mul_f64 v[156:157], v[146:147], v[82:83]
	v_fma_f64 v[4:5], v[126:127], v[72:73], -v[4:5]
	v_fmac_f64_e32 v[156:157], v[148:149], v[84:85]
	v_add_f64 v[2:3], v[2:3], v[4:5]
	v_mul_f64 v[4:5], v[132:133], v[66:67]
	v_add_f64 v[158:159], v[154:155], v[156:157]
	ds_read_b128 v[154:157], v1 offset:1760
	v_fma_f64 v[4:5], v[130:131], v[68:69], -v[4:5]
	v_add_f64 v[2:3], v[2:3], v[4:5]
	v_mul_f64 v[4:5], v[136:137], v[78:79]
	v_fma_f64 v[4:5], v[134:135], v[80:81], -v[4:5]
	s_waitcnt vmcnt(22) lgkmcnt(1)
	v_mul_f64 v[160:161], v[150:151], v[94:95]
	v_add_f64 v[2:3], v[2:3], v[4:5]
	v_mul_f64 v[4:5], v[140:141], v[74:75]
	s_waitcnt vmcnt(20)
	v_fmac_f64_e32 v[160:161], v[152:153], v[96:97]
	v_fma_f64 v[4:5], v[138:139], v[76:77], -v[4:5]
	v_add_f64 v[162:163], v[158:159], v[160:161]
	ds_read_b128 v[158:161], v1 offset:1776
	s_waitcnt lgkmcnt(1)
	v_mul_f64 v[164:165], v[154:155], v[90:91]
	v_add_f64 v[2:3], v[2:3], v[4:5]
	v_mul_f64 v[4:5], v[144:145], v[86:87]
	v_fmac_f64_e32 v[164:165], v[156:157], v[92:93]
	v_fma_f64 v[4:5], v[142:143], v[88:89], -v[4:5]
	v_add_f64 v[166:167], v[162:163], v[164:165]
	ds_read_b128 v[162:165], v1 offset:1792
	v_add_f64 v[2:3], v[2:3], v[4:5]
	v_mul_f64 v[4:5], v[148:149], v[82:83]
	v_fma_f64 v[4:5], v[146:147], v[84:85], -v[4:5]
	v_add_f64 v[2:3], v[2:3], v[4:5]
	v_mul_f64 v[4:5], v[152:153], v[94:95]
	s_waitcnt vmcnt(14) lgkmcnt(1)
	v_mul_f64 v[168:169], v[158:159], v[182:183]
	v_fma_f64 v[4:5], v[150:151], v[96:97], -v[4:5]
	s_waitcnt vmcnt(12)
	v_fmac_f64_e32 v[168:169], v[160:161], v[184:185]
	v_add_f64 v[2:3], v[2:3], v[4:5]
	v_mul_f64 v[4:5], v[156:157], v[90:91]
	v_add_f64 v[170:171], v[166:167], v[168:169]
	ds_read_b128 v[166:169], v1 offset:1808
	s_waitcnt lgkmcnt(1)
	v_mul_f64 v[172:173], v[162:163], v[178:179]
	v_fma_f64 v[4:5], v[154:155], v[92:93], -v[4:5]
	v_fmac_f64_e32 v[172:173], v[164:165], v[180:181]
	v_add_f64 v[2:3], v[2:3], v[4:5]
	v_mul_f64 v[4:5], v[160:161], v[182:183]
	v_add_f64 v[198:199], v[170:171], v[172:173]
	ds_read_b128 v[170:173], v1 offset:1824
	v_fma_f64 v[4:5], v[158:159], v[184:185], -v[4:5]
	v_add_f64 v[2:3], v[2:3], v[4:5]
	v_mul_f64 v[4:5], v[164:165], v[178:179]
	ds_read_b128 v[174:177], v1 offset:1840
	v_fma_f64 v[4:5], v[162:163], v[180:181], -v[4:5]
	v_add_f64 v[2:3], v[2:3], v[4:5]
	s_waitcnt vmcnt(6) lgkmcnt(2)
	v_mul_f64 v[4:5], v[168:169], v[190:191]
	v_mul_f64 v[200:201], v[166:167], v[190:191]
	s_waitcnt vmcnt(4)
	v_fma_f64 v[4:5], v[166:167], v[192:193], -v[4:5]
	v_fmac_f64_e32 v[200:201], v[168:169], v[192:193]
	v_add_f64 v[2:3], v[2:3], v[4:5]
	s_waitcnt lgkmcnt(1)
	v_mul_f64 v[4:5], v[172:173], v[186:187]
	v_add_f64 v[198:199], v[198:199], v[200:201]
	v_mul_f64 v[200:201], v[170:171], v[186:187]
	v_fma_f64 v[4:5], v[170:171], v[188:189], -v[4:5]
	v_fmac_f64_e32 v[200:201], v[172:173], v[188:189]
	v_add_f64 v[2:3], v[2:3], v[4:5]
	s_waitcnt vmcnt(2) lgkmcnt(0)
	v_mul_f64 v[4:5], v[176:177], v[194:195]
	v_add_f64 v[198:199], v[198:199], v[200:201]
	v_mul_f64 v[200:201], v[174:175], v[194:195]
	s_waitcnt vmcnt(0)
	v_fma_f64 v[4:5], v[174:175], v[196:197], -v[4:5]
	v_fmac_f64_e32 v[200:201], v[176:177], v[196:197]
	v_add_f64 v[2:3], v[2:3], v[4:5]
	v_add_f64 v[198:199], v[198:199], v[200:201]
	v_add_f64 v[2:3], v[20:21], -v[2:3]
	v_add_f64 v[4:5], v[18:19], -v[198:199]
	buffer_store_dword v3, off, s[0:3], 0 offset:548
	buffer_store_dword v2, off, s[0:3], 0 offset:544
	;; [unrolled: 1-line block ×4, first 2 shown]
	s_and_saveexec_b64 s[4:5], vcc
	s_cbranch_execz .LBB121_297
; %bb.296:
	v_accvgpr_read_b32 v1, a141
	buffer_load_dword v2, v1, s[0:3], 0 offen
	buffer_load_dword v3, v1, s[0:3], 0 offen offset:4
	buffer_load_dword v4, v1, s[0:3], 0 offen offset:8
	;; [unrolled: 1-line block ×3, first 2 shown]
	v_mov_b32_e32 v1, 0
	v_accvgpr_read_b32 v6, a173
	buffer_store_dword v1, off, s[0:3], 0 offset:528
	buffer_store_dword v1, off, s[0:3], 0 offset:532
	;; [unrolled: 1-line block ×4, first 2 shown]
	s_waitcnt vmcnt(4)
	ds_write_b128 v6, v[2:5]
.LBB121_297:
	s_or_b64 exec, exec, s[4:5]
	s_waitcnt lgkmcnt(0)
	; wave barrier
	s_waitcnt lgkmcnt(0)
	buffer_load_dword v22, off, s[0:3], 0 offset:544
	buffer_load_dword v23, off, s[0:3], 0 offset:548
	;; [unrolled: 1-line block ×64, first 2 shown]
	v_mov_b32_e32 v1, 0
	ds_read_b128 v[18:21], v1 offset:1456
	ds_read_b128 v[14:17], v1 offset:1472
	;; [unrolled: 1-line block ×5, first 2 shown]
	v_cmp_lt_u32_e32 vcc, 31, v0
	s_waitcnt vmcnt(60) lgkmcnt(4)
	v_mul_f64 v[86:87], v[18:19], v[26:27]
	v_fmac_f64_e32 v[86:87], v[20:21], v[22:23]
	v_add_f64 v[86:87], v[86:87], 0
	v_mul_f64 v[20:21], v[20:21], v[26:27]
	s_waitcnt vmcnt(56) lgkmcnt(3)
	v_mul_f64 v[88:89], v[14:15], v[28:29]
	v_fmac_f64_e32 v[88:89], v[16:17], v[24:25]
	s_waitcnt vmcnt(54) lgkmcnt(2)
	v_mul_f64 v[90:91], v[10:11], v[30:31]
	v_add_f64 v[86:87], v[86:87], v[88:89]
	v_fma_f64 v[18:19], v[18:19], v[22:23], -v[20:21]
	v_mul_f64 v[16:17], v[16:17], v[28:29]
	s_waitcnt vmcnt(50) lgkmcnt(1)
	v_mul_f64 v[102:103], v[6:7], v[40:41]
	v_add_f64 v[18:19], v[18:19], 0
	s_waitcnt vmcnt(48)
	v_fmac_f64_e32 v[90:91], v[12:13], v[44:45]
	v_add_f64 v[104:105], v[86:87], v[90:91]
	buffer_load_dword v87, off, s[0:3], 0 offset:812
	buffer_load_dword v86, off, s[0:3], 0 offset:808
	;; [unrolled: 1-line block ×40, first 2 shown]
	s_waitcnt vmcnt(62)
	v_fmac_f64_e32 v[102:103], v[8:9], v[42:43]
	v_add_f64 v[106:107], v[104:105], v[102:103]
	ds_read_b128 v[102:105], v1 offset:1536
	s_waitcnt lgkmcnt(1)
	v_mul_f64 v[108:109], v[2:3], v[36:37]
	v_fmac_f64_e32 v[108:109], v[4:5], v[38:39]
	v_add_f64 v[110:111], v[106:107], v[108:109]
	ds_read_b128 v[106:109], v1 offset:1552
	s_waitcnt lgkmcnt(1)
	v_mul_f64 v[112:113], v[102:103], v[50:51]
	;; [unrolled: 5-line block ×5, first 2 shown]
	v_fmac_f64_e32 v[124:125], v[116:117], v[56:57]
	v_add_f64 v[126:127], v[122:123], v[124:125]
	ds_read_b128 v[122:125], v1 offset:1616
	s_waitcnt vmcnt(58) lgkmcnt(1)
	v_mul_f64 v[128:129], v[118:119], v[66:67]
	s_waitcnt vmcnt(56)
	v_fmac_f64_e32 v[128:129], v[120:121], v[68:69]
	v_add_f64 v[130:131], v[126:127], v[128:129]
	ds_read_b128 v[126:129], v1 offset:1632
	s_waitcnt lgkmcnt(1)
	v_mul_f64 v[132:133], v[122:123], v[62:63]
	v_fmac_f64_e32 v[132:133], v[124:125], v[64:65]
	v_add_f64 v[134:135], v[130:131], v[132:133]
	ds_read_b128 v[130:133], v1 offset:1648
	s_waitcnt vmcnt(50) lgkmcnt(1)
	v_mul_f64 v[136:137], v[126:127], v[74:75]
	s_waitcnt vmcnt(48)
	v_fmac_f64_e32 v[136:137], v[128:129], v[76:77]
	v_add_f64 v[138:139], v[134:135], v[136:137]
	ds_read_b128 v[134:137], v1 offset:1664
	v_fma_f64 v[14:15], v[14:15], v[24:25], -v[16:17]
	v_mul_f64 v[12:13], v[12:13], v[30:31]
	v_add_f64 v[14:15], v[18:19], v[14:15]
	v_fma_f64 v[10:11], v[10:11], v[44:45], -v[12:13]
	v_mul_f64 v[8:9], v[8:9], v[40:41]
	s_waitcnt lgkmcnt(1)
	v_mul_f64 v[140:141], v[130:131], v[70:71]
	v_add_f64 v[10:11], v[14:15], v[10:11]
	v_fma_f64 v[6:7], v[6:7], v[42:43], -v[8:9]
	v_mul_f64 v[4:5], v[4:5], v[36:37]
	v_fmac_f64_e32 v[140:141], v[132:133], v[72:73]
	v_add_f64 v[6:7], v[10:11], v[6:7]
	v_fma_f64 v[2:3], v[2:3], v[38:39], -v[4:5]
	v_mul_f64 v[4:5], v[104:105], v[50:51]
	v_add_f64 v[142:143], v[138:139], v[140:141]
	ds_read_b128 v[138:141], v1 offset:1680
	s_waitcnt vmcnt(42) lgkmcnt(1)
	v_mul_f64 v[144:145], v[134:135], v[82:83]
	v_add_f64 v[2:3], v[6:7], v[2:3]
	v_fma_f64 v[4:5], v[102:103], v[52:53], -v[4:5]
	s_waitcnt vmcnt(40)
	v_fmac_f64_e32 v[144:145], v[136:137], v[84:85]
	v_add_f64 v[2:3], v[2:3], v[4:5]
	v_mul_f64 v[4:5], v[108:109], v[46:47]
	v_add_f64 v[146:147], v[142:143], v[144:145]
	ds_read_b128 v[142:145], v1 offset:1696
	v_fma_f64 v[4:5], v[106:107], v[48:49], -v[4:5]
	v_add_f64 v[2:3], v[2:3], v[4:5]
	v_mul_f64 v[4:5], v[112:113], v[58:59]
	v_fma_f64 v[4:5], v[110:111], v[60:61], -v[4:5]
	s_waitcnt lgkmcnt(1)
	v_mul_f64 v[148:149], v[138:139], v[78:79]
	v_add_f64 v[2:3], v[2:3], v[4:5]
	v_mul_f64 v[4:5], v[116:117], v[54:55]
	v_fmac_f64_e32 v[148:149], v[140:141], v[80:81]
	v_fma_f64 v[4:5], v[114:115], v[56:57], -v[4:5]
	v_add_f64 v[150:151], v[146:147], v[148:149]
	ds_read_b128 v[146:149], v1 offset:1712
	s_waitcnt vmcnt(34) lgkmcnt(1)
	v_mul_f64 v[152:153], v[142:143], v[90:91]
	v_add_f64 v[2:3], v[2:3], v[4:5]
	v_mul_f64 v[4:5], v[120:121], v[66:67]
	s_waitcnt vmcnt(32)
	v_fmac_f64_e32 v[152:153], v[144:145], v[92:93]
	v_fma_f64 v[4:5], v[118:119], v[68:69], -v[4:5]
	v_add_f64 v[154:155], v[150:151], v[152:153]
	ds_read_b128 v[150:153], v1 offset:1728
	v_add_f64 v[2:3], v[2:3], v[4:5]
	v_mul_f64 v[4:5], v[124:125], v[62:63]
	v_fma_f64 v[4:5], v[122:123], v[64:65], -v[4:5]
	v_add_f64 v[2:3], v[2:3], v[4:5]
	v_mul_f64 v[4:5], v[128:129], v[74:75]
	s_waitcnt lgkmcnt(1)
	v_mul_f64 v[156:157], v[146:147], v[86:87]
	v_fma_f64 v[4:5], v[126:127], v[76:77], -v[4:5]
	v_fmac_f64_e32 v[156:157], v[148:149], v[88:89]
	v_add_f64 v[2:3], v[2:3], v[4:5]
	v_mul_f64 v[4:5], v[132:133], v[70:71]
	v_add_f64 v[158:159], v[154:155], v[156:157]
	ds_read_b128 v[154:157], v1 offset:1744
	s_waitcnt vmcnt(26) lgkmcnt(1)
	v_mul_f64 v[160:161], v[150:151], v[98:99]
	v_fma_f64 v[4:5], v[130:131], v[72:73], -v[4:5]
	s_waitcnt vmcnt(24)
	v_fmac_f64_e32 v[160:161], v[152:153], v[100:101]
	v_add_f64 v[2:3], v[2:3], v[4:5]
	v_mul_f64 v[4:5], v[136:137], v[82:83]
	v_add_f64 v[162:163], v[158:159], v[160:161]
	ds_read_b128 v[158:161], v1 offset:1760
	v_fma_f64 v[4:5], v[134:135], v[84:85], -v[4:5]
	v_add_f64 v[2:3], v[2:3], v[4:5]
	v_mul_f64 v[4:5], v[140:141], v[78:79]
	v_fma_f64 v[4:5], v[138:139], v[80:81], -v[4:5]
	s_waitcnt lgkmcnt(1)
	v_mul_f64 v[164:165], v[154:155], v[94:95]
	v_add_f64 v[2:3], v[2:3], v[4:5]
	v_mul_f64 v[4:5], v[144:145], v[90:91]
	v_fmac_f64_e32 v[164:165], v[156:157], v[96:97]
	v_fma_f64 v[4:5], v[142:143], v[92:93], -v[4:5]
	v_add_f64 v[166:167], v[162:163], v[164:165]
	ds_read_b128 v[162:165], v1 offset:1776
	s_waitcnt vmcnt(18) lgkmcnt(1)
	v_mul_f64 v[168:169], v[158:159], v[186:187]
	v_add_f64 v[2:3], v[2:3], v[4:5]
	v_mul_f64 v[4:5], v[148:149], v[86:87]
	s_waitcnt vmcnt(16)
	v_fmac_f64_e32 v[168:169], v[160:161], v[188:189]
	v_fma_f64 v[4:5], v[146:147], v[88:89], -v[4:5]
	v_add_f64 v[170:171], v[166:167], v[168:169]
	ds_read_b128 v[166:169], v1 offset:1792
	v_add_f64 v[2:3], v[2:3], v[4:5]
	v_mul_f64 v[4:5], v[152:153], v[98:99]
	v_fma_f64 v[4:5], v[150:151], v[100:101], -v[4:5]
	v_add_f64 v[2:3], v[2:3], v[4:5]
	v_mul_f64 v[4:5], v[156:157], v[94:95]
	s_waitcnt lgkmcnt(1)
	v_mul_f64 v[172:173], v[162:163], v[182:183]
	v_fma_f64 v[4:5], v[154:155], v[96:97], -v[4:5]
	v_fmac_f64_e32 v[172:173], v[164:165], v[184:185]
	v_add_f64 v[2:3], v[2:3], v[4:5]
	v_mul_f64 v[4:5], v[160:161], v[186:187]
	v_add_f64 v[174:175], v[170:171], v[172:173]
	ds_read_b128 v[170:173], v1 offset:1808
	s_waitcnt vmcnt(10) lgkmcnt(1)
	v_mul_f64 v[176:177], v[166:167], v[194:195]
	v_fma_f64 v[4:5], v[158:159], v[188:189], -v[4:5]
	s_waitcnt vmcnt(8)
	v_fmac_f64_e32 v[176:177], v[168:169], v[196:197]
	v_add_f64 v[2:3], v[2:3], v[4:5]
	v_mul_f64 v[4:5], v[164:165], v[182:183]
	v_add_f64 v[206:207], v[174:175], v[176:177]
	ds_read_b128 v[174:177], v1 offset:1824
	ds_read_b128 v[178:181], v1 offset:1840
	v_fma_f64 v[4:5], v[162:163], v[184:185], -v[4:5]
	v_add_f64 v[2:3], v[2:3], v[4:5]
	v_mul_f64 v[4:5], v[168:169], v[194:195]
	v_fma_f64 v[4:5], v[166:167], v[196:197], -v[4:5]
	v_add_f64 v[2:3], v[2:3], v[4:5]
	s_waitcnt lgkmcnt(2)
	v_mul_f64 v[4:5], v[172:173], v[190:191]
	v_mul_f64 v[208:209], v[170:171], v[190:191]
	v_fma_f64 v[4:5], v[170:171], v[192:193], -v[4:5]
	v_fmac_f64_e32 v[208:209], v[172:173], v[192:193]
	v_add_f64 v[2:3], v[2:3], v[4:5]
	s_waitcnt vmcnt(2) lgkmcnt(1)
	v_mul_f64 v[4:5], v[176:177], v[202:203]
	v_add_f64 v[206:207], v[206:207], v[208:209]
	v_mul_f64 v[208:209], v[174:175], v[202:203]
	s_waitcnt vmcnt(0)
	v_fma_f64 v[4:5], v[174:175], v[204:205], -v[4:5]
	v_fmac_f64_e32 v[208:209], v[176:177], v[204:205]
	v_add_f64 v[2:3], v[2:3], v[4:5]
	s_waitcnt lgkmcnt(0)
	v_mul_f64 v[4:5], v[180:181], v[198:199]
	v_add_f64 v[206:207], v[206:207], v[208:209]
	v_mul_f64 v[208:209], v[178:179], v[198:199]
	v_fma_f64 v[4:5], v[178:179], v[200:201], -v[4:5]
	v_fmac_f64_e32 v[208:209], v[180:181], v[200:201]
	v_add_f64 v[2:3], v[2:3], v[4:5]
	v_add_f64 v[206:207], v[206:207], v[208:209]
	v_add_f64 v[2:3], v[34:35], -v[2:3]
	v_add_f64 v[4:5], v[32:33], -v[206:207]
	buffer_store_dword v3, off, s[0:3], 0 offset:532
	buffer_store_dword v2, off, s[0:3], 0 offset:528
	;; [unrolled: 1-line block ×4, first 2 shown]
	s_and_saveexec_b64 s[4:5], vcc
	s_cbranch_execz .LBB121_299
; %bb.298:
	v_accvgpr_read_b32 v5, a142
	buffer_load_dword v2, v5, s[0:3], 0 offen
	buffer_load_dword v3, v5, s[0:3], 0 offen offset:4
	buffer_load_dword v4, v5, s[0:3], 0 offen offset:8
	s_nop 0
	buffer_load_dword v5, v5, s[0:3], 0 offen offset:12
	v_accvgpr_read_b32 v6, a173
	buffer_store_dword v1, off, s[0:3], 0 offset:512
	buffer_store_dword v1, off, s[0:3], 0 offset:516
	;; [unrolled: 1-line block ×4, first 2 shown]
	s_waitcnt vmcnt(4)
	ds_write_b128 v6, v[2:5]
.LBB121_299:
	s_or_b64 exec, exec, s[4:5]
	s_waitcnt lgkmcnt(0)
	; wave barrier
	s_waitcnt lgkmcnt(0)
	buffer_load_dword v26, off, s[0:3], 0 offset:528
	buffer_load_dword v27, off, s[0:3], 0 offset:532
	;; [unrolled: 1-line block ×24, first 2 shown]
	ds_read_b128 v[22:25], v1 offset:1440
	ds_read_b128 v[18:21], v1 offset:1456
	;; [unrolled: 1-line block ×6, first 2 shown]
	buffer_load_dword v51, off, s[0:3], 0 offset:636
	buffer_load_dword v50, off, s[0:3], 0 offset:632
	;; [unrolled: 1-line block ×40, first 2 shown]
	v_cmp_lt_u32_e32 vcc, 30, v0
	s_waitcnt vmcnt(34) lgkmcnt(0)
	v_mul_f64 v[120:121], v[14:15], v[54:55]
	s_waitcnt vmcnt(32)
	v_fmac_f64_e32 v[120:121], v[16:17], v[56:57]
	v_mul_f64 v[90:91], v[22:23], v[28:29]
	v_fmac_f64_e32 v[90:91], v[24:25], v[26:27]
	v_mul_f64 v[92:93], v[18:19], v[30:31]
	v_add_f64 v[90:91], v[90:91], 0
	v_mul_f64 v[94:95], v[10:11], v[32:33]
	v_mul_f64 v[24:25], v[24:25], v[28:29]
	;; [unrolled: 1-line block ×3, first 2 shown]
	v_fma_f64 v[22:23], v[22:23], v[26:27], -v[24:25]
	v_add_f64 v[22:23], v[22:23], 0
	v_mul_f64 v[96:97], v[6:7], v[42:43]
	v_fmac_f64_e32 v[92:93], v[20:21], v[48:49]
	v_add_f64 v[90:91], v[90:91], v[92:93]
	v_fmac_f64_e32 v[94:95], v[12:13], v[46:47]
	v_add_f64 v[90:91], v[90:91], v[94:95]
	v_fmac_f64_e32 v[96:97], v[8:9], v[44:45]
	v_add_f64 v[116:117], v[90:91], v[96:97]
	buffer_load_dword v91, off, s[0:3], 0 offset:796
	buffer_load_dword v90, off, s[0:3], 0 offset:792
	;; [unrolled: 1-line block ×40, first 2 shown]
	v_fmac_f64_e32 v[114:115], v[4:5], v[40:41]
	v_add_f64 v[118:119], v[116:117], v[114:115]
	ds_read_b128 v[114:117], v1 offset:1536
	buffer_load_dword v211, off, s[0:3], 0 offset:940
	buffer_load_dword v210, off, s[0:3], 0 offset:936
	;; [unrolled: 1-line block ×4, first 2 shown]
	v_add_f64 v[122:123], v[118:119], v[120:121]
	ds_read_b128 v[118:121], v1 offset:1552
	v_mul_f64 v[20:21], v[20:21], v[30:31]
	s_waitcnt lgkmcnt(1)
	v_mul_f64 v[124:125], v[114:115], v[50:51]
	v_fmac_f64_e32 v[124:125], v[116:117], v[52:53]
	v_add_f64 v[126:127], v[122:123], v[124:125]
	ds_read_b128 v[122:125], v1 offset:1568
	s_waitcnt vmcnt(62) lgkmcnt(1)
	v_mul_f64 v[128:129], v[118:119], v[62:63]
	v_fmac_f64_e32 v[128:129], v[120:121], v[64:65]
	v_add_f64 v[130:131], v[126:127], v[128:129]
	ds_read_b128 v[126:129], v1 offset:1584
	s_waitcnt lgkmcnt(1)
	v_mul_f64 v[132:133], v[122:123], v[58:59]
	v_fmac_f64_e32 v[132:133], v[124:125], v[60:61]
	v_add_f64 v[134:135], v[130:131], v[132:133]
	ds_read_b128 v[130:133], v1 offset:1600
	s_waitcnt lgkmcnt(1)
	v_mul_f64 v[136:137], v[126:127], v[70:71]
	s_waitcnt vmcnt(60)
	v_fmac_f64_e32 v[136:137], v[128:129], v[72:73]
	v_add_f64 v[138:139], v[134:135], v[136:137]
	ds_read_b128 v[134:137], v1 offset:1616
	s_waitcnt lgkmcnt(1)
	v_mul_f64 v[140:141], v[130:131], v[66:67]
	v_fmac_f64_e32 v[140:141], v[132:133], v[68:69]
	v_add_f64 v[142:143], v[138:139], v[140:141]
	ds_read_b128 v[138:141], v1 offset:1632
	s_waitcnt vmcnt(54) lgkmcnt(1)
	v_mul_f64 v[144:145], v[134:135], v[78:79]
	s_waitcnt vmcnt(52)
	v_fmac_f64_e32 v[144:145], v[136:137], v[80:81]
	v_add_f64 v[146:147], v[142:143], v[144:145]
	ds_read_b128 v[142:145], v1 offset:1648
	s_waitcnt lgkmcnt(1)
	v_mul_f64 v[148:149], v[138:139], v[74:75]
	v_fmac_f64_e32 v[148:149], v[140:141], v[76:77]
	v_fma_f64 v[18:19], v[18:19], v[48:49], -v[20:21]
	v_mul_f64 v[12:13], v[12:13], v[32:33]
	v_add_f64 v[150:151], v[146:147], v[148:149]
	ds_read_b128 v[146:149], v1 offset:1664
	v_add_f64 v[18:19], v[22:23], v[18:19]
	v_fma_f64 v[10:11], v[10:11], v[46:47], -v[12:13]
	v_mul_f64 v[8:9], v[8:9], v[42:43]
	v_add_f64 v[10:11], v[18:19], v[10:11]
	v_fma_f64 v[6:7], v[6:7], v[44:45], -v[8:9]
	v_mul_f64 v[4:5], v[4:5], v[38:39]
	;; [unrolled: 3-line block ×3, first 2 shown]
	s_waitcnt vmcnt(46) lgkmcnt(1)
	v_mul_f64 v[152:153], v[142:143], v[86:87]
	v_add_f64 v[2:3], v[6:7], v[2:3]
	v_fma_f64 v[4:5], v[14:15], v[56:57], -v[4:5]
	s_waitcnt vmcnt(44)
	v_fmac_f64_e32 v[152:153], v[144:145], v[88:89]
	v_add_f64 v[2:3], v[2:3], v[4:5]
	v_mul_f64 v[4:5], v[116:117], v[50:51]
	v_add_f64 v[154:155], v[150:151], v[152:153]
	ds_read_b128 v[150:153], v1 offset:1680
	s_waitcnt lgkmcnt(1)
	v_mul_f64 v[156:157], v[146:147], v[82:83]
	v_fma_f64 v[4:5], v[114:115], v[52:53], -v[4:5]
	v_fmac_f64_e32 v[156:157], v[148:149], v[84:85]
	v_add_f64 v[2:3], v[2:3], v[4:5]
	v_mul_f64 v[4:5], v[120:121], v[62:63]
	v_add_f64 v[158:159], v[154:155], v[156:157]
	ds_read_b128 v[154:157], v1 offset:1696
	v_fma_f64 v[4:5], v[118:119], v[64:65], -v[4:5]
	v_add_f64 v[2:3], v[2:3], v[4:5]
	v_mul_f64 v[4:5], v[124:125], v[58:59]
	v_fma_f64 v[4:5], v[122:123], v[60:61], -v[4:5]
	s_waitcnt vmcnt(38) lgkmcnt(1)
	v_mul_f64 v[160:161], v[150:151], v[94:95]
	v_add_f64 v[2:3], v[2:3], v[4:5]
	v_mul_f64 v[4:5], v[128:129], v[70:71]
	s_waitcnt vmcnt(36)
	v_fmac_f64_e32 v[160:161], v[152:153], v[96:97]
	v_fma_f64 v[4:5], v[126:127], v[72:73], -v[4:5]
	v_add_f64 v[162:163], v[158:159], v[160:161]
	ds_read_b128 v[158:161], v1 offset:1712
	s_waitcnt lgkmcnt(1)
	v_mul_f64 v[164:165], v[154:155], v[90:91]
	v_add_f64 v[2:3], v[2:3], v[4:5]
	v_mul_f64 v[4:5], v[132:133], v[66:67]
	v_fmac_f64_e32 v[164:165], v[156:157], v[92:93]
	v_fma_f64 v[4:5], v[130:131], v[68:69], -v[4:5]
	v_add_f64 v[166:167], v[162:163], v[164:165]
	ds_read_b128 v[162:165], v1 offset:1728
	v_add_f64 v[2:3], v[2:3], v[4:5]
	v_mul_f64 v[4:5], v[136:137], v[78:79]
	v_fma_f64 v[4:5], v[134:135], v[80:81], -v[4:5]
	v_add_f64 v[2:3], v[2:3], v[4:5]
	v_mul_f64 v[4:5], v[140:141], v[74:75]
	s_waitcnt vmcnt(30) lgkmcnt(1)
	v_mul_f64 v[168:169], v[158:159], v[102:103]
	v_fma_f64 v[4:5], v[138:139], v[76:77], -v[4:5]
	s_waitcnt vmcnt(28)
	v_fmac_f64_e32 v[168:169], v[160:161], v[104:105]
	v_add_f64 v[2:3], v[2:3], v[4:5]
	v_mul_f64 v[4:5], v[144:145], v[86:87]
	v_add_f64 v[170:171], v[166:167], v[168:169]
	ds_read_b128 v[166:169], v1 offset:1744
	s_waitcnt lgkmcnt(1)
	v_mul_f64 v[172:173], v[162:163], v[98:99]
	v_fma_f64 v[4:5], v[142:143], v[88:89], -v[4:5]
	v_fmac_f64_e32 v[172:173], v[164:165], v[100:101]
	v_add_f64 v[2:3], v[2:3], v[4:5]
	v_mul_f64 v[4:5], v[148:149], v[82:83]
	v_add_f64 v[174:175], v[170:171], v[172:173]
	ds_read_b128 v[170:173], v1 offset:1760
	v_fma_f64 v[4:5], v[146:147], v[84:85], -v[4:5]
	v_add_f64 v[2:3], v[2:3], v[4:5]
	v_mul_f64 v[4:5], v[152:153], v[94:95]
	v_fma_f64 v[4:5], v[150:151], v[96:97], -v[4:5]
	s_waitcnt vmcnt(22) lgkmcnt(1)
	v_mul_f64 v[176:177], v[166:167], v[110:111]
	v_add_f64 v[2:3], v[2:3], v[4:5]
	v_mul_f64 v[4:5], v[156:157], v[90:91]
	s_waitcnt vmcnt(20)
	v_fmac_f64_e32 v[176:177], v[168:169], v[112:113]
	v_fma_f64 v[4:5], v[154:155], v[92:93], -v[4:5]
	v_add_f64 v[178:179], v[174:175], v[176:177]
	ds_read_b128 v[174:177], v1 offset:1776
	s_waitcnt lgkmcnt(1)
	v_mul_f64 v[180:181], v[170:171], v[106:107]
	v_add_f64 v[2:3], v[2:3], v[4:5]
	v_mul_f64 v[4:5], v[160:161], v[102:103]
	v_fmac_f64_e32 v[180:181], v[172:173], v[108:109]
	v_fma_f64 v[4:5], v[158:159], v[104:105], -v[4:5]
	v_add_f64 v[182:183], v[178:179], v[180:181]
	ds_read_b128 v[178:181], v1 offset:1792
	v_add_f64 v[2:3], v[2:3], v[4:5]
	v_mul_f64 v[4:5], v[164:165], v[98:99]
	v_fma_f64 v[4:5], v[162:163], v[100:101], -v[4:5]
	v_add_f64 v[2:3], v[2:3], v[4:5]
	v_mul_f64 v[4:5], v[168:169], v[110:111]
	s_waitcnt vmcnt(14) lgkmcnt(1)
	v_mul_f64 v[184:185], v[174:175], v[198:199]
	v_fma_f64 v[4:5], v[166:167], v[112:113], -v[4:5]
	s_waitcnt vmcnt(12)
	v_fmac_f64_e32 v[184:185], v[176:177], v[200:201]
	v_add_f64 v[2:3], v[2:3], v[4:5]
	v_mul_f64 v[4:5], v[172:173], v[106:107]
	v_add_f64 v[186:187], v[182:183], v[184:185]
	ds_read_b128 v[182:185], v1 offset:1808
	s_waitcnt lgkmcnt(1)
	v_mul_f64 v[188:189], v[178:179], v[194:195]
	v_fma_f64 v[4:5], v[170:171], v[108:109], -v[4:5]
	v_fmac_f64_e32 v[188:189], v[180:181], v[196:197]
	v_add_f64 v[2:3], v[2:3], v[4:5]
	v_mul_f64 v[4:5], v[176:177], v[198:199]
	v_add_f64 v[214:215], v[186:187], v[188:189]
	ds_read_b128 v[186:189], v1 offset:1824
	v_fma_f64 v[4:5], v[174:175], v[200:201], -v[4:5]
	v_add_f64 v[2:3], v[2:3], v[4:5]
	v_mul_f64 v[4:5], v[180:181], v[194:195]
	ds_read_b128 v[190:193], v1 offset:1840
	v_fma_f64 v[4:5], v[178:179], v[196:197], -v[4:5]
	v_add_f64 v[2:3], v[2:3], v[4:5]
	s_waitcnt vmcnt(6) lgkmcnt(2)
	v_mul_f64 v[4:5], v[184:185], v[206:207]
	v_mul_f64 v[216:217], v[182:183], v[206:207]
	s_waitcnt vmcnt(4)
	v_fma_f64 v[4:5], v[182:183], v[208:209], -v[4:5]
	v_fmac_f64_e32 v[216:217], v[184:185], v[208:209]
	v_add_f64 v[2:3], v[2:3], v[4:5]
	s_waitcnt lgkmcnt(1)
	v_mul_f64 v[4:5], v[188:189], v[202:203]
	v_add_f64 v[214:215], v[214:215], v[216:217]
	v_mul_f64 v[216:217], v[186:187], v[202:203]
	v_fma_f64 v[4:5], v[186:187], v[204:205], -v[4:5]
	v_fmac_f64_e32 v[216:217], v[188:189], v[204:205]
	v_add_f64 v[2:3], v[2:3], v[4:5]
	s_waitcnt vmcnt(2) lgkmcnt(0)
	v_mul_f64 v[4:5], v[192:193], v[210:211]
	v_add_f64 v[214:215], v[214:215], v[216:217]
	v_mul_f64 v[216:217], v[190:191], v[210:211]
	s_waitcnt vmcnt(0)
	v_fma_f64 v[4:5], v[190:191], v[212:213], -v[4:5]
	v_fmac_f64_e32 v[216:217], v[192:193], v[212:213]
	v_add_f64 v[2:3], v[2:3], v[4:5]
	v_add_f64 v[214:215], v[214:215], v[216:217]
	v_add_f64 v[2:3], v[36:37], -v[2:3]
	v_add_f64 v[4:5], v[34:35], -v[214:215]
	buffer_store_dword v3, off, s[0:3], 0 offset:516
	buffer_store_dword v2, off, s[0:3], 0 offset:512
	;; [unrolled: 1-line block ×4, first 2 shown]
	s_and_saveexec_b64 s[4:5], vcc
	s_cbranch_execz .LBB121_301
; %bb.300:
	v_accvgpr_read_b32 v1, a143
	buffer_load_dword v2, v1, s[0:3], 0 offen
	buffer_load_dword v3, v1, s[0:3], 0 offen offset:4
	buffer_load_dword v4, v1, s[0:3], 0 offen offset:8
	;; [unrolled: 1-line block ×3, first 2 shown]
	v_mov_b32_e32 v1, 0
	v_accvgpr_read_b32 v6, a173
	buffer_store_dword v1, off, s[0:3], 0 offset:496
	buffer_store_dword v1, off, s[0:3], 0 offset:500
	;; [unrolled: 1-line block ×4, first 2 shown]
	s_waitcnt vmcnt(4)
	ds_write_b128 v6, v[2:5]
.LBB121_301:
	s_or_b64 exec, exec, s[4:5]
	s_waitcnt lgkmcnt(0)
	; wave barrier
	s_waitcnt lgkmcnt(0)
	buffer_load_dword v30, off, s[0:3], 0 offset:512
	buffer_load_dword v31, off, s[0:3], 0 offset:516
	;; [unrolled: 1-line block ×56, first 2 shown]
	v_mov_b32_e32 v1, 0
	ds_read_b128 v[26:29], v1 offset:1424
	ds_read_b128 v[22:25], v1 offset:1440
	ds_read_b128 v[18:21], v1 offset:1456
	ds_read_b128 v[14:17], v1 offset:1472
	ds_read_b128 v[10:13], v1 offset:1488
	ds_read_b128 v[6:9], v1 offset:1504
	ds_read_b128 v[2:5], v1 offset:1520
	v_cmp_lt_u32_e32 vcc, 29, v0
	s_waitcnt vmcnt(52) lgkmcnt(6)
	v_mul_f64 v[86:87], v[26:27], v[34:35]
	v_fmac_f64_e32 v[86:87], v[28:29], v[30:31]
	v_add_f64 v[86:87], v[86:87], 0
	v_mul_f64 v[28:29], v[28:29], v[34:35]
	s_waitcnt vmcnt(48) lgkmcnt(5)
	v_mul_f64 v[88:89], v[22:23], v[36:37]
	v_fmac_f64_e32 v[88:89], v[24:25], v[32:33]
	s_waitcnt vmcnt(46) lgkmcnt(4)
	v_mul_f64 v[90:91], v[18:19], v[38:39]
	v_add_f64 v[86:87], v[86:87], v[88:89]
	s_waitcnt vmcnt(44) lgkmcnt(2)
	v_mul_f64 v[94:95], v[10:11], v[40:41]
	v_fma_f64 v[26:27], v[26:27], v[30:31], -v[28:29]
	s_waitcnt vmcnt(42)
	v_fmac_f64_e32 v[94:95], v[12:13], v[42:43]
	v_mul_f64 v[24:25], v[24:25], v[36:37]
	s_waitcnt vmcnt(40)
	v_mul_f64 v[92:93], v[14:15], v[48:49]
	v_add_f64 v[26:27], v[26:27], 0
	v_fma_f64 v[22:23], v[22:23], v[32:33], -v[24:25]
	v_add_f64 v[22:23], v[26:27], v[22:23]
	s_waitcnt vmcnt(36) lgkmcnt(1)
	v_mul_f64 v[110:111], v[6:7], v[54:55]
	v_mul_f64 v[12:13], v[12:13], v[40:41]
	s_waitcnt vmcnt(34)
	v_fmac_f64_e32 v[90:91], v[20:21], v[60:61]
	v_add_f64 v[86:87], v[86:87], v[90:91]
	s_waitcnt vmcnt(32)
	v_fmac_f64_e32 v[92:93], v[16:17], v[58:59]
	v_add_f64 v[86:87], v[86:87], v[92:93]
	v_add_f64 v[116:117], v[86:87], v[94:95]
	buffer_load_dword v87, off, s[0:3], 0 offset:748
	buffer_load_dword v86, off, s[0:3], 0 offset:744
	;; [unrolled: 1-line block ×56, first 2 shown]
	ds_read_b128 v[124:127], v1 offset:1536
	ds_read_b128 v[128:131], v1 offset:1552
	v_mul_f64 v[20:21], v[20:21], v[38:39]
	v_fma_f64 v[18:19], v[18:19], v[60:61], -v[20:21]
	v_mul_f64 v[16:17], v[16:17], v[48:49]
	s_waitcnt vmcnt(62)
	v_fmac_f64_e32 v[110:111], v[8:9], v[56:57]
	v_add_f64 v[18:19], v[22:23], v[18:19]
	v_fma_f64 v[14:15], v[14:15], v[58:59], -v[16:17]
	v_add_f64 v[110:111], v[116:117], v[110:111]
	s_waitcnt lgkmcnt(2)
	v_mul_f64 v[116:117], v[2:3], v[50:51]
	v_add_f64 v[14:15], v[18:19], v[14:15]
	v_fma_f64 v[10:11], v[10:11], v[42:43], -v[12:13]
	v_mul_f64 v[8:9], v[8:9], v[54:55]
	v_fmac_f64_e32 v[116:117], v[4:5], v[52:53]
	ds_read_b128 v[132:135], v1 offset:1568
	ds_read_b128 v[136:139], v1 offset:1584
	v_add_f64 v[10:11], v[14:15], v[10:11]
	v_fma_f64 v[6:7], v[6:7], v[56:57], -v[8:9]
	v_mul_f64 v[4:5], v[4:5], v[50:51]
	v_add_f64 v[6:7], v[10:11], v[6:7]
	v_fma_f64 v[2:3], v[2:3], v[52:53], -v[4:5]
	s_waitcnt lgkmcnt(3)
	v_mul_f64 v[4:5], v[126:127], v[66:67]
	v_add_f64 v[110:111], v[110:111], v[116:117]
	v_mul_f64 v[116:117], v[124:125], v[66:67]
	v_add_f64 v[2:3], v[6:7], v[2:3]
	v_fma_f64 v[4:5], v[124:125], v[68:69], -v[4:5]
	v_fmac_f64_e32 v[116:117], v[126:127], v[68:69]
	v_add_f64 v[2:3], v[2:3], v[4:5]
	s_waitcnt lgkmcnt(2)
	v_mul_f64 v[4:5], v[130:131], v[62:63]
	v_add_f64 v[110:111], v[110:111], v[116:117]
	v_mul_f64 v[116:117], v[128:129], v[62:63]
	ds_read_b128 v[140:143], v1 offset:1600
	ds_read_b128 v[144:147], v1 offset:1616
	v_fma_f64 v[4:5], v[128:129], v[64:65], -v[4:5]
	v_fmac_f64_e32 v[116:117], v[130:131], v[64:65]
	v_add_f64 v[2:3], v[2:3], v[4:5]
	s_waitcnt lgkmcnt(3)
	v_mul_f64 v[4:5], v[134:135], v[74:75]
	v_add_f64 v[110:111], v[110:111], v[116:117]
	v_mul_f64 v[116:117], v[132:133], v[74:75]
	v_fma_f64 v[4:5], v[132:133], v[76:77], -v[4:5]
	v_fmac_f64_e32 v[116:117], v[134:135], v[76:77]
	v_add_f64 v[2:3], v[2:3], v[4:5]
	s_waitcnt lgkmcnt(2)
	v_mul_f64 v[4:5], v[138:139], v[70:71]
	v_add_f64 v[110:111], v[110:111], v[116:117]
	v_mul_f64 v[116:117], v[136:137], v[70:71]
	ds_read_b128 v[148:151], v1 offset:1632
	ds_read_b128 v[152:155], v1 offset:1648
	v_fma_f64 v[4:5], v[136:137], v[72:73], -v[4:5]
	v_fmac_f64_e32 v[116:117], v[138:139], v[72:73]
	v_add_f64 v[2:3], v[2:3], v[4:5]
	s_waitcnt vmcnt(58) lgkmcnt(3)
	v_mul_f64 v[4:5], v[142:143], v[82:83]
	v_add_f64 v[110:111], v[110:111], v[116:117]
	v_mul_f64 v[116:117], v[140:141], v[82:83]
	s_waitcnt vmcnt(56)
	v_fma_f64 v[4:5], v[140:141], v[84:85], -v[4:5]
	v_fmac_f64_e32 v[116:117], v[142:143], v[84:85]
	v_add_f64 v[2:3], v[2:3], v[4:5]
	s_waitcnt lgkmcnt(2)
	v_mul_f64 v[4:5], v[146:147], v[78:79]
	v_add_f64 v[110:111], v[110:111], v[116:117]
	v_mul_f64 v[116:117], v[144:145], v[78:79]
	ds_read_b128 v[156:159], v1 offset:1664
	ds_read_b128 v[160:163], v1 offset:1680
	v_fma_f64 v[4:5], v[144:145], v[80:81], -v[4:5]
	v_fmac_f64_e32 v[116:117], v[146:147], v[80:81]
	v_add_f64 v[2:3], v[2:3], v[4:5]
	s_waitcnt vmcnt(50) lgkmcnt(3)
	v_mul_f64 v[4:5], v[150:151], v[90:91]
	v_add_f64 v[110:111], v[110:111], v[116:117]
	v_mul_f64 v[116:117], v[148:149], v[90:91]
	s_waitcnt vmcnt(48)
	;; [unrolled: 17-line block ×7, first 2 shown]
	v_fma_f64 v[4:5], v[188:189], v[216:217], -v[4:5]
	v_fmac_f64_e32 v[116:117], v[190:191], v[216:217]
	v_add_f64 v[2:3], v[2:3], v[4:5]
	s_waitcnt lgkmcnt(2)
	v_mul_f64 v[4:5], v[194:195], v[210:211]
	v_add_f64 v[110:111], v[110:111], v[116:117]
	v_mul_f64 v[116:117], v[192:193], v[210:211]
	v_fma_f64 v[4:5], v[192:193], v[212:213], -v[4:5]
	v_fmac_f64_e32 v[116:117], v[194:195], v[212:213]
	v_add_f64 v[2:3], v[2:3], v[4:5]
	s_waitcnt vmcnt(2) lgkmcnt(1)
	v_mul_f64 v[4:5], v[198:199], v[222:223]
	v_add_f64 v[110:111], v[110:111], v[116:117]
	v_mul_f64 v[116:117], v[196:197], v[222:223]
	s_waitcnt vmcnt(0)
	v_fma_f64 v[4:5], v[196:197], v[224:225], -v[4:5]
	v_fmac_f64_e32 v[116:117], v[198:199], v[224:225]
	v_add_f64 v[2:3], v[2:3], v[4:5]
	s_waitcnt lgkmcnt(0)
	v_mul_f64 v[4:5], v[202:203], v[218:219]
	v_add_f64 v[110:111], v[110:111], v[116:117]
	v_mul_f64 v[116:117], v[200:201], v[218:219]
	v_fma_f64 v[4:5], v[200:201], v[220:221], -v[4:5]
	v_fmac_f64_e32 v[116:117], v[202:203], v[220:221]
	v_add_f64 v[2:3], v[2:3], v[4:5]
	v_add_f64 v[110:111], v[110:111], v[116:117]
	v_add_f64 v[2:3], v[46:47], -v[2:3]
	v_add_f64 v[4:5], v[44:45], -v[110:111]
	buffer_store_dword v3, off, s[0:3], 0 offset:500
	buffer_store_dword v2, off, s[0:3], 0 offset:496
	;; [unrolled: 1-line block ×4, first 2 shown]
	s_and_saveexec_b64 s[4:5], vcc
	s_cbranch_execz .LBB121_303
; %bb.302:
	v_accvgpr_read_b32 v5, a144
	buffer_load_dword v2, v5, s[0:3], 0 offen
	buffer_load_dword v3, v5, s[0:3], 0 offen offset:4
	buffer_load_dword v4, v5, s[0:3], 0 offen offset:8
	s_nop 0
	buffer_load_dword v5, v5, s[0:3], 0 offen offset:12
	v_accvgpr_read_b32 v6, a173
	buffer_store_dword v1, off, s[0:3], 0 offset:480
	buffer_store_dword v1, off, s[0:3], 0 offset:484
	;; [unrolled: 1-line block ×4, first 2 shown]
	s_waitcnt vmcnt(4)
	ds_write_b128 v6, v[2:5]
.LBB121_303:
	s_or_b64 exec, exec, s[4:5]
	s_waitcnt lgkmcnt(0)
	; wave barrier
	s_waitcnt lgkmcnt(0)
	buffer_load_dword v34, off, s[0:3], 0 offset:496
	buffer_load_dword v35, off, s[0:3], 0 offset:500
	;; [unrolled: 1-line block ×32, first 2 shown]
	ds_read_b128 v[30:33], v1 offset:1408
	ds_read_b128 v[26:29], v1 offset:1424
	;; [unrolled: 1-line block ×8, first 2 shown]
	buffer_load_dword v67, off, s[0:3], 0 offset:636
	buffer_load_dword v66, off, s[0:3], 0 offset:632
	;; [unrolled: 1-line block ×24, first 2 shown]
	v_cmp_lt_u32_e32 vcc, 28, v0
	s_waitcnt vmcnt(52) lgkmcnt(7)
	v_mul_f64 v[90:91], v[30:31], v[38:39]
	v_fmac_f64_e32 v[90:91], v[32:33], v[34:35]
	v_add_f64 v[90:91], v[90:91], 0
	v_mul_f64 v[32:33], v[32:33], v[38:39]
	s_waitcnt vmcnt(48) lgkmcnt(6)
	v_mul_f64 v[92:93], v[26:27], v[40:41]
	v_fmac_f64_e32 v[92:93], v[28:29], v[36:37]
	s_waitcnt vmcnt(46) lgkmcnt(5)
	v_mul_f64 v[94:95], v[22:23], v[42:43]
	v_add_f64 v[90:91], v[90:91], v[92:93]
	s_waitcnt vmcnt(44) lgkmcnt(4)
	v_mul_f64 v[96:97], v[18:19], v[48:49]
	v_fma_f64 v[30:31], v[30:31], v[34:35], -v[32:33]
	s_waitcnt vmcnt(42) lgkmcnt(1)
	v_mul_f64 v[122:123], v[2:3], v[50:51]
	v_mul_f64 v[28:29], v[28:29], v[40:41]
	s_waitcnt vmcnt(18) lgkmcnt(0)
	v_mul_f64 v[136:137], v[14:15], v[70:71]
	v_mul_f64 v[100:101], v[6:7], v[54:55]
	s_waitcnt vmcnt(16)
	v_fmac_f64_e32 v[136:137], v[16:17], v[72:73]
	v_mul_f64 v[98:99], v[10:11], v[56:57]
	v_add_f64 v[30:31], v[30:31], 0
	v_fmac_f64_e32 v[98:99], v[12:13], v[58:59]
	v_fma_f64 v[26:27], v[26:27], v[36:37], -v[28:29]
	v_fmac_f64_e32 v[94:95], v[24:25], v[64:65]
	v_add_f64 v[90:91], v[90:91], v[94:95]
	v_fmac_f64_e32 v[96:97], v[20:21], v[62:63]
	v_add_f64 v[90:91], v[90:91], v[96:97]
	;; [unrolled: 2-line block ×3, first 2 shown]
	v_add_f64 v[124:125], v[90:91], v[100:101]
	buffer_load_dword v91, off, s[0:3], 0 offset:732
	buffer_load_dword v90, off, s[0:3], 0 offset:728
	;; [unrolled: 1-line block ×56, first 2 shown]
	v_fmac_f64_e32 v[122:123], v[4:5], v[52:53]
	v_add_f64 v[134:135], v[124:125], v[122:123]
	ds_read_b128 v[122:125], v1 offset:1536
	buffer_load_dword v227, off, s[0:3], 0 offset:940
	buffer_load_dword v226, off, s[0:3], 0 offset:936
	;; [unrolled: 1-line block ×4, first 2 shown]
	v_add_f64 v[138:139], v[134:135], v[136:137]
	ds_read_b128 v[134:137], v1 offset:1552
	v_mul_f64 v[24:25], v[24:25], v[42:43]
	s_waitcnt lgkmcnt(1)
	v_mul_f64 v[140:141], v[122:123], v[66:67]
	v_fmac_f64_e32 v[140:141], v[124:125], v[68:69]
	v_add_f64 v[142:143], v[138:139], v[140:141]
	ds_read_b128 v[138:141], v1 offset:1568
	s_waitcnt vmcnt(62) lgkmcnt(1)
	v_mul_f64 v[144:145], v[134:135], v[78:79]
	v_fmac_f64_e32 v[144:145], v[136:137], v[80:81]
	v_add_f64 v[146:147], v[142:143], v[144:145]
	ds_read_b128 v[142:145], v1 offset:1584
	s_waitcnt lgkmcnt(1)
	v_mul_f64 v[148:149], v[138:139], v[74:75]
	v_fmac_f64_e32 v[148:149], v[140:141], v[76:77]
	v_add_f64 v[150:151], v[146:147], v[148:149]
	ds_read_b128 v[146:149], v1 offset:1600
	s_waitcnt lgkmcnt(1)
	v_mul_f64 v[152:153], v[142:143], v[86:87]
	s_waitcnt vmcnt(60)
	v_fmac_f64_e32 v[152:153], v[144:145], v[88:89]
	v_add_f64 v[154:155], v[150:151], v[152:153]
	ds_read_b128 v[150:153], v1 offset:1616
	s_waitcnt lgkmcnt(1)
	v_mul_f64 v[156:157], v[146:147], v[82:83]
	v_fmac_f64_e32 v[156:157], v[148:149], v[84:85]
	v_add_f64 v[158:159], v[154:155], v[156:157]
	ds_read_b128 v[154:157], v1 offset:1632
	v_add_f64 v[26:27], v[30:31], v[26:27]
	v_fma_f64 v[22:23], v[22:23], v[64:65], -v[24:25]
	s_waitcnt vmcnt(54) lgkmcnt(1)
	v_mul_f64 v[160:161], v[150:151], v[94:95]
	v_mul_f64 v[20:21], v[20:21], v[48:49]
	s_waitcnt vmcnt(52)
	v_fmac_f64_e32 v[160:161], v[152:153], v[96:97]
	v_add_f64 v[162:163], v[158:159], v[160:161]
	ds_read_b128 v[158:161], v1 offset:1648
	s_waitcnt lgkmcnt(1)
	v_mul_f64 v[164:165], v[154:155], v[90:91]
	v_fmac_f64_e32 v[164:165], v[156:157], v[92:93]
	v_add_f64 v[22:23], v[26:27], v[22:23]
	v_fma_f64 v[18:19], v[18:19], v[62:63], -v[20:21]
	v_mul_f64 v[12:13], v[12:13], v[56:57]
	v_add_f64 v[166:167], v[162:163], v[164:165]
	ds_read_b128 v[162:165], v1 offset:1664
	v_add_f64 v[18:19], v[22:23], v[18:19]
	v_fma_f64 v[10:11], v[10:11], v[58:59], -v[12:13]
	v_mul_f64 v[8:9], v[8:9], v[54:55]
	v_add_f64 v[10:11], v[18:19], v[10:11]
	v_fma_f64 v[6:7], v[6:7], v[60:61], -v[8:9]
	v_mul_f64 v[4:5], v[4:5], v[50:51]
	v_add_f64 v[6:7], v[10:11], v[6:7]
	v_fma_f64 v[2:3], v[2:3], v[52:53], -v[4:5]
	v_mul_f64 v[4:5], v[16:17], v[70:71]
	s_waitcnt vmcnt(46) lgkmcnt(1)
	v_mul_f64 v[168:169], v[158:159], v[102:103]
	v_add_f64 v[2:3], v[6:7], v[2:3]
	v_fma_f64 v[4:5], v[14:15], v[72:73], -v[4:5]
	s_waitcnt vmcnt(44)
	v_fmac_f64_e32 v[168:169], v[160:161], v[104:105]
	v_add_f64 v[2:3], v[2:3], v[4:5]
	v_mul_f64 v[4:5], v[124:125], v[66:67]
	v_add_f64 v[170:171], v[166:167], v[168:169]
	ds_read_b128 v[166:169], v1 offset:1680
	s_waitcnt lgkmcnt(1)
	v_mul_f64 v[172:173], v[162:163], v[98:99]
	v_fma_f64 v[4:5], v[122:123], v[68:69], -v[4:5]
	v_fmac_f64_e32 v[172:173], v[164:165], v[100:101]
	v_add_f64 v[2:3], v[2:3], v[4:5]
	v_mul_f64 v[4:5], v[136:137], v[78:79]
	v_add_f64 v[174:175], v[170:171], v[172:173]
	ds_read_b128 v[170:173], v1 offset:1696
	v_fma_f64 v[4:5], v[134:135], v[80:81], -v[4:5]
	v_add_f64 v[2:3], v[2:3], v[4:5]
	v_mul_f64 v[4:5], v[140:141], v[74:75]
	v_fma_f64 v[4:5], v[138:139], v[76:77], -v[4:5]
	s_waitcnt vmcnt(38) lgkmcnt(1)
	v_mul_f64 v[176:177], v[166:167], v[110:111]
	v_add_f64 v[2:3], v[2:3], v[4:5]
	v_mul_f64 v[4:5], v[144:145], v[86:87]
	s_waitcnt vmcnt(36)
	v_fmac_f64_e32 v[176:177], v[168:169], v[112:113]
	v_fma_f64 v[4:5], v[142:143], v[88:89], -v[4:5]
	v_add_f64 v[178:179], v[174:175], v[176:177]
	ds_read_b128 v[174:177], v1 offset:1712
	s_waitcnt lgkmcnt(1)
	v_mul_f64 v[180:181], v[170:171], v[106:107]
	v_add_f64 v[2:3], v[2:3], v[4:5]
	v_mul_f64 v[4:5], v[148:149], v[82:83]
	v_fmac_f64_e32 v[180:181], v[172:173], v[108:109]
	v_fma_f64 v[4:5], v[146:147], v[84:85], -v[4:5]
	v_add_f64 v[182:183], v[178:179], v[180:181]
	ds_read_b128 v[178:181], v1 offset:1728
	v_add_f64 v[2:3], v[2:3], v[4:5]
	v_mul_f64 v[4:5], v[152:153], v[94:95]
	v_fma_f64 v[4:5], v[150:151], v[96:97], -v[4:5]
	v_add_f64 v[2:3], v[2:3], v[4:5]
	v_mul_f64 v[4:5], v[156:157], v[90:91]
	s_waitcnt vmcnt(30) lgkmcnt(1)
	v_mul_f64 v[184:185], v[174:175], v[118:119]
	v_fma_f64 v[4:5], v[154:155], v[92:93], -v[4:5]
	s_waitcnt vmcnt(28)
	v_fmac_f64_e32 v[184:185], v[176:177], v[120:121]
	v_add_f64 v[2:3], v[2:3], v[4:5]
	v_mul_f64 v[4:5], v[160:161], v[102:103]
	v_add_f64 v[186:187], v[182:183], v[184:185]
	ds_read_b128 v[182:185], v1 offset:1744
	s_waitcnt lgkmcnt(1)
	v_mul_f64 v[188:189], v[178:179], v[114:115]
	v_fma_f64 v[4:5], v[158:159], v[104:105], -v[4:5]
	v_fmac_f64_e32 v[188:189], v[180:181], v[116:117]
	v_add_f64 v[2:3], v[2:3], v[4:5]
	v_mul_f64 v[4:5], v[164:165], v[98:99]
	v_add_f64 v[190:191], v[186:187], v[188:189]
	ds_read_b128 v[186:189], v1 offset:1760
	v_fma_f64 v[4:5], v[162:163], v[100:101], -v[4:5]
	v_add_f64 v[2:3], v[2:3], v[4:5]
	v_mul_f64 v[4:5], v[168:169], v[110:111]
	v_fma_f64 v[4:5], v[166:167], v[112:113], -v[4:5]
	s_waitcnt vmcnt(22) lgkmcnt(1)
	v_mul_f64 v[192:193], v[182:183], v[130:131]
	v_add_f64 v[2:3], v[2:3], v[4:5]
	v_mul_f64 v[4:5], v[172:173], v[106:107]
	s_waitcnt vmcnt(20)
	v_fmac_f64_e32 v[192:193], v[184:185], v[132:133]
	v_fma_f64 v[4:5], v[170:171], v[108:109], -v[4:5]
	v_add_f64 v[194:195], v[190:191], v[192:193]
	ds_read_b128 v[190:193], v1 offset:1776
	s_waitcnt lgkmcnt(1)
	v_mul_f64 v[196:197], v[186:187], v[126:127]
	v_add_f64 v[2:3], v[2:3], v[4:5]
	v_mul_f64 v[4:5], v[176:177], v[118:119]
	v_fmac_f64_e32 v[196:197], v[188:189], v[128:129]
	v_fma_f64 v[4:5], v[174:175], v[120:121], -v[4:5]
	v_add_f64 v[198:199], v[194:195], v[196:197]
	ds_read_b128 v[194:197], v1 offset:1792
	v_add_f64 v[2:3], v[2:3], v[4:5]
	v_mul_f64 v[4:5], v[180:181], v[114:115]
	v_fma_f64 v[4:5], v[178:179], v[116:117], -v[4:5]
	v_add_f64 v[2:3], v[2:3], v[4:5]
	v_mul_f64 v[4:5], v[184:185], v[130:131]
	s_waitcnt vmcnt(14) lgkmcnt(1)
	v_mul_f64 v[200:201], v[190:191], v[214:215]
	v_fma_f64 v[4:5], v[182:183], v[132:133], -v[4:5]
	s_waitcnt vmcnt(12)
	v_fmac_f64_e32 v[200:201], v[192:193], v[216:217]
	v_add_f64 v[2:3], v[2:3], v[4:5]
	v_mul_f64 v[4:5], v[188:189], v[126:127]
	v_add_f64 v[202:203], v[198:199], v[200:201]
	ds_read_b128 v[198:201], v1 offset:1808
	s_waitcnt lgkmcnt(1)
	v_mul_f64 v[204:205], v[194:195], v[210:211]
	v_fma_f64 v[4:5], v[186:187], v[128:129], -v[4:5]
	v_fmac_f64_e32 v[204:205], v[196:197], v[212:213]
	v_add_f64 v[2:3], v[2:3], v[4:5]
	v_mul_f64 v[4:5], v[192:193], v[214:215]
	v_add_f64 v[230:231], v[202:203], v[204:205]
	ds_read_b128 v[202:205], v1 offset:1824
	v_fma_f64 v[4:5], v[190:191], v[216:217], -v[4:5]
	v_add_f64 v[2:3], v[2:3], v[4:5]
	v_mul_f64 v[4:5], v[196:197], v[210:211]
	ds_read_b128 v[206:209], v1 offset:1840
	v_fma_f64 v[4:5], v[194:195], v[212:213], -v[4:5]
	v_add_f64 v[2:3], v[2:3], v[4:5]
	s_waitcnt vmcnt(6) lgkmcnt(2)
	v_mul_f64 v[4:5], v[200:201], v[222:223]
	v_mul_f64 v[232:233], v[198:199], v[222:223]
	s_waitcnt vmcnt(4)
	v_fma_f64 v[4:5], v[198:199], v[224:225], -v[4:5]
	v_fmac_f64_e32 v[232:233], v[200:201], v[224:225]
	v_add_f64 v[2:3], v[2:3], v[4:5]
	s_waitcnt lgkmcnt(1)
	v_mul_f64 v[4:5], v[204:205], v[218:219]
	v_add_f64 v[230:231], v[230:231], v[232:233]
	v_mul_f64 v[232:233], v[202:203], v[218:219]
	v_fma_f64 v[4:5], v[202:203], v[220:221], -v[4:5]
	v_fmac_f64_e32 v[232:233], v[204:205], v[220:221]
	v_add_f64 v[2:3], v[2:3], v[4:5]
	s_waitcnt vmcnt(2) lgkmcnt(0)
	v_mul_f64 v[4:5], v[208:209], v[226:227]
	v_add_f64 v[230:231], v[230:231], v[232:233]
	v_mul_f64 v[232:233], v[206:207], v[226:227]
	s_waitcnt vmcnt(0)
	v_fma_f64 v[4:5], v[206:207], v[228:229], -v[4:5]
	v_fmac_f64_e32 v[232:233], v[208:209], v[228:229]
	v_add_f64 v[2:3], v[2:3], v[4:5]
	v_add_f64 v[230:231], v[230:231], v[232:233]
	v_add_f64 v[2:3], v[46:47], -v[2:3]
	v_add_f64 v[4:5], v[44:45], -v[230:231]
	buffer_store_dword v3, off, s[0:3], 0 offset:484
	buffer_store_dword v2, off, s[0:3], 0 offset:480
	;; [unrolled: 1-line block ×4, first 2 shown]
	s_and_saveexec_b64 s[4:5], vcc
	s_cbranch_execz .LBB121_305
; %bb.304:
	v_accvgpr_read_b32 v1, a145
	buffer_load_dword v2, v1, s[0:3], 0 offen
	buffer_load_dword v3, v1, s[0:3], 0 offen offset:4
	buffer_load_dword v4, v1, s[0:3], 0 offen offset:8
	buffer_load_dword v5, v1, s[0:3], 0 offen offset:12
	v_mov_b32_e32 v1, 0
	v_accvgpr_read_b32 v6, a173
	buffer_store_dword v1, off, s[0:3], 0 offset:464
	buffer_store_dword v1, off, s[0:3], 0 offset:468
	;; [unrolled: 1-line block ×4, first 2 shown]
	s_waitcnt vmcnt(4)
	ds_write_b128 v6, v[2:5]
.LBB121_305:
	s_or_b64 exec, exec, s[4:5]
	s_waitcnt lgkmcnt(0)
	; wave barrier
	s_waitcnt lgkmcnt(0)
	buffer_load_dword v38, off, s[0:3], 0 offset:480
	buffer_load_dword v39, off, s[0:3], 0 offset:484
	;; [unrolled: 1-line block ×48, first 2 shown]
	v_mov_b32_e32 v1, 0
	ds_read_b128 v[34:37], v1 offset:1392
	ds_read_b128 v[30:33], v1 offset:1408
	ds_read_b128 v[26:29], v1 offset:1424
	ds_read_b128 v[22:25], v1 offset:1440
	ds_read_b128 v[18:21], v1 offset:1456
	ds_read_b128 v[14:17], v1 offset:1472
	ds_read_b128 v[10:13], v1 offset:1488
	ds_read_b128 v[6:9], v1 offset:1504
	ds_read_b128 v[2:5], v1 offset:1520
	v_cmp_lt_u32_e32 vcc, 27, v0
	s_waitcnt vmcnt(44) lgkmcnt(8)
	v_mul_f64 v[86:87], v[34:35], v[42:43]
	v_fmac_f64_e32 v[86:87], v[36:37], v[38:39]
	v_add_f64 v[86:87], v[86:87], 0
	v_mul_f64 v[36:37], v[36:37], v[42:43]
	s_waitcnt vmcnt(40) lgkmcnt(7)
	v_mul_f64 v[88:89], v[30:31], v[44:45]
	v_fmac_f64_e32 v[88:89], v[32:33], v[40:41]
	s_waitcnt vmcnt(38) lgkmcnt(6)
	v_mul_f64 v[90:91], v[26:27], v[46:47]
	v_add_f64 v[86:87], v[86:87], v[88:89]
	s_waitcnt vmcnt(36) lgkmcnt(4)
	v_mul_f64 v[94:95], v[18:19], v[48:49]
	v_fma_f64 v[34:35], v[34:35], v[38:39], -v[36:37]
	s_waitcnt vmcnt(34)
	v_fmac_f64_e32 v[94:95], v[20:21], v[50:51]
	v_mul_f64 v[32:33], v[32:33], v[44:45]
	s_waitcnt vmcnt(32)
	v_mul_f64 v[92:93], v[22:23], v[52:53]
	v_add_f64 v[34:35], v[34:35], 0
	s_waitcnt vmcnt(30) lgkmcnt(2)
	v_mul_f64 v[98:99], v[10:11], v[54:55]
	v_fma_f64 v[30:31], v[30:31], v[40:41], -v[32:33]
	s_waitcnt vmcnt(28)
	v_fmac_f64_e32 v[98:99], v[12:13], v[56:57]
	v_add_f64 v[30:31], v[34:35], v[30:31]
	s_waitcnt vmcnt(26)
	v_mul_f64 v[96:97], v[14:15], v[58:59]
	v_mul_f64 v[20:21], v[20:21], v[48:49]
	v_fma_f64 v[18:19], v[18:19], v[50:51], -v[20:21]
	v_mul_f64 v[12:13], v[12:13], v[54:55]
	s_waitcnt vmcnt(22) lgkmcnt(1)
	v_mul_f64 v[110:111], v[6:7], v[68:69]
	v_fma_f64 v[10:11], v[10:11], v[56:57], -v[12:13]
	s_waitcnt vmcnt(20)
	v_fmac_f64_e32 v[90:91], v[28:29], v[76:77]
	v_add_f64 v[86:87], v[86:87], v[90:91]
	s_waitcnt vmcnt(18)
	v_fmac_f64_e32 v[92:93], v[24:25], v[74:75]
	v_add_f64 v[86:87], v[86:87], v[92:93]
	;; [unrolled: 3-line block ×3, first 2 shown]
	v_add_f64 v[86:87], v[86:87], v[96:97]
	v_add_f64 v[112:113], v[86:87], v[98:99]
	buffer_load_dword v87, off, s[0:3], 0 offset:684
	buffer_load_dword v86, off, s[0:3], 0 offset:680
	;; [unrolled: 1-line block ×72, first 2 shown]
	s_waitcnt vmcnt(62)
	v_fmac_f64_e32 v[110:111], v[8:9], v[70:71]
	v_add_f64 v[142:143], v[112:113], v[110:111]
	ds_read_b128 v[110:113], v1 offset:1536
	s_waitcnt lgkmcnt(1)
	v_mul_f64 v[144:145], v[2:3], v[64:65]
	v_fmac_f64_e32 v[144:145], v[4:5], v[66:67]
	v_add_f64 v[146:147], v[142:143], v[144:145]
	ds_read_b128 v[142:145], v1 offset:1552
	s_waitcnt lgkmcnt(1)
	v_mul_f64 v[148:149], v[110:111], v[82:83]
	;; [unrolled: 5-line block ×5, first 2 shown]
	v_fmac_f64_e32 v[160:161], v[152:153], v[88:89]
	v_add_f64 v[162:163], v[158:159], v[160:161]
	ds_read_b128 v[158:161], v1 offset:1616
	s_waitcnt vmcnt(58) lgkmcnt(1)
	v_mul_f64 v[164:165], v[154:155], v[98:99]
	s_waitcnt vmcnt(56)
	v_fmac_f64_e32 v[164:165], v[156:157], v[100:101]
	v_add_f64 v[166:167], v[162:163], v[164:165]
	ds_read_b128 v[162:165], v1 offset:1632
	s_waitcnt lgkmcnt(1)
	v_mul_f64 v[168:169], v[158:159], v[94:95]
	v_fmac_f64_e32 v[168:169], v[160:161], v[96:97]
	v_mul_f64 v[28:29], v[28:29], v[46:47]
	v_add_f64 v[170:171], v[166:167], v[168:169]
	ds_read_b128 v[166:169], v1 offset:1648
	s_waitcnt vmcnt(50) lgkmcnt(1)
	v_mul_f64 v[172:173], v[162:163], v[106:107]
	v_fma_f64 v[26:27], v[26:27], v[76:77], -v[28:29]
	v_mul_f64 v[24:25], v[24:25], v[52:53]
	s_waitcnt vmcnt(48)
	v_fmac_f64_e32 v[172:173], v[164:165], v[108:109]
	v_add_f64 v[26:27], v[30:31], v[26:27]
	v_fma_f64 v[22:23], v[22:23], v[74:75], -v[24:25]
	v_add_f64 v[174:175], v[170:171], v[172:173]
	ds_read_b128 v[170:173], v1 offset:1664
	v_add_f64 v[22:23], v[26:27], v[22:23]
	v_mul_f64 v[16:17], v[16:17], v[58:59]
	v_add_f64 v[18:19], v[22:23], v[18:19]
	v_fma_f64 v[14:15], v[14:15], v[72:73], -v[16:17]
	v_add_f64 v[14:15], v[18:19], v[14:15]
	v_mul_f64 v[8:9], v[8:9], v[68:69]
	s_waitcnt lgkmcnt(1)
	v_mul_f64 v[176:177], v[166:167], v[102:103]
	v_add_f64 v[10:11], v[14:15], v[10:11]
	v_fma_f64 v[6:7], v[6:7], v[70:71], -v[8:9]
	v_mul_f64 v[4:5], v[4:5], v[64:65]
	v_fmac_f64_e32 v[176:177], v[168:169], v[104:105]
	v_add_f64 v[6:7], v[10:11], v[6:7]
	v_fma_f64 v[2:3], v[2:3], v[66:67], -v[4:5]
	v_mul_f64 v[4:5], v[112:113], v[82:83]
	v_add_f64 v[178:179], v[174:175], v[176:177]
	ds_read_b128 v[174:177], v1 offset:1680
	s_waitcnt vmcnt(42) lgkmcnt(1)
	v_mul_f64 v[180:181], v[170:171], v[118:119]
	v_add_f64 v[2:3], v[6:7], v[2:3]
	v_fma_f64 v[4:5], v[110:111], v[84:85], -v[4:5]
	s_waitcnt vmcnt(40)
	v_fmac_f64_e32 v[180:181], v[172:173], v[120:121]
	v_add_f64 v[2:3], v[2:3], v[4:5]
	v_mul_f64 v[4:5], v[144:145], v[78:79]
	v_add_f64 v[182:183], v[178:179], v[180:181]
	ds_read_b128 v[178:181], v1 offset:1696
	v_fma_f64 v[4:5], v[142:143], v[80:81], -v[4:5]
	v_add_f64 v[2:3], v[2:3], v[4:5]
	v_mul_f64 v[4:5], v[148:149], v[90:91]
	v_fma_f64 v[4:5], v[146:147], v[92:93], -v[4:5]
	s_waitcnt lgkmcnt(1)
	v_mul_f64 v[184:185], v[174:175], v[114:115]
	v_add_f64 v[2:3], v[2:3], v[4:5]
	v_mul_f64 v[4:5], v[152:153], v[86:87]
	v_fmac_f64_e32 v[184:185], v[176:177], v[116:117]
	v_fma_f64 v[4:5], v[150:151], v[88:89], -v[4:5]
	v_add_f64 v[186:187], v[182:183], v[184:185]
	ds_read_b128 v[182:185], v1 offset:1712
	s_waitcnt vmcnt(34) lgkmcnt(1)
	v_mul_f64 v[188:189], v[178:179], v[126:127]
	v_add_f64 v[2:3], v[2:3], v[4:5]
	v_mul_f64 v[4:5], v[156:157], v[98:99]
	s_waitcnt vmcnt(32)
	v_fmac_f64_e32 v[188:189], v[180:181], v[128:129]
	v_fma_f64 v[4:5], v[154:155], v[100:101], -v[4:5]
	v_add_f64 v[190:191], v[186:187], v[188:189]
	ds_read_b128 v[186:189], v1 offset:1728
	v_add_f64 v[2:3], v[2:3], v[4:5]
	v_mul_f64 v[4:5], v[160:161], v[94:95]
	v_fma_f64 v[4:5], v[158:159], v[96:97], -v[4:5]
	v_add_f64 v[2:3], v[2:3], v[4:5]
	v_mul_f64 v[4:5], v[164:165], v[106:107]
	s_waitcnt lgkmcnt(1)
	v_mul_f64 v[192:193], v[182:183], v[122:123]
	v_fma_f64 v[4:5], v[162:163], v[108:109], -v[4:5]
	v_fmac_f64_e32 v[192:193], v[184:185], v[124:125]
	v_add_f64 v[2:3], v[2:3], v[4:5]
	v_mul_f64 v[4:5], v[168:169], v[102:103]
	v_add_f64 v[194:195], v[190:191], v[192:193]
	ds_read_b128 v[190:193], v1 offset:1744
	s_waitcnt vmcnt(26) lgkmcnt(1)
	v_mul_f64 v[196:197], v[186:187], v[134:135]
	v_fma_f64 v[4:5], v[166:167], v[104:105], -v[4:5]
	s_waitcnt vmcnt(24)
	v_fmac_f64_e32 v[196:197], v[188:189], v[136:137]
	v_add_f64 v[2:3], v[2:3], v[4:5]
	v_mul_f64 v[4:5], v[172:173], v[118:119]
	v_add_f64 v[198:199], v[194:195], v[196:197]
	ds_read_b128 v[194:197], v1 offset:1760
	v_fma_f64 v[4:5], v[170:171], v[120:121], -v[4:5]
	v_add_f64 v[2:3], v[2:3], v[4:5]
	v_mul_f64 v[4:5], v[176:177], v[114:115]
	v_fma_f64 v[4:5], v[174:175], v[116:117], -v[4:5]
	s_waitcnt lgkmcnt(1)
	v_mul_f64 v[200:201], v[190:191], v[130:131]
	v_add_f64 v[2:3], v[2:3], v[4:5]
	v_mul_f64 v[4:5], v[180:181], v[126:127]
	v_fmac_f64_e32 v[200:201], v[192:193], v[132:133]
	v_fma_f64 v[4:5], v[178:179], v[128:129], -v[4:5]
	v_add_f64 v[202:203], v[198:199], v[200:201]
	ds_read_b128 v[198:201], v1 offset:1776
	s_waitcnt vmcnt(18) lgkmcnt(1)
	v_mul_f64 v[204:205], v[194:195], v[218:219]
	v_add_f64 v[2:3], v[2:3], v[4:5]
	v_mul_f64 v[4:5], v[184:185], v[122:123]
	s_waitcnt vmcnt(16)
	v_fmac_f64_e32 v[204:205], v[196:197], v[220:221]
	v_fma_f64 v[4:5], v[182:183], v[124:125], -v[4:5]
	v_add_f64 v[206:207], v[202:203], v[204:205]
	ds_read_b128 v[202:205], v1 offset:1792
	v_add_f64 v[2:3], v[2:3], v[4:5]
	v_mul_f64 v[4:5], v[188:189], v[134:135]
	v_fma_f64 v[4:5], v[186:187], v[136:137], -v[4:5]
	v_add_f64 v[2:3], v[2:3], v[4:5]
	v_mul_f64 v[4:5], v[192:193], v[130:131]
	s_waitcnt lgkmcnt(1)
	v_mul_f64 v[208:209], v[198:199], v[138:139]
	v_fma_f64 v[4:5], v[190:191], v[132:133], -v[4:5]
	v_fmac_f64_e32 v[208:209], v[200:201], v[140:141]
	v_add_f64 v[2:3], v[2:3], v[4:5]
	v_mul_f64 v[4:5], v[196:197], v[218:219]
	v_add_f64 v[210:211], v[206:207], v[208:209]
	ds_read_b128 v[206:209], v1 offset:1808
	s_waitcnt vmcnt(10) lgkmcnt(1)
	v_mul_f64 v[212:213], v[202:203], v[226:227]
	v_fma_f64 v[4:5], v[194:195], v[220:221], -v[4:5]
	s_waitcnt vmcnt(8)
	v_fmac_f64_e32 v[212:213], v[204:205], v[228:229]
	v_add_f64 v[2:3], v[2:3], v[4:5]
	v_mul_f64 v[4:5], v[200:201], v[138:139]
	v_add_f64 v[238:239], v[210:211], v[212:213]
	ds_read_b128 v[210:213], v1 offset:1824
	ds_read_b128 v[214:217], v1 offset:1840
	v_fma_f64 v[4:5], v[198:199], v[140:141], -v[4:5]
	v_add_f64 v[2:3], v[2:3], v[4:5]
	v_mul_f64 v[4:5], v[204:205], v[226:227]
	v_fma_f64 v[4:5], v[202:203], v[228:229], -v[4:5]
	v_add_f64 v[2:3], v[2:3], v[4:5]
	s_waitcnt lgkmcnt(2)
	v_mul_f64 v[4:5], v[208:209], v[222:223]
	v_mul_f64 v[240:241], v[206:207], v[222:223]
	v_fma_f64 v[4:5], v[206:207], v[224:225], -v[4:5]
	v_fmac_f64_e32 v[240:241], v[208:209], v[224:225]
	v_add_f64 v[2:3], v[2:3], v[4:5]
	s_waitcnt vmcnt(2) lgkmcnt(1)
	v_mul_f64 v[4:5], v[212:213], v[234:235]
	v_add_f64 v[238:239], v[238:239], v[240:241]
	v_mul_f64 v[240:241], v[210:211], v[234:235]
	s_waitcnt vmcnt(0)
	v_fma_f64 v[4:5], v[210:211], v[236:237], -v[4:5]
	v_fmac_f64_e32 v[240:241], v[212:213], v[236:237]
	v_add_f64 v[2:3], v[2:3], v[4:5]
	s_waitcnt lgkmcnt(0)
	v_mul_f64 v[4:5], v[216:217], v[230:231]
	v_add_f64 v[238:239], v[238:239], v[240:241]
	v_mul_f64 v[240:241], v[214:215], v[230:231]
	v_fma_f64 v[4:5], v[214:215], v[232:233], -v[4:5]
	v_fmac_f64_e32 v[240:241], v[216:217], v[232:233]
	v_add_f64 v[2:3], v[2:3], v[4:5]
	v_add_f64 v[238:239], v[238:239], v[240:241]
	v_add_f64 v[2:3], v[62:63], -v[2:3]
	v_add_f64 v[4:5], v[60:61], -v[238:239]
	buffer_store_dword v3, off, s[0:3], 0 offset:468
	buffer_store_dword v2, off, s[0:3], 0 offset:464
	;; [unrolled: 1-line block ×4, first 2 shown]
	s_and_saveexec_b64 s[4:5], vcc
	s_cbranch_execz .LBB121_307
; %bb.306:
	v_accvgpr_read_b32 v5, a146
	buffer_load_dword v2, v5, s[0:3], 0 offen
	buffer_load_dword v3, v5, s[0:3], 0 offen offset:4
	buffer_load_dword v4, v5, s[0:3], 0 offen offset:8
	s_nop 0
	buffer_load_dword v5, v5, s[0:3], 0 offen offset:12
	v_accvgpr_read_b32 v6, a173
	buffer_store_dword v1, off, s[0:3], 0 offset:448
	buffer_store_dword v1, off, s[0:3], 0 offset:452
	;; [unrolled: 1-line block ×4, first 2 shown]
	s_waitcnt vmcnt(4)
	ds_write_b128 v6, v[2:5]
.LBB121_307:
	s_or_b64 exec, exec, s[4:5]
	s_waitcnt lgkmcnt(0)
	; wave barrier
	s_waitcnt lgkmcnt(0)
	buffer_load_dword v48, off, s[0:3], 0 offset:464
	buffer_load_dword v49, off, s[0:3], 0 offset:468
	;; [unrolled: 1-line block ×40, first 2 shown]
	ds_read_b128 v[38:41], v1 offset:1376
	ds_read_b128 v[34:37], v1 offset:1392
	;; [unrolled: 1-line block ×10, first 2 shown]
	buffer_load_dword v83, off, s[0:3], 0 offset:636
	buffer_load_dword v82, off, s[0:3], 0 offset:632
	;; [unrolled: 1-line block ×8, first 2 shown]
	v_cmp_lt_u32_e32 vcc, 26, v0
	s_waitcnt vmcnt(44) lgkmcnt(9)
	v_mul_f64 v[90:91], v[38:39], v[50:51]
	v_fmac_f64_e32 v[90:91], v[40:41], v[48:49]
	v_add_f64 v[90:91], v[90:91], 0
	v_mul_f64 v[40:41], v[40:41], v[50:51]
	s_waitcnt vmcnt(40) lgkmcnt(8)
	v_mul_f64 v[92:93], v[34:35], v[44:45]
	v_fmac_f64_e32 v[92:93], v[36:37], v[42:43]
	s_waitcnt vmcnt(38) lgkmcnt(7)
	v_mul_f64 v[94:95], v[30:31], v[46:47]
	v_add_f64 v[90:91], v[90:91], v[92:93]
	s_waitcnt vmcnt(36) lgkmcnt(5)
	v_mul_f64 v[98:99], v[22:23], v[52:53]
	v_mul_f64 v[36:37], v[36:37], v[44:45]
	s_waitcnt vmcnt(34)
	v_fmac_f64_e32 v[98:99], v[24:25], v[54:55]
	v_fma_f64 v[34:35], v[34:35], v[42:43], -v[36:37]
	s_waitcnt vmcnt(32)
	v_mul_f64 v[96:97], v[26:27], v[56:57]
	v_mul_f64 v[24:25], v[24:25], v[52:53]
	s_waitcnt vmcnt(30) lgkmcnt(4)
	v_mul_f64 v[100:101], v[18:19], v[62:63]
	v_fma_f64 v[22:23], v[22:23], v[54:55], -v[24:25]
	s_waitcnt vmcnt(28) lgkmcnt(1)
	v_mul_f64 v[122:123], v[2:3], v[64:65]
	s_waitcnt vmcnt(25)
	v_mul_f64 v[104:105], v[6:7], v[68:69]
	s_waitcnt vmcnt(23)
	;; [unrolled: 2-line block ×3, first 2 shown]
	v_fmac_f64_e32 v[102:103], v[12:13], v[72:73]
	v_mul_f64 v[12:13], v[12:13], v[70:71]
	s_waitcnt vmcnt(19)
	v_fmac_f64_e32 v[94:95], v[32:33], v[80:81]
	v_add_f64 v[90:91], v[90:91], v[94:95]
	s_waitcnt vmcnt(17)
	v_fmac_f64_e32 v[96:97], v[28:29], v[78:79]
	v_add_f64 v[90:91], v[90:91], v[96:97]
	;; [unrolled: 3-line block ×3, first 2 shown]
	v_add_f64 v[90:91], v[90:91], v[100:101]
	s_waitcnt vmcnt(13)
	v_fmac_f64_e32 v[104:105], v[8:9], v[74:75]
	v_add_f64 v[90:91], v[90:91], v[102:103]
	v_add_f64 v[124:125], v[90:91], v[104:105]
	buffer_load_dword v91, off, s[0:3], 0 offset:668
	buffer_load_dword v90, off, s[0:3], 0 offset:664
	;; [unrolled: 1-line block ×72, first 2 shown]
	s_waitcnt vmcnt(62)
	v_fmac_f64_e32 v[122:123], v[4:5], v[66:67]
	v_add_f64 v[150:151], v[124:125], v[122:123]
	ds_read_b128 v[122:125], v1 offset:1536
	s_waitcnt lgkmcnt(1)
	v_mul_f64 v[152:153], v[14:15], v[86:87]
	v_fmac_f64_e32 v[152:153], v[16:17], v[88:89]
	buffer_load_dword v235, off, s[0:3], 0 offset:940
	buffer_load_dword v234, off, s[0:3], 0 offset:936
	;; [unrolled: 1-line block ×4, first 2 shown]
	v_add_f64 v[154:155], v[150:151], v[152:153]
	s_waitcnt lgkmcnt(0)
	v_mul_f64 v[156:157], v[122:123], v[82:83]
	ds_read_b128 v[150:153], v1 offset:1552
	v_fmac_f64_e32 v[156:157], v[124:125], v[84:85]
	v_add_f64 v[158:159], v[154:155], v[156:157]
	ds_read_b128 v[154:157], v1 offset:1568
	v_mul_f64 v[32:33], v[32:33], v[46:47]
	s_waitcnt lgkmcnt(1)
	v_mul_f64 v[160:161], v[150:151], v[94:95]
	v_fma_f64 v[30:31], v[30:31], v[80:81], -v[32:33]
	v_fmac_f64_e32 v[160:161], v[152:153], v[96:97]
	s_waitcnt lgkmcnt(0)
	v_mul_f64 v[164:165], v[154:155], v[90:91]
	v_add_f64 v[162:163], v[158:159], v[160:161]
	ds_read_b128 v[158:161], v1 offset:1584
	v_fmac_f64_e32 v[164:165], v[156:157], v[92:93]
	v_add_f64 v[166:167], v[162:163], v[164:165]
	ds_read_b128 v[162:165], v1 offset:1600
	v_mul_f64 v[28:29], v[28:29], v[56:57]
	s_waitcnt vmcnt(62) lgkmcnt(1)
	v_mul_f64 v[168:169], v[158:159], v[102:103]
	s_waitcnt vmcnt(60)
	v_fmac_f64_e32 v[168:169], v[160:161], v[104:105]
	v_add_f64 v[170:171], v[166:167], v[168:169]
	s_waitcnt lgkmcnt(0)
	v_mul_f64 v[172:173], v[162:163], v[98:99]
	ds_read_b128 v[166:169], v1 offset:1616
	v_fmac_f64_e32 v[172:173], v[164:165], v[100:101]
	v_add_f64 v[174:175], v[170:171], v[172:173]
	ds_read_b128 v[170:173], v1 offset:1632
	v_fma_f64 v[26:27], v[26:27], v[78:79], -v[28:29]
	s_waitcnt vmcnt(54) lgkmcnt(1)
	v_mul_f64 v[176:177], v[166:167], v[110:111]
	s_waitcnt vmcnt(52)
	v_fmac_f64_e32 v[176:177], v[168:169], v[112:113]
	v_add_f64 v[178:179], v[174:175], v[176:177]
	s_waitcnt lgkmcnt(0)
	v_mul_f64 v[180:181], v[170:171], v[106:107]
	ds_read_b128 v[174:177], v1 offset:1648
	v_fmac_f64_e32 v[180:181], v[172:173], v[108:109]
	v_add_f64 v[182:183], v[178:179], v[180:181]
	ds_read_b128 v[178:181], v1 offset:1664
	v_mul_f64 v[20:21], v[20:21], v[62:63]
	s_waitcnt vmcnt(46) lgkmcnt(1)
	v_mul_f64 v[184:185], v[174:175], v[118:119]
	s_waitcnt vmcnt(44)
	v_fmac_f64_e32 v[184:185], v[176:177], v[120:121]
	v_add_f64 v[186:187], v[182:183], v[184:185]
	s_waitcnt lgkmcnt(0)
	v_mul_f64 v[188:189], v[178:179], v[114:115]
	ds_read_b128 v[182:185], v1 offset:1680
	v_fmac_f64_e32 v[188:189], v[180:181], v[116:117]
	v_add_f64 v[190:191], v[186:187], v[188:189]
	ds_read_b128 v[186:189], v1 offset:1696
	v_fma_f64 v[18:19], v[18:19], v[76:77], -v[20:21]
	s_waitcnt vmcnt(38) lgkmcnt(1)
	v_mul_f64 v[192:193], v[182:183], v[130:131]
	s_waitcnt vmcnt(36)
	v_fmac_f64_e32 v[192:193], v[184:185], v[132:133]
	v_add_f64 v[194:195], v[190:191], v[192:193]
	s_waitcnt lgkmcnt(0)
	v_mul_f64 v[196:197], v[186:187], v[126:127]
	ds_read_b128 v[190:193], v1 offset:1712
	v_fmac_f64_e32 v[196:197], v[188:189], v[128:129]
	v_add_f64 v[198:199], v[194:195], v[196:197]
	ds_read_b128 v[194:197], v1 offset:1728
	v_fma_f64 v[10:11], v[10:11], v[72:73], -v[12:13]
	s_waitcnt vmcnt(30) lgkmcnt(1)
	v_mul_f64 v[200:201], v[190:191], v[138:139]
	s_waitcnt vmcnt(28)
	v_fmac_f64_e32 v[200:201], v[192:193], v[140:141]
	v_add_f64 v[202:203], v[198:199], v[200:201]
	s_waitcnt lgkmcnt(0)
	v_mul_f64 v[204:205], v[194:195], v[134:135]
	ds_read_b128 v[198:201], v1 offset:1744
	v_fmac_f64_e32 v[204:205], v[196:197], v[136:137]
	v_add_f64 v[206:207], v[202:203], v[204:205]
	ds_read_b128 v[202:205], v1 offset:1760
	v_mul_f64 v[8:9], v[8:9], v[68:69]
	s_waitcnt vmcnt(22) lgkmcnt(1)
	v_mul_f64 v[208:209], v[198:199], v[146:147]
	s_waitcnt vmcnt(20)
	v_fmac_f64_e32 v[208:209], v[200:201], v[148:149]
	v_add_f64 v[210:211], v[206:207], v[208:209]
	s_waitcnt lgkmcnt(0)
	v_mul_f64 v[212:213], v[202:203], v[142:143]
	ds_read_b128 v[206:209], v1 offset:1776
	v_fmac_f64_e32 v[212:213], v[204:205], v[144:145]
	v_add_f64 v[214:215], v[210:211], v[212:213]
	ds_read_b128 v[210:213], v1 offset:1792
	v_fma_f64 v[6:7], v[6:7], v[74:75], -v[8:9]
	s_waitcnt vmcnt(14) lgkmcnt(1)
	v_mul_f64 v[216:217], v[206:207], v[222:223]
	s_waitcnt vmcnt(12)
	v_fmac_f64_e32 v[216:217], v[208:209], v[224:225]
	v_add_f64 v[238:239], v[214:215], v[216:217]
	s_waitcnt lgkmcnt(0)
	v_mul_f64 v[240:241], v[210:211], v[218:219]
	v_fmac_f64_e32 v[240:241], v[212:213], v[220:221]
	v_add_f64 v[238:239], v[238:239], v[240:241]
	v_fma_f64 v[240:241], v[38:39], v[48:49], -v[40:41]
	v_add_f64 v[240:241], v[240:241], 0
	v_add_f64 v[34:35], v[240:241], v[34:35]
	;; [unrolled: 1-line block ×7, first 2 shown]
	v_mul_f64 v[4:5], v[4:5], v[64:65]
	v_add_f64 v[6:7], v[10:11], v[6:7]
	v_fma_f64 v[2:3], v[2:3], v[66:67], -v[4:5]
	v_mul_f64 v[4:5], v[16:17], v[86:87]
	v_add_f64 v[2:3], v[6:7], v[2:3]
	v_fma_f64 v[4:5], v[14:15], v[88:89], -v[4:5]
	v_add_f64 v[2:3], v[2:3], v[4:5]
	v_mul_f64 v[4:5], v[124:125], v[82:83]
	v_fma_f64 v[4:5], v[122:123], v[84:85], -v[4:5]
	v_add_f64 v[2:3], v[2:3], v[4:5]
	v_mul_f64 v[4:5], v[152:153], v[94:95]
	;; [unrolled: 3-line block ×15, first 2 shown]
	ds_read_b128 v[214:217], v1 offset:1808
	ds_read_b128 v[38:41], v1 offset:1824
	v_fma_f64 v[4:5], v[202:203], v[144:145], -v[4:5]
	v_add_f64 v[2:3], v[2:3], v[4:5]
	v_mul_f64 v[4:5], v[208:209], v[222:223]
	v_fma_f64 v[4:5], v[206:207], v[224:225], -v[4:5]
	v_add_f64 v[2:3], v[2:3], v[4:5]
	v_mul_f64 v[4:5], v[212:213], v[218:219]
	ds_read_b128 v[48:51], v1 offset:1840
	v_fma_f64 v[4:5], v[210:211], v[220:221], -v[4:5]
	v_add_f64 v[2:3], v[2:3], v[4:5]
	s_waitcnt vmcnt(6) lgkmcnt(2)
	v_mul_f64 v[4:5], v[216:217], v[230:231]
	v_mul_f64 v[242:243], v[214:215], v[230:231]
	s_waitcnt vmcnt(4)
	v_fma_f64 v[4:5], v[214:215], v[232:233], -v[4:5]
	v_fmac_f64_e32 v[242:243], v[216:217], v[232:233]
	v_add_f64 v[2:3], v[2:3], v[4:5]
	s_waitcnt lgkmcnt(1)
	v_mul_f64 v[4:5], v[40:41], v[226:227]
	v_add_f64 v[238:239], v[238:239], v[242:243]
	v_mul_f64 v[242:243], v[38:39], v[226:227]
	v_fma_f64 v[4:5], v[38:39], v[228:229], -v[4:5]
	v_fmac_f64_e32 v[242:243], v[40:41], v[228:229]
	v_add_f64 v[2:3], v[2:3], v[4:5]
	s_waitcnt vmcnt(2) lgkmcnt(0)
	v_mul_f64 v[4:5], v[50:51], v[234:235]
	v_add_f64 v[238:239], v[238:239], v[242:243]
	v_mul_f64 v[242:243], v[48:49], v[234:235]
	s_waitcnt vmcnt(0)
	v_fma_f64 v[4:5], v[48:49], v[236:237], -v[4:5]
	v_fmac_f64_e32 v[242:243], v[50:51], v[236:237]
	v_add_f64 v[2:3], v[2:3], v[4:5]
	v_add_f64 v[238:239], v[238:239], v[242:243]
	v_add_f64 v[2:3], v[60:61], -v[2:3]
	v_add_f64 v[4:5], v[58:59], -v[238:239]
	buffer_store_dword v3, off, s[0:3], 0 offset:452
	buffer_store_dword v2, off, s[0:3], 0 offset:448
	;; [unrolled: 1-line block ×4, first 2 shown]
	s_and_saveexec_b64 s[4:5], vcc
	s_cbranch_execz .LBB121_309
; %bb.308:
	v_accvgpr_read_b32 v1, a147
	buffer_load_dword v2, v1, s[0:3], 0 offen
	buffer_load_dword v3, v1, s[0:3], 0 offen offset:4
	buffer_load_dword v4, v1, s[0:3], 0 offen offset:8
	buffer_load_dword v5, v1, s[0:3], 0 offen offset:12
	v_mov_b32_e32 v1, 0
	v_accvgpr_read_b32 v6, a173
	buffer_store_dword v1, off, s[0:3], 0 offset:432
	buffer_store_dword v1, off, s[0:3], 0 offset:436
	;; [unrolled: 1-line block ×4, first 2 shown]
	s_waitcnt vmcnt(4)
	ds_write_b128 v6, v[2:5]
.LBB121_309:
	s_or_b64 exec, exec, s[4:5]
	s_waitcnt lgkmcnt(0)
	; wave barrier
	s_waitcnt lgkmcnt(0)
	buffer_load_dword v106, off, s[0:3], 0 offset:448
	buffer_load_dword v107, off, s[0:3], 0 offset:452
	;; [unrolled: 1-line block ×49, first 2 shown]
	v_mov_b32_e32 v1, 0
	ds_read_b128 v[110:113], v1 offset:1360
	ds_read_b128 v[250:253], v1 offset:1376
	;; [unrolled: 1-line block ×10, first 2 shown]
	buffer_load_dword v158, off, s[0:3], 0 offset:640
	buffer_load_dword v173, off, s[0:3], 0 offset:636
	;; [unrolled: 1-line block ×69, first 2 shown]
	v_cmp_lt_u32_e32 vcc, 25, v0
	s_waitcnt vmcnt(62) lgkmcnt(9)
	v_mul_f64 v[34:35], v[110:111], v[108:109]
	v_fmac_f64_e32 v[34:35], v[112:113], v[106:107]
	v_add_f64 v[34:35], v[34:35], 0
	v_mul_f64 v[108:109], v[112:113], v[108:109]
	s_waitcnt lgkmcnt(8)
	v_mul_f64 v[36:37], v[250:251], v[116:117]
	v_fmac_f64_e32 v[36:37], v[252:253], v[114:115]
	s_waitcnt lgkmcnt(7)
	v_mul_f64 v[38:39], v[30:31], v[118:119]
	v_add_f64 v[34:35], v[34:35], v[36:37]
	s_waitcnt lgkmcnt(5)
	v_mul_f64 v[42:43], v[22:23], v[120:121]
	v_mul_f64 v[116:117], v[252:253], v[116:117]
	v_fmac_f64_e32 v[42:43], v[24:25], v[122:123]
	v_fma_f64 v[248:249], v[110:111], v[106:107], -v[108:109]
	v_mul_f64 v[40:41], v[26:27], v[124:125]
	v_fma_f64 v[250:251], v[250:251], v[114:115], -v[116:117]
	s_waitcnt lgkmcnt(3)
	v_mul_f64 v[46:47], v[14:15], v[126:127]
	v_mul_f64 v[24:25], v[24:25], v[120:121]
	v_fmac_f64_e32 v[46:47], v[16:17], v[128:129]
	v_fma_f64 v[22:23], v[22:23], v[122:123], -v[24:25]
	v_mul_f64 v[44:45], v[18:19], v[130:131]
	v_mul_f64 v[16:17], v[16:17], v[126:127]
	s_waitcnt lgkmcnt(1)
	v_mul_f64 v[50:51], v[6:7], v[132:133]
	v_fma_f64 v[14:15], v[14:15], v[128:129], -v[16:17]
	v_fmac_f64_e32 v[50:51], v[8:9], v[134:135]
	v_mul_f64 v[8:9], v[8:9], v[132:133]
	v_mul_f64 v[48:49], v[10:11], v[140:141]
	v_fma_f64 v[6:7], v[6:7], v[134:135], -v[8:9]
	s_waitcnt lgkmcnt(0)
	v_mul_f64 v[52:53], v[2:3], v[136:137]
	v_fmac_f64_e32 v[38:39], v[32:33], v[152:153]
	v_add_f64 v[34:35], v[34:35], v[38:39]
	v_fmac_f64_e32 v[40:41], v[28:29], v[150:151]
	v_add_f64 v[34:35], v[34:35], v[40:41]
	;; [unrolled: 2-line block ×3, first 2 shown]
	v_add_f64 v[34:35], v[34:35], v[44:45]
	v_fmac_f64_e32 v[48:49], v[12:13], v[146:147]
	v_add_f64 v[34:35], v[34:35], v[46:47]
	v_add_f64 v[34:35], v[34:35], v[48:49]
	v_fmac_f64_e32 v[52:53], v[4:5], v[144:145]
	v_add_f64 v[34:35], v[34:35], v[50:51]
	v_add_f64 v[42:43], v[34:35], v[52:53]
	ds_read_b128 v[38:41], v1 offset:1520
	ds_read_b128 v[34:37], v1 offset:1536
	buffer_load_dword v221, off, s[0:3], 0 offset:940
	buffer_load_dword v220, off, s[0:3], 0 offset:936
	;; [unrolled: 1-line block ×8, first 2 shown]
	ds_read_b128 v[110:113], v1 offset:1808
	ds_read_b128 v[106:109], v1 offset:1824
	s_waitcnt lgkmcnt(3)
	v_mul_f64 v[44:45], v[38:39], v[142:143]
	v_fmac_f64_e32 v[44:45], v[40:41], v[154:155]
	v_add_f64 v[46:47], v[42:43], v[44:45]
	ds_read_b128 v[42:45], v1 offset:1552
	s_waitcnt lgkmcnt(3)
	v_mul_f64 v[48:49], v[34:35], v[172:173]
	v_fmac_f64_e32 v[48:49], v[36:37], v[176:177]
	v_add_f64 v[50:51], v[46:47], v[48:49]
	;; [unrolled: 5-line block ×3, first 2 shown]
	ds_read_b128 v[50:53], v1 offset:1584
	s_waitcnt vmcnt(62) lgkmcnt(1)
	v_mul_f64 v[56:57], v[46:47], v[180:181]
	v_fmac_f64_e32 v[56:57], v[48:49], v[184:185]
	v_add_f64 v[58:59], v[54:55], v[56:57]
	ds_read_b128 v[54:57], v1 offset:1600
	s_waitcnt lgkmcnt(1)
	v_mul_f64 v[60:61], v[50:51], v[160:161]
	v_fmac_f64_e32 v[60:61], v[52:53], v[162:163]
	v_add_f64 v[62:63], v[58:59], v[60:61]
	ds_read_b128 v[58:61], v1 offset:1616
	s_waitcnt vmcnt(58) lgkmcnt(1)
	v_mul_f64 v[64:65], v[54:55], v[188:189]
	s_waitcnt vmcnt(56)
	v_fmac_f64_e32 v[64:65], v[56:57], v[192:193]
	v_add_f64 v[66:67], v[62:63], v[64:65]
	ds_read_b128 v[62:65], v1 offset:1632
	s_waitcnt lgkmcnt(1)
	v_mul_f64 v[68:69], v[58:59], v[164:165]
	v_fmac_f64_e32 v[68:69], v[60:61], v[166:167]
	v_add_f64 v[70:71], v[66:67], v[68:69]
	ds_read_b128 v[66:69], v1 offset:1648
	s_waitcnt vmcnt(50) lgkmcnt(1)
	v_mul_f64 v[72:73], v[62:63], v[196:197]
	s_waitcnt vmcnt(48)
	;; [unrolled: 11-line block ×5, first 2 shown]
	v_fmac_f64_e32 v[96:97], v[88:89], v[218:219]
	v_add_f64 v[98:99], v[94:95], v[96:97]
	ds_read_b128 v[94:97], v1 offset:1760
	s_waitcnt lgkmcnt(1)
	v_mul_f64 v[100:101], v[90:91], v[190:191]
	v_fmac_f64_e32 v[100:101], v[92:93], v[194:195]
	v_add_f64 v[224:225], v[98:99], v[100:101]
	ds_read_b128 v[98:101], v1 offset:1776
	ds_read_b128 v[102:105], v1 offset:1792
	;; [unrolled: 1-line block ×3, first 2 shown]
	buffer_load_dword v252, off, s[0:3], 0 offset:440
	buffer_load_dword v253, off, s[0:3], 0 offset:444
	s_waitcnt vmcnt(20) lgkmcnt(3)
	v_mul_f64 v[226:227], v[94:95], v[222:223]
	s_waitcnt vmcnt(18)
	v_fmac_f64_e32 v[226:227], v[96:97], v[236:237]
	v_add_f64 v[224:225], v[224:225], v[226:227]
	s_waitcnt lgkmcnt(2)
	v_mul_f64 v[226:227], v[98:99], v[198:199]
	v_fmac_f64_e32 v[226:227], v[100:101], v[202:203]
	v_add_f64 v[224:225], v[224:225], v[226:227]
	s_waitcnt vmcnt(12) lgkmcnt(1)
	v_mul_f64 v[226:227], v[102:103], v[238:239]
	s_waitcnt vmcnt(10)
	v_fmac_f64_e32 v[226:227], v[104:105], v[240:241]
	v_add_f64 v[224:225], v[224:225], v[226:227]
	v_mul_f64 v[226:227], v[110:111], v[206:207]
	v_fmac_f64_e32 v[226:227], v[112:113], v[210:211]
	v_add_f64 v[224:225], v[224:225], v[226:227]
	s_waitcnt vmcnt(4)
	v_mul_f64 v[226:227], v[106:107], v[242:243]
	v_mul_f64 v[32:33], v[32:33], v[118:119]
	s_waitcnt vmcnt(2)
	v_fmac_f64_e32 v[226:227], v[108:109], v[244:245]
	v_add_f64 v[224:225], v[224:225], v[226:227]
	s_waitcnt lgkmcnt(0)
	v_mul_f64 v[226:227], v[114:115], v[220:221]
	v_fmac_f64_e32 v[226:227], v[116:117], v[234:235]
	v_add_f64 v[246:247], v[224:225], v[226:227]
	v_add_f64 v[224:225], v[248:249], 0
	;; [unrolled: 1-line block ×3, first 2 shown]
	v_fma_f64 v[30:31], v[30:31], v[152:153], -v[32:33]
	v_mul_f64 v[28:29], v[28:29], v[124:125]
	v_add_f64 v[30:31], v[224:225], v[30:31]
	v_fma_f64 v[26:27], v[26:27], v[150:151], -v[28:29]
	v_add_f64 v[26:27], v[30:31], v[26:27]
	v_mul_f64 v[20:21], v[20:21], v[130:131]
	v_add_f64 v[22:23], v[26:27], v[22:23]
	v_fma_f64 v[18:19], v[18:19], v[148:149], -v[20:21]
	v_add_f64 v[18:19], v[22:23], v[18:19]
	;; [unrolled: 4-line block ×3, first 2 shown]
	v_mul_f64 v[4:5], v[4:5], v[136:137]
	v_add_f64 v[6:7], v[10:11], v[6:7]
	v_fma_f64 v[2:3], v[2:3], v[144:145], -v[4:5]
	v_mul_f64 v[4:5], v[40:41], v[142:143]
	v_add_f64 v[2:3], v[6:7], v[2:3]
	v_fma_f64 v[4:5], v[38:39], v[154:155], -v[4:5]
	v_add_f64 v[2:3], v[2:3], v[4:5]
	v_mul_f64 v[4:5], v[36:37], v[172:173]
	v_fma_f64 v[4:5], v[34:35], v[176:177], -v[4:5]
	v_add_f64 v[2:3], v[2:3], v[4:5]
	v_mul_f64 v[4:5], v[44:45], v[156:157]
	;; [unrolled: 3-line block ×20, first 2 shown]
	v_fma_f64 v[4:5], v[114:115], v[234:235], -v[4:5]
	v_add_f64 v[2:3], v[2:3], v[4:5]
	v_add_f64 v[2:3], v[138:139], -v[2:3]
	s_waitcnt vmcnt(0)
	v_add_f64 v[4:5], v[252:253], -v[246:247]
	buffer_store_dword v3, off, s[0:3], 0 offset:436
	buffer_store_dword v2, off, s[0:3], 0 offset:432
	;; [unrolled: 1-line block ×4, first 2 shown]
	s_and_saveexec_b64 s[4:5], vcc
	s_cbranch_execz .LBB121_311
; %bb.310:
	v_accvgpr_read_b32 v5, a148
	buffer_load_dword v2, v5, s[0:3], 0 offen
	buffer_load_dword v3, v5, s[0:3], 0 offen offset:4
	buffer_load_dword v4, v5, s[0:3], 0 offen offset:8
	s_nop 0
	buffer_load_dword v5, v5, s[0:3], 0 offen offset:12
	v_accvgpr_read_b32 v6, a173
	buffer_store_dword v1, off, s[0:3], 0 offset:416
	buffer_store_dword v1, off, s[0:3], 0 offset:420
	;; [unrolled: 1-line block ×4, first 2 shown]
	s_waitcnt vmcnt(4)
	ds_write_b128 v6, v[2:5]
.LBB121_311:
	s_or_b64 exec, exec, s[4:5]
	s_waitcnt lgkmcnt(0)
	; wave barrier
	s_waitcnt lgkmcnt(0)
	buffer_load_dword v112, off, s[0:3], 0 offset:432
	buffer_load_dword v113, off, s[0:3], 0 offset:436
	buffer_load_dword v246, off, s[0:3], 0 offset:440
	buffer_load_dword v247, off, s[0:3], 0 offset:444
	buffer_load_dword v110, off, s[0:3], 0 offset:448
	buffer_load_dword v111, off, s[0:3], 0 offset:452
	buffer_load_dword v248, off, s[0:3], 0 offset:456
	buffer_load_dword v249, off, s[0:3], 0 offset:460
	buffer_load_dword v244, off, s[0:3], 0 offset:472
	buffer_load_dword v245, off, s[0:3], 0 offset:476
	buffer_load_dword v119, off, s[0:3], 0 offset:508
	buffer_load_dword v118, off, s[0:3], 0 offset:504
	buffer_load_dword v121, off, s[0:3], 0 offset:500
	buffer_load_dword v120, off, s[0:3], 0 offset:496
	buffer_load_dword v123, off, s[0:3], 0 offset:492
	buffer_load_dword v122, off, s[0:3], 0 offset:488
	buffer_load_dword v125, off, s[0:3], 0 offset:540
	buffer_load_dword v124, off, s[0:3], 0 offset:536
	buffer_load_dword v127, off, s[0:3], 0 offset:532
	buffer_load_dword v126, off, s[0:3], 0 offset:528
	buffer_load_dword v131, off, s[0:3], 0 offset:524
	buffer_load_dword v130, off, s[0:3], 0 offset:520
	buffer_load_dword v129, off, s[0:3], 0 offset:556
	buffer_load_dword v128, off, s[0:3], 0 offset:552
	buffer_load_dword v250, off, s[0:3], 0 offset:464
	buffer_load_dword v251, off, s[0:3], 0 offset:468
	buffer_load_dword v139, off, s[0:3], 0 offset:484
	buffer_load_dword v138, off, s[0:3], 0 offset:480
	buffer_load_dword v137, off, s[0:3], 0 offset:516
	buffer_load_dword v136, off, s[0:3], 0 offset:512
	buffer_load_dword v135, off, s[0:3], 0 offset:548
	buffer_load_dword v134, off, s[0:3], 0 offset:544
	buffer_load_dword v132, off, s[0:3], 0 offset:568
	buffer_load_dword v140, off, s[0:3], 0 offset:560
	buffer_load_dword v141, off, s[0:3], 0 offset:564
	buffer_load_dword v133, off, s[0:3], 0 offset:572
	ds_read_b128 v[102:105], v1 offset:1344
	ds_read_b128 v[106:109], v1 offset:1360
	ds_read_b128 v[114:117], v1 offset:1376
	ds_read_b128 v[22:25], v1 offset:1392
	ds_read_b128 v[18:21], v1 offset:1408
	ds_read_b128 v[14:17], v1 offset:1424
	ds_read_b128 v[10:13], v1 offset:1440
	ds_read_b128 v[6:9], v1 offset:1456
	ds_read_b128 v[2:5], v1 offset:1472
	buffer_load_dword v143, off, s[0:3], 0 offset:604
	buffer_load_dword v142, off, s[0:3], 0 offset:600
	;; [unrolled: 1-line block ×78, first 2 shown]
	v_cmp_lt_u32_e32 vcc, 24, v0
	s_waitcnt vmcnt(62) lgkmcnt(8)
	v_mul_f64 v[26:27], v[102:103], v[246:247]
	v_fmac_f64_e32 v[26:27], v[104:105], v[112:113]
	v_add_f64 v[26:27], v[26:27], 0
	v_mul_f64 v[104:105], v[104:105], v[246:247]
	s_waitcnt lgkmcnt(7)
	v_mul_f64 v[28:29], v[106:107], v[248:249]
	v_fmac_f64_e32 v[28:29], v[108:109], v[110:111]
	s_waitcnt lgkmcnt(6)
	v_mul_f64 v[30:31], v[114:115], v[244:245]
	v_add_f64 v[26:27], v[26:27], v[28:29]
	s_waitcnt lgkmcnt(4)
	v_mul_f64 v[34:35], v[18:19], v[118:119]
	v_fma_f64 v[246:247], v[102:103], v[112:113], -v[104:105]
	v_fmac_f64_e32 v[34:35], v[20:21], v[120:121]
	v_mul_f64 v[108:109], v[108:109], v[248:249]
	v_mul_f64 v[32:33], v[22:23], v[122:123]
	v_fma_f64 v[248:249], v[106:107], v[110:111], -v[108:109]
	s_waitcnt lgkmcnt(2)
	v_mul_f64 v[38:39], v[10:11], v[124:125]
	v_mul_f64 v[20:21], v[20:21], v[118:119]
	v_fmac_f64_e32 v[38:39], v[12:13], v[126:127]
	v_fma_f64 v[18:19], v[18:19], v[120:121], -v[20:21]
	v_mul_f64 v[36:37], v[14:15], v[130:131]
	v_mul_f64 v[12:13], v[12:13], v[124:125]
	s_waitcnt lgkmcnt(1)
	v_mul_f64 v[40:41], v[6:7], v[128:129]
	v_fma_f64 v[10:11], v[10:11], v[126:127], -v[12:13]
	v_fmac_f64_e32 v[30:31], v[116:117], v[250:251]
	v_add_f64 v[26:27], v[26:27], v[30:31]
	v_fmac_f64_e32 v[32:33], v[24:25], v[138:139]
	v_add_f64 v[26:27], v[26:27], v[32:33]
	;; [unrolled: 2-line block ×3, first 2 shown]
	v_add_f64 v[26:27], v[26:27], v[36:37]
	v_fmac_f64_e32 v[40:41], v[8:9], v[134:135]
	v_add_f64 v[30:31], v[26:27], v[38:39]
	v_add_f64 v[30:31], v[30:31], v[40:41]
	s_waitcnt lgkmcnt(0)
	v_mul_f64 v[32:33], v[2:3], v[132:133]
	v_fmac_f64_e32 v[32:33], v[4:5], v[140:141]
	ds_read_b128 v[26:29], v1 offset:1488
	v_add_f64 v[34:35], v[30:31], v[32:33]
	ds_read_b128 v[30:33], v1 offset:1504
	buffer_load_dword v221, off, s[0:3], 0 offset:868
	buffer_load_dword v220, off, s[0:3], 0 offset:864
	v_mul_f64 v[116:117], v[116:117], v[244:245]
	s_waitcnt lgkmcnt(1)
	v_mul_f64 v[36:37], v[26:27], v[146:147]
	v_fmac_f64_e32 v[36:37], v[28:29], v[148:149]
	v_add_f64 v[38:39], v[34:35], v[36:37]
	ds_read_b128 v[34:37], v1 offset:1520
	s_waitcnt lgkmcnt(1)
	v_mul_f64 v[40:41], v[30:31], v[142:143]
	v_fmac_f64_e32 v[40:41], v[32:33], v[144:145]
	v_add_f64 v[42:43], v[38:39], v[40:41]
	ds_read_b128 v[38:41], v1 offset:1536
	s_waitcnt lgkmcnt(1)
	v_mul_f64 v[44:45], v[34:35], v[158:159]
	v_fmac_f64_e32 v[44:45], v[36:37], v[160:161]
	v_add_f64 v[46:47], v[42:43], v[44:45]
	ds_read_b128 v[42:45], v1 offset:1552
	s_waitcnt lgkmcnt(1)
	v_mul_f64 v[48:49], v[38:39], v[150:151]
	v_fmac_f64_e32 v[48:49], v[40:41], v[152:153]
	v_add_f64 v[50:51], v[46:47], v[48:49]
	ds_read_b128 v[46:49], v1 offset:1568
	buffer_load_dword v223, off, s[0:3], 0 offset:924
	buffer_load_dword v235, off, s[0:3], 0 offset:908
	;; [unrolled: 1-line block ×12, first 2 shown]
	s_waitcnt vmcnt(62) lgkmcnt(1)
	v_mul_f64 v[52:53], v[42:43], v[174:175]
	v_fmac_f64_e32 v[52:53], v[44:45], v[178:179]
	v_add_f64 v[54:55], v[50:51], v[52:53]
	ds_read_b128 v[50:53], v1 offset:1584
	s_waitcnt lgkmcnt(1)
	v_mul_f64 v[56:57], v[46:47], v[154:155]
	v_fmac_f64_e32 v[56:57], v[48:49], v[156:157]
	v_add_f64 v[58:59], v[54:55], v[56:57]
	ds_read_b128 v[54:57], v1 offset:1600
	s_waitcnt lgkmcnt(1)
	v_mul_f64 v[60:61], v[50:51], v[182:183]
	s_waitcnt vmcnt(60)
	v_fmac_f64_e32 v[60:61], v[52:53], v[186:187]
	v_add_f64 v[62:63], v[58:59], v[60:61]
	ds_read_b128 v[58:61], v1 offset:1616
	s_waitcnt lgkmcnt(1)
	v_mul_f64 v[64:65], v[54:55], v[162:163]
	v_fmac_f64_e32 v[64:65], v[56:57], v[164:165]
	v_add_f64 v[66:67], v[62:63], v[64:65]
	ds_read_b128 v[62:65], v1 offset:1632
	s_waitcnt vmcnt(54) lgkmcnt(1)
	v_mul_f64 v[68:69], v[58:59], v[190:191]
	s_waitcnt vmcnt(52)
	v_fmac_f64_e32 v[68:69], v[60:61], v[194:195]
	v_add_f64 v[70:71], v[66:67], v[68:69]
	ds_read_b128 v[66:69], v1 offset:1648
	s_waitcnt lgkmcnt(1)
	v_mul_f64 v[72:73], v[62:63], v[166:167]
	v_fmac_f64_e32 v[72:73], v[64:65], v[168:169]
	v_add_f64 v[74:75], v[70:71], v[72:73]
	ds_read_b128 v[70:73], v1 offset:1664
	s_waitcnt vmcnt(46) lgkmcnt(1)
	;; [unrolled: 11-line block ×4, first 2 shown]
	v_mul_f64 v[92:93], v[82:83], v[210:211]
	s_waitcnt vmcnt(28)
	v_fmac_f64_e32 v[92:93], v[84:85], v[212:213]
	v_add_f64 v[98:99], v[90:91], v[92:93]
	ds_read_b128 v[90:93], v1 offset:1744
	ds_read_b128 v[94:97], v1 offset:1760
	s_waitcnt lgkmcnt(2)
	v_mul_f64 v[100:101], v[86:87], v[184:185]
	v_fmac_f64_e32 v[100:101], v[88:89], v[188:189]
	v_add_f64 v[98:99], v[98:99], v[100:101]
	s_waitcnt vmcnt(22) lgkmcnt(1)
	v_mul_f64 v[100:101], v[90:91], v[214:215]
	s_waitcnt vmcnt(20)
	v_fmac_f64_e32 v[100:101], v[92:93], v[216:217]
	v_add_f64 v[98:99], v[98:99], v[100:101]
	s_waitcnt lgkmcnt(0)
	v_mul_f64 v[100:101], v[94:95], v[192:193]
	v_fmac_f64_e32 v[100:101], v[96:97], v[196:197]
	v_add_f64 v[224:225], v[98:99], v[100:101]
	ds_read_b128 v[98:101], v1 offset:1776
	ds_read_b128 v[102:105], v1 offset:1792
	;; [unrolled: 1-line block ×3, first 2 shown]
	v_fma_f64 v[250:251], v[114:115], v[250:251], -v[116:117]
	ds_read_b128 v[114:117], v1 offset:1840
	s_waitcnt vmcnt(14) lgkmcnt(3)
	v_mul_f64 v[112:113], v[98:99], v[218:219]
	s_waitcnt lgkmcnt(2)
	v_mul_f64 v[110:111], v[102:103], v[200:201]
	s_waitcnt vmcnt(12)
	v_fmac_f64_e32 v[112:113], v[100:101], v[220:221]
	v_add_f64 v[112:113], v[224:225], v[112:113]
	v_fmac_f64_e32 v[110:111], v[104:105], v[204:205]
	v_add_f64 v[224:225], v[112:113], v[110:111]
	ds_read_b128 v[110:113], v1 offset:1824
	buffer_load_dword v254, off, s[0:3], 0 offset:416
	buffer_load_dword v255, off, s[0:3], 0 offset:420
	;; [unrolled: 1-line block ×4, first 2 shown]
	v_mul_f64 v[24:25], v[24:25], v[122:123]
	v_fma_f64 v[22:23], v[22:23], v[138:139], -v[24:25]
	v_mul_f64 v[16:17], v[16:17], v[130:131]
	s_waitcnt vmcnt(13) lgkmcnt(2)
	v_mul_f64 v[226:227], v[106:107], v[234:235]
	v_fma_f64 v[14:15], v[14:15], v[136:137], -v[16:17]
	s_waitcnt vmcnt(11)
	v_fmac_f64_e32 v[226:227], v[108:109], v[240:241]
	v_add_f64 v[224:225], v[224:225], v[226:227]
	s_waitcnt vmcnt(10) lgkmcnt(0)
	v_mul_f64 v[226:227], v[110:111], v[222:223]
	s_waitcnt vmcnt(8)
	v_fmac_f64_e32 v[226:227], v[112:113], v[238:239]
	v_add_f64 v[224:225], v[224:225], v[226:227]
	s_waitcnt vmcnt(6)
	v_mul_f64 v[226:227], v[114:115], v[236:237]
	v_mul_f64 v[8:9], v[8:9], v[128:129]
	s_waitcnt vmcnt(4)
	v_fmac_f64_e32 v[226:227], v[116:117], v[242:243]
	v_add_f64 v[244:245], v[224:225], v[226:227]
	v_add_f64 v[224:225], v[246:247], 0
	;; [unrolled: 1-line block ×8, first 2 shown]
	v_fma_f64 v[6:7], v[6:7], v[134:135], -v[8:9]
	v_mul_f64 v[4:5], v[4:5], v[132:133]
	v_add_f64 v[6:7], v[10:11], v[6:7]
	v_fma_f64 v[2:3], v[2:3], v[140:141], -v[4:5]
	v_mul_f64 v[4:5], v[28:29], v[146:147]
	v_add_f64 v[2:3], v[6:7], v[2:3]
	v_fma_f64 v[4:5], v[26:27], v[148:149], -v[4:5]
	v_add_f64 v[2:3], v[2:3], v[4:5]
	v_mul_f64 v[4:5], v[32:33], v[142:143]
	v_fma_f64 v[4:5], v[30:31], v[144:145], -v[4:5]
	v_add_f64 v[2:3], v[2:3], v[4:5]
	v_mul_f64 v[4:5], v[36:37], v[158:159]
	;; [unrolled: 3-line block ×22, first 2 shown]
	v_fma_f64 v[4:5], v[114:115], v[242:243], -v[4:5]
	v_add_f64 v[2:3], v[2:3], v[4:5]
	s_waitcnt vmcnt(2)
	v_add_f64 v[2:3], v[254:255], -v[2:3]
	s_waitcnt vmcnt(0)
	v_add_f64 v[4:5], v[252:253], -v[244:245]
	buffer_store_dword v3, off, s[0:3], 0 offset:420
	buffer_store_dword v2, off, s[0:3], 0 offset:416
	;; [unrolled: 1-line block ×4, first 2 shown]
	s_and_saveexec_b64 s[4:5], vcc
	s_cbranch_execz .LBB121_313
; %bb.312:
	v_accvgpr_read_b32 v1, a149
	buffer_load_dword v2, v1, s[0:3], 0 offen
	buffer_load_dword v3, v1, s[0:3], 0 offen offset:4
	buffer_load_dword v4, v1, s[0:3], 0 offen offset:8
	;; [unrolled: 1-line block ×3, first 2 shown]
	v_mov_b32_e32 v1, 0
	v_accvgpr_read_b32 v6, a173
	buffer_store_dword v1, off, s[0:3], 0 offset:400
	buffer_store_dword v1, off, s[0:3], 0 offset:404
	;; [unrolled: 1-line block ×4, first 2 shown]
	s_waitcnt vmcnt(4)
	ds_write_b128 v6, v[2:5]
.LBB121_313:
	s_or_b64 exec, exec, s[4:5]
	s_waitcnt lgkmcnt(0)
	; wave barrier
	s_waitcnt lgkmcnt(0)
	buffer_load_dword v94, off, s[0:3], 0 offset:416
	buffer_load_dword v95, off, s[0:3], 0 offset:420
	;; [unrolled: 1-line block ×52, first 2 shown]
	v_mov_b32_e32 v1, 0
	ds_read_b128 v[102:105], v1 offset:1328
	ds_read_b128 v[114:117], v1 offset:1344
	ds_read_b128 v[244:247], v1 offset:1360
	ds_read_b128 v[250:253], v1 offset:1376
	ds_read_b128 v[22:25], v1 offset:1392
	ds_read_b128 v[18:21], v1 offset:1408
	ds_read_b128 v[14:17], v1 offset:1424
	ds_read_b128 v[10:13], v1 offset:1440
	ds_read_b128 v[6:9], v1 offset:1456
	ds_read_b128 v[2:5], v1 offset:1472
	v_cmp_lt_u32_e32 vcc, 23, v0
	s_waitcnt vmcnt(48) lgkmcnt(9)
	v_mul_f64 v[26:27], v[102:103], v[96:97]
	v_fmac_f64_e32 v[26:27], v[104:105], v[94:95]
	v_add_f64 v[26:27], v[26:27], 0
	v_mul_f64 v[96:97], v[104:105], v[96:97]
	s_waitcnt vmcnt(44) lgkmcnt(8)
	v_mul_f64 v[28:29], v[114:115], v[100:101]
	v_fmac_f64_e32 v[28:29], v[116:117], v[98:99]
	s_waitcnt vmcnt(42) lgkmcnt(7)
	v_mul_f64 v[30:31], v[244:245], v[106:107]
	v_add_f64 v[26:27], v[26:27], v[28:29]
	s_waitcnt vmcnt(40) lgkmcnt(5)
	v_mul_f64 v[34:35], v[22:23], v[120:121]
	v_fma_f64 v[226:227], v[102:103], v[94:95], -v[96:97]
	s_waitcnt vmcnt(38)
	v_fmac_f64_e32 v[34:35], v[24:25], v[124:125]
	v_mul_f64 v[100:101], v[116:117], v[100:101]
	s_waitcnt vmcnt(36)
	v_mul_f64 v[32:33], v[250:251], v[110:111]
	v_fma_f64 v[228:229], v[114:115], v[98:99], -v[100:101]
	s_waitcnt vmcnt(34) lgkmcnt(3)
	v_mul_f64 v[38:39], v[14:15], v[118:119]
	v_mul_f64 v[106:107], v[246:247], v[106:107]
	s_waitcnt vmcnt(32)
	v_fmac_f64_e32 v[38:39], v[16:17], v[122:123]
	v_mul_f64 v[110:111], v[252:253], v[110:111]
	s_waitcnt vmcnt(30)
	v_mul_f64 v[36:37], v[18:19], v[130:131]
	v_mul_f64 v[24:25], v[24:25], v[120:121]
	v_fma_f64 v[22:23], v[22:23], v[124:125], -v[24:25]
	s_waitcnt vmcnt(27) lgkmcnt(2)
	v_mul_f64 v[40:41], v[10:11], v[128:129]
	s_waitcnt vmcnt(26) lgkmcnt(1)
	v_mul_f64 v[42:43], v[6:7], v[126:127]
	v_mul_f64 v[16:17], v[16:17], v[118:119]
	s_waitcnt vmcnt(24)
	v_fmac_f64_e32 v[30:31], v[246:247], v[108:109]
	v_add_f64 v[26:27], v[26:27], v[30:31]
	s_waitcnt vmcnt(22)
	v_fmac_f64_e32 v[32:33], v[252:253], v[112:113]
	v_add_f64 v[26:27], v[26:27], v[32:33]
	;; [unrolled: 3-line block ×3, first 2 shown]
	v_add_f64 v[26:27], v[26:27], v[36:37]
	s_waitcnt vmcnt(18)
	v_fmac_f64_e32 v[40:41], v[12:13], v[132:133]
	v_add_f64 v[26:27], v[26:27], v[38:39]
	v_add_f64 v[26:27], v[26:27], v[40:41]
	s_waitcnt vmcnt(16)
	v_fmac_f64_e32 v[42:43], v[8:9], v[138:139]
	v_add_f64 v[34:35], v[26:27], v[42:43]
	ds_read_b128 v[26:29], v1 offset:1488
	ds_read_b128 v[30:33], v1 offset:1504
	buffer_load_dword v155, off, s[0:3], 0 offset:652
	buffer_load_dword v154, off, s[0:3], 0 offset:648
	;; [unrolled: 1-line block ×56, first 2 shown]
	s_waitcnt vmcnt(62) lgkmcnt(2)
	v_mul_f64 v[36:37], v[2:3], v[142:143]
	v_fmac_f64_e32 v[36:37], v[4:5], v[144:145]
	v_add_f64 v[34:35], v[34:35], v[36:37]
	s_waitcnt lgkmcnt(1)
	v_mul_f64 v[36:37], v[26:27], v[136:137]
	v_fmac_f64_e32 v[36:37], v[28:29], v[140:141]
	v_add_f64 v[34:35], v[34:35], v[36:37]
	s_waitcnt lgkmcnt(0)
	v_mul_f64 v[36:37], v[30:31], v[146:147]
	s_waitcnt vmcnt(60)
	v_fmac_f64_e32 v[36:37], v[32:33], v[150:151]
	v_add_f64 v[42:43], v[34:35], v[36:37]
	ds_read_b128 v[34:37], v1 offset:1520
	buffer_load_dword v199, off, s[0:3], 0 offset:876
	buffer_load_dword v198, off, s[0:3], 0 offset:872
	;; [unrolled: 1-line block ×16, first 2 shown]
	ds_read_b128 v[38:41], v1 offset:1536
	buffer_load_dword v221, off, s[0:3], 0 offset:940
	buffer_load_dword v220, off, s[0:3], 0 offset:936
	;; [unrolled: 1-line block ×8, first 2 shown]
	ds_read_b128 v[98:101], v1 offset:1776
	s_waitcnt vmcnt(62) lgkmcnt(2)
	v_mul_f64 v[44:45], v[34:35], v[148:149]
	v_fmac_f64_e32 v[44:45], v[36:37], v[152:153]
	v_add_f64 v[46:47], v[42:43], v[44:45]
	ds_read_b128 v[42:45], v1 offset:1552
	v_fma_f64 v[248:249], v[244:245], v[108:109], -v[106:107]
	ds_read_b128 v[106:109], v1 offset:1808
	v_fma_f64 v[246:247], v[250:251], v[112:113], -v[110:111]
	v_mul_f64 v[20:21], v[20:21], v[130:131]
	v_fma_f64 v[18:19], v[18:19], v[134:135], -v[20:21]
	v_fma_f64 v[14:15], v[14:15], v[122:123], -v[16:17]
	v_mul_f64 v[12:13], v[12:13], v[128:129]
	v_fma_f64 v[10:11], v[10:11], v[132:133], -v[12:13]
	v_mul_f64 v[8:9], v[8:9], v[126:127]
	;; [unrolled: 2-line block ×3, first 2 shown]
	s_waitcnt lgkmcnt(3)
	v_mul_f64 v[48:49], v[38:39], v[170:171]
	v_fma_f64 v[2:3], v[2:3], v[144:145], -v[4:5]
	v_fmac_f64_e32 v[48:49], v[40:41], v[174:175]
	v_add_f64 v[50:51], v[46:47], v[48:49]
	ds_read_b128 v[46:49], v1 offset:1568
	s_waitcnt lgkmcnt(2)
	v_mul_f64 v[52:53], v[42:43], v[154:155]
	v_fmac_f64_e32 v[52:53], v[44:45], v[156:157]
	v_add_f64 v[54:55], v[50:51], v[52:53]
	ds_read_b128 v[50:53], v1 offset:1584
	s_waitcnt lgkmcnt(1)
	v_mul_f64 v[56:57], v[46:47], v[178:179]
	;; [unrolled: 5-line block ×3, first 2 shown]
	v_fmac_f64_e32 v[60:61], v[52:53], v[160:161]
	v_add_f64 v[62:63], v[58:59], v[60:61]
	ds_read_b128 v[58:61], v1 offset:1616
	s_waitcnt vmcnt(58) lgkmcnt(1)
	v_mul_f64 v[64:65], v[54:55], v[186:187]
	s_waitcnt vmcnt(56)
	v_fmac_f64_e32 v[64:65], v[56:57], v[190:191]
	v_add_f64 v[66:67], v[62:63], v[64:65]
	ds_read_b128 v[62:65], v1 offset:1632
	s_waitcnt lgkmcnt(1)
	v_mul_f64 v[68:69], v[58:59], v[162:163]
	v_fmac_f64_e32 v[68:69], v[60:61], v[164:165]
	v_add_f64 v[70:71], v[66:67], v[68:69]
	ds_read_b128 v[66:69], v1 offset:1648
	s_waitcnt vmcnt(50) lgkmcnt(1)
	v_mul_f64 v[72:73], v[62:63], v[194:195]
	s_waitcnt vmcnt(48)
	v_fmac_f64_e32 v[72:73], v[64:65], v[196:197]
	v_add_f64 v[74:75], v[70:71], v[72:73]
	ds_read_b128 v[70:73], v1 offset:1664
	s_waitcnt lgkmcnt(1)
	v_mul_f64 v[76:77], v[66:67], v[166:167]
	;; [unrolled: 11-line block ×3, first 2 shown]
	v_fmac_f64_e32 v[84:85], v[76:77], v[176:177]
	v_add_f64 v[90:91], v[82:83], v[84:85]
	ds_read_b128 v[82:85], v1 offset:1712
	ds_read_b128 v[86:89], v1 offset:1728
	s_waitcnt vmcnt(34) lgkmcnt(2)
	v_mul_f64 v[92:93], v[78:79], v[208:209]
	s_waitcnt vmcnt(32)
	v_fmac_f64_e32 v[92:93], v[80:81], v[214:215]
	v_add_f64 v[90:91], v[90:91], v[92:93]
	s_waitcnt lgkmcnt(1)
	v_mul_f64 v[92:93], v[82:83], v[180:181]
	v_fmac_f64_e32 v[92:93], v[84:85], v[184:185]
	v_add_f64 v[90:91], v[90:91], v[92:93]
	s_waitcnt vmcnt(27) lgkmcnt(0)
	v_mul_f64 v[92:93], v[86:87], v[212:213]
	s_waitcnt vmcnt(25)
	v_fmac_f64_e32 v[92:93], v[88:89], v[216:217]
	v_add_f64 v[224:225], v[90:91], v[92:93]
	ds_read_b128 v[90:93], v1 offset:1744
	ds_read_b128 v[94:97], v1 offset:1760
	;; [unrolled: 1-line block ×3, first 2 shown]
	v_mul_f64 v[4:5], v[28:29], v[136:137]
	v_fma_f64 v[4:5], v[26:27], v[140:141], -v[4:5]
	s_waitcnt lgkmcnt(2)
	v_mul_f64 v[102:103], v[90:91], v[188:189]
	s_waitcnt vmcnt(24)
	v_fmac_f64_e32 v[102:103], v[92:93], v[192:193]
	s_waitcnt vmcnt(18) lgkmcnt(1)
	v_mul_f64 v[104:105], v[94:95], v[218:219]
	v_add_f64 v[102:103], v[224:225], v[102:103]
	s_waitcnt vmcnt(16)
	v_fmac_f64_e32 v[104:105], v[96:97], v[222:223]
	v_add_f64 v[102:103], v[102:103], v[104:105]
	v_mul_f64 v[104:105], v[98:99], v[198:199]
	v_fmac_f64_e32 v[104:105], v[100:101], v[202:203]
	v_add_f64 v[114:115], v[102:103], v[104:105]
	ds_read_b128 v[102:105], v1 offset:1792
	s_waitcnt vmcnt(10) lgkmcnt(0)
	v_mul_f64 v[116:117], v[102:103], v[236:237]
	s_waitcnt vmcnt(8)
	v_fmac_f64_e32 v[116:117], v[104:105], v[238:239]
	v_add_f64 v[114:115], v[114:115], v[116:117]
	v_mul_f64 v[116:117], v[106:107], v[206:207]
	v_fmac_f64_e32 v[116:117], v[108:109], v[210:211]
	v_add_f64 v[114:115], v[114:115], v[116:117]
	s_waitcnt vmcnt(2)
	v_mul_f64 v[116:117], v[110:111], v[240:241]
	s_waitcnt vmcnt(0)
	v_fmac_f64_e32 v[116:117], v[112:113], v[242:243]
	v_add_f64 v[224:225], v[114:115], v[116:117]
	ds_read_b128 v[114:117], v1 offset:1840
	buffer_load_dword v252, off, s[0:3], 0 offset:400
	buffer_load_dword v253, off, s[0:3], 0 offset:404
	s_waitcnt lgkmcnt(0)
	v_mul_f64 v[230:231], v[114:115], v[220:221]
	v_fmac_f64_e32 v[230:231], v[116:117], v[234:235]
	v_add_f64 v[244:245], v[224:225], v[230:231]
	v_add_f64 v[224:225], v[226:227], 0
	v_add_f64 v[250:251], v[224:225], v[228:229]
	v_add_f64 v[224:225], v[250:251], v[248:249]
	buffer_load_dword v248, off, s[0:3], 0 offset:408
	buffer_load_dword v249, off, s[0:3], 0 offset:412
	v_add_f64 v[224:225], v[224:225], v[246:247]
	v_add_f64 v[22:23], v[224:225], v[22:23]
	;; [unrolled: 1-line block ×8, first 2 shown]
	v_mul_f64 v[4:5], v[32:33], v[146:147]
	v_fma_f64 v[4:5], v[30:31], v[150:151], -v[4:5]
	v_add_f64 v[2:3], v[2:3], v[4:5]
	v_mul_f64 v[4:5], v[36:37], v[148:149]
	v_fma_f64 v[4:5], v[34:35], v[152:153], -v[4:5]
	v_add_f64 v[2:3], v[2:3], v[4:5]
	;; [unrolled: 3-line block ×22, first 2 shown]
	s_waitcnt vmcnt(2)
	v_add_f64 v[2:3], v[252:253], -v[2:3]
	s_waitcnt vmcnt(0)
	v_add_f64 v[4:5], v[248:249], -v[244:245]
	buffer_store_dword v3, off, s[0:3], 0 offset:404
	buffer_store_dword v2, off, s[0:3], 0 offset:400
	;; [unrolled: 1-line block ×4, first 2 shown]
	s_and_saveexec_b64 s[4:5], vcc
	s_cbranch_execz .LBB121_315
; %bb.314:
	v_accvgpr_read_b32 v5, a150
	buffer_load_dword v2, v5, s[0:3], 0 offen
	buffer_load_dword v3, v5, s[0:3], 0 offen offset:4
	buffer_load_dword v4, v5, s[0:3], 0 offen offset:8
	s_nop 0
	buffer_load_dword v5, v5, s[0:3], 0 offen offset:12
	v_accvgpr_read_b32 v6, a173
	buffer_store_dword v1, off, s[0:3], 0 offset:384
	buffer_store_dword v1, off, s[0:3], 0 offset:388
	;; [unrolled: 1-line block ×4, first 2 shown]
	s_waitcnt vmcnt(4)
	ds_write_b128 v6, v[2:5]
.LBB121_315:
	s_or_b64 exec, exec, s[4:5]
	s_waitcnt lgkmcnt(0)
	; wave barrier
	s_waitcnt lgkmcnt(0)
	buffer_load_dword v86, off, s[0:3], 0 offset:400
	buffer_load_dword v87, off, s[0:3], 0 offset:404
	;; [unrolled: 1-line block ×42, first 2 shown]
	ds_read_b128 v[94:97], v1 offset:1312
	ds_read_b128 v[106:109], v1 offset:1328
	;; [unrolled: 1-line block ×10, first 2 shown]
	buffer_load_dword v145, off, s[0:3], 0 offset:548
	buffer_load_dword v144, off, s[0:3], 0 offset:544
	ds_read_b128 v[6:9], v1 offset:1472
	buffer_load_dword v141, off, s[0:3], 0 offset:604
	buffer_load_dword v140, off, s[0:3], 0 offset:600
	;; [unrolled: 1-line block ×80, first 2 shown]
	v_cmp_lt_u32_e32 vcc, 22, v0
	s_waitcnt vmcnt(62) lgkmcnt(10)
	v_mul_f64 v[26:27], v[94:95], v[88:89]
	v_fmac_f64_e32 v[26:27], v[96:97], v[86:87]
	v_add_f64 v[26:27], v[26:27], 0
	v_mul_f64 v[88:89], v[96:97], v[88:89]
	s_waitcnt lgkmcnt(9)
	v_mul_f64 v[28:29], v[106:107], v[92:93]
	v_fmac_f64_e32 v[28:29], v[108:109], v[90:91]
	s_waitcnt lgkmcnt(8)
	v_mul_f64 v[30:31], v[114:115], v[98:99]
	v_add_f64 v[26:27], v[26:27], v[28:29]
	s_waitcnt lgkmcnt(6)
	v_mul_f64 v[34:35], v[248:249], v[110:111]
	v_fma_f64 v[226:227], v[94:95], v[86:87], -v[88:89]
	v_fmac_f64_e32 v[34:35], v[250:251], v[112:113]
	v_mul_f64 v[92:93], v[108:109], v[92:93]
	v_mul_f64 v[32:33], v[244:245], v[102:103]
	;; [unrolled: 1-line block ×3, first 2 shown]
	s_waitcnt lgkmcnt(4)
	v_mul_f64 v[38:39], v[18:19], v[118:119]
	v_mul_f64 v[102:103], v[246:247], v[102:103]
	v_fmac_f64_e32 v[38:39], v[20:21], v[120:121]
	v_mul_f64 v[110:111], v[250:251], v[110:111]
	v_mul_f64 v[36:37], v[22:23], v[122:123]
	v_fma_f64 v[248:249], v[248:249], v[112:113], -v[110:111]
	s_waitcnt lgkmcnt(2)
	v_mul_f64 v[42:43], v[10:11], v[124:125]
	v_add_f64 v[226:227], v[226:227], 0
	v_mul_f64 v[20:21], v[20:21], v[118:119]
	v_mul_f64 v[40:41], v[14:15], v[130:131]
	v_fma_f64 v[18:19], v[18:19], v[120:121], -v[20:21]
	s_waitcnt lgkmcnt(1)
	v_mul_f64 v[44:45], v[2:3], v[128:129]
	v_fmac_f64_e32 v[30:31], v[116:117], v[100:101]
	v_add_f64 v[26:27], v[26:27], v[30:31]
	v_fmac_f64_e32 v[32:33], v[246:247], v[104:105]
	v_add_f64 v[26:27], v[26:27], v[32:33]
	;; [unrolled: 2-line block ×3, first 2 shown]
	v_add_f64 v[26:27], v[26:27], v[36:37]
	v_fmac_f64_e32 v[40:41], v[16:17], v[132:133]
	v_add_f64 v[26:27], v[26:27], v[38:39]
	v_fmac_f64_e32 v[42:43], v[12:13], v[126:127]
	v_add_f64 v[26:27], v[26:27], v[40:41]
	v_add_f64 v[26:27], v[26:27], v[42:43]
	s_waitcnt lgkmcnt(0)
	v_mul_f64 v[32:33], v[6:7], v[136:137]
	v_fmac_f64_e32 v[44:45], v[4:5], v[144:145]
	v_add_f64 v[30:31], v[26:27], v[44:45]
	ds_read_b128 v[26:29], v1 offset:1488
	v_fmac_f64_e32 v[32:33], v[8:9], v[138:139]
	v_add_f64 v[34:35], v[30:31], v[32:33]
	ds_read_b128 v[30:33], v1 offset:1504
	v_fma_f64 v[228:229], v[114:115], v[100:101], -v[98:99]
	s_waitcnt lgkmcnt(1)
	v_mul_f64 v[36:37], v[26:27], v[146:147]
	v_fmac_f64_e32 v[36:37], v[28:29], v[162:163]
	v_add_f64 v[38:39], v[34:35], v[36:37]
	ds_read_b128 v[34:37], v1 offset:1520
	s_waitcnt lgkmcnt(1)
	v_mul_f64 v[40:41], v[30:31], v[140:141]
	v_fmac_f64_e32 v[40:41], v[32:33], v[142:143]
	v_add_f64 v[42:43], v[38:39], v[40:41]
	ds_read_b128 v[38:41], v1 offset:1536
	s_waitcnt lgkmcnt(1)
	v_mul_f64 v[44:45], v[34:35], v[166:167]
	v_fmac_f64_e32 v[44:45], v[36:37], v[170:171]
	v_add_f64 v[46:47], v[42:43], v[44:45]
	ds_read_b128 v[42:45], v1 offset:1552
	s_waitcnt lgkmcnt(1)
	v_mul_f64 v[48:49], v[38:39], v[148:149]
	v_fmac_f64_e32 v[48:49], v[40:41], v[150:151]
	v_add_f64 v[50:51], v[46:47], v[48:49]
	ds_read_b128 v[46:49], v1 offset:1568
	s_waitcnt vmcnt(58) lgkmcnt(1)
	v_mul_f64 v[52:53], v[42:43], v[174:175]
	s_waitcnt vmcnt(56)
	v_fmac_f64_e32 v[52:53], v[44:45], v[178:179]
	v_add_f64 v[54:55], v[50:51], v[52:53]
	ds_read_b128 v[50:53], v1 offset:1584
	buffer_load_dword v222, off, s[0:3], 0 offset:920
	buffer_load_dword v237, off, s[0:3], 0 offset:908
	;; [unrolled: 1-line block ×8, first 2 shown]
	s_waitcnt lgkmcnt(1)
	v_mul_f64 v[56:57], v[46:47], v[152:153]
	v_fmac_f64_e32 v[56:57], v[48:49], v[154:155]
	v_add_f64 v[58:59], v[54:55], v[56:57]
	ds_read_b128 v[54:57], v1 offset:1600
	s_waitcnt vmcnt(58) lgkmcnt(1)
	v_mul_f64 v[60:61], v[50:51], v[182:183]
	s_waitcnt vmcnt(56)
	v_fmac_f64_e32 v[60:61], v[52:53], v[186:187]
	buffer_load_dword v241, off, s[0:3], 0 offset:940
	buffer_load_dword v240, off, s[0:3], 0 offset:936
	;; [unrolled: 1-line block ×4, first 2 shown]
	v_add_f64 v[62:63], v[58:59], v[60:61]
	ds_read_b128 v[58:61], v1 offset:1616
	s_waitcnt lgkmcnt(1)
	v_mul_f64 v[64:65], v[54:55], v[156:157]
	v_fmac_f64_e32 v[64:65], v[56:57], v[158:159]
	v_add_f64 v[66:67], v[62:63], v[64:65]
	ds_read_b128 v[62:65], v1 offset:1632
	s_waitcnt vmcnt(54) lgkmcnt(1)
	v_mul_f64 v[68:69], v[58:59], v[190:191]
	s_waitcnt vmcnt(52)
	v_fmac_f64_e32 v[68:69], v[60:61], v[194:195]
	v_add_f64 v[70:71], v[66:67], v[68:69]
	ds_read_b128 v[66:69], v1 offset:1648
	s_waitcnt lgkmcnt(1)
	v_mul_f64 v[72:73], v[62:63], v[160:161]
	v_fmac_f64_e32 v[72:73], v[64:65], v[164:165]
	v_add_f64 v[74:75], v[70:71], v[72:73]
	ds_read_b128 v[70:73], v1 offset:1664
	s_waitcnt vmcnt(46) lgkmcnt(1)
	v_mul_f64 v[76:77], v[66:67], v[198:199]
	s_waitcnt vmcnt(44)
	v_fmac_f64_e32 v[76:77], v[68:69], v[202:203]
	v_add_f64 v[82:83], v[74:75], v[76:77]
	ds_read_b128 v[74:77], v1 offset:1680
	ds_read_b128 v[78:81], v1 offset:1696
	s_waitcnt lgkmcnt(2)
	v_mul_f64 v[84:85], v[70:71], v[168:169]
	v_fmac_f64_e32 v[84:85], v[72:73], v[172:173]
	v_add_f64 v[82:83], v[82:83], v[84:85]
	s_waitcnt vmcnt(38) lgkmcnt(1)
	v_mul_f64 v[84:85], v[74:75], v[206:207]
	s_waitcnt vmcnt(36)
	v_fmac_f64_e32 v[84:85], v[76:77], v[208:209]
	v_add_f64 v[82:83], v[82:83], v[84:85]
	s_waitcnt lgkmcnt(0)
	v_mul_f64 v[84:85], v[78:79], v[176:177]
	v_fmac_f64_e32 v[84:85], v[80:81], v[180:181]
	v_add_f64 v[224:225], v[82:83], v[84:85]
	ds_read_b128 v[82:85], v1 offset:1712
	ds_read_b128 v[86:89], v1 offset:1728
	;; [unrolled: 1-line block ×3, first 2 shown]
	v_fma_f64 v[246:247], v[244:245], v[104:105], -v[102:103]
	ds_read_b128 v[102:105], v1 offset:1808
	ds_read_b128 v[110:113], v1 offset:1824
	s_waitcnt vmcnt(30) lgkmcnt(4)
	v_mul_f64 v[94:95], v[82:83], v[210:211]
	s_waitcnt vmcnt(28)
	v_fmac_f64_e32 v[94:95], v[84:85], v[212:213]
	v_add_f64 v[94:95], v[224:225], v[94:95]
	v_fma_f64 v[224:225], v[106:107], v[90:91], -v[92:93]
	ds_read_b128 v[90:93], v1 offset:1744
	s_waitcnt lgkmcnt(4)
	v_mul_f64 v[96:97], v[86:87], v[184:185]
	v_fmac_f64_e32 v[96:97], v[88:89], v[188:189]
	v_add_f64 v[106:107], v[94:95], v[96:97]
	ds_read_b128 v[94:97], v1 offset:1760
	s_waitcnt vmcnt(22) lgkmcnt(1)
	v_mul_f64 v[108:109], v[90:91], v[214:215]
	s_waitcnt vmcnt(20)
	v_fmac_f64_e32 v[108:109], v[92:93], v[216:217]
	v_add_f64 v[106:107], v[106:107], v[108:109]
	v_add_f64 v[224:225], v[226:227], v[224:225]
	s_waitcnt lgkmcnt(0)
	v_mul_f64 v[108:109], v[94:95], v[192:193]
	v_fmac_f64_e32 v[108:109], v[96:97], v[196:197]
	v_add_f64 v[114:115], v[106:107], v[108:109]
	ds_read_b128 v[106:109], v1 offset:1792
	s_waitcnt vmcnt(14)
	v_mul_f64 v[116:117], v[98:99], v[218:219]
	s_waitcnt vmcnt(12)
	v_fmac_f64_e32 v[116:117], v[100:101], v[220:221]
	v_add_f64 v[114:115], v[114:115], v[116:117]
	v_add_f64 v[250:251], v[224:225], v[228:229]
	s_waitcnt lgkmcnt(0)
	v_mul_f64 v[116:117], v[106:107], v[200:201]
	v_fmac_f64_e32 v[116:117], v[108:109], v[204:205]
	v_add_f64 v[114:115], v[114:115], v[116:117]
	v_add_f64 v[224:225], v[250:251], v[246:247]
	v_mul_f64 v[24:25], v[24:25], v[122:123]
	v_add_f64 v[224:225], v[224:225], v[248:249]
	v_fma_f64 v[22:23], v[22:23], v[134:135], -v[24:25]
	v_add_f64 v[22:23], v[224:225], v[22:23]
	v_mul_f64 v[16:17], v[16:17], v[130:131]
	v_add_f64 v[18:19], v[22:23], v[18:19]
	v_fma_f64 v[14:15], v[14:15], v[132:133], -v[16:17]
	v_mul_f64 v[12:13], v[12:13], v[124:125]
	s_waitcnt vmcnt(9)
	v_mul_f64 v[116:117], v[102:103], v[236:237]
	v_add_f64 v[14:15], v[18:19], v[14:15]
	s_waitcnt vmcnt(7)
	v_fmac_f64_e32 v[116:117], v[104:105], v[238:239]
	v_add_f64 v[114:115], v[114:115], v[116:117]
	s_waitcnt vmcnt(5)
	v_mul_f64 v[116:117], v[110:111], v[222:223]
	s_waitcnt vmcnt(4)
	v_fmac_f64_e32 v[116:117], v[112:113], v[234:235]
	v_add_f64 v[230:231], v[114:115], v[116:117]
	ds_read_b128 v[114:117], v1 offset:1840
	buffer_load_dword v254, off, s[0:3], 0 offset:384
	buffer_load_dword v255, off, s[0:3], 0 offset:388
	;; [unrolled: 1-line block ×4, first 2 shown]
	v_fma_f64 v[10:11], v[10:11], v[126:127], -v[12:13]
	v_mul_f64 v[4:5], v[4:5], v[128:129]
	v_add_f64 v[10:11], v[14:15], v[10:11]
	v_fma_f64 v[2:3], v[2:3], v[144:145], -v[4:5]
	v_mul_f64 v[4:5], v[8:9], v[136:137]
	v_add_f64 v[2:3], v[10:11], v[2:3]
	v_fma_f64 v[4:5], v[6:7], v[138:139], -v[4:5]
	v_add_f64 v[2:3], v[2:3], v[4:5]
	v_mul_f64 v[4:5], v[28:29], v[146:147]
	v_fma_f64 v[4:5], v[26:27], v[162:163], -v[4:5]
	v_add_f64 v[2:3], v[2:3], v[4:5]
	v_mul_f64 v[4:5], v[32:33], v[140:141]
	;; [unrolled: 3-line block ×22, first 2 shown]
	v_fma_f64 v[4:5], v[110:111], v[234:235], -v[4:5]
	v_add_f64 v[2:3], v[2:3], v[4:5]
	s_waitcnt vmcnt(6) lgkmcnt(0)
	v_mul_f64 v[4:5], v[116:117], v[240:241]
	v_mul_f64 v[232:233], v[114:115], v[240:241]
	s_waitcnt vmcnt(4)
	v_fma_f64 v[4:5], v[114:115], v[242:243], -v[4:5]
	v_fmac_f64_e32 v[232:233], v[116:117], v[242:243]
	v_add_f64 v[2:3], v[2:3], v[4:5]
	v_add_f64 v[244:245], v[230:231], v[232:233]
	s_waitcnt vmcnt(2)
	v_add_f64 v[2:3], v[254:255], -v[2:3]
	s_waitcnt vmcnt(0)
	v_add_f64 v[4:5], v[252:253], -v[244:245]
	buffer_store_dword v3, off, s[0:3], 0 offset:388
	buffer_store_dword v2, off, s[0:3], 0 offset:384
	buffer_store_dword v5, off, s[0:3], 0 offset:396
	buffer_store_dword v4, off, s[0:3], 0 offset:392
	s_and_saveexec_b64 s[4:5], vcc
	s_cbranch_execz .LBB121_317
; %bb.316:
	v_accvgpr_read_b32 v1, a151
	buffer_load_dword v2, v1, s[0:3], 0 offen
	buffer_load_dword v3, v1, s[0:3], 0 offen offset:4
	buffer_load_dword v4, v1, s[0:3], 0 offen offset:8
	;; [unrolled: 1-line block ×3, first 2 shown]
	v_mov_b32_e32 v1, 0
	v_accvgpr_read_b32 v6, a173
	buffer_store_dword v1, off, s[0:3], 0 offset:368
	buffer_store_dword v1, off, s[0:3], 0 offset:372
	;; [unrolled: 1-line block ×4, first 2 shown]
	s_waitcnt vmcnt(4)
	ds_write_b128 v6, v[2:5]
.LBB121_317:
	s_or_b64 exec, exec, s[4:5]
	s_waitcnt lgkmcnt(0)
	; wave barrier
	s_waitcnt lgkmcnt(0)
	buffer_load_dword v82, off, s[0:3], 0 offset:384
	buffer_load_dword v83, off, s[0:3], 0 offset:388
	;; [unrolled: 1-line block ×54, first 2 shown]
	v_mov_b32_e32 v1, 0
	ds_read_b128 v[90:93], v1 offset:1296
	ds_read_b128 v[106:109], v1 offset:1312
	;; [unrolled: 1-line block ×9, first 2 shown]
	buffer_load_dword v149, off, s[0:3], 0 offset:612
	buffer_load_dword v148, off, s[0:3], 0 offset:608
	;; [unrolled: 1-line block ×62, first 2 shown]
	v_cmp_lt_u32_e32 vcc, 21, v0
	s_waitcnt vmcnt(62) lgkmcnt(8)
	v_mul_f64 v[14:15], v[90:91], v[84:85]
	v_fmac_f64_e32 v[14:15], v[92:93], v[82:83]
	v_add_f64 v[14:15], v[14:15], 0
	v_mul_f64 v[84:85], v[92:93], v[84:85]
	s_waitcnt lgkmcnt(7)
	v_mul_f64 v[16:17], v[106:107], v[88:89]
	v_fmac_f64_e32 v[16:17], v[108:109], v[86:87]
	s_waitcnt lgkmcnt(6)
	v_mul_f64 v[18:19], v[114:115], v[94:95]
	v_add_f64 v[14:15], v[14:15], v[16:17]
	s_waitcnt lgkmcnt(4)
	v_mul_f64 v[22:23], v[246:247], v[102:103]
	v_fma_f64 v[226:227], v[90:91], v[82:83], -v[84:85]
	v_fmac_f64_e32 v[22:23], v[248:249], v[104:105]
	v_mul_f64 v[88:89], v[108:109], v[88:89]
	v_mul_f64 v[20:21], v[242:243], v[98:99]
	v_fma_f64 v[228:229], v[106:107], v[86:87], -v[88:89]
	s_waitcnt lgkmcnt(2)
	v_mul_f64 v[26:27], v[10:11], v[118:119]
	v_mul_f64 v[94:95], v[116:117], v[94:95]
	v_fmac_f64_e32 v[26:27], v[12:13], v[120:121]
	v_mul_f64 v[98:99], v[244:245], v[98:99]
	v_mul_f64 v[24:25], v[250:251], v[110:111]
	v_mul_f64 v[102:103], v[248:249], v[102:103]
	s_waitcnt lgkmcnt(1)
	v_mul_f64 v[28:29], v[6:7], v[122:123]
	v_mul_f64 v[110:111], v[252:253], v[110:111]
	v_fmac_f64_e32 v[18:19], v[116:117], v[96:97]
	v_add_f64 v[14:15], v[14:15], v[18:19]
	v_fmac_f64_e32 v[20:21], v[244:245], v[100:101]
	v_add_f64 v[14:15], v[14:15], v[20:21]
	;; [unrolled: 2-line block ×3, first 2 shown]
	v_add_f64 v[14:15], v[14:15], v[24:25]
	v_fmac_f64_e32 v[28:29], v[8:9], v[126:127]
	v_add_f64 v[14:15], v[14:15], v[26:27]
	v_add_f64 v[18:19], v[14:15], v[28:29]
	ds_read_b128 v[14:17], v1 offset:1440
	s_waitcnt lgkmcnt(1)
	v_mul_f64 v[20:21], v[2:3], v[124:125]
	v_fmac_f64_e32 v[20:21], v[4:5], v[128:129]
	v_add_f64 v[22:23], v[18:19], v[20:21]
	ds_read_b128 v[18:21], v1 offset:1456
	s_waitcnt lgkmcnt(1)
	v_mul_f64 v[24:25], v[14:15], v[134:135]
	v_fmac_f64_e32 v[24:25], v[16:17], v[136:137]
	;; [unrolled: 5-line block ×5, first 2 shown]
	v_add_f64 v[38:39], v[34:35], v[36:37]
	ds_read_b128 v[34:37], v1 offset:1520
	s_waitcnt vmcnt(58) lgkmcnt(1)
	v_mul_f64 v[40:41], v[30:31], v[162:163]
	s_waitcnt vmcnt(56)
	v_fmac_f64_e32 v[40:41], v[32:33], v[166:167]
	v_add_f64 v[42:43], v[38:39], v[40:41]
	ds_read_b128 v[38:41], v1 offset:1536
	s_waitcnt lgkmcnt(1)
	v_mul_f64 v[44:45], v[34:35], v[142:143]
	v_fmac_f64_e32 v[44:45], v[36:37], v[148:149]
	v_add_f64 v[46:47], v[42:43], v[44:45]
	ds_read_b128 v[42:45], v1 offset:1552
	s_waitcnt vmcnt(50) lgkmcnt(1)
	v_mul_f64 v[48:49], v[38:39], v[170:171]
	s_waitcnt vmcnt(48)
	v_fmac_f64_e32 v[48:49], v[40:41], v[174:175]
	v_add_f64 v[50:51], v[46:47], v[48:49]
	ds_read_b128 v[46:49], v1 offset:1568
	buffer_load_dword v211, off, s[0:3], 0 offset:860
	buffer_load_dword v210, off, s[0:3], 0 offset:856
	;; [unrolled: 1-line block ×8, first 2 shown]
	s_waitcnt lgkmcnt(1)
	v_mul_f64 v[52:53], v[42:43], v[150:151]
	v_fmac_f64_e32 v[52:53], v[44:45], v[152:153]
	v_add_f64 v[54:55], v[50:51], v[52:53]
	ds_read_b128 v[50:53], v1 offset:1584
	s_waitcnt vmcnt(50) lgkmcnt(1)
	v_mul_f64 v[56:57], v[46:47], v[178:179]
	s_waitcnt vmcnt(48)
	v_fmac_f64_e32 v[56:57], v[48:49], v[182:183]
	buffer_load_dword v215, off, s[0:3], 0 offset:908
	buffer_load_dword v221, off, s[0:3], 0 offset:892
	;; [unrolled: 1-line block ×12, first 2 shown]
	v_add_f64 v[58:59], v[54:55], v[56:57]
	ds_read_b128 v[54:57], v1 offset:1600
	s_waitcnt lgkmcnt(1)
	v_mul_f64 v[60:61], v[50:51], v[154:155]
	v_fmac_f64_e32 v[60:61], v[52:53], v[156:157]
	v_add_f64 v[62:63], v[58:59], v[60:61]
	ds_read_b128 v[58:61], v1 offset:1616
	s_waitcnt vmcnt(54) lgkmcnt(1)
	v_mul_f64 v[64:65], v[54:55], v[186:187]
	s_waitcnt vmcnt(52)
	v_fmac_f64_e32 v[64:65], v[56:57], v[190:191]
	v_add_f64 v[66:67], v[62:63], v[64:65]
	ds_read_b128 v[62:65], v1 offset:1632
	s_waitcnt lgkmcnt(1)
	v_mul_f64 v[68:69], v[58:59], v[158:159]
	v_fmac_f64_e32 v[68:69], v[60:61], v[160:161]
	v_add_f64 v[70:71], v[66:67], v[68:69]
	ds_read_b128 v[66:69], v1 offset:1648
	s_waitcnt vmcnt(46) lgkmcnt(1)
	v_mul_f64 v[72:73], v[62:63], v[194:195]
	s_waitcnt vmcnt(44)
	v_fmac_f64_e32 v[72:73], v[64:65], v[196:197]
	v_add_f64 v[78:79], v[70:71], v[72:73]
	ds_read_b128 v[70:73], v1 offset:1664
	ds_read_b128 v[74:77], v1 offset:1680
	s_waitcnt lgkmcnt(2)
	v_mul_f64 v[80:81], v[66:67], v[164:165]
	v_fmac_f64_e32 v[80:81], v[68:69], v[168:169]
	v_add_f64 v[78:79], v[78:79], v[80:81]
	s_waitcnt vmcnt(38) lgkmcnt(1)
	v_mul_f64 v[80:81], v[70:71], v[198:199]
	s_waitcnt vmcnt(36)
	v_fmac_f64_e32 v[80:81], v[72:73], v[200:201]
	v_add_f64 v[78:79], v[78:79], v[80:81]
	s_waitcnt lgkmcnt(0)
	v_mul_f64 v[80:81], v[74:75], v[172:173]
	v_fmac_f64_e32 v[80:81], v[76:77], v[176:177]
	v_add_f64 v[224:225], v[78:79], v[80:81]
	ds_read_b128 v[78:81], v1 offset:1696
	ds_read_b128 v[82:85], v1 offset:1712
	;; [unrolled: 1-line block ×3, first 2 shown]
	v_fma_f64 v[230:231], v[242:243], v[100:101], -v[98:99]
	ds_read_b128 v[98:101], v1 offset:1776
	s_waitcnt vmcnt(30) lgkmcnt(3)
	v_mul_f64 v[90:91], v[78:79], v[202:203]
	s_waitcnt vmcnt(28)
	v_fmac_f64_e32 v[90:91], v[80:81], v[204:205]
	s_waitcnt lgkmcnt(2)
	v_mul_f64 v[92:93], v[82:83], v[180:181]
	v_add_f64 v[90:91], v[224:225], v[90:91]
	v_fmac_f64_e32 v[92:93], v[84:85], v[184:185]
	v_add_f64 v[90:91], v[90:91], v[92:93]
	v_fma_f64 v[224:225], v[114:115], v[96:97], -v[94:95]
	ds_read_b128 v[94:97], v1 offset:1760
	s_waitcnt vmcnt(22) lgkmcnt(2)
	v_mul_f64 v[92:93], v[86:87], v[206:207]
	s_waitcnt vmcnt(20)
	v_fmac_f64_e32 v[92:93], v[88:89], v[208:209]
	v_add_f64 v[106:107], v[90:91], v[92:93]
	ds_read_b128 v[90:93], v1 offset:1744
	buffer_load_dword v240, off, s[0:3], 0 offset:936
	v_fma_f64 v[232:233], v[246:247], v[104:105], -v[102:103]
	ds_read_b128 v[102:105], v1 offset:1792
	v_fma_f64 v[250:251], v[250:251], v[112:113], -v[110:111]
	s_waitcnt lgkmcnt(1)
	v_mul_f64 v[108:109], v[90:91], v[188:189]
	v_fmac_f64_e32 v[108:109], v[92:93], v[192:193]
	v_add_f64 v[106:107], v[106:107], v[108:109]
	ds_read_b128 v[110:113], v1 offset:1824
	v_add_f64 v[226:227], v[226:227], 0
	v_add_f64 v[226:227], v[226:227], v[228:229]
	;; [unrolled: 1-line block ×5, first 2 shown]
	v_mul_f64 v[12:13], v[12:13], v[118:119]
	v_add_f64 v[224:225], v[252:253], v[250:251]
	v_fma_f64 v[10:11], v[10:11], v[120:121], -v[12:13]
	v_mul_f64 v[8:9], v[8:9], v[122:123]
	v_add_f64 v[10:11], v[224:225], v[10:11]
	v_fma_f64 v[6:7], v[6:7], v[126:127], -v[8:9]
	;; [unrolled: 3-line block ×3, first 2 shown]
	v_mul_f64 v[4:5], v[16:17], v[134:135]
	v_add_f64 v[2:3], v[6:7], v[2:3]
	s_waitcnt vmcnt(19)
	v_mul_f64 v[108:109], v[94:95], v[210:211]
	v_fma_f64 v[4:5], v[14:15], v[136:137], -v[4:5]
	s_waitcnt vmcnt(17)
	v_fmac_f64_e32 v[108:109], v[96:97], v[212:213]
	v_add_f64 v[106:107], v[106:107], v[108:109]
	s_waitcnt vmcnt(15)
	v_mul_f64 v[108:109], v[98:99], v[216:217]
	s_waitcnt vmcnt(13)
	v_fmac_f64_e32 v[108:109], v[100:101], v[218:219]
	v_add_f64 v[114:115], v[106:107], v[108:109]
	ds_read_b128 v[106:109], v1 offset:1808
	buffer_load_dword v244, off, s[0:3], 0 offset:928
	buffer_load_dword v241, off, s[0:3], 0 offset:940
	;; [unrolled: 1-line block ×3, first 2 shown]
	s_waitcnt vmcnt(13) lgkmcnt(2)
	v_mul_f64 v[116:117], v[102:103], v[220:221]
	s_waitcnt vmcnt(11)
	v_fmac_f64_e32 v[116:117], v[104:105], v[236:237]
	v_add_f64 v[114:115], v[114:115], v[116:117]
	s_waitcnt vmcnt(10) lgkmcnt(0)
	v_mul_f64 v[116:117], v[106:107], v[214:215]
	s_waitcnt vmcnt(8)
	v_fmac_f64_e32 v[116:117], v[108:109], v[234:235]
	v_add_f64 v[114:115], v[114:115], v[116:117]
	s_waitcnt vmcnt(6)
	v_mul_f64 v[116:117], v[110:111], v[222:223]
	s_waitcnt vmcnt(4)
	v_fmac_f64_e32 v[116:117], v[112:113], v[238:239]
	v_add_f64 v[242:243], v[114:115], v[116:117]
	ds_read_b128 v[114:117], v1 offset:1840
	buffer_load_dword v248, off, s[0:3], 0 offset:368
	buffer_load_dword v249, off, s[0:3], 0 offset:372
	v_add_f64 v[2:3], v[2:3], v[4:5]
	v_mul_f64 v[4:5], v[20:21], v[130:131]
	v_fma_f64 v[4:5], v[18:19], v[132:133], -v[4:5]
	v_add_f64 v[2:3], v[2:3], v[4:5]
	v_mul_f64 v[4:5], v[24:25], v[144:145]
	v_fma_f64 v[4:5], v[22:23], v[146:147], -v[4:5]
	;; [unrolled: 3-line block ×22, first 2 shown]
	v_add_f64 v[2:3], v[2:3], v[4:5]
	s_waitcnt vmcnt(3) lgkmcnt(0)
	v_mul_f64 v[246:247], v[114:115], v[240:241]
	s_waitcnt vmcnt(2)
	v_fmac_f64_e32 v[246:247], v[116:117], v[244:245]
	v_add_f64 v[242:243], v[242:243], v[246:247]
	buffer_load_dword v246, off, s[0:3], 0 offset:376
	buffer_load_dword v247, off, s[0:3], 0 offset:380
	v_mul_f64 v[4:5], v[108:109], v[214:215]
	v_fma_f64 v[4:5], v[106:107], v[234:235], -v[4:5]
	v_add_f64 v[2:3], v[2:3], v[4:5]
	v_mul_f64 v[4:5], v[112:113], v[222:223]
	v_fma_f64 v[4:5], v[110:111], v[238:239], -v[4:5]
	v_add_f64 v[2:3], v[2:3], v[4:5]
	;; [unrolled: 3-line block ×3, first 2 shown]
	s_waitcnt vmcnt(2)
	v_add_f64 v[2:3], v[248:249], -v[2:3]
	s_waitcnt vmcnt(0)
	v_add_f64 v[4:5], v[246:247], -v[242:243]
	buffer_store_dword v3, off, s[0:3], 0 offset:372
	buffer_store_dword v2, off, s[0:3], 0 offset:368
	;; [unrolled: 1-line block ×4, first 2 shown]
	s_and_saveexec_b64 s[4:5], vcc
	s_cbranch_execz .LBB121_319
; %bb.318:
	v_accvgpr_read_b32 v5, a152
	buffer_load_dword v2, v5, s[0:3], 0 offen
	buffer_load_dword v3, v5, s[0:3], 0 offen offset:4
	buffer_load_dword v4, v5, s[0:3], 0 offen offset:8
	s_nop 0
	buffer_load_dword v5, v5, s[0:3], 0 offen offset:12
	v_accvgpr_read_b32 v6, a173
	buffer_store_dword v1, off, s[0:3], 0 offset:352
	buffer_store_dword v1, off, s[0:3], 0 offset:356
	;; [unrolled: 1-line block ×4, first 2 shown]
	s_waitcnt vmcnt(4)
	ds_write_b128 v6, v[2:5]
.LBB121_319:
	s_or_b64 exec, exec, s[4:5]
	s_waitcnt lgkmcnt(0)
	; wave barrier
	s_waitcnt lgkmcnt(0)
	buffer_load_dword v84, off, s[0:3], 0 offset:368
	buffer_load_dword v85, off, s[0:3], 0 offset:372
	;; [unrolled: 1-line block ×34, first 2 shown]
	ds_read_b128 v[74:77], v1 offset:1280
	ds_read_b128 v[78:81], v1 offset:1296
	;; [unrolled: 1-line block ×8, first 2 shown]
	buffer_load_dword v125, off, s[0:3], 0 offset:484
	buffer_load_dword v124, off, s[0:3], 0 offset:480
	ds_read_b128 v[6:9], v1 offset:1408
	buffer_load_dword v127, off, s[0:3], 0 offset:540
	buffer_load_dword v126, off, s[0:3], 0 offset:536
	;; [unrolled: 1-line block ×80, first 2 shown]
	v_cmp_lt_u32_e32 vcc, 20, v0
	s_waitcnt vmcnt(62) lgkmcnt(8)
	v_mul_f64 v[10:11], v[74:75], v[106:107]
	v_fmac_f64_e32 v[10:11], v[76:77], v[84:85]
	v_add_f64 v[10:11], v[10:11], 0
	v_mul_f64 v[76:77], v[76:77], v[106:107]
	s_waitcnt lgkmcnt(7)
	v_mul_f64 v[12:13], v[78:79], v[96:97]
	v_fmac_f64_e32 v[12:13], v[80:81], v[82:83]
	s_waitcnt lgkmcnt(6)
	v_mul_f64 v[14:15], v[86:87], v[94:95]
	v_add_f64 v[10:11], v[10:11], v[12:13]
	s_waitcnt lgkmcnt(4)
	v_mul_f64 v[18:19], v[98:99], v[108:109]
	v_fma_f64 v[226:227], v[74:75], v[84:85], -v[76:77]
	v_fmac_f64_e32 v[18:19], v[100:101], v[114:115]
	v_mul_f64 v[80:81], v[80:81], v[96:97]
	v_mul_f64 v[16:17], v[90:91], v[116:117]
	v_fma_f64 v[228:229], v[78:79], v[82:83], -v[80:81]
	s_waitcnt lgkmcnt(2)
	v_mul_f64 v[22:23], v[110:111], v[240:241]
	v_mul_f64 v[100:101], v[100:101], v[108:109]
	v_fma_f64 v[232:233], v[98:99], v[114:115], -v[100:101]
	v_mul_f64 v[20:21], v[102:103], v[244:245]
	v_add_f64 v[226:227], v[226:227], 0
	s_waitcnt lgkmcnt(1)
	v_mul_f64 v[24:25], v[2:3], v[118:119]
	v_add_f64 v[226:227], v[226:227], v[228:229]
	v_fmac_f64_e32 v[14:15], v[88:89], v[250:251]
	v_add_f64 v[10:11], v[10:11], v[14:15]
	v_fmac_f64_e32 v[16:17], v[92:93], v[248:249]
	;; [unrolled: 2-line block ×4, first 2 shown]
	v_add_f64 v[10:11], v[10:11], v[20:21]
	v_add_f64 v[10:11], v[10:11], v[22:23]
	s_waitcnt lgkmcnt(0)
	v_mul_f64 v[16:17], v[6:7], v[120:121]
	v_fmac_f64_e32 v[16:17], v[8:9], v[122:123]
	v_fmac_f64_e32 v[24:25], v[4:5], v[124:125]
	v_add_f64 v[14:15], v[10:11], v[24:25]
	ds_read_b128 v[10:13], v1 offset:1424
	v_add_f64 v[18:19], v[14:15], v[16:17]
	ds_read_b128 v[14:17], v1 offset:1440
	v_mul_f64 v[88:89], v[88:89], v[94:95]
	v_mul_f64 v[92:93], v[92:93], v[116:117]
	s_waitcnt lgkmcnt(1)
	v_mul_f64 v[20:21], v[10:11], v[130:131]
	v_fmac_f64_e32 v[20:21], v[12:13], v[132:133]
	s_waitcnt lgkmcnt(0)
	v_mul_f64 v[24:25], v[14:15], v[126:127]
	v_add_f64 v[22:23], v[18:19], v[20:21]
	ds_read_b128 v[18:21], v1 offset:1456
	v_fmac_f64_e32 v[24:25], v[16:17], v[128:129]
	v_add_f64 v[26:27], v[22:23], v[24:25]
	ds_read_b128 v[22:25], v1 offset:1472
	v_fma_f64 v[230:231], v[90:91], v[248:249], -v[92:93]
	s_waitcnt lgkmcnt(1)
	v_mul_f64 v[28:29], v[18:19], v[142:143]
	v_fmac_f64_e32 v[28:29], v[20:21], v[144:145]
	v_add_f64 v[30:31], v[26:27], v[28:29]
	s_waitcnt lgkmcnt(0)
	v_mul_f64 v[32:33], v[22:23], v[134:135]
	ds_read_b128 v[26:29], v1 offset:1488
	v_fmac_f64_e32 v[32:33], v[24:25], v[136:137]
	v_add_f64 v[34:35], v[30:31], v[32:33]
	ds_read_b128 v[30:33], v1 offset:1504
	v_mul_f64 v[104:105], v[104:105], v[244:245]
	s_waitcnt vmcnt(58) lgkmcnt(1)
	v_mul_f64 v[36:37], v[26:27], v[158:159]
	s_waitcnt vmcnt(56)
	v_fmac_f64_e32 v[36:37], v[28:29], v[162:163]
	v_add_f64 v[38:39], v[34:35], v[36:37]
	s_waitcnt lgkmcnt(0)
	v_mul_f64 v[40:41], v[30:31], v[138:139]
	ds_read_b128 v[34:37], v1 offset:1520
	v_fmac_f64_e32 v[40:41], v[32:33], v[140:141]
	v_add_f64 v[42:43], v[38:39], v[40:41]
	ds_read_b128 v[38:41], v1 offset:1536
	v_mul_f64 v[112:113], v[112:113], v[240:241]
	s_waitcnt vmcnt(50) lgkmcnt(1)
	v_mul_f64 v[44:45], v[34:35], v[166:167]
	s_waitcnt vmcnt(48)
	v_fmac_f64_e32 v[44:45], v[36:37], v[170:171]
	v_add_f64 v[46:47], v[42:43], v[44:45]
	s_waitcnt lgkmcnt(0)
	v_mul_f64 v[48:49], v[38:39], v[146:147]
	v_fmac_f64_e32 v[48:49], v[40:41], v[148:149]
	ds_read_b128 v[42:45], v1 offset:1552
	v_add_f64 v[50:51], v[46:47], v[48:49]
	ds_read_b128 v[46:49], v1 offset:1568
	buffer_load_dword v207, off, s[0:3], 0 offset:860
	buffer_load_dword v209, off, s[0:3], 0 offset:844
	;; [unrolled: 1-line block ×12, first 2 shown]
	v_fma_f64 v[252:253], v[110:111], v[242:243], -v[112:113]
	s_waitcnt vmcnt(54) lgkmcnt(1)
	v_mul_f64 v[52:53], v[42:43], v[174:175]
	s_waitcnt vmcnt(52)
	v_fmac_f64_e32 v[52:53], v[44:45], v[178:179]
	v_add_f64 v[54:55], v[50:51], v[52:53]
	ds_read_b128 v[50:53], v1 offset:1584
	s_waitcnt lgkmcnt(1)
	v_mul_f64 v[56:57], v[46:47], v[150:151]
	v_fmac_f64_e32 v[56:57], v[48:49], v[152:153]
	buffer_load_dword v221, off, s[0:3], 0 offset:892
	buffer_load_dword v220, off, s[0:3], 0 offset:888
	buffer_load_dword v223, off, s[0:3], 0 offset:884
	buffer_load_dword v222, off, s[0:3], 0 offset:880
	buffer_load_dword v218, off, s[0:3], 0 offset:920
	buffer_load_dword v237, off, s[0:3], 0 offset:908
	buffer_load_dword v236, off, s[0:3], 0 offset:904
	buffer_load_dword v239, off, s[0:3], 0 offset:900
	buffer_load_dword v238, off, s[0:3], 0 offset:896
	buffer_load_dword v234, off, s[0:3], 0 offset:912
	buffer_load_dword v219, off, s[0:3], 0 offset:924
	buffer_load_dword v235, off, s[0:3], 0 offset:916
	v_add_f64 v[58:59], v[54:55], v[56:57]
	ds_read_b128 v[54:57], v1 offset:1600
	s_waitcnt vmcnt(58) lgkmcnt(1)
	v_mul_f64 v[60:61], v[50:51], v[182:183]
	s_waitcnt vmcnt(56)
	v_fmac_f64_e32 v[60:61], v[52:53], v[186:187]
	v_add_f64 v[62:63], v[58:59], v[60:61]
	ds_read_b128 v[58:61], v1 offset:1616
	s_waitcnt lgkmcnt(1)
	v_mul_f64 v[64:65], v[54:55], v[154:155]
	v_fmac_f64_e32 v[64:65], v[56:57], v[156:157]
	v_add_f64 v[70:71], v[62:63], v[64:65]
	ds_read_b128 v[62:65], v1 offset:1632
	ds_read_b128 v[66:69], v1 offset:1648
	s_waitcnt vmcnt(50) lgkmcnt(2)
	v_mul_f64 v[72:73], v[58:59], v[190:191]
	s_waitcnt vmcnt(48)
	v_fmac_f64_e32 v[72:73], v[60:61], v[192:193]
	v_add_f64 v[70:71], v[70:71], v[72:73]
	s_waitcnt lgkmcnt(1)
	v_mul_f64 v[72:73], v[62:63], v[160:161]
	v_fmac_f64_e32 v[72:73], v[64:65], v[164:165]
	v_add_f64 v[70:71], v[70:71], v[72:73]
	s_waitcnt vmcnt(42) lgkmcnt(0)
	v_mul_f64 v[72:73], v[66:67], v[194:195]
	s_waitcnt vmcnt(40)
	v_fmac_f64_e32 v[72:73], v[68:69], v[196:197]
	v_add_f64 v[224:225], v[70:71], v[72:73]
	ds_read_b128 v[70:73], v1 offset:1664
	ds_read_b128 v[74:77], v1 offset:1680
	;; [unrolled: 1-line block ×5, first 2 shown]
	s_waitcnt lgkmcnt(4)
	v_mul_f64 v[84:85], v[70:71], v[168:169]
	v_fmac_f64_e32 v[84:85], v[72:73], v[172:173]
	v_add_f64 v[82:83], v[224:225], v[84:85]
	s_waitcnt vmcnt(34) lgkmcnt(3)
	v_mul_f64 v[84:85], v[74:75], v[198:199]
	s_waitcnt vmcnt(32)
	v_fmac_f64_e32 v[84:85], v[76:77], v[200:201]
	v_add_f64 v[82:83], v[82:83], v[84:85]
	v_fma_f64 v[224:225], v[86:87], v[250:251], -v[88:89]
	ds_read_b128 v[86:89], v1 offset:1728
	s_waitcnt lgkmcnt(3)
	v_mul_f64 v[84:85], v[78:79], v[176:177]
	v_fmac_f64_e32 v[84:85], v[80:81], v[180:181]
	v_add_f64 v[96:97], v[82:83], v[84:85]
	ds_read_b128 v[82:85], v1 offset:1712
	v_fma_f64 v[250:251], v[102:103], v[246:247], -v[104:105]
	ds_read_b128 v[110:113], v1 offset:1824
	v_add_f64 v[224:225], v[226:227], v[224:225]
	v_add_f64 v[224:225], v[224:225], v[230:231]
	s_waitcnt vmcnt(26) lgkmcnt(1)
	v_mul_f64 v[94:95], v[82:83], v[202:203]
	s_waitcnt vmcnt(24)
	v_fmac_f64_e32 v[94:95], v[84:85], v[204:205]
	v_add_f64 v[94:95], v[96:97], v[94:95]
	v_mul_f64 v[96:97], v[86:87], v[184:185]
	v_fmac_f64_e32 v[96:97], v[88:89], v[188:189]
	v_add_f64 v[106:107], v[94:95], v[96:97]
	ds_read_b128 v[94:97], v1 offset:1760
	v_add_f64 v[254:255], v[224:225], v[232:233]
	v_add_f64 v[224:225], v[254:255], v[250:251]
	v_mul_f64 v[4:5], v[4:5], v[118:119]
	v_add_f64 v[224:225], v[224:225], v[252:253]
	ds_read_b128 v[102:105], v1 offset:1808
	v_fma_f64 v[2:3], v[2:3], v[124:125], -v[4:5]
	v_mul_f64 v[4:5], v[8:9], v[120:121]
	v_add_f64 v[2:3], v[224:225], v[2:3]
	v_fma_f64 v[4:5], v[6:7], v[122:123], -v[4:5]
	v_add_f64 v[2:3], v[2:3], v[4:5]
	v_mul_f64 v[4:5], v[12:13], v[130:131]
	v_fma_f64 v[4:5], v[10:11], v[132:133], -v[4:5]
	v_add_f64 v[2:3], v[2:3], v[4:5]
	v_mul_f64 v[4:5], v[16:17], v[126:127]
	s_waitcnt vmcnt(21)
	v_mul_f64 v[108:109], v[90:91], v[208:209]
	v_fma_f64 v[4:5], v[14:15], v[128:129], -v[4:5]
	s_waitcnt vmcnt(19)
	v_fmac_f64_e32 v[108:109], v[92:93], v[214:215]
	v_add_f64 v[106:107], v[106:107], v[108:109]
	s_waitcnt vmcnt(18) lgkmcnt(1)
	v_mul_f64 v[108:109], v[94:95], v[206:207]
	s_waitcnt vmcnt(16)
	v_fmac_f64_e32 v[108:109], v[96:97], v[212:213]
	v_add_f64 v[114:115], v[106:107], v[108:109]
	ds_read_b128 v[106:109], v1 offset:1792
	buffer_load_dword v243, off, s[0:3], 0 offset:940
	buffer_load_dword v242, off, s[0:3], 0 offset:936
	;; [unrolled: 1-line block ×4, first 2 shown]
	s_waitcnt vmcnt(18)
	v_mul_f64 v[116:117], v[98:99], v[210:211]
	s_waitcnt vmcnt(16)
	v_fmac_f64_e32 v[116:117], v[100:101], v[216:217]
	v_add_f64 v[114:115], v[114:115], v[116:117]
	s_waitcnt vmcnt(14) lgkmcnt(0)
	v_mul_f64 v[116:117], v[106:107], v[220:221]
	s_waitcnt vmcnt(12)
	v_fmac_f64_e32 v[116:117], v[108:109], v[222:223]
	v_add_f64 v[114:115], v[114:115], v[116:117]
	s_waitcnt vmcnt(9)
	v_mul_f64 v[116:117], v[102:103], v[236:237]
	s_waitcnt vmcnt(7)
	v_fmac_f64_e32 v[116:117], v[104:105], v[238:239]
	v_add_f64 v[114:115], v[114:115], v[116:117]
	s_waitcnt vmcnt(5)
	v_mul_f64 v[116:117], v[110:111], v[218:219]
	s_waitcnt vmcnt(4)
	v_fmac_f64_e32 v[116:117], v[112:113], v[234:235]
	v_add_f64 v[240:241], v[114:115], v[116:117]
	ds_read_b128 v[114:117], v1 offset:1840
	v_add_f64 v[2:3], v[2:3], v[4:5]
	v_mul_f64 v[4:5], v[20:21], v[142:143]
	v_fma_f64 v[4:5], v[18:19], v[144:145], -v[4:5]
	v_add_f64 v[2:3], v[2:3], v[4:5]
	v_mul_f64 v[4:5], v[24:25], v[134:135]
	v_fma_f64 v[4:5], v[22:23], v[136:137], -v[4:5]
	;; [unrolled: 3-line block ×21, first 2 shown]
	v_add_f64 v[2:3], v[2:3], v[4:5]
	s_waitcnt vmcnt(2) lgkmcnt(0)
	v_mul_f64 v[246:247], v[114:115], v[242:243]
	v_mul_f64 v[4:5], v[108:109], v[220:221]
	s_waitcnt vmcnt(0)
	v_fmac_f64_e32 v[246:247], v[116:117], v[244:245]
	v_add_f64 v[240:241], v[240:241], v[246:247]
	buffer_load_dword v248, off, s[0:3], 0 offset:352
	buffer_load_dword v249, off, s[0:3], 0 offset:356
	;; [unrolled: 1-line block ×4, first 2 shown]
	v_fma_f64 v[4:5], v[106:107], v[222:223], -v[4:5]
	v_add_f64 v[2:3], v[2:3], v[4:5]
	v_mul_f64 v[4:5], v[104:105], v[236:237]
	v_fma_f64 v[4:5], v[102:103], v[238:239], -v[4:5]
	v_add_f64 v[2:3], v[2:3], v[4:5]
	v_mul_f64 v[4:5], v[112:113], v[218:219]
	;; [unrolled: 3-line block ×3, first 2 shown]
	v_fma_f64 v[4:5], v[114:115], v[244:245], -v[4:5]
	v_add_f64 v[2:3], v[2:3], v[4:5]
	s_waitcnt vmcnt(2)
	v_add_f64 v[2:3], v[248:249], -v[2:3]
	s_waitcnt vmcnt(0)
	v_add_f64 v[4:5], v[246:247], -v[240:241]
	buffer_store_dword v3, off, s[0:3], 0 offset:356
	buffer_store_dword v2, off, s[0:3], 0 offset:352
	;; [unrolled: 1-line block ×4, first 2 shown]
	s_and_saveexec_b64 s[4:5], vcc
	s_cbranch_execz .LBB121_321
; %bb.320:
	v_accvgpr_read_b32 v1, a153
	buffer_load_dword v2, v1, s[0:3], 0 offen
	buffer_load_dword v3, v1, s[0:3], 0 offen offset:4
	buffer_load_dword v4, v1, s[0:3], 0 offen offset:8
	buffer_load_dword v5, v1, s[0:3], 0 offen offset:12
	v_mov_b32_e32 v1, 0
	v_accvgpr_read_b32 v6, a173
	buffer_store_dword v1, off, s[0:3], 0 offset:336
	buffer_store_dword v1, off, s[0:3], 0 offset:340
	;; [unrolled: 1-line block ×4, first 2 shown]
	s_waitcnt vmcnt(4)
	ds_write_b128 v6, v[2:5]
.LBB121_321:
	s_or_b64 exec, exec, s[4:5]
	s_waitcnt lgkmcnt(0)
	; wave barrier
	s_waitcnt lgkmcnt(0)
	buffer_load_dword v66, off, s[0:3], 0 offset:352
	buffer_load_dword v67, off, s[0:3], 0 offset:356
	;; [unrolled: 1-line block ×55, first 2 shown]
	v_mov_b32_e32 v1, 0
	ds_read_b128 v[74:77], v1 offset:1264
	ds_read_b128 v[86:89], v1 offset:1280
	ds_read_b128 v[98:101], v1 offset:1296
	ds_read_b128 v[110:113], v1 offset:1312
	ds_read_b128 v[114:117], v1 offset:1328
	ds_read_b128 v[240:243], v1 offset:1344
	ds_read_b128 v[244:247], v1 offset:1360
	ds_read_b128 v[248:251], v1 offset:1376
	ds_read_b128 v[2:5], v1 offset:1392
	buffer_load_dword v136, off, s[0:3], 0 offset:576
	buffer_load_dword v155, off, s[0:3], 0 offset:572
	;; [unrolled: 1-line block ×61, first 2 shown]
	v_cmp_lt_u32_e32 vcc, 19, v0
	s_waitcnt vmcnt(62) lgkmcnt(8)
	v_mul_f64 v[6:7], v[74:75], v[68:69]
	v_fmac_f64_e32 v[6:7], v[76:77], v[66:67]
	v_add_f64 v[6:7], v[6:7], 0
	v_mul_f64 v[68:69], v[76:77], v[68:69]
	s_waitcnt lgkmcnt(7)
	v_mul_f64 v[8:9], v[86:87], v[72:73]
	v_fmac_f64_e32 v[8:9], v[88:89], v[70:71]
	s_waitcnt lgkmcnt(6)
	v_mul_f64 v[10:11], v[98:99], v[78:79]
	v_add_f64 v[6:7], v[6:7], v[8:9]
	s_waitcnt lgkmcnt(4)
	v_mul_f64 v[14:15], v[114:115], v[90:91]
	v_fma_f64 v[226:227], v[74:75], v[66:67], -v[68:69]
	v_fmac_f64_e32 v[14:15], v[116:117], v[92:93]
	v_mul_f64 v[72:73], v[88:89], v[72:73]
	v_mul_f64 v[12:13], v[110:111], v[82:83]
	;; [unrolled: 1-line block ×3, first 2 shown]
	s_waitcnt lgkmcnt(2)
	v_mul_f64 v[18:19], v[244:245], v[102:103]
	v_mul_f64 v[82:83], v[112:113], v[82:83]
	;; [unrolled: 1-line block ×4, first 2 shown]
	v_fma_f64 v[232:233], v[114:115], v[92:93], -v[90:91]
	s_waitcnt lgkmcnt(1)
	v_mul_f64 v[20:21], v[248:249], v[106:107]
	v_fmac_f64_e32 v[20:21], v[250:251], v[108:109]
	v_fmac_f64_e32 v[10:11], v[100:101], v[80:81]
	v_add_f64 v[6:7], v[6:7], v[10:11]
	v_fmac_f64_e32 v[12:13], v[112:113], v[84:85]
	v_add_f64 v[6:7], v[6:7], v[12:13]
	;; [unrolled: 2-line block ×4, first 2 shown]
	v_add_f64 v[6:7], v[6:7], v[18:19]
	v_add_f64 v[10:11], v[6:7], v[20:21]
	ds_read_b128 v[6:9], v1 offset:1408
	s_waitcnt lgkmcnt(1)
	v_mul_f64 v[12:13], v[2:3], v[118:119]
	v_fmac_f64_e32 v[12:13], v[4:5], v[120:121]
	v_add_f64 v[14:15], v[10:11], v[12:13]
	ds_read_b128 v[10:13], v1 offset:1424
	s_waitcnt lgkmcnt(1)
	v_mul_f64 v[16:17], v[6:7], v[126:127]
	v_fmac_f64_e32 v[16:17], v[8:9], v[128:129]
	;; [unrolled: 5-line block ×5, first 2 shown]
	v_add_f64 v[30:31], v[26:27], v[28:29]
	ds_read_b128 v[26:29], v1 offset:1488
	s_waitcnt vmcnt(58) lgkmcnt(1)
	v_mul_f64 v[32:33], v[22:23], v[154:155]
	s_waitcnt vmcnt(56)
	v_fmac_f64_e32 v[32:33], v[24:25], v[158:159]
	v_add_f64 v[34:35], v[30:31], v[32:33]
	ds_read_b128 v[30:33], v1 offset:1504
	s_waitcnt lgkmcnt(1)
	v_mul_f64 v[36:37], v[26:27], v[134:135]
	v_fmac_f64_e32 v[36:37], v[28:29], v[136:137]
	v_add_f64 v[38:39], v[34:35], v[36:37]
	ds_read_b128 v[34:37], v1 offset:1520
	s_waitcnt vmcnt(50) lgkmcnt(1)
	v_mul_f64 v[40:41], v[30:31], v[162:163]
	s_waitcnt vmcnt(48)
	v_fmac_f64_e32 v[40:41], v[32:33], v[166:167]
	v_add_f64 v[42:43], v[38:39], v[40:41]
	ds_read_b128 v[38:41], v1 offset:1536
	s_waitcnt lgkmcnt(1)
	v_mul_f64 v[44:45], v[34:35], v[142:143]
	v_fmac_f64_e32 v[44:45], v[36:37], v[144:145]
	v_add_f64 v[46:47], v[42:43], v[44:45]
	ds_read_b128 v[42:45], v1 offset:1552
	s_waitcnt vmcnt(42) lgkmcnt(1)
	v_mul_f64 v[48:49], v[38:39], v[170:171]
	s_waitcnt vmcnt(40)
	v_fmac_f64_e32 v[48:49], v[40:41], v[174:175]
	v_add_f64 v[50:51], v[46:47], v[48:49]
	ds_read_b128 v[46:49], v1 offset:1568
	buffer_load_dword v203, off, s[0:3], 0 offset:828
	buffer_load_dword v202, off, s[0:3], 0 offset:824
	;; [unrolled: 1-line block ×4, first 2 shown]
	s_waitcnt lgkmcnt(1)
	v_mul_f64 v[52:53], v[42:43], v[146:147]
	v_fmac_f64_e32 v[52:53], v[44:45], v[148:149]
	v_add_f64 v[54:55], v[50:51], v[52:53]
	ds_read_b128 v[50:53], v1 offset:1584
	buffer_load_dword v207, off, s[0:3], 0 offset:844
	buffer_load_dword v206, off, s[0:3], 0 offset:840
	;; [unrolled: 1-line block ×8, first 2 shown]
	s_waitcnt vmcnt(46) lgkmcnt(1)
	v_mul_f64 v[56:57], v[46:47], v[178:179]
	s_waitcnt vmcnt(44)
	v_fmac_f64_e32 v[56:57], v[48:49], v[182:183]
	v_add_f64 v[58:59], v[54:55], v[56:57]
	ds_read_b128 v[54:57], v1 offset:1600
	buffer_load_dword v217, off, s[0:3], 0 offset:876
	buffer_load_dword v216, off, s[0:3], 0 offset:872
	;; [unrolled: 1-line block ×12, first 2 shown]
	s_waitcnt lgkmcnt(1)
	v_mul_f64 v[60:61], v[50:51], v[150:151]
	v_fmac_f64_e32 v[60:61], v[52:53], v[152:153]
	v_add_f64 v[62:63], v[58:59], v[60:61]
	ds_read_b128 v[58:61], v1 offset:1616
	s_waitcnt vmcnt(50) lgkmcnt(1)
	v_mul_f64 v[64:65], v[54:55], v[186:187]
	s_waitcnt vmcnt(48)
	v_fmac_f64_e32 v[64:65], v[56:57], v[188:189]
	v_add_f64 v[62:63], v[62:63], v[64:65]
	buffer_load_dword v237, off, s[0:3], 0 offset:924
	buffer_load_dword v236, off, s[0:3], 0 offset:920
	buffer_load_dword v239, off, s[0:3], 0 offset:916
	buffer_load_dword v238, off, s[0:3], 0 offset:912
	s_waitcnt lgkmcnt(0)
	v_mul_f64 v[64:65], v[58:59], v[156:157]
	v_fmac_f64_e32 v[64:65], v[60:61], v[160:161]
	v_add_f64 v[224:225], v[62:63], v[64:65]
	ds_read_b128 v[62:65], v1 offset:1632
	ds_read_b128 v[66:69], v1 offset:1648
	v_fma_f64 v[228:229], v[98:99], v[80:81], -v[78:79]
	ds_read_b128 v[78:81], v1 offset:1696
	v_fma_f64 v[230:231], v[110:111], v[84:85], -v[82:83]
	ds_read_b128 v[82:85], v1 offset:1712
	s_waitcnt vmcnt(46) lgkmcnt(3)
	v_mul_f64 v[74:75], v[62:63], v[190:191]
	s_waitcnt vmcnt(44)
	v_fmac_f64_e32 v[74:75], v[64:65], v[192:193]
	v_add_f64 v[74:75], v[224:225], v[74:75]
	v_fma_f64 v[224:225], v[86:87], v[70:71], -v[72:73]
	ds_read_b128 v[70:73], v1 offset:1664
	s_waitcnt lgkmcnt(3)
	v_mul_f64 v[76:77], v[66:67], v[164:165]
	v_fmac_f64_e32 v[76:77], v[68:69], v[168:169]
	v_add_f64 v[86:87], v[74:75], v[76:77]
	ds_read_b128 v[74:77], v1 offset:1680
	s_waitcnt vmcnt(38) lgkmcnt(1)
	v_mul_f64 v[88:89], v[70:71], v[194:195]
	s_waitcnt vmcnt(36)
	v_fmac_f64_e32 v[88:89], v[72:73], v[196:197]
	v_add_f64 v[86:87], v[86:87], v[88:89]
	ds_read_b128 v[90:93], v1 offset:1744
	s_waitcnt lgkmcnt(1)
	v_mul_f64 v[88:89], v[74:75], v[172:173]
	v_fmac_f64_e32 v[88:89], v[76:77], v[176:177]
	v_add_f64 v[86:87], v[86:87], v[88:89]
	s_waitcnt vmcnt(30)
	v_mul_f64 v[88:89], v[78:79], v[198:199]
	s_waitcnt vmcnt(28)
	v_fmac_f64_e32 v[88:89], v[80:81], v[200:201]
	v_add_f64 v[86:87], v[86:87], v[88:89]
	v_mul_f64 v[88:89], v[82:83], v[180:181]
	v_fmac_f64_e32 v[88:89], v[84:85], v[184:185]
	v_add_f64 v[98:99], v[86:87], v[88:89]
	ds_read_b128 v[86:89], v1 offset:1728
	v_mul_f64 v[94:95], v[242:243], v[94:95]
	v_fma_f64 v[252:253], v[240:241], v[96:97], -v[94:95]
	ds_read_b128 v[94:97], v1 offset:1760
	v_mul_f64 v[102:103], v[246:247], v[102:103]
	v_fma_f64 v[246:247], v[244:245], v[104:105], -v[102:103]
	;; [unrolled: 3-line block ×3, first 2 shown]
	v_add_f64 v[226:227], v[226:227], 0
	v_add_f64 v[224:225], v[226:227], v[224:225]
	v_add_f64 v[224:225], v[224:225], v[228:229]
	v_add_f64 v[224:225], v[224:225], v[230:231]
	v_add_f64 v[224:225], v[224:225], v[232:233]
	v_add_f64 v[224:225], v[224:225], v[252:253]
	v_add_f64 v[252:253], v[224:225], v[246:247]
	v_mul_f64 v[4:5], v[4:5], v[118:119]
	v_add_f64 v[224:225], v[252:253], v[250:251]
	v_fma_f64 v[2:3], v[2:3], v[120:121], -v[4:5]
	v_mul_f64 v[4:5], v[8:9], v[126:127]
	v_add_f64 v[2:3], v[224:225], v[2:3]
	v_fma_f64 v[4:5], v[6:7], v[128:129], -v[4:5]
	v_add_f64 v[2:3], v[2:3], v[4:5]
	ds_read_b128 v[106:109], v1 offset:1808
	v_mul_f64 v[4:5], v[12:13], v[122:123]
	v_fma_f64 v[4:5], v[10:11], v[124:125], -v[4:5]
	v_add_f64 v[2:3], v[2:3], v[4:5]
	s_waitcnt vmcnt(26) lgkmcnt(3)
	v_mul_f64 v[100:101], v[86:87], v[202:203]
	v_mul_f64 v[4:5], v[16:17], v[138:139]
	s_waitcnt vmcnt(24)
	v_fmac_f64_e32 v[100:101], v[88:89], v[204:205]
	v_add_f64 v[98:99], v[98:99], v[100:101]
	s_waitcnt vmcnt(22)
	v_mul_f64 v[100:101], v[90:91], v[206:207]
	s_waitcnt vmcnt(20)
	v_fmac_f64_e32 v[100:101], v[92:93], v[210:211]
	v_add_f64 v[98:99], v[98:99], v[100:101]
	s_waitcnt vmcnt(18) lgkmcnt(2)
	v_mul_f64 v[100:101], v[94:95], v[208:209]
	s_waitcnt vmcnt(16)
	v_fmac_f64_e32 v[100:101], v[96:97], v[212:213]
	v_add_f64 v[110:111], v[98:99], v[100:101]
	ds_read_b128 v[98:101], v1 offset:1776
	v_fma_f64 v[4:5], v[14:15], v[140:141], -v[4:5]
	v_add_f64 v[2:3], v[2:3], v[4:5]
	v_mul_f64 v[4:5], v[20:21], v[130:131]
	v_fma_f64 v[4:5], v[18:19], v[132:133], -v[4:5]
	s_waitcnt vmcnt(14) lgkmcnt(0)
	v_mul_f64 v[112:113], v[98:99], v[216:217]
	s_waitcnt vmcnt(12)
	v_fmac_f64_e32 v[112:113], v[100:101], v[218:219]
	v_add_f64 v[110:111], v[110:111], v[112:113]
	s_waitcnt vmcnt(9)
	v_mul_f64 v[112:113], v[102:103], v[222:223]
	s_waitcnt vmcnt(7)
	v_fmac_f64_e32 v[112:113], v[104:105], v[234:235]
	v_add_f64 v[110:111], v[110:111], v[112:113]
	s_waitcnt vmcnt(5)
	v_mul_f64 v[112:113], v[106:107], v[214:215]
	s_waitcnt vmcnt(4)
	v_fmac_f64_e32 v[112:113], v[108:109], v[220:221]
	v_add_f64 v[114:115], v[110:111], v[112:113]
	ds_read_b128 v[110:113], v1 offset:1824
	buffer_load_dword v242, off, s[0:3], 0 offset:936
	buffer_load_dword v243, off, s[0:3], 0 offset:940
	;; [unrolled: 1-line block ×4, first 2 shown]
	v_add_f64 v[2:3], v[2:3], v[4:5]
	v_mul_f64 v[4:5], v[24:25], v[154:155]
	v_fma_f64 v[4:5], v[22:23], v[158:159], -v[4:5]
	s_waitcnt vmcnt(6) lgkmcnt(0)
	v_mul_f64 v[116:117], v[110:111], v[236:237]
	s_waitcnt vmcnt(4)
	v_fmac_f64_e32 v[116:117], v[112:113], v[238:239]
	v_add_f64 v[240:241], v[114:115], v[116:117]
	ds_read_b128 v[114:117], v1 offset:1840
	v_add_f64 v[2:3], v[2:3], v[4:5]
	v_mul_f64 v[4:5], v[28:29], v[134:135]
	v_fma_f64 v[4:5], v[26:27], v[136:137], -v[4:5]
	v_add_f64 v[2:3], v[2:3], v[4:5]
	v_mul_f64 v[4:5], v[32:33], v[162:163]
	v_fma_f64 v[4:5], v[30:31], v[166:167], -v[4:5]
	v_add_f64 v[2:3], v[2:3], v[4:5]
	v_mul_f64 v[4:5], v[36:37], v[142:143]
	v_fma_f64 v[4:5], v[34:35], v[144:145], -v[4:5]
	v_add_f64 v[2:3], v[2:3], v[4:5]
	v_mul_f64 v[4:5], v[40:41], v[170:171]
	v_fma_f64 v[4:5], v[38:39], v[174:175], -v[4:5]
	v_add_f64 v[2:3], v[2:3], v[4:5]
	v_mul_f64 v[4:5], v[44:45], v[146:147]
	v_fma_f64 v[4:5], v[42:43], v[148:149], -v[4:5]
	v_add_f64 v[2:3], v[2:3], v[4:5]
	v_mul_f64 v[4:5], v[48:49], v[178:179]
	v_fma_f64 v[4:5], v[46:47], v[182:183], -v[4:5]
	v_add_f64 v[2:3], v[2:3], v[4:5]
	v_mul_f64 v[4:5], v[52:53], v[150:151]
	v_fma_f64 v[4:5], v[50:51], v[152:153], -v[4:5]
	v_add_f64 v[2:3], v[2:3], v[4:5]
	v_mul_f64 v[4:5], v[56:57], v[186:187]
	v_fma_f64 v[4:5], v[54:55], v[188:189], -v[4:5]
	v_add_f64 v[2:3], v[2:3], v[4:5]
	v_mul_f64 v[4:5], v[60:61], v[156:157]
	v_fma_f64 v[4:5], v[58:59], v[160:161], -v[4:5]
	v_add_f64 v[2:3], v[2:3], v[4:5]
	v_mul_f64 v[4:5], v[64:65], v[190:191]
	v_fma_f64 v[4:5], v[62:63], v[192:193], -v[4:5]
	v_add_f64 v[2:3], v[2:3], v[4:5]
	v_mul_f64 v[4:5], v[68:69], v[164:165]
	v_fma_f64 v[4:5], v[66:67], v[168:169], -v[4:5]
	v_add_f64 v[2:3], v[2:3], v[4:5]
	v_mul_f64 v[4:5], v[72:73], v[194:195]
	v_fma_f64 v[4:5], v[70:71], v[196:197], -v[4:5]
	v_add_f64 v[2:3], v[2:3], v[4:5]
	v_mul_f64 v[4:5], v[76:77], v[172:173]
	v_fma_f64 v[4:5], v[74:75], v[176:177], -v[4:5]
	v_add_f64 v[2:3], v[2:3], v[4:5]
	v_mul_f64 v[4:5], v[80:81], v[198:199]
	v_fma_f64 v[4:5], v[78:79], v[200:201], -v[4:5]
	v_add_f64 v[2:3], v[2:3], v[4:5]
	v_mul_f64 v[4:5], v[84:85], v[180:181]
	v_fma_f64 v[4:5], v[82:83], v[184:185], -v[4:5]
	v_add_f64 v[2:3], v[2:3], v[4:5]
	v_mul_f64 v[4:5], v[88:89], v[202:203]
	v_fma_f64 v[4:5], v[86:87], v[204:205], -v[4:5]
	v_add_f64 v[2:3], v[2:3], v[4:5]
	v_mul_f64 v[4:5], v[92:93], v[206:207]
	v_fma_f64 v[4:5], v[90:91], v[210:211], -v[4:5]
	v_add_f64 v[2:3], v[2:3], v[4:5]
	v_mul_f64 v[4:5], v[96:97], v[208:209]
	v_fma_f64 v[4:5], v[94:95], v[212:213], -v[4:5]
	v_add_f64 v[2:3], v[2:3], v[4:5]
	v_mul_f64 v[4:5], v[100:101], v[216:217]
	v_fma_f64 v[4:5], v[98:99], v[218:219], -v[4:5]
	v_add_f64 v[2:3], v[2:3], v[4:5]
	v_mul_f64 v[4:5], v[104:105], v[222:223]
	v_fma_f64 v[4:5], v[102:103], v[234:235], -v[4:5]
	v_add_f64 v[2:3], v[2:3], v[4:5]
	v_mul_f64 v[4:5], v[108:109], v[214:215]
	v_fma_f64 v[4:5], v[106:107], v[220:221], -v[4:5]
	v_add_f64 v[2:3], v[2:3], v[4:5]
	v_mul_f64 v[4:5], v[112:113], v[236:237]
	v_fma_f64 v[4:5], v[110:111], v[238:239], -v[4:5]
	v_add_f64 v[2:3], v[2:3], v[4:5]
	s_waitcnt vmcnt(2) lgkmcnt(0)
	v_mul_f64 v[248:249], v[114:115], v[242:243]
	v_mul_f64 v[4:5], v[116:117], v[242:243]
	s_waitcnt vmcnt(0)
	v_fmac_f64_e32 v[248:249], v[116:117], v[244:245]
	v_add_f64 v[240:241], v[240:241], v[248:249]
	buffer_load_dword v248, off, s[0:3], 0 offset:336
	buffer_load_dword v249, off, s[0:3], 0 offset:340
	;; [unrolled: 1-line block ×4, first 2 shown]
	v_fma_f64 v[4:5], v[114:115], v[244:245], -v[4:5]
	v_add_f64 v[2:3], v[2:3], v[4:5]
	s_waitcnt vmcnt(2)
	v_add_f64 v[2:3], v[248:249], -v[2:3]
	s_waitcnt vmcnt(0)
	v_add_f64 v[4:5], v[246:247], -v[240:241]
	buffer_store_dword v3, off, s[0:3], 0 offset:340
	buffer_store_dword v2, off, s[0:3], 0 offset:336
	;; [unrolled: 1-line block ×4, first 2 shown]
	s_and_saveexec_b64 s[4:5], vcc
	s_cbranch_execz .LBB121_323
; %bb.322:
	v_accvgpr_read_b32 v5, a154
	buffer_load_dword v2, v5, s[0:3], 0 offen
	buffer_load_dword v3, v5, s[0:3], 0 offen offset:4
	buffer_load_dword v4, v5, s[0:3], 0 offen offset:8
	s_nop 0
	buffer_load_dword v5, v5, s[0:3], 0 offen offset:12
	v_accvgpr_read_b32 v6, a173
	buffer_store_dword v1, off, s[0:3], 0 offset:320
	buffer_store_dword v1, off, s[0:3], 0 offset:324
	;; [unrolled: 1-line block ×4, first 2 shown]
	s_waitcnt vmcnt(4)
	ds_write_b128 v6, v[2:5]
.LBB121_323:
	s_or_b64 exec, exec, s[4:5]
	s_waitcnt lgkmcnt(0)
	; wave barrier
	s_waitcnt lgkmcnt(0)
	buffer_load_dword v66, off, s[0:3], 0 offset:336
	buffer_load_dword v67, off, s[0:3], 0 offset:340
	;; [unrolled: 1-line block ×42, first 2 shown]
	ds_read_b128 v[78:81], v1 offset:1248
	ds_read_b128 v[90:93], v1 offset:1264
	;; [unrolled: 1-line block ×10, first 2 shown]
	buffer_load_dword v129, off, s[0:3], 0 offset:484
	buffer_load_dword v128, off, s[0:3], 0 offset:480
	ds_read_b128 v[6:9], v1 offset:1408
	buffer_load_dword v125, off, s[0:3], 0 offset:540
	buffer_load_dword v124, off, s[0:3], 0 offset:536
	;; [unrolled: 1-line block ×80, first 2 shown]
	v_cmp_lt_u32_e32 vcc, 18, v0
	s_waitcnt vmcnt(62) lgkmcnt(10)
	v_mul_f64 v[10:11], v[78:79], v[68:69]
	v_fmac_f64_e32 v[10:11], v[80:81], v[66:67]
	v_add_f64 v[10:11], v[10:11], 0
	v_mul_f64 v[68:69], v[80:81], v[68:69]
	s_waitcnt lgkmcnt(9)
	v_mul_f64 v[12:13], v[90:91], v[64:65]
	v_fmac_f64_e32 v[12:13], v[92:93], v[62:63]
	s_waitcnt lgkmcnt(8)
	v_mul_f64 v[14:15], v[102:103], v[70:71]
	v_add_f64 v[10:11], v[10:11], v[12:13]
	s_waitcnt lgkmcnt(6)
	v_mul_f64 v[18:19], v[114:115], v[82:83]
	v_mul_f64 v[64:65], v[92:93], v[64:65]
	v_fmac_f64_e32 v[18:19], v[116:117], v[84:85]
	v_fma_f64 v[228:229], v[90:91], v[62:63], -v[64:65]
	v_mul_f64 v[16:17], v[110:111], v[74:75]
	v_fma_f64 v[226:227], v[78:79], v[66:67], -v[68:69]
	s_waitcnt lgkmcnt(4)
	v_mul_f64 v[22:23], v[244:245], v[94:95]
	v_mul_f64 v[70:71], v[104:105], v[70:71]
	v_fmac_f64_e32 v[22:23], v[246:247], v[96:97]
	v_mul_f64 v[74:75], v[112:113], v[74:75]
	v_mul_f64 v[20:21], v[240:241], v[86:87]
	;; [unrolled: 1-line block ×3, first 2 shown]
	s_waitcnt lgkmcnt(2)
	v_mul_f64 v[26:27], v[252:253], v[106:107]
	v_fma_f64 v[232:233], v[114:115], v[84:85], -v[82:83]
	v_mul_f64 v[86:87], v[242:243], v[86:87]
	v_mul_f64 v[24:25], v[248:249], v[98:99]
	;; [unrolled: 1-line block ×3, first 2 shown]
	s_waitcnt lgkmcnt(1)
	v_mul_f64 v[28:29], v[118:119], v[4:5]
	v_fma_f64 v[246:247], v[244:245], v[96:97], -v[94:95]
	v_fmac_f64_e32 v[14:15], v[104:105], v[72:73]
	v_add_f64 v[10:11], v[10:11], v[14:15]
	v_fmac_f64_e32 v[16:17], v[112:113], v[76:77]
	v_add_f64 v[10:11], v[10:11], v[16:17]
	;; [unrolled: 2-line block ×3, first 2 shown]
	v_add_f64 v[10:11], v[10:11], v[20:21]
	v_fmac_f64_e32 v[24:25], v[250:251], v[100:101]
	v_add_f64 v[10:11], v[10:11], v[22:23]
	v_fmac_f64_e32 v[26:27], v[254:255], v[108:109]
	v_add_f64 v[10:11], v[10:11], v[24:25]
	v_add_f64 v[10:11], v[10:11], v[26:27]
	s_waitcnt lgkmcnt(0)
	v_mul_f64 v[16:17], v[6:7], v[2:3]
	v_fmac_f64_e32 v[28:29], v[120:121], v[128:129]
	v_add_f64 v[14:15], v[10:11], v[28:29]
	ds_read_b128 v[10:13], v1 offset:1424
	v_fmac_f64_e32 v[16:17], v[8:9], v[122:123]
	v_add_f64 v[18:19], v[14:15], v[16:17]
	ds_read_b128 v[14:17], v1 offset:1440
	v_fma_f64 v[230:231], v[110:111], v[76:77], -v[74:75]
	s_waitcnt lgkmcnt(1)
	v_mul_f64 v[20:21], v[10:11], v[130:131]
	v_fmac_f64_e32 v[20:21], v[12:13], v[146:147]
	v_add_f64 v[22:23], v[18:19], v[20:21]
	ds_read_b128 v[18:21], v1 offset:1456
	s_waitcnt lgkmcnt(1)
	v_mul_f64 v[24:25], v[14:15], v[124:125]
	v_fmac_f64_e32 v[24:25], v[16:17], v[126:127]
	v_add_f64 v[26:27], v[22:23], v[24:25]
	ds_read_b128 v[22:25], v1 offset:1472
	;; [unrolled: 5-line block ×4, first 2 shown]
	s_waitcnt vmcnt(58) lgkmcnt(1)
	v_mul_f64 v[36:37], v[26:27], v[158:159]
	s_waitcnt vmcnt(56)
	v_fmac_f64_e32 v[36:37], v[28:29], v[162:163]
	v_add_f64 v[38:39], v[34:35], v[36:37]
	ds_read_b128 v[34:37], v1 offset:1520
	s_waitcnt lgkmcnt(1)
	v_mul_f64 v[40:41], v[30:31], v[136:137]
	v_fmac_f64_e32 v[40:41], v[32:33], v[138:139]
	v_add_f64 v[42:43], v[38:39], v[40:41]
	ds_read_b128 v[38:41], v1 offset:1536
	s_waitcnt vmcnt(50) lgkmcnt(1)
	v_mul_f64 v[44:45], v[34:35], v[166:167]
	s_waitcnt vmcnt(48)
	v_fmac_f64_e32 v[44:45], v[36:37], v[170:171]
	v_add_f64 v[46:47], v[42:43], v[44:45]
	ds_read_b128 v[42:45], v1 offset:1552
	s_waitcnt lgkmcnt(1)
	v_mul_f64 v[48:49], v[38:39], v[140:141]
	v_fmac_f64_e32 v[48:49], v[40:41], v[142:143]
	v_add_f64 v[50:51], v[46:47], v[48:49]
	ds_read_b128 v[46:49], v1 offset:1568
	s_waitcnt vmcnt(42) lgkmcnt(1)
	v_mul_f64 v[52:53], v[42:43], v[174:175]
	s_waitcnt vmcnt(40)
	v_fmac_f64_e32 v[52:53], v[44:45], v[178:179]
	v_add_f64 v[54:55], v[50:51], v[52:53]
	ds_read_b128 v[50:53], v1 offset:1584
	s_waitcnt lgkmcnt(1)
	v_mul_f64 v[56:57], v[46:47], v[144:145]
	buffer_load_dword v207, off, s[0:3], 0 offset:844
	buffer_load_dword v206, off, s[0:3], 0 offset:840
	;; [unrolled: 1-line block ×4, first 2 shown]
	v_fmac_f64_e32 v[56:57], v[48:49], v[148:149]
	v_add_f64 v[58:59], v[54:55], v[56:57]
	ds_read_b128 v[54:57], v1 offset:1600
	buffer_load_dword v212, off, s[0:3], 0 offset:856
	buffer_load_dword v214, off, s[0:3], 0 offset:848
	;; [unrolled: 1-line block ×16, first 2 shown]
	s_waitcnt vmcnt(54) lgkmcnt(1)
	v_mul_f64 v[60:61], v[50:51], v[182:183]
	s_waitcnt vmcnt(52)
	v_fmac_f64_e32 v[60:61], v[52:53], v[186:187]
	v_add_f64 v[224:225], v[58:59], v[60:61]
	ds_read_b128 v[58:61], v1 offset:1616
	buffer_load_dword v236, off, s[0:3], 0 offset:920
	buffer_load_dword v238, off, s[0:3], 0 offset:912
	;; [unrolled: 1-line block ×4, first 2 shown]
	ds_read_b128 v[62:65], v1 offset:1632
	s_waitcnt lgkmcnt(2)
	v_mul_f64 v[66:67], v[54:55], v[152:153]
	v_fmac_f64_e32 v[66:67], v[56:57], v[156:157]
	s_waitcnt vmcnt(50) lgkmcnt(1)
	v_mul_f64 v[68:69], v[58:59], v[190:191]
	v_add_f64 v[66:67], v[224:225], v[66:67]
	s_waitcnt vmcnt(48)
	v_fmac_f64_e32 v[68:69], v[60:61], v[192:193]
	v_add_f64 v[66:67], v[66:67], v[68:69]
	v_fma_f64 v[224:225], v[102:103], v[72:73], -v[70:71]
	ds_read_b128 v[70:73], v1 offset:1664
	s_waitcnt lgkmcnt(1)
	v_mul_f64 v[68:69], v[62:63], v[160:161]
	v_fmac_f64_e32 v[68:69], v[64:65], v[164:165]
	v_add_f64 v[78:79], v[66:67], v[68:69]
	ds_read_b128 v[66:69], v1 offset:1648
	ds_read_b128 v[74:77], v1 offset:1680
	;; [unrolled: 1-line block ×3, first 2 shown]
	v_accvgpr_write_b32 a175, v3
	v_accvgpr_write_b32 a174, v2
	s_waitcnt vmcnt(42) lgkmcnt(2)
	v_mul_f64 v[80:81], v[66:67], v[194:195]
	s_waitcnt vmcnt(40)
	v_fmac_f64_e32 v[80:81], v[68:69], v[196:197]
	v_add_f64 v[78:79], v[78:79], v[80:81]
	v_mul_f64 v[80:81], v[70:71], v[168:169]
	v_fmac_f64_e32 v[80:81], v[72:73], v[172:173]
	v_add_f64 v[90:91], v[78:79], v[80:81]
	ds_read_b128 v[78:81], v1 offset:1696
	s_waitcnt vmcnt(34) lgkmcnt(2)
	v_mul_f64 v[92:93], v[74:75], v[198:199]
	s_waitcnt vmcnt(32)
	v_fmac_f64_e32 v[92:93], v[76:77], v[200:201]
	v_fma_f64 v[2:3], v[240:241], v[88:89], -v[86:87]
	ds_read_b128 v[86:89], v1 offset:1728
	ds_read_b128 v[94:97], v1 offset:1760
	v_add_f64 v[90:91], v[90:91], v[92:93]
	s_waitcnt lgkmcnt(2)
	v_mul_f64 v[92:93], v[78:79], v[176:177]
	v_fmac_f64_e32 v[92:93], v[80:81], v[180:181]
	v_add_f64 v[90:91], v[90:91], v[92:93]
	s_waitcnt vmcnt(26)
	v_mul_f64 v[92:93], v[82:83], v[202:203]
	s_waitcnt vmcnt(24)
	v_fmac_f64_e32 v[92:93], v[84:85], v[204:205]
	v_add_f64 v[90:91], v[90:91], v[92:93]
	s_waitcnt lgkmcnt(1)
	v_mul_f64 v[92:93], v[86:87], v[184:185]
	v_fmac_f64_e32 v[92:93], v[88:89], v[188:189]
	v_add_f64 v[102:103], v[90:91], v[92:93]
	ds_read_b128 v[90:93], v1 offset:1744
	v_mul_f64 v[98:99], v[250:251], v[98:99]
	v_fma_f64 v[250:251], v[248:249], v[100:101], -v[98:99]
	ds_read_b128 v[98:101], v1 offset:1776
	v_mul_f64 v[106:107], v[254:255], v[106:107]
	v_fma_f64 v[252:253], v[252:253], v[108:109], -v[106:107]
	v_add_f64 v[226:227], v[226:227], 0
	v_add_f64 v[226:227], v[226:227], v[228:229]
	;; [unrolled: 1-line block ×8, first 2 shown]
	v_mul_f64 v[4:5], v[120:121], v[4:5]
	v_add_f64 v[2:3], v[2:3], v[252:253]
	v_fma_f64 v[4:5], v[118:119], v[128:129], -v[4:5]
	v_add_f64 v[2:3], v[2:3], v[4:5]
	v_accvgpr_read_b32 v4, a174
	v_accvgpr_read_b32 v5, a175
	v_mul_f64 v[4:5], v[8:9], v[4:5]
	ds_read_b128 v[106:109], v1 offset:1808
	v_fma_f64 v[4:5], v[6:7], v[122:123], -v[4:5]
	v_add_f64 v[2:3], v[2:3], v[4:5]
	v_mul_f64 v[4:5], v[12:13], v[130:131]
	v_fma_f64 v[4:5], v[10:11], v[146:147], -v[4:5]
	s_waitcnt vmcnt(13) lgkmcnt(1)
	v_mul_f64 v[112:113], v[98:99], v[216:217]
	v_add_f64 v[2:3], v[2:3], v[4:5]
	v_mul_f64 v[104:105], v[90:91], v[206:207]
	s_waitcnt vmcnt(11)
	v_fmac_f64_e32 v[112:113], v[100:101], v[222:223]
	v_fmac_f64_e32 v[104:105], v[92:93], v[208:209]
	v_add_f64 v[102:103], v[102:103], v[104:105]
	v_mul_f64 v[4:5], v[16:17], v[124:125]
	v_mul_f64 v[104:105], v[94:95], v[212:213]
	v_fmac_f64_e32 v[104:105], v[96:97], v[214:215]
	v_add_f64 v[110:111], v[102:103], v[104:105]
	ds_read_b128 v[102:105], v1 offset:1792
	v_add_f64 v[110:111], v[110:111], v[112:113]
	v_fma_f64 v[4:5], v[14:15], v[126:127], -v[4:5]
	v_add_f64 v[2:3], v[2:3], v[4:5]
	v_mul_f64 v[4:5], v[20:21], v[150:151]
	s_waitcnt vmcnt(10) lgkmcnt(0)
	v_mul_f64 v[112:113], v[102:103], v[210:211]
	s_waitcnt vmcnt(8)
	v_fmac_f64_e32 v[112:113], v[104:105], v[220:221]
	v_add_f64 v[110:111], v[110:111], v[112:113]
	s_waitcnt vmcnt(6)
	v_mul_f64 v[112:113], v[106:107], v[218:219]
	s_waitcnt vmcnt(4)
	v_fmac_f64_e32 v[112:113], v[108:109], v[234:235]
	v_add_f64 v[114:115], v[110:111], v[112:113]
	ds_read_b128 v[110:113], v1 offset:1824
	buffer_load_dword v243, off, s[0:3], 0 offset:940
	buffer_load_dword v242, off, s[0:3], 0 offset:936
	;; [unrolled: 1-line block ×4, first 2 shown]
	v_fma_f64 v[4:5], v[18:19], v[154:155], -v[4:5]
	v_add_f64 v[2:3], v[2:3], v[4:5]
	v_mul_f64 v[4:5], v[24:25], v[132:133]
	s_waitcnt vmcnt(5) lgkmcnt(0)
	v_mul_f64 v[116:117], v[110:111], v[236:237]
	s_waitcnt vmcnt(4)
	v_fmac_f64_e32 v[116:117], v[112:113], v[238:239]
	v_add_f64 v[240:241], v[114:115], v[116:117]
	ds_read_b128 v[114:117], v1 offset:1840
	v_fma_f64 v[4:5], v[22:23], v[134:135], -v[4:5]
	v_add_f64 v[2:3], v[2:3], v[4:5]
	v_mul_f64 v[4:5], v[28:29], v[158:159]
	v_fma_f64 v[4:5], v[26:27], v[162:163], -v[4:5]
	v_add_f64 v[2:3], v[2:3], v[4:5]
	v_mul_f64 v[4:5], v[32:33], v[136:137]
	;; [unrolled: 3-line block ×22, first 2 shown]
	v_fma_f64 v[4:5], v[110:111], v[238:239], -v[4:5]
	v_add_f64 v[2:3], v[2:3], v[4:5]
	s_waitcnt vmcnt(2) lgkmcnt(0)
	v_mul_f64 v[248:249], v[114:115], v[242:243]
	v_mul_f64 v[4:5], v[116:117], v[242:243]
	s_waitcnt vmcnt(0)
	v_fmac_f64_e32 v[248:249], v[116:117], v[244:245]
	v_add_f64 v[240:241], v[240:241], v[248:249]
	buffer_load_dword v248, off, s[0:3], 0 offset:320
	buffer_load_dword v249, off, s[0:3], 0 offset:324
	;; [unrolled: 1-line block ×4, first 2 shown]
	v_fma_f64 v[4:5], v[114:115], v[244:245], -v[4:5]
	v_add_f64 v[2:3], v[2:3], v[4:5]
	s_waitcnt vmcnt(2)
	v_add_f64 v[2:3], v[248:249], -v[2:3]
	s_waitcnt vmcnt(0)
	v_add_f64 v[4:5], v[246:247], -v[240:241]
	buffer_store_dword v3, off, s[0:3], 0 offset:324
	buffer_store_dword v2, off, s[0:3], 0 offset:320
	;; [unrolled: 1-line block ×4, first 2 shown]
	s_and_saveexec_b64 s[4:5], vcc
	s_cbranch_execz .LBB121_325
; %bb.324:
	v_accvgpr_read_b32 v1, a155
	buffer_load_dword v2, v1, s[0:3], 0 offen
	buffer_load_dword v3, v1, s[0:3], 0 offen offset:4
	buffer_load_dword v4, v1, s[0:3], 0 offen offset:8
	;; [unrolled: 1-line block ×3, first 2 shown]
	v_mov_b32_e32 v1, 0
	v_accvgpr_read_b32 v6, a173
	buffer_store_dword v1, off, s[0:3], 0 offset:304
	buffer_store_dword v1, off, s[0:3], 0 offset:308
	;; [unrolled: 1-line block ×4, first 2 shown]
	s_waitcnt vmcnt(4)
	ds_write_b128 v6, v[2:5]
.LBB121_325:
	s_or_b64 exec, exec, s[4:5]
	s_waitcnt lgkmcnt(0)
	; wave barrier
	s_waitcnt lgkmcnt(0)
	buffer_load_dword v54, off, s[0:3], 0 offset:320
	buffer_load_dword v55, off, s[0:3], 0 offset:324
	;; [unrolled: 1-line block ×49, first 2 shown]
	v_mov_b32_e32 v1, 0
	ds_read_b128 v[62:65], v1 offset:1232
	ds_read_b128 v[74:77], v1 offset:1248
	;; [unrolled: 1-line block ×11, first 2 shown]
	buffer_load_dword v126, off, s[0:3], 0 offset:504
	buffer_load_dword v143, off, s[0:3], 0 offset:500
	;; [unrolled: 1-line block ×75, first 2 shown]
	v_cmp_lt_u32_e32 vcc, 17, v0
	s_waitcnt vmcnt(62) lgkmcnt(10)
	v_mul_f64 v[6:7], v[62:63], v[56:57]
	v_fmac_f64_e32 v[6:7], v[64:65], v[54:55]
	v_add_f64 v[6:7], v[6:7], 0
	v_mul_f64 v[56:57], v[64:65], v[56:57]
	s_waitcnt lgkmcnt(9)
	v_mul_f64 v[8:9], v[74:75], v[60:61]
	v_fmac_f64_e32 v[8:9], v[76:77], v[58:59]
	s_waitcnt lgkmcnt(8)
	v_mul_f64 v[10:11], v[86:87], v[66:67]
	v_add_f64 v[6:7], v[6:7], v[8:9]
	s_waitcnt lgkmcnt(6)
	v_mul_f64 v[14:15], v[110:111], v[78:79]
	v_fma_f64 v[226:227], v[62:63], v[54:55], -v[56:57]
	v_fmac_f64_e32 v[14:15], v[112:113], v[80:81]
	v_mul_f64 v[60:61], v[76:77], v[60:61]
	v_mul_f64 v[12:13], v[98:99], v[70:71]
	v_fma_f64 v[228:229], v[74:75], v[58:59], -v[60:61]
	s_waitcnt lgkmcnt(4)
	v_mul_f64 v[18:19], v[236:237], v[90:91]
	v_mul_f64 v[66:67], v[88:89], v[66:67]
	v_fmac_f64_e32 v[18:19], v[238:239], v[92:93]
	v_mul_f64 v[70:71], v[100:101], v[70:71]
	v_mul_f64 v[16:17], v[114:115], v[82:83]
	;; [unrolled: 1-line block ×3, first 2 shown]
	s_waitcnt lgkmcnt(2)
	v_mul_f64 v[22:23], v[244:245], v[102:103]
	v_fma_f64 v[232:233], v[110:111], v[80:81], -v[78:79]
	v_mul_f64 v[82:83], v[116:117], v[82:83]
	v_mul_f64 v[20:21], v[240:241], v[94:95]
	;; [unrolled: 1-line block ×3, first 2 shown]
	s_waitcnt lgkmcnt(1)
	v_mul_f64 v[24:25], v[248:249], v[106:107]
	v_fma_f64 v[254:255], v[236:237], v[92:93], -v[90:91]
	v_fmac_f64_e32 v[10:11], v[88:89], v[68:69]
	v_add_f64 v[6:7], v[6:7], v[10:11]
	v_fmac_f64_e32 v[12:13], v[100:101], v[72:73]
	v_add_f64 v[6:7], v[6:7], v[12:13]
	;; [unrolled: 2-line block ×3, first 2 shown]
	v_add_f64 v[6:7], v[6:7], v[16:17]
	v_fmac_f64_e32 v[20:21], v[242:243], v[96:97]
	v_add_f64 v[6:7], v[6:7], v[18:19]
	v_fmac_f64_e32 v[22:23], v[246:247], v[104:105]
	v_add_f64 v[6:7], v[6:7], v[20:21]
	v_add_f64 v[6:7], v[6:7], v[22:23]
	v_fmac_f64_e32 v[24:25], v[250:251], v[108:109]
	v_add_f64 v[10:11], v[6:7], v[24:25]
	ds_read_b128 v[6:9], v1 offset:1408
	s_waitcnt lgkmcnt(1)
	v_mul_f64 v[12:13], v[118:119], v[4:5]
	v_fmac_f64_e32 v[12:13], v[120:121], v[2:3]
	v_add_f64 v[14:15], v[10:11], v[12:13]
	ds_read_b128 v[10:13], v1 offset:1424
	s_waitcnt lgkmcnt(1)
	v_mul_f64 v[16:17], v[6:7], v[126:127]
	;; [unrolled: 5-line block ×5, first 2 shown]
	v_fmac_f64_e32 v[28:29], v[20:21], v[130:131]
	v_add_f64 v[30:31], v[26:27], v[28:29]
	ds_read_b128 v[26:29], v1 offset:1488
	s_waitcnt vmcnt(58) lgkmcnt(1)
	v_mul_f64 v[32:33], v[22:23], v[154:155]
	s_waitcnt vmcnt(56)
	v_fmac_f64_e32 v[32:33], v[24:25], v[158:159]
	v_add_f64 v[34:35], v[30:31], v[32:33]
	ds_read_b128 v[30:33], v1 offset:1504
	s_waitcnt lgkmcnt(1)
	v_mul_f64 v[36:37], v[26:27], v[132:133]
	v_fmac_f64_e32 v[36:37], v[28:29], v[134:135]
	v_add_f64 v[38:39], v[34:35], v[36:37]
	ds_read_b128 v[34:37], v1 offset:1520
	s_waitcnt vmcnt(50) lgkmcnt(1)
	v_mul_f64 v[40:41], v[30:31], v[162:163]
	s_waitcnt vmcnt(48)
	v_fmac_f64_e32 v[40:41], v[32:33], v[166:167]
	v_add_f64 v[42:43], v[38:39], v[40:41]
	ds_read_b128 v[38:41], v1 offset:1536
	s_waitcnt lgkmcnt(1)
	v_mul_f64 v[44:45], v[34:35], v[136:137]
	;; [unrolled: 11-line block ×3, first 2 shown]
	buffer_load_dword v203, off, s[0:3], 0 offset:828
	buffer_load_dword v202, off, s[0:3], 0 offset:824
	;; [unrolled: 1-line block ×4, first 2 shown]
	v_fmac_f64_e32 v[52:53], v[44:45], v[144:145]
	v_add_f64 v[210:211], v[50:51], v[52:53]
	ds_read_b128 v[50:53], v1 offset:1584
	buffer_load_dword v206, off, s[0:3], 0 offset:840
	buffer_load_dword v208, off, s[0:3], 0 offset:832
	;; [unrolled: 1-line block ×4, first 2 shown]
	s_waitcnt vmcnt(42) lgkmcnt(1)
	v_mul_f64 v[212:213], v[46:47], v[178:179]
	s_waitcnt vmcnt(40)
	v_fmac_f64_e32 v[212:213], v[48:49], v[182:183]
	v_add_f64 v[224:225], v[210:211], v[212:213]
	buffer_load_dword v213, off, s[0:3], 0 offset:860
	buffer_load_dword v212, off, s[0:3], 0 offset:856
	;; [unrolled: 1-line block ×16, first 2 shown]
	ds_read_b128 v[54:57], v1 offset:1600
	ds_read_b128 v[58:61], v1 offset:1616
	s_waitcnt lgkmcnt(2)
	v_mul_f64 v[62:63], v[50:51], v[148:149]
	v_fmac_f64_e32 v[62:63], v[52:53], v[152:153]
	v_add_f64 v[62:63], v[224:225], v[62:63]
	s_waitcnt vmcnt(50) lgkmcnt(1)
	v_mul_f64 v[64:65], v[54:55], v[186:187]
	s_waitcnt vmcnt(48)
	v_fmac_f64_e32 v[64:65], v[56:57], v[188:189]
	v_add_f64 v[62:63], v[62:63], v[64:65]
	s_waitcnt lgkmcnt(0)
	v_mul_f64 v[64:65], v[58:59], v[156:157]
	v_fmac_f64_e32 v[64:65], v[60:61], v[160:161]
	v_add_f64 v[74:75], v[62:63], v[64:65]
	ds_read_b128 v[62:65], v1 offset:1632
	v_fma_f64 v[224:225], v[86:87], v[68:69], -v[66:67]
	ds_read_b128 v[66:69], v1 offset:1648
	v_fma_f64 v[230:231], v[98:99], v[72:73], -v[70:71]
	ds_read_b128 v[70:73], v1 offset:1664
	s_waitcnt vmcnt(42) lgkmcnt(2)
	v_mul_f64 v[76:77], v[62:63], v[190:191]
	s_waitcnt vmcnt(40)
	v_fmac_f64_e32 v[76:77], v[64:65], v[192:193]
	v_add_f64 v[74:75], v[74:75], v[76:77]
	s_waitcnt lgkmcnt(1)
	v_mul_f64 v[76:77], v[66:67], v[164:165]
	v_fmac_f64_e32 v[76:77], v[68:69], v[168:169]
	v_add_f64 v[86:87], v[74:75], v[76:77]
	ds_read_b128 v[74:77], v1 offset:1680
	ds_read_b128 v[78:81], v1 offset:1696
	s_waitcnt vmcnt(34) lgkmcnt(2)
	v_mul_f64 v[88:89], v[70:71], v[194:195]
	s_waitcnt vmcnt(32)
	v_fmac_f64_e32 v[88:89], v[72:73], v[196:197]
	v_fma_f64 v[252:253], v[114:115], v[84:85], -v[82:83]
	ds_read_b128 v[82:85], v1 offset:1712
	v_add_f64 v[86:87], v[86:87], v[88:89]
	s_waitcnt lgkmcnt(2)
	v_mul_f64 v[88:89], v[74:75], v[172:173]
	v_fmac_f64_e32 v[88:89], v[76:77], v[176:177]
	v_add_f64 v[86:87], v[86:87], v[88:89]
	s_waitcnt vmcnt(26) lgkmcnt(1)
	v_mul_f64 v[88:89], v[78:79], v[198:199]
	s_waitcnt vmcnt(24)
	v_fmac_f64_e32 v[88:89], v[80:81], v[200:201]
	v_add_f64 v[86:87], v[86:87], v[88:89]
	s_waitcnt lgkmcnt(0)
	v_mul_f64 v[88:89], v[82:83], v[180:181]
	v_fmac_f64_e32 v[88:89], v[84:85], v[184:185]
	v_add_f64 v[98:99], v[86:87], v[88:89]
	ds_read_b128 v[86:89], v1 offset:1728
	ds_read_b128 v[90:93], v1 offset:1744
	v_accvgpr_write_b32 a175, v3
	v_mul_f64 v[94:95], v[242:243], v[94:95]
	v_accvgpr_write_b32 a174, v2
	v_fma_f64 v[2:3], v[240:241], v[96:97], -v[94:95]
	ds_read_b128 v[94:97], v1 offset:1760
	v_mul_f64 v[102:103], v[246:247], v[102:103]
	v_fma_f64 v[246:247], v[244:245], v[104:105], -v[102:103]
	ds_read_b128 v[102:105], v1 offset:1792
	v_mul_f64 v[106:107], v[250:251], v[106:107]
	v_fma_f64 v[250:251], v[248:249], v[108:109], -v[106:107]
	ds_read_b128 v[106:109], v1 offset:1808
	v_add_f64 v[226:227], v[226:227], 0
	v_add_f64 v[226:227], v[226:227], v[228:229]
	;; [unrolled: 1-line block ×9, first 2 shown]
	v_mul_f64 v[4:5], v[120:121], v[4:5]
	v_accvgpr_read_b32 v120, a174
	v_accvgpr_read_b32 v121, a175
	v_add_f64 v[2:3], v[252:253], v[250:251]
	v_fma_f64 v[4:5], v[118:119], v[120:121], -v[4:5]
	v_add_f64 v[2:3], v[2:3], v[4:5]
	v_mul_f64 v[4:5], v[8:9], v[126:127]
	v_fma_f64 v[4:5], v[6:7], v[142:143], -v[4:5]
	s_waitcnt vmcnt(22) lgkmcnt(4)
	v_mul_f64 v[100:101], v[86:87], v[202:203]
	v_add_f64 v[2:3], v[2:3], v[4:5]
	s_waitcnt vmcnt(20)
	v_fmac_f64_e32 v[100:101], v[88:89], v[204:205]
	v_add_f64 v[98:99], v[98:99], v[100:101]
	v_mul_f64 v[4:5], v[12:13], v[122:123]
	s_waitcnt vmcnt(17) lgkmcnt(3)
	v_mul_f64 v[100:101], v[90:91], v[206:207]
	s_waitcnt vmcnt(16)
	v_fmac_f64_e32 v[100:101], v[92:93], v[208:209]
	v_add_f64 v[110:111], v[98:99], v[100:101]
	ds_read_b128 v[98:101], v1 offset:1776
	s_waitcnt vmcnt(14) lgkmcnt(3)
	v_mul_f64 v[112:113], v[94:95], v[212:213]
	s_waitcnt vmcnt(12)
	v_fmac_f64_e32 v[112:113], v[96:97], v[216:217]
	buffer_load_dword v237, off, s[0:3], 0 offset:924
	buffer_load_dword v236, off, s[0:3], 0 offset:920
	;; [unrolled: 1-line block ×4, first 2 shown]
	v_add_f64 v[110:111], v[110:111], v[112:113]
	s_waitcnt vmcnt(14) lgkmcnt(0)
	v_mul_f64 v[112:113], v[98:99], v[214:215]
	s_waitcnt vmcnt(12)
	v_fmac_f64_e32 v[112:113], v[100:101], v[218:219]
	v_add_f64 v[110:111], v[110:111], v[112:113]
	s_waitcnt vmcnt(9)
	v_mul_f64 v[112:113], v[102:103], v[222:223]
	s_waitcnt vmcnt(7)
	v_fmac_f64_e32 v[112:113], v[104:105], v[234:235]
	v_add_f64 v[110:111], v[110:111], v[112:113]
	s_waitcnt vmcnt(5)
	v_mul_f64 v[112:113], v[106:107], v[210:211]
	s_waitcnt vmcnt(4)
	v_fmac_f64_e32 v[112:113], v[108:109], v[220:221]
	v_add_f64 v[114:115], v[110:111], v[112:113]
	ds_read_b128 v[110:113], v1 offset:1824
	buffer_load_dword v242, off, s[0:3], 0 offset:936
	buffer_load_dword v243, off, s[0:3], 0 offset:940
	;; [unrolled: 1-line block ×4, first 2 shown]
	v_fma_f64 v[4:5], v[10:11], v[124:125], -v[4:5]
	v_add_f64 v[2:3], v[2:3], v[4:5]
	v_mul_f64 v[4:5], v[16:17], v[146:147]
	v_fma_f64 v[4:5], v[14:15], v[150:151], -v[4:5]
	v_add_f64 v[2:3], v[2:3], v[4:5]
	v_mul_f64 v[4:5], v[20:21], v[128:129]
	;; [unrolled: 3-line block ×21, first 2 shown]
	v_fma_f64 v[4:5], v[94:95], v[216:217], -v[4:5]
	v_add_f64 v[2:3], v[2:3], v[4:5]
	s_waitcnt vmcnt(6) lgkmcnt(0)
	v_mul_f64 v[116:117], v[110:111], v[236:237]
	v_mul_f64 v[4:5], v[100:101], v[214:215]
	s_waitcnt vmcnt(4)
	v_fmac_f64_e32 v[116:117], v[112:113], v[238:239]
	v_add_f64 v[240:241], v[114:115], v[116:117]
	ds_read_b128 v[114:117], v1 offset:1840
	v_fma_f64 v[4:5], v[98:99], v[218:219], -v[4:5]
	v_add_f64 v[2:3], v[2:3], v[4:5]
	v_mul_f64 v[4:5], v[104:105], v[222:223]
	v_fma_f64 v[4:5], v[102:103], v[234:235], -v[4:5]
	v_add_f64 v[2:3], v[2:3], v[4:5]
	v_mul_f64 v[4:5], v[108:109], v[210:211]
	v_fma_f64 v[4:5], v[106:107], v[220:221], -v[4:5]
	s_waitcnt vmcnt(2) lgkmcnt(0)
	v_mul_f64 v[248:249], v[114:115], v[242:243]
	v_add_f64 v[2:3], v[2:3], v[4:5]
	s_waitcnt vmcnt(0)
	v_fmac_f64_e32 v[248:249], v[116:117], v[244:245]
	v_add_f64 v[240:241], v[240:241], v[248:249]
	buffer_load_dword v248, off, s[0:3], 0 offset:304
	buffer_load_dword v249, off, s[0:3], 0 offset:308
	;; [unrolled: 1-line block ×4, first 2 shown]
	v_mul_f64 v[4:5], v[112:113], v[236:237]
	v_fma_f64 v[4:5], v[110:111], v[238:239], -v[4:5]
	v_add_f64 v[2:3], v[2:3], v[4:5]
	v_mul_f64 v[4:5], v[116:117], v[242:243]
	v_fma_f64 v[4:5], v[114:115], v[244:245], -v[4:5]
	v_add_f64 v[2:3], v[2:3], v[4:5]
	s_waitcnt vmcnt(2)
	v_add_f64 v[2:3], v[248:249], -v[2:3]
	s_waitcnt vmcnt(0)
	v_add_f64 v[4:5], v[246:247], -v[240:241]
	buffer_store_dword v3, off, s[0:3], 0 offset:308
	buffer_store_dword v2, off, s[0:3], 0 offset:304
	;; [unrolled: 1-line block ×4, first 2 shown]
	s_and_saveexec_b64 s[4:5], vcc
	s_cbranch_execz .LBB121_327
; %bb.326:
	v_accvgpr_read_b32 v5, a156
	buffer_load_dword v2, v5, s[0:3], 0 offen
	buffer_load_dword v3, v5, s[0:3], 0 offen offset:4
	buffer_load_dword v4, v5, s[0:3], 0 offen offset:8
	s_nop 0
	buffer_load_dword v5, v5, s[0:3], 0 offen offset:12
	v_accvgpr_read_b32 v6, a173
	buffer_store_dword v1, off, s[0:3], 0 offset:288
	buffer_store_dword v1, off, s[0:3], 0 offset:292
	;; [unrolled: 1-line block ×4, first 2 shown]
	s_waitcnt vmcnt(4)
	ds_write_b128 v6, v[2:5]
.LBB121_327:
	s_or_b64 exec, exec, s[4:5]
	s_waitcnt lgkmcnt(0)
	; wave barrier
	s_waitcnt lgkmcnt(0)
	buffer_load_dword v56, off, s[0:3], 0 offset:304
	buffer_load_dword v57, off, s[0:3], 0 offset:308
	buffer_load_dword v60, off, s[0:3], 0 offset:312
	buffer_load_dword v61, off, s[0:3], 0 offset:316
	buffer_load_dword v54, off, s[0:3], 0 offset:320
	buffer_load_dword v55, off, s[0:3], 0 offset:324
	buffer_load_dword v62, off, s[0:3], 0 offset:328
	buffer_load_dword v63, off, s[0:3], 0 offset:332
	buffer_load_dword v58, off, s[0:3], 0 offset:344
	buffer_load_dword v59, off, s[0:3], 0 offset:348
	buffer_load_dword v71, off, s[0:3], 0 offset:380
	buffer_load_dword v70, off, s[0:3], 0 offset:376
	buffer_load_dword v73, off, s[0:3], 0 offset:372
	buffer_load_dword v72, off, s[0:3], 0 offset:368
	buffer_load_dword v65, off, s[0:3], 0 offset:364
	buffer_load_dword v64, off, s[0:3], 0 offset:360
	buffer_load_dword v83, off, s[0:3], 0 offset:412
	buffer_load_dword v82, off, s[0:3], 0 offset:408
	buffer_load_dword v85, off, s[0:3], 0 offset:404
	buffer_load_dword v84, off, s[0:3], 0 offset:400
	buffer_load_dword v75, off, s[0:3], 0 offset:396
	buffer_load_dword v74, off, s[0:3], 0 offset:392
	buffer_load_dword v95, off, s[0:3], 0 offset:444
	buffer_load_dword v94, off, s[0:3], 0 offset:440
	buffer_load_dword v96, off, s[0:3], 0 offset:432
	buffer_load_dword v87, off, s[0:3], 0 offset:428
	buffer_load_dword v86, off, s[0:3], 0 offset:424
	buffer_load_dword v103, off, s[0:3], 0 offset:460
	buffer_load_dword v102, off, s[0:3], 0 offset:456
	buffer_load_dword v68, off, s[0:3], 0 offset:336
	buffer_load_dword v69, off, s[0:3], 0 offset:340
	buffer_load_dword v67, off, s[0:3], 0 offset:356
	buffer_load_dword v66, off, s[0:3], 0 offset:352
	buffer_load_dword v77, off, s[0:3], 0 offset:388
	buffer_load_dword v76, off, s[0:3], 0 offset:384
	buffer_load_dword v89, off, s[0:3], 0 offset:420
	buffer_load_dword v88, off, s[0:3], 0 offset:416
	buffer_load_dword v97, off, s[0:3], 0 offset:436
	buffer_load_dword v110, off, s[0:3], 0 offset:472
	buffer_load_dword v112, off, s[0:3], 0 offset:464
	buffer_load_dword v113, off, s[0:3], 0 offset:468
	buffer_load_dword v111, off, s[0:3], 0 offset:476
	ds_read_b128 v[78:81], v1 offset:1216
	ds_read_b128 v[90:93], v1 offset:1232
	;; [unrolled: 1-line block ×10, first 2 shown]
	buffer_load_dword v105, off, s[0:3], 0 offset:452
	buffer_load_dword v104, off, s[0:3], 0 offset:448
	ds_read_b128 v[106:109], v1 offset:1376
	buffer_load_dword v3, off, s[0:3], 0 offset:508
	buffer_load_dword v2, off, s[0:3], 0 offset:504
	v_cmp_lt_u32_e32 vcc, 16, v0
	s_waitcnt vmcnt(38) lgkmcnt(9)
	v_mul_f64 v[4:5], v[90:91], v[62:63]
	v_fmac_f64_e32 v[4:5], v[92:93], v[54:55]
	s_waitcnt vmcnt(36) lgkmcnt(8)
	v_mul_f64 v[6:7], v[114:115], v[58:59]
	v_mul_f64 v[58:59], v[116:117], v[58:59]
	s_waitcnt vmcnt(34) lgkmcnt(6)
	v_mul_f64 v[10:11], v[240:241], v[70:71]
	v_mul_f64 v[70:71], v[242:243], v[70:71]
	s_waitcnt vmcnt(32)
	v_fmac_f64_e32 v[10:11], v[242:243], v[72:73]
	v_fma_f64 v[240:241], v[240:241], v[72:73], -v[70:71]
	s_waitcnt vmcnt(30)
	v_mul_f64 v[8:9], v[236:237], v[64:65]
	s_waitcnt vmcnt(28) lgkmcnt(4)
	v_mul_f64 v[14:15], v[248:249], v[82:83]
	v_mul_f64 v[82:83], v[250:251], v[82:83]
	s_waitcnt vmcnt(26)
	v_fmac_f64_e32 v[14:15], v[250:251], v[84:85]
	v_fma_f64 v[248:249], v[248:249], v[84:85], -v[82:83]
	s_waitcnt vmcnt(24)
	v_mul_f64 v[12:13], v[244:245], v[74:75]
	v_mul_f64 v[74:75], v[246:247], v[74:75]
	s_waitcnt vmcnt(22) lgkmcnt(2)
	v_mul_f64 v[18:19], v[224:225], v[94:95]
	v_mul_f64 v[94:95], v[226:227], v[94:95]
	s_waitcnt vmcnt(19)
	v_mul_f64 v[16:17], v[252:253], v[86:87]
	v_mul_f64 v[86:87], v[254:255], v[86:87]
	s_waitcnt vmcnt(17) lgkmcnt(1)
	v_mul_f64 v[20:21], v[98:99], v[102:103]
	s_waitcnt vmcnt(15)
	v_fmac_f64_e32 v[6:7], v[116:117], v[68:69]
	s_waitcnt vmcnt(13)
	v_fmac_f64_e32 v[8:9], v[238:239], v[66:67]
	;; [unrolled: 2-line block ×3, first 2 shown]
	v_fma_f64 v[246:247], v[244:245], v[76:77], -v[74:75]
	s_waitcnt vmcnt(9)
	v_fmac_f64_e32 v[16:17], v[254:255], v[88:89]
	s_waitcnt vmcnt(8)
	v_fmac_f64_e32 v[18:19], v[226:227], v[96:97]
	v_fma_f64 v[254:255], v[252:253], v[88:89], -v[86:87]
	v_fma_f64 v[224:225], v[224:225], v[96:97], -v[94:95]
	s_waitcnt vmcnt(2)
	v_fmac_f64_e32 v[20:21], v[100:101], v[104:105]
	v_mul_f64 v[100:101], v[100:101], v[102:103]
	s_waitcnt vmcnt(0)
	v_pk_mov_b32 v[22:23], v[2:3], v[2:3] op_sel:[0,1]
	buffer_load_dword v3, off, s[0:3], 0 offset:500
	buffer_load_dword v2, off, s[0:3], 0 offset:496
	;; [unrolled: 1-line block ×78, first 2 shown]
	ds_read_b128 v[118:121], v1 offset:1392
	v_accvgpr_write_b32 a175, v23
	v_accvgpr_write_b32 a174, v22
	v_fma_f64 v[250:251], v[98:99], v[104:105], -v[100:101]
	s_waitcnt vmcnt(62)
	v_pk_mov_b32 v[24:25], v[2:3], v[2:3] op_sel:[0,1]
	v_mul_f64 v[2:3], v[78:79], v[60:61]
	v_fmac_f64_e32 v[2:3], v[80:81], v[56:57]
	v_add_f64 v[2:3], v[2:3], 0
	v_add_f64 v[2:3], v[2:3], v[4:5]
	v_add_f64 v[2:3], v[2:3], v[6:7]
	v_add_f64 v[2:3], v[2:3], v[8:9]
	v_add_f64 v[2:3], v[2:3], v[10:11]
	v_add_f64 v[2:3], v[2:3], v[12:13]
	v_add_f64 v[2:3], v[2:3], v[14:15]
	v_add_f64 v[2:3], v[2:3], v[16:17]
	v_add_f64 v[2:3], v[2:3], v[18:19]
	s_waitcnt lgkmcnt(1)
	v_mul_f64 v[8:9], v[106:107], v[110:111]
	v_add_f64 v[6:7], v[2:3], v[20:21]
	v_fmac_f64_e32 v[8:9], v[108:109], v[112:113]
	v_add_f64 v[10:11], v[6:7], v[8:9]
	ds_read_b128 v[6:9], v1 offset:1408
	s_waitcnt lgkmcnt(1)
	v_mul_f64 v[12:13], v[118:119], v[122:123]
	v_fmac_f64_e32 v[12:13], v[120:121], v[138:139]
	v_add_f64 v[14:15], v[10:11], v[12:13]
	ds_read_b128 v[10:13], v1 offset:1424
	s_waitcnt lgkmcnt(1)
	v_mul_f64 v[16:17], v[6:7], v[22:23]
	v_fmac_f64_e32 v[16:17], v[8:9], v[24:25]
	v_add_f64 v[18:19], v[14:15], v[16:17]
	ds_read_b128 v[14:17], v1 offset:1440
	s_waitcnt lgkmcnt(1)
	v_mul_f64 v[20:21], v[10:11], v[142:143]
	v_fmac_f64_e32 v[20:21], v[12:13], v[146:147]
	v_add_f64 v[22:23], v[18:19], v[20:21]
	ds_read_b128 v[18:21], v1 offset:1456
	v_accvgpr_write_b32 a177, v25
	v_accvgpr_write_b32 a176, v24
	s_waitcnt lgkmcnt(1)
	v_mul_f64 v[24:25], v[14:15], v[124:125]
	v_fmac_f64_e32 v[24:25], v[16:17], v[126:127]
	v_add_f64 v[26:27], v[22:23], v[24:25]
	ds_read_b128 v[22:25], v1 offset:1472
	s_waitcnt vmcnt(58) lgkmcnt(1)
	v_mul_f64 v[28:29], v[18:19], v[150:151]
	s_waitcnt vmcnt(56)
	v_fmac_f64_e32 v[28:29], v[20:21], v[154:155]
	v_add_f64 v[30:31], v[26:27], v[28:29]
	ds_read_b128 v[26:29], v1 offset:1488
	s_waitcnt lgkmcnt(1)
	v_mul_f64 v[32:33], v[22:23], v[128:129]
	v_fmac_f64_e32 v[32:33], v[24:25], v[130:131]
	v_add_f64 v[34:35], v[30:31], v[32:33]
	ds_read_b128 v[30:33], v1 offset:1504
	s_waitcnt vmcnt(50) lgkmcnt(1)
	v_mul_f64 v[36:37], v[26:27], v[158:159]
	s_waitcnt vmcnt(48)
	v_fmac_f64_e32 v[36:37], v[28:29], v[162:163]
	v_add_f64 v[38:39], v[34:35], v[36:37]
	ds_read_b128 v[34:37], v1 offset:1520
	;; [unrolled: 11-line block ×4, first 2 shown]
	buffer_load_dword v198, off, s[0:3], 0 offset:824
	buffer_load_dword v203, off, s[0:3], 0 offset:812
	;; [unrolled: 1-line block ×8, first 2 shown]
	s_waitcnt lgkmcnt(1)
	v_mul_f64 v[208:209], v[46:47], v[144:145]
	v_fmac_f64_e32 v[208:209], v[48:49], v[148:149]
	v_add_f64 v[228:229], v[206:207], v[208:209]
	buffer_load_dword v207, off, s[0:3], 0 offset:844
	buffer_load_dword v206, off, s[0:3], 0 offset:840
	;; [unrolled: 1-line block ×20, first 2 shown]
	v_mul_f64 v[60:61], v[80:81], v[60:61]
	s_waitcnt vmcnt(54) lgkmcnt(0)
	v_mul_f64 v[230:231], v[50:51], v[182:183]
	v_fma_f64 v[232:233], v[78:79], v[56:57], -v[60:61]
	v_mul_f64 v[56:57], v[92:93], v[62:63]
	v_fma_f64 v[2:3], v[90:91], v[54:55], -v[56:57]
	s_waitcnt vmcnt(52)
	v_fmac_f64_e32 v[230:231], v[52:53], v[184:185]
	ds_read_b128 v[54:57], v1 offset:1600
	v_add_f64 v[4:5], v[228:229], v[230:231]
	v_fma_f64 v[228:229], v[114:115], v[68:69], -v[58:59]
	ds_read_b128 v[58:61], v1 offset:1616
	v_mul_f64 v[62:63], v[238:239], v[64:65]
	v_fma_f64 v[230:231], v[236:237], v[66:67], -v[62:63]
	ds_read_b128 v[62:65], v1 offset:1632
	ds_read_b128 v[70:73], v1 offset:1664
	s_waitcnt lgkmcnt(3)
	v_mul_f64 v[68:69], v[54:55], v[152:153]
	v_fmac_f64_e32 v[68:69], v[56:57], v[156:157]
	s_waitcnt vmcnt(46) lgkmcnt(2)
	v_mul_f64 v[66:67], v[58:59], v[186:187]
	v_add_f64 v[4:5], v[4:5], v[68:69]
	s_waitcnt vmcnt(44)
	v_fmac_f64_e32 v[66:67], v[60:61], v[188:189]
	v_add_f64 v[4:5], v[4:5], v[66:67]
	s_waitcnt lgkmcnt(1)
	v_mul_f64 v[66:67], v[62:63], v[160:161]
	v_fmac_f64_e32 v[66:67], v[64:65], v[164:165]
	v_add_f64 v[4:5], v[4:5], v[66:67]
	ds_read_b128 v[66:69], v1 offset:1648
	ds_read_b128 v[74:77], v1 offset:1680
	;; [unrolled: 1-line block ×5, first 2 shown]
	s_waitcnt vmcnt(38) lgkmcnt(4)
	v_mul_f64 v[78:79], v[66:67], v[190:191]
	s_waitcnt vmcnt(36)
	v_fmac_f64_e32 v[78:79], v[68:69], v[192:193]
	v_add_f64 v[4:5], v[4:5], v[78:79]
	v_mul_f64 v[78:79], v[70:71], v[168:169]
	v_fmac_f64_e32 v[78:79], v[72:73], v[172:173]
	v_add_f64 v[4:5], v[4:5], v[78:79]
	s_waitcnt vmcnt(30) lgkmcnt(3)
	v_mul_f64 v[78:79], v[74:75], v[194:195]
	s_waitcnt vmcnt(28)
	v_fmac_f64_e32 v[78:79], v[76:77], v[196:197]
	v_add_f64 v[4:5], v[4:5], v[78:79]
	ds_read_b128 v[78:81], v1 offset:1696
	v_mul_f64 v[108:109], v[108:109], v[110:111]
	v_fma_f64 v[252:253], v[106:107], v[112:113], -v[108:109]
	v_mul_f64 v[120:121], v[120:121], v[122:123]
	v_fma_f64 v[118:119], v[118:119], v[138:139], -v[120:121]
	s_waitcnt lgkmcnt(0)
	v_mul_f64 v[90:91], v[78:79], v[176:177]
	v_fmac_f64_e32 v[90:91], v[80:81], v[180:181]
	v_add_f64 v[4:5], v[4:5], v[90:91]
	ds_read_b128 v[98:101], v1 offset:1776
	ds_read_b128 v[106:109], v1 offset:1808
	s_waitcnt vmcnt(25)
	v_mul_f64 v[90:91], v[82:83], v[202:203]
	s_waitcnt vmcnt(23)
	v_fmac_f64_e32 v[90:91], v[84:85], v[204:205]
	v_add_f64 v[4:5], v[4:5], v[90:91]
	s_waitcnt vmcnt(21)
	v_mul_f64 v[90:91], v[86:87], v[198:199]
	s_waitcnt vmcnt(20)
	v_fmac_f64_e32 v[90:91], v[88:89], v[200:201]
	v_add_f64 v[4:5], v[4:5], v[90:91]
	ds_read_b128 v[90:93], v1 offset:1744
	s_waitcnt vmcnt(14)
	v_mul_f64 v[102:103], v[94:95], v[212:213]
	s_waitcnt vmcnt(9) lgkmcnt(2)
	v_mul_f64 v[110:111], v[98:99], v[218:219]
	v_fmac_f64_e32 v[102:103], v[96:97], v[214:215]
	s_waitcnt vmcnt(7)
	v_fmac_f64_e32 v[110:111], v[100:101], v[222:223]
	s_waitcnt lgkmcnt(0)
	v_mul_f64 v[114:115], v[90:91], v[206:207]
	v_fmac_f64_e32 v[114:115], v[92:93], v[208:209]
	v_add_f64 v[4:5], v[4:5], v[114:115]
	v_add_f64 v[4:5], v[4:5], v[102:103]
	ds_read_b128 v[102:105], v1 offset:1792
	buffer_load_dword v236, off, s[0:3], 0 offset:920
	buffer_load_dword v237, off, s[0:3], 0 offset:924
	buffer_load_dword v238, off, s[0:3], 0 offset:912
	buffer_load_dword v239, off, s[0:3], 0 offset:916
	v_add_f64 v[4:5], v[4:5], v[110:111]
	s_waitcnt vmcnt(9) lgkmcnt(0)
	v_mul_f64 v[110:111], v[102:103], v[210:211]
	s_waitcnt vmcnt(8)
	v_fmac_f64_e32 v[110:111], v[104:105], v[216:217]
	v_add_f64 v[4:5], v[4:5], v[110:111]
	s_waitcnt vmcnt(6)
	v_mul_f64 v[110:111], v[106:107], v[220:221]
	s_waitcnt vmcnt(4)
	v_fmac_f64_e32 v[110:111], v[108:109], v[234:235]
	v_add_f64 v[4:5], v[4:5], v[110:111]
	ds_read_b128 v[110:113], v1 offset:1824
	buffer_load_dword v243, off, s[0:3], 0 offset:940
	buffer_load_dword v242, off, s[0:3], 0 offset:936
	buffer_load_dword v245, off, s[0:3], 0 offset:932
	buffer_load_dword v244, off, s[0:3], 0 offset:928
	s_waitcnt vmcnt(6) lgkmcnt(0)
	v_mul_f64 v[114:115], v[110:111], v[236:237]
	s_waitcnt vmcnt(4)
	v_fmac_f64_e32 v[114:115], v[112:113], v[238:239]
	v_add_f64 v[4:5], v[4:5], v[114:115]
	ds_read_b128 v[114:117], v1 offset:1840
	s_waitcnt vmcnt(2) lgkmcnt(0)
	v_mul_f64 v[226:227], v[114:115], v[242:243]
	s_waitcnt vmcnt(0)
	v_fmac_f64_e32 v[226:227], v[116:117], v[244:245]
	v_add_f64 v[4:5], v[4:5], v[226:227]
	v_add_f64 v[226:227], v[232:233], 0
	;; [unrolled: 1-line block ×8, first 2 shown]
	buffer_load_dword v248, off, s[0:3], 0 offset:288
	buffer_load_dword v249, off, s[0:3], 0 offset:292
	;; [unrolled: 1-line block ×4, first 2 shown]
	v_add_f64 v[2:3], v[2:3], v[254:255]
	v_add_f64 v[254:255], v[2:3], v[224:225]
	;; [unrolled: 1-line block ×5, first 2 shown]
	v_accvgpr_read_b32 v118, a174
	v_accvgpr_read_b32 v119, a175
	v_mul_f64 v[8:9], v[8:9], v[118:119]
	v_accvgpr_read_b32 v118, a176
	v_accvgpr_read_b32 v119, a177
	v_fma_f64 v[6:7], v[6:7], v[118:119], -v[8:9]
	v_add_f64 v[2:3], v[2:3], v[6:7]
	v_mul_f64 v[6:7], v[12:13], v[142:143]
	v_fma_f64 v[6:7], v[10:11], v[146:147], -v[6:7]
	v_add_f64 v[2:3], v[2:3], v[6:7]
	v_mul_f64 v[6:7], v[16:17], v[124:125]
	;; [unrolled: 3-line block ×27, first 2 shown]
	v_fma_f64 v[6:7], v[114:115], v[244:245], -v[6:7]
	v_add_f64 v[2:3], v[2:3], v[6:7]
	s_waitcnt vmcnt(2)
	v_add_f64 v[2:3], v[248:249], -v[2:3]
	s_waitcnt vmcnt(0)
	v_add_f64 v[4:5], v[246:247], -v[4:5]
	buffer_store_dword v3, off, s[0:3], 0 offset:292
	buffer_store_dword v2, off, s[0:3], 0 offset:288
	;; [unrolled: 1-line block ×4, first 2 shown]
	s_and_saveexec_b64 s[4:5], vcc
	s_cbranch_execz .LBB121_329
; %bb.328:
	v_accvgpr_read_b32 v1, a157
	buffer_load_dword v2, v1, s[0:3], 0 offen
	buffer_load_dword v3, v1, s[0:3], 0 offen offset:4
	buffer_load_dword v4, v1, s[0:3], 0 offen offset:8
	;; [unrolled: 1-line block ×3, first 2 shown]
	v_mov_b32_e32 v1, 0
	v_accvgpr_read_b32 v6, a173
	buffer_store_dword v1, off, s[0:3], 0 offset:272
	buffer_store_dword v1, off, s[0:3], 0 offset:276
	;; [unrolled: 1-line block ×4, first 2 shown]
	s_waitcnt vmcnt(4)
	ds_write_b128 v6, v[2:5]
.LBB121_329:
	s_or_b64 exec, exec, s[4:5]
	s_waitcnt lgkmcnt(0)
	; wave barrier
	s_waitcnt lgkmcnt(0)
	buffer_load_dword v54, off, s[0:3], 0 offset:288
	buffer_load_dword v55, off, s[0:3], 0 offset:292
	;; [unrolled: 1-line block ×46, first 2 shown]
	v_mov_b32_e32 v1, 0
	v_cmp_lt_u32_e32 vcc, 15, v0
	s_waitcnt vmcnt(0)
	v_pk_mov_b32 v[22:23], v[2:3], v[2:3] op_sel:[0,1]
	buffer_load_dword v3, off, s[0:3], 0 offset:484
	buffer_load_dword v2, off, s[0:3], 0 offset:480
	;; [unrolled: 1-line block ×3, first 2 shown]
	ds_read_b128 v[94:97], v1 offset:1200
	ds_read_b128 v[108:111], v1 offset:1216
	;; [unrolled: 1-line block ×11, first 2 shown]
	buffer_load_dword v106, off, s[0:3], 0 offset:472
	buffer_load_dword v117, off, s[0:3], 0 offset:468
	;; [unrolled: 1-line block ×75, first 2 shown]
	s_waitcnt lgkmcnt(9)
	v_mul_f64 v[4:5], v[108:109], v[62:63]
	s_waitcnt lgkmcnt(8)
	v_mul_f64 v[6:7], v[112:113], v[60:61]
	v_fmac_f64_e32 v[4:5], v[110:111], v[58:59]
	s_waitcnt lgkmcnt(7)
	v_mul_f64 v[8:9], v[222:223], v[68:69]
	v_fmac_f64_e32 v[6:7], v[114:115], v[84:85]
	;; [unrolled: 3-line block ×5, first 2 shown]
	ds_read_b128 v[230:233], v1 offset:1376
	ds_read_b128 v[118:121], v1 offset:1392
	s_waitcnt lgkmcnt(5)
	v_mul_f64 v[16:17], v[248:249], v[78:79]
	v_fmac_f64_e32 v[14:15], v[246:247], v[76:77]
	s_waitcnt lgkmcnt(4)
	v_mul_f64 v[18:19], v[252:253], v[86:87]
	v_fmac_f64_e32 v[16:17], v[250:251], v[80:81]
	;; [unrolled: 3-line block ×3, first 2 shown]
	v_fmac_f64_e32 v[20:21], v[228:229], v[92:93]
	v_accvgpr_write_b32 a175, v23
	v_accvgpr_write_b32 a174, v22
	v_mul_f64 v[62:63], v[110:111], v[62:63]
	v_mul_f64 v[74:75], v[246:247], v[74:75]
	v_fma_f64 v[246:247], v[244:245], v[76:77], -v[74:75]
	v_mul_f64 v[78:79], v[250:251], v[78:79]
	v_fma_f64 v[248:249], v[248:249], v[80:81], -v[78:79]
	;; [unrolled: 2-line block ×4, first 2 shown]
	s_waitcnt vmcnt(62)
	v_pk_mov_b32 v[24:25], v[2:3], v[2:3] op_sel:[0,1]
	v_mul_f64 v[2:3], v[94:95], v[56:57]
	v_fmac_f64_e32 v[2:3], v[96:97], v[54:55]
	v_add_f64 v[2:3], v[2:3], 0
	v_add_f64 v[2:3], v[2:3], v[4:5]
	;; [unrolled: 1-line block ×9, first 2 shown]
	s_waitcnt lgkmcnt(2)
	v_mul_f64 v[4:5], v[98:99], v[102:103]
	v_add_f64 v[2:3], v[2:3], v[20:21]
	v_fmac_f64_e32 v[4:5], v[100:101], v[104:105]
	s_waitcnt lgkmcnt(1)
	v_mul_f64 v[8:9], v[230:231], v[106:107]
	v_add_f64 v[6:7], v[2:3], v[4:5]
	v_fmac_f64_e32 v[8:9], v[232:233], v[116:117]
	s_waitcnt lgkmcnt(0)
	v_mul_f64 v[12:13], v[118:119], v[22:23]
	v_add_f64 v[10:11], v[6:7], v[8:9]
	ds_read_b128 v[6:9], v1 offset:1408
	v_fmac_f64_e32 v[12:13], v[120:121], v[24:25]
	v_add_f64 v[14:15], v[10:11], v[12:13]
	ds_read_b128 v[10:13], v1 offset:1424
	v_accvgpr_write_b32 a177, v25
	s_waitcnt lgkmcnt(1)
	v_mul_f64 v[16:17], v[6:7], v[138:139]
	v_fmac_f64_e32 v[16:17], v[8:9], v[142:143]
	v_add_f64 v[18:19], v[14:15], v[16:17]
	s_waitcnt lgkmcnt(0)
	v_mul_f64 v[20:21], v[10:11], v[122:123]
	ds_read_b128 v[14:17], v1 offset:1440
	v_fmac_f64_e32 v[20:21], v[12:13], v[124:125]
	v_add_f64 v[22:23], v[18:19], v[20:21]
	ds_read_b128 v[18:21], v1 offset:1456
	v_accvgpr_write_b32 a176, v24
	s_waitcnt vmcnt(58) lgkmcnt(1)
	v_mul_f64 v[24:25], v[14:15], v[146:147]
	s_waitcnt vmcnt(56)
	v_fmac_f64_e32 v[24:25], v[16:17], v[150:151]
	v_add_f64 v[26:27], v[22:23], v[24:25]
	s_waitcnt lgkmcnt(0)
	v_mul_f64 v[28:29], v[18:19], v[126:127]
	ds_read_b128 v[22:25], v1 offset:1472
	v_fmac_f64_e32 v[28:29], v[20:21], v[128:129]
	v_add_f64 v[30:31], v[26:27], v[28:29]
	ds_read_b128 v[26:29], v1 offset:1488
	v_mul_f64 v[56:57], v[96:97], v[56:57]
	s_waitcnt vmcnt(50) lgkmcnt(1)
	v_mul_f64 v[32:33], v[22:23], v[154:155]
	s_waitcnt vmcnt(48)
	v_fmac_f64_e32 v[32:33], v[24:25], v[158:159]
	v_add_f64 v[34:35], v[30:31], v[32:33]
	s_waitcnt lgkmcnt(0)
	v_mul_f64 v[36:37], v[26:27], v[130:131]
	ds_read_b128 v[30:33], v1 offset:1504
	v_fmac_f64_e32 v[36:37], v[28:29], v[132:133]
	v_add_f64 v[38:39], v[34:35], v[36:37]
	ds_read_b128 v[34:37], v1 offset:1520
	v_fma_f64 v[2:3], v[94:95], v[54:55], -v[56:57]
	s_waitcnt vmcnt(42) lgkmcnt(1)
	v_mul_f64 v[40:41], v[30:31], v[162:163]
	s_waitcnt vmcnt(40)
	v_fmac_f64_e32 v[40:41], v[32:33], v[166:167]
	v_add_f64 v[42:43], v[38:39], v[40:41]
	s_waitcnt lgkmcnt(0)
	v_mul_f64 v[44:45], v[34:35], v[134:135]
	ds_read_b128 v[38:41], v1 offset:1536
	v_fmac_f64_e32 v[44:45], v[36:37], v[136:137]
	v_add_f64 v[46:47], v[42:43], v[44:45]
	ds_read_b128 v[42:45], v1 offset:1552
	v_fma_f64 v[94:95], v[108:109], v[58:59], -v[62:63]
	s_waitcnt vmcnt(34) lgkmcnt(1)
	v_mul_f64 v[48:49], v[38:39], v[170:171]
	s_waitcnt vmcnt(32)
	v_fmac_f64_e32 v[48:49], v[40:41], v[174:175]
	v_add_f64 v[50:51], v[46:47], v[48:49]
	s_waitcnt lgkmcnt(0)
	v_mul_f64 v[52:53], v[42:43], v[140:141]
	v_fmac_f64_e32 v[52:53], v[44:45], v[144:145]
	ds_read_b128 v[46:49], v1 offset:1568
	v_add_f64 v[198:199], v[50:51], v[52:53]
	ds_read_b128 v[50:53], v1 offset:1584
	buffer_load_dword v195, off, s[0:3], 0 offset:796
	buffer_load_dword v194, off, s[0:3], 0 offset:792
	;; [unrolled: 1-line block ×4, first 2 shown]
	v_mul_f64 v[58:59], v[114:115], v[60:61]
	s_waitcnt vmcnt(30) lgkmcnt(1)
	v_mul_f64 v[200:201], v[46:47], v[178:179]
	s_waitcnt vmcnt(28)
	v_fmac_f64_e32 v[200:201], v[48:49], v[180:181]
	v_add_f64 v[234:235], v[198:199], v[200:201]
	buffer_load_dword v200, off, s[0:3], 0 offset:808
	buffer_load_dword v202, off, s[0:3], 0 offset:800
	;; [unrolled: 1-line block ×12, first 2 shown]
	ds_read_b128 v[54:57], v1 offset:1600
	buffer_load_dword v211, off, s[0:3], 0 offset:860
	buffer_load_dword v210, off, s[0:3], 0 offset:856
	;; [unrolled: 1-line block ×4, first 2 shown]
	s_waitcnt lgkmcnt(1)
	v_mul_f64 v[4:5], v[50:51], v[148:149]
	buffer_load_dword v214, off, s[0:3], 0 offset:872
	buffer_load_dword v216, off, s[0:3], 0 offset:864
	;; [unrolled: 1-line block ×8, first 2 shown]
	v_fma_f64 v[96:97], v[112:113], v[84:85], -v[58:59]
	v_fmac_f64_e32 v[4:5], v[52:53], v[152:153]
	v_mul_f64 v[58:59], v[224:225], v[68:69]
	v_add_f64 v[4:5], v[234:235], v[4:5]
	v_fma_f64 v[108:109], v[222:223], v[82:83], -v[58:59]
	buffer_load_dword v222, off, s[0:3], 0 offset:904
	buffer_load_dword v234, off, s[0:3], 0 offset:896
	;; [unrolled: 1-line block ×4, first 2 shown]
	s_waitcnt vmcnt(50) lgkmcnt(0)
	v_mul_f64 v[58:59], v[54:55], v[182:183]
	s_waitcnt vmcnt(48)
	v_fmac_f64_e32 v[58:59], v[56:57], v[184:185]
	v_add_f64 v[4:5], v[4:5], v[58:59]
	ds_read_b128 v[58:61], v1 offset:1616
	v_mul_f64 v[62:63], v[238:239], v[64:65]
	v_fma_f64 v[236:237], v[236:237], v[66:67], -v[62:63]
	ds_read_b128 v[62:65], v1 offset:1632
	v_mul_f64 v[66:67], v[242:243], v[70:71]
	v_fma_f64 v[240:241], v[240:241], v[72:73], -v[66:67]
	ds_read_b128 v[66:69], v1 offset:1648
	ds_read_b128 v[74:77], v1 offset:1680
	s_waitcnt lgkmcnt(3)
	v_mul_f64 v[82:83], v[58:59], v[156:157]
	v_fmac_f64_e32 v[82:83], v[60:61], v[160:161]
	s_waitcnt vmcnt(42) lgkmcnt(2)
	v_mul_f64 v[70:71], v[62:63], v[186:187]
	v_add_f64 v[4:5], v[4:5], v[82:83]
	s_waitcnt vmcnt(40)
	v_fmac_f64_e32 v[70:71], v[64:65], v[188:189]
	v_add_f64 v[4:5], v[4:5], v[70:71]
	s_waitcnt lgkmcnt(1)
	v_mul_f64 v[70:71], v[66:67], v[164:165]
	v_fmac_f64_e32 v[70:71], v[68:69], v[168:169]
	v_add_f64 v[4:5], v[4:5], v[70:71]
	ds_read_b128 v[70:73], v1 offset:1664
	ds_read_b128 v[78:81], v1 offset:1696
	;; [unrolled: 1-line block ×4, first 2 shown]
	v_mul_f64 v[100:101], v[100:101], v[102:103]
	s_waitcnt vmcnt(34) lgkmcnt(3)
	v_mul_f64 v[82:83], v[70:71], v[190:191]
	s_waitcnt vmcnt(32)
	v_fmac_f64_e32 v[82:83], v[72:73], v[192:193]
	v_add_f64 v[4:5], v[4:5], v[82:83]
	v_mul_f64 v[82:83], v[74:75], v[172:173]
	v_fmac_f64_e32 v[82:83], v[76:77], v[176:177]
	v_add_f64 v[4:5], v[4:5], v[82:83]
	v_mul_f64 v[102:103], v[232:233], v[106:107]
	v_fma_f64 v[250:251], v[98:99], v[104:105], -v[100:101]
	ds_read_b128 v[98:101], v1 offset:1776
	v_fma_f64 v[102:103], v[230:231], v[116:117], -v[102:103]
	v_accvgpr_write_b32 a179, v103
	v_accvgpr_write_b32 a178, v102
	ds_read_b128 v[102:105], v1 offset:1792
	ds_read_b128 v[228:231], v1 offset:1808
	v_add_f64 v[2:3], v[2:3], 0
	ds_read_b128 v[86:89], v1 offset:1728
	v_add_f64 v[2:3], v[2:3], v[94:95]
	v_add_f64 v[2:3], v[2:3], v[96:97]
	;; [unrolled: 1-line block ×9, first 2 shown]
	v_accvgpr_read_b32 v94, a174
	v_add_f64 v[252:253], v[2:3], v[250:251]
	v_accvgpr_read_b32 v2, a178
	v_accvgpr_read_b32 v95, a175
	v_accvgpr_read_b32 v96, a176
	v_accvgpr_read_b32 v3, a179
	v_mul_f64 v[94:95], v[120:121], v[94:95]
	v_accvgpr_read_b32 v97, a177
	v_add_f64 v[2:3], v[252:253], v[2:3]
	v_fma_f64 v[94:95], v[118:119], v[96:97], -v[94:95]
	v_mul_f64 v[8:9], v[8:9], v[138:139]
	s_waitcnt vmcnt(30) lgkmcnt(6)
	v_mul_f64 v[82:83], v[78:79], v[194:195]
	v_add_f64 v[2:3], v[2:3], v[94:95]
	s_waitcnt vmcnt(28)
	v_fmac_f64_e32 v[82:83], v[80:81], v[196:197]
	v_add_f64 v[4:5], v[4:5], v[82:83]
	ds_read_b128 v[82:85], v1 offset:1712
	v_fma_f64 v[6:7], v[6:7], v[142:143], -v[8:9]
	v_add_f64 v[2:3], v[2:3], v[6:7]
	s_waitcnt vmcnt(9) lgkmcnt(4)
	v_mul_f64 v[106:107], v[98:99], v[214:215]
	s_waitcnt vmcnt(8)
	v_fmac_f64_e32 v[106:107], v[100:101], v[216:217]
	s_waitcnt lgkmcnt(0)
	v_mul_f64 v[110:111], v[82:83], v[200:201]
	v_fmac_f64_e32 v[110:111], v[84:85], v[202:203]
	v_add_f64 v[4:5], v[4:5], v[110:111]
	v_mul_f64 v[110:111], v[86:87], v[204:205]
	v_fmac_f64_e32 v[110:111], v[88:89], v[208:209]
	v_add_f64 v[4:5], v[4:5], v[110:111]
	;; [unrolled: 3-line block ×4, first 2 shown]
	v_add_f64 v[4:5], v[4:5], v[106:107]
	s_waitcnt vmcnt(6)
	v_mul_f64 v[106:107], v[102:103], v[218:219]
	s_waitcnt vmcnt(4)
	v_fmac_f64_e32 v[106:107], v[104:105], v[220:221]
	v_add_f64 v[4:5], v[4:5], v[106:107]
	s_waitcnt vmcnt(1)
	v_mul_f64 v[106:107], v[228:229], v[222:223]
	s_waitcnt vmcnt(0)
	v_fmac_f64_e32 v[106:107], v[230:231], v[234:235]
	v_add_f64 v[106:107], v[4:5], v[106:107]
	buffer_load_dword v5, off, s[0:3], 0 offset:924
	buffer_load_dword v4, off, s[0:3], 0 offset:920
	;; [unrolled: 1-line block ×4, first 2 shown]
	ds_read_b128 v[110:113], v1 offset:1824
	buffer_load_dword v242, off, s[0:3], 0 offset:936
	buffer_load_dword v243, off, s[0:3], 0 offset:940
	;; [unrolled: 1-line block ×4, first 2 shown]
	v_mul_f64 v[6:7], v[12:13], v[122:123]
	v_fma_f64 v[6:7], v[10:11], v[124:125], -v[6:7]
	v_add_f64 v[2:3], v[2:3], v[6:7]
	v_mul_f64 v[6:7], v[16:17], v[146:147]
	v_fma_f64 v[6:7], v[14:15], v[150:151], -v[6:7]
	v_add_f64 v[2:3], v[2:3], v[6:7]
	v_mul_f64 v[6:7], v[20:21], v[126:127]
	v_fma_f64 v[6:7], v[18:19], v[128:129], -v[6:7]
	v_add_f64 v[2:3], v[2:3], v[6:7]
	v_mul_f64 v[6:7], v[24:25], v[154:155]
	v_fma_f64 v[6:7], v[22:23], v[158:159], -v[6:7]
	v_add_f64 v[2:3], v[2:3], v[6:7]
	v_mul_f64 v[6:7], v[28:29], v[130:131]
	v_fma_f64 v[6:7], v[26:27], v[132:133], -v[6:7]
	v_add_f64 v[2:3], v[2:3], v[6:7]
	v_mul_f64 v[6:7], v[32:33], v[162:163]
	v_fma_f64 v[6:7], v[30:31], v[166:167], -v[6:7]
	v_add_f64 v[2:3], v[2:3], v[6:7]
	v_mul_f64 v[6:7], v[36:37], v[134:135]
	v_fma_f64 v[6:7], v[34:35], v[136:137], -v[6:7]
	v_add_f64 v[2:3], v[2:3], v[6:7]
	v_mul_f64 v[6:7], v[40:41], v[170:171]
	v_fma_f64 v[6:7], v[38:39], v[174:175], -v[6:7]
	v_add_f64 v[2:3], v[2:3], v[6:7]
	v_mul_f64 v[6:7], v[44:45], v[140:141]
	v_fma_f64 v[6:7], v[42:43], v[144:145], -v[6:7]
	v_add_f64 v[2:3], v[2:3], v[6:7]
	v_mul_f64 v[6:7], v[48:49], v[178:179]
	v_fma_f64 v[6:7], v[46:47], v[180:181], -v[6:7]
	v_add_f64 v[2:3], v[2:3], v[6:7]
	v_mul_f64 v[6:7], v[52:53], v[148:149]
	v_fma_f64 v[6:7], v[50:51], v[152:153], -v[6:7]
	v_add_f64 v[2:3], v[2:3], v[6:7]
	v_mul_f64 v[6:7], v[56:57], v[182:183]
	v_fma_f64 v[6:7], v[54:55], v[184:185], -v[6:7]
	v_add_f64 v[2:3], v[2:3], v[6:7]
	v_mul_f64 v[6:7], v[60:61], v[156:157]
	v_fma_f64 v[6:7], v[58:59], v[160:161], -v[6:7]
	v_add_f64 v[2:3], v[2:3], v[6:7]
	v_mul_f64 v[6:7], v[64:65], v[186:187]
	v_fma_f64 v[6:7], v[62:63], v[188:189], -v[6:7]
	v_add_f64 v[2:3], v[2:3], v[6:7]
	v_mul_f64 v[6:7], v[68:69], v[164:165]
	v_fma_f64 v[6:7], v[66:67], v[168:169], -v[6:7]
	v_add_f64 v[2:3], v[2:3], v[6:7]
	v_mul_f64 v[6:7], v[72:73], v[190:191]
	v_fma_f64 v[6:7], v[70:71], v[192:193], -v[6:7]
	v_add_f64 v[2:3], v[2:3], v[6:7]
	v_mul_f64 v[6:7], v[76:77], v[172:173]
	v_fma_f64 v[6:7], v[74:75], v[176:177], -v[6:7]
	v_add_f64 v[2:3], v[2:3], v[6:7]
	v_mul_f64 v[6:7], v[80:81], v[194:195]
	v_fma_f64 v[6:7], v[78:79], v[196:197], -v[6:7]
	v_add_f64 v[2:3], v[2:3], v[6:7]
	v_mul_f64 v[6:7], v[84:85], v[200:201]
	v_fma_f64 v[6:7], v[82:83], v[202:203], -v[6:7]
	v_add_f64 v[2:3], v[2:3], v[6:7]
	v_mul_f64 v[6:7], v[88:89], v[204:205]
	v_fma_f64 v[6:7], v[86:87], v[208:209], -v[6:7]
	v_add_f64 v[2:3], v[2:3], v[6:7]
	v_mul_f64 v[6:7], v[92:93], v[198:199]
	v_fma_f64 v[6:7], v[90:91], v[206:207], -v[6:7]
	v_add_f64 v[2:3], v[2:3], v[6:7]
	v_mul_f64 v[6:7], v[226:227], v[210:211]
	v_fma_f64 v[6:7], v[224:225], v[212:213], -v[6:7]
	v_add_f64 v[2:3], v[2:3], v[6:7]
	v_mul_f64 v[6:7], v[100:101], v[214:215]
	v_fma_f64 v[6:7], v[98:99], v[216:217], -v[6:7]
	v_add_f64 v[2:3], v[2:3], v[6:7]
	v_mul_f64 v[6:7], v[104:105], v[218:219]
	v_fma_f64 v[6:7], v[102:103], v[220:221], -v[6:7]
	v_add_f64 v[2:3], v[2:3], v[6:7]
	v_mul_f64 v[6:7], v[230:231], v[222:223]
	v_fma_f64 v[6:7], v[228:229], v[234:235], -v[6:7]
	v_add_f64 v[2:3], v[2:3], v[6:7]
	s_waitcnt vmcnt(6) lgkmcnt(0)
	v_mul_f64 v[114:115], v[110:111], v[4:5]
	v_mul_f64 v[4:5], v[112:113], v[4:5]
	s_waitcnt vmcnt(4)
	v_fmac_f64_e32 v[114:115], v[112:113], v[238:239]
	v_add_f64 v[106:107], v[106:107], v[114:115]
	ds_read_b128 v[114:117], v1 offset:1840
	buffer_load_dword v248, off, s[0:3], 0 offset:272
	buffer_load_dword v249, off, s[0:3], 0 offset:276
	;; [unrolled: 1-line block ×4, first 2 shown]
	v_fma_f64 v[4:5], v[110:111], v[238:239], -v[4:5]
	v_add_f64 v[2:3], v[2:3], v[4:5]
	s_waitcnt vmcnt(6) lgkmcnt(0)
	v_mul_f64 v[4:5], v[116:117], v[242:243]
	v_mul_f64 v[232:233], v[114:115], v[242:243]
	s_waitcnt vmcnt(4)
	v_fma_f64 v[4:5], v[114:115], v[244:245], -v[4:5]
	v_fmac_f64_e32 v[232:233], v[116:117], v[244:245]
	v_add_f64 v[2:3], v[2:3], v[4:5]
	v_add_f64 v[106:107], v[106:107], v[232:233]
	s_waitcnt vmcnt(2)
	v_add_f64 v[2:3], v[248:249], -v[2:3]
	s_waitcnt vmcnt(0)
	v_add_f64 v[4:5], v[246:247], -v[106:107]
	buffer_store_dword v3, off, s[0:3], 0 offset:276
	buffer_store_dword v2, off, s[0:3], 0 offset:272
	;; [unrolled: 1-line block ×4, first 2 shown]
	s_and_saveexec_b64 s[4:5], vcc
	s_cbranch_execz .LBB121_331
; %bb.330:
	v_accvgpr_read_b32 v5, a158
	buffer_load_dword v2, v5, s[0:3], 0 offen
	buffer_load_dword v3, v5, s[0:3], 0 offen offset:4
	buffer_load_dword v4, v5, s[0:3], 0 offen offset:8
	s_nop 0
	buffer_load_dword v5, v5, s[0:3], 0 offen offset:12
	v_accvgpr_read_b32 v6, a173
	buffer_store_dword v1, off, s[0:3], 0 offset:256
	buffer_store_dword v1, off, s[0:3], 0 offset:260
	;; [unrolled: 1-line block ×4, first 2 shown]
	s_waitcnt vmcnt(4)
	ds_write_b128 v6, v[2:5]
.LBB121_331:
	s_or_b64 exec, exec, s[4:5]
	s_waitcnt lgkmcnt(0)
	; wave barrier
	s_waitcnt lgkmcnt(0)
	buffer_load_dword v58, off, s[0:3], 0 offset:272
	buffer_load_dword v59, off, s[0:3], 0 offset:276
	;; [unrolled: 1-line block ×42, first 2 shown]
	ds_read_b128 v[110:113], v1 offset:1184
	ds_read_b128 v[114:117], v1 offset:1200
	;; [unrolled: 1-line block ×10, first 2 shown]
	buffer_load_dword v249, off, s[0:3], 0 offset:420
	buffer_load_dword v248, off, s[0:3], 0 offset:416
	ds_read_b128 v[90:93], v1 offset:1344
	buffer_load_dword v105, off, s[0:3], 0 offset:476
	buffer_load_dword v104, off, s[0:3], 0 offset:472
	;; [unrolled: 1-line block ×6, first 2 shown]
	v_cmp_lt_u32_e32 vcc, 14, v0
	s_waitcnt vmcnt(46) lgkmcnt(10)
	v_mul_f64 v[2:3], v[110:111], v[60:61]
	v_fmac_f64_e32 v[2:3], v[112:113], v[58:59]
	v_add_f64 v[2:3], v[2:3], 0
	v_mul_f64 v[60:61], v[112:113], v[60:61]
	s_waitcnt vmcnt(42) lgkmcnt(9)
	v_mul_f64 v[4:5], v[114:115], v[62:63]
	v_fmac_f64_e32 v[4:5], v[116:117], v[56:57]
	v_add_f64 v[2:3], v[2:3], v[4:5]
	buffer_load_dword v251, off, s[0:3], 0 offset:452
	buffer_load_dword v250, off, s[0:3], 0 offset:448
	;; [unrolled: 1-line block ×4, first 2 shown]
	s_waitcnt vmcnt(44) lgkmcnt(8)
	v_mul_f64 v[6:7], v[210:211], v[218:219]
	s_waitcnt vmcnt(42) lgkmcnt(6)
	v_mul_f64 v[10:11], v[222:223], v[64:65]
	s_waitcnt vmcnt(40)
	v_fmac_f64_e32 v[10:11], v[224:225], v[66:67]
	s_waitcnt vmcnt(38)
	v_mul_f64 v[8:9], v[214:215], v[68:69]
	s_waitcnt vmcnt(36) lgkmcnt(4)
	v_mul_f64 v[14:15], v[230:231], v[70:71]
	v_mul_f64 v[70:71], v[232:233], v[70:71]
	s_waitcnt vmcnt(34)
	v_fmac_f64_e32 v[14:15], v[232:233], v[72:73]
	v_fma_f64 v[232:233], v[230:231], v[72:73], -v[70:71]
	s_waitcnt vmcnt(32)
	v_mul_f64 v[12:13], v[226:227], v[74:75]
	s_waitcnt vmcnt(30) lgkmcnt(2)
	v_mul_f64 v[18:19], v[240:241], v[78:79]
	v_mul_f64 v[78:79], v[242:243], v[78:79]
	s_waitcnt vmcnt(27)
	v_mul_f64 v[16:17], v[236:237], v[76:77]
	s_waitcnt vmcnt(25) lgkmcnt(1)
	v_mul_f64 v[20:21], v[82:83], v[86:87]
	s_waitcnt vmcnt(23)
	v_fmac_f64_e32 v[6:7], v[212:213], v[100:101]
	v_add_f64 v[2:3], v[2:3], v[6:7]
	s_waitcnt vmcnt(21)
	v_fmac_f64_e32 v[8:9], v[216:217], v[98:99]
	v_add_f64 v[2:3], v[2:3], v[8:9]
	;; [unrolled: 3-line block ×3, first 2 shown]
	v_add_f64 v[2:3], v[2:3], v[12:13]
	s_waitcnt vmcnt(17)
	v_fmac_f64_e32 v[16:17], v[238:239], v[88:89]
	v_add_f64 v[2:3], v[2:3], v[14:15]
	s_waitcnt vmcnt(16)
	v_fmac_f64_e32 v[18:19], v[242:243], v[80:81]
	v_add_f64 v[2:3], v[2:3], v[16:17]
	v_add_f64 v[2:3], v[2:3], v[18:19]
	s_waitcnt vmcnt(10)
	v_fmac_f64_e32 v[20:21], v[84:85], v[248:249]
	v_add_f64 v[2:3], v[2:3], v[20:21]
	v_mul_f64 v[84:85], v[84:85], v[86:87]
	v_fma_f64 v[248:249], v[82:83], v[248:249], -v[84:85]
	s_waitcnt vmcnt(0)
	v_pk_mov_b32 v[18:19], v[4:5], v[4:5] op_sel:[0,1]
	buffer_load_dword v5, off, s[0:3], 0 offset:500
	buffer_load_dword v4, off, s[0:3], 0 offset:496
	v_accvgpr_write_b32 a175, v19
	v_accvgpr_write_b32 a174, v18
	s_waitcnt vmcnt(0)
	v_pk_mov_b32 v[22:23], v[4:5], v[4:5] op_sel:[0,1]
	buffer_load_dword v135, off, s[0:3], 0 offset:492
	buffer_load_dword v134, off, s[0:3], 0 offset:488
	buffer_load_dword v139, off, s[0:3], 0 offset:484
	buffer_load_dword v138, off, s[0:3], 0 offset:480
	buffer_load_dword v5, off, s[0:3], 0 offset:540
	buffer_load_dword v4, off, s[0:3], 0 offset:536
	v_accvgpr_write_b32 a177, v23
	v_accvgpr_write_b32 a176, v22
	s_waitcnt vmcnt(0)
	v_pk_mov_b32 v[26:27], v[4:5], v[4:5] op_sel:[0,1]
	buffer_load_dword v5, off, s[0:3], 0 offset:532
	buffer_load_dword v4, off, s[0:3], 0 offset:528
	v_accvgpr_write_b32 a179, v27
	v_accvgpr_write_b32 a178, v26
	s_waitcnt vmcnt(0)
	v_pk_mov_b32 v[28:29], v[4:5], v[4:5] op_sel:[0,1]
	buffer_load_dword v143, off, s[0:3], 0 offset:524
	buffer_load_dword v142, off, s[0:3], 0 offset:520
	;; [unrolled: 1-line block ×60, first 2 shown]
	ds_read_b128 v[244:247], v1 offset:1360
	ds_read_b128 v[252:255], v1 offset:1376
	;; [unrolled: 1-line block ×5, first 2 shown]
	v_accvgpr_write_b32 a181, v29
	s_waitcnt lgkmcnt(3)
	v_mul_f64 v[8:9], v[252:253], v[104:105]
	v_fmac_f64_e32 v[8:9], v[254:255], v[106:107]
	s_waitcnt lgkmcnt(2)
	v_mul_f64 v[12:13], v[118:119], v[134:135]
	v_fmac_f64_e32 v[12:13], v[120:121], v[138:139]
	;; [unrolled: 3-line block ×3, first 2 shown]
	v_accvgpr_write_b32 a180, v28
	s_waitcnt vmcnt(54)
	v_pk_mov_b32 v[34:35], v[4:5], v[4:5] op_sel:[0,1]
	v_mul_f64 v[4:5], v[90:91], v[96:97]
	v_fmac_f64_e32 v[4:5], v[92:93], v[102:103]
	v_add_f64 v[2:3], v[2:3], v[4:5]
	v_mul_f64 v[4:5], v[244:245], v[108:109]
	v_fmac_f64_e32 v[4:5], v[246:247], v[250:251]
	v_add_f64 v[6:7], v[2:3], v[4:5]
	v_add_f64 v[10:11], v[6:7], v[8:9]
	;; [unrolled: 1-line block ×4, first 2 shown]
	ds_read_b128 v[14:17], v1 offset:1440
	s_waitcnt lgkmcnt(1)
	v_mul_f64 v[20:21], v[122:123], v[142:143]
	v_fmac_f64_e32 v[20:21], v[124:125], v[146:147]
	v_add_f64 v[22:23], v[18:19], v[20:21]
	ds_read_b128 v[18:21], v1 offset:1456
	s_waitcnt lgkmcnt(1)
	v_mul_f64 v[24:25], v[14:15], v[26:27]
	v_fmac_f64_e32 v[24:25], v[16:17], v[28:29]
	v_add_f64 v[26:27], v[22:23], v[24:25]
	ds_read_b128 v[22:25], v1 offset:1472
	s_waitcnt vmcnt(50) lgkmcnt(1)
	v_mul_f64 v[28:29], v[18:19], v[150:151]
	s_waitcnt vmcnt(48)
	v_fmac_f64_e32 v[28:29], v[20:21], v[154:155]
	v_add_f64 v[30:31], v[26:27], v[28:29]
	ds_read_b128 v[26:29], v1 offset:1488
	s_waitcnt lgkmcnt(1)
	v_mul_f64 v[32:33], v[22:23], v[34:35]
	v_accvgpr_write_b32 a183, v35
	v_fmac_f64_e32 v[32:33], v[24:25], v[128:129]
	v_accvgpr_write_b32 a182, v34
	v_add_f64 v[34:35], v[30:31], v[32:33]
	ds_read_b128 v[30:33], v1 offset:1504
	s_waitcnt vmcnt(42) lgkmcnt(1)
	v_mul_f64 v[36:37], v[26:27], v[158:159]
	s_waitcnt vmcnt(40)
	v_fmac_f64_e32 v[36:37], v[28:29], v[162:163]
	v_add_f64 v[38:39], v[34:35], v[36:37]
	ds_read_b128 v[34:37], v1 offset:1520
	s_waitcnt lgkmcnt(1)
	v_mul_f64 v[40:41], v[30:31], v[130:131]
	v_fmac_f64_e32 v[40:41], v[32:33], v[132:133]
	v_add_f64 v[42:43], v[38:39], v[40:41]
	ds_read_b128 v[38:41], v1 offset:1536
	s_waitcnt vmcnt(34) lgkmcnt(1)
	v_mul_f64 v[44:45], v[34:35], v[166:167]
	s_waitcnt vmcnt(32)
	v_fmac_f64_e32 v[44:45], v[36:37], v[170:171]
	v_add_f64 v[46:47], v[42:43], v[44:45]
	ds_read_b128 v[42:45], v1 offset:1552
	s_waitcnt lgkmcnt(1)
	v_mul_f64 v[48:49], v[38:39], v[136:137]
	v_fmac_f64_e32 v[48:49], v[40:41], v[140:141]
	v_add_f64 v[50:51], v[46:47], v[48:49]
	ds_read_b128 v[46:49], v1 offset:1568
	s_waitcnt vmcnt(26) lgkmcnt(1)
	v_mul_f64 v[52:53], v[42:43], v[174:175]
	s_waitcnt vmcnt(24)
	v_fmac_f64_e32 v[52:53], v[44:45], v[176:177]
	v_add_f64 v[234:235], v[50:51], v[52:53]
	ds_read_b128 v[50:53], v1 offset:1584
	buffer_load_dword v13, off, s[0:3], 0 offset:780
	buffer_load_dword v12, off, s[0:3], 0 offset:776
	;; [unrolled: 1-line block ×20, first 2 shown]
	v_mul_f64 v[4:5], v[116:117], v[62:63]
	v_fma_f64 v[8:9], v[114:115], v[56:57], -v[4:5]
	v_mul_f64 v[56:57], v[212:213], v[218:219]
	v_fma_f64 v[10:11], v[110:111], v[58:59], -v[60:61]
	v_fma_f64 v[58:59], v[210:211], v[100:101], -v[56:57]
	v_mul_f64 v[56:57], v[216:217], v[68:69]
	v_fma_f64 v[60:61], v[214:215], v[98:99], -v[56:57]
	buffer_load_dword v212, off, s[0:3], 0 offset:856
	buffer_load_dword v214, off, s[0:3], 0 offset:848
	;; [unrolled: 1-line block ×12, first 2 shown]
	s_waitcnt lgkmcnt(1)
	v_mul_f64 v[54:55], v[46:47], v[144:145]
	v_fmac_f64_e32 v[54:55], v[48:49], v[148:149]
	v_add_f64 v[62:63], v[234:235], v[54:55]
	v_mul_f64 v[54:55], v[224:225], v[64:65]
	v_fma_f64 v[66:67], v[222:223], v[66:67], -v[54:55]
	buffer_load_dword v223, off, s[0:3], 0 offset:908
	buffer_load_dword v222, off, s[0:3], 0 offset:904
	;; [unrolled: 1-line block ×4, first 2 shown]
	s_waitcnt vmcnt(54) lgkmcnt(0)
	v_mul_f64 v[64:65], v[50:51], v[178:179]
	ds_read_b128 v[54:57], v1 offset:1600
	s_waitcnt vmcnt(52)
	v_fmac_f64_e32 v[64:65], v[52:53], v[180:181]
	v_add_f64 v[62:63], v[62:63], v[64:65]
	v_mul_f64 v[64:65], v[228:229], v[74:75]
	v_fma_f64 v[68:69], v[226:227], v[94:95], -v[64:65]
	ds_read_b128 v[224:227], v1 offset:1616
	s_waitcnt lgkmcnt(1)
	v_mul_f64 v[64:65], v[54:55], v[152:153]
	v_fmac_f64_e32 v[64:65], v[56:57], v[156:157]
	v_add_f64 v[74:75], v[62:63], v[64:65]
	ds_read_b128 v[62:65], v1 offset:1632
	ds_read_b128 v[228:231], v1 offset:1648
	s_waitcnt vmcnt(46) lgkmcnt(2)
	v_mul_f64 v[70:71], v[224:225], v[182:183]
	s_waitcnt vmcnt(44)
	v_fmac_f64_e32 v[70:71], v[226:227], v[184:185]
	v_add_f64 v[74:75], v[74:75], v[70:71]
	v_mul_f64 v[70:71], v[238:239], v[76:77]
	v_fma_f64 v[6:7], v[236:237], v[88:89], -v[70:71]
	ds_read_b128 v[70:73], v1 offset:1664
	s_waitcnt lgkmcnt(2)
	v_mul_f64 v[94:95], v[62:63], v[160:161]
	v_fmac_f64_e32 v[94:95], v[64:65], v[164:165]
	s_waitcnt vmcnt(38) lgkmcnt(1)
	v_mul_f64 v[76:77], v[228:229], v[186:187]
	v_add_f64 v[74:75], v[74:75], v[94:95]
	s_waitcnt vmcnt(36)
	v_fmac_f64_e32 v[76:77], v[230:231], v[188:189]
	v_add_f64 v[74:75], v[74:75], v[76:77]
	v_fma_f64 v[4:5], v[240:241], v[80:81], -v[78:79]
	ds_read_b128 v[78:81], v1 offset:1696
	s_waitcnt lgkmcnt(1)
	v_mul_f64 v[76:77], v[70:71], v[168:169]
	v_fmac_f64_e32 v[76:77], v[72:73], v[172:173]
	v_add_f64 v[88:89], v[74:75], v[76:77]
	ds_read_b128 v[74:77], v1 offset:1680
	ds_read_b128 v[82:85], v1 offset:1712
	v_mul_f64 v[92:93], v[92:93], v[96:97]
	v_fma_f64 v[2:3], v[90:91], v[102:103], -v[92:93]
	v_mul_f64 v[98:99], v[246:247], v[108:109]
	v_fma_f64 v[250:251], v[244:245], v[250:251], -v[98:99]
	ds_read_b128 v[98:101], v1 offset:1760
	v_mul_f64 v[102:103], v[254:255], v[104:105]
	v_fma_f64 v[252:253], v[252:253], v[106:107], -v[102:103]
	ds_read_b128 v[102:105], v1 offset:1792
	v_add_f64 v[10:11], v[10:11], 0
	v_add_f64 v[8:9], v[10:11], v[8:9]
	;; [unrolled: 1-line block ×6, first 2 shown]
	ds_read_b128 v[90:93], v1 offset:1744
	v_add_f64 v[8:9], v[8:9], v[232:233]
	v_add_f64 v[6:7], v[8:9], v[6:7]
	;; [unrolled: 1-line block ×6, first 2 shown]
	v_mul_f64 v[4:5], v[120:121], v[134:135]
	v_add_f64 v[2:3], v[2:3], v[252:253]
	v_fma_f64 v[4:5], v[118:119], v[138:139], -v[4:5]
	v_add_f64 v[2:3], v[2:3], v[4:5]
	s_waitcnt vmcnt(25) lgkmcnt(3)
	v_mul_f64 v[96:97], v[82:83], v[200:201]
	v_accvgpr_read_b32 v4, a174
	s_waitcnt vmcnt(23)
	v_fmac_f64_e32 v[96:97], v[84:85], v[206:207]
	v_accvgpr_read_b32 v5, a175
	v_mul_f64 v[94:95], v[74:75], v[12:13]
	v_accvgpr_read_b32 v6, a176
	v_fmac_f64_e32 v[94:95], v[76:77], v[126:127]
	v_mul_f64 v[86:87], v[78:79], v[196:197]
	v_add_f64 v[88:89], v[88:89], v[94:95]
	v_fmac_f64_e32 v[86:87], v[80:81], v[198:199]
	v_add_f64 v[94:95], v[88:89], v[86:87]
	ds_read_b128 v[86:89], v1 offset:1728
	v_add_f64 v[94:95], v[94:95], v[96:97]
	v_mul_f64 v[4:5], v[192:193], v[4:5]
	v_accvgpr_read_b32 v7, a177
	v_fma_f64 v[4:5], v[190:191], v[6:7], -v[4:5]
	s_waitcnt vmcnt(22) lgkmcnt(0)
	v_mul_f64 v[96:97], v[86:87], v[194:195]
	s_waitcnt vmcnt(20)
	v_fmac_f64_e32 v[96:97], v[88:89], v[204:205]
	v_add_f64 v[94:95], v[94:95], v[96:97]
	s_waitcnt vmcnt(18)
	v_mul_f64 v[96:97], v[90:91], v[202:203]
	s_waitcnt vmcnt(16)
	v_fmac_f64_e32 v[96:97], v[92:93], v[208:209]
	v_add_f64 v[108:109], v[94:95], v[96:97]
	ds_read_b128 v[94:97], v1 offset:1776
	s_waitcnt vmcnt(13)
	v_mul_f64 v[106:107], v[98:99], v[212:213]
	s_waitcnt vmcnt(12)
	v_fmac_f64_e32 v[106:107], v[100:101], v[214:215]
	v_add_f64 v[106:107], v[108:109], v[106:107]
	v_add_f64 v[2:3], v[2:3], v[4:5]
	s_waitcnt vmcnt(9) lgkmcnt(0)
	v_mul_f64 v[108:109], v[94:95], v[218:219]
	s_waitcnt vmcnt(7)
	v_fmac_f64_e32 v[108:109], v[96:97], v[220:221]
	v_add_f64 v[106:107], v[106:107], v[108:109]
	s_waitcnt vmcnt(5)
	v_mul_f64 v[108:109], v[102:103], v[210:211]
	s_waitcnt vmcnt(4)
	v_fmac_f64_e32 v[108:109], v[104:105], v[216:217]
	v_add_f64 v[110:111], v[106:107], v[108:109]
	ds_read_b128 v[106:109], v1 offset:1808
	buffer_load_dword v236, off, s[0:3], 0 offset:920
	buffer_load_dword v237, off, s[0:3], 0 offset:924
	;; [unrolled: 1-line block ×4, first 2 shown]
	v_mul_f64 v[4:5], v[124:125], v[142:143]
	v_fma_f64 v[4:5], v[122:123], v[146:147], -v[4:5]
	v_add_f64 v[2:3], v[2:3], v[4:5]
	s_waitcnt vmcnt(6) lgkmcnt(0)
	v_mul_f64 v[112:113], v[106:107], v[222:223]
	s_waitcnt vmcnt(4)
	v_fmac_f64_e32 v[112:113], v[108:109], v[234:235]
	v_add_f64 v[114:115], v[110:111], v[112:113]
	ds_read_b128 v[110:113], v1 offset:1824
	buffer_load_dword v243, off, s[0:3], 0 offset:940
	buffer_load_dword v242, off, s[0:3], 0 offset:936
	;; [unrolled: 1-line block ×4, first 2 shown]
	v_accvgpr_read_b32 v4, a178
	v_accvgpr_read_b32 v5, a179
	;; [unrolled: 1-line block ×3, first 2 shown]
	v_mul_f64 v[4:5], v[16:17], v[4:5]
	v_accvgpr_read_b32 v7, a181
	v_fma_f64 v[4:5], v[14:15], v[6:7], -v[4:5]
	v_add_f64 v[2:3], v[2:3], v[4:5]
	v_mul_f64 v[4:5], v[20:21], v[150:151]
	v_fma_f64 v[4:5], v[18:19], v[154:155], -v[4:5]
	v_add_f64 v[2:3], v[2:3], v[4:5]
	v_accvgpr_read_b32 v4, a182
	v_accvgpr_read_b32 v5, a183
	v_mul_f64 v[4:5], v[24:25], v[4:5]
	v_fma_f64 v[4:5], v[22:23], v[128:129], -v[4:5]
	v_add_f64 v[2:3], v[2:3], v[4:5]
	v_mul_f64 v[4:5], v[28:29], v[158:159]
	v_fma_f64 v[4:5], v[26:27], v[162:163], -v[4:5]
	v_add_f64 v[2:3], v[2:3], v[4:5]
	v_mul_f64 v[4:5], v[32:33], v[130:131]
	v_fma_f64 v[4:5], v[30:31], v[132:133], -v[4:5]
	v_add_f64 v[2:3], v[2:3], v[4:5]
	v_mul_f64 v[4:5], v[36:37], v[166:167]
	v_fma_f64 v[4:5], v[34:35], v[170:171], -v[4:5]
	v_add_f64 v[2:3], v[2:3], v[4:5]
	v_mul_f64 v[4:5], v[40:41], v[136:137]
	v_fma_f64 v[4:5], v[38:39], v[140:141], -v[4:5]
	v_add_f64 v[2:3], v[2:3], v[4:5]
	v_mul_f64 v[4:5], v[44:45], v[174:175]
	v_fma_f64 v[4:5], v[42:43], v[176:177], -v[4:5]
	v_add_f64 v[2:3], v[2:3], v[4:5]
	v_mul_f64 v[4:5], v[48:49], v[144:145]
	v_fma_f64 v[4:5], v[46:47], v[148:149], -v[4:5]
	v_add_f64 v[2:3], v[2:3], v[4:5]
	v_mul_f64 v[4:5], v[52:53], v[178:179]
	v_fma_f64 v[4:5], v[50:51], v[180:181], -v[4:5]
	v_add_f64 v[2:3], v[2:3], v[4:5]
	v_mul_f64 v[4:5], v[56:57], v[152:153]
	v_fma_f64 v[4:5], v[54:55], v[156:157], -v[4:5]
	v_add_f64 v[2:3], v[2:3], v[4:5]
	v_mul_f64 v[4:5], v[226:227], v[182:183]
	v_fma_f64 v[4:5], v[224:225], v[184:185], -v[4:5]
	v_add_f64 v[2:3], v[2:3], v[4:5]
	v_mul_f64 v[4:5], v[64:65], v[160:161]
	v_fma_f64 v[4:5], v[62:63], v[164:165], -v[4:5]
	v_add_f64 v[2:3], v[2:3], v[4:5]
	v_mul_f64 v[4:5], v[230:231], v[186:187]
	v_fma_f64 v[4:5], v[228:229], v[188:189], -v[4:5]
	v_add_f64 v[2:3], v[2:3], v[4:5]
	v_mul_f64 v[4:5], v[72:73], v[168:169]
	v_fma_f64 v[4:5], v[70:71], v[172:173], -v[4:5]
	v_add_f64 v[2:3], v[2:3], v[4:5]
	v_mul_f64 v[4:5], v[76:77], v[12:13]
	v_fma_f64 v[4:5], v[74:75], v[126:127], -v[4:5]
	v_add_f64 v[2:3], v[2:3], v[4:5]
	v_mul_f64 v[4:5], v[80:81], v[196:197]
	v_fma_f64 v[4:5], v[78:79], v[198:199], -v[4:5]
	v_add_f64 v[2:3], v[2:3], v[4:5]
	v_mul_f64 v[4:5], v[84:85], v[200:201]
	v_fma_f64 v[4:5], v[82:83], v[206:207], -v[4:5]
	v_add_f64 v[2:3], v[2:3], v[4:5]
	v_mul_f64 v[4:5], v[88:89], v[194:195]
	v_fma_f64 v[4:5], v[86:87], v[204:205], -v[4:5]
	v_add_f64 v[2:3], v[2:3], v[4:5]
	v_mul_f64 v[4:5], v[92:93], v[202:203]
	v_fma_f64 v[4:5], v[90:91], v[208:209], -v[4:5]
	v_add_f64 v[2:3], v[2:3], v[4:5]
	v_mul_f64 v[4:5], v[100:101], v[212:213]
	v_fma_f64 v[4:5], v[98:99], v[214:215], -v[4:5]
	v_add_f64 v[2:3], v[2:3], v[4:5]
	s_waitcnt vmcnt(6) lgkmcnt(0)
	v_mul_f64 v[116:117], v[110:111], v[236:237]
	v_mul_f64 v[4:5], v[96:97], v[218:219]
	s_waitcnt vmcnt(4)
	v_fmac_f64_e32 v[116:117], v[112:113], v[238:239]
	v_add_f64 v[240:241], v[114:115], v[116:117]
	ds_read_b128 v[114:117], v1 offset:1840
	v_fma_f64 v[4:5], v[94:95], v[220:221], -v[4:5]
	v_add_f64 v[2:3], v[2:3], v[4:5]
	v_mul_f64 v[4:5], v[104:105], v[210:211]
	v_fma_f64 v[4:5], v[102:103], v[216:217], -v[4:5]
	s_waitcnt vmcnt(2) lgkmcnt(0)
	v_mul_f64 v[246:247], v[114:115], v[242:243]
	s_waitcnt vmcnt(0)
	v_fmac_f64_e32 v[246:247], v[116:117], v[244:245]
	v_add_f64 v[240:241], v[240:241], v[246:247]
	buffer_load_dword v248, off, s[0:3], 0 offset:256
	buffer_load_dword v249, off, s[0:3], 0 offset:260
	;; [unrolled: 1-line block ×4, first 2 shown]
	v_add_f64 v[2:3], v[2:3], v[4:5]
	v_mul_f64 v[4:5], v[108:109], v[222:223]
	v_fma_f64 v[4:5], v[106:107], v[234:235], -v[4:5]
	v_add_f64 v[2:3], v[2:3], v[4:5]
	v_mul_f64 v[4:5], v[112:113], v[236:237]
	v_fma_f64 v[4:5], v[110:111], v[238:239], -v[4:5]
	;; [unrolled: 3-line block ×3, first 2 shown]
	v_add_f64 v[2:3], v[2:3], v[4:5]
	s_waitcnt vmcnt(2)
	v_add_f64 v[2:3], v[248:249], -v[2:3]
	s_waitcnt vmcnt(0)
	v_add_f64 v[4:5], v[246:247], -v[240:241]
	buffer_store_dword v3, off, s[0:3], 0 offset:260
	buffer_store_dword v2, off, s[0:3], 0 offset:256
	;; [unrolled: 1-line block ×4, first 2 shown]
	s_and_saveexec_b64 s[4:5], vcc
	s_cbranch_execz .LBB121_333
; %bb.332:
	v_accvgpr_read_b32 v1, a159
	buffer_load_dword v2, v1, s[0:3], 0 offen
	buffer_load_dword v3, v1, s[0:3], 0 offen offset:4
	buffer_load_dword v4, v1, s[0:3], 0 offen offset:8
	buffer_load_dword v5, v1, s[0:3], 0 offen offset:12
	v_mov_b32_e32 v1, 0
	v_accvgpr_read_b32 v6, a173
	buffer_store_dword v1, off, s[0:3], 0 offset:240
	buffer_store_dword v1, off, s[0:3], 0 offset:244
	;; [unrolled: 1-line block ×4, first 2 shown]
	s_waitcnt vmcnt(4)
	ds_write_b128 v6, v[2:5]
.LBB121_333:
	s_or_b64 exec, exec, s[4:5]
	s_waitcnt lgkmcnt(0)
	; wave barrier
	s_waitcnt lgkmcnt(0)
	buffer_load_dword v50, off, s[0:3], 0 offset:256
	buffer_load_dword v51, off, s[0:3], 0 offset:260
	;; [unrolled: 1-line block ×54, first 2 shown]
	v_mov_b32_e32 v1, 0
	ds_read_b128 v[102:105], v1 offset:1168
	ds_read_b128 v[106:109], v1 offset:1184
	;; [unrolled: 1-line block ×9, first 2 shown]
	v_cmp_lt_u32_e32 vcc, 13, v0
	s_waitcnt vmcnt(46) lgkmcnt(7)
	v_mul_f64 v[4:5], v[106:107], v[58:59]
	v_fmac_f64_e32 v[4:5], v[108:109], v[52:53]
	s_waitcnt vmcnt(44) lgkmcnt(6)
	v_mul_f64 v[6:7], v[110:111], v[54:55]
	s_waitcnt vmcnt(42) lgkmcnt(4)
	v_mul_f64 v[10:11], v[206:207], v[210:211]
	s_waitcnt vmcnt(40)
	v_fmac_f64_e32 v[10:11], v[208:209], v[60:61]
	s_waitcnt vmcnt(38)
	v_mul_f64 v[8:9], v[114:115], v[64:65]
	s_waitcnt vmcnt(36) lgkmcnt(2)
	v_mul_f64 v[14:15], v[226:227], v[66:67]
	s_waitcnt vmcnt(34)
	v_fmac_f64_e32 v[14:15], v[228:229], v[70:71]
	s_waitcnt vmcnt(32)
	;; [unrolled: 6-line block ×3, first 2 shown]
	v_fmac_f64_e32 v[8:9], v[116:117], v[80:81]
	s_waitcnt vmcnt(24)
	v_fmac_f64_e32 v[12:13], v[224:225], v[78:79]
	s_waitcnt vmcnt(22)
	v_fmac_f64_e32 v[16:17], v[232:233], v[72:73]
	s_waitcnt vmcnt(0)
	v_pk_mov_b32 v[18:19], v[2:3], v[2:3] op_sel:[0,1]
	v_mul_f64 v[2:3], v[102:103], v[56:57]
	v_fmac_f64_e32 v[2:3], v[104:105], v[50:51]
	v_add_f64 v[2:3], v[2:3], 0
	v_add_f64 v[2:3], v[2:3], v[4:5]
	buffer_load_dword v5, off, s[0:3], 0 offset:484
	buffer_load_dword v4, off, s[0:3], 0 offset:480
	v_add_f64 v[2:3], v[2:3], v[6:7]
	v_add_f64 v[2:3], v[2:3], v[8:9]
	v_add_f64 v[2:3], v[2:3], v[10:11]
	v_add_f64 v[2:3], v[2:3], v[12:13]
	v_add_f64 v[2:3], v[2:3], v[14:15]
	v_add_f64 v[2:3], v[2:3], v[16:17]
	v_accvgpr_write_b32 a175, v19
	v_accvgpr_write_b32 a174, v18
	s_waitcnt vmcnt(0)
	v_pk_mov_b32 v[14:15], v[4:5], v[4:5] op_sel:[0,1]
	buffer_load_dword v63, off, s[0:3], 0 offset:476
	buffer_load_dword v62, off, s[0:3], 0 offset:472
	;; [unrolled: 1-line block ×6, first 2 shown]
	v_accvgpr_write_b32 a177, v15
	v_accvgpr_write_b32 a176, v14
	s_waitcnt vmcnt(0)
	v_pk_mov_b32 v[22:23], v[4:5], v[4:5] op_sel:[0,1]
	buffer_load_dword v5, off, s[0:3], 0 offset:516
	buffer_load_dword v4, off, s[0:3], 0 offset:512
	v_accvgpr_write_b32 a179, v23
	v_accvgpr_write_b32 a178, v22
	s_waitcnt vmcnt(0)
	v_pk_mov_b32 v[24:25], v[4:5], v[4:5] op_sel:[0,1]
	buffer_load_dword v139, off, s[0:3], 0 offset:508
	buffer_load_dword v138, off, s[0:3], 0 offset:504
	;; [unrolled: 1-line block ×52, first 2 shown]
	ds_read_b128 v[238:241], v1 offset:1312
	ds_read_b128 v[242:245], v1 offset:1328
	;; [unrolled: 1-line block ×7, first 2 shown]
	v_accvgpr_write_b32 a181, v25
	v_accvgpr_write_b32 a180, v24
	s_waitcnt lgkmcnt(2)
	v_mul_f64 v[8:9], v[118:119], v[62:63]
	v_fmac_f64_e32 v[8:9], v[120:121], v[212:213]
	s_waitcnt lgkmcnt(1)
	v_mul_f64 v[12:13], v[126:127], v[18:19]
	v_fmac_f64_e32 v[12:13], v[128:129], v[14:15]
	v_mul_f64 v[62:63], v[120:121], v[62:63]
	s_waitcnt vmcnt(44)
	v_pk_mov_b32 v[30:31], v[4:5], v[4:5] op_sel:[0,1]
	v_mul_f64 v[4:5], v[234:235], v[74:75]
	v_fmac_f64_e32 v[4:5], v[236:237], v[84:85]
	v_add_f64 v[2:3], v[2:3], v[4:5]
	v_mul_f64 v[4:5], v[238:239], v[90:91]
	v_fmac_f64_e32 v[4:5], v[240:241], v[92:93]
	v_add_f64 v[2:3], v[2:3], v[4:5]
	;; [unrolled: 3-line block ×5, first 2 shown]
	v_add_f64 v[10:11], v[6:7], v[8:9]
	v_add_f64 v[14:15], v[10:11], v[12:13]
	ds_read_b128 v[10:13], v1 offset:1424
	s_waitcnt lgkmcnt(1)
	v_mul_f64 v[16:17], v[122:123], v[138:139]
	v_fmac_f64_e32 v[16:17], v[124:125], v[142:143]
	v_add_f64 v[18:19], v[14:15], v[16:17]
	ds_read_b128 v[14:17], v1 offset:1440
	s_waitcnt lgkmcnt(1)
	v_mul_f64 v[20:21], v[10:11], v[22:23]
	v_fmac_f64_e32 v[20:21], v[12:13], v[24:25]
	v_add_f64 v[22:23], v[18:19], v[20:21]
	ds_read_b128 v[18:21], v1 offset:1456
	s_waitcnt vmcnt(42) lgkmcnt(1)
	v_mul_f64 v[24:25], v[14:15], v[146:147]
	s_waitcnt vmcnt(40)
	v_fmac_f64_e32 v[24:25], v[16:17], v[150:151]
	v_add_f64 v[26:27], v[22:23], v[24:25]
	ds_read_b128 v[22:25], v1 offset:1472
	s_waitcnt lgkmcnt(1)
	v_mul_f64 v[28:29], v[18:19], v[254:255]
	v_fmac_f64_e32 v[28:29], v[20:21], v[30:31]
	v_accvgpr_write_b32 a183, v31
	v_accvgpr_write_b32 a182, v30
	v_add_f64 v[30:31], v[26:27], v[28:29]
	ds_read_b128 v[26:29], v1 offset:1488
	s_waitcnt vmcnt(34) lgkmcnt(1)
	v_mul_f64 v[32:33], v[22:23], v[154:155]
	s_waitcnt vmcnt(32)
	v_fmac_f64_e32 v[32:33], v[24:25], v[158:159]
	v_add_f64 v[34:35], v[30:31], v[32:33]
	ds_read_b128 v[30:33], v1 offset:1504
	s_waitcnt lgkmcnt(1)
	v_mul_f64 v[36:37], v[26:27], v[130:131]
	v_fmac_f64_e32 v[36:37], v[28:29], v[132:133]
	v_add_f64 v[38:39], v[34:35], v[36:37]
	ds_read_b128 v[34:37], v1 offset:1520
	s_waitcnt vmcnt(26) lgkmcnt(1)
	v_mul_f64 v[40:41], v[30:31], v[162:163]
	s_waitcnt vmcnt(24)
	v_fmac_f64_e32 v[40:41], v[32:33], v[164:165]
	v_add_f64 v[42:43], v[38:39], v[40:41]
	ds_read_b128 v[38:41], v1 offset:1536
	s_waitcnt lgkmcnt(1)
	v_mul_f64 v[44:45], v[34:35], v[134:135]
	v_fmac_f64_e32 v[44:45], v[36:37], v[136:137]
	v_add_f64 v[46:47], v[42:43], v[44:45]
	ds_read_b128 v[42:45], v1 offset:1552
	buffer_load_dword v179, off, s[0:3], 0 offset:748
	buffer_load_dword v181, off, s[0:3], 0 offset:732
	;; [unrolled: 1-line block ×8, first 2 shown]
	s_waitcnt vmcnt(26) lgkmcnt(1)
	v_mul_f64 v[48:49], v[38:39], v[166:167]
	s_waitcnt vmcnt(24)
	v_fmac_f64_e32 v[48:49], v[40:41], v[168:169]
	v_add_f64 v[190:191], v[46:47], v[48:49]
	ds_read_b128 v[46:49], v1 offset:1568
	buffer_load_dword v187, off, s[0:3], 0 offset:764
	buffer_load_dword v186, off, s[0:3], 0 offset:760
	;; [unrolled: 1-line block ×4, first 2 shown]
	s_waitcnt lgkmcnt(1)
	v_mul_f64 v[192:193], v[42:43], v[140:141]
	v_fmac_f64_e32 v[192:193], v[44:45], v[144:145]
	v_add_f64 v[2:3], v[190:191], v[192:193]
	buffer_load_dword v191, off, s[0:3], 0 offset:780
	buffer_load_dword v190, off, s[0:3], 0 offset:776
	;; [unrolled: 1-line block ×12, first 2 shown]
	v_mul_f64 v[4:5], v[104:105], v[56:57]
	v_fma_f64 v[6:7], v[102:103], v[50:51], -v[4:5]
	v_mul_f64 v[50:51], v[108:109], v[58:59]
	v_fma_f64 v[102:103], v[106:107], v[52:53], -v[50:51]
	;; [unrolled: 2-line block ×3, first 2 shown]
	buffer_load_dword v203, off, s[0:3], 0 offset:828
	buffer_load_dword v202, off, s[0:3], 0 offset:824
	;; [unrolled: 1-line block ×4, first 2 shown]
	v_mul_f64 v[50:51], v[116:117], v[64:65]
	v_fma_f64 v[80:81], v[114:115], v[80:81], -v[50:51]
	v_mul_f64 v[50:51], v[208:209], v[210:211]
	buffer_load_dword v209, off, s[0:3], 0 offset:844
	buffer_load_dword v208, off, s[0:3], 0 offset:840
	;; [unrolled: 1-line block ×4, first 2 shown]
	v_fma_f64 v[4:5], v[206:207], v[60:61], -v[50:51]
	buffer_load_dword v207, off, s[0:3], 0 offset:876
	buffer_load_dword v65, off, s[0:3], 0 offset:860
	;; [unrolled: 1-line block ×12, first 2 shown]
	ds_read_b128 v[50:53], v1 offset:1584
	v_mul_f64 v[54:55], v[224:225], v[76:77]
	v_fma_f64 v[78:79], v[222:223], v[78:79], -v[54:55]
	ds_read_b128 v[54:57], v1 offset:1600
	s_waitcnt vmcnt(54) lgkmcnt(2)
	v_mul_f64 v[8:9], v[46:47], v[170:171]
	s_waitcnt vmcnt(52)
	v_fmac_f64_e32 v[8:9], v[48:49], v[172:173]
	v_add_f64 v[2:3], v[2:3], v[8:9]
	s_waitcnt lgkmcnt(1)
	v_mul_f64 v[8:9], v[50:51], v[148:149]
	v_fmac_f64_e32 v[8:9], v[52:53], v[152:153]
	v_add_f64 v[2:3], v[2:3], v[8:9]
	s_waitcnt vmcnt(46) lgkmcnt(0)
	v_mul_f64 v[8:9], v[54:55], v[174:175]
	s_waitcnt vmcnt(44)
	v_fmac_f64_e32 v[8:9], v[56:57], v[176:177]
	ds_read_b128 v[58:61], v1 offset:1616
	v_add_f64 v[2:3], v[2:3], v[8:9]
	v_mul_f64 v[8:9], v[228:229], v[66:67]
	v_fma_f64 v[8:9], v[226:227], v[70:71], -v[8:9]
	ds_read_b128 v[224:227], v1 offset:1632
	v_mul_f64 v[66:67], v[232:233], v[68:69]
	v_fma_f64 v[232:233], v[230:231], v[72:73], -v[66:67]
	ds_read_b128 v[66:69], v1 offset:1648
	s_waitcnt lgkmcnt(2)
	v_mul_f64 v[70:71], v[58:59], v[156:157]
	v_fmac_f64_e32 v[70:71], v[60:61], v[160:161]
	v_add_f64 v[2:3], v[2:3], v[70:71]
	v_mul_f64 v[74:75], v[236:237], v[74:75]
	v_fma_f64 v[222:223], v[234:235], v[84:85], -v[74:75]
	ds_read_b128 v[74:77], v1 offset:1680
	v_mul_f64 v[84:85], v[240:241], v[90:91]
	v_fma_f64 v[240:241], v[238:239], v[92:93], -v[84:85]
	v_mul_f64 v[86:87], v[244:245], v[86:87]
	v_fma_f64 v[234:235], v[242:243], v[88:89], -v[86:87]
	;; [unrolled: 2-line block ×3, first 2 shown]
	v_fma_f64 v[250:251], v[118:119], v[212:213], -v[62:63]
	v_add_f64 v[6:7], v[6:7], 0
	v_add_f64 v[6:7], v[6:7], v[102:103]
	ds_read_b128 v[228:231], v1 offset:1696
	v_add_f64 v[6:7], v[6:7], v[104:105]
	v_add_f64 v[6:7], v[6:7], v[80:81]
	;; [unrolled: 1-line block ×9, first 2 shown]
	v_accvgpr_read_b32 v6, a174
	ds_read_b128 v[86:89], v1 offset:1728
	v_accvgpr_read_b32 v7, a175
	v_accvgpr_read_b32 v8, a176
	v_mul_f64 v[6:7], v[128:129], v[6:7]
	s_waitcnt vmcnt(41) lgkmcnt(4)
	v_mul_f64 v[70:71], v[224:225], v[180:181]
	v_accvgpr_read_b32 v9, a177
	s_waitcnt vmcnt(39)
	v_fmac_f64_e32 v[70:71], v[226:227], v[184:185]
	v_add_f64 v[2:3], v[2:3], v[70:71]
	s_waitcnt vmcnt(38) lgkmcnt(3)
	v_mul_f64 v[70:71], v[66:67], v[178:179]
	s_waitcnt vmcnt(36)
	v_fmac_f64_e32 v[70:71], v[68:69], v[182:183]
	v_add_f64 v[2:3], v[2:3], v[70:71]
	ds_read_b128 v[70:73], v1 offset:1664
	ds_read_b128 v[94:97], v1 offset:1760
	v_fma_f64 v[6:7], v[126:127], v[8:9], -v[6:7]
	v_accvgpr_read_b32 v8, a180
	ds_read_b128 v[118:121], v1 offset:1792
	s_waitcnt vmcnt(34) lgkmcnt(2)
	v_mul_f64 v[82:83], v[70:71], v[186:187]
	s_waitcnt vmcnt(32)
	v_fmac_f64_e32 v[82:83], v[72:73], v[188:189]
	v_add_f64 v[2:3], v[2:3], v[82:83]
	s_waitcnt vmcnt(30)
	v_mul_f64 v[82:83], v[74:75], v[190:191]
	s_waitcnt vmcnt(28)
	v_fmac_f64_e32 v[82:83], v[76:77], v[194:195]
	v_add_f64 v[2:3], v[2:3], v[82:83]
	s_waitcnt vmcnt(26)
	v_mul_f64 v[82:83], v[228:229], v[192:193]
	s_waitcnt vmcnt(24)
	v_fmac_f64_e32 v[82:83], v[230:231], v[196:197]
	v_add_f64 v[2:3], v[2:3], v[82:83]
	ds_read_b128 v[82:85], v1 offset:1712
	s_waitcnt vmcnt(9) lgkmcnt(2)
	v_mul_f64 v[62:63], v[94:95], v[64:65]
	s_waitcnt vmcnt(7)
	v_fmac_f64_e32 v[62:63], v[96:97], v[218:219]
	v_accvgpr_read_b32 v9, a181
	s_waitcnt lgkmcnt(0)
	v_mul_f64 v[90:91], v[82:83], v[198:199]
	v_fmac_f64_e32 v[90:91], v[84:85], v[200:201]
	v_add_f64 v[106:107], v[2:3], v[90:91]
	v_mul_f64 v[90:91], v[248:249], v[98:99]
	v_fma_f64 v[246:247], v[246:247], v[100:101], -v[90:91]
	ds_read_b128 v[90:93], v1 offset:1744
	v_mul_f64 v[98:99], v[86:87], v[202:203]
	v_fmac_f64_e32 v[98:99], v[88:89], v[204:205]
	buffer_load_dword v2, off, s[0:3], 0 offset:904
	v_add_f64 v[98:99], v[106:107], v[98:99]
	s_waitcnt lgkmcnt(0)
	v_mul_f64 v[100:101], v[90:91], v[208:209]
	v_fmac_f64_e32 v[100:101], v[92:93], v[210:211]
	v_add_f64 v[106:107], v[98:99], v[100:101]
	ds_read_b128 v[98:101], v1 offset:1776
	buffer_load_dword v212, off, s[0:3], 0 offset:896
	buffer_load_dword v3, off, s[0:3], 0 offset:908
	;; [unrolled: 1-line block ×3, first 2 shown]
	v_add_f64 v[62:63], v[106:107], v[62:63]
	v_add_f64 v[4:5], v[4:5], v[246:247]
	;; [unrolled: 1-line block ×3, first 2 shown]
	s_waitcnt vmcnt(10) lgkmcnt(0)
	v_mul_f64 v[106:107], v[98:99], v[206:207]
	s_waitcnt vmcnt(8)
	v_fmac_f64_e32 v[106:107], v[100:101], v[216:217]
	v_add_f64 v[62:63], v[62:63], v[106:107]
	s_waitcnt vmcnt(6)
	v_mul_f64 v[106:107], v[118:119], v[214:215]
	s_waitcnt vmcnt(4)
	v_fmac_f64_e32 v[106:107], v[120:121], v[220:221]
	v_add_f64 v[62:63], v[62:63], v[106:107]
	ds_read_b128 v[106:109], v1 offset:1808
	buffer_load_dword v237, off, s[0:3], 0 offset:924
	buffer_load_dword v236, off, s[0:3], 0 offset:920
	;; [unrolled: 1-line block ×4, first 2 shown]
	v_add_f64 v[4:5], v[252:253], v[250:251]
	v_add_f64 v[4:5], v[4:5], v[6:7]
	v_mul_f64 v[6:7], v[124:125], v[138:139]
	v_fma_f64 v[6:7], v[122:123], v[142:143], -v[6:7]
	v_add_f64 v[4:5], v[4:5], v[6:7]
	v_accvgpr_read_b32 v6, a178
	v_accvgpr_read_b32 v7, a179
	v_mul_f64 v[6:7], v[12:13], v[6:7]
	v_fma_f64 v[6:7], v[10:11], v[8:9], -v[6:7]
	v_add_f64 v[4:5], v[4:5], v[6:7]
	v_mul_f64 v[6:7], v[16:17], v[146:147]
	v_fma_f64 v[6:7], v[14:15], v[150:151], -v[6:7]
	v_accvgpr_read_b32 v8, a182
	v_add_f64 v[4:5], v[4:5], v[6:7]
	v_mul_f64 v[6:7], v[20:21], v[254:255]
	v_accvgpr_read_b32 v9, a183
	v_fma_f64 v[6:7], v[18:19], v[8:9], -v[6:7]
	v_add_f64 v[4:5], v[4:5], v[6:7]
	v_mul_f64 v[6:7], v[24:25], v[154:155]
	v_fma_f64 v[6:7], v[22:23], v[158:159], -v[6:7]
	v_add_f64 v[4:5], v[4:5], v[6:7]
	v_mul_f64 v[6:7], v[28:29], v[130:131]
	;; [unrolled: 3-line block ×17, first 2 shown]
	s_waitcnt vmcnt(5) lgkmcnt(0)
	v_mul_f64 v[110:111], v[106:107], v[2:3]
	s_waitcnt vmcnt(4)
	v_fmac_f64_e32 v[110:111], v[108:109], v[212:213]
	v_add_f64 v[62:63], v[62:63], v[110:111]
	ds_read_b128 v[110:113], v1 offset:1824
	buffer_load_dword v242, off, s[0:3], 0 offset:936
	buffer_load_dword v243, off, s[0:3], 0 offset:940
	;; [unrolled: 1-line block ×4, first 2 shown]
	v_fma_f64 v[6:7], v[86:87], v[204:205], -v[6:7]
	v_add_f64 v[4:5], v[4:5], v[6:7]
	v_mul_f64 v[6:7], v[92:93], v[208:209]
	v_fma_f64 v[6:7], v[90:91], v[210:211], -v[6:7]
	v_add_f64 v[4:5], v[4:5], v[6:7]
	s_waitcnt vmcnt(6) lgkmcnt(0)
	v_mul_f64 v[114:115], v[110:111], v[236:237]
	v_mul_f64 v[6:7], v[96:97], v[64:65]
	s_waitcnt vmcnt(4)
	v_fmac_f64_e32 v[114:115], v[112:113], v[238:239]
	v_add_f64 v[62:63], v[62:63], v[114:115]
	ds_read_b128 v[114:117], v1 offset:1840
	v_fma_f64 v[6:7], v[94:95], v[218:219], -v[6:7]
	v_add_f64 v[4:5], v[4:5], v[6:7]
	v_mul_f64 v[6:7], v[100:101], v[206:207]
	v_fma_f64 v[6:7], v[98:99], v[216:217], -v[6:7]
	v_add_f64 v[4:5], v[4:5], v[6:7]
	v_mul_f64 v[6:7], v[120:121], v[214:215]
	v_fma_f64 v[6:7], v[118:119], v[220:221], -v[6:7]
	v_mul_f64 v[2:3], v[108:109], v[2:3]
	v_add_f64 v[4:5], v[4:5], v[6:7]
	v_fma_f64 v[2:3], v[106:107], v[212:213], -v[2:3]
	v_add_f64 v[2:3], v[4:5], v[2:3]
	v_mul_f64 v[4:5], v[112:113], v[236:237]
	v_fma_f64 v[4:5], v[110:111], v[238:239], -v[4:5]
	v_add_f64 v[2:3], v[2:3], v[4:5]
	s_waitcnt vmcnt(2) lgkmcnt(0)
	v_mul_f64 v[248:249], v[114:115], v[242:243]
	v_mul_f64 v[4:5], v[116:117], v[242:243]
	s_waitcnt vmcnt(0)
	v_fmac_f64_e32 v[248:249], v[116:117], v[244:245]
	v_add_f64 v[62:63], v[62:63], v[248:249]
	buffer_load_dword v248, off, s[0:3], 0 offset:240
	buffer_load_dword v249, off, s[0:3], 0 offset:244
	;; [unrolled: 1-line block ×4, first 2 shown]
	v_fma_f64 v[4:5], v[114:115], v[244:245], -v[4:5]
	v_add_f64 v[2:3], v[2:3], v[4:5]
	s_waitcnt vmcnt(2)
	v_add_f64 v[2:3], v[248:249], -v[2:3]
	s_waitcnt vmcnt(0)
	v_add_f64 v[4:5], v[246:247], -v[62:63]
	buffer_store_dword v3, off, s[0:3], 0 offset:244
	buffer_store_dword v2, off, s[0:3], 0 offset:240
	;; [unrolled: 1-line block ×4, first 2 shown]
	s_and_saveexec_b64 s[4:5], vcc
	s_cbranch_execz .LBB121_335
; %bb.334:
	v_accvgpr_read_b32 v5, a160
	buffer_load_dword v2, v5, s[0:3], 0 offen
	buffer_load_dword v3, v5, s[0:3], 0 offen offset:4
	buffer_load_dword v4, v5, s[0:3], 0 offen offset:8
	s_nop 0
	buffer_load_dword v5, v5, s[0:3], 0 offen offset:12
	v_accvgpr_read_b32 v6, a173
	buffer_store_dword v1, off, s[0:3], 0 offset:224
	buffer_store_dword v1, off, s[0:3], 0 offset:228
	;; [unrolled: 1-line block ×4, first 2 shown]
	s_waitcnt vmcnt(4)
	ds_write_b128 v6, v[2:5]
.LBB121_335:
	s_or_b64 exec, exec, s[4:5]
	s_waitcnt lgkmcnt(0)
	; wave barrier
	s_waitcnt lgkmcnt(0)
	buffer_load_dword v184, off, s[0:3], 0 offset:240
	buffer_load_dword v185, off, s[0:3], 0 offset:244
	buffer_load_dword v192, off, s[0:3], 0 offset:248
	buffer_load_dword v193, off, s[0:3], 0 offset:252
	buffer_load_dword v194, off, s[0:3], 0 offset:256
	buffer_load_dword v195, off, s[0:3], 0 offset:260
	buffer_load_dword v196, off, s[0:3], 0 offset:264
	buffer_load_dword v197, off, s[0:3], 0 offset:268
	buffer_load_dword v200, off, s[0:3], 0 offset:280
	buffer_load_dword v201, off, s[0:3], 0 offset:284
	buffer_load_dword v211, off, s[0:3], 0 offset:316
	buffer_load_dword v210, off, s[0:3], 0 offset:312
	buffer_load_dword v213, off, s[0:3], 0 offset:308
	buffer_load_dword v212, off, s[0:3], 0 offset:304
	buffer_load_dword v203, off, s[0:3], 0 offset:300
	buffer_load_dword v202, off, s[0:3], 0 offset:296
	buffer_load_dword v105, off, s[0:3], 0 offset:348
	buffer_load_dword v104, off, s[0:3], 0 offset:344
	buffer_load_dword v109, off, s[0:3], 0 offset:340
	buffer_load_dword v108, off, s[0:3], 0 offset:336
	buffer_load_dword v113, off, s[0:3], 0 offset:332
	buffer_load_dword v112, off, s[0:3], 0 offset:328
	buffer_load_dword v107, off, s[0:3], 0 offset:364
	buffer_load_dword v106, off, s[0:3], 0 offset:360
	buffer_load_dword v198, off, s[0:3], 0 offset:272
	buffer_load_dword v199, off, s[0:3], 0 offset:276
	buffer_load_dword v117, off, s[0:3], 0 offset:292
	buffer_load_dword v116, off, s[0:3], 0 offset:288
	buffer_load_dword v115, off, s[0:3], 0 offset:324
	buffer_load_dword v114, off, s[0:3], 0 offset:320
	buffer_load_dword v111, off, s[0:3], 0 offset:356
	buffer_load_dword v110, off, s[0:3], 0 offset:352
	buffer_load_dword v102, off, s[0:3], 0 offset:376
	buffer_load_dword v222, off, s[0:3], 0 offset:368
	buffer_load_dword v223, off, s[0:3], 0 offset:372
	buffer_load_dword v103, off, s[0:3], 0 offset:380
	ds_read_b128 v[82:85], v1 offset:1152
	ds_read_b128 v[78:81], v1 offset:1168
	;; [unrolled: 1-line block ×9, first 2 shown]
	buffer_load_dword v235, off, s[0:3], 0 offset:412
	buffer_load_dword v234, off, s[0:3], 0 offset:408
	;; [unrolled: 1-line block ×19, first 2 shown]
	v_cmp_lt_u32_e32 vcc, 12, v0
	s_waitcnt vmcnt(51) lgkmcnt(8)
	v_mul_f64 v[2:3], v[82:83], v[192:193]
	v_fmac_f64_e32 v[2:3], v[84:85], v[184:185]
	v_add_f64 v[2:3], v[2:3], 0
	s_waitcnt vmcnt(47) lgkmcnt(7)
	v_mul_f64 v[4:5], v[78:79], v[196:197]
	v_fmac_f64_e32 v[4:5], v[80:81], v[194:195]
	v_add_f64 v[2:3], v[2:3], v[4:5]
	buffer_load_dword v244, off, s[0:3], 0 offset:464
	buffer_load_dword v99, off, s[0:3], 0 offset:460
	;; [unrolled: 1-line block ×7, first 2 shown]
	s_waitcnt vmcnt(52) lgkmcnt(6)
	v_mul_f64 v[6:7], v[74:75], v[200:201]
	s_waitcnt vmcnt(50) lgkmcnt(4)
	v_mul_f64 v[10:11], v[62:63], v[210:211]
	s_waitcnt vmcnt(48)
	v_fmac_f64_e32 v[10:11], v[64:65], v[212:213]
	v_mul_f64 v[80:81], v[80:81], v[196:197]
	s_waitcnt vmcnt(46)
	v_mul_f64 v[8:9], v[70:71], v[202:203]
	v_fma_f64 v[78:79], v[78:79], v[194:195], -v[80:81]
	s_waitcnt vmcnt(44) lgkmcnt(2)
	v_mul_f64 v[14:15], v[54:55], v[104:105]
	v_mul_f64 v[64:65], v[64:65], v[210:211]
	s_waitcnt vmcnt(42)
	v_fmac_f64_e32 v[14:15], v[56:57], v[108:109]
	v_fma_f64 v[210:211], v[62:63], v[212:213], -v[64:65]
	s_waitcnt vmcnt(40)
	v_mul_f64 v[12:13], v[50:51], v[112:113]
	s_waitcnt vmcnt(38) lgkmcnt(1)
	v_mul_f64 v[16:17], v[58:59], v[106:107]
	s_waitcnt vmcnt(36)
	v_fmac_f64_e32 v[6:7], v[76:77], v[198:199]
	v_add_f64 v[2:3], v[2:3], v[6:7]
	s_waitcnt vmcnt(34)
	v_fmac_f64_e32 v[8:9], v[72:73], v[116:117]
	v_add_f64 v[2:3], v[2:3], v[8:9]
	;; [unrolled: 3-line block ×3, first 2 shown]
	v_add_f64 v[2:3], v[2:3], v[12:13]
	s_waitcnt vmcnt(30)
	v_fmac_f64_e32 v[16:17], v[60:61], v[110:111]
	v_add_f64 v[2:3], v[2:3], v[14:15]
	v_add_f64 v[2:3], v[2:3], v[16:17]
	v_mul_f64 v[76:77], v[76:77], v[200:201]
	v_fma_f64 v[80:81], v[74:75], v[198:199], -v[76:77]
	v_mul_f64 v[72:73], v[72:73], v[202:203]
	v_mul_f64 v[52:53], v[52:53], v[112:113]
	;; [unrolled: 1-line block ×3, first 2 shown]
	v_fma_f64 v[116:117], v[70:71], v[116:117], -v[72:73]
	s_waitcnt vmcnt(0)
	v_pk_mov_b32 v[18:19], v[4:5], v[4:5] op_sel:[0,1]
	buffer_load_dword v5, off, s[0:3], 0 offset:500
	buffer_load_dword v4, off, s[0:3], 0 offset:496
	v_accvgpr_write_b32 a175, v19
	v_accvgpr_write_b32 a174, v18
	s_waitcnt vmcnt(0)
	v_pk_mov_b32 v[20:21], v[4:5], v[4:5] op_sel:[0,1]
	buffer_load_dword v135, off, s[0:3], 0 offset:492
	buffer_load_dword v134, off, s[0:3], 0 offset:488
	;; [unrolled: 1-line block ×6, first 2 shown]
	v_accvgpr_write_b32 a177, v21
	v_accvgpr_write_b32 a176, v20
	s_waitcnt vmcnt(0)
	v_pk_mov_b32 v[26:27], v[4:5], v[4:5] op_sel:[0,1]
	buffer_load_dword v5, off, s[0:3], 0 offset:532
	buffer_load_dword v4, off, s[0:3], 0 offset:528
	v_accvgpr_write_b32 a179, v27
	v_accvgpr_write_b32 a178, v26
	s_waitcnt vmcnt(0)
	v_pk_mov_b32 v[28:29], v[4:5], v[4:5] op_sel:[0,1]
	buffer_load_dword v143, off, s[0:3], 0 offset:524
	buffer_load_dword v142, off, s[0:3], 0 offset:520
	;; [unrolled: 1-line block ×6, first 2 shown]
	v_accvgpr_write_b32 a181, v29
	v_accvgpr_write_b32 a180, v28
	s_waitcnt vmcnt(0)
	v_pk_mov_b32 v[34:35], v[4:5], v[4:5] op_sel:[0,1]
	buffer_load_dword v5, off, s[0:3], 0 offset:564
	buffer_load_dword v4, off, s[0:3], 0 offset:560
	;; [unrolled: 1-line block ×38, first 2 shown]
	ds_read_b128 v[224:227], v1 offset:1296
	ds_read_b128 v[228:231], v1 offset:1312
	;; [unrolled: 1-line block ×9, first 2 shown]
	v_accvgpr_write_b32 a183, v35
	s_waitcnt lgkmcnt(3)
	v_mul_f64 v[8:9], v[94:95], v[242:243]
	v_fmac_f64_e32 v[8:9], v[96:97], v[244:245]
	s_waitcnt lgkmcnt(2)
	v_mul_f64 v[12:13], v[130:131], v[134:135]
	v_fmac_f64_e32 v[12:13], v[132:133], v[138:139]
	;; [unrolled: 3-line block ×3, first 2 shown]
	v_accvgpr_write_b32 a182, v34
	v_mul_f64 v[70:71], v[226:227], v[238:239]
	v_mul_f64 v[96:97], v[96:97], v[242:243]
	s_waitcnt vmcnt(36)
	v_pk_mov_b32 v[36:37], v[4:5], v[4:5] op_sel:[0,1]
	v_mul_f64 v[4:5], v[66:67], v[102:103]
	v_fmac_f64_e32 v[4:5], v[68:69], v[222:223]
	v_add_f64 v[2:3], v[2:3], v[4:5]
	v_mul_f64 v[4:5], v[224:225], v[238:239]
	v_fmac_f64_e32 v[4:5], v[226:227], v[240:241]
	v_add_f64 v[2:3], v[2:3], v[4:5]
	;; [unrolled: 3-line block ×6, first 2 shown]
	v_add_f64 v[10:11], v[6:7], v[8:9]
	v_add_f64 v[14:15], v[10:11], v[12:13]
	;; [unrolled: 1-line block ×3, first 2 shown]
	ds_read_b128 v[14:17], v1 offset:1440
	s_waitcnt lgkmcnt(1)
	v_mul_f64 v[20:21], v[122:123], v[142:143]
	v_fmac_f64_e32 v[20:21], v[124:125], v[146:147]
	v_add_f64 v[22:23], v[18:19], v[20:21]
	ds_read_b128 v[18:21], v1 offset:1456
	s_waitcnt lgkmcnt(1)
	v_mul_f64 v[24:25], v[14:15], v[26:27]
	v_fmac_f64_e32 v[24:25], v[16:17], v[28:29]
	v_add_f64 v[26:27], v[22:23], v[24:25]
	ds_read_b128 v[22:25], v1 offset:1472
	s_waitcnt vmcnt(34) lgkmcnt(1)
	v_mul_f64 v[28:29], v[18:19], v[150:151]
	s_waitcnt vmcnt(32)
	v_fmac_f64_e32 v[28:29], v[20:21], v[154:155]
	v_add_f64 v[30:31], v[26:27], v[28:29]
	ds_read_b128 v[26:29], v1 offset:1488
	s_waitcnt lgkmcnt(1)
	v_mul_f64 v[32:33], v[22:23], v[34:35]
	v_fmac_f64_e32 v[32:33], v[24:25], v[36:37]
	v_accvgpr_write_b32 a185, v37
	v_accvgpr_write_b32 a184, v36
	v_add_f64 v[34:35], v[30:31], v[32:33]
	ds_read_b128 v[30:33], v1 offset:1504
	s_waitcnt vmcnt(26) lgkmcnt(1)
	v_mul_f64 v[36:37], v[26:27], v[158:159]
	s_waitcnt vmcnt(24)
	v_fmac_f64_e32 v[36:37], v[28:29], v[160:161]
	v_add_f64 v[38:39], v[34:35], v[36:37]
	ds_read_b128 v[34:37], v1 offset:1520
	s_waitcnt lgkmcnt(1)
	v_mul_f64 v[40:41], v[30:31], v[232:233]
	v_fmac_f64_e32 v[40:41], v[32:33], v[254:255]
	v_add_f64 v[42:43], v[38:39], v[40:41]
	ds_read_b128 v[38:41], v1 offset:1536
	s_waitcnt vmcnt(18) lgkmcnt(1)
	v_mul_f64 v[44:45], v[34:35], v[162:163]
	s_waitcnt vmcnt(16)
	v_fmac_f64_e32 v[44:45], v[36:37], v[164:165]
	v_add_f64 v[46:47], v[42:43], v[44:45]
	ds_read_b128 v[42:45], v1 offset:1552
	buffer_load_dword v175, off, s[0:3], 0 offset:716
	buffer_load_dword v174, off, s[0:3], 0 offset:712
	;; [unrolled: 1-line block ×4, first 2 shown]
	s_waitcnt lgkmcnt(1)
	v_mul_f64 v[48:49], v[38:39], v[136:137]
	v_fmac_f64_e32 v[48:49], v[40:41], v[140:141]
	v_add_f64 v[178:179], v[46:47], v[48:49]
	ds_read_b128 v[46:49], v1 offset:1568
	buffer_load_dword v181, off, s[0:3], 0 offset:732
	buffer_load_dword v180, off, s[0:3], 0 offset:728
	;; [unrolled: 1-line block ×4, first 2 shown]
	s_waitcnt vmcnt(18) lgkmcnt(1)
	v_mul_f64 v[186:187], v[42:43], v[166:167]
	s_waitcnt vmcnt(16)
	v_fmac_f64_e32 v[186:187], v[44:45], v[168:169]
	v_add_f64 v[2:3], v[178:179], v[186:187]
	buffer_load_dword v179, off, s[0:3], 0 offset:764
	buffer_load_dword v187, off, s[0:3], 0 offset:748
	;; [unrolled: 1-line block ×8, first 2 shown]
	v_mul_f64 v[4:5], v[84:85], v[192:193]
	v_fma_f64 v[10:11], v[82:83], v[184:185], -v[4:5]
	buffer_load_dword v184, off, s[0:3], 0 offset:792
	buffer_load_dword v193, off, s[0:3], 0 offset:780
	;; [unrolled: 1-line block ×20, first 2 shown]
	s_waitcnt lgkmcnt(0)
	v_mul_f64 v[8:9], v[46:47], v[144:145]
	v_fmac_f64_e32 v[8:9], v[48:49], v[148:149]
	v_fma_f64 v[6:7], v[50:51], v[114:115], -v[52:53]
	buffer_load_dword v213, off, s[0:3], 0 offset:860
	buffer_load_dword v212, off, s[0:3], 0 offset:856
	;; [unrolled: 1-line block ×12, first 2 shown]
	v_add_f64 v[2:3], v[2:3], v[8:9]
	ds_read_b128 v[50:53], v1 offset:1584
	v_mul_f64 v[8:9], v[56:57], v[104:105]
	v_fma_f64 v[8:9], v[54:55], v[108:109], -v[8:9]
	ds_read_b128 v[54:57], v1 offset:1600
	v_fma_f64 v[4:5], v[58:59], v[110:111], -v[60:61]
	ds_read_b128 v[58:61], v1 offset:1616
	s_waitcnt vmcnt(50) lgkmcnt(2)
	v_mul_f64 v[62:63], v[50:51], v[170:171]
	s_waitcnt vmcnt(48)
	v_fmac_f64_e32 v[62:63], v[52:53], v[172:173]
	s_waitcnt lgkmcnt(1)
	v_mul_f64 v[12:13], v[54:55], v[152:153]
	v_add_f64 v[2:3], v[2:3], v[62:63]
	ds_read_b128 v[62:65], v1 offset:1632
	v_fmac_f64_e32 v[12:13], v[56:57], v[156:157]
	v_add_f64 v[2:3], v[2:3], v[12:13]
	v_fma_f64 v[240:241], v[224:225], v[240:241], -v[70:71]
	v_mul_f64 v[82:83], v[230:231], v[234:235]
	v_mul_f64 v[88:89], v[88:89], v[246:247]
	v_fma_f64 v[246:247], v[86:87], v[248:249], -v[88:89]
	ds_read_b128 v[86:89], v1 offset:1744
	v_mul_f64 v[92:93], v[92:93], v[98:99]
	v_add_f64 v[10:11], v[10:11], 0
	v_add_f64 v[10:11], v[10:11], v[78:79]
	;; [unrolled: 1-line block ×8, first 2 shown]
	v_mul_f64 v[6:7], v[132:133], v[134:135]
	v_fma_f64 v[6:7], v[130:131], v[138:139], -v[6:7]
	v_accvgpr_read_b32 v8, a176
	v_accvgpr_read_b32 v9, a177
	ds_read_b128 v[70:73], v1 offset:1664
	ds_read_b128 v[224:227], v1 offset:1728
	s_waitcnt vmcnt(46) lgkmcnt(4)
	v_mul_f64 v[12:13], v[58:59], v[174:175]
	s_waitcnt vmcnt(44)
	v_fmac_f64_e32 v[12:13], v[60:61], v[176:177]
	v_add_f64 v[2:3], v[2:3], v[12:13]
	v_mul_f64 v[12:13], v[68:69], v[102:103]
	v_fma_f64 v[12:13], v[66:67], v[222:223], -v[12:13]
	ds_read_b128 v[66:69], v1 offset:1648
	s_waitcnt vmcnt(42) lgkmcnt(4)
	v_mul_f64 v[74:75], v[62:63], v[180:181]
	s_waitcnt vmcnt(40)
	v_fmac_f64_e32 v[74:75], v[64:65], v[182:183]
	v_add_f64 v[2:3], v[2:3], v[74:75]
	v_fma_f64 v[222:223], v[228:229], v[236:237], -v[82:83]
	s_waitcnt vmcnt(37) lgkmcnt(0)
	v_mul_f64 v[74:75], v[66:67], v[186:187]
	s_waitcnt vmcnt(35)
	v_fmac_f64_e32 v[74:75], v[68:69], v[190:191]
	v_add_f64 v[2:3], v[2:3], v[74:75]
	s_waitcnt vmcnt(34)
	v_mul_f64 v[74:75], v[70:71], v[178:179]
	s_waitcnt vmcnt(32)
	v_fmac_f64_e32 v[74:75], v[72:73], v[188:189]
	v_add_f64 v[2:3], v[2:3], v[74:75]
	ds_read_b128 v[74:77], v1 offset:1680
	ds_read_b128 v[228:231], v1 offset:1696
	v_add_f64 v[4:5], v[4:5], v[12:13]
	v_add_f64 v[4:5], v[4:5], v[240:241]
	;; [unrolled: 1-line block ×3, first 2 shown]
	s_waitcnt vmcnt(29) lgkmcnt(1)
	v_mul_f64 v[82:83], v[74:75], v[192:193]
	s_waitcnt vmcnt(27)
	v_fmac_f64_e32 v[82:83], v[76:77], v[196:197]
	v_add_f64 v[2:3], v[2:3], v[82:83]
	v_mul_f64 v[82:83], v[120:121], v[250:251]
	v_fma_f64 v[118:119], v[118:119], v[252:253], -v[82:83]
	ds_read_b128 v[82:85], v1 offset:1712
	s_waitcnt vmcnt(25) lgkmcnt(1)
	v_mul_f64 v[102:103], v[228:229], v[184:185]
	s_waitcnt vmcnt(24)
	v_fmac_f64_e32 v[102:103], v[230:231], v[194:195]
	v_add_f64 v[2:3], v[2:3], v[102:103]
	v_fma_f64 v[250:251], v[90:91], v[100:101], -v[92:93]
	s_waitcnt vmcnt(21) lgkmcnt(0)
	v_mul_f64 v[102:103], v[82:83], v[200:201]
	s_waitcnt vmcnt(19)
	v_fmac_f64_e32 v[102:103], v[84:85], v[206:207]
	v_add_f64 v[2:3], v[2:3], v[102:103]
	s_waitcnt vmcnt(18)
	v_mul_f64 v[102:103], v[224:225], v[198:199]
	s_waitcnt vmcnt(16)
	v_fmac_f64_e32 v[102:103], v[226:227], v[204:205]
	v_add_f64 v[2:3], v[2:3], v[102:103]
	ds_read_b128 v[98:101], v1 offset:1760
	s_waitcnt vmcnt(14)
	v_mul_f64 v[102:103], v[86:87], v[202:203]
	s_waitcnt vmcnt(12)
	v_fmac_f64_e32 v[102:103], v[88:89], v[208:209]
	v_add_f64 v[2:3], v[2:3], v[102:103]
	ds_read_b128 v[90:93], v1 offset:1776
	ds_read_b128 v[102:105], v1 offset:1792
	buffer_load_dword v121, off, s[0:3], 0 offset:908
	buffer_load_dword v120, off, s[0:3], 0 offset:904
	;; [unrolled: 1-line block ×4, first 2 shown]
	ds_read_b128 v[106:109], v1 offset:1808
	buffer_load_dword v236, off, s[0:3], 0 offset:920
	buffer_load_dword v237, off, s[0:3], 0 offset:924
	;; [unrolled: 1-line block ×4, first 2 shown]
	v_fma_f64 v[252:253], v[94:95], v[244:245], -v[96:97]
	ds_read_b128 v[110:113], v1 offset:1824
	buffer_load_dword v243, off, s[0:3], 0 offset:940
	buffer_load_dword v242, off, s[0:3], 0 offset:936
	;; [unrolled: 1-line block ×4, first 2 shown]
	s_waitcnt vmcnt(22) lgkmcnt(4)
	v_mul_f64 v[94:95], v[98:99], v[212:213]
	s_waitcnt vmcnt(20)
	v_fmac_f64_e32 v[94:95], v[100:101], v[214:215]
	v_add_f64 v[2:3], v[2:3], v[94:95]
	s_waitcnt vmcnt(17) lgkmcnt(3)
	v_mul_f64 v[94:95], v[90:91], v[218:219]
	s_waitcnt vmcnt(15)
	v_fmac_f64_e32 v[94:95], v[92:93], v[220:221]
	v_add_f64 v[2:3], v[2:3], v[94:95]
	;; [unrolled: 5-line block ×3, first 2 shown]
	v_add_f64 v[4:5], v[4:5], v[118:119]
	v_add_f64 v[118:119], v[4:5], v[246:247]
	;; [unrolled: 1-line block ×5, first 2 shown]
	v_accvgpr_read_b32 v6, a174
	v_accvgpr_read_b32 v7, a175
	v_mul_f64 v[6:7], v[128:129], v[6:7]
	v_fma_f64 v[6:7], v[126:127], v[8:9], -v[6:7]
	v_add_f64 v[4:5], v[4:5], v[6:7]
	v_mul_f64 v[6:7], v[124:125], v[142:143]
	v_fma_f64 v[6:7], v[122:123], v[146:147], -v[6:7]
	v_add_f64 v[4:5], v[4:5], v[6:7]
	v_accvgpr_read_b32 v6, a178
	v_accvgpr_read_b32 v7, a179
	;; [unrolled: 1-line block ×3, first 2 shown]
	v_mul_f64 v[6:7], v[16:17], v[6:7]
	v_accvgpr_read_b32 v9, a181
	v_fma_f64 v[6:7], v[14:15], v[8:9], -v[6:7]
	v_add_f64 v[4:5], v[4:5], v[6:7]
	v_mul_f64 v[6:7], v[20:21], v[150:151]
	v_fma_f64 v[6:7], v[18:19], v[154:155], -v[6:7]
	v_add_f64 v[4:5], v[4:5], v[6:7]
	v_accvgpr_read_b32 v6, a182
	v_accvgpr_read_b32 v7, a183
	;; [unrolled: 1-line block ×3, first 2 shown]
	v_mul_f64 v[6:7], v[24:25], v[6:7]
	v_accvgpr_read_b32 v9, a185
	v_fma_f64 v[6:7], v[22:23], v[8:9], -v[6:7]
	v_add_f64 v[4:5], v[4:5], v[6:7]
	v_mul_f64 v[6:7], v[28:29], v[158:159]
	v_fma_f64 v[6:7], v[26:27], v[160:161], -v[6:7]
	v_add_f64 v[4:5], v[4:5], v[6:7]
	v_mul_f64 v[6:7], v[32:33], v[232:233]
	;; [unrolled: 3-line block ×11, first 2 shown]
	v_fma_f64 v[6:7], v[66:67], v[190:191], -v[6:7]
	v_add_f64 v[4:5], v[4:5], v[6:7]
	s_waitcnt vmcnt(10) lgkmcnt(1)
	v_mul_f64 v[94:95], v[106:107], v[120:121]
	v_mul_f64 v[6:7], v[72:73], v[178:179]
	s_waitcnt vmcnt(8)
	v_fmac_f64_e32 v[94:95], v[108:109], v[234:235]
	v_add_f64 v[2:3], v[2:3], v[94:95]
	s_waitcnt vmcnt(6) lgkmcnt(0)
	v_mul_f64 v[94:95], v[110:111], v[236:237]
	s_waitcnt vmcnt(4)
	v_fmac_f64_e32 v[94:95], v[112:113], v[238:239]
	v_add_f64 v[2:3], v[2:3], v[94:95]
	ds_read_b128 v[94:97], v1 offset:1840
	v_fma_f64 v[6:7], v[70:71], v[188:189], -v[6:7]
	v_add_f64 v[4:5], v[4:5], v[6:7]
	v_mul_f64 v[6:7], v[76:77], v[192:193]
	v_fma_f64 v[6:7], v[74:75], v[196:197], -v[6:7]
	s_waitcnt vmcnt(2) lgkmcnt(0)
	v_mul_f64 v[248:249], v[94:95], v[242:243]
	s_waitcnt vmcnt(0)
	v_fmac_f64_e32 v[248:249], v[96:97], v[244:245]
	v_add_f64 v[2:3], v[2:3], v[248:249]
	buffer_load_dword v248, off, s[0:3], 0 offset:224
	buffer_load_dword v249, off, s[0:3], 0 offset:228
	;; [unrolled: 1-line block ×4, first 2 shown]
	v_add_f64 v[4:5], v[4:5], v[6:7]
	v_mul_f64 v[6:7], v[230:231], v[184:185]
	v_fma_f64 v[6:7], v[228:229], v[194:195], -v[6:7]
	v_add_f64 v[4:5], v[4:5], v[6:7]
	v_mul_f64 v[6:7], v[84:85], v[200:201]
	v_fma_f64 v[6:7], v[82:83], v[206:207], -v[6:7]
	;; [unrolled: 3-line block ×10, first 2 shown]
	v_add_f64 v[4:5], v[4:5], v[6:7]
	s_waitcnt vmcnt(2)
	v_add_f64 v[4:5], v[248:249], -v[4:5]
	s_waitcnt vmcnt(0)
	v_add_f64 v[2:3], v[246:247], -v[2:3]
	buffer_store_dword v5, off, s[0:3], 0 offset:228
	buffer_store_dword v4, off, s[0:3], 0 offset:224
	;; [unrolled: 1-line block ×4, first 2 shown]
	s_and_saveexec_b64 s[4:5], vcc
	s_cbranch_execz .LBB121_337
; %bb.336:
	v_accvgpr_read_b32 v1, a161
	buffer_load_dword v2, v1, s[0:3], 0 offen
	buffer_load_dword v3, v1, s[0:3], 0 offen offset:4
	buffer_load_dword v4, v1, s[0:3], 0 offen offset:8
	;; [unrolled: 1-line block ×3, first 2 shown]
	v_mov_b32_e32 v1, 0
	v_accvgpr_read_b32 v6, a173
	buffer_store_dword v1, off, s[0:3], 0 offset:208
	buffer_store_dword v1, off, s[0:3], 0 offset:212
	;; [unrolled: 1-line block ×4, first 2 shown]
	s_waitcnt vmcnt(4)
	ds_write_b128 v6, v[2:5]
.LBB121_337:
	s_or_b64 exec, exec, s[4:5]
	s_waitcnt lgkmcnt(0)
	; wave barrier
	s_waitcnt lgkmcnt(0)
	buffer_load_dword v56, off, s[0:3], 0 offset:224
	buffer_load_dword v57, off, s[0:3], 0 offset:228
	;; [unrolled: 1-line block ×36, first 2 shown]
	v_mov_b32_e32 v1, 0
	buffer_load_dword v87, off, s[0:3], 0 offset:396
	buffer_load_dword v86, off, s[0:3], 0 offset:392
	buffer_load_dword v89, off, s[0:3], 0 offset:388
	buffer_load_dword v88, off, s[0:3], 0 offset:384
	buffer_load_dword v91, off, s[0:3], 0 offset:380
	buffer_load_dword v90, off, s[0:3], 0 offset:376
	buffer_load_dword v93, off, s[0:3], 0 offset:372
	buffer_load_dword v92, off, s[0:3], 0 offset:368
	buffer_load_dword v97, off, s[0:3], 0 offset:428
	buffer_load_dword v96, off, s[0:3], 0 offset:424
	buffer_load_dword v99, off, s[0:3], 0 offset:420
	buffer_load_dword v98, off, s[0:3], 0 offset:416
	buffer_load_dword v101, off, s[0:3], 0 offset:412
	buffer_load_dword v100, off, s[0:3], 0 offset:408
	buffer_load_dword v103, off, s[0:3], 0 offset:404
	buffer_load_dword v102, off, s[0:3], 0 offset:400
	buffer_load_dword v95, off, s[0:3], 0 offset:460
	buffer_load_dword v94, off, s[0:3], 0 offset:456
	ds_read_b128 v[110:113], v1 offset:1136
	ds_read_b128 v[114:117], v1 offset:1152
	;; [unrolled: 1-line block ×9, first 2 shown]
	v_cmp_lt_u32_e32 vcc, 11, v0
	s_waitcnt vmcnt(50) lgkmcnt(8)
	v_mul_f64 v[2:3], v[110:111], v[58:59]
	v_fmac_f64_e32 v[2:3], v[112:113], v[56:57]
	v_add_f64 v[2:3], v[2:3], 0
	s_waitcnt vmcnt(46) lgkmcnt(7)
	v_mul_f64 v[4:5], v[114:115], v[54:55]
	v_fmac_f64_e32 v[4:5], v[116:117], v[52:53]
	v_add_f64 v[2:3], v[2:3], v[4:5]
	buffer_load_dword v105, off, s[0:3], 0 offset:452
	buffer_load_dword v104, off, s[0:3], 0 offset:448
	buffer_load_dword v255, off, s[0:3], 0 offset:444
	buffer_load_dword v254, off, s[0:3], 0 offset:440
	buffer_load_dword v63, off, s[0:3], 0 offset:436
	buffer_load_dword v62, off, s[0:3], 0 offset:432
	buffer_load_dword v5, off, s[0:3], 0 offset:492
	buffer_load_dword v4, off, s[0:3], 0 offset:488
	s_waitcnt vmcnt(52) lgkmcnt(6)
	v_mul_f64 v[6:7], v[194:195], v[50:51]
	s_waitcnt vmcnt(50) lgkmcnt(4)
	v_mul_f64 v[10:11], v[202:203], v[60:61]
	s_waitcnt vmcnt(48)
	v_fmac_f64_e32 v[10:11], v[204:205], v[210:211]
	v_mul_f64 v[50:51], v[196:197], v[50:51]
	s_waitcnt vmcnt(46)
	v_mul_f64 v[8:9], v[198:199], v[64:65]
	v_mul_f64 v[54:55], v[116:117], v[54:55]
	s_waitcnt vmcnt(44) lgkmcnt(2)
	v_mul_f64 v[14:15], v[212:213], v[74:75]
	v_fma_f64 v[216:217], v[114:115], v[52:53], -v[54:55]
	s_waitcnt vmcnt(42)
	v_fmac_f64_e32 v[14:15], v[214:215], v[72:73]
	s_waitcnt vmcnt(40)
	v_mul_f64 v[12:13], v[206:207], v[76:77]
	v_mul_f64 v[54:55], v[208:209], v[76:77]
	s_waitcnt vmcnt(38) lgkmcnt(1)
	v_mul_f64 v[16:17], v[218:219], v[68:69]
	s_waitcnt vmcnt(36)
	v_fmac_f64_e32 v[6:7], v[196:197], v[82:83]
	v_add_f64 v[2:3], v[2:3], v[6:7]
	s_waitcnt vmcnt(34)
	v_fmac_f64_e32 v[8:9], v[200:201], v[80:81]
	v_add_f64 v[2:3], v[2:3], v[8:9]
	;; [unrolled: 3-line block ×3, first 2 shown]
	v_add_f64 v[2:3], v[2:3], v[12:13]
	v_add_f64 v[2:3], v[2:3], v[14:15]
	s_waitcnt vmcnt(30)
	v_fmac_f64_e32 v[16:17], v[220:221], v[70:71]
	v_add_f64 v[2:3], v[2:3], v[16:17]
	v_fma_f64 v[82:83], v[194:195], v[82:83], -v[50:51]
	v_mul_f64 v[50:51], v[200:201], v[64:65]
	s_waitcnt vmcnt(0)
	v_pk_mov_b32 v[14:15], v[4:5], v[4:5] op_sel:[0,1]
	buffer_load_dword v5, off, s[0:3], 0 offset:484
	buffer_load_dword v4, off, s[0:3], 0 offset:480
	v_accvgpr_write_b32 a175, v15
	v_accvgpr_write_b32 a174, v14
	s_waitcnt vmcnt(0)
	v_pk_mov_b32 v[18:19], v[4:5], v[4:5] op_sel:[0,1]
	buffer_load_dword v107, off, s[0:3], 0 offset:476
	buffer_load_dword v106, off, s[0:3], 0 offset:472
	buffer_load_dword v109, off, s[0:3], 0 offset:468
	buffer_load_dword v108, off, s[0:3], 0 offset:464
	buffer_load_dword v5, off, s[0:3], 0 offset:524
	buffer_load_dword v4, off, s[0:3], 0 offset:520
	v_accvgpr_write_b32 a177, v19
	v_accvgpr_write_b32 a176, v18
	s_waitcnt vmcnt(0)
	v_pk_mov_b32 v[22:23], v[4:5], v[4:5] op_sel:[0,1]
	buffer_load_dword v5, off, s[0:3], 0 offset:516
	buffer_load_dword v4, off, s[0:3], 0 offset:512
	v_accvgpr_write_b32 a179, v23
	v_accvgpr_write_b32 a178, v22
	s_waitcnt vmcnt(0)
	v_pk_mov_b32 v[24:25], v[4:5], v[4:5] op_sel:[0,1]
	buffer_load_dword v139, off, s[0:3], 0 offset:508
	buffer_load_dword v138, off, s[0:3], 0 offset:504
	buffer_load_dword v143, off, s[0:3], 0 offset:500
	buffer_load_dword v142, off, s[0:3], 0 offset:496
	buffer_load_dword v5, off, s[0:3], 0 offset:556
	buffer_load_dword v4, off, s[0:3], 0 offset:552
	v_accvgpr_write_b32 a181, v25
	v_accvgpr_write_b32 a180, v24
	;; [unrolled: 16-line block ×3, first 2 shown]
	s_waitcnt vmcnt(0)
	v_pk_mov_b32 v[38:39], v[4:5], v[4:5] op_sel:[0,1]
	buffer_load_dword v5, off, s[0:3], 0 offset:580
	buffer_load_dword v4, off, s[0:3], 0 offset:576
	;; [unrolled: 1-line block ×30, first 2 shown]
	ds_read_b128 v[226:229], v1 offset:1280
	ds_read_b128 v[230:233], v1 offset:1296
	;; [unrolled: 1-line block ×11, first 2 shown]
	s_waitcnt lgkmcnt(4)
	v_mul_f64 v[8:9], v[250:251], v[106:107]
	v_fmac_f64_e32 v[8:9], v[252:253], v[108:109]
	s_waitcnt lgkmcnt(3)
	v_mul_f64 v[12:13], v[130:131], v[14:15]
	v_fmac_f64_e32 v[12:13], v[132:133], v[18:19]
	;; [unrolled: 3-line block ×4, first 2 shown]
	v_accvgpr_write_b32 a187, v39
	v_accvgpr_write_b32 a186, v38
	s_waitcnt vmcnt(28)
	v_pk_mov_b32 v[40:41], v[4:5], v[4:5] op_sel:[0,1]
	v_mul_f64 v[4:5], v[222:223], v[66:67]
	v_fmac_f64_e32 v[4:5], v[224:225], v[84:85]
	v_add_f64 v[2:3], v[2:3], v[4:5]
	v_mul_f64 v[4:5], v[226:227], v[90:91]
	v_fmac_f64_e32 v[4:5], v[228:229], v[92:93]
	v_add_f64 v[2:3], v[2:3], v[4:5]
	;; [unrolled: 3-line block ×7, first 2 shown]
	v_add_f64 v[10:11], v[6:7], v[8:9]
	v_add_f64 v[14:15], v[10:11], v[12:13]
	v_add_f64 v[18:19], v[14:15], v[16:17]
	v_add_f64 v[22:23], v[18:19], v[20:21]
	ds_read_b128 v[18:21], v1 offset:1456
	s_waitcnt lgkmcnt(1)
	v_mul_f64 v[24:25], v[118:119], v[146:147]
	v_fmac_f64_e32 v[24:25], v[120:121], v[150:151]
	v_add_f64 v[26:27], v[22:23], v[24:25]
	ds_read_b128 v[22:25], v1 offset:1472
	s_waitcnt lgkmcnt(1)
	v_mul_f64 v[28:29], v[18:19], v[30:31]
	v_fmac_f64_e32 v[28:29], v[20:21], v[32:33]
	v_add_f64 v[30:31], v[26:27], v[28:29]
	ds_read_b128 v[26:29], v1 offset:1488
	s_waitcnt vmcnt(26) lgkmcnt(1)
	v_mul_f64 v[32:33], v[22:23], v[154:155]
	s_waitcnt vmcnt(24)
	v_fmac_f64_e32 v[32:33], v[24:25], v[156:157]
	v_add_f64 v[34:35], v[30:31], v[32:33]
	ds_read_b128 v[30:33], v1 offset:1504
	s_waitcnt lgkmcnt(1)
	v_mul_f64 v[36:37], v[26:27], v[38:39]
	v_fmac_f64_e32 v[36:37], v[28:29], v[40:41]
	v_accvgpr_write_b32 a189, v41
	v_accvgpr_write_b32 a188, v40
	v_add_f64 v[38:39], v[34:35], v[36:37]
	ds_read_b128 v[34:37], v1 offset:1520
	s_waitcnt vmcnt(18) lgkmcnt(1)
	v_mul_f64 v[40:41], v[30:31], v[158:159]
	s_waitcnt vmcnt(16)
	v_fmac_f64_e32 v[40:41], v[32:33], v[160:161]
	v_add_f64 v[42:43], v[38:39], v[40:41]
	ds_read_b128 v[38:41], v1 offset:1536
	s_waitcnt lgkmcnt(1)
	v_mul_f64 v[44:45], v[34:35], v[134:135]
	v_fmac_f64_e32 v[44:45], v[36:37], v[136:137]
	v_add_f64 v[46:47], v[42:43], v[44:45]
	ds_read_b128 v[42:45], v1 offset:1552
	s_waitcnt vmcnt(10) lgkmcnt(1)
	v_mul_f64 v[48:49], v[38:39], v[162:163]
	s_waitcnt vmcnt(8)
	v_fmac_f64_e32 v[48:49], v[40:41], v[164:165]
	v_add_f64 v[172:173], v[46:47], v[48:49]
	ds_read_b128 v[46:49], v1 offset:1568
	buffer_load_dword v171, off, s[0:3], 0 offset:700
	buffer_load_dword v170, off, s[0:3], 0 offset:696
	;; [unrolled: 1-line block ×4, first 2 shown]
	s_waitcnt lgkmcnt(1)
	v_mul_f64 v[176:177], v[42:43], v[140:141]
	v_fmac_f64_e32 v[176:177], v[44:45], v[144:145]
	v_add_f64 v[2:3], v[172:173], v[176:177]
	buffer_load_dword v177, off, s[0:3], 0 offset:716
	buffer_load_dword v176, off, s[0:3], 0 offset:712
	;; [unrolled: 1-line block ×24, first 2 shown]
	v_mul_f64 v[8:9], v[204:205], v[60:61]
	v_fma_f64 v[10:11], v[198:199], v[80:81], -v[50:51]
	v_fma_f64 v[8:9], v[202:203], v[210:211], -v[8:9]
	buffer_load_dword v199, off, s[0:3], 0 offset:812
	buffer_load_dword v198, off, s[0:3], 0 offset:808
	;; [unrolled: 1-line block ×8, first 2 shown]
	ds_read_b128 v[50:53], v1 offset:1584
	buffer_load_dword v209, off, s[0:3], 0 offset:844
	buffer_load_dword v208, off, s[0:3], 0 offset:840
	;; [unrolled: 1-line block ×4, first 2 shown]
	v_mul_f64 v[12:13], v[214:215], v[74:75]
	v_mul_f64 v[4:5], v[112:113], v[58:59]
	v_fma_f64 v[6:7], v[206:207], v[78:79], -v[54:55]
	v_fma_f64 v[12:13], v[212:213], v[72:73], -v[12:13]
	buffer_load_dword v206, off, s[0:3], 0 offset:872
	buffer_load_dword v215, off, s[0:3], 0 offset:860
	;; [unrolled: 1-line block ×8, first 2 shown]
	v_fma_f64 v[14:15], v[110:111], v[56:57], -v[4:5]
	v_mul_f64 v[56:57], v[220:221], v[68:69]
	v_fma_f64 v[4:5], v[218:219], v[70:71], -v[56:57]
	buffer_load_dword v219, off, s[0:3], 0 offset:892
	buffer_load_dword v218, off, s[0:3], 0 offset:888
	;; [unrolled: 1-line block ×4, first 2 shown]
	s_waitcnt vmcnt(54) lgkmcnt(1)
	v_mul_f64 v[54:55], v[46:47], v[166:167]
	s_waitcnt vmcnt(52)
	v_fmac_f64_e32 v[54:55], v[48:49], v[168:169]
	v_add_f64 v[2:3], v[2:3], v[54:55]
	ds_read_b128 v[54:57], v1 offset:1600
	ds_read_b128 v[58:61], v1 offset:1616
	s_waitcnt lgkmcnt(2)
	v_mul_f64 v[16:17], v[50:51], v[148:149]
	v_fmac_f64_e32 v[16:17], v[52:53], v[152:153]
	v_add_f64 v[2:3], v[2:3], v[16:17]
	v_mul_f64 v[16:17], v[224:225], v[66:67]
	v_fma_f64 v[16:17], v[222:223], v[84:85], -v[16:17]
	v_mul_f64 v[70:71], v[232:233], v[86:87]
	v_fma_f64 v[232:233], v[230:231], v[88:89], -v[70:71]
	ds_read_b128 v[70:73], v1 offset:1664
	v_mul_f64 v[86:87], v[240:241], v[96:97]
	v_fma_f64 v[240:241], v[238:239], v[98:99], -v[86:87]
	v_mul_f64 v[86:87], v[244:245], v[254:255]
	v_fma_f64 v[254:255], v[242:243], v[62:63], -v[86:87]
	ds_read_b128 v[86:89], v1 offset:1728
	v_mul_f64 v[98:99], v[252:253], v[106:107]
	v_fma_f64 v[250:251], v[250:251], v[108:109], -v[98:99]
	v_add_f64 v[14:15], v[14:15], 0
	v_add_f64 v[14:15], v[14:15], v[216:217]
	;; [unrolled: 1-line block ×9, first 2 shown]
	v_accvgpr_read_b32 v6, a174
	v_accvgpr_read_b32 v7, a175
	;; [unrolled: 1-line block ×3, first 2 shown]
	v_mul_f64 v[6:7], v[132:133], v[6:7]
	v_accvgpr_read_b32 v9, a177
	v_fma_f64 v[6:7], v[130:131], v[8:9], -v[6:7]
	v_accvgpr_read_b32 v8, a180
	v_accvgpr_read_b32 v9, a181
	s_waitcnt vmcnt(50) lgkmcnt(3)
	v_mul_f64 v[66:67], v[54:55], v[170:171]
	s_waitcnt vmcnt(48)
	v_fmac_f64_e32 v[66:67], v[56:57], v[174:175]
	v_add_f64 v[2:3], v[2:3], v[66:67]
	v_mul_f64 v[66:67], v[228:229], v[90:91]
	v_fma_f64 v[84:85], v[226:227], v[92:93], -v[66:67]
	ds_read_b128 v[224:227], v1 offset:1632
	s_waitcnt vmcnt(46) lgkmcnt(3)
	v_mul_f64 v[66:67], v[58:59], v[176:177]
	s_waitcnt vmcnt(44)
	v_fmac_f64_e32 v[66:67], v[60:61], v[178:179]
	v_add_f64 v[2:3], v[2:3], v[66:67]
	ds_read_b128 v[66:69], v1 offset:1648
	s_waitcnt vmcnt(41) lgkmcnt(1)
	v_mul_f64 v[74:75], v[224:225], v[182:183]
	s_waitcnt vmcnt(39)
	v_fmac_f64_e32 v[74:75], v[226:227], v[186:187]
	v_add_f64 v[2:3], v[2:3], v[74:75]
	v_mul_f64 v[74:75], v[236:237], v[100:101]
	v_fma_f64 v[222:223], v[234:235], v[102:103], -v[74:75]
	ds_read_b128 v[74:77], v1 offset:1680
	s_waitcnt vmcnt(38) lgkmcnt(1)
	v_mul_f64 v[78:79], v[66:67], v[172:173]
	s_waitcnt vmcnt(36)
	v_fmac_f64_e32 v[78:79], v[68:69], v[184:185]
	v_add_f64 v[2:3], v[2:3], v[78:79]
	s_waitcnt vmcnt(33)
	v_mul_f64 v[78:79], v[70:71], v[190:191]
	s_waitcnt vmcnt(31)
	v_fmac_f64_e32 v[78:79], v[72:73], v[192:193]
	v_add_f64 v[2:3], v[2:3], v[78:79]
	s_waitcnt vmcnt(29) lgkmcnt(0)
	v_mul_f64 v[78:79], v[74:75], v[180:181]
	s_waitcnt vmcnt(28)
	v_fmac_f64_e32 v[78:79], v[76:77], v[188:189]
	v_add_f64 v[2:3], v[2:3], v[78:79]
	ds_read_b128 v[78:81], v1 offset:1696
	ds_read_b128 v[228:231], v1 offset:1712
	;; [unrolled: 1-line block ×3, first 2 shown]
	v_add_f64 v[4:5], v[4:5], v[84:85]
	v_add_f64 v[4:5], v[4:5], v[232:233]
	s_waitcnt vmcnt(26) lgkmcnt(2)
	v_mul_f64 v[90:91], v[78:79], v[194:195]
	s_waitcnt vmcnt(24)
	v_fmac_f64_e32 v[90:91], v[80:81], v[196:197]
	s_waitcnt vmcnt(22) lgkmcnt(1)
	v_mul_f64 v[62:63], v[228:229], v[198:199]
	v_add_f64 v[2:3], v[2:3], v[90:91]
	s_waitcnt vmcnt(20)
	v_fmac_f64_e32 v[62:63], v[230:231], v[202:203]
	v_add_f64 v[2:3], v[2:3], v[62:63]
	ds_read_b128 v[90:93], v1 offset:1744
	s_waitcnt vmcnt(18)
	v_mul_f64 v[62:63], v[86:87], v[200:201]
	s_waitcnt vmcnt(16)
	v_fmac_f64_e32 v[62:63], v[88:89], v[204:205]
	v_add_f64 v[2:3], v[2:3], v[62:63]
	v_mul_f64 v[62:63], v[248:249], v[94:95]
	ds_read_b128 v[94:97], v1 offset:1760
	v_fma_f64 v[246:247], v[246:247], v[104:105], -v[62:63]
	s_waitcnt vmcnt(14) lgkmcnt(1)
	v_mul_f64 v[62:63], v[90:91], v[208:209]
	s_waitcnt vmcnt(12)
	v_fmac_f64_e32 v[62:63], v[92:93], v[210:211]
	ds_read_b128 v[102:105], v1 offset:1792
	v_add_f64 v[2:3], v[2:3], v[62:63]
	s_waitcnt vmcnt(9) lgkmcnt(1)
	v_mul_f64 v[62:63], v[94:95], v[214:215]
	s_waitcnt vmcnt(7)
	v_fmac_f64_e32 v[62:63], v[96:97], v[64:65]
	v_add_f64 v[2:3], v[2:3], v[62:63]
	s_waitcnt vmcnt(5)
	v_mul_f64 v[62:63], v[98:99], v[206:207]
	s_waitcnt vmcnt(4)
	v_fmac_f64_e32 v[62:63], v[100:101], v[212:213]
	v_add_f64 v[2:3], v[2:3], v[62:63]
	s_waitcnt vmcnt(2) lgkmcnt(0)
	v_mul_f64 v[62:63], v[102:103], v[218:219]
	s_waitcnt vmcnt(0)
	v_fmac_f64_e32 v[62:63], v[104:105], v[220:221]
	v_add_f64 v[62:63], v[2:3], v[62:63]
	buffer_load_dword v2, off, s[0:3], 0 offset:904
	buffer_load_dword v3, off, s[0:3], 0 offset:908
	;; [unrolled: 1-line block ×4, first 2 shown]
	ds_read_b128 v[106:109], v1 offset:1808
	buffer_load_dword v237, off, s[0:3], 0 offset:924
	buffer_load_dword v236, off, s[0:3], 0 offset:920
	;; [unrolled: 1-line block ×4, first 2 shown]
	v_add_f64 v[4:5], v[4:5], v[222:223]
	v_add_f64 v[4:5], v[4:5], v[240:241]
	;; [unrolled: 1-line block ×6, first 2 shown]
	v_mul_f64 v[6:7], v[128:129], v[138:139]
	v_fma_f64 v[6:7], v[126:127], v[142:143], -v[6:7]
	v_add_f64 v[4:5], v[4:5], v[6:7]
	v_accvgpr_read_b32 v6, a178
	v_accvgpr_read_b32 v7, a179
	v_mul_f64 v[6:7], v[124:125], v[6:7]
	v_fma_f64 v[6:7], v[122:123], v[8:9], -v[6:7]
	v_add_f64 v[4:5], v[4:5], v[6:7]
	v_mul_f64 v[6:7], v[120:121], v[146:147]
	v_fma_f64 v[6:7], v[118:119], v[150:151], -v[6:7]
	v_add_f64 v[4:5], v[4:5], v[6:7]
	v_accvgpr_read_b32 v6, a182
	v_accvgpr_read_b32 v7, a183
	;; [unrolled: 1-line block ×3, first 2 shown]
	v_mul_f64 v[6:7], v[20:21], v[6:7]
	v_accvgpr_read_b32 v9, a185
	v_fma_f64 v[6:7], v[18:19], v[8:9], -v[6:7]
	v_add_f64 v[4:5], v[4:5], v[6:7]
	v_mul_f64 v[6:7], v[24:25], v[154:155]
	v_fma_f64 v[6:7], v[22:23], v[156:157], -v[6:7]
	v_add_f64 v[4:5], v[4:5], v[6:7]
	v_accvgpr_read_b32 v6, a186
	v_accvgpr_read_b32 v7, a187
	;; [unrolled: 1-line block ×3, first 2 shown]
	v_mul_f64 v[6:7], v[28:29], v[6:7]
	v_accvgpr_read_b32 v9, a189
	v_fma_f64 v[6:7], v[26:27], v[8:9], -v[6:7]
	v_add_f64 v[4:5], v[4:5], v[6:7]
	v_mul_f64 v[6:7], v[32:33], v[158:159]
	v_fma_f64 v[6:7], v[30:31], v[160:161], -v[6:7]
	v_add_f64 v[4:5], v[4:5], v[6:7]
	v_mul_f64 v[6:7], v[36:37], v[134:135]
	;; [unrolled: 3-line block ×14, first 2 shown]
	v_fma_f64 v[6:7], v[228:229], v[202:203], -v[6:7]
	s_waitcnt vmcnt(6) lgkmcnt(0)
	v_mul_f64 v[110:111], v[106:107], v[2:3]
	v_add_f64 v[4:5], v[4:5], v[6:7]
	s_waitcnt vmcnt(4)
	v_fmac_f64_e32 v[110:111], v[108:109], v[234:235]
	v_add_f64 v[62:63], v[62:63], v[110:111]
	ds_read_b128 v[110:113], v1 offset:1824
	buffer_load_dword v242, off, s[0:3], 0 offset:936
	buffer_load_dword v243, off, s[0:3], 0 offset:940
	;; [unrolled: 1-line block ×4, first 2 shown]
	v_mul_f64 v[6:7], v[88:89], v[200:201]
	v_fma_f64 v[6:7], v[86:87], v[204:205], -v[6:7]
	v_add_f64 v[4:5], v[4:5], v[6:7]
	s_waitcnt vmcnt(6) lgkmcnt(0)
	v_mul_f64 v[114:115], v[110:111], v[236:237]
	s_waitcnt vmcnt(4)
	v_fmac_f64_e32 v[114:115], v[112:113], v[238:239]
	v_add_f64 v[62:63], v[62:63], v[114:115]
	ds_read_b128 v[114:117], v1 offset:1840
	v_mul_f64 v[6:7], v[92:93], v[208:209]
	v_fma_f64 v[6:7], v[90:91], v[210:211], -v[6:7]
	v_add_f64 v[4:5], v[4:5], v[6:7]
	v_mul_f64 v[6:7], v[96:97], v[214:215]
	v_fma_f64 v[6:7], v[94:95], v[64:65], -v[6:7]
	v_add_f64 v[4:5], v[4:5], v[6:7]
	;; [unrolled: 3-line block ×3, first 2 shown]
	v_mul_f64 v[6:7], v[104:105], v[218:219]
	v_fma_f64 v[6:7], v[102:103], v[220:221], -v[6:7]
	v_mul_f64 v[2:3], v[108:109], v[2:3]
	v_add_f64 v[4:5], v[4:5], v[6:7]
	v_fma_f64 v[2:3], v[106:107], v[234:235], -v[2:3]
	v_add_f64 v[2:3], v[4:5], v[2:3]
	v_mul_f64 v[4:5], v[112:113], v[236:237]
	v_fma_f64 v[4:5], v[110:111], v[238:239], -v[4:5]
	v_add_f64 v[2:3], v[2:3], v[4:5]
	s_waitcnt vmcnt(2) lgkmcnt(0)
	v_mul_f64 v[248:249], v[114:115], v[242:243]
	v_mul_f64 v[4:5], v[116:117], v[242:243]
	s_waitcnt vmcnt(0)
	v_fmac_f64_e32 v[248:249], v[116:117], v[244:245]
	v_add_f64 v[62:63], v[62:63], v[248:249]
	buffer_load_dword v248, off, s[0:3], 0 offset:208
	buffer_load_dword v249, off, s[0:3], 0 offset:212
	;; [unrolled: 1-line block ×4, first 2 shown]
	v_fma_f64 v[4:5], v[114:115], v[244:245], -v[4:5]
	v_add_f64 v[2:3], v[2:3], v[4:5]
	s_waitcnt vmcnt(2)
	v_add_f64 v[2:3], v[248:249], -v[2:3]
	s_waitcnt vmcnt(0)
	v_add_f64 v[4:5], v[246:247], -v[62:63]
	buffer_store_dword v3, off, s[0:3], 0 offset:212
	buffer_store_dword v2, off, s[0:3], 0 offset:208
	;; [unrolled: 1-line block ×4, first 2 shown]
	s_and_saveexec_b64 s[4:5], vcc
	s_cbranch_execz .LBB121_339
; %bb.338:
	v_accvgpr_read_b32 v5, a162
	buffer_load_dword v2, v5, s[0:3], 0 offen
	buffer_load_dword v3, v5, s[0:3], 0 offen offset:4
	buffer_load_dword v4, v5, s[0:3], 0 offen offset:8
	s_nop 0
	buffer_load_dword v5, v5, s[0:3], 0 offen offset:12
	v_accvgpr_read_b32 v6, a173
	buffer_store_dword v1, off, s[0:3], 0 offset:192
	buffer_store_dword v1, off, s[0:3], 0 offset:196
	;; [unrolled: 1-line block ×4, first 2 shown]
	s_waitcnt vmcnt(4)
	ds_write_b128 v6, v[2:5]
.LBB121_339:
	s_or_b64 exec, exec, s[4:5]
	s_waitcnt lgkmcnt(0)
	; wave barrier
	s_waitcnt lgkmcnt(0)
	buffer_load_dword v60, off, s[0:3], 0 offset:208
	buffer_load_dword v61, off, s[0:3], 0 offset:212
	buffer_load_dword v66, off, s[0:3], 0 offset:216
	buffer_load_dword v67, off, s[0:3], 0 offset:220
	buffer_load_dword v50, off, s[0:3], 0 offset:224
	buffer_load_dword v51, off, s[0:3], 0 offset:228
	buffer_load_dword v58, off, s[0:3], 0 offset:232
	buffer_load_dword v59, off, s[0:3], 0 offset:236
	buffer_load_dword v52, off, s[0:3], 0 offset:248
	buffer_load_dword v53, off, s[0:3], 0 offset:252
	buffer_load_dword v69, off, s[0:3], 0 offset:284
	buffer_load_dword v68, off, s[0:3], 0 offset:280
	buffer_load_dword v71, off, s[0:3], 0 offset:276
	buffer_load_dword v70, off, s[0:3], 0 offset:272
	buffer_load_dword v73, off, s[0:3], 0 offset:268
	buffer_load_dword v72, off, s[0:3], 0 offset:264
	buffer_load_dword v215, off, s[0:3], 0 offset:316
	buffer_load_dword v214, off, s[0:3], 0 offset:312
	buffer_load_dword v77, off, s[0:3], 0 offset:308
	buffer_load_dword v76, off, s[0:3], 0 offset:304
	buffer_load_dword v79, off, s[0:3], 0 offset:300
	buffer_load_dword v78, off, s[0:3], 0 offset:296
	buffer_load_dword v83, off, s[0:3], 0 offset:348
	buffer_load_dword v82, off, s[0:3], 0 offset:344
	buffer_load_dword v84, off, s[0:3], 0 offset:336
	buffer_load_dword v87, off, s[0:3], 0 offset:332
	buffer_load_dword v86, off, s[0:3], 0 offset:328
	buffer_load_dword v81, off, s[0:3], 0 offset:364
	buffer_load_dword v80, off, s[0:3], 0 offset:360
	buffer_load_dword v96, off, s[0:3], 0 offset:240
	buffer_load_dword v97, off, s[0:3], 0 offset:244
	buffer_load_dword v93, off, s[0:3], 0 offset:260
	buffer_load_dword v92, off, s[0:3], 0 offset:256
	buffer_load_dword v91, off, s[0:3], 0 offset:292
	buffer_load_dword v90, off, s[0:3], 0 offset:288
	buffer_load_dword v89, off, s[0:3], 0 offset:324
	buffer_load_dword v88, off, s[0:3], 0 offset:320
	buffer_load_dword v85, off, s[0:3], 0 offset:340
	buffer_load_dword v94, off, s[0:3], 0 offset:376
	buffer_load_dword v98, off, s[0:3], 0 offset:368
	buffer_load_dword v99, off, s[0:3], 0 offset:372
	buffer_load_dword v95, off, s[0:3], 0 offset:380
	ds_read_b128 v[114:117], v1 offset:1120
	ds_read_b128 v[180:183], v1 offset:1136
	;; [unrolled: 1-line block ×10, first 2 shown]
	buffer_load_dword v247, off, s[0:3], 0 offset:356
	buffer_load_dword v246, off, s[0:3], 0 offset:352
	ds_read_b128 v[62:65], v1 offset:1280
	buffer_load_dword v101, off, s[0:3], 0 offset:412
	buffer_load_dword v100, off, s[0:3], 0 offset:408
	;; [unrolled: 1-line block ×6, first 2 shown]
	v_cmp_lt_u32_e32 vcc, 10, v0
	s_waitcnt vmcnt(46) lgkmcnt(10)
	v_mul_f64 v[2:3], v[114:115], v[66:67]
	v_fmac_f64_e32 v[2:3], v[116:117], v[60:61]
	v_add_f64 v[2:3], v[2:3], 0
	s_waitcnt vmcnt(42) lgkmcnt(9)
	v_mul_f64 v[4:5], v[180:181], v[58:59]
	v_fmac_f64_e32 v[4:5], v[182:183], v[50:51]
	v_add_f64 v[2:3], v[2:3], v[4:5]
	buffer_load_dword v249, off, s[0:3], 0 offset:388
	buffer_load_dword v248, off, s[0:3], 0 offset:384
	;; [unrolled: 1-line block ×20, first 2 shown]
	s_waitcnt vmcnt(60) lgkmcnt(8)
	v_mul_f64 v[6:7], v[184:185], v[52:53]
	s_waitcnt vmcnt(58) lgkmcnt(6)
	v_mul_f64 v[10:11], v[198:199], v[68:69]
	s_waitcnt vmcnt(56)
	v_fmac_f64_e32 v[10:11], v[200:201], v[70:71]
	v_mul_f64 v[58:59], v[182:183], v[58:59]
	s_waitcnt vmcnt(54)
	v_mul_f64 v[8:9], v[192:193], v[72:73]
	v_fma_f64 v[216:217], v[180:181], v[50:51], -v[58:59]
	s_waitcnt vmcnt(52) lgkmcnt(4)
	v_mul_f64 v[14:15], v[206:207], v[214:215]
	v_mul_f64 v[50:51], v[186:187], v[52:53]
	s_waitcnt vmcnt(50)
	v_fmac_f64_e32 v[14:15], v[208:209], v[76:77]
	s_waitcnt vmcnt(48)
	v_mul_f64 v[12:13], v[202:203], v[78:79]
	s_waitcnt vmcnt(46) lgkmcnt(2)
	v_mul_f64 v[18:19], v[218:219], v[82:83]
	s_waitcnt vmcnt(43)
	v_mul_f64 v[16:17], v[210:211], v[86:87]
	s_waitcnt vmcnt(41) lgkmcnt(1)
	v_mul_f64 v[20:21], v[54:55], v[80:81]
	s_waitcnt vmcnt(39)
	v_fmac_f64_e32 v[6:7], v[186:187], v[96:97]
	v_add_f64 v[2:3], v[2:3], v[6:7]
	s_waitcnt vmcnt(37)
	v_fmac_f64_e32 v[8:9], v[194:195], v[92:93]
	v_add_f64 v[2:3], v[2:3], v[8:9]
	s_waitcnt vmcnt(35)
	v_fmac_f64_e32 v[12:13], v[204:205], v[90:91]
	v_add_f64 v[2:3], v[2:3], v[10:11]
	v_add_f64 v[2:3], v[2:3], v[12:13]
	s_waitcnt vmcnt(33)
	v_fmac_f64_e32 v[16:17], v[212:213], v[88:89]
	v_add_f64 v[2:3], v[2:3], v[14:15]
	s_waitcnt vmcnt(32)
	v_fmac_f64_e32 v[18:19], v[220:221], v[84:85]
	v_add_f64 v[2:3], v[2:3], v[16:17]
	v_add_f64 v[2:3], v[2:3], v[18:19]
	v_fma_f64 v[96:97], v[184:185], v[96:97], -v[50:51]
	s_waitcnt vmcnt(26)
	v_fmac_f64_e32 v[20:21], v[56:57], v[246:247]
	v_add_f64 v[2:3], v[2:3], v[20:21]
	v_mul_f64 v[50:51], v[194:195], v[72:73]
	v_mul_f64 v[56:57], v[56:57], v[80:81]
	v_fma_f64 v[246:247], v[54:55], v[246:247], -v[56:57]
	s_waitcnt vmcnt(0)
	v_pk_mov_b32 v[18:19], v[4:5], v[4:5] op_sel:[0,1]
	buffer_load_dword v5, off, s[0:3], 0 offset:500
	buffer_load_dword v4, off, s[0:3], 0 offset:496
	v_accvgpr_write_b32 a175, v19
	v_accvgpr_write_b32 a174, v18
	s_waitcnt vmcnt(0)
	v_pk_mov_b32 v[22:23], v[4:5], v[4:5] op_sel:[0,1]
	buffer_load_dword v135, off, s[0:3], 0 offset:492
	buffer_load_dword v134, off, s[0:3], 0 offset:488
	buffer_load_dword v139, off, s[0:3], 0 offset:484
	buffer_load_dword v138, off, s[0:3], 0 offset:480
	buffer_load_dword v5, off, s[0:3], 0 offset:540
	buffer_load_dword v4, off, s[0:3], 0 offset:536
	v_accvgpr_write_b32 a177, v23
	v_accvgpr_write_b32 a176, v22
	s_waitcnt vmcnt(0)
	v_pk_mov_b32 v[26:27], v[4:5], v[4:5] op_sel:[0,1]
	buffer_load_dword v5, off, s[0:3], 0 offset:532
	buffer_load_dword v4, off, s[0:3], 0 offset:528
	v_accvgpr_write_b32 a179, v27
	v_accvgpr_write_b32 a178, v26
	s_waitcnt vmcnt(0)
	v_pk_mov_b32 v[28:29], v[4:5], v[4:5] op_sel:[0,1]
	buffer_load_dword v143, off, s[0:3], 0 offset:524
	buffer_load_dword v142, off, s[0:3], 0 offset:520
	buffer_load_dword v147, off, s[0:3], 0 offset:516
	buffer_load_dword v146, off, s[0:3], 0 offset:512
	buffer_load_dword v5, off, s[0:3], 0 offset:572
	buffer_load_dword v4, off, s[0:3], 0 offset:568
	v_accvgpr_write_b32 a181, v29
	v_accvgpr_write_b32 a180, v28
	;; [unrolled: 16-line block ×3, first 2 shown]
	s_waitcnt vmcnt(0)
	v_pk_mov_b32 v[42:43], v[4:5], v[4:5] op_sel:[0,1]
	buffer_load_dword v5, off, s[0:3], 0 offset:596
	buffer_load_dword v4, off, s[0:3], 0 offset:592
	;; [unrolled: 1-line block ×30, first 2 shown]
	ds_read_b128 v[222:225], v1 offset:1296
	ds_read_b128 v[226:229], v1 offset:1312
	;; [unrolled: 1-line block ×10, first 2 shown]
	s_waitcnt lgkmcnt(4)
	v_mul_f64 v[8:9], v[242:243], v[106:107]
	v_fmac_f64_e32 v[8:9], v[244:245], v[108:109]
	s_waitcnt lgkmcnt(3)
	v_mul_f64 v[12:13], v[130:131], v[134:135]
	v_fmac_f64_e32 v[12:13], v[132:133], v[138:139]
	;; [unrolled: 3-line block ×5, first 2 shown]
	v_accvgpr_write_b32 a187, v43
	v_accvgpr_write_b32 a186, v42
	s_waitcnt vmcnt(28)
	v_pk_mov_b32 v[44:45], v[4:5], v[4:5] op_sel:[0,1]
	v_mul_f64 v[4:5], v[62:63], v[94:95]
	v_fmac_f64_e32 v[4:5], v[64:65], v[98:99]
	v_add_f64 v[2:3], v[2:3], v[4:5]
	v_mul_f64 v[4:5], v[222:223], v[104:105]
	v_fmac_f64_e32 v[4:5], v[224:225], v[248:249]
	v_add_f64 v[2:3], v[2:3], v[4:5]
	;; [unrolled: 3-line block ×6, first 2 shown]
	v_add_f64 v[10:11], v[6:7], v[8:9]
	v_add_f64 v[14:15], v[10:11], v[12:13]
	;; [unrolled: 1-line block ×4, first 2 shown]
	ds_read_b128 v[18:21], v1 offset:1456
	v_add_f64 v[26:27], v[22:23], v[24:25]
	ds_read_b128 v[22:25], v1 offset:1472
	v_accvgpr_write_b32 a189, v45
	v_accvgpr_write_b32 a188, v44
	s_waitcnt lgkmcnt(1)
	v_mul_f64 v[28:29], v[18:19], v[150:151]
	v_fmac_f64_e32 v[28:29], v[20:21], v[154:155]
	v_add_f64 v[30:31], v[26:27], v[28:29]
	ds_read_b128 v[26:29], v1 offset:1488
	s_waitcnt lgkmcnt(1)
	v_mul_f64 v[32:33], v[22:23], v[34:35]
	v_fmac_f64_e32 v[32:33], v[24:25], v[36:37]
	v_add_f64 v[34:35], v[30:31], v[32:33]
	ds_read_b128 v[30:33], v1 offset:1504
	s_waitcnt vmcnt(26) lgkmcnt(1)
	v_mul_f64 v[36:37], v[26:27], v[158:159]
	s_waitcnt vmcnt(24)
	v_fmac_f64_e32 v[36:37], v[28:29], v[160:161]
	v_add_f64 v[38:39], v[34:35], v[36:37]
	ds_read_b128 v[34:37], v1 offset:1520
	s_waitcnt lgkmcnt(1)
	v_mul_f64 v[40:41], v[30:31], v[42:43]
	v_fmac_f64_e32 v[40:41], v[32:33], v[44:45]
	v_add_f64 v[46:47], v[38:39], v[40:41]
	ds_read_b128 v[38:41], v1 offset:1536
	ds_read_b128 v[42:45], v1 offset:1552
	s_waitcnt vmcnt(18) lgkmcnt(2)
	v_mul_f64 v[48:49], v[34:35], v[162:163]
	s_waitcnt vmcnt(16)
	v_fmac_f64_e32 v[48:49], v[36:37], v[164:165]
	v_add_f64 v[46:47], v[46:47], v[48:49]
	s_waitcnt lgkmcnt(1)
	v_mul_f64 v[48:49], v[38:39], v[136:137]
	v_fmac_f64_e32 v[48:49], v[40:41], v[140:141]
	v_add_f64 v[46:47], v[46:47], v[48:49]
	s_waitcnt vmcnt(10) lgkmcnt(0)
	v_mul_f64 v[48:49], v[42:43], v[166:167]
	s_waitcnt vmcnt(8)
	v_fmac_f64_e32 v[48:49], v[44:45], v[168:169]
	v_add_f64 v[2:3], v[46:47], v[48:49]
	ds_read_b128 v[46:49], v1 offset:1568
	buffer_load_dword v175, off, s[0:3], 0 offset:716
	buffer_load_dword v174, off, s[0:3], 0 offset:712
	;; [unrolled: 1-line block ×16, first 2 shown]
	v_fma_f64 v[10:11], v[192:193], v[92:93], -v[50:51]
	buffer_load_dword v182, off, s[0:3], 0 offset:792
	buffer_load_dword v195, off, s[0:3], 0 offset:780
	;; [unrolled: 1-line block ×8, first 2 shown]
	v_mul_f64 v[8:9], v[200:201], v[68:69]
	v_fma_f64 v[8:9], v[198:199], v[70:71], -v[8:9]
	buffer_load_dword v199, off, s[0:3], 0 offset:812
	buffer_load_dword v198, off, s[0:3], 0 offset:808
	;; [unrolled: 1-line block ×4, first 2 shown]
	v_mul_f64 v[12:13], v[208:209], v[214:215]
	v_mul_f64 v[50:51], v[204:205], v[78:79]
	v_fma_f64 v[12:13], v[206:207], v[76:77], -v[12:13]
	buffer_load_dword v204, off, s[0:3], 0 offset:824
	buffer_load_dword v206, off, s[0:3], 0 offset:816
	;; [unrolled: 1-line block ×4, first 2 shown]
	v_mul_f64 v[4:5], v[116:117], v[66:67]
	v_fma_f64 v[6:7], v[202:203], v[90:91], -v[50:51]
	v_mul_f64 v[50:51], v[212:213], v[86:87]
	v_fma_f64 v[14:15], v[114:115], v[60:61], -v[4:5]
	v_fma_f64 v[4:5], v[210:211], v[88:89], -v[50:51]
	buffer_load_dword v203, off, s[0:3], 0 offset:860
	buffer_load_dword v209, off, s[0:3], 0 offset:844
	;; [unrolled: 1-line block ×12, first 2 shown]
	v_mul_f64 v[16:17], v[220:221], v[82:83]
	ds_read_b128 v[50:53], v1 offset:1584
	v_fma_f64 v[16:17], v[218:219], v[84:85], -v[16:17]
	buffer_load_dword v218, off, s[0:3], 0 offset:888
	buffer_load_dword v220, off, s[0:3], 0 offset:880
	;; [unrolled: 1-line block ×4, first 2 shown]
	ds_read_b128 v[54:57], v1 offset:1600
	s_waitcnt lgkmcnt(2)
	v_mul_f64 v[58:59], v[46:47], v[144:145]
	v_fmac_f64_e32 v[58:59], v[48:49], v[148:149]
	v_add_f64 v[2:3], v[2:3], v[58:59]
	s_waitcnt vmcnt(50) lgkmcnt(1)
	v_mul_f64 v[58:59], v[50:51], v[170:171]
	s_waitcnt vmcnt(48)
	v_fmac_f64_e32 v[58:59], v[52:53], v[172:173]
	v_mul_f64 v[64:65], v[64:65], v[94:95]
	v_add_f64 v[2:3], v[2:3], v[58:59]
	v_fma_f64 v[94:95], v[62:63], v[98:99], -v[64:65]
	ds_read_b128 v[62:65], v1 offset:1632
	s_waitcnt lgkmcnt(1)
	v_mul_f64 v[58:59], v[54:55], v[152:153]
	v_fmac_f64_e32 v[58:59], v[56:57], v[156:157]
	v_add_f64 v[2:3], v[2:3], v[58:59]
	ds_read_b128 v[58:61], v1 offset:1616
	v_mul_f64 v[78:79], v[228:229], v[100:101]
	v_mul_f64 v[86:87], v[236:237], v[110:111]
	v_add_f64 v[14:15], v[14:15], 0
	v_add_f64 v[14:15], v[14:15], v[216:217]
	;; [unrolled: 1-line block ×11, first 2 shown]
	v_mul_f64 v[6:7], v[132:133], v[134:135]
	v_fma_f64 v[6:7], v[130:131], v[138:139], -v[6:7]
	v_accvgpr_read_b32 v8, a176
	v_accvgpr_read_b32 v9, a177
	s_waitcnt vmcnt(46) lgkmcnt(0)
	v_mul_f64 v[66:67], v[58:59], v[174:175]
	s_waitcnt vmcnt(44)
	v_fmac_f64_e32 v[66:67], v[60:61], v[178:179]
	v_add_f64 v[2:3], v[2:3], v[66:67]
	v_mul_f64 v[66:67], v[224:225], v[104:105]
	v_fma_f64 v[248:249], v[222:223], v[248:249], -v[66:67]
	ds_read_b128 v[66:69], v1 offset:1648
	s_waitcnt vmcnt(41)
	v_mul_f64 v[70:71], v[62:63], v[176:177]
	s_waitcnt vmcnt(40)
	v_fmac_f64_e32 v[70:71], v[64:65], v[180:181]
	v_add_f64 v[2:3], v[2:3], v[70:71]
	ds_read_b128 v[70:73], v1 offset:1664
	v_fma_f64 v[222:223], v[226:227], v[102:103], -v[78:79]
	s_waitcnt vmcnt(38) lgkmcnt(1)
	v_mul_f64 v[78:79], v[66:67], v[184:185]
	s_waitcnt vmcnt(36)
	v_fmac_f64_e32 v[78:79], v[68:69], v[188:189]
	ds_read_b128 v[224:227], v1 offset:1680
	v_add_f64 v[2:3], v[2:3], v[78:79]
	v_mul_f64 v[78:79], v[232:233], v[250:251]
	v_fma_f64 v[232:233], v[230:231], v[252:253], -v[78:79]
	ds_read_b128 v[78:81], v1 offset:1696
	s_waitcnt vmcnt(34) lgkmcnt(2)
	v_mul_f64 v[82:83], v[70:71], v[186:187]
	s_waitcnt vmcnt(32)
	v_fmac_f64_e32 v[82:83], v[72:73], v[190:191]
	v_add_f64 v[2:3], v[2:3], v[82:83]
	s_waitcnt vmcnt(29) lgkmcnt(1)
	v_mul_f64 v[82:83], v[224:225], v[194:195]
	s_waitcnt vmcnt(27)
	v_fmac_f64_e32 v[82:83], v[226:227], v[196:197]
	v_add_f64 v[2:3], v[2:3], v[82:83]
	s_waitcnt vmcnt(25) lgkmcnt(0)
	v_mul_f64 v[82:83], v[78:79], v[182:183]
	s_waitcnt vmcnt(24)
	v_fmac_f64_e32 v[82:83], v[80:81], v[192:193]
	v_add_f64 v[2:3], v[2:3], v[82:83]
	ds_read_b128 v[82:85], v1 offset:1712
	v_fma_f64 v[250:251], v[234:235], v[112:113], -v[86:87]
	ds_read_b128 v[86:89], v1 offset:1728
	ds_read_b128 v[228:231], v1 offset:1760
	v_add_f64 v[4:5], v[4:5], v[248:249]
	s_waitcnt vmcnt(22) lgkmcnt(2)
	v_mul_f64 v[90:91], v[82:83], v[198:199]
	s_waitcnt vmcnt(20)
	v_fmac_f64_e32 v[90:91], v[84:85], v[200:201]
	v_add_f64 v[2:3], v[2:3], v[90:91]
	v_mul_f64 v[90:91], v[240:241], v[254:255]
	v_fma_f64 v[74:75], v[238:239], v[74:75], -v[90:91]
	ds_read_b128 v[90:93], v1 offset:1744
	s_waitcnt vmcnt(17) lgkmcnt(2)
	v_mul_f64 v[98:99], v[86:87], v[204:205]
	s_waitcnt vmcnt(16)
	v_fmac_f64_e32 v[98:99], v[88:89], v[206:207]
	v_add_f64 v[2:3], v[2:3], v[98:99]
	v_mul_f64 v[98:99], v[244:245], v[106:107]
	v_fma_f64 v[252:253], v[242:243], v[108:109], -v[98:99]
	ds_read_b128 v[98:101], v1 offset:1776
	s_waitcnt vmcnt(13) lgkmcnt(1)
	v_mul_f64 v[102:103], v[90:91], v[208:209]
	s_waitcnt vmcnt(11)
	v_fmac_f64_e32 v[102:103], v[92:93], v[214:215]
	v_add_f64 v[2:3], v[2:3], v[102:103]
	s_waitcnt vmcnt(10)
	v_mul_f64 v[102:103], v[228:229], v[202:203]
	s_waitcnt vmcnt(8)
	v_fmac_f64_e32 v[102:103], v[230:231], v[212:213]
	v_add_f64 v[2:3], v[2:3], v[102:103]
	s_waitcnt vmcnt(6) lgkmcnt(0)
	v_mul_f64 v[102:103], v[98:99], v[210:211]
	s_waitcnt vmcnt(4)
	v_fmac_f64_e32 v[102:103], v[100:101], v[76:77]
	v_add_f64 v[2:3], v[2:3], v[102:103]
	ds_read_b128 v[102:105], v1 offset:1792
	v_add_f64 v[4:5], v[4:5], v[222:223]
	v_add_f64 v[4:5], v[4:5], v[232:233]
	s_waitcnt vmcnt(1) lgkmcnt(0)
	v_mul_f64 v[106:107], v[102:103], v[218:219]
	s_waitcnt vmcnt(0)
	v_fmac_f64_e32 v[106:107], v[104:105], v[220:221]
	v_add_f64 v[110:111], v[2:3], v[106:107]
	buffer_load_dword v3, off, s[0:3], 0 offset:908
	buffer_load_dword v2, off, s[0:3], 0 offset:904
	;; [unrolled: 1-line block ×4, first 2 shown]
	ds_read_b128 v[106:109], v1 offset:1808
	buffer_load_dword v236, off, s[0:3], 0 offset:920
	buffer_load_dword v237, off, s[0:3], 0 offset:924
	;; [unrolled: 1-line block ×4, first 2 shown]
	s_waitcnt vmcnt(6) lgkmcnt(0)
	v_mul_f64 v[112:113], v[106:107], v[2:3]
	v_mul_f64 v[2:3], v[108:109], v[2:3]
	s_waitcnt vmcnt(4)
	v_fmac_f64_e32 v[112:113], v[108:109], v[234:235]
	v_add_f64 v[114:115], v[110:111], v[112:113]
	ds_read_b128 v[110:113], v1 offset:1824
	buffer_load_dword v243, off, s[0:3], 0 offset:940
	buffer_load_dword v242, off, s[0:3], 0 offset:936
	buffer_load_dword v245, off, s[0:3], 0 offset:932
	buffer_load_dword v244, off, s[0:3], 0 offset:928
	v_fma_f64 v[2:3], v[106:107], v[234:235], -v[2:3]
	s_waitcnt vmcnt(6) lgkmcnt(0)
	v_mul_f64 v[116:117], v[110:111], v[236:237]
	s_waitcnt vmcnt(4)
	v_fmac_f64_e32 v[116:117], v[112:113], v[238:239]
	v_add_f64 v[240:241], v[114:115], v[116:117]
	ds_read_b128 v[114:117], v1 offset:1840
	buffer_load_dword v248, off, s[0:3], 0 offset:192
	buffer_load_dword v249, off, s[0:3], 0 offset:196
	;; [unrolled: 1-line block ×4, first 2 shown]
	s_waitcnt vmcnt(6) lgkmcnt(0)
	v_mul_f64 v[254:255], v[114:115], v[242:243]
	s_waitcnt vmcnt(4)
	v_fmac_f64_e32 v[254:255], v[116:117], v[244:245]
	v_add_f64 v[240:241], v[240:241], v[254:255]
	v_add_f64 v[254:255], v[4:5], v[250:251]
	;; [unrolled: 1-line block ×5, first 2 shown]
	v_accvgpr_read_b32 v6, a174
	v_accvgpr_read_b32 v7, a175
	v_mul_f64 v[6:7], v[128:129], v[6:7]
	v_fma_f64 v[6:7], v[126:127], v[8:9], -v[6:7]
	v_add_f64 v[4:5], v[4:5], v[6:7]
	v_mul_f64 v[6:7], v[124:125], v[142:143]
	v_fma_f64 v[6:7], v[122:123], v[146:147], -v[6:7]
	v_add_f64 v[4:5], v[4:5], v[6:7]
	v_accvgpr_read_b32 v6, a178
	v_accvgpr_read_b32 v7, a179
	v_accvgpr_read_b32 v8, a180
	v_mul_f64 v[6:7], v[120:121], v[6:7]
	v_accvgpr_read_b32 v9, a181
	v_fma_f64 v[6:7], v[118:119], v[8:9], -v[6:7]
	v_add_f64 v[4:5], v[4:5], v[6:7]
	v_mul_f64 v[6:7], v[20:21], v[150:151]
	v_fma_f64 v[6:7], v[18:19], v[154:155], -v[6:7]
	v_add_f64 v[4:5], v[4:5], v[6:7]
	v_accvgpr_read_b32 v6, a182
	v_accvgpr_read_b32 v7, a183
	v_accvgpr_read_b32 v8, a184
	v_mul_f64 v[6:7], v[24:25], v[6:7]
	v_accvgpr_read_b32 v9, a185
	;; [unrolled: 10-line block ×3, first 2 shown]
	v_fma_f64 v[6:7], v[30:31], v[8:9], -v[6:7]
	v_add_f64 v[4:5], v[4:5], v[6:7]
	v_mul_f64 v[6:7], v[36:37], v[162:163]
	v_fma_f64 v[6:7], v[34:35], v[164:165], -v[6:7]
	v_add_f64 v[4:5], v[4:5], v[6:7]
	v_mul_f64 v[6:7], v[40:41], v[136:137]
	;; [unrolled: 3-line block ×18, first 2 shown]
	v_fma_f64 v[6:7], v[102:103], v[220:221], -v[6:7]
	v_add_f64 v[4:5], v[4:5], v[6:7]
	v_add_f64 v[2:3], v[4:5], v[2:3]
	v_mul_f64 v[4:5], v[112:113], v[236:237]
	v_fma_f64 v[4:5], v[110:111], v[238:239], -v[4:5]
	v_add_f64 v[2:3], v[2:3], v[4:5]
	v_mul_f64 v[4:5], v[116:117], v[242:243]
	v_fma_f64 v[4:5], v[114:115], v[244:245], -v[4:5]
	v_add_f64 v[2:3], v[2:3], v[4:5]
	s_waitcnt vmcnt(2)
	v_add_f64 v[2:3], v[248:249], -v[2:3]
	s_waitcnt vmcnt(0)
	v_add_f64 v[4:5], v[246:247], -v[240:241]
	buffer_store_dword v3, off, s[0:3], 0 offset:196
	buffer_store_dword v2, off, s[0:3], 0 offset:192
	;; [unrolled: 1-line block ×4, first 2 shown]
	s_and_saveexec_b64 s[4:5], vcc
	s_cbranch_execz .LBB121_341
; %bb.340:
	v_accvgpr_read_b32 v1, a163
	buffer_load_dword v2, v1, s[0:3], 0 offen
	buffer_load_dword v3, v1, s[0:3], 0 offen offset:4
	buffer_load_dword v4, v1, s[0:3], 0 offen offset:8
	;; [unrolled: 1-line block ×3, first 2 shown]
	v_mov_b32_e32 v1, 0
	v_accvgpr_read_b32 v6, a173
	buffer_store_dword v1, off, s[0:3], 0 offset:176
	buffer_store_dword v1, off, s[0:3], 0 offset:180
	;; [unrolled: 1-line block ×4, first 2 shown]
	s_waitcnt vmcnt(4)
	ds_write_b128 v6, v[2:5]
.LBB121_341:
	s_or_b64 exec, exec, s[4:5]
	s_waitcnt lgkmcnt(0)
	; wave barrier
	s_waitcnt lgkmcnt(0)
	buffer_load_dword v48, off, s[0:3], 0 offset:192
	buffer_load_dword v49, off, s[0:3], 0 offset:196
	;; [unrolled: 1-line block ×42, first 2 shown]
	v_mov_b32_e32 v1, 0
	buffer_load_dword v99, off, s[0:3], 0 offset:340
	buffer_load_dword v98, off, s[0:3], 0 offset:336
	;; [unrolled: 1-line block ×7, first 2 shown]
	ds_read_b128 v[112:115], v1 offset:1104
	ds_read_b128 v[170:173], v1 offset:1120
	;; [unrolled: 1-line block ×11, first 2 shown]
	v_cmp_lt_u32_e32 vcc, 9, v0
	s_waitcnt vmcnt(45) lgkmcnt(10)
	v_mul_f64 v[2:3], v[112:113], v[52:53]
	v_fmac_f64_e32 v[2:3], v[114:115], v[48:49]
	v_add_f64 v[2:3], v[2:3], 0
	s_waitcnt vmcnt(41) lgkmcnt(9)
	v_mul_f64 v[4:5], v[170:171], v[54:55]
	v_fmac_f64_e32 v[4:5], v[172:173], v[50:51]
	v_add_f64 v[2:3], v[2:3], v[4:5]
	buffer_load_dword v96, off, s[0:3], 0 offset:376
	buffer_load_dword v117, off, s[0:3], 0 offset:372
	;; [unrolled: 1-line block ×21, first 2 shown]
	s_waitcnt vmcnt(60) lgkmcnt(8)
	v_mul_f64 v[6:7], v[178:179], v[46:47]
	s_waitcnt vmcnt(58) lgkmcnt(6)
	v_mul_f64 v[10:11], v[188:189], v[62:63]
	s_waitcnt vmcnt(56)
	v_fmac_f64_e32 v[10:11], v[190:191], v[56:57]
	v_mul_f64 v[46:47], v[180:181], v[46:47]
	s_waitcnt vmcnt(54)
	v_mul_f64 v[8:9], v[182:183], v[64:65]
	s_waitcnt vmcnt(52) lgkmcnt(4)
	v_mul_f64 v[14:15], v[198:199], v[66:67]
	s_waitcnt vmcnt(50)
	v_fmac_f64_e32 v[14:15], v[200:201], v[68:69]
	s_waitcnt vmcnt(48)
	v_mul_f64 v[12:13], v[194:195], v[206:207]
	s_waitcnt vmcnt(46) lgkmcnt(2)
	v_mul_f64 v[18:19], v[212:213], v[76:77]
	s_waitcnt vmcnt(43)
	v_mul_f64 v[16:17], v[202:203], v[78:79]
	s_waitcnt vmcnt(41) lgkmcnt(1)
	v_mul_f64 v[20:21], v[218:219], v[72:73]
	s_waitcnt vmcnt(39)
	v_fmac_f64_e32 v[6:7], v[180:181], v[90:91]
	v_add_f64 v[2:3], v[2:3], v[6:7]
	s_waitcnt vmcnt(37)
	v_fmac_f64_e32 v[8:9], v[184:185], v[88:89]
	v_add_f64 v[2:3], v[2:3], v[8:9]
	;; [unrolled: 3-line block ×3, first 2 shown]
	v_add_f64 v[2:3], v[2:3], v[12:13]
	v_add_f64 v[2:3], v[2:3], v[14:15]
	s_waitcnt vmcnt(33)
	v_fmac_f64_e32 v[16:17], v[204:205], v[80:81]
	v_add_f64 v[2:3], v[2:3], v[16:17]
	s_waitcnt vmcnt(32)
	v_fmac_f64_e32 v[18:19], v[214:215], v[74:75]
	;; [unrolled: 3-line block ×3, first 2 shown]
	v_add_f64 v[2:3], v[2:3], v[20:21]
	v_fma_f64 v[90:91], v[178:179], v[90:91], -v[46:47]
	v_mul_f64 v[46:47], v[184:185], v[64:65]
	s_waitcnt vmcnt(0)
	v_pk_mov_b32 v[14:15], v[4:5], v[4:5] op_sel:[0,1]
	buffer_load_dword v5, off, s[0:3], 0 offset:484
	buffer_load_dword v4, off, s[0:3], 0 offset:480
	v_accvgpr_write_b32 a175, v15
	v_accvgpr_write_b32 a174, v14
	s_waitcnt vmcnt(0)
	v_pk_mov_b32 v[16:17], v[4:5], v[4:5] op_sel:[0,1]
	buffer_load_dword v105, off, s[0:3], 0 offset:476
	buffer_load_dword v104, off, s[0:3], 0 offset:472
	buffer_load_dword v107, off, s[0:3], 0 offset:468
	buffer_load_dword v106, off, s[0:3], 0 offset:464
	buffer_load_dword v5, off, s[0:3], 0 offset:524
	buffer_load_dword v4, off, s[0:3], 0 offset:520
	v_accvgpr_write_b32 a177, v17
	v_accvgpr_write_b32 a176, v16
	s_waitcnt vmcnt(0)
	v_pk_mov_b32 v[22:23], v[4:5], v[4:5] op_sel:[0,1]
	buffer_load_dword v5, off, s[0:3], 0 offset:516
	buffer_load_dword v4, off, s[0:3], 0 offset:512
	v_accvgpr_write_b32 a179, v23
	v_accvgpr_write_b32 a178, v22
	s_waitcnt vmcnt(0)
	v_pk_mov_b32 v[24:25], v[4:5], v[4:5] op_sel:[0,1]
	buffer_load_dword v139, off, s[0:3], 0 offset:508
	buffer_load_dword v138, off, s[0:3], 0 offset:504
	buffer_load_dword v143, off, s[0:3], 0 offset:500
	buffer_load_dword v142, off, s[0:3], 0 offset:496
	buffer_load_dword v5, off, s[0:3], 0 offset:556
	buffer_load_dword v4, off, s[0:3], 0 offset:552
	v_accvgpr_write_b32 a181, v25
	v_accvgpr_write_b32 a180, v24
	;; [unrolled: 16-line block ×4, first 2 shown]
	s_waitcnt vmcnt(0)
	v_pk_mov_b32 v[174:175], v[4:5], v[4:5] op_sel:[0,1]
	buffer_load_dword v5, off, s[0:3], 0 offset:612
	buffer_load_dword v4, off, s[0:3], 0 offset:608
	;; [unrolled: 1-line block ×22, first 2 shown]
	ds_read_b128 v[222:225], v1 offset:1280
	ds_read_b128 v[226:229], v1 offset:1296
	;; [unrolled: 1-line block ×12, first 2 shown]
	s_waitcnt lgkmcnt(5)
	v_mul_f64 v[8:9], v[246:247], v[104:105]
	v_fmac_f64_e32 v[8:9], v[248:249], v[106:107]
	s_waitcnt lgkmcnt(4)
	v_mul_f64 v[12:13], v[134:135], v[14:15]
	v_fmac_f64_e32 v[12:13], v[136:137], v[16:17]
	;; [unrolled: 3-line block ×6, first 2 shown]
	v_accvgpr_write_b32 a191, v175
	v_accvgpr_write_b32 a190, v174
	s_waitcnt vmcnt(20)
	v_pk_mov_b32 v[176:177], v[4:5], v[4:5] op_sel:[0,1]
	v_mul_f64 v[4:5], v[58:59], v[84:85]
	v_fmac_f64_e32 v[4:5], v[60:61], v[86:87]
	v_add_f64 v[2:3], v[2:3], v[4:5]
	v_mul_f64 v[4:5], v[222:223], v[96:97]
	v_fmac_f64_e32 v[4:5], v[224:225], v[116:117]
	v_add_f64 v[2:3], v[2:3], v[4:5]
	;; [unrolled: 3-line block ×7, first 2 shown]
	v_add_f64 v[10:11], v[6:7], v[8:9]
	v_add_f64 v[14:15], v[10:11], v[12:13]
	v_add_f64 v[18:19], v[14:15], v[16:17]
	v_add_f64 v[22:23], v[18:19], v[20:21]
	v_add_f64 v[26:27], v[22:23], v[24:25]
	ds_read_b128 v[22:25], v1 offset:1472
	v_add_f64 v[30:31], v[26:27], v[28:29]
	ds_read_b128 v[26:29], v1 offset:1488
	v_mul_f64 v[4:5], v[114:115], v[52:53]
	v_accvgpr_write_b32 a193, v177
	s_waitcnt lgkmcnt(1)
	v_mul_f64 v[32:33], v[22:23], v[154:155]
	v_fmac_f64_e32 v[32:33], v[24:25], v[156:157]
	s_waitcnt lgkmcnt(0)
	v_mul_f64 v[36:37], v[26:27], v[38:39]
	v_add_f64 v[34:35], v[30:31], v[32:33]
	ds_read_b128 v[30:33], v1 offset:1504
	v_fmac_f64_e32 v[36:37], v[28:29], v[40:41]
	v_add_f64 v[38:39], v[34:35], v[36:37]
	ds_read_b128 v[34:37], v1 offset:1520
	v_fma_f64 v[18:19], v[112:113], v[48:49], -v[4:5]
	s_waitcnt vmcnt(18) lgkmcnt(1)
	v_mul_f64 v[40:41], v[30:31], v[158:159]
	s_waitcnt vmcnt(16)
	v_fmac_f64_e32 v[40:41], v[32:33], v[160:161]
	v_add_f64 v[42:43], v[38:39], v[40:41]
	s_waitcnt lgkmcnt(0)
	v_mul_f64 v[44:45], v[34:35], v[174:175]
	v_fmac_f64_e32 v[44:45], v[36:37], v[176:177]
	v_mul_f64 v[48:49], v[172:173], v[54:55]
	ds_read_b128 v[38:41], v1 offset:1536
	v_accvgpr_write_b32 a192, v176
	v_add_f64 v[2:3], v[42:43], v[44:45]
	ds_read_b128 v[42:45], v1 offset:1552
	v_fma_f64 v[112:113], v[170:171], v[50:51], -v[48:49]
	buffer_load_dword v171, off, s[0:3], 0 offset:700
	buffer_load_dword v170, off, s[0:3], 0 offset:696
	;; [unrolled: 1-line block ×8, first 2 shown]
	v_fma_f64 v[14:15], v[182:183], v[88:89], -v[46:47]
	buffer_load_dword v179, off, s[0:3], 0 offset:748
	buffer_load_dword v183, off, s[0:3], 0 offset:732
	;; [unrolled: 1-line block ×8, first 2 shown]
	v_mul_f64 v[8:9], v[190:191], v[62:63]
	v_fma_f64 v[10:11], v[188:189], v[56:57], -v[8:9]
	buffer_load_dword v180, off, s[0:3], 0 offset:776
	buffer_load_dword v191, off, s[0:3], 0 offset:764
	;; [unrolled: 1-line block ×8, first 2 shown]
	v_mul_f64 v[50:51], v[196:197], v[206:207]
	ds_read_b128 v[46:49], v1 offset:1568
	v_fma_f64 v[8:9], v[194:195], v[82:83], -v[50:51]
	buffer_load_dword v195, off, s[0:3], 0 offset:796
	buffer_load_dword v194, off, s[0:3], 0 offset:792
	;; [unrolled: 1-line block ×4, first 2 shown]
	v_mul_f64 v[12:13], v[200:201], v[66:67]
	v_fma_f64 v[12:13], v[198:199], v[68:69], -v[12:13]
	buffer_load_dword v198, off, s[0:3], 0 offset:808
	buffer_load_dword v200, off, s[0:3], 0 offset:800
	;; [unrolled: 1-line block ×4, first 2 shown]
	v_mul_f64 v[50:51], v[204:205], v[78:79]
	buffer_load_dword v205, off, s[0:3], 0 offset:828
	buffer_load_dword v204, off, s[0:3], 0 offset:824
	;; [unrolled: 1-line block ×8, first 2 shown]
	v_mul_f64 v[16:17], v[214:215], v[76:77]
	v_fma_f64 v[6:7], v[202:203], v[80:81], -v[50:51]
	v_fma_f64 v[16:17], v[212:213], v[74:75], -v[16:17]
	buffer_load_dword v202, off, s[0:3], 0 offset:872
	buffer_load_dword v215, off, s[0:3], 0 offset:860
	;; [unrolled: 1-line block ×8, first 2 shown]
	s_waitcnt vmcnt(58) lgkmcnt(2)
	v_mul_f64 v[52:53], v[38:39], v[162:163]
	s_waitcnt vmcnt(56)
	v_fmac_f64_e32 v[52:53], v[40:41], v[164:165]
	v_mul_f64 v[50:51], v[220:221], v[72:73]
	v_add_f64 v[2:3], v[2:3], v[52:53]
	v_fma_f64 v[218:219], v[218:219], v[98:99], -v[50:51]
	ds_read_b128 v[50:53], v1 offset:1584
	s_waitcnt lgkmcnt(2)
	v_mul_f64 v[54:55], v[42:43], v[140:141]
	v_fmac_f64_e32 v[54:55], v[44:45], v[144:145]
	v_add_f64 v[2:3], v[2:3], v[54:55]
	s_waitcnt vmcnt(50) lgkmcnt(1)
	v_mul_f64 v[54:55], v[46:47], v[166:167]
	s_waitcnt vmcnt(48)
	v_fmac_f64_e32 v[54:55], v[48:49], v[168:169]
	v_mul_f64 v[60:61], v[60:61], v[84:85]
	v_add_f64 v[2:3], v[2:3], v[54:55]
	v_fma_f64 v[220:221], v[58:59], v[86:87], -v[60:61]
	ds_read_b128 v[58:61], v1 offset:1616
	s_waitcnt lgkmcnt(1)
	v_mul_f64 v[54:55], v[50:51], v[148:149]
	v_fmac_f64_e32 v[54:55], v[52:53], v[152:153]
	v_add_f64 v[2:3], v[2:3], v[54:55]
	ds_read_b128 v[54:57], v1 offset:1600
	v_mul_f64 v[74:75], v[232:233], v[250:251]
	v_fma_f64 v[252:253], v[230:231], v[252:253], -v[74:75]
	ds_read_b128 v[74:77], v1 offset:1680
	v_mul_f64 v[72:73], v[228:229], v[92:93]
	v_fma_f64 v[92:93], v[226:227], v[94:95], -v[72:73]
	ds_read_b128 v[82:85], v1 offset:1712
	ds_read_b128 v[86:89], v1 offset:1728
	;; [unrolled: 1-line block ×4, first 2 shown]
	v_add_f64 v[18:19], v[18:19], 0
	v_add_f64 v[18:19], v[18:19], v[112:113]
	;; [unrolled: 1-line block ×11, first 2 shown]
	v_accvgpr_read_b32 v8, a176
	v_accvgpr_read_b32 v9, a177
	s_waitcnt vmcnt(46) lgkmcnt(5)
	v_mul_f64 v[62:63], v[54:55], v[170:171]
	s_waitcnt vmcnt(44)
	v_fmac_f64_e32 v[62:63], v[56:57], v[176:177]
	v_add_f64 v[2:3], v[2:3], v[62:63]
	v_mul_f64 v[62:63], v[224:225], v[96:97]
	ds_read_b128 v[94:97], v1 offset:1760
	v_fma_f64 v[222:223], v[222:223], v[116:117], -v[62:63]
	ds_read_b128 v[62:65], v1 offset:1632
	s_waitcnt vmcnt(41)
	v_mul_f64 v[66:67], v[58:59], v[172:173]
	s_waitcnt vmcnt(40)
	v_fmac_f64_e32 v[66:67], v[60:61], v[174:175]
	v_add_f64 v[2:3], v[2:3], v[66:67]
	ds_read_b128 v[66:69], v1 offset:1648
	ds_read_b128 v[224:227], v1 offset:1664
	s_waitcnt vmcnt(37) lgkmcnt(2)
	v_mul_f64 v[72:73], v[62:63], v[182:183]
	s_waitcnt vmcnt(35)
	v_fmac_f64_e32 v[72:73], v[64:65], v[184:185]
	v_add_f64 v[2:3], v[2:3], v[72:73]
	s_waitcnt vmcnt(34) lgkmcnt(1)
	v_mul_f64 v[72:73], v[66:67], v[178:179]
	s_waitcnt vmcnt(32)
	v_fmac_f64_e32 v[72:73], v[68:69], v[186:187]
	v_add_f64 v[2:3], v[2:3], v[72:73]
	;; [unrolled: 5-line block ×3, first 2 shown]
	s_waitcnt vmcnt(25)
	v_mul_f64 v[72:73], v[74:75], v[180:181]
	s_waitcnt vmcnt(24)
	v_fmac_f64_e32 v[72:73], v[76:77], v[188:189]
	v_add_f64 v[2:3], v[2:3], v[72:73]
	v_mul_f64 v[72:73], v[236:237], v[108:109]
	v_fma_f64 v[250:251], v[234:235], v[110:111], -v[72:73]
	s_waitcnt vmcnt(22)
	v_mul_f64 v[72:73], v[78:79], v[194:195]
	s_waitcnt vmcnt(20)
	v_fmac_f64_e32 v[72:73], v[80:81], v[196:197]
	v_add_f64 v[2:3], v[2:3], v[72:73]
	v_mul_f64 v[72:73], v[240:241], v[254:255]
	s_waitcnt vmcnt(17)
	v_mul_f64 v[20:21], v[82:83], v[198:199]
	v_fma_f64 v[4:5], v[238:239], v[70:71], -v[72:73]
	s_waitcnt vmcnt(16)
	v_fmac_f64_e32 v[20:21], v[84:85], v[200:201]
	s_waitcnt vmcnt(14)
	v_mul_f64 v[70:71], v[86:87], v[204:205]
	v_add_f64 v[2:3], v[2:3], v[20:21]
	v_mul_f64 v[20:21], v[244:245], v[100:101]
	s_waitcnt vmcnt(12)
	v_fmac_f64_e32 v[70:71], v[88:89], v[208:209]
	ds_read_b128 v[98:101], v1 offset:1776
	v_add_f64 v[2:3], v[2:3], v[70:71]
	s_waitcnt vmcnt(10)
	v_mul_f64 v[70:71], v[228:229], v[206:207]
	s_waitcnt vmcnt(8)
	v_fmac_f64_e32 v[70:71], v[230:231], v[210:211]
	v_add_f64 v[2:3], v[2:3], v[70:71]
	s_waitcnt vmcnt(5)
	v_mul_f64 v[70:71], v[94:95], v[214:215]
	s_waitcnt vmcnt(3)
	v_fmac_f64_e32 v[70:71], v[96:97], v[216:217]
	v_add_f64 v[2:3], v[2:3], v[70:71]
	s_waitcnt vmcnt(1) lgkmcnt(0)
	v_mul_f64 v[70:71], v[98:99], v[202:203]
	s_waitcnt vmcnt(0)
	v_fmac_f64_e32 v[70:71], v[100:101], v[212:213]
	v_add_f64 v[70:71], v[2:3], v[70:71]
	buffer_load_dword v3, off, s[0:3], 0 offset:892
	buffer_load_dword v2, off, s[0:3], 0 offset:888
	;; [unrolled: 1-line block ×4, first 2 shown]
	v_fma_f64 v[20:21], v[242:243], v[102:103], -v[20:21]
	v_mul_f64 v[72:73], v[248:249], v[104:105]
	ds_read_b128 v[102:105], v1 offset:1792
	buffer_load_dword v110, off, s[0:3], 0 offset:904
	buffer_load_dword v111, off, s[0:3], 0 offset:908
	buffer_load_dword v234, off, s[0:3], 0 offset:896
	buffer_load_dword v235, off, s[0:3], 0 offset:900
	v_fma_f64 v[254:255], v[246:247], v[106:107], -v[72:73]
	ds_read_b128 v[106:109], v1 offset:1808
	buffer_load_dword v237, off, s[0:3], 0 offset:924
	buffer_load_dword v236, off, s[0:3], 0 offset:920
	;; [unrolled: 1-line block ×4, first 2 shown]
	v_add_f64 v[6:7], v[6:7], v[222:223]
	v_add_f64 v[6:7], v[6:7], v[92:93]
	;; [unrolled: 1-line block ×5, first 2 shown]
	v_accvgpr_read_b32 v6, a174
	v_accvgpr_read_b32 v7, a175
	v_add_f64 v[252:253], v[4:5], v[20:21]
	v_mul_f64 v[6:7], v[136:137], v[6:7]
	v_add_f64 v[4:5], v[252:253], v[254:255]
	v_fma_f64 v[6:7], v[134:135], v[8:9], -v[6:7]
	v_add_f64 v[4:5], v[4:5], v[6:7]
	v_mul_f64 v[6:7], v[132:133], v[138:139]
	v_fma_f64 v[6:7], v[130:131], v[142:143], -v[6:7]
	v_add_f64 v[4:5], v[4:5], v[6:7]
	v_accvgpr_read_b32 v6, a178
	v_accvgpr_read_b32 v7, a179
	v_accvgpr_read_b32 v8, a180
	v_mul_f64 v[6:7], v[128:129], v[6:7]
	v_accvgpr_read_b32 v9, a181
	v_fma_f64 v[6:7], v[126:127], v[8:9], -v[6:7]
	v_add_f64 v[4:5], v[4:5], v[6:7]
	v_mul_f64 v[6:7], v[124:125], v[146:147]
	v_fma_f64 v[6:7], v[122:123], v[150:151], -v[6:7]
	v_add_f64 v[4:5], v[4:5], v[6:7]
	v_accvgpr_read_b32 v6, a182
	v_accvgpr_read_b32 v7, a183
	v_accvgpr_read_b32 v8, a184
	v_mul_f64 v[6:7], v[120:121], v[6:7]
	v_accvgpr_read_b32 v9, a185
	;; [unrolled: 10-line block ×4, first 2 shown]
	v_fma_f64 v[6:7], v[34:35], v[8:9], -v[6:7]
	v_add_f64 v[4:5], v[4:5], v[6:7]
	v_mul_f64 v[6:7], v[40:41], v[162:163]
	v_fma_f64 v[6:7], v[38:39], v[164:165], -v[6:7]
	v_add_f64 v[4:5], v[4:5], v[6:7]
	v_mul_f64 v[6:7], v[44:45], v[140:141]
	;; [unrolled: 3-line block ×6, first 2 shown]
	v_fma_f64 v[6:7], v[58:59], v[174:175], -v[6:7]
	v_add_f64 v[4:5], v[4:5], v[6:7]
	s_waitcnt vmcnt(10) lgkmcnt(1)
	v_mul_f64 v[72:73], v[102:103], v[2:3]
	v_mul_f64 v[6:7], v[64:65], v[182:183]
	s_waitcnt vmcnt(8)
	v_fmac_f64_e32 v[72:73], v[104:105], v[232:233]
	v_add_f64 v[70:71], v[70:71], v[72:73]
	s_waitcnt vmcnt(6) lgkmcnt(0)
	v_mul_f64 v[72:73], v[106:107], v[110:111]
	v_fma_f64 v[6:7], v[62:63], v[184:185], -v[6:7]
	s_waitcnt vmcnt(4)
	v_fmac_f64_e32 v[72:73], v[108:109], v[234:235]
	v_add_f64 v[114:115], v[70:71], v[72:73]
	ds_read_b128 v[70:73], v1 offset:1824
	buffer_load_dword v242, off, s[0:3], 0 offset:936
	buffer_load_dword v243, off, s[0:3], 0 offset:940
	;; [unrolled: 1-line block ×4, first 2 shown]
	v_add_f64 v[4:5], v[4:5], v[6:7]
	v_mul_f64 v[6:7], v[68:69], v[178:179]
	v_fma_f64 v[6:7], v[66:67], v[186:187], -v[6:7]
	s_waitcnt vmcnt(6) lgkmcnt(0)
	v_mul_f64 v[116:117], v[70:71], v[236:237]
	s_waitcnt vmcnt(4)
	v_fmac_f64_e32 v[116:117], v[72:73], v[238:239]
	v_add_f64 v[240:241], v[114:115], v[116:117]
	ds_read_b128 v[114:117], v1 offset:1840
	buffer_load_dword v248, off, s[0:3], 0 offset:176
	buffer_load_dword v249, off, s[0:3], 0 offset:180
	v_add_f64 v[4:5], v[4:5], v[6:7]
	v_mul_f64 v[6:7], v[226:227], v[190:191]
	v_fma_f64 v[6:7], v[224:225], v[192:193], -v[6:7]
	v_add_f64 v[4:5], v[4:5], v[6:7]
	v_mul_f64 v[6:7], v[76:77], v[180:181]
	v_fma_f64 v[6:7], v[74:75], v[188:189], -v[6:7]
	;; [unrolled: 3-line block ×8, first 2 shown]
	v_mul_f64 v[2:3], v[104:105], v[2:3]
	v_add_f64 v[4:5], v[4:5], v[6:7]
	v_fma_f64 v[2:3], v[102:103], v[232:233], -v[2:3]
	v_add_f64 v[2:3], v[4:5], v[2:3]
	v_mul_f64 v[4:5], v[108:109], v[110:111]
	v_fma_f64 v[4:5], v[106:107], v[234:235], -v[4:5]
	v_add_f64 v[2:3], v[2:3], v[4:5]
	v_mul_f64 v[4:5], v[72:73], v[236:237]
	v_fma_f64 v[4:5], v[70:71], v[238:239], -v[4:5]
	v_add_f64 v[2:3], v[2:3], v[4:5]
	s_waitcnt vmcnt(4) lgkmcnt(0)
	v_mul_f64 v[246:247], v[114:115], v[242:243]
	v_mul_f64 v[4:5], v[116:117], v[242:243]
	s_waitcnt vmcnt(2)
	v_fmac_f64_e32 v[246:247], v[116:117], v[244:245]
	v_add_f64 v[240:241], v[240:241], v[246:247]
	buffer_load_dword v246, off, s[0:3], 0 offset:184
	buffer_load_dword v247, off, s[0:3], 0 offset:188
	v_fma_f64 v[4:5], v[114:115], v[244:245], -v[4:5]
	v_add_f64 v[2:3], v[2:3], v[4:5]
	s_waitcnt vmcnt(2)
	v_add_f64 v[2:3], v[248:249], -v[2:3]
	s_waitcnt vmcnt(0)
	v_add_f64 v[4:5], v[246:247], -v[240:241]
	buffer_store_dword v3, off, s[0:3], 0 offset:180
	buffer_store_dword v2, off, s[0:3], 0 offset:176
	;; [unrolled: 1-line block ×4, first 2 shown]
	s_and_saveexec_b64 s[4:5], vcc
	s_cbranch_execz .LBB121_343
; %bb.342:
	v_accvgpr_read_b32 v5, a164
	buffer_load_dword v2, v5, s[0:3], 0 offen
	buffer_load_dword v3, v5, s[0:3], 0 offen offset:4
	buffer_load_dword v4, v5, s[0:3], 0 offen offset:8
	s_nop 0
	buffer_load_dword v5, v5, s[0:3], 0 offen offset:12
	v_accvgpr_read_b32 v6, a173
	buffer_store_dword v1, off, s[0:3], 0 offset:160
	buffer_store_dword v1, off, s[0:3], 0 offset:164
	buffer_store_dword v1, off, s[0:3], 0 offset:168
	buffer_store_dword v1, off, s[0:3], 0 offset:172
	s_waitcnt vmcnt(4)
	ds_write_b128 v6, v[2:5]
.LBB121_343:
	s_or_b64 exec, exec, s[4:5]
	s_waitcnt lgkmcnt(0)
	; wave barrier
	s_waitcnt lgkmcnt(0)
	buffer_load_dword v42, off, s[0:3], 0 offset:176
	buffer_load_dword v43, off, s[0:3], 0 offset:180
	;; [unrolled: 1-line block ×42, first 2 shown]
	ds_read_b128 v[110:113], v1 offset:1088
	ds_read_b128 v[114:117], v1 offset:1104
	ds_read_b128 v[174:177], v1 offset:1120
	ds_read_b128 v[178:181], v1 offset:1136
	ds_read_b128 v[186:189], v1 offset:1152
	ds_read_b128 v[190:193], v1 offset:1168
	ds_read_b128 v[194:197], v1 offset:1184
	ds_read_b128 v[198:201], v1 offset:1200
	ds_read_b128 v[202:205], v1 offset:1216
	ds_read_b128 v[208:211], v1 offset:1232
	buffer_load_dword v213, off, s[0:3], 0 offset:324
	buffer_load_dword v212, off, s[0:3], 0 offset:320
	ds_read_b128 v[50:53], v1 offset:1248
	buffer_load_dword v89, off, s[0:3], 0 offset:380
	buffer_load_dword v88, off, s[0:3], 0 offset:376
	;; [unrolled: 1-line block ×8, first 2 shown]
	v_cmp_lt_u32_e32 vcc, 8, v0
	s_waitcnt vmcnt(48) lgkmcnt(10)
	v_mul_f64 v[2:3], v[110:111], v[48:49]
	v_fmac_f64_e32 v[2:3], v[112:113], v[42:43]
	v_add_f64 v[2:3], v[2:3], 0
	s_waitcnt vmcnt(44) lgkmcnt(9)
	v_mul_f64 v[4:5], v[114:115], v[54:55]
	v_fmac_f64_e32 v[4:5], v[116:117], v[44:45]
	v_add_f64 v[2:3], v[2:3], v[4:5]
	buffer_load_dword v107, off, s[0:3], 0 offset:412
	buffer_load_dword v106, off, s[0:3], 0 offset:408
	;; [unrolled: 1-line block ×26, first 2 shown]
	s_waitcnt vmcnt(62) lgkmcnt(8)
	v_mul_f64 v[6:7], v[174:175], v[46:47]
	s_waitcnt lgkmcnt(6)
	v_mul_f64 v[10:11], v[186:187], v[58:59]
	v_fmac_f64_e32 v[10:11], v[188:189], v[56:57]
	v_mul_f64 v[46:47], v[176:177], v[46:47]
	v_mul_f64 v[8:9], v[178:179], v[60:61]
	s_waitcnt vmcnt(60) lgkmcnt(4)
	v_mul_f64 v[14:15], v[194:195], v[62:63]
	s_waitcnt vmcnt(58)
	v_fmac_f64_e32 v[14:15], v[196:197], v[64:65]
	s_waitcnt vmcnt(56)
	v_mul_f64 v[12:13], v[190:191], v[206:207]
	s_waitcnt vmcnt(54) lgkmcnt(2)
	v_mul_f64 v[18:19], v[202:203], v[68:69]
	s_waitcnt vmcnt(51)
	v_mul_f64 v[16:17], v[198:199], v[74:75]
	s_waitcnt vmcnt(49) lgkmcnt(1)
	v_mul_f64 v[20:21], v[208:209], v[72:73]
	s_waitcnt vmcnt(47)
	v_fmac_f64_e32 v[6:7], v[176:177], v[82:83]
	v_add_f64 v[2:3], v[2:3], v[6:7]
	s_waitcnt vmcnt(45)
	v_fmac_f64_e32 v[8:9], v[180:181], v[80:81]
	v_add_f64 v[2:3], v[2:3], v[8:9]
	;; [unrolled: 3-line block ×3, first 2 shown]
	v_add_f64 v[2:3], v[2:3], v[12:13]
	s_waitcnt vmcnt(41)
	v_fmac_f64_e32 v[16:17], v[200:201], v[76:77]
	v_add_f64 v[2:3], v[2:3], v[14:15]
	s_waitcnt vmcnt(40)
	v_fmac_f64_e32 v[18:19], v[204:205], v[70:71]
	v_add_f64 v[2:3], v[2:3], v[16:17]
	v_add_f64 v[2:3], v[2:3], v[18:19]
	s_waitcnt vmcnt(34)
	v_fmac_f64_e32 v[20:21], v[210:211], v[212:213]
	v_add_f64 v[2:3], v[2:3], v[20:21]
	s_waitcnt vmcnt(0)
	v_pk_mov_b32 v[18:19], v[4:5], v[4:5] op_sel:[0,1]
	buffer_load_dword v5, off, s[0:3], 0 offset:500
	buffer_load_dword v7, off, s[0:3], 0 offset:492
	buffer_load_dword v6, off, s[0:3], 0 offset:488
	v_accvgpr_write_b32 a179, v19
	v_accvgpr_write_b32 a178, v18
	s_waitcnt vmcnt(0)
	v_pk_mov_b32 v[14:15], v[6:7], v[6:7] op_sel:[0,1]
	buffer_load_dword v7, off, s[0:3], 0 offset:484
	buffer_load_dword v6, off, s[0:3], 0 offset:480
	;; [unrolled: 1-line block ×3, first 2 shown]
	v_accvgpr_write_b32 a175, v15
	v_accvgpr_write_b32 a174, v14
	s_waitcnt vmcnt(1)
	v_pk_mov_b32 v[16:17], v[6:7], v[6:7] op_sel:[0,1]
	s_waitcnt vmcnt(0)
	v_pk_mov_b32 v[22:23], v[4:5], v[4:5] op_sel:[0,1]
	buffer_load_dword v5, off, s[0:3], 0 offset:540
	buffer_load_dword v4, off, s[0:3], 0 offset:536
	v_accvgpr_write_b32 a177, v17
	v_accvgpr_write_b32 a176, v16
	;; [unrolled: 1-line block ×4, first 2 shown]
	s_waitcnt vmcnt(0)
	v_pk_mov_b32 v[26:27], v[4:5], v[4:5] op_sel:[0,1]
	buffer_load_dword v5, off, s[0:3], 0 offset:532
	buffer_load_dword v141, off, s[0:3], 0 offset:524
	;; [unrolled: 1-line block ×6, first 2 shown]
	v_accvgpr_write_b32 a183, v27
	v_accvgpr_write_b32 a182, v26
	s_waitcnt vmcnt(0)
	v_pk_mov_b32 v[28:29], v[4:5], v[4:5] op_sel:[0,1]
	buffer_load_dword v5, off, s[0:3], 0 offset:572
	buffer_load_dword v4, off, s[0:3], 0 offset:568
	v_accvgpr_write_b32 a185, v29
	v_accvgpr_write_b32 a184, v28
	s_waitcnt vmcnt(0)
	v_pk_mov_b32 v[34:35], v[4:5], v[4:5] op_sel:[0,1]
	buffer_load_dword v5, off, s[0:3], 0 offset:564
	buffer_load_dword v149, off, s[0:3], 0 offset:556
	;; [unrolled: 1-line block ×6, first 2 shown]
	v_accvgpr_write_b32 a187, v35
	v_accvgpr_write_b32 a186, v34
	s_waitcnt vmcnt(0)
	v_pk_mov_b32 v[36:37], v[4:5], v[4:5] op_sel:[0,1]
	buffer_load_dword v5, off, s[0:3], 0 offset:604
	buffer_load_dword v4, off, s[0:3], 0 offset:600
	v_accvgpr_write_b32 a189, v37
	v_accvgpr_write_b32 a188, v36
	s_waitcnt vmcnt(0)
	v_pk_mov_b32 v[38:39], v[4:5], v[4:5] op_sel:[0,1]
	buffer_load_dword v5, off, s[0:3], 0 offset:596
	buffer_load_dword v153, off, s[0:3], 0 offset:588
	;; [unrolled: 1-line block ×20, first 2 shown]
	ds_read_b128 v[218:221], v1 offset:1264
	ds_read_b128 v[222:225], v1 offset:1280
	ds_read_b128 v[226:229], v1 offset:1296
	ds_read_b128 v[230:233], v1 offset:1312
	ds_read_b128 v[234:237], v1 offset:1328
	ds_read_b128 v[238:241], v1 offset:1344
	ds_read_b128 v[242:245], v1 offset:1360
	ds_read_b128 v[246:249], v1 offset:1376
	ds_read_b128 v[134:137], v1 offset:1392
	ds_read_b128 v[130:133], v1 offset:1408
	ds_read_b128 v[126:129], v1 offset:1424
	ds_read_b128 v[122:125], v1 offset:1440
	s_waitcnt lgkmcnt(4)
	v_mul_f64 v[8:9], v[246:247], v[98:99]
	v_fmac_f64_e32 v[8:9], v[248:249], v[100:101]
	s_waitcnt lgkmcnt(3)
	v_mul_f64 v[12:13], v[134:135], v[14:15]
	v_fmac_f64_e32 v[12:13], v[136:137], v[16:17]
	;; [unrolled: 3-line block ×3, first 2 shown]
	s_waitcnt lgkmcnt(1)
	v_mul_f64 v[20:21], v[126:127], v[140:141]
	ds_read_b128 v[118:121], v1 offset:1456
	v_fmac_f64_e32 v[20:21], v[128:129], v[144:145]
	s_waitcnt lgkmcnt(1)
	v_mul_f64 v[24:25], v[122:123], v[26:27]
	v_fmac_f64_e32 v[24:25], v[124:125], v[28:29]
	v_accvgpr_write_b32 a191, v39
	v_accvgpr_write_b32 a190, v38
	v_mul_f64 v[98:99], v[248:249], v[98:99]
	s_waitcnt vmcnt(14)
	v_pk_mov_b32 v[40:41], v[4:5], v[4:5] op_sel:[0,1]
	v_mul_f64 v[4:5], v[50:51], v[84:85]
	v_fmac_f64_e32 v[4:5], v[52:53], v[86:87]
	v_add_f64 v[2:3], v[2:3], v[4:5]
	v_mul_f64 v[4:5], v[218:219], v[96:97]
	v_fmac_f64_e32 v[4:5], v[220:221], v[250:251]
	v_add_f64 v[2:3], v[2:3], v[4:5]
	;; [unrolled: 3-line block ×8, first 2 shown]
	v_add_f64 v[10:11], v[6:7], v[8:9]
	v_add_f64 v[14:15], v[10:11], v[12:13]
	;; [unrolled: 1-line block ×5, first 2 shown]
	ds_read_b128 v[22:25], v1 offset:1472
	s_waitcnt lgkmcnt(1)
	v_mul_f64 v[28:29], v[118:119], v[148:149]
	v_fmac_f64_e32 v[28:29], v[120:121], v[150:151]
	v_add_f64 v[30:31], v[26:27], v[28:29]
	ds_read_b128 v[26:29], v1 offset:1488
	s_waitcnt lgkmcnt(1)
	v_mul_f64 v[32:33], v[22:23], v[34:35]
	v_fmac_f64_e32 v[32:33], v[24:25], v[36:37]
	v_add_f64 v[34:35], v[30:31], v[32:33]
	ds_read_b128 v[30:33], v1 offset:1504
	s_waitcnt lgkmcnt(1)
	v_mul_f64 v[36:37], v[26:27], v[152:153]
	v_fmac_f64_e32 v[36:37], v[28:29], v[154:155]
	v_add_f64 v[164:165], v[34:35], v[36:37]
	ds_read_b128 v[34:37], v1 offset:1520
	s_waitcnt lgkmcnt(1)
	v_mul_f64 v[166:167], v[30:31], v[38:39]
	v_accvgpr_write_b32 a193, v41
	v_fmac_f64_e32 v[166:167], v[32:33], v[40:41]
	v_accvgpr_write_b32 a192, v40
	ds_read_b128 v[38:41], v1 offset:1536
	v_add_f64 v[164:165], v[164:165], v[166:167]
	s_waitcnt vmcnt(9) lgkmcnt(1)
	v_mul_f64 v[166:167], v[34:35], v[156:157]
	s_waitcnt vmcnt(7)
	v_fmac_f64_e32 v[166:167], v[36:37], v[160:161]
	v_add_f64 v[164:165], v[164:165], v[166:167]
	s_waitcnt lgkmcnt(0)
	v_mul_f64 v[166:167], v[38:39], v[138:139]
	s_waitcnt vmcnt(6)
	v_fmac_f64_e32 v[166:167], v[40:41], v[142:143]
	v_add_f64 v[2:3], v[164:165], v[166:167]
	buffer_load_dword v167, off, s[0:3], 0 offset:660
	buffer_load_dword v166, off, s[0:3], 0 offset:656
	;; [unrolled: 1-line block ×10, first 2 shown]
	v_mul_f64 v[4:5], v[112:113], v[48:49]
	v_fma_f64 v[18:19], v[110:111], v[42:43], -v[4:5]
	v_mul_f64 v[42:43], v[116:117], v[54:55]
	v_fma_f64 v[110:111], v[114:115], v[44:45], -v[42:43]
	ds_read_b128 v[42:45], v1 offset:1552
	v_fma_f64 v[112:113], v[174:175], v[82:83], -v[46:47]
	v_mul_f64 v[46:47], v[180:181], v[60:61]
	buffer_load_dword v175, off, s[0:3], 0 offset:716
	buffer_load_dword v174, off, s[0:3], 0 offset:712
	;; [unrolled: 1-line block ×4, first 2 shown]
	v_fma_f64 v[14:15], v[178:179], v[80:81], -v[46:47]
	buffer_load_dword v179, off, s[0:3], 0 offset:732
	buffer_load_dword v178, off, s[0:3], 0 offset:728
	;; [unrolled: 1-line block ×8, first 2 shown]
	v_mul_f64 v[8:9], v[188:189], v[58:59]
	v_fma_f64 v[10:11], v[186:187], v[56:57], -v[8:9]
	buffer_load_dword v186, off, s[0:3], 0 offset:760
	v_mul_f64 v[46:47], v[192:193], v[206:207]
	v_fma_f64 v[8:9], v[190:191], v[78:79], -v[46:47]
	buffer_load_dword v190, off, s[0:3], 0 offset:752
	buffer_load_dword v187, off, s[0:3], 0 offset:764
	;; [unrolled: 1-line block ×3, first 2 shown]
	v_mul_f64 v[12:13], v[196:197], v[62:63]
	v_fma_f64 v[12:13], v[194:195], v[64:65], -v[12:13]
	buffer_load_dword v188, off, s[0:3], 0 offset:792
	buffer_load_dword v195, off, s[0:3], 0 offset:780
	;; [unrolled: 1-line block ×8, first 2 shown]
	v_mul_f64 v[48:49], v[200:201], v[74:75]
	v_fma_f64 v[6:7], v[198:199], v[76:77], -v[48:49]
	buffer_load_dword v199, off, s[0:3], 0 offset:812
	buffer_load_dword v198, off, s[0:3], 0 offset:808
	;; [unrolled: 1-line block ×4, first 2 shown]
	v_mul_f64 v[16:17], v[204:205], v[68:69]
	buffer_load_dword v205, off, s[0:3], 0 offset:828
	buffer_load_dword v204, off, s[0:3], 0 offset:824
	;; [unrolled: 1-line block ×4, first 2 shown]
	v_mul_f64 v[48:49], v[210:211], v[72:73]
	v_fma_f64 v[16:17], v[202:203], v[70:71], -v[16:17]
	v_fma_f64 v[4:5], v[208:209], v[212:213], -v[48:49]
	buffer_load_dword v202, off, s[0:3], 0 offset:856
	buffer_load_dword v211, off, s[0:3], 0 offset:844
	;; [unrolled: 1-line block ×12, first 2 shown]
	s_waitcnt vmcnt(56) lgkmcnt(0)
	v_mul_f64 v[46:47], v[42:43], v[158:159]
	s_waitcnt vmcnt(54)
	v_fmac_f64_e32 v[46:47], v[44:45], v[162:163]
	v_add_f64 v[2:3], v[2:3], v[46:47]
	ds_read_b128 v[46:49], v1 offset:1568
	v_mul_f64 v[20:21], v[52:53], v[84:85]
	v_fma_f64 v[20:21], v[50:51], v[86:87], -v[20:21]
	ds_read_b128 v[50:53], v1 offset:1584
	v_mul_f64 v[54:55], v[220:221], v[96:97]
	v_fma_f64 v[250:251], v[218:219], v[250:251], -v[54:55]
	ds_read_b128 v[54:57], v1 offset:1600
	s_waitcnt lgkmcnt(2)
	v_mul_f64 v[58:59], v[46:47], v[146:147]
	v_mul_f64 v[62:63], v[224:225], v[88:89]
	v_fma_f64 v[218:219], v[222:223], v[90:91], -v[62:63]
	ds_read_b128 v[62:65], v1 offset:1632
	v_mul_f64 v[72:73], v[228:229], v[252:253]
	v_fma_f64 v[254:255], v[226:227], v[254:255], -v[72:73]
	v_mul_f64 v[74:75], v[232:233], v[106:107]
	v_fma_f64 v[232:233], v[230:231], v[108:109], -v[74:75]
	ds_read_b128 v[78:81], v1 offset:1696
	v_mul_f64 v[66:67], v[236:237], v[66:67]
	v_fma_f64 v[214:215], v[234:235], v[214:215], -v[66:67]
	ds_read_b128 v[86:89], v1 offset:1728
	v_mul_f64 v[90:91], v[244:245], v[102:103]
	v_fma_f64 v[252:253], v[246:247], v[100:101], -v[98:99]
	v_add_f64 v[18:19], v[18:19], 0
	v_add_f64 v[18:19], v[18:19], v[110:111]
	;; [unrolled: 1-line block ×3, first 2 shown]
	ds_read_b128 v[224:227], v1 offset:1648
	v_add_f64 v[14:15], v[18:19], v[14:15]
	v_add_f64 v[10:11], v[14:15], v[10:11]
	;; [unrolled: 1-line block ×10, first 2 shown]
	ds_read_b128 v[74:77], v1 offset:1680
	v_add_f64 v[4:5], v[4:5], v[254:255]
	v_add_f64 v[4:5], v[4:5], v[232:233]
	;; [unrolled: 1-line block ×3, first 2 shown]
	v_accvgpr_read_b32 v6, a176
	v_accvgpr_read_b32 v7, a177
	ds_read_b128 v[98:101], v1 offset:1776
	s_waitcnt vmcnt(52)
	v_fmac_f64_e32 v[58:59], v[48:49], v[166:167]
	v_add_f64 v[2:3], v[2:3], v[58:59]
	s_waitcnt vmcnt(49) lgkmcnt(7)
	v_mul_f64 v[58:59], v[50:51], v[170:171]
	s_waitcnt vmcnt(47)
	v_fmac_f64_e32 v[58:59], v[52:53], v[172:173]
	v_add_f64 v[2:3], v[2:3], v[58:59]
	s_waitcnt vmcnt(45) lgkmcnt(6)
	v_mul_f64 v[58:59], v[54:55], v[164:165]
	s_waitcnt vmcnt(44)
	v_fmac_f64_e32 v[58:59], v[56:57], v[168:169]
	v_add_f64 v[2:3], v[2:3], v[58:59]
	ds_read_b128 v[58:61], v1 offset:1616
	s_waitcnt vmcnt(42) lgkmcnt(0)
	v_mul_f64 v[70:71], v[58:59], v[174:175]
	s_waitcnt vmcnt(40)
	v_fmac_f64_e32 v[70:71], v[60:61], v[176:177]
	v_add_f64 v[2:3], v[2:3], v[70:71]
	s_waitcnt vmcnt(38)
	v_mul_f64 v[70:71], v[62:63], v[178:179]
	s_waitcnt vmcnt(36)
	v_fmac_f64_e32 v[70:71], v[64:65], v[182:183]
	v_add_f64 v[2:3], v[2:3], v[70:71]
	s_waitcnt vmcnt(34)
	v_mul_f64 v[70:71], v[224:225], v[180:181]
	s_waitcnt vmcnt(32)
	v_fmac_f64_e32 v[70:71], v[226:227], v[184:185]
	v_add_f64 v[2:3], v[2:3], v[70:71]
	ds_read_b128 v[70:73], v1 offset:1664
	s_waitcnt vmcnt(25)
	v_mul_f64 v[66:67], v[74:75], v[194:195]
	s_waitcnt vmcnt(23)
	v_fmac_f64_e32 v[66:67], v[76:77], v[196:197]
	s_waitcnt lgkmcnt(0)
	v_mul_f64 v[82:83], v[70:71], v[186:187]
	v_fmac_f64_e32 v[82:83], v[72:73], v[190:191]
	v_add_f64 v[2:3], v[2:3], v[82:83]
	ds_read_b128 v[82:85], v1 offset:1712
	v_add_f64 v[2:3], v[2:3], v[66:67]
	s_waitcnt vmcnt(21)
	v_mul_f64 v[66:67], v[78:79], v[188:189]
	s_waitcnt vmcnt(20)
	v_fmac_f64_e32 v[66:67], v[80:81], v[192:193]
	v_add_f64 v[66:67], v[2:3], v[66:67]
	v_mul_f64 v[2:3], v[240:241], v[92:93]
	v_fma_f64 v[2:3], v[238:239], v[94:95], -v[2:3]
	s_waitcnt vmcnt(18) lgkmcnt(0)
	v_mul_f64 v[94:95], v[82:83], v[198:199]
	s_waitcnt vmcnt(16)
	v_fmac_f64_e32 v[94:95], v[84:85], v[200:201]
	v_fma_f64 v[240:241], v[242:243], v[104:105], -v[90:91]
	ds_read_b128 v[90:93], v1 offset:1744
	v_add_f64 v[66:67], v[66:67], v[94:95]
	s_waitcnt vmcnt(14)
	v_mul_f64 v[94:95], v[86:87], v[204:205]
	s_waitcnt vmcnt(12)
	v_fmac_f64_e32 v[94:95], v[88:89], v[206:207]
	v_add_f64 v[66:67], v[66:67], v[94:95]
	ds_read_b128 v[94:97], v1 offset:1760
	s_waitcnt vmcnt(9) lgkmcnt(1)
	v_mul_f64 v[102:103], v[90:91], v[210:211]
	s_waitcnt vmcnt(7)
	v_fmac_f64_e32 v[102:103], v[92:93], v[68:69]
	v_add_f64 v[66:67], v[66:67], v[102:103]
	v_add_f64 v[254:255], v[4:5], v[2:3]
	s_waitcnt vmcnt(5) lgkmcnt(0)
	v_mul_f64 v[102:103], v[94:95], v[202:203]
	s_waitcnt vmcnt(4)
	v_fmac_f64_e32 v[102:103], v[96:97], v[208:209]
	v_add_f64 v[66:67], v[66:67], v[102:103]
	s_waitcnt vmcnt(2)
	v_mul_f64 v[102:103], v[98:99], v[212:213]
	s_waitcnt vmcnt(0)
	v_fmac_f64_e32 v[102:103], v[100:101], v[216:217]
	v_add_f64 v[106:107], v[66:67], v[102:103]
	buffer_load_dword v66, off, s[0:3], 0 offset:888
	buffer_load_dword v67, off, s[0:3], 0 offset:892
	;; [unrolled: 1-line block ×4, first 2 shown]
	ds_read_b128 v[102:105], v1 offset:1792
	buffer_load_dword v223, off, s[0:3], 0 offset:908
	buffer_load_dword v222, off, s[0:3], 0 offset:904
	;; [unrolled: 1-line block ×4, first 2 shown]
	v_accvgpr_read_b32 v4, a174
	v_accvgpr_read_b32 v5, a175
	v_add_f64 v[2:3], v[254:255], v[240:241]
	v_mul_f64 v[4:5], v[136:137], v[4:5]
	v_add_f64 v[2:3], v[2:3], v[252:253]
	v_fma_f64 v[4:5], v[134:135], v[6:7], -v[4:5]
	v_add_f64 v[2:3], v[2:3], v[4:5]
	v_accvgpr_read_b32 v4, a178
	v_accvgpr_read_b32 v5, a179
	v_accvgpr_read_b32 v6, a180
	v_mul_f64 v[4:5], v[132:133], v[4:5]
	v_accvgpr_read_b32 v7, a181
	v_fma_f64 v[4:5], v[130:131], v[6:7], -v[4:5]
	v_add_f64 v[2:3], v[2:3], v[4:5]
	v_mul_f64 v[4:5], v[128:129], v[140:141]
	v_fma_f64 v[4:5], v[126:127], v[144:145], -v[4:5]
	v_add_f64 v[2:3], v[2:3], v[4:5]
	v_accvgpr_read_b32 v4, a182
	v_accvgpr_read_b32 v5, a183
	v_accvgpr_read_b32 v6, a184
	v_mul_f64 v[4:5], v[124:125], v[4:5]
	v_accvgpr_read_b32 v7, a185
	v_fma_f64 v[4:5], v[122:123], v[6:7], -v[4:5]
	v_add_f64 v[2:3], v[2:3], v[4:5]
	v_mul_f64 v[4:5], v[120:121], v[148:149]
	;; [unrolled: 10-line block ×4, first 2 shown]
	v_fma_f64 v[4:5], v[34:35], v[160:161], -v[4:5]
	v_add_f64 v[2:3], v[2:3], v[4:5]
	v_mul_f64 v[4:5], v[40:41], v[138:139]
	v_fma_f64 v[4:5], v[38:39], v[142:143], -v[4:5]
	v_add_f64 v[2:3], v[2:3], v[4:5]
	v_mul_f64 v[4:5], v[44:45], v[158:159]
	v_fma_f64 v[4:5], v[42:43], v[162:163], -v[4:5]
	v_add_f64 v[2:3], v[2:3], v[4:5]
	v_mul_f64 v[4:5], v[48:49], v[146:147]
	v_fma_f64 v[4:5], v[46:47], v[166:167], -v[4:5]
	v_add_f64 v[2:3], v[2:3], v[4:5]
	v_mul_f64 v[4:5], v[52:53], v[170:171]
	v_fma_f64 v[4:5], v[50:51], v[172:173], -v[4:5]
	v_add_f64 v[2:3], v[2:3], v[4:5]
	v_mul_f64 v[4:5], v[56:57], v[164:165]
	v_fma_f64 v[4:5], v[54:55], v[168:169], -v[4:5]
	v_add_f64 v[2:3], v[2:3], v[4:5]
	v_mul_f64 v[4:5], v[60:61], v[174:175]
	v_fma_f64 v[4:5], v[58:59], v[176:177], -v[4:5]
	v_add_f64 v[2:3], v[2:3], v[4:5]
	v_mul_f64 v[4:5], v[64:65], v[178:179]
	v_fma_f64 v[4:5], v[62:63], v[182:183], -v[4:5]
	v_add_f64 v[2:3], v[2:3], v[4:5]
	v_mul_f64 v[4:5], v[226:227], v[180:181]
	v_fma_f64 v[4:5], v[224:225], v[184:185], -v[4:5]
	v_add_f64 v[2:3], v[2:3], v[4:5]
	v_mul_f64 v[4:5], v[72:73], v[186:187]
	v_fma_f64 v[4:5], v[70:71], v[190:191], -v[4:5]
	v_add_f64 v[2:3], v[2:3], v[4:5]
	v_mul_f64 v[4:5], v[76:77], v[194:195]
	s_waitcnt vmcnt(6) lgkmcnt(0)
	v_mul_f64 v[108:109], v[102:103], v[66:67]
	v_fma_f64 v[4:5], v[74:75], v[196:197], -v[4:5]
	s_waitcnt vmcnt(4)
	v_fmac_f64_e32 v[108:109], v[104:105], v[220:221]
	v_add_f64 v[114:115], v[106:107], v[108:109]
	ds_read_b128 v[106:109], v1 offset:1808
	buffer_load_dword v236, off, s[0:3], 0 offset:920
	buffer_load_dword v237, off, s[0:3], 0 offset:924
	;; [unrolled: 1-line block ×4, first 2 shown]
	ds_read_b128 v[228:231], v1 offset:1824
	buffer_load_dword v243, off, s[0:3], 0 offset:940
	buffer_load_dword v242, off, s[0:3], 0 offset:936
	;; [unrolled: 1-line block ×4, first 2 shown]
	v_add_f64 v[2:3], v[2:3], v[4:5]
	s_waitcnt vmcnt(10) lgkmcnt(1)
	v_mul_f64 v[116:117], v[106:107], v[222:223]
	s_waitcnt vmcnt(8)
	v_fmac_f64_e32 v[116:117], v[108:109], v[234:235]
	v_add_f64 v[114:115], v[114:115], v[116:117]
	v_mul_f64 v[4:5], v[80:81], v[188:189]
	v_fma_f64 v[4:5], v[78:79], v[192:193], -v[4:5]
	v_add_f64 v[2:3], v[2:3], v[4:5]
	v_mul_f64 v[4:5], v[84:85], v[198:199]
	v_fma_f64 v[4:5], v[82:83], v[200:201], -v[4:5]
	;; [unrolled: 3-line block ×8, first 2 shown]
	v_add_f64 v[2:3], v[2:3], v[4:5]
	s_waitcnt vmcnt(6) lgkmcnt(0)
	v_mul_f64 v[116:117], v[228:229], v[236:237]
	v_mul_f64 v[4:5], v[230:231], v[236:237]
	s_waitcnt vmcnt(4)
	v_fmac_f64_e32 v[116:117], v[230:231], v[238:239]
	v_add_f64 v[246:247], v[114:115], v[116:117]
	ds_read_b128 v[114:117], v1 offset:1840
	v_fma_f64 v[4:5], v[228:229], v[238:239], -v[4:5]
	v_add_f64 v[2:3], v[2:3], v[4:5]
	s_waitcnt vmcnt(2) lgkmcnt(0)
	v_mul_f64 v[248:249], v[114:115], v[242:243]
	s_waitcnt vmcnt(0)
	v_fmac_f64_e32 v[248:249], v[116:117], v[244:245]
	v_add_f64 v[246:247], v[246:247], v[248:249]
	v_accvgpr_write_b32 a194, v246
	v_accvgpr_write_b32 a195, v247
	buffer_load_dword v248, off, s[0:3], 0 offset:160
	buffer_load_dword v249, off, s[0:3], 0 offset:164
	;; [unrolled: 1-line block ×4, first 2 shown]
	v_mul_f64 v[4:5], v[116:117], v[242:243]
	v_fma_f64 v[4:5], v[114:115], v[244:245], -v[4:5]
	v_add_f64 v[2:3], v[2:3], v[4:5]
	v_accvgpr_read_b32 v4, a194
	v_accvgpr_read_b32 v5, a195
	s_waitcnt vmcnt(2)
	v_add_f64 v[2:3], v[248:249], -v[2:3]
	s_waitcnt vmcnt(0)
	v_add_f64 v[4:5], v[246:247], -v[4:5]
	buffer_store_dword v3, off, s[0:3], 0 offset:164
	buffer_store_dword v2, off, s[0:3], 0 offset:160
	;; [unrolled: 1-line block ×4, first 2 shown]
	s_and_saveexec_b64 s[4:5], vcc
	s_cbranch_execz .LBB121_345
; %bb.344:
	v_accvgpr_read_b32 v1, a165
	buffer_load_dword v2, v1, s[0:3], 0 offen
	buffer_load_dword v3, v1, s[0:3], 0 offen offset:4
	buffer_load_dword v4, v1, s[0:3], 0 offen offset:8
	;; [unrolled: 1-line block ×3, first 2 shown]
	v_mov_b32_e32 v1, 0
	v_accvgpr_read_b32 v6, a173
	buffer_store_dword v1, off, s[0:3], 0 offset:144
	buffer_store_dword v1, off, s[0:3], 0 offset:148
	buffer_store_dword v1, off, s[0:3], 0 offset:152
	buffer_store_dword v1, off, s[0:3], 0 offset:156
	s_waitcnt vmcnt(4)
	ds_write_b128 v6, v[2:5]
.LBB121_345:
	s_or_b64 exec, exec, s[4:5]
	s_waitcnt lgkmcnt(0)
	; wave barrier
	s_waitcnt lgkmcnt(0)
	buffer_load_dword v38, off, s[0:3], 0 offset:160
	buffer_load_dword v39, off, s[0:3], 0 offset:164
	;; [unrolled: 1-line block ×42, first 2 shown]
	v_mov_b32_e32 v1, 0
	buffer_load_dword v99, off, s[0:3], 0 offset:308
	buffer_load_dword v98, off, s[0:3], 0 offset:304
	;; [unrolled: 1-line block ×7, first 2 shown]
	ds_read_b128 v[108:111], v1 offset:1072
	ds_read_b128 v[112:115], v1 offset:1088
	ds_read_b128 v[170:173], v1 offset:1104
	ds_read_b128 v[174:177], v1 offset:1120
	ds_read_b128 v[180:183], v1 offset:1136
	ds_read_b128 v[184:187], v1 offset:1152
	ds_read_b128 v[190:193], v1 offset:1168
	ds_read_b128 v[194:197], v1 offset:1184
	ds_read_b128 v[198:201], v1 offset:1200
	ds_read_b128 v[202:205], v1 offset:1216
	ds_read_b128 v[206:209], v1 offset:1232
	v_cmp_lt_u32_e32 vcc, 7, v0
	s_waitcnt vmcnt(45) lgkmcnt(10)
	v_mul_f64 v[2:3], v[108:109], v[40:41]
	v_fmac_f64_e32 v[2:3], v[110:111], v[38:39]
	v_add_f64 v[2:3], v[2:3], 0
	v_mul_f64 v[40:41], v[110:111], v[40:41]
	s_waitcnt vmcnt(41) lgkmcnt(9)
	v_mul_f64 v[4:5], v[112:113], v[46:47]
	v_fmac_f64_e32 v[4:5], v[114:115], v[44:45]
	v_add_f64 v[2:3], v[2:3], v[4:5]
	buffer_load_dword v84, off, s[0:3], 0 offset:344
	buffer_load_dword v117, off, s[0:3], 0 offset:340
	;; [unrolled: 1-line block ×29, first 2 shown]
	s_waitcnt vmcnt(62) lgkmcnt(8)
	v_mul_f64 v[6:7], v[170:171], v[42:43]
	s_waitcnt lgkmcnt(6)
	v_mul_f64 v[10:11], v[180:181], v[48:49]
	v_fmac_f64_e32 v[10:11], v[182:183], v[50:51]
	v_mul_f64 v[42:43], v[172:173], v[42:43]
	v_mul_f64 v[8:9], v[174:175], v[178:179]
	;; [unrolled: 1-line block ×3, first 2 shown]
	s_waitcnt vmcnt(60) lgkmcnt(4)
	v_mul_f64 v[14:15], v[190:191], v[56:57]
	s_waitcnt vmcnt(58)
	v_fmac_f64_e32 v[14:15], v[192:193], v[54:55]
	s_waitcnt vmcnt(56)
	v_mul_f64 v[12:13], v[184:185], v[58:59]
	s_waitcnt vmcnt(54) lgkmcnt(2)
	v_mul_f64 v[18:19], v[198:199], v[64:65]
	s_waitcnt vmcnt(51)
	v_mul_f64 v[16:17], v[194:195], v[210:211]
	s_waitcnt vmcnt(49) lgkmcnt(1)
	v_mul_f64 v[20:21], v[202:203], v[60:61]
	s_waitcnt vmcnt(47)
	v_fmac_f64_e32 v[6:7], v[172:173], v[74:75]
	v_add_f64 v[2:3], v[2:3], v[6:7]
	s_waitcnt vmcnt(45)
	v_fmac_f64_e32 v[8:9], v[176:177], v[72:73]
	v_add_f64 v[2:3], v[2:3], v[8:9]
	s_waitcnt vmcnt(43)
	v_fmac_f64_e32 v[12:13], v[186:187], v[70:71]
	v_add_f64 v[2:3], v[2:3], v[10:11]
	v_add_f64 v[2:3], v[2:3], v[12:13]
	v_add_f64 v[2:3], v[2:3], v[14:15]
	s_waitcnt vmcnt(41)
	v_fmac_f64_e32 v[16:17], v[196:197], v[68:69]
	v_add_f64 v[2:3], v[2:3], v[16:17]
	s_waitcnt vmcnt(40)
	v_fmac_f64_e32 v[18:19], v[200:201], v[62:63]
	;; [unrolled: 3-line block ×3, first 2 shown]
	v_add_f64 v[2:3], v[2:3], v[20:21]
	v_fma_f64 v[212:213], v[170:171], v[74:75], -v[42:43]
	v_mul_f64 v[42:43], v[176:177], v[178:179]
	v_fma_f64 v[72:73], v[174:175], v[72:73], -v[42:43]
	s_waitcnt vmcnt(0)
	v_pk_mov_b32 v[14:15], v[4:5], v[4:5] op_sel:[0,1]
	buffer_load_dword v5, off, s[0:3], 0 offset:484
	buffer_load_dword v4, off, s[0:3], 0 offset:480
	v_accvgpr_write_b32 a175, v15
	v_accvgpr_write_b32 a174, v14
	s_waitcnt vmcnt(0)
	v_pk_mov_b32 v[16:17], v[4:5], v[4:5] op_sel:[0,1]
	buffer_load_dword v95, off, s[0:3], 0 offset:476
	buffer_load_dword v94, off, s[0:3], 0 offset:472
	;; [unrolled: 1-line block ×6, first 2 shown]
	v_accvgpr_write_b32 a177, v17
	v_accvgpr_write_b32 a176, v16
	s_waitcnt vmcnt(0)
	v_pk_mov_b32 v[22:23], v[4:5], v[4:5] op_sel:[0,1]
	buffer_load_dword v5, off, s[0:3], 0 offset:516
	buffer_load_dword v4, off, s[0:3], 0 offset:512
	v_accvgpr_write_b32 a181, v23
	v_accvgpr_write_b32 a180, v22
	s_waitcnt vmcnt(0)
	v_pk_mov_b32 v[24:25], v[4:5], v[4:5] op_sel:[0,1]
	buffer_load_dword v5, off, s[0:3], 0 offset:508
	buffer_load_dword v4, off, s[0:3], 0 offset:504
	;; [unrolled: 6-line block ×3, first 2 shown]
	buffer_load_dword v5, off, s[0:3], 0 offset:556
	buffer_load_dword v4, off, s[0:3], 0 offset:552
	v_accvgpr_write_b32 a179, v19
	v_accvgpr_write_b32 a178, v18
	s_waitcnt vmcnt(0)
	v_pk_mov_b32 v[30:31], v[4:5], v[4:5] op_sel:[0,1]
	buffer_load_dword v5, off, s[0:3], 0 offset:548
	buffer_load_dword v4, off, s[0:3], 0 offset:544
	v_accvgpr_write_b32 a185, v31
	v_accvgpr_write_b32 a184, v30
	s_waitcnt vmcnt(0)
	v_pk_mov_b32 v[32:33], v[4:5], v[4:5] op_sel:[0,1]
	buffer_load_dword v147, off, s[0:3], 0 offset:540
	buffer_load_dword v146, off, s[0:3], 0 offset:536
	;; [unrolled: 1-line block ×6, first 2 shown]
	v_accvgpr_write_b32 a187, v33
	v_accvgpr_write_b32 a186, v32
	s_waitcnt vmcnt(0)
	v_pk_mov_b32 v[162:163], v[4:5], v[4:5] op_sel:[0,1]
	buffer_load_dword v5, off, s[0:3], 0 offset:580
	buffer_load_dword v4, off, s[0:3], 0 offset:576
	v_accvgpr_write_b32 a189, v163
	v_accvgpr_write_b32 a188, v162
	s_waitcnt vmcnt(0)
	v_pk_mov_b32 v[164:165], v[4:5], v[4:5] op_sel:[0,1]
	buffer_load_dword v151, off, s[0:3], 0 offset:572
	buffer_load_dword v150, off, s[0:3], 0 offset:568
	;; [unrolled: 1-line block ×6, first 2 shown]
	v_accvgpr_write_b32 a191, v165
	v_accvgpr_write_b32 a190, v164
	s_waitcnt vmcnt(0)
	v_pk_mov_b32 v[166:167], v[4:5], v[4:5] op_sel:[0,1]
	buffer_load_dword v5, off, s[0:3], 0 offset:612
	buffer_load_dword v4, off, s[0:3], 0 offset:608
	;; [unrolled: 1-line block ×14, first 2 shown]
	ds_read_b128 v[214:217], v1 offset:1248
	ds_read_b128 v[218:221], v1 offset:1264
	;; [unrolled: 1-line block ×14, first 2 shown]
	s_waitcnt lgkmcnt(5)
	v_mul_f64 v[8:9], v[246:247], v[94:95]
	v_fmac_f64_e32 v[8:9], v[248:249], v[96:97]
	s_waitcnt lgkmcnt(4)
	v_mul_f64 v[12:13], v[138:139], v[14:15]
	v_fmac_f64_e32 v[12:13], v[140:141], v[16:17]
	s_waitcnt lgkmcnt(3)
	v_mul_f64 v[16:17], v[134:135], v[18:19]
	ds_read_b128 v[118:121], v1 offset:1472
	v_fmac_f64_e32 v[16:17], v[136:137], v[142:143]
	s_waitcnt lgkmcnt(3)
	v_mul_f64 v[20:21], v[130:131], v[22:23]
	v_fmac_f64_e32 v[20:21], v[132:133], v[24:25]
	s_waitcnt lgkmcnt(2)
	v_mul_f64 v[24:25], v[126:127], v[146:147]
	;; [unrolled: 3-line block ×3, first 2 shown]
	v_fmac_f64_e32 v[28:29], v[124:125], v[32:33]
	v_accvgpr_write_b32 a193, v167
	v_accvgpr_write_b32 a192, v166
	v_mul_f64 v[74:75], v[228:229], v[104:105]
	s_waitcnt vmcnt(6)
	v_accvgpr_write_b32 a197, v53
	v_accvgpr_write_b32 a196, v52
	v_pk_mov_b32 v[168:169], v[4:5], v[4:5] op_sel:[0,1]
	v_mul_f64 v[4:5], v[206:207], v[76:77]
	v_fmac_f64_e32 v[4:5], v[208:209], v[82:83]
	v_add_f64 v[2:3], v[2:3], v[4:5]
	v_mul_f64 v[4:5], v[214:215], v[84:85]
	v_fmac_f64_e32 v[4:5], v[216:217], v[116:117]
	v_add_f64 v[2:3], v[2:3], v[4:5]
	v_mul_f64 v[4:5], v[218:219], v[78:79]
	v_fmac_f64_e32 v[4:5], v[220:221], v[80:81]
	v_add_f64 v[2:3], v[2:3], v[4:5]
	v_mul_f64 v[4:5], v[222:223], v[250:251]
	v_fmac_f64_e32 v[4:5], v[224:225], v[252:253]
	v_add_f64 v[2:3], v[2:3], v[4:5]
	v_mul_f64 v[4:5], v[226:227], v[104:105]
	v_fmac_f64_e32 v[4:5], v[228:229], v[106:107]
	v_add_f64 v[2:3], v[2:3], v[4:5]
	v_mul_f64 v[4:5], v[230:231], v[254:255]
	v_fmac_f64_e32 v[4:5], v[232:233], v[66:67]
	v_add_f64 v[2:3], v[2:3], v[4:5]
	v_mul_f64 v[4:5], v[234:235], v[86:87]
	v_fmac_f64_e32 v[4:5], v[236:237], v[88:89]
	v_add_f64 v[2:3], v[2:3], v[4:5]
	v_mul_f64 v[4:5], v[238:239], v[100:101]
	v_fmac_f64_e32 v[4:5], v[240:241], v[102:103]
	v_add_f64 v[2:3], v[2:3], v[4:5]
	v_mul_f64 v[4:5], v[242:243], v[90:91]
	v_fmac_f64_e32 v[4:5], v[244:245], v[92:93]
	v_add_f64 v[6:7], v[2:3], v[4:5]
	v_add_f64 v[10:11], v[6:7], v[8:9]
	v_add_f64 v[14:15], v[10:11], v[12:13]
	;; [unrolled: 1-line block ×6, first 2 shown]
	ds_read_b128 v[26:29], v1 offset:1488
	s_waitcnt lgkmcnt(1)
	v_mul_f64 v[32:33], v[118:119], v[150:151]
	v_fmac_f64_e32 v[32:33], v[120:121], v[152:153]
	v_add_f64 v[34:35], v[30:31], v[32:33]
	ds_read_b128 v[30:33], v1 offset:1504
	s_waitcnt lgkmcnt(1)
	v_mul_f64 v[36:37], v[26:27], v[162:163]
	v_fmac_f64_e32 v[36:37], v[28:29], v[164:165]
	v_add_f64 v[162:163], v[34:35], v[36:37]
	ds_read_b128 v[34:37], v1 offset:1520
	s_waitcnt lgkmcnt(1)
	v_mul_f64 v[4:5], v[30:31], v[154:155]
	v_fmac_f64_e32 v[4:5], v[32:33], v[156:157]
	v_fma_f64 v[18:19], v[108:109], v[38:39], -v[40:41]
	ds_read_b128 v[38:41], v1 offset:1536
	v_add_f64 v[4:5], v[162:163], v[4:5]
	buffer_load_dword v163, off, s[0:3], 0 offset:668
	buffer_load_dword v162, off, s[0:3], 0 offset:664
	;; [unrolled: 1-line block ×4, first 2 shown]
	s_waitcnt lgkmcnt(1)
	v_mul_f64 v[108:109], v[34:35], v[166:167]
	v_accvgpr_write_b32 a195, v169
	v_fmac_f64_e32 v[108:109], v[36:37], v[168:169]
	v_accvgpr_write_b32 a194, v168
	buffer_load_dword v22, off, s[0:3], 0 offset:680
	buffer_load_dword v168, off, s[0:3], 0 offset:672
	;; [unrolled: 1-line block ×12, first 2 shown]
	v_fma_f64 v[166:167], v[112:113], v[44:45], -v[46:47]
	v_mul_f64 v[46:47], v[182:183], v[48:49]
	ds_read_b128 v[42:45], v1 offset:1552
	v_fma_f64 v[188:189], v[180:181], v[50:51], -v[46:47]
	buffer_load_dword v174, off, s[0:3], 0 offset:744
	buffer_load_dword v181, off, s[0:3], 0 offset:732
	;; [unrolled: 1-line block ×5, first 2 shown]
	v_mul_f64 v[46:47], v[186:187], v[58:59]
	v_fma_f64 v[14:15], v[184:185], v[70:71], -v[46:47]
	buffer_load_dword v184, off, s[0:3], 0 offset:736
	buffer_load_dword v175, off, s[0:3], 0 offset:748
	;; [unrolled: 1-line block ×7, first 2 shown]
	v_mul_f64 v[8:9], v[192:193], v[56:57]
	v_mul_f64 v[46:47], v[196:197], v[210:211]
	v_fma_f64 v[10:11], v[190:191], v[54:55], -v[8:9]
	v_fma_f64 v[8:9], v[194:195], v[68:69], -v[46:47]
	buffer_load_dword v192, off, s[0:3], 0 offset:776
	buffer_load_dword v194, off, s[0:3], 0 offset:768
	;; [unrolled: 1-line block ×4, first 2 shown]
	v_mul_f64 v[12:13], v[200:201], v[64:65]
	v_fma_f64 v[12:13], v[198:199], v[62:63], -v[12:13]
	buffer_load_dword v191, off, s[0:3], 0 offset:812
	buffer_load_dword v197, off, s[0:3], 0 offset:796
	;; [unrolled: 1-line block ×8, first 2 shown]
	s_waitcnt lgkmcnt(0)
	v_mul_f64 v[50:51], v[42:43], v[52:53]
	v_mul_f64 v[52:53], v[204:205], v[60:61]
	ds_read_b128 v[46:49], v1 offset:1568
	v_fma_f64 v[6:7], v[202:203], v[98:99], -v[52:53]
	buffer_load_dword v203, off, s[0:3], 0 offset:828
	buffer_load_dword v202, off, s[0:3], 0 offset:824
	;; [unrolled: 1-line block ×4, first 2 shown]
	v_mul_f64 v[16:17], v[208:209], v[76:77]
	v_fma_f64 v[16:17], v[206:207], v[82:83], -v[16:17]
	buffer_load_dword v206, off, s[0:3], 0 offset:840
	buffer_load_dword v208, off, s[0:3], 0 offset:832
	buffer_load_dword v207, off, s[0:3], 0 offset:844
	buffer_load_dword v209, off, s[0:3], 0 offset:836
	buffer_load_dword v211, off, s[0:3], 0 offset:860
	buffer_load_dword v210, off, s[0:3], 0 offset:856
	buffer_load_dword v69, off, s[0:3], 0 offset:852
	buffer_load_dword v68, off, s[0:3], 0 offset:848
	v_add_f64 v[4:5], v[4:5], v[108:109]
	s_waitcnt vmcnt(54)
	v_mul_f64 v[108:109], v[38:39], v[158:159]
	s_waitcnt vmcnt(52)
	v_fmac_f64_e32 v[108:109], v[40:41], v[160:161]
	v_mul_f64 v[52:53], v[216:217], v[84:85]
	v_add_f64 v[108:109], v[4:5], v[108:109]
	v_fma_f64 v[4:5], v[214:215], v[116:117], -v[52:53]
	buffer_load_dword v214, off, s[0:3], 0 offset:872
	buffer_load_dword v216, off, s[0:3], 0 offset:864
	;; [unrolled: 1-line block ×4, first 2 shown]
	v_fmac_f64_e32 v[50:51], v[44:45], v[144:145]
	v_add_f64 v[50:51], v[108:109], v[50:51]
	v_mul_f64 v[54:55], v[220:221], v[78:79]
	v_fma_f64 v[218:219], v[218:219], v[80:81], -v[54:55]
	v_mul_f64 v[58:59], v[224:225], v[250:251]
	v_fma_f64 v[252:253], v[222:223], v[252:253], -v[58:59]
	ds_read_b128 v[58:61], v1 offset:1616
	v_fma_f64 v[250:251], v[226:227], v[106:107], -v[74:75]
	ds_read_b128 v[224:227], v1 offset:1648
	v_mul_f64 v[76:77], v[232:233], v[254:255]
	v_fma_f64 v[232:233], v[230:231], v[66:67], -v[76:77]
	v_mul_f64 v[82:83], v[240:241], v[100:101]
	v_fma_f64 v[2:3], v[238:239], v[102:103], -v[82:83]
	ds_read_b128 v[82:85], v1 offset:1712
	ds_read_b128 v[54:57], v1 offset:1600
	v_add_f64 v[18:19], v[18:19], 0
	v_add_f64 v[18:19], v[18:19], v[166:167]
	;; [unrolled: 1-line block ×10, first 2 shown]
	ds_read_b128 v[228:231], v1 offset:1664
	v_add_f64 v[6:7], v[6:7], v[16:17]
	v_add_f64 v[4:5], v[6:7], v[4:5]
	;; [unrolled: 1-line block ×6, first 2 shown]
	ds_read_b128 v[78:81], v1 offset:1696
	v_accvgpr_read_b32 v6, a176
	v_accvgpr_read_b32 v7, a177
	s_waitcnt vmcnt(54) lgkmcnt(6)
	v_mul_f64 v[20:21], v[46:47], v[162:163]
	s_waitcnt vmcnt(52)
	v_fmac_f64_e32 v[20:21], v[48:49], v[164:165]
	v_add_f64 v[20:21], v[50:51], v[20:21]
	ds_read_b128 v[50:53], v1 offset:1584
	s_waitcnt vmcnt(49) lgkmcnt(0)
	v_mul_f64 v[62:63], v[50:51], v[22:23]
	s_waitcnt vmcnt(48)
	v_fmac_f64_e32 v[62:63], v[52:53], v[168:169]
	v_add_f64 v[20:21], v[20:21], v[62:63]
	s_waitcnt vmcnt(45)
	v_mul_f64 v[62:63], v[54:55], v[172:173]
	s_waitcnt vmcnt(43)
	v_fmac_f64_e32 v[62:63], v[56:57], v[178:179]
	v_add_f64 v[20:21], v[20:21], v[62:63]
	s_waitcnt vmcnt(42)
	v_mul_f64 v[62:63], v[58:59], v[170:171]
	s_waitcnt vmcnt(40)
	v_fmac_f64_e32 v[62:63], v[60:61], v[176:177]
	v_add_f64 v[20:21], v[20:21], v[62:63]
	ds_read_b128 v[62:65], v1 offset:1632
	s_waitcnt vmcnt(33)
	v_mul_f64 v[66:67], v[224:225], v[174:175]
	s_waitcnt vmcnt(32)
	v_fmac_f64_e32 v[66:67], v[226:227], v[184:185]
	s_waitcnt vmcnt(21)
	v_mul_f64 v[24:25], v[78:79], v[196:197]
	s_waitcnt vmcnt(19)
	v_fmac_f64_e32 v[24:25], v[80:81], v[200:201]
	s_waitcnt lgkmcnt(0)
	v_mul_f64 v[74:75], v[62:63], v[180:181]
	v_fmac_f64_e32 v[74:75], v[64:65], v[182:183]
	v_add_f64 v[20:21], v[20:21], v[74:75]
	ds_read_b128 v[74:77], v1 offset:1680
	v_add_f64 v[20:21], v[20:21], v[66:67]
	v_mul_f64 v[66:67], v[228:229], v[186:187]
	v_fmac_f64_e32 v[66:67], v[230:231], v[70:71]
	v_add_f64 v[20:21], v[20:21], v[66:67]
	v_mul_f64 v[66:67], v[236:237], v[86:87]
	v_fma_f64 v[254:255], v[234:235], v[88:89], -v[66:67]
	s_waitcnt lgkmcnt(0)
	v_mul_f64 v[66:67], v[74:75], v[192:193]
	v_fmac_f64_e32 v[66:67], v[76:77], v[194:195]
	v_add_f64 v[20:21], v[20:21], v[66:67]
	v_add_f64 v[20:21], v[20:21], v[24:25]
	ds_read_b128 v[86:89], v1 offset:1728
	s_waitcnt vmcnt(18)
	v_mul_f64 v[24:25], v[82:83], v[190:191]
	s_waitcnt vmcnt(16)
	v_fmac_f64_e32 v[24:25], v[84:85], v[198:199]
	v_add_f64 v[20:21], v[20:21], v[24:25]
	v_mul_f64 v[24:25], v[244:245], v[90:91]
	v_fma_f64 v[24:25], v[242:243], v[92:93], -v[24:25]
	ds_read_b128 v[90:93], v1 offset:1744
	v_mul_f64 v[66:67], v[248:249], v[94:95]
	v_fma_f64 v[66:67], v[246:247], v[96:97], -v[66:67]
	ds_read_b128 v[94:97], v1 offset:1760
	s_waitcnt vmcnt(14) lgkmcnt(2)
	v_mul_f64 v[98:99], v[86:87], v[202:203]
	s_waitcnt vmcnt(12)
	v_fmac_f64_e32 v[98:99], v[88:89], v[204:205]
	v_add_f64 v[20:21], v[20:21], v[98:99]
	s_waitcnt vmcnt(9) lgkmcnt(1)
	v_mul_f64 v[98:99], v[90:91], v[206:207]
	s_waitcnt vmcnt(8)
	v_fmac_f64_e32 v[98:99], v[92:93], v[208:209]
	v_add_f64 v[20:21], v[20:21], v[98:99]
	;; [unrolled: 5-line block ×3, first 2 shown]
	ds_read_b128 v[98:101], v1 offset:1776
	v_add_f64 v[4:5], v[4:5], v[254:255]
	v_add_f64 v[2:3], v[4:5], v[2:3]
	v_accvgpr_read_b32 v4, a174
	v_accvgpr_read_b32 v5, a175
	s_waitcnt vmcnt(1) lgkmcnt(0)
	v_mul_f64 v[102:103], v[98:99], v[214:215]
	s_waitcnt vmcnt(0)
	v_fmac_f64_e32 v[102:103], v[100:101], v[216:217]
	v_add_f64 v[106:107], v[20:21], v[102:103]
	buffer_load_dword v21, off, s[0:3], 0 offset:892
	buffer_load_dword v20, off, s[0:3], 0 offset:888
	;; [unrolled: 1-line block ×4, first 2 shown]
	ds_read_b128 v[102:105], v1 offset:1792
	buffer_load_dword v222, off, s[0:3], 0 offset:904
	buffer_load_dword v223, off, s[0:3], 0 offset:908
	buffer_load_dword v234, off, s[0:3], 0 offset:896
	buffer_load_dword v235, off, s[0:3], 0 offset:900
	v_add_f64 v[252:253], v[2:3], v[24:25]
	v_mul_f64 v[4:5], v[140:141], v[4:5]
	v_add_f64 v[2:3], v[252:253], v[66:67]
	v_fma_f64 v[4:5], v[138:139], v[6:7], -v[4:5]
	v_add_f64 v[2:3], v[2:3], v[4:5]
	v_accvgpr_read_b32 v4, a178
	v_accvgpr_read_b32 v5, a179
	v_mul_f64 v[4:5], v[136:137], v[4:5]
	v_fma_f64 v[4:5], v[134:135], v[142:143], -v[4:5]
	v_add_f64 v[2:3], v[2:3], v[4:5]
	v_accvgpr_read_b32 v4, a180
	v_accvgpr_read_b32 v5, a181
	v_accvgpr_read_b32 v6, a182
	v_mul_f64 v[4:5], v[132:133], v[4:5]
	v_accvgpr_read_b32 v7, a183
	v_fma_f64 v[4:5], v[130:131], v[6:7], -v[4:5]
	v_add_f64 v[2:3], v[2:3], v[4:5]
	v_mul_f64 v[4:5], v[128:129], v[146:147]
	v_fma_f64 v[4:5], v[126:127], v[148:149], -v[4:5]
	v_add_f64 v[2:3], v[2:3], v[4:5]
	v_accvgpr_read_b32 v4, a184
	v_accvgpr_read_b32 v5, a185
	v_accvgpr_read_b32 v6, a186
	v_mul_f64 v[4:5], v[124:125], v[4:5]
	v_accvgpr_read_b32 v7, a187
	v_fma_f64 v[4:5], v[122:123], v[6:7], -v[4:5]
	v_add_f64 v[2:3], v[2:3], v[4:5]
	;; [unrolled: 10-line block ×4, first 2 shown]
	v_mul_f64 v[4:5], v[40:41], v[158:159]
	v_fma_f64 v[4:5], v[38:39], v[160:161], -v[4:5]
	v_add_f64 v[2:3], v[2:3], v[4:5]
	v_accvgpr_read_b32 v4, a196
	v_accvgpr_read_b32 v5, a197
	v_mul_f64 v[4:5], v[44:45], v[4:5]
	v_fma_f64 v[4:5], v[42:43], v[144:145], -v[4:5]
	v_add_f64 v[2:3], v[2:3], v[4:5]
	v_mul_f64 v[4:5], v[48:49], v[162:163]
	v_fma_f64 v[4:5], v[46:47], v[164:165], -v[4:5]
	v_add_f64 v[2:3], v[2:3], v[4:5]
	;; [unrolled: 3-line block ×7, first 2 shown]
	v_mul_f64 v[4:5], v[230:231], v[186:187]
	v_fma_f64 v[4:5], v[228:229], v[70:71], -v[4:5]
	s_waitcnt vmcnt(6) lgkmcnt(0)
	v_mul_f64 v[108:109], v[102:103], v[20:21]
	v_add_f64 v[2:3], v[2:3], v[4:5]
	s_waitcnt vmcnt(4)
	v_fmac_f64_e32 v[108:109], v[104:105], v[220:221]
	v_add_f64 v[110:111], v[106:107], v[108:109]
	ds_read_b128 v[106:109], v1 offset:1808
	buffer_load_dword v237, off, s[0:3], 0 offset:924
	buffer_load_dword v236, off, s[0:3], 0 offset:920
	;; [unrolled: 1-line block ×4, first 2 shown]
	v_mul_f64 v[4:5], v[76:77], v[192:193]
	v_fma_f64 v[4:5], v[74:75], v[194:195], -v[4:5]
	v_add_f64 v[2:3], v[2:3], v[4:5]
	s_waitcnt vmcnt(6) lgkmcnt(0)
	v_mul_f64 v[112:113], v[106:107], v[222:223]
	s_waitcnt vmcnt(4)
	v_fmac_f64_e32 v[112:113], v[108:109], v[234:235]
	v_add_f64 v[114:115], v[110:111], v[112:113]
	ds_read_b128 v[110:113], v1 offset:1824
	buffer_load_dword v242, off, s[0:3], 0 offset:936
	buffer_load_dword v243, off, s[0:3], 0 offset:940
	;; [unrolled: 1-line block ×4, first 2 shown]
	v_mul_f64 v[4:5], v[80:81], v[196:197]
	v_fma_f64 v[4:5], v[78:79], v[200:201], -v[4:5]
	v_add_f64 v[2:3], v[2:3], v[4:5]
	v_mul_f64 v[4:5], v[84:85], v[190:191]
	v_fma_f64 v[4:5], v[82:83], v[198:199], -v[4:5]
	v_add_f64 v[2:3], v[2:3], v[4:5]
	v_mul_f64 v[4:5], v[88:89], v[202:203]
	v_fma_f64 v[4:5], v[86:87], v[204:205], -v[4:5]
	v_add_f64 v[2:3], v[2:3], v[4:5]
	v_mul_f64 v[4:5], v[92:93], v[206:207]
	v_fma_f64 v[4:5], v[90:91], v[208:209], -v[4:5]
	v_add_f64 v[2:3], v[2:3], v[4:5]
	v_mul_f64 v[4:5], v[96:97], v[210:211]
	v_fma_f64 v[4:5], v[94:95], v[68:69], -v[4:5]
	v_add_f64 v[2:3], v[2:3], v[4:5]
	v_mul_f64 v[4:5], v[100:101], v[214:215]
	v_fma_f64 v[4:5], v[98:99], v[216:217], -v[4:5]
	v_add_f64 v[2:3], v[2:3], v[4:5]
	v_mul_f64 v[4:5], v[104:105], v[20:21]
	v_fma_f64 v[4:5], v[102:103], v[220:221], -v[4:5]
	v_add_f64 v[2:3], v[2:3], v[4:5]
	v_mul_f64 v[4:5], v[108:109], v[222:223]
	v_fma_f64 v[4:5], v[106:107], v[234:235], -v[4:5]
	v_add_f64 v[2:3], v[2:3], v[4:5]
	s_waitcnt vmcnt(6) lgkmcnt(0)
	v_mul_f64 v[116:117], v[110:111], v[236:237]
	v_mul_f64 v[4:5], v[112:113], v[236:237]
	s_waitcnt vmcnt(4)
	v_fmac_f64_e32 v[116:117], v[112:113], v[238:239]
	v_add_f64 v[240:241], v[114:115], v[116:117]
	ds_read_b128 v[114:117], v1 offset:1840
	buffer_load_dword v248, off, s[0:3], 0 offset:144
	buffer_load_dword v249, off, s[0:3], 0 offset:148
	v_fma_f64 v[4:5], v[110:111], v[238:239], -v[4:5]
	v_add_f64 v[2:3], v[2:3], v[4:5]
	s_waitcnt vmcnt(4) lgkmcnt(0)
	v_mul_f64 v[246:247], v[114:115], v[242:243]
	s_waitcnt vmcnt(2)
	v_fmac_f64_e32 v[246:247], v[116:117], v[244:245]
	v_add_f64 v[240:241], v[240:241], v[246:247]
	buffer_load_dword v246, off, s[0:3], 0 offset:152
	buffer_load_dword v247, off, s[0:3], 0 offset:156
	v_mul_f64 v[4:5], v[116:117], v[242:243]
	v_fma_f64 v[4:5], v[114:115], v[244:245], -v[4:5]
	v_add_f64 v[2:3], v[2:3], v[4:5]
	s_waitcnt vmcnt(2)
	v_add_f64 v[2:3], v[248:249], -v[2:3]
	s_waitcnt vmcnt(0)
	v_add_f64 v[4:5], v[246:247], -v[240:241]
	buffer_store_dword v3, off, s[0:3], 0 offset:148
	buffer_store_dword v2, off, s[0:3], 0 offset:144
	;; [unrolled: 1-line block ×4, first 2 shown]
	s_and_saveexec_b64 s[4:5], vcc
	s_cbranch_execz .LBB121_347
; %bb.346:
	v_accvgpr_read_b32 v5, a166
	buffer_load_dword v2, v5, s[0:3], 0 offen
	buffer_load_dword v3, v5, s[0:3], 0 offen offset:4
	buffer_load_dword v4, v5, s[0:3], 0 offen offset:8
	s_nop 0
	buffer_load_dword v5, v5, s[0:3], 0 offen offset:12
	v_accvgpr_read_b32 v6, a173
	buffer_store_dword v1, off, s[0:3], 0 offset:128
	buffer_store_dword v1, off, s[0:3], 0 offset:132
	buffer_store_dword v1, off, s[0:3], 0 offset:136
	buffer_store_dword v1, off, s[0:3], 0 offset:140
	s_waitcnt vmcnt(4)
	ds_write_b128 v6, v[2:5]
.LBB121_347:
	s_or_b64 exec, exec, s[4:5]
	s_waitcnt lgkmcnt(0)
	; wave barrier
	s_waitcnt lgkmcnt(0)
	buffer_load_dword v176, off, s[0:3], 0 offset:144
	buffer_load_dword v177, off, s[0:3], 0 offset:148
	;; [unrolled: 1-line block ×42, first 2 shown]
	ds_read_b128 v[42:45], v1 offset:1056
	ds_read_b128 v[108:111], v1 offset:1072
	;; [unrolled: 1-line block ×10, first 2 shown]
	buffer_load_dword v117, off, s[0:3], 0 offset:292
	buffer_load_dword v116, off, s[0:3], 0 offset:288
	ds_read_b128 v[46:49], v1 offset:1216
	buffer_load_dword v85, off, s[0:3], 0 offset:348
	buffer_load_dword v84, off, s[0:3], 0 offset:344
	;; [unrolled: 1-line block ×6, first 2 shown]
	v_cmp_lt_u32_e32 vcc, 6, v0
	s_waitcnt vmcnt(46) lgkmcnt(10)
	v_mul_f64 v[2:3], v[42:43], v[36:37]
	v_fmac_f64_e32 v[2:3], v[44:45], v[176:177]
	v_add_f64 v[2:3], v[2:3], 0
	v_mul_f64 v[36:37], v[44:45], v[36:37]
	s_waitcnt vmcnt(42) lgkmcnt(9)
	v_mul_f64 v[4:5], v[108:109], v[40:41]
	v_fmac_f64_e32 v[4:5], v[110:111], v[38:39]
	v_add_f64 v[2:3], v[2:3], v[4:5]
	buffer_load_dword v209, off, s[0:3], 0 offset:324
	buffer_load_dword v208, off, s[0:3], 0 offset:320
	;; [unrolled: 1-line block ×36, first 2 shown]
	s_waitcnt vmcnt(62) lgkmcnt(8)
	v_mul_f64 v[6:7], v[112:113], v[158:159]
	s_waitcnt lgkmcnt(6)
	v_mul_f64 v[10:11], v[170:171], v[52:53]
	v_fmac_f64_e32 v[10:11], v[172:173], v[54:55]
	v_mul_f64 v[40:41], v[110:111], v[40:41]
	v_mul_f64 v[8:9], v[166:167], v[56:57]
	v_fma_f64 v[108:109], v[108:109], v[38:39], -v[40:41]
	s_waitcnt lgkmcnt(4)
	v_mul_f64 v[14:15], v[182:183], v[58:59]
	v_mul_f64 v[110:111], v[114:115], v[158:159]
	v_fmac_f64_e32 v[14:15], v[184:185], v[60:61]
	v_mul_f64 v[56:57], v[168:169], v[56:57]
	v_mul_f64 v[12:13], v[178:179], v[198:199]
	;; [unrolled: 1-line block ×3, first 2 shown]
	s_waitcnt lgkmcnt(2)
	v_mul_f64 v[18:19], v[190:191], v[200:201]
	s_waitcnt vmcnt(59)
	v_mul_f64 v[16:17], v[186:187], v[70:71]
	s_waitcnt vmcnt(57) lgkmcnt(1)
	v_mul_f64 v[20:21], v[194:195], v[68:69]
	s_waitcnt vmcnt(55)
	v_fmac_f64_e32 v[6:7], v[114:115], v[78:79]
	v_add_f64 v[2:3], v[2:3], v[6:7]
	s_waitcnt vmcnt(53)
	v_fmac_f64_e32 v[8:9], v[168:169], v[76:77]
	v_add_f64 v[2:3], v[2:3], v[8:9]
	s_waitcnt vmcnt(51)
	v_fmac_f64_e32 v[12:13], v[180:181], v[74:75]
	v_add_f64 v[2:3], v[2:3], v[10:11]
	v_add_f64 v[2:3], v[2:3], v[12:13]
	s_waitcnt vmcnt(49)
	v_fmac_f64_e32 v[16:17], v[188:189], v[72:73]
	v_add_f64 v[2:3], v[2:3], v[14:15]
	s_waitcnt vmcnt(48)
	v_fmac_f64_e32 v[18:19], v[192:193], v[66:67]
	v_add_f64 v[2:3], v[2:3], v[16:17]
	v_add_f64 v[2:3], v[2:3], v[18:19]
	v_fma_f64 v[210:211], v[166:167], v[76:77], -v[56:57]
	s_waitcnt vmcnt(42)
	v_fmac_f64_e32 v[20:21], v[196:197], v[116:117]
	v_add_f64 v[2:3], v[2:3], v[20:21]
	v_fma_f64 v[78:79], v[112:113], v[78:79], -v[110:111]
	s_waitcnt vmcnt(0)
	v_pk_mov_b32 v[18:19], v[4:5], v[4:5] op_sel:[0,1]
	buffer_load_dword v5, off, s[0:3], 0 offset:500
	buffer_load_dword v4, off, s[0:3], 0 offset:496
	v_accvgpr_write_b32 a179, v19
	v_accvgpr_write_b32 a178, v18
	s_waitcnt vmcnt(0)
	v_pk_mov_b32 v[22:23], v[4:5], v[4:5] op_sel:[0,1]
	buffer_load_dword v5, off, s[0:3], 0 offset:492
	buffer_load_dword v4, off, s[0:3], 0 offset:488
	v_accvgpr_write_b32 a181, v23
	v_accvgpr_write_b32 a180, v22
	;; [unrolled: 6-line block ×12, first 2 shown]
	s_waitcnt vmcnt(0)
	v_pk_mov_b32 v[164:165], v[4:5], v[4:5] op_sel:[0,1]
	buffer_load_dword v5, off, s[0:3], 0 offset:596
	buffer_load_dword v4, off, s[0:3], 0 offset:592
	s_waitcnt vmcnt(0)
	v_pk_mov_b32 v[174:175], v[4:5], v[4:5] op_sel:[0,1]
	buffer_load_dword v151, off, s[0:3], 0 offset:588
	buffer_load_dword v150, off, s[0:3], 0 offset:584
	;; [unrolled: 1-line block ×12, first 2 shown]
	ds_read_b128 v[202:205], v1 offset:1232
	ds_read_b128 v[214:217], v1 offset:1248
	;; [unrolled: 1-line block ×14, first 2 shown]
	s_waitcnt lgkmcnt(4)
	v_mul_f64 v[8:9], v[246:247], v[94:95]
	ds_read_b128 v[130:133], v1 offset:1456
	ds_read_b128 v[126:129], v1 offset:1472
	v_fmac_f64_e32 v[8:9], v[248:249], v[96:97]
	s_waitcnt lgkmcnt(5)
	v_mul_f64 v[12:13], v[146:147], v[14:15]
	v_fmac_f64_e32 v[12:13], v[148:149], v[16:17]
	s_waitcnt lgkmcnt(4)
	v_mul_f64 v[16:17], v[142:143], v[18:19]
	;; [unrolled: 3-line block ×5, first 2 shown]
	ds_read_b128 v[122:125], v1 offset:1488
	v_fmac_f64_e32 v[28:29], v[132:133], v[118:119]
	ds_read_b128 v[118:121], v1 offset:1504
	s_waitcnt lgkmcnt(2)
	v_mul_f64 v[32:33], v[126:127], v[160:161]
	v_fmac_f64_e32 v[32:33], v[128:129], v[162:163]
	v_accvgpr_write_b32 a199, v175
	v_accvgpr_write_b32 a198, v174
	v_mul_f64 v[94:95], v[248:249], v[94:95]
	s_waitcnt vmcnt(6)
	v_pk_mov_b32 v[212:213], v[4:5], v[4:5] op_sel:[0,1]
	v_mul_f64 v[4:5], v[46:47], v[80:81]
	v_fmac_f64_e32 v[4:5], v[48:49], v[82:83]
	v_add_f64 v[2:3], v[2:3], v[4:5]
	v_mul_f64 v[4:5], v[202:203], v[206:207]
	v_fmac_f64_e32 v[4:5], v[204:205], v[208:209]
	v_add_f64 v[2:3], v[2:3], v[4:5]
	;; [unrolled: 3-line block ×10, first 2 shown]
	v_add_f64 v[10:11], v[6:7], v[8:9]
	v_add_f64 v[14:15], v[10:11], v[12:13]
	;; [unrolled: 1-line block ×7, first 2 shown]
	ds_read_b128 v[30:33], v1 offset:1520
	s_waitcnt lgkmcnt(2)
	v_mul_f64 v[4:5], v[122:123], v[150:151]
	v_fma_f64 v[26:27], v[42:43], v[176:177], -v[36:37]
	v_fmac_f64_e32 v[4:5], v[124:125], v[152:153]
	s_waitcnt lgkmcnt(1)
	v_mul_f64 v[42:43], v[118:119], v[164:165]
	v_add_f64 v[4:5], v[160:161], v[4:5]
	v_fmac_f64_e32 v[42:43], v[120:121], v[174:175]
	v_add_f64 v[4:5], v[4:5], v[42:43]
	s_waitcnt vmcnt(2) lgkmcnt(0)
	v_mul_f64 v[42:43], v[30:31], v[154:155]
	s_waitcnt vmcnt(0)
	v_fmac_f64_e32 v[42:43], v[32:33], v[156:157]
	v_pk_mov_b32 v[36:37], v[164:165], v[164:165] op_sel:[0,1]
	v_add_f64 v[4:5], v[4:5], v[42:43]
	ds_read_b128 v[42:45], v1 offset:1536
	ds_read_b128 v[38:41], v1 offset:1552
	buffer_load_dword v158, off, s[0:3], 0 offset:664
	buffer_load_dword v163, off, s[0:3], 0 offset:652
	;; [unrolled: 1-line block ×17, first 2 shown]
	v_mul_f64 v[8:9], v[180:181], v[198:199]
	v_fma_f64 v[22:23], v[170:171], v[54:55], -v[52:53]
	v_fma_f64 v[18:19], v[178:179], v[74:75], -v[8:9]
	buffer_load_dword v170, off, s[0:3], 0 offset:720
	buffer_load_dword v179, off, s[0:3], 0 offset:716
	;; [unrolled: 1-line block ×7, first 2 shown]
	v_mul_f64 v[52:53], v[184:185], v[58:59]
	v_fma_f64 v[14:15], v[182:183], v[60:61], -v[52:53]
	buffer_load_dword v183, off, s[0:3], 0 offset:748
	buffer_load_dword v182, off, s[0:3], 0 offset:744
	;; [unrolled: 1-line block ×4, first 2 shown]
	v_mul_f64 v[52:53], v[188:189], v[70:71]
	v_mul_f64 v[16:17], v[192:193], v[200:201]
	buffer_load_dword v188, off, s[0:3], 0 offset:760
	v_fma_f64 v[16:17], v[190:191], v[66:67], -v[16:17]
	buffer_load_dword v190, off, s[0:3], 0 offset:752
	buffer_load_dword v189, off, s[0:3], 0 offset:764
	;; [unrolled: 1-line block ×3, first 2 shown]
	v_fma_f64 v[10:11], v[186:187], v[72:73], -v[52:53]
	v_mul_f64 v[52:53], v[196:197], v[68:69]
	v_fma_f64 v[8:9], v[194:195], v[116:117], -v[52:53]
	buffer_load_dword v187, off, s[0:3], 0 offset:796
	buffer_load_dword v193, off, s[0:3], 0 offset:780
	;; [unrolled: 1-line block ×12, first 2 shown]
	v_mul_f64 v[20:21], v[48:49], v[80:81]
	v_accvgpr_write_b32 a200, v212
	v_fma_f64 v[20:21], v[46:47], v[82:83], -v[20:21]
	v_mul_f64 v[46:47], v[204:205], v[206:207]
	s_waitcnt lgkmcnt(1)
	v_mul_f64 v[12:13], v[42:43], v[212:213]
	v_accvgpr_write_b32 a201, v213
	v_fma_f64 v[6:7], v[202:203], v[208:209], -v[46:47]
	buffer_load_dword v204, off, s[0:3], 0 offset:824
	buffer_load_dword v206, off, s[0:3], 0 offset:816
	;; [unrolled: 1-line block ×12, first 2 shown]
	v_fmac_f64_e32 v[12:13], v[44:45], v[34:35]
	v_add_f64 v[4:5], v[4:5], v[12:13]
	v_mul_f64 v[12:13], v[216:217], v[84:85]
	v_fma_f64 v[12:13], v[214:215], v[86:87], -v[12:13]
	buffer_load_dword v215, off, s[0:3], 0 offset:876
	buffer_load_dword v214, off, s[0:3], 0 offset:872
	;; [unrolled: 1-line block ×4, first 2 shown]
	ds_read_b128 v[46:49], v1 offset:1568
	v_mul_f64 v[58:59], v[224:225], v[250:251]
	v_mul_f64 v[62:63], v[228:229], v[62:63]
	v_fma_f64 v[250:251], v[226:227], v[64:65], -v[62:63]
	ds_read_b128 v[62:65], v1 offset:1632
	v_mul_f64 v[70:71], v[232:233], v[100:101]
	v_fma_f64 v[232:233], v[230:231], v[102:103], -v[70:71]
	ds_read_b128 v[70:73], v1 offset:1664
	v_add_f64 v[26:27], v[26:27], 0
	v_add_f64 v[26:27], v[26:27], v[108:109]
	;; [unrolled: 1-line block ×13, first 2 shown]
	ds_read_b128 v[228:231], v1 offset:1696
	s_waitcnt vmcnt(57) lgkmcnt(4)
	v_mul_f64 v[24:25], v[38:39], v[162:163]
	s_waitcnt vmcnt(55)
	v_fmac_f64_e32 v[24:25], v[40:41], v[164:165]
	v_add_f64 v[4:5], v[4:5], v[24:25]
	v_mul_f64 v[24:25], v[220:221], v[254:255]
	v_fma_f64 v[24:25], v[218:219], v[50:51], -v[24:25]
	ds_read_b128 v[50:53], v1 offset:1584
	s_waitcnt vmcnt(53) lgkmcnt(4)
	v_mul_f64 v[54:55], v[46:47], v[158:159]
	s_waitcnt vmcnt(52)
	v_fmac_f64_e32 v[54:55], v[48:49], v[166:167]
	v_add_f64 v[4:5], v[4:5], v[54:55]
	ds_read_b128 v[54:57], v1 offset:1600
	v_fma_f64 v[254:255], v[222:223], v[252:253], -v[58:59]
	ds_read_b128 v[58:61], v1 offset:1616
	s_waitcnt vmcnt(48) lgkmcnt(2)
	v_mul_f64 v[66:67], v[50:51], v[174:175]
	s_waitcnt vmcnt(46)
	v_fmac_f64_e32 v[66:67], v[52:53], v[176:177]
	v_add_f64 v[4:5], v[4:5], v[66:67]
	s_waitcnt lgkmcnt(1)
	v_mul_f64 v[66:67], v[54:55], v[160:161]
	s_waitcnt vmcnt(44)
	v_fmac_f64_e32 v[66:67], v[56:57], v[172:173]
	v_add_f64 v[4:5], v[4:5], v[66:67]
	s_waitcnt vmcnt(40) lgkmcnt(0)
	v_mul_f64 v[66:67], v[58:59], v[178:179]
	s_waitcnt vmcnt(38)
	v_fmac_f64_e32 v[66:67], v[60:61], v[180:181]
	v_add_f64 v[4:5], v[4:5], v[66:67]
	s_waitcnt vmcnt(37)
	v_mul_f64 v[66:67], v[62:63], v[168:169]
	s_waitcnt vmcnt(36)
	v_fmac_f64_e32 v[66:67], v[64:65], v[170:171]
	v_add_f64 v[4:5], v[4:5], v[66:67]
	ds_read_b128 v[66:69], v1 offset:1648
	s_waitcnt vmcnt(29)
	v_mul_f64 v[82:83], v[70:71], v[188:189]
	s_waitcnt vmcnt(28)
	v_fmac_f64_e32 v[82:83], v[72:73], v[190:191]
	v_fma_f64 v[252:253], v[246:247], v[96:97], -v[94:95]
	ds_read_b128 v[94:97], v1 offset:1760
	s_waitcnt lgkmcnt(1)
	v_mul_f64 v[74:75], v[66:67], v[182:183]
	v_fmac_f64_e32 v[74:75], v[68:69], v[184:185]
	v_add_f64 v[4:5], v[4:5], v[74:75]
	v_mul_f64 v[74:75], v[236:237], v[104:105]
	v_fma_f64 v[106:107], v[234:235], v[106:107], -v[74:75]
	ds_read_b128 v[74:77], v1 offset:1680
	v_add_f64 v[4:5], v[4:5], v[82:83]
	v_mul_f64 v[82:83], v[240:241], v[88:89]
	v_fma_f64 v[2:3], v[238:239], v[92:93], -v[82:83]
	ds_read_b128 v[82:85], v1 offset:1712
	s_waitcnt vmcnt(25) lgkmcnt(1)
	v_mul_f64 v[28:29], v[74:75], v[192:193]
	s_waitcnt vmcnt(23)
	v_fmac_f64_e32 v[28:29], v[76:77], v[198:199]
	v_add_f64 v[4:5], v[4:5], v[28:29]
	s_waitcnt vmcnt(22)
	v_mul_f64 v[28:29], v[228:229], v[186:187]
	s_waitcnt vmcnt(20)
	v_fmac_f64_e32 v[28:29], v[230:231], v[196:197]
	v_add_f64 v[28:29], v[4:5], v[28:29]
	s_waitcnt vmcnt(18) lgkmcnt(0)
	v_mul_f64 v[86:87], v[82:83], v[194:195]
	v_mul_f64 v[4:5], v[244:245], v[90:91]
	ds_read_b128 v[90:93], v1 offset:1728
	s_waitcnt vmcnt(16)
	v_fmac_f64_e32 v[86:87], v[84:85], v[200:201]
	v_add_f64 v[28:29], v[28:29], v[86:87]
	ds_read_b128 v[86:89], v1 offset:1744
	v_fma_f64 v[4:5], v[242:243], v[98:99], -v[4:5]
	s_waitcnt vmcnt(13) lgkmcnt(1)
	v_mul_f64 v[98:99], v[90:91], v[204:205]
	s_waitcnt vmcnt(12)
	v_fmac_f64_e32 v[98:99], v[92:93], v[206:207]
	v_add_f64 v[28:29], v[28:29], v[98:99]
	s_waitcnt vmcnt(9) lgkmcnt(0)
	v_mul_f64 v[98:99], v[86:87], v[80:81]
	s_waitcnt vmcnt(7)
	v_fmac_f64_e32 v[98:99], v[88:89], v[212:213]
	v_add_f64 v[28:29], v[28:29], v[98:99]
	s_waitcnt vmcnt(5)
	v_mul_f64 v[98:99], v[94:95], v[202:203]
	s_waitcnt vmcnt(4)
	v_fmac_f64_e32 v[98:99], v[96:97], v[208:209]
	v_add_f64 v[28:29], v[28:29], v[98:99]
	ds_read_b128 v[98:101], v1 offset:1776
	buffer_load_dword v218, off, s[0:3], 0 offset:888
	buffer_load_dword v219, off, s[0:3], 0 offset:892
	;; [unrolled: 1-line block ×4, first 2 shown]
	v_add_f64 v[6:7], v[6:7], v[24:25]
	v_add_f64 v[6:7], v[6:7], v[254:255]
	;; [unrolled: 1-line block ×3, first 2 shown]
	s_waitcnt vmcnt(6) lgkmcnt(0)
	v_mul_f64 v[102:103], v[98:99], v[214:215]
	s_waitcnt vmcnt(4)
	v_fmac_f64_e32 v[102:103], v[100:101], v[216:217]
	v_add_f64 v[28:29], v[28:29], v[102:103]
	ds_read_b128 v[102:105], v1 offset:1792
	buffer_load_dword v223, off, s[0:3], 0 offset:908
	buffer_load_dword v222, off, s[0:3], 0 offset:904
	;; [unrolled: 1-line block ×4, first 2 shown]
	ds_read_b128 v[224:227], v1 offset:1808
	buffer_load_dword v236, off, s[0:3], 0 offset:920
	buffer_load_dword v237, off, s[0:3], 0 offset:924
	;; [unrolled: 1-line block ×4, first 2 shown]
	v_add_f64 v[6:7], v[6:7], v[232:233]
	v_add_f64 v[6:7], v[6:7], v[106:107]
	;; [unrolled: 1-line block ×4, first 2 shown]
	v_accvgpr_read_b32 v4, a174
	v_accvgpr_read_b32 v5, a175
	;; [unrolled: 1-line block ×3, first 2 shown]
	v_mul_f64 v[4:5], v[148:149], v[4:5]
	v_accvgpr_read_b32 v7, a177
	v_add_f64 v[2:3], v[2:3], v[252:253]
	v_fma_f64 v[4:5], v[146:147], v[6:7], -v[4:5]
	v_add_f64 v[2:3], v[2:3], v[4:5]
	v_accvgpr_read_b32 v4, a178
	v_accvgpr_read_b32 v5, a179
	v_accvgpr_read_b32 v6, a180
	v_mul_f64 v[4:5], v[144:145], v[4:5]
	v_accvgpr_read_b32 v7, a181
	v_fma_f64 v[4:5], v[142:143], v[6:7], -v[4:5]
	v_add_f64 v[2:3], v[2:3], v[4:5]
	v_accvgpr_read_b32 v4, a182
	v_accvgpr_read_b32 v5, a183
	v_accvgpr_read_b32 v6, a184
	v_mul_f64 v[4:5], v[140:141], v[4:5]
	v_accvgpr_read_b32 v7, a185
	;; [unrolled: 7-line block ×5, first 2 shown]
	v_fma_f64 v[4:5], v[126:127], v[6:7], -v[4:5]
	v_add_f64 v[2:3], v[2:3], v[4:5]
	v_mul_f64 v[4:5], v[124:125], v[150:151]
	v_fma_f64 v[4:5], v[122:123], v[152:153], -v[4:5]
	v_accvgpr_read_b32 v6, a198
	v_add_f64 v[2:3], v[2:3], v[4:5]
	v_mul_f64 v[4:5], v[120:121], v[36:37]
	v_accvgpr_read_b32 v7, a199
	v_fma_f64 v[4:5], v[118:119], v[6:7], -v[4:5]
	v_add_f64 v[2:3], v[2:3], v[4:5]
	v_mul_f64 v[4:5], v[32:33], v[154:155]
	v_fma_f64 v[4:5], v[30:31], v[156:157], -v[4:5]
	v_add_f64 v[2:3], v[2:3], v[4:5]
	v_accvgpr_read_b32 v4, a200
	v_accvgpr_read_b32 v5, a201
	v_mul_f64 v[4:5], v[44:45], v[4:5]
	v_fma_f64 v[4:5], v[42:43], v[34:35], -v[4:5]
	v_add_f64 v[2:3], v[2:3], v[4:5]
	v_mul_f64 v[4:5], v[40:41], v[162:163]
	v_fma_f64 v[4:5], v[38:39], v[164:165], -v[4:5]
	v_add_f64 v[2:3], v[2:3], v[4:5]
	v_mul_f64 v[4:5], v[48:49], v[158:159]
	s_waitcnt vmcnt(10) lgkmcnt(1)
	v_mul_f64 v[110:111], v[102:103], v[218:219]
	v_fma_f64 v[4:5], v[46:47], v[166:167], -v[4:5]
	s_waitcnt vmcnt(8)
	v_fmac_f64_e32 v[110:111], v[104:105], v[220:221]
	v_add_f64 v[28:29], v[28:29], v[110:111]
	v_add_f64 v[2:3], v[2:3], v[4:5]
	v_mul_f64 v[4:5], v[52:53], v[174:175]
	v_fma_f64 v[4:5], v[50:51], v[176:177], -v[4:5]
	v_add_f64 v[2:3], v[2:3], v[4:5]
	s_waitcnt vmcnt(6) lgkmcnt(0)
	v_mul_f64 v[110:111], v[224:225], v[222:223]
	v_mul_f64 v[4:5], v[56:57], v[160:161]
	s_waitcnt vmcnt(4)
	v_fmac_f64_e32 v[110:111], v[226:227], v[234:235]
	v_add_f64 v[28:29], v[28:29], v[110:111]
	ds_read_b128 v[110:113], v1 offset:1824
	buffer_load_dword v243, off, s[0:3], 0 offset:940
	buffer_load_dword v242, off, s[0:3], 0 offset:936
	;; [unrolled: 1-line block ×4, first 2 shown]
	v_fma_f64 v[4:5], v[54:55], v[172:173], -v[4:5]
	v_add_f64 v[2:3], v[2:3], v[4:5]
	v_mul_f64 v[4:5], v[60:61], v[178:179]
	s_waitcnt vmcnt(6) lgkmcnt(0)
	v_mul_f64 v[114:115], v[110:111], v[236:237]
	s_waitcnt vmcnt(4)
	v_fmac_f64_e32 v[114:115], v[112:113], v[238:239]
	v_add_f64 v[28:29], v[28:29], v[114:115]
	ds_read_b128 v[114:117], v1 offset:1840
	buffer_load_dword v248, off, s[0:3], 0 offset:128
	buffer_load_dword v249, off, s[0:3], 0 offset:132
	;; [unrolled: 1-line block ×4, first 2 shown]
	v_fma_f64 v[4:5], v[58:59], v[180:181], -v[4:5]
	v_add_f64 v[2:3], v[2:3], v[4:5]
	v_mul_f64 v[4:5], v[64:65], v[168:169]
	v_fma_f64 v[4:5], v[62:63], v[170:171], -v[4:5]
	v_add_f64 v[2:3], v[2:3], v[4:5]
	v_mul_f64 v[4:5], v[68:69], v[182:183]
	;; [unrolled: 3-line block ×13, first 2 shown]
	v_fma_f64 v[4:5], v[110:111], v[238:239], -v[4:5]
	v_add_f64 v[2:3], v[2:3], v[4:5]
	v_accvgpr_write_b32 a174, v0
	s_waitcnt vmcnt(6) lgkmcnt(0)
	v_mul_f64 v[4:5], v[116:117], v[242:243]
	v_mul_f64 v[240:241], v[114:115], v[242:243]
	s_waitcnt vmcnt(4)
	v_fma_f64 v[4:5], v[114:115], v[244:245], -v[4:5]
	v_fmac_f64_e32 v[240:241], v[116:117], v[244:245]
	v_add_f64 v[2:3], v[2:3], v[4:5]
	v_add_f64 v[240:241], v[28:29], v[240:241]
	s_waitcnt vmcnt(2)
	v_add_f64 v[2:3], v[248:249], -v[2:3]
	s_waitcnt vmcnt(0)
	v_add_f64 v[4:5], v[246:247], -v[240:241]
	buffer_store_dword v3, off, s[0:3], 0 offset:132
	buffer_store_dword v2, off, s[0:3], 0 offset:128
	buffer_store_dword v5, off, s[0:3], 0 offset:140
	buffer_store_dword v4, off, s[0:3], 0 offset:136
	s_and_saveexec_b64 s[4:5], vcc
	s_cbranch_execz .LBB121_349
; %bb.348:
	v_accvgpr_read_b32 v1, a167
	buffer_load_dword v2, v1, s[0:3], 0 offen
	buffer_load_dword v3, v1, s[0:3], 0 offen offset:4
	buffer_load_dword v4, v1, s[0:3], 0 offen offset:8
	;; [unrolled: 1-line block ×3, first 2 shown]
	v_mov_b32_e32 v1, 0
	v_accvgpr_read_b32 v6, a173
	buffer_store_dword v1, off, s[0:3], 0 offset:112
	buffer_store_dword v1, off, s[0:3], 0 offset:116
	;; [unrolled: 1-line block ×4, first 2 shown]
	s_waitcnt vmcnt(4)
	ds_write_b128 v6, v[2:5]
.LBB121_349:
	s_or_b64 exec, exec, s[4:5]
	v_mov_b32_e32 v142, 0
	s_waitcnt lgkmcnt(0)
	; wave barrier
	s_waitcnt lgkmcnt(0)
	buffer_load_dword v30, off, s[0:3], 0 offset:128
	buffer_load_dword v31, off, s[0:3], 0 offset:132
	;; [unrolled: 1-line block ×54, first 2 shown]
	ds_read_b128 v[114:117], v142 offset:1040
	ds_read_b128 v[156:159], v142 offset:1056
	ds_read_b128 v[166:169], v142 offset:1072
	ds_read_b128 v[170:173], v142 offset:1088
	ds_read_b128 v[174:177], v142 offset:1104
	ds_read_b128 v[178:181], v142 offset:1120
	ds_read_b128 v[182:185], v142 offset:1136
	ds_read_b128 v[186:189], v142 offset:1152
	ds_read_b128 v[190:193], v142 offset:1168
	buffer_load_dword v109, off, s[0:3], 0 offset:356
	buffer_load_dword v108, off, s[0:3], 0 offset:352
	;; [unrolled: 1-line block ×32, first 2 shown]
	s_waitcnt vmcnt(62) lgkmcnt(8)
	v_mul_f64 v[2:3], v[114:115], v[32:33]
	v_fmac_f64_e32 v[2:3], v[116:117], v[30:31]
	v_add_f64 v[2:3], v[2:3], 0
	v_mul_f64 v[32:33], v[116:117], v[32:33]
	s_waitcnt lgkmcnt(7)
	v_mul_f64 v[4:5], v[156:157], v[38:39]
	v_fmac_f64_e32 v[4:5], v[158:159], v[36:37]
	s_waitcnt lgkmcnt(6)
	v_mul_f64 v[6:7], v[166:167], v[34:35]
	v_add_f64 v[2:3], v[2:3], v[4:5]
	s_waitcnt lgkmcnt(4)
	v_mul_f64 v[10:11], v[174:175], v[40:41]
	v_fma_f64 v[254:255], v[114:115], v[30:31], -v[32:33]
	v_fmac_f64_e32 v[10:11], v[176:177], v[42:43]
	v_mul_f64 v[38:39], v[158:159], v[38:39]
	v_mul_f64 v[8:9], v[170:171], v[44:45]
	s_waitcnt lgkmcnt(2)
	v_mul_f64 v[14:15], v[182:183], v[48:49]
	v_fmac_f64_e32 v[14:15], v[184:185], v[50:51]
	v_mul_f64 v[12:13], v[178:179], v[56:57]
	s_waitcnt lgkmcnt(1)
	v_mul_f64 v[16:17], v[186:187], v[52:53]
	s_waitcnt vmcnt(60)
	v_fmac_f64_e32 v[6:7], v[168:169], v[62:63]
	v_add_f64 v[2:3], v[2:3], v[6:7]
	s_waitcnt vmcnt(58)
	v_fmac_f64_e32 v[8:9], v[172:173], v[60:61]
	v_add_f64 v[2:3], v[2:3], v[8:9]
	;; [unrolled: 3-line block ×3, first 2 shown]
	v_add_f64 v[2:3], v[2:3], v[12:13]
	v_add_f64 v[2:3], v[2:3], v[14:15]
	s_waitcnt vmcnt(54)
	v_fmac_f64_e32 v[16:17], v[188:189], v[54:55]
	v_add_f64 v[2:3], v[2:3], v[16:17]
	s_waitcnt vmcnt(50) lgkmcnt(0)
	v_mul_f64 v[4:5], v[190:191], v[46:47]
	v_fmac_f64_e32 v[4:5], v[192:193], v[64:65]
	v_add_f64 v[2:3], v[2:3], v[4:5]
	s_waitcnt vmcnt(0)
	v_pk_mov_b32 v[14:15], v[0:1], v[0:1] op_sel:[0,1]
	buffer_load_dword v1, off, s[0:3], 0 offset:484
	buffer_load_dword v0, off, s[0:3], 0 offset:480
	v_accvgpr_write_b32 a177, v15
	v_accvgpr_write_b32 a176, v14
	s_waitcnt vmcnt(0)
	v_pk_mov_b32 v[18:19], v[0:1], v[0:1] op_sel:[0,1]
	buffer_load_dword v95, off, s[0:3], 0 offset:476
	buffer_load_dword v94, off, s[0:3], 0 offset:472
	;; [unrolled: 1-line block ×6, first 2 shown]
	v_accvgpr_write_b32 a179, v19
	v_accvgpr_write_b32 a178, v18
	s_waitcnt vmcnt(0)
	v_pk_mov_b32 v[22:23], v[0:1], v[0:1] op_sel:[0,1]
	buffer_load_dword v1, off, s[0:3], 0 offset:516
	buffer_load_dword v0, off, s[0:3], 0 offset:512
	v_accvgpr_write_b32 a185, v23
	v_accvgpr_write_b32 a184, v22
	s_waitcnt vmcnt(0)
	v_pk_mov_b32 v[24:25], v[0:1], v[0:1] op_sel:[0,1]
	buffer_load_dword v1, off, s[0:3], 0 offset:508
	buffer_load_dword v0, off, s[0:3], 0 offset:504
	;; [unrolled: 6-line block ×11, first 2 shown]
	ds_read_b128 v[194:197], v142 offset:1184
	ds_read_b128 v[198:201], v142 offset:1200
	;; [unrolled: 1-line block ×8, first 2 shown]
	s_waitcnt lgkmcnt(7)
	v_mul_f64 v[4:5], v[194:195], v[70:71]
	v_fmac_f64_e32 v[4:5], v[196:197], v[72:73]
	v_add_f64 v[2:3], v[2:3], v[4:5]
	s_waitcnt lgkmcnt(6)
	v_mul_f64 v[4:5], v[198:199], v[66:67]
	v_fmac_f64_e32 v[4:5], v[200:201], v[68:69]
	v_add_f64 v[2:3], v[2:3], v[4:5]
	;; [unrolled: 4-line block ×8, first 2 shown]
	v_accvgpr_write_b32 a197, v155
	v_accvgpr_write_b32 a196, v154
	s_waitcnt vmcnt(0)
	v_pk_mov_b32 v[164:165], v[0:1], v[0:1] op_sel:[0,1]
	buffer_load_dword v1, off, s[0:3], 0 offset:620
	buffer_load_dword v153, off, s[0:3], 0 offset:604
	;; [unrolled: 1-line block ×8, first 2 shown]
	ds_read_b128 v[230:233], v142 offset:1312
	ds_read_b128 v[234:237], v142 offset:1328
	;; [unrolled: 1-line block ×6, first 2 shown]
	s_waitcnt lgkmcnt(5)
	v_mul_f64 v[4:5], v[230:231], v[102:103]
	v_fmac_f64_e32 v[4:5], v[232:233], v[106:107]
	v_add_f64 v[2:3], v[2:3], v[4:5]
	s_waitcnt lgkmcnt(4)
	v_mul_f64 v[4:5], v[234:235], v[78:79]
	v_fmac_f64_e32 v[4:5], v[236:237], v[80:81]
	v_add_f64 v[2:3], v[2:3], v[4:5]
	s_waitcnt lgkmcnt(3)
	v_mul_f64 v[4:5], v[238:239], v[82:83]
	ds_read_b128 v[134:137], v142 offset:1408
	ds_read_b128 v[130:133], v142 offset:1424
	v_fmac_f64_e32 v[4:5], v[240:241], v[84:85]
	v_add_f64 v[2:3], v[2:3], v[4:5]
	s_waitcnt lgkmcnt(4)
	v_mul_f64 v[4:5], v[242:243], v[86:87]
	ds_read_b128 v[126:129], v142 offset:1440
	ds_read_b128 v[122:125], v142 offset:1456
	v_fmac_f64_e32 v[4:5], v[244:245], v[88:89]
	s_waitcnt lgkmcnt(5)
	v_mul_f64 v[8:9], v[246:247], v[94:95]
	v_add_f64 v[6:7], v[2:3], v[4:5]
	v_fmac_f64_e32 v[8:9], v[248:249], v[96:97]
	s_waitcnt lgkmcnt(4)
	v_mul_f64 v[12:13], v[144:145], v[14:15]
	v_add_f64 v[10:11], v[6:7], v[8:9]
	;; [unrolled: 4-line block ×5, first 2 shown]
	v_fmac_f64_e32 v[28:29], v[128:129], v[140:141]
	ds_read_b128 v[138:141], v142 offset:1472
	v_add_f64 v[26:27], v[26:27], v[28:29]
	s_waitcnt lgkmcnt(1)
	v_mul_f64 v[28:29], v[122:123], v[118:119]
	v_fmac_f64_e32 v[28:29], v[124:125], v[120:121]
	ds_read_b128 v[118:121], v142 offset:1488
	v_add_f64 v[26:27], v[26:27], v[28:29]
	s_waitcnt lgkmcnt(1)
	v_mul_f64 v[28:29], v[138:139], v[154:155]
	v_fmac_f64_e32 v[28:29], v[140:141], v[164:165]
	v_accvgpr_write_b32 a199, v165
	s_waitcnt lgkmcnt(0)
	v_mul_f64 v[114:115], v[118:119], v[160:161]
	v_add_f64 v[154:155], v[26:27], v[28:29]
	v_fmac_f64_e32 v[114:115], v[120:121], v[162:163]
	v_accvgpr_write_b32 a198, v164
	ds_read_b128 v[30:33], v142 offset:1504
	v_add_f64 v[114:115], v[154:155], v[114:115]
	buffer_load_dword v155, off, s[0:3], 0 offset:652
	buffer_load_dword v154, off, s[0:3], 0 offset:648
	v_fma_f64 v[26:27], v[156:157], v[36:37], -v[38:39]
	buffer_load_dword v157, off, s[0:3], 0 offset:644
	buffer_load_dword v156, off, s[0:3], 0 offset:640
	;; [unrolled: 1-line block ×6, first 2 shown]
	v_mul_f64 v[4:5], v[168:169], v[34:35]
	v_fma_f64 v[24:25], v[166:167], v[62:63], -v[4:5]
	buffer_load_dword v158, off, s[0:3], 0 offset:680
	buffer_load_dword v163, off, s[0:3], 0 offset:668
	;; [unrolled: 1-line block ×5, first 2 shown]
	v_mul_f64 v[34:35], v[172:173], v[44:45]
	v_fma_f64 v[116:117], v[170:171], v[60:61], -v[34:35]
	ds_read_b128 v[34:37], v142 offset:1520
	buffer_load_dword v168, off, s[0:3], 0 offset:672
	buffer_load_dword v159, off, s[0:3], 0 offset:684
	;; [unrolled: 1-line block ×3, first 2 shown]
	v_mul_f64 v[8:9], v[184:185], v[48:49]
	v_fma_f64 v[18:19], v[182:183], v[50:51], -v[8:9]
	v_mul_f64 v[12:13], v[192:193], v[46:47]
	v_fma_f64 v[12:13], v[190:191], v[64:65], -v[12:13]
	;; [unrolled: 2-line block ×6, first 2 shown]
	s_waitcnt vmcnt(21) lgkmcnt(1)
	v_mul_f64 v[38:39], v[30:31], v[152:153]
	v_mul_f64 v[82:83], v[240:241], v[82:83]
	s_waitcnt vmcnt(19)
	v_fmac_f64_e32 v[38:39], v[32:33], v[150:151]
	s_waitcnt vmcnt(18) lgkmcnt(0)
	v_mul_f64 v[44:45], v[34:35], v[0:1]
	v_add_f64 v[38:39], v[114:115], v[38:39]
	s_waitcnt vmcnt(16)
	v_fmac_f64_e32 v[44:45], v[36:37], v[148:149]
	v_add_f64 v[60:61], v[38:39], v[44:45]
	v_mul_f64 v[38:39], v[176:177], v[40:41]
	v_fma_f64 v[114:115], v[174:175], v[42:43], -v[38:39]
	buffer_load_dword v171, off, s[0:3], 0 offset:716
	buffer_load_dword v173, off, s[0:3], 0 offset:700
	;; [unrolled: 1-line block ×8, first 2 shown]
	v_mul_f64 v[38:39], v[180:181], v[56:57]
	v_fma_f64 v[22:23], v[178:179], v[58:59], -v[38:39]
	ds_read_b128 v[38:41], v142 offset:1536
	buffer_load_dword v179, off, s[0:3], 0 offset:732
	buffer_load_dword v178, off, s[0:3], 0 offset:728
	;; [unrolled: 1-line block ×4, first 2 shown]
	v_mul_f64 v[42:43], v[188:189], v[52:53]
	v_fma_f64 v[14:15], v[186:187], v[54:55], -v[42:43]
	buffer_load_dword v183, off, s[0:3], 0 offset:748
	buffer_load_dword v182, off, s[0:3], 0 offset:744
	;; [unrolled: 1-line block ×9, first 2 shown]
	v_mul_f64 v[42:43], v[196:197], v[70:71]
	buffer_load_dword v192, off, s[0:3], 0 offset:768
	buffer_load_dword v191, off, s[0:3], 0 offset:780
	;; [unrolled: 1-line block ×3, first 2 shown]
	v_fma_f64 v[70:71], v[194:195], v[72:73], -v[42:43]
	v_mul_f64 v[42:43], v[200:201], v[66:67]
	buffer_load_dword v195, off, s[0:3], 0 offset:796
	buffer_load_dword v194, off, s[0:3], 0 offset:792
	;; [unrolled: 1-line block ×4, first 2 shown]
	v_fma_f64 v[72:73], v[198:199], v[68:69], -v[42:43]
	v_mul_f64 v[42:43], v[204:205], v[100:101]
	v_fma_f64 v[10:11], v[202:203], v[104:105], -v[42:43]
	buffer_load_dword v201, off, s[0:3], 0 offset:812
	buffer_load_dword v200, off, s[0:3], 0 offset:808
	;; [unrolled: 1-line block ×16, first 2 shown]
	ds_read_b128 v[42:45], v142 offset:1552
	ds_read_b128 v[46:49], v142 offset:1568
	v_mul_f64 v[54:55], v[220:221], v[74:75]
	v_fma_f64 v[250:251], v[218:219], v[108:109], -v[54:55]
	ds_read_b128 v[54:57], v142 offset:1600
	v_mul_f64 v[58:59], v[224:225], v[110:111]
	v_fma_f64 v[8:9], v[222:223], v[112:113], -v[58:59]
	v_mul_f64 v[66:67], v[228:229], v[90:91]
	v_fma_f64 v[214:215], v[226:227], v[98:99], -v[66:67]
	ds_read_b128 v[66:69], v142 offset:1648
	v_fma_f64 v[2:3], v[238:239], v[84:85], -v[82:83]
	ds_read_b128 v[82:85], v142 offset:1712
	v_mul_f64 v[86:87], v[244:245], v[86:87]
	v_fma_f64 v[240:241], v[242:243], v[88:89], -v[86:87]
	ds_read_b128 v[86:89], v142 offset:1728
	v_mul_f64 v[94:95], v[248:249], v[94:95]
	v_fma_f64 v[232:233], v[246:247], v[96:97], -v[94:95]
	ds_read_b128 v[228:231], v142 offset:1664
	ds_read_b128 v[78:81], v142 offset:1696
	ds_read_b128 v[94:97], v142 offset:1760
	s_waitcnt vmcnt(54) lgkmcnt(9)
	v_mul_f64 v[50:51], v[38:39], v[160:161]
	s_waitcnt lgkmcnt(8)
	v_mul_f64 v[52:53], v[42:43], v[154:155]
	s_waitcnt vmcnt(52)
	v_fmac_f64_e32 v[50:51], v[40:41], v[164:165]
	v_add_f64 v[50:51], v[60:61], v[50:51]
	v_fmac_f64_e32 v[52:53], v[44:45], v[156:157]
	v_add_f64 v[50:51], v[50:51], v[52:53]
	s_waitcnt vmcnt(49) lgkmcnt(7)
	v_mul_f64 v[52:53], v[46:47], v[162:163]
	s_waitcnt vmcnt(47)
	v_fmac_f64_e32 v[52:53], v[48:49], v[166:167]
	v_add_f64 v[62:63], v[50:51], v[52:53]
	ds_read_b128 v[50:53], v142 offset:1584
	ds_read_b128 v[58:61], v142 offset:1616
	s_waitcnt vmcnt(45) lgkmcnt(1)
	v_mul_f64 v[64:65], v[50:51], v[158:159]
	s_waitcnt vmcnt(44)
	v_fmac_f64_e32 v[64:65], v[52:53], v[168:169]
	v_add_f64 v[20:21], v[62:63], v[64:65]
	s_waitcnt vmcnt(41)
	v_mul_f64 v[62:63], v[54:55], v[172:173]
	s_waitcnt vmcnt(39)
	v_fmac_f64_e32 v[62:63], v[56:57], v[176:177]
	v_add_f64 v[20:21], v[20:21], v[62:63]
	s_waitcnt vmcnt(38) lgkmcnt(0)
	v_mul_f64 v[62:63], v[58:59], v[170:171]
	s_waitcnt vmcnt(36)
	v_fmac_f64_e32 v[62:63], v[60:61], v[174:175]
	v_add_f64 v[20:21], v[20:21], v[62:63]
	ds_read_b128 v[62:65], v142 offset:1632
	s_waitcnt vmcnt(34) lgkmcnt(0)
	v_mul_f64 v[74:75], v[62:63], v[178:179]
	s_waitcnt vmcnt(32)
	v_fmac_f64_e32 v[74:75], v[64:65], v[180:181]
	v_add_f64 v[20:21], v[20:21], v[74:75]
	s_waitcnt vmcnt(30)
	v_mul_f64 v[74:75], v[66:67], v[182:183]
	s_waitcnt vmcnt(28)
	v_fmac_f64_e32 v[74:75], v[68:69], v[186:187]
	v_add_f64 v[20:21], v[20:21], v[74:75]
	s_waitcnt vmcnt(26)
	v_mul_f64 v[74:75], v[228:229], v[184:185]
	s_waitcnt vmcnt(24)
	v_fmac_f64_e32 v[74:75], v[230:231], v[188:189]
	v_add_f64 v[20:21], v[20:21], v[74:75]
	ds_read_b128 v[74:77], v142 offset:1680
	s_waitcnt vmcnt(18)
	v_mul_f64 v[28:29], v[78:79], v[194:195]
	s_waitcnt vmcnt(16)
	v_fmac_f64_e32 v[28:29], v[80:81], v[196:197]
	s_waitcnt vmcnt(9)
	v_mul_f64 v[98:99], v[86:87], v[204:205]
	s_waitcnt vmcnt(7)
	v_fmac_f64_e32 v[98:99], v[88:89], v[210:211]
	s_waitcnt lgkmcnt(0)
	v_mul_f64 v[90:91], v[74:75], v[190:191]
	v_fmac_f64_e32 v[90:91], v[76:77], v[192:193]
	v_add_f64 v[90:91], v[20:21], v[90:91]
	v_add_f64 v[28:29], v[90:91], v[28:29]
	v_mul_f64 v[90:91], v[82:83], v[200:201]
	buffer_load_dword v20, off, s[0:3], 0 offset:872
	v_fmac_f64_e32 v[90:91], v[84:85], v[202:203]
	v_add_f64 v[28:29], v[28:29], v[90:91]
	ds_read_b128 v[90:93], v142 offset:1744
	buffer_load_dword v216, off, s[0:3], 0 offset:864
	buffer_load_dword v21, off, s[0:3], 0 offset:876
	buffer_load_dword v217, off, s[0:3], 0 offset:868
	v_add_f64 v[28:29], v[28:29], v[98:99]
	s_waitcnt vmcnt(10) lgkmcnt(0)
	v_mul_f64 v[98:99], v[90:91], v[198:199]
	s_waitcnt vmcnt(8)
	v_fmac_f64_e32 v[98:99], v[92:93], v[208:209]
	v_add_f64 v[28:29], v[28:29], v[98:99]
	s_waitcnt vmcnt(6)
	v_mul_f64 v[98:99], v[94:95], v[206:207]
	s_waitcnt vmcnt(4)
	v_fmac_f64_e32 v[98:99], v[96:97], v[212:213]
	v_add_f64 v[28:29], v[28:29], v[98:99]
	ds_read_b128 v[98:101], v142 offset:1776
	buffer_load_dword v219, off, s[0:3], 0 offset:892
	buffer_load_dword v218, off, s[0:3], 0 offset:888
	buffer_load_dword v221, off, s[0:3], 0 offset:884
	buffer_load_dword v220, off, s[0:3], 0 offset:880
	s_waitcnt vmcnt(5) lgkmcnt(0)
	v_mul_f64 v[102:103], v[98:99], v[20:21]
	s_waitcnt vmcnt(4)
	v_fmac_f64_e32 v[102:103], v[100:101], v[216:217]
	v_add_f64 v[28:29], v[28:29], v[102:103]
	ds_read_b128 v[102:105], v142 offset:1792
	buffer_load_dword v222, off, s[0:3], 0 offset:904
	buffer_load_dword v223, off, s[0:3], 0 offset:908
	buffer_load_dword v234, off, s[0:3], 0 offset:896
	buffer_load_dword v235, off, s[0:3], 0 offset:900
	s_waitcnt vmcnt(6) lgkmcnt(0)
	;; [unrolled: 10-line block ×4, first 2 shown]
	v_mul_f64 v[224:225], v[110:111], v[236:237]
	s_waitcnt vmcnt(4)
	v_fmac_f64_e32 v[224:225], v[112:113], v[238:239]
	v_add_f64 v[28:29], v[28:29], v[224:225]
	ds_read_b128 v[224:227], v142 offset:1840
	buffer_load_dword v248, off, s[0:3], 0 offset:112
	buffer_load_dword v249, off, s[0:3], 0 offset:116
	s_waitcnt vmcnt(4) lgkmcnt(0)
	v_mul_f64 v[246:247], v[224:225], v[242:243]
	s_waitcnt vmcnt(2)
	v_fmac_f64_e32 v[246:247], v[226:227], v[244:245]
	v_add_f64 v[28:29], v[28:29], v[246:247]
	v_add_f64 v[246:247], v[254:255], 0
	;; [unrolled: 1-line block ×15, first 2 shown]
	buffer_load_dword v246, off, s[0:3], 0 offset:120
	buffer_load_dword v247, off, s[0:3], 0 offset:124
	v_add_f64 v[10:11], v[10:11], v[250:251]
	v_add_f64 v[8:9], v[10:11], v[8:9]
	;; [unrolled: 1-line block ×6, first 2 shown]
	v_accvgpr_read_b32 v4, a176
	v_accvgpr_read_b32 v5, a177
	;; [unrolled: 1-line block ×3, first 2 shown]
	v_add_f64 v[252:253], v[2:3], v[240:241]
	v_mul_f64 v[4:5], v[146:147], v[4:5]
	v_accvgpr_read_b32 v7, a179
	v_add_f64 v[2:3], v[252:253], v[232:233]
	v_fma_f64 v[4:5], v[144:145], v[6:7], -v[4:5]
	v_add_f64 v[2:3], v[2:3], v[4:5]
	v_accvgpr_read_b32 v4, a180
	v_accvgpr_read_b32 v5, a181
	v_accvgpr_read_b32 v6, a182
	v_mul_f64 v[4:5], v[136:137], v[4:5]
	v_accvgpr_read_b32 v7, a183
	v_fma_f64 v[4:5], v[134:135], v[6:7], -v[4:5]
	v_add_f64 v[2:3], v[2:3], v[4:5]
	v_accvgpr_read_b32 v4, a184
	v_accvgpr_read_b32 v5, a185
	v_accvgpr_read_b32 v6, a186
	v_mul_f64 v[4:5], v[132:133], v[4:5]
	v_accvgpr_read_b32 v7, a187
	;; [unrolled: 7-line block ×6, first 2 shown]
	v_fma_f64 v[4:5], v[118:119], v[6:7], -v[4:5]
	v_add_f64 v[2:3], v[2:3], v[4:5]
	v_mul_f64 v[4:5], v[32:33], v[152:153]
	v_fma_f64 v[4:5], v[30:31], v[150:151], -v[4:5]
	v_add_f64 v[2:3], v[2:3], v[4:5]
	v_mul_f64 v[4:5], v[36:37], v[0:1]
	;; [unrolled: 3-line block ×22, first 2 shown]
	v_fma_f64 v[4:5], v[224:225], v[244:245], -v[4:5]
	v_add_f64 v[2:3], v[2:3], v[4:5]
	v_accvgpr_read_b32 v0, a174
	s_waitcnt vmcnt(2)
	v_add_f64 v[2:3], v[248:249], -v[2:3]
	v_cmp_lt_u32_e32 vcc, 5, v0
	s_waitcnt vmcnt(0)
	v_add_f64 v[4:5], v[246:247], -v[28:29]
	buffer_store_dword v3, off, s[0:3], 0 offset:116
	buffer_store_dword v2, off, s[0:3], 0 offset:112
	;; [unrolled: 1-line block ×4, first 2 shown]
	s_and_saveexec_b64 s[4:5], vcc
	s_cbranch_execz .LBB121_351
; %bb.350:
	v_accvgpr_read_b32 v5, a168
	buffer_load_dword v2, v5, s[0:3], 0 offen
	buffer_load_dword v3, v5, s[0:3], 0 offen offset:4
	buffer_load_dword v4, v5, s[0:3], 0 offen offset:8
	s_nop 0
	buffer_load_dword v5, v5, s[0:3], 0 offen offset:12
	v_accvgpr_read_b32 v6, a173
	buffer_store_dword v142, off, s[0:3], 0 offset:96
	buffer_store_dword v142, off, s[0:3], 0 offset:100
	;; [unrolled: 1-line block ×4, first 2 shown]
	s_waitcnt vmcnt(4)
	ds_write_b128 v6, v[2:5]
.LBB121_351:
	s_or_b64 exec, exec, s[4:5]
	s_waitcnt lgkmcnt(0)
	; wave barrier
	s_waitcnt lgkmcnt(0)
	buffer_load_dword v22, off, s[0:3], 0 offset:112
	buffer_load_dword v23, off, s[0:3], 0 offset:116
	;; [unrolled: 1-line block ×36, first 2 shown]
	ds_read_b128 v[18:21], v142 offset:1024
	ds_read_b128 v[26:29], v142 offset:1040
	;; [unrolled: 1-line block ×9, first 2 shown]
	buffer_load_dword v91, off, s[0:3], 0 offset:284
	buffer_load_dword v90, off, s[0:3], 0 offset:280
	;; [unrolled: 1-line block ×19, first 2 shown]
	s_waitcnt vmcnt(51) lgkmcnt(8)
	v_mul_f64 v[2:3], v[18:19], v[24:25]
	v_fmac_f64_e32 v[2:3], v[20:21], v[22:23]
	v_add_f64 v[2:3], v[2:3], 0
	v_mul_f64 v[20:21], v[20:21], v[24:25]
	s_waitcnt vmcnt(47) lgkmcnt(7)
	v_mul_f64 v[4:5], v[26:27], v[160:161]
	v_fmac_f64_e32 v[4:5], v[28:29], v[158:159]
	v_add_f64 v[2:3], v[2:3], v[4:5]
	buffer_load_dword v104, off, s[0:3], 0 offset:336
	buffer_load_dword v67, off, s[0:3], 0 offset:332
	;; [unrolled: 1-line block ×39, first 2 shown]
	s_waitcnt vmcnt(62) lgkmcnt(6)
	v_mul_f64 v[6:7], v[54:55], v[156:157]
	s_waitcnt lgkmcnt(4)
	v_mul_f64 v[10:11], v[34:35], v[166:167]
	v_fmac_f64_e32 v[10:11], v[36:37], v[168:169]
	v_fma_f64 v[24:25], v[18:19], v[22:23], -v[20:21]
	v_mul_f64 v[8:9], v[30:31], v[164:165]
	v_mul_f64 v[28:29], v[28:29], v[160:161]
	s_waitcnt lgkmcnt(2)
	v_mul_f64 v[14:15], v[50:51], v[74:75]
	v_fma_f64 v[158:159], v[26:27], v[158:159], -v[28:29]
	v_fmac_f64_e32 v[14:15], v[52:53], v[76:77]
	v_mul_f64 v[36:37], v[36:37], v[166:167]
	v_mul_f64 v[12:13], v[38:39], v[80:81]
	;; [unrolled: 1-line block ×3, first 2 shown]
	s_waitcnt lgkmcnt(1)
	v_mul_f64 v[16:17], v[46:47], v[72:73]
	v_fma_f64 v[20:21], v[50:51], v[76:77], -v[52:53]
	v_fmac_f64_e32 v[6:7], v[56:57], v[86:87]
	v_add_f64 v[2:3], v[2:3], v[6:7]
	v_fmac_f64_e32 v[8:9], v[32:33], v[84:85]
	v_add_f64 v[2:3], v[2:3], v[8:9]
	;; [unrolled: 2-line block ×3, first 2 shown]
	v_add_f64 v[2:3], v[2:3], v[12:13]
	v_add_f64 v[2:3], v[2:3], v[14:15]
	v_fmac_f64_e32 v[16:17], v[48:49], v[78:79]
	v_add_f64 v[2:3], v[2:3], v[16:17]
	v_mul_f64 v[32:33], v[32:33], v[164:165]
	v_mul_f64 v[40:41], v[40:41], v[80:81]
	v_fma_f64 v[82:83], v[38:39], v[82:83], -v[40:41]
	v_add_f64 v[24:25], v[24:25], 0
	v_add_f64 v[24:25], v[24:25], v[158:159]
	s_waitcnt vmcnt(0)
	v_pk_mov_b32 v[122:123], v[4:5], v[4:5] op_sel:[0,1]
	buffer_load_dword v5, off, s[0:3], 0 offset:500
	buffer_load_dword v4, off, s[0:3], 0 offset:496
	v_accvgpr_write_b32 a183, v123
	v_accvgpr_write_b32 a182, v122
	s_waitcnt vmcnt(0)
	v_pk_mov_b32 v[124:125], v[4:5], v[4:5] op_sel:[0,1]
	buffer_load_dword v5, off, s[0:3], 0 offset:492
	buffer_load_dword v4, off, s[0:3], 0 offset:488
	v_accvgpr_write_b32 a185, v125
	v_accvgpr_write_b32 a184, v124
	s_waitcnt vmcnt(0)
	v_pk_mov_b32 v[14:15], v[4:5], v[4:5] op_sel:[0,1]
	buffer_load_dword v5, off, s[0:3], 0 offset:484
	buffer_load_dword v4, off, s[0:3], 0 offset:480
	v_pk_mov_b32 v[144:145], v[14:15], v[14:15] op_sel:[0,1]
	s_waitcnt vmcnt(0)
	v_pk_mov_b32 v[126:127], v[4:5], v[4:5] op_sel:[0,1]
	buffer_load_dword v5, off, s[0:3], 0 offset:540
	buffer_load_dword v4, off, s[0:3], 0 offset:536
	v_accvgpr_write_b32 a181, v127
	v_accvgpr_write_b32 a180, v126
	s_waitcnt vmcnt(0)
	v_pk_mov_b32 v[172:173], v[4:5], v[4:5] op_sel:[0,1]
	buffer_load_dword v5, off, s[0:3], 0 offset:532
	buffer_load_dword v4, off, s[0:3], 0 offset:528
	v_accvgpr_write_b32 a191, v173
	v_accvgpr_write_b32 a190, v172
	;; [unrolled: 6-line block ×7, first 2 shown]
	s_waitcnt vmcnt(0)
	v_pk_mov_b32 v[186:187], v[4:5], v[4:5] op_sel:[0,1]
	buffer_load_dword v5, off, s[0:3], 0 offset:548
	buffer_load_dword v4, off, s[0:3], 0 offset:544
	ds_read_b128 v[182:185], v142 offset:1168
	ds_read_b128 v[194:197], v142 offset:1184
	;; [unrolled: 1-line block ×9, first 2 shown]
	buffer_load_dword v1, off, s[0:3], 0 offset:588
	buffer_load_dword v0, off, s[0:3], 0 offset:584
	;; [unrolled: 1-line block ×4, first 2 shown]
	ds_read_b128 v[248:251], v142 offset:1312
	buffer_load_dword v149, off, s[0:3], 0 offset:604
	buffer_load_dword v148, off, s[0:3], 0 offset:600
	;; [unrolled: 1-line block ×8, first 2 shown]
	ds_read_b128 v[252:255], v142 offset:1328
	ds_read_b128 v[118:121], v142 offset:1344
	ds_read_b128 v[58:61], v142 offset:1360
	ds_read_b128 v[62:65], v142 offset:1376
	v_accvgpr_write_b32 a195, v187
	v_accvgpr_write_b32 a194, v186
	s_waitcnt lgkmcnt(7)
	v_mul_f64 v[50:51], v[230:231], v[236:237]
	ds_read_b128 v[134:137], v142 offset:1408
	s_waitcnt lgkmcnt(1)
	v_mul_f64 v[8:9], v[62:63], v[96:97]
	v_fmac_f64_e32 v[8:9], v[64:65], v[100:101]
	v_mul_f64 v[64:65], v[64:65], v[96:97]
	s_waitcnt lgkmcnt(0)
	v_mul_f64 v[16:17], v[134:135], v[122:123]
	v_fmac_f64_e32 v[16:17], v[136:137], v[124:125]
	s_waitcnt vmcnt(12)
	v_pk_mov_b32 v[188:189], v[4:5], v[4:5] op_sel:[0,1]
	v_mul_f64 v[4:5], v[42:43], v[70:71]
	v_fmac_f64_e32 v[4:5], v[44:45], v[88:89]
	v_add_f64 v[2:3], v[2:3], v[4:5]
	v_mul_f64 v[4:5], v[182:183], v[94:95]
	v_fmac_f64_e32 v[4:5], v[184:185], v[98:99]
	v_add_f64 v[2:3], v[2:3], v[4:5]
	;; [unrolled: 3-line block ×14, first 2 shown]
	ds_read_b128 v[2:5], v142 offset:1392
	buffer_load_dword v155, off, s[0:3], 0 offset:636
	buffer_load_dword v154, off, s[0:3], 0 offset:632
	ds_read_b128 v[130:133], v142 offset:1424
	ds_read_b128 v[138:141], v142 offset:1440
	v_add_f64 v[10:11], v[6:7], v[8:9]
	s_waitcnt lgkmcnt(2)
	v_mul_f64 v[12:13], v[2:3], v[14:15]
	v_fmac_f64_e32 v[12:13], v[4:5], v[126:127]
	s_waitcnt lgkmcnt(1)
	v_mul_f64 v[170:171], v[130:131], v[128:129]
	ds_read_b128 v[126:129], v142 offset:1456
	ds_read_b128 v[122:125], v142 offset:1472
	v_add_f64 v[14:15], v[10:11], v[12:13]
	v_accvgpr_write_b32 a179, v5
	v_add_f64 v[162:163], v[14:15], v[16:17]
	v_fmac_f64_e32 v[170:171], v[132:133], v[180:181]
	s_waitcnt lgkmcnt(2)
	v_mul_f64 v[22:23], v[138:139], v[172:173]
	v_accvgpr_write_b32 a178, v4
	v_accvgpr_write_b32 a177, v3
	;; [unrolled: 1-line block ×3, first 2 shown]
	v_add_f64 v[4:5], v[162:163], v[170:171]
	v_fmac_f64_e32 v[22:23], v[140:141], v[174:175]
	v_add_f64 v[4:5], v[4:5], v[22:23]
	s_waitcnt lgkmcnt(1)
	v_mul_f64 v[22:23], v[126:127], v[186:187]
	v_fmac_f64_e32 v[22:23], v[128:129], v[188:189]
	s_waitcnt lgkmcnt(0)
	v_mul_f64 v[160:161], v[122:123], v[176:177]
	v_add_f64 v[4:5], v[4:5], v[22:23]
	ds_read_b128 v[26:29], v142 offset:1488
	v_fmac_f64_e32 v[160:161], v[124:125], v[178:179]
	v_add_f64 v[170:171], v[4:5], v[160:161]
	buffer_load_dword v161, off, s[0:3], 0 offset:628
	buffer_load_dword v160, off, s[0:3], 0 offset:624
	v_mul_f64 v[4:5], v[56:57], v[156:157]
	buffer_load_dword v156, off, s[0:3], 0 offset:664
	buffer_load_dword v22, off, s[0:3], 0 offset:656
	buffer_load_dword v163, off, s[0:3], 0 offset:652
	buffer_load_dword v162, off, s[0:3], 0 offset:648
	buffer_load_dword v165, off, s[0:3], 0 offset:644
	buffer_load_dword v164, off, s[0:3], 0 offset:640
	buffer_load_dword v157, off, s[0:3], 0 offset:668
	v_fma_f64 v[186:187], v[30:31], v[84:85], -v[32:33]
	s_waitcnt vmcnt(21) lgkmcnt(0)
	v_mul_f64 v[30:31], v[26:27], v[0:1]
	buffer_load_dword v23, off, s[0:3], 0 offset:660
	s_waitcnt vmcnt(20)
	v_fmac_f64_e32 v[30:31], v[28:29], v[146:147]
	v_fma_f64 v[86:87], v[54:55], v[86:87], -v[4:5]
	v_add_f64 v[54:55], v[170:171], v[30:31]
	ds_read_b128 v[30:33], v142 offset:1504
	v_fma_f64 v[84:85], v[34:35], v[168:169], -v[36:37]
	ds_read_b128 v[34:37], v142 offset:1520
	ds_read_b128 v[38:41], v142 offset:1536
	buffer_load_dword v167, off, s[0:3], 0 offset:684
	buffer_load_dword v166, off, s[0:3], 0 offset:680
	;; [unrolled: 1-line block ×16, first 2 shown]
	v_mul_f64 v[44:45], v[44:45], v[70:71]
	v_accvgpr_write_b32 a197, v189
	v_fma_f64 v[14:15], v[42:43], v[88:89], -v[44:45]
	v_mul_f64 v[42:43], v[184:185], v[94:95]
	v_accvgpr_write_b32 a196, v188
	v_fma_f64 v[94:95], v[182:183], v[98:99], -v[42:43]
	buffer_load_dword v183, off, s[0:3], 0 offset:748
	buffer_load_dword v182, off, s[0:3], 0 offset:744
	buffer_load_dword v189, off, s[0:3], 0 offset:740
	buffer_load_dword v188, off, s[0:3], 0 offset:736
	buffer_load_dword v184, off, s[0:3], 0 offset:760
	buffer_load_dword v88, off, s[0:3], 0 offset:752
	buffer_load_dword v185, off, s[0:3], 0 offset:764
	buffer_load_dword v89, off, s[0:3], 0 offset:756
	v_mul_f64 v[42:43], v[196:197], v[90:91]
	v_mul_f64 v[16:17], v[200:201], v[190:191]
	v_fma_f64 v[10:11], v[194:195], v[92:93], -v[42:43]
	v_fma_f64 v[16:17], v[198:199], v[192:193], -v[16:17]
	buffer_load_dword v191, off, s[0:3], 0 offset:796
	buffer_load_dword v193, off, s[0:3], 0 offset:780
	;; [unrolled: 1-line block ×12, first 2 shown]
	v_mul_f64 v[8:9], v[48:49], v[72:73]
	v_mul_f64 v[42:43], v[208:209], v[202:203]
	v_fma_f64 v[18:19], v[46:47], v[78:79], -v[8:9]
	v_fma_f64 v[8:9], v[206:207], v[204:205], -v[42:43]
	v_mul_f64 v[42:43], v[212:213], v[66:67]
	s_waitcnt vmcnt(54) lgkmcnt(2)
	v_mul_f64 v[56:57], v[30:31], v[148:149]
	v_fma_f64 v[6:7], v[210:211], v[68:69], -v[42:43]
	buffer_load_dword v205, off, s[0:3], 0 offset:828
	buffer_load_dword v204, off, s[0:3], 0 offset:824
	buffer_load_dword v207, off, s[0:3], 0 offset:820
	buffer_load_dword v206, off, s[0:3], 0 offset:816
	buffer_load_dword v202, off, s[0:3], 0 offset:856
	buffer_load_dword v211, off, s[0:3], 0 offset:844
	buffer_load_dword v210, off, s[0:3], 0 offset:840
	buffer_load_dword v213, off, s[0:3], 0 offset:836
	buffer_load_dword v212, off, s[0:3], 0 offset:832
	buffer_load_dword v208, off, s[0:3], 0 offset:848
	buffer_load_dword v203, off, s[0:3], 0 offset:860
	buffer_load_dword v209, off, s[0:3], 0 offset:852
	ds_read_b128 v[42:45], v142 offset:1552
	s_waitcnt vmcnt(62)
	v_fmac_f64_e32 v[56:57], v[32:33], v[150:151]
	v_mul_f64 v[46:47], v[226:227], v[102:103]
	v_add_f64 v[54:55], v[54:55], v[56:57]
	s_waitcnt lgkmcnt(2)
	v_mul_f64 v[56:57], v[34:35], v[152:153]
	v_fma_f64 v[4:5], v[224:225], v[104:105], -v[46:47]
	ds_read_b128 v[46:49], v142 offset:1568
	s_waitcnt vmcnt(60)
	v_fmac_f64_e32 v[56:57], v[36:37], v[232:233]
	v_add_f64 v[54:55], v[54:55], v[56:57]
	v_fma_f64 v[236:237], v[228:229], v[238:239], -v[50:51]
	ds_read_b128 v[50:53], v142 offset:1584
	ds_read_b128 v[224:227], v142 offset:1616
	v_mul_f64 v[66:67], v[242:243], v[218:219]
	ds_read_b128 v[228:231], v142 offset:1632
	v_fma_f64 v[240:241], v[240:241], v[220:221], -v[66:67]
	v_mul_f64 v[68:69], v[246:247], v[222:223]
	s_waitcnt vmcnt(58) lgkmcnt(5)
	v_mul_f64 v[12:13], v[38:39], v[154:155]
	v_fma_f64 v[246:247], v[244:245], v[234:235], -v[68:69]
	v_mul_f64 v[70:71], v[250:251], v[114:115]
	v_fma_f64 v[248:249], v[248:249], v[116:117], -v[70:71]
	ds_read_b128 v[70:73], v142 offset:1664
	v_mul_f64 v[90:91], v[120:121], v[106:107]
	v_fma_f64 v[2:3], v[118:119], v[110:111], -v[90:91]
	ds_read_b128 v[118:121], v142 offset:1712
	v_mul_f64 v[60:61], v[60:61], v[108:109]
	v_fma_f64 v[58:59], v[58:59], v[112:113], -v[60:61]
	v_accvgpr_write_b32 a203, v59
	v_accvgpr_write_b32 a202, v58
	ds_read_b128 v[58:61], v142 offset:1744
	v_add_f64 v[24:25], v[24:25], v[86:87]
	v_add_f64 v[24:25], v[24:25], v[186:187]
	;; [unrolled: 1-line block ×14, first 2 shown]
	s_waitcnt vmcnt(56)
	v_fmac_f64_e32 v[12:13], v[40:41], v[160:161]
	v_add_f64 v[12:13], v[54:55], v[12:13]
	s_waitcnt vmcnt(52) lgkmcnt(7)
	v_mul_f64 v[54:55], v[42:43], v[162:163]
	s_waitcnt vmcnt(50)
	v_fmac_f64_e32 v[54:55], v[44:45], v[164:165]
	v_add_f64 v[12:13], v[12:13], v[54:55]
	s_waitcnt vmcnt(49) lgkmcnt(6)
	v_mul_f64 v[54:55], v[46:47], v[156:157]
	s_waitcnt vmcnt(48)
	v_fmac_f64_e32 v[54:55], v[48:49], v[22:23]
	v_add_f64 v[12:13], v[12:13], v[54:55]
	v_add_f64 v[4:5], v[4:5], v[240:241]
	;; [unrolled: 1-line block ×4, first 2 shown]
	v_accvgpr_read_b32 v6, a176
	s_waitcnt vmcnt(46) lgkmcnt(5)
	v_mul_f64 v[54:55], v[50:51], v[166:167]
	v_accvgpr_read_b32 v8, a178
	s_waitcnt vmcnt(44)
	v_fmac_f64_e32 v[54:55], v[52:53], v[168:169]
	v_add_f64 v[12:13], v[12:13], v[54:55]
	ds_read_b128 v[54:57], v142 offset:1600
	v_accvgpr_read_b32 v9, a179
	v_accvgpr_read_b32 v7, a177
	s_waitcnt vmcnt(42) lgkmcnt(0)
	v_mul_f64 v[66:67], v[54:55], v[172:173]
	s_waitcnt vmcnt(40)
	v_fmac_f64_e32 v[66:67], v[56:57], v[174:175]
	v_add_f64 v[12:13], v[12:13], v[66:67]
	s_waitcnt vmcnt(36)
	v_mul_f64 v[66:67], v[224:225], v[178:179]
	s_waitcnt vmcnt(34)
	v_fmac_f64_e32 v[66:67], v[226:227], v[180:181]
	v_add_f64 v[12:13], v[12:13], v[66:67]
	v_mul_f64 v[66:67], v[228:229], v[170:171]
	s_waitcnt vmcnt(32)
	v_fmac_f64_e32 v[66:67], v[230:231], v[176:177]
	v_add_f64 v[12:13], v[12:13], v[66:67]
	ds_read_b128 v[66:69], v142 offset:1648
	s_waitcnt vmcnt(25)
	v_mul_f64 v[78:79], v[70:71], v[184:185]
	s_waitcnt vmcnt(24)
	v_fmac_f64_e32 v[78:79], v[72:73], v[88:89]
	s_waitcnt lgkmcnt(0)
	v_mul_f64 v[74:75], v[66:67], v[182:183]
	v_fmac_f64_e32 v[74:75], v[68:69], v[188:189]
	v_add_f64 v[12:13], v[12:13], v[74:75]
	v_mul_f64 v[74:75], v[254:255], v[214:215]
	v_fma_f64 v[254:255], v[252:253], v[216:217], -v[74:75]
	ds_read_b128 v[74:77], v142 offset:1680
	v_add_f64 v[12:13], v[12:13], v[78:79]
	ds_read_b128 v[78:81], v142 offset:1696
	v_fma_f64 v[252:253], v[62:63], v[100:101], -v[64:65]
	ds_read_b128 v[62:65], v142 offset:1760
	s_waitcnt vmcnt(21) lgkmcnt(2)
	v_mul_f64 v[90:91], v[74:75], v[192:193]
	s_waitcnt vmcnt(19)
	v_fmac_f64_e32 v[90:91], v[76:77], v[198:199]
	v_add_f64 v[12:13], v[12:13], v[90:91]
	s_waitcnt vmcnt(18) lgkmcnt(1)
	v_mul_f64 v[90:91], v[78:79], v[190:191]
	s_waitcnt vmcnt(16)
	v_fmac_f64_e32 v[90:91], v[80:81], v[196:197]
	v_add_f64 v[12:13], v[12:13], v[90:91]
	ds_read_b128 v[90:93], v142 offset:1728
	s_waitcnt vmcnt(14)
	v_mul_f64 v[98:99], v[118:119], v[194:195]
	buffer_load_dword v215, off, s[0:3], 0 offset:876
	buffer_load_dword v214, off, s[0:3], 0 offset:872
	;; [unrolled: 1-line block ×4, first 2 shown]
	s_waitcnt vmcnt(16)
	v_fmac_f64_e32 v[98:99], v[120:121], v[200:201]
	v_add_f64 v[12:13], v[12:13], v[98:99]
	ds_read_b128 v[98:101], v142 offset:1776
	buffer_load_dword v218, off, s[0:3], 0 offset:888
	buffer_load_dword v219, off, s[0:3], 0 offset:892
	;; [unrolled: 1-line block ×4, first 2 shown]
	ds_read_b128 v[102:105], v142 offset:1792
	buffer_load_dword v223, off, s[0:3], 0 offset:908
	buffer_load_dword v222, off, s[0:3], 0 offset:904
	;; [unrolled: 1-line block ×4, first 2 shown]
	s_waitcnt vmcnt(22) lgkmcnt(2)
	v_mul_f64 v[96:97], v[90:91], v[204:205]
	s_waitcnt vmcnt(20)
	v_fmac_f64_e32 v[96:97], v[92:93], v[206:207]
	v_add_f64 v[12:13], v[12:13], v[96:97]
	s_waitcnt vmcnt(17)
	v_mul_f64 v[96:97], v[58:59], v[210:211]
	s_waitcnt vmcnt(15)
	v_fmac_f64_e32 v[96:97], v[60:61], v[212:213]
	v_add_f64 v[12:13], v[12:13], v[96:97]
	s_waitcnt vmcnt(13)
	v_mul_f64 v[96:97], v[62:63], v[202:203]
	s_waitcnt vmcnt(12)
	v_fmac_f64_e32 v[96:97], v[64:65], v[208:209]
	ds_read_b128 v[106:109], v142 offset:1808
	v_add_f64 v[12:13], v[12:13], v[96:97]
	v_add_f64 v[4:5], v[4:5], v[254:255]
	;; [unrolled: 1-line block ×3, first 2 shown]
	v_accvgpr_read_b32 v2, a202
	v_accvgpr_read_b32 v3, a203
	v_mul_f64 v[4:5], v[8:9], v[144:145]
	v_accvgpr_read_b32 v8, a180
	v_add_f64 v[2:3], v[254:255], v[2:3]
	v_accvgpr_read_b32 v9, a181
	v_add_f64 v[2:3], v[2:3], v[252:253]
	v_fma_f64 v[4:5], v[6:7], v[8:9], -v[4:5]
	v_add_f64 v[2:3], v[2:3], v[4:5]
	v_accvgpr_read_b32 v4, a182
	v_accvgpr_read_b32 v5, a183
	v_accvgpr_read_b32 v6, a184
	v_mul_f64 v[4:5], v[136:137], v[4:5]
	v_accvgpr_read_b32 v7, a185
	v_fma_f64 v[4:5], v[134:135], v[6:7], -v[4:5]
	v_add_f64 v[2:3], v[2:3], v[4:5]
	v_accvgpr_read_b32 v4, a186
	v_accvgpr_read_b32 v5, a187
	v_accvgpr_read_b32 v6, a188
	v_mul_f64 v[4:5], v[132:133], v[4:5]
	v_accvgpr_read_b32 v7, a189
	;; [unrolled: 7-line block ×5, first 2 shown]
	v_fma_f64 v[4:5], v[122:123], v[6:7], -v[4:5]
	v_add_f64 v[2:3], v[2:3], v[4:5]
	v_mul_f64 v[4:5], v[28:29], v[0:1]
	v_fma_f64 v[4:5], v[26:27], v[146:147], -v[4:5]
	v_add_f64 v[2:3], v[2:3], v[4:5]
	v_mul_f64 v[4:5], v[32:33], v[148:149]
	;; [unrolled: 3-line block ×5, first 2 shown]
	v_fma_f64 v[4:5], v[42:43], v[164:165], -v[4:5]
	v_add_f64 v[2:3], v[2:3], v[4:5]
	s_waitcnt vmcnt(10) lgkmcnt(2)
	v_mul_f64 v[96:97], v[98:99], v[214:215]
	v_mul_f64 v[4:5], v[48:49], v[156:157]
	s_waitcnt vmcnt(8)
	v_fmac_f64_e32 v[96:97], v[100:101], v[216:217]
	v_add_f64 v[12:13], v[12:13], v[96:97]
	s_waitcnt vmcnt(6) lgkmcnt(1)
	v_mul_f64 v[96:97], v[102:103], v[218:219]
	v_fma_f64 v[4:5], v[46:47], v[22:23], -v[4:5]
	s_waitcnt vmcnt(4)
	v_fmac_f64_e32 v[96:97], v[104:105], v[220:221]
	v_add_f64 v[12:13], v[12:13], v[96:97]
	s_waitcnt vmcnt(2) lgkmcnt(0)
	v_mul_f64 v[96:97], v[106:107], v[222:223]
	s_waitcnt vmcnt(0)
	v_fmac_f64_e32 v[96:97], v[108:109], v[234:235]
	v_add_f64 v[96:97], v[12:13], v[96:97]
	buffer_load_dword v12, off, s[0:3], 0 offset:920
	buffer_load_dword v13, off, s[0:3], 0 offset:924
	;; [unrolled: 1-line block ×4, first 2 shown]
	ds_read_b128 v[110:113], v142 offset:1824
	buffer_load_dword v243, off, s[0:3], 0 offset:940
	buffer_load_dword v242, off, s[0:3], 0 offset:936
	;; [unrolled: 1-line block ×4, first 2 shown]
	v_add_f64 v[2:3], v[2:3], v[4:5]
	v_mul_f64 v[4:5], v[52:53], v[166:167]
	v_fma_f64 v[4:5], v[50:51], v[168:169], -v[4:5]
	v_add_f64 v[2:3], v[2:3], v[4:5]
	v_mul_f64 v[4:5], v[56:57], v[172:173]
	v_fma_f64 v[4:5], v[54:55], v[174:175], -v[4:5]
	v_add_f64 v[2:3], v[2:3], v[4:5]
	v_mul_f64 v[4:5], v[226:227], v[178:179]
	v_fma_f64 v[4:5], v[224:225], v[180:181], -v[4:5]
	v_add_f64 v[2:3], v[2:3], v[4:5]
	v_mul_f64 v[4:5], v[230:231], v[170:171]
	v_fma_f64 v[4:5], v[228:229], v[176:177], -v[4:5]
	v_add_f64 v[2:3], v[2:3], v[4:5]
	v_mul_f64 v[4:5], v[68:69], v[182:183]
	v_fma_f64 v[4:5], v[66:67], v[188:189], -v[4:5]
	v_add_f64 v[2:3], v[2:3], v[4:5]
	v_mul_f64 v[4:5], v[72:73], v[184:185]
	v_fma_f64 v[4:5], v[70:71], v[88:89], -v[4:5]
	v_add_f64 v[2:3], v[2:3], v[4:5]
	v_mul_f64 v[4:5], v[76:77], v[192:193]
	v_fma_f64 v[4:5], v[74:75], v[198:199], -v[4:5]
	v_add_f64 v[2:3], v[2:3], v[4:5]
	v_mul_f64 v[4:5], v[80:81], v[190:191]
	v_fma_f64 v[4:5], v[78:79], v[196:197], -v[4:5]
	v_add_f64 v[2:3], v[2:3], v[4:5]
	v_mul_f64 v[4:5], v[120:121], v[194:195]
	v_fma_f64 v[4:5], v[118:119], v[200:201], -v[4:5]
	v_add_f64 v[2:3], v[2:3], v[4:5]
	v_mul_f64 v[4:5], v[92:93], v[204:205]
	v_fma_f64 v[4:5], v[90:91], v[206:207], -v[4:5]
	v_add_f64 v[2:3], v[2:3], v[4:5]
	v_mul_f64 v[4:5], v[60:61], v[210:211]
	v_fma_f64 v[4:5], v[58:59], v[212:213], -v[4:5]
	v_add_f64 v[2:3], v[2:3], v[4:5]
	v_mul_f64 v[4:5], v[64:65], v[202:203]
	v_fma_f64 v[4:5], v[62:63], v[208:209], -v[4:5]
	v_add_f64 v[2:3], v[2:3], v[4:5]
	v_mul_f64 v[4:5], v[100:101], v[214:215]
	v_fma_f64 v[4:5], v[98:99], v[216:217], -v[4:5]
	v_add_f64 v[2:3], v[2:3], v[4:5]
	v_mul_f64 v[4:5], v[104:105], v[218:219]
	v_fma_f64 v[4:5], v[102:103], v[220:221], -v[4:5]
	v_add_f64 v[2:3], v[2:3], v[4:5]
	v_mul_f64 v[4:5], v[108:109], v[222:223]
	v_fma_f64 v[4:5], v[106:107], v[234:235], -v[4:5]
	v_add_f64 v[2:3], v[2:3], v[4:5]
	v_accvgpr_read_b32 v0, a174
	v_cmp_lt_u32_e32 vcc, 4, v0
	s_waitcnt vmcnt(6) lgkmcnt(0)
	v_mul_f64 v[114:115], v[110:111], v[12:13]
	v_mul_f64 v[4:5], v[112:113], v[12:13]
	s_waitcnt vmcnt(4)
	v_fmac_f64_e32 v[114:115], v[112:113], v[238:239]
	v_add_f64 v[96:97], v[96:97], v[114:115]
	ds_read_b128 v[114:117], v142 offset:1840
	buffer_load_dword v248, off, s[0:3], 0 offset:96
	buffer_load_dword v249, off, s[0:3], 0 offset:100
	;; [unrolled: 1-line block ×4, first 2 shown]
	v_fma_f64 v[4:5], v[110:111], v[238:239], -v[4:5]
	v_add_f64 v[2:3], v[2:3], v[4:5]
	s_waitcnt vmcnt(6) lgkmcnt(0)
	v_mul_f64 v[4:5], v[116:117], v[242:243]
	v_mul_f64 v[250:251], v[114:115], v[242:243]
	s_waitcnt vmcnt(4)
	v_fma_f64 v[4:5], v[114:115], v[244:245], -v[4:5]
	v_fmac_f64_e32 v[250:251], v[116:117], v[244:245]
	v_add_f64 v[2:3], v[2:3], v[4:5]
	v_add_f64 v[96:97], v[96:97], v[250:251]
	s_waitcnt vmcnt(2)
	v_add_f64 v[2:3], v[248:249], -v[2:3]
	s_waitcnt vmcnt(0)
	v_add_f64 v[4:5], v[246:247], -v[96:97]
	buffer_store_dword v3, off, s[0:3], 0 offset:100
	buffer_store_dword v2, off, s[0:3], 0 offset:96
	;; [unrolled: 1-line block ×4, first 2 shown]
	s_and_saveexec_b64 s[4:5], vcc
	s_cbranch_execz .LBB121_353
; %bb.352:
	v_accvgpr_read_b32 v1, a169
	buffer_load_dword v2, v1, s[0:3], 0 offen
	buffer_load_dword v3, v1, s[0:3], 0 offen offset:4
	buffer_load_dword v4, v1, s[0:3], 0 offen offset:8
	;; [unrolled: 1-line block ×3, first 2 shown]
	v_mov_b32_e32 v1, 0
	v_accvgpr_read_b32 v6, a173
	buffer_store_dword v1, off, s[0:3], 0 offset:80
	buffer_store_dword v1, off, s[0:3], 0 offset:84
	;; [unrolled: 1-line block ×4, first 2 shown]
	s_waitcnt vmcnt(4)
	ds_write_b128 v6, v[2:5]
.LBB121_353:
	s_or_b64 exec, exec, s[4:5]
	s_waitcnt lgkmcnt(0)
	; wave barrier
	s_waitcnt lgkmcnt(0)
	buffer_load_dword v248, off, s[0:3], 0 offset:96
	buffer_load_dword v249, off, s[0:3], 0 offset:100
	;; [unrolled: 1-line block ×36, first 2 shown]
	v_mov_b32_e32 v1, 0
	buffer_load_dword v55, off, s[0:3], 0 offset:268
	buffer_load_dword v54, off, s[0:3], 0 offset:264
	;; [unrolled: 1-line block ×18, first 2 shown]
	ds_read_b128 v[22:25], v1 offset:1008
	ds_read_b128 v[110:113], v1 offset:1024
	;; [unrolled: 1-line block ×9, first 2 shown]
	v_cmp_lt_u32_e32 vcc, 3, v0
	s_waitcnt vmcnt(50) lgkmcnt(8)
	v_mul_f64 v[2:3], v[22:23], v[16:17]
	v_fmac_f64_e32 v[2:3], v[24:25], v[248:249]
	v_add_f64 v[2:3], v[2:3], 0
	v_mul_f64 v[16:17], v[24:25], v[16:17]
	s_waitcnt vmcnt(46) lgkmcnt(7)
	v_mul_f64 v[4:5], v[110:111], v[20:21]
	v_fmac_f64_e32 v[4:5], v[112:113], v[156:157]
	s_waitcnt vmcnt(44) lgkmcnt(6)
	v_mul_f64 v[6:7], v[114:115], v[26:27]
	v_add_f64 v[2:3], v[2:3], v[4:5]
	s_waitcnt vmcnt(42) lgkmcnt(4)
	v_mul_f64 v[10:11], v[164:165], v[30:31]
	v_fma_f64 v[248:249], v[22:23], v[248:249], -v[16:17]
	s_waitcnt vmcnt(40)
	v_fmac_f64_e32 v[10:11], v[166:167], v[32:33]
	v_mul_f64 v[20:21], v[112:113], v[20:21]
	s_waitcnt vmcnt(38)
	v_mul_f64 v[8:9], v[160:161], v[28:29]
	v_fma_f64 v[252:253], v[110:111], v[156:157], -v[20:21]
	s_waitcnt vmcnt(36) lgkmcnt(2)
	v_mul_f64 v[68:69], v[172:173], v[44:45]
	v_mul_f64 v[26:27], v[116:117], v[26:27]
	s_waitcnt vmcnt(34)
	v_fmac_f64_e32 v[68:69], v[174:175], v[46:47]
	v_mul_f64 v[28:29], v[162:163], v[28:29]
	s_waitcnt vmcnt(32)
	v_mul_f64 v[12:13], v[168:169], v[34:35]
	v_mul_f64 v[30:31], v[166:167], v[30:31]
	s_waitcnt vmcnt(30) lgkmcnt(1)
	v_mul_f64 v[138:139], v[176:177], v[42:43]
	v_mul_f64 v[34:35], v[170:171], v[34:35]
	s_waitcnt vmcnt(28)
	v_fmac_f64_e32 v[6:7], v[116:117], v[250:251]
	v_add_f64 v[2:3], v[2:3], v[6:7]
	s_waitcnt vmcnt(26)
	v_fmac_f64_e32 v[8:9], v[162:163], v[38:39]
	v_add_f64 v[2:3], v[2:3], v[8:9]
	;; [unrolled: 3-line block ×3, first 2 shown]
	v_add_f64 v[2:3], v[2:3], v[12:13]
	v_add_f64 v[2:3], v[2:3], v[68:69]
	buffer_load_dword v109, off, s[0:3], 0 offset:324
	buffer_load_dword v108, off, s[0:3], 0 offset:320
	;; [unrolled: 1-line block ×40, first 2 shown]
	s_waitcnt vmcnt(62)
	v_fmac_f64_e32 v[138:139], v[178:179], v[50:51]
	v_add_f64 v[2:3], v[2:3], v[138:139]
	v_fma_f64 v[254:255], v[114:115], v[250:251], -v[26:27]
	v_fma_f64 v[250:251], v[160:161], v[38:39], -v[28:29]
	;; [unrolled: 1-line block ×3, first 2 shown]
	v_mul_f64 v[42:43], v[178:179], v[42:43]
	v_fma_f64 v[114:115], v[176:177], v[50:51], -v[42:43]
	s_waitcnt vmcnt(58) lgkmcnt(0)
	v_mul_f64 v[42:43], v[182:183], v[48:49]
	v_fma_f64 v[116:117], v[180:181], v[52:53], -v[42:43]
	s_waitcnt vmcnt(0)
	v_pk_mov_b32 v[130:131], v[4:5], v[4:5] op_sel:[0,1]
	buffer_load_dword v5, off, s[0:3], 0 offset:484
	buffer_load_dword v4, off, s[0:3], 0 offset:480
	v_accvgpr_write_b32 a175, v131
	v_accvgpr_write_b32 a174, v130
	s_waitcnt vmcnt(0)
	v_pk_mov_b32 v[8:9], v[4:5], v[4:5] op_sel:[0,1]
	buffer_load_dword v91, off, s[0:3], 0 offset:476
	buffer_load_dword v90, off, s[0:3], 0 offset:472
	;; [unrolled: 1-line block ×6, first 2 shown]
	v_accvgpr_write_b32 a177, v9
	v_accvgpr_write_b32 a176, v8
	s_waitcnt vmcnt(0)
	v_pk_mov_b32 v[118:119], v[4:5], v[4:5] op_sel:[0,1]
	buffer_load_dword v5, off, s[0:3], 0 offset:516
	buffer_load_dword v4, off, s[0:3], 0 offset:512
	v_accvgpr_write_b32 a183, v119
	v_accvgpr_write_b32 a182, v118
	s_waitcnt vmcnt(0)
	v_pk_mov_b32 v[120:121], v[4:5], v[4:5] op_sel:[0,1]
	buffer_load_dword v5, off, s[0:3], 0 offset:508
	buffer_load_dword v4, off, s[0:3], 0 offset:504
	;; [unrolled: 6-line block ×7, first 2 shown]
	ds_read_b128 v[184:187], v1 offset:1152
	ds_read_b128 v[188:191], v1 offset:1168
	;; [unrolled: 1-line block ×9, first 2 shown]
	buffer_load_dword v19, off, s[0:3], 0 offset:572
	buffer_load_dword v18, off, s[0:3], 0 offset:568
	;; [unrolled: 1-line block ×4, first 2 shown]
	ds_read_b128 v[222:225], v1 offset:1296
	buffer_load_dword v41, off, s[0:3], 0 offset:588
	buffer_load_dword v40, off, s[0:3], 0 offset:584
	;; [unrolled: 1-line block ×12, first 2 shown]
	ds_read_b128 v[226:229], v1 offset:1312
	ds_read_b128 v[230:233], v1 offset:1328
	ds_read_b128 v[234:237], v1 offset:1344
	ds_read_b128 v[238:241], v1 offset:1360
	ds_read_b128 v[242:245], v1 offset:1376
	ds_read_b128 v[142:145], v1 offset:1392
	ds_read_b128 v[146:149], v1 offset:1408
	v_accvgpr_write_b32 a187, v127
	v_accvgpr_write_b32 a186, v126
	s_waitcnt lgkmcnt(2)
	v_mul_f64 v[12:13], v[242:243], v[90:91]
	v_fmac_f64_e32 v[12:13], v[244:245], v[92:93]
	v_mul_f64 v[42:43], v[186:187], v[58:59]
	v_mul_f64 v[16:17], v[212:213], v[104:105]
	v_fma_f64 v[16:17], v[210:211], v[106:107], -v[16:17]
	v_mul_f64 v[50:51], v[216:217], v[84:85]
	v_mul_f64 v[90:91], v[244:245], v[90:91]
	v_fma_f64 v[90:91], v[242:243], v[92:93], -v[90:91]
	v_accvgpr_write_b32 a203, v91
	v_accvgpr_write_b32 a202, v90
	s_waitcnt vmcnt(16)
	v_pk_mov_b32 v[128:129], v[4:5], v[4:5] op_sel:[0,1]
	v_mul_f64 v[4:5], v[180:181], v[48:49]
	v_fmac_f64_e32 v[4:5], v[182:183], v[52:53]
	v_add_f64 v[2:3], v[2:3], v[4:5]
	v_mul_f64 v[4:5], v[184:185], v[58:59]
	v_fmac_f64_e32 v[4:5], v[186:187], v[60:61]
	v_add_f64 v[2:3], v[2:3], v[4:5]
	v_mul_f64 v[4:5], v[188:189], v[54:55]
	v_fmac_f64_e32 v[4:5], v[190:191], v[56:57]
	v_add_f64 v[2:3], v[2:3], v[4:5]
	v_mul_f64 v[4:5], v[192:193], v[96:97]
	v_fmac_f64_e32 v[4:5], v[194:195], v[98:99]
	v_add_f64 v[2:3], v[2:3], v[4:5]
	v_mul_f64 v[4:5], v[196:197], v[64:65]
	v_fmac_f64_e32 v[4:5], v[198:199], v[66:67]
	v_add_f64 v[2:3], v[2:3], v[4:5]
	v_mul_f64 v[4:5], v[200:201], v[208:209]
	v_fmac_f64_e32 v[4:5], v[202:203], v[246:247]
	v_add_f64 v[2:3], v[2:3], v[4:5]
	v_mul_f64 v[4:5], v[204:205], v[62:63]
	v_fmac_f64_e32 v[4:5], v[206:207], v[108:109]
	v_add_f64 v[2:3], v[2:3], v[4:5]
	v_mul_f64 v[4:5], v[210:211], v[104:105]
	v_fmac_f64_e32 v[4:5], v[212:213], v[106:107]
	v_add_f64 v[2:3], v[2:3], v[4:5]
	v_mul_f64 v[4:5], v[214:215], v[84:85]
	v_fmac_f64_e32 v[4:5], v[216:217], v[94:95]
	v_add_f64 v[2:3], v[2:3], v[4:5]
	v_mul_f64 v[4:5], v[218:219], v[100:101]
	v_fmac_f64_e32 v[4:5], v[220:221], v[102:103]
	v_add_f64 v[2:3], v[2:3], v[4:5]
	v_mul_f64 v[4:5], v[222:223], v[68:69]
	v_fmac_f64_e32 v[4:5], v[224:225], v[70:71]
	v_add_f64 v[2:3], v[2:3], v[4:5]
	v_mul_f64 v[4:5], v[226:227], v[72:73]
	v_fmac_f64_e32 v[4:5], v[228:229], v[82:83]
	v_add_f64 v[2:3], v[2:3], v[4:5]
	v_mul_f64 v[4:5], v[230:231], v[74:75]
	v_fmac_f64_e32 v[4:5], v[232:233], v[76:77]
	v_add_f64 v[2:3], v[2:3], v[4:5]
	v_mul_f64 v[4:5], v[234:235], v[78:79]
	v_fmac_f64_e32 v[4:5], v[236:237], v[80:81]
	v_add_f64 v[2:3], v[2:3], v[4:5]
	v_mul_f64 v[4:5], v[238:239], v[86:87]
	v_fmac_f64_e32 v[4:5], v[240:241], v[88:89]
	v_add_f64 v[10:11], v[2:3], v[4:5]
	v_add_f64 v[10:11], v[10:11], v[12:13]
	s_waitcnt lgkmcnt(1)
	v_mul_f64 v[12:13], v[142:143], v[130:131]
	ds_read_b128 v[130:133], v1 offset:1424
	v_fmac_f64_e32 v[12:13], v[144:145], v[8:9]
	v_add_f64 v[10:11], v[10:11], v[12:13]
	s_waitcnt lgkmcnt(1)
	v_mul_f64 v[12:13], v[146:147], v[122:123]
	v_fmac_f64_e32 v[12:13], v[148:149], v[124:125]
	s_waitcnt lgkmcnt(0)
	v_mul_f64 v[22:23], v[130:131], v[118:119]
	v_add_f64 v[154:155], v[10:11], v[12:13]
	ds_read_b128 v[122:125], v1 offset:1440
	v_fmac_f64_e32 v[22:23], v[132:133], v[120:121]
	v_add_f64 v[22:23], v[154:155], v[22:23]
	ds_read_b128 v[154:157], v1 offset:1456
	v_accvgpr_write_b32 a189, v129
	s_waitcnt lgkmcnt(1)
	v_mul_f64 v[24:25], v[122:123], v[126:127]
	v_fmac_f64_e32 v[24:25], v[124:125], v[128:129]
	v_accvgpr_write_b32 a188, v128
	ds_read_b128 v[126:129], v1 offset:1472
	s_waitcnt lgkmcnt(1)
	v_mul_f64 v[26:27], v[154:155], v[134:135]
	v_fmac_f64_e32 v[26:27], v[156:157], v[158:159]
	buffer_load_dword v159, off, s[0:3], 0 offset:636
	buffer_load_dword v158, off, s[0:3], 0 offset:632
	;; [unrolled: 1-line block ×7, first 2 shown]
	ds_read_b128 v[118:121], v1 offset:1488
	v_add_f64 v[110:111], v[22:23], v[24:25]
	buffer_load_dword v139, off, s[0:3], 0 offset:644
	v_fma_f64 v[24:25], v[164:165], v[32:33], -v[30:31]
	ds_read_b128 v[30:33], v1 offset:1504
	s_waitcnt vmcnt(22) lgkmcnt(2)
	v_mul_f64 v[28:29], v[126:127], v[18:19]
	ds_read_b128 v[34:37], v1 offset:1520
	v_add_f64 v[26:27], v[110:111], v[26:27]
	s_waitcnt vmcnt(20)
	v_fmac_f64_e32 v[28:29], v[128:129], v[14:15]
	s_waitcnt vmcnt(18) lgkmcnt(2)
	v_mul_f64 v[4:5], v[118:119], v[40:41]
	v_add_f64 v[38:39], v[26:27], v[28:29]
	s_waitcnt vmcnt(16)
	v_fmac_f64_e32 v[4:5], v[120:121], v[140:141]
	v_add_f64 v[4:5], v[38:39], v[4:5]
	s_waitcnt vmcnt(13) lgkmcnt(1)
	v_mul_f64 v[38:39], v[30:31], v[6:7]
	s_waitcnt vmcnt(11)
	v_fmac_f64_e32 v[38:39], v[32:33], v[152:153]
	v_add_f64 v[4:5], v[4:5], v[38:39]
	s_waitcnt vmcnt(10) lgkmcnt(0)
	v_mul_f64 v[38:39], v[34:35], v[136:137]
	v_accvgpr_write_b32 a199, v41
	s_waitcnt vmcnt(8)
	v_fmac_f64_e32 v[38:39], v[36:37], v[150:151]
	v_accvgpr_write_b32 a198, v40
	v_add_f64 v[110:111], v[4:5], v[38:39]
	ds_read_b128 v[38:41], v1 offset:1536
	buffer_load_dword v27, off, s[0:3], 0 offset:668
	buffer_load_dword v26, off, s[0:3], 0 offset:664
	;; [unrolled: 1-line block ×9, first 2 shown]
	v_mul_f64 v[4:5], v[174:175], v[44:45]
	v_fma_f64 v[112:113], v[172:173], v[46:47], -v[4:5]
	buffer_load_dword v175, off, s[0:3], 0 offset:700
	buffer_load_dword v174, off, s[0:3], 0 offset:696
	;; [unrolled: 1-line block ×8, first 2 shown]
	v_fma_f64 v[22:23], v[184:185], v[60:61], -v[42:43]
	buffer_load_dword v183, off, s[0:3], 0 offset:732
	buffer_load_dword v182, off, s[0:3], 0 offset:728
	;; [unrolled: 1-line block ×7, first 2 shown]
	v_mul_f64 v[42:43], v[190:191], v[54:55]
	v_fma_f64 v[20:21], v[188:189], v[56:57], -v[42:43]
	buffer_load_dword v187, off, s[0:3], 0 offset:764
	buffer_load_dword v186, off, s[0:3], 0 offset:760
	;; [unrolled: 1-line block ×4, first 2 shown]
	v_accvgpr_write_b32 a195, v19
	v_accvgpr_write_b32 a197, v15
	v_mul_f64 v[42:43], v[194:195], v[96:97]
	v_mul_f64 v[12:13], v[198:199], v[64:65]
	v_accvgpr_write_b32 a194, v18
	v_accvgpr_write_b32 a196, v14
	v_fma_f64 v[18:19], v[192:193], v[98:99], -v[42:43]
	v_fma_f64 v[14:15], v[196:197], v[66:67], -v[12:13]
	buffer_load_dword v191, off, s[0:3], 0 offset:780
	buffer_load_dword v190, off, s[0:3], 0 offset:776
	;; [unrolled: 1-line block ×8, first 2 shown]
	v_mul_f64 v[42:43], v[202:203], v[208:209]
	v_fma_f64 v[246:247], v[200:201], v[246:247], -v[42:43]
	buffer_load_dword v201, off, s[0:3], 0 offset:812
	buffer_load_dword v200, off, s[0:3], 0 offset:808
	;; [unrolled: 1-line block ×4, first 2 shown]
	v_mul_f64 v[42:43], v[206:207], v[62:63]
	v_fma_f64 v[12:13], v[204:205], v[108:109], -v[42:43]
	buffer_load_dword v198, off, s[0:3], 0 offset:840
	buffer_load_dword v207, off, s[0:3], 0 offset:828
	;; [unrolled: 1-line block ×8, first 2 shown]
	ds_read_b128 v[42:45], v1 offset:1552
	buffer_load_dword v211, off, s[0:3], 0 offset:860
	buffer_load_dword v210, off, s[0:3], 0 offset:856
	;; [unrolled: 1-line block ×4, first 2 shown]
	v_mul_f64 v[62:63], v[224:225], v[68:69]
	v_fma_f64 v[8:9], v[222:223], v[70:71], -v[62:63]
	ds_read_b128 v[62:65], v1 offset:1632
	v_accvgpr_write_b32 a201, v7
	v_accvgpr_write_b32 a200, v6
	v_mul_f64 v[74:75], v[232:233], v[74:75]
	v_fma_f64 v[4:5], v[230:231], v[76:77], -v[74:75]
	v_mul_f64 v[78:79], v[236:237], v[78:79]
	v_fma_f64 v[2:3], v[234:235], v[80:81], -v[78:79]
	ds_read_b128 v[78:81], v1 offset:1696
	v_mul_f64 v[86:87], v[240:241], v[86:87]
	v_fma_f64 v[240:241], v[238:239], v[88:89], -v[86:87]
	ds_read_b128 v[86:89], v1 offset:1728
	ds_read_b128 v[74:77], v1 offset:1680
	;; [unrolled: 1-line block ×3, first 2 shown]
	s_waitcnt vmcnt(58) lgkmcnt(6)
	v_mul_f64 v[46:47], v[38:39], v[158:159]
	s_waitcnt vmcnt(54)
	v_fmac_f64_e32 v[46:47], v[40:41], v[160:161]
	s_waitcnt vmcnt(53) lgkmcnt(5)
	v_mul_f64 v[48:49], v[42:43], v[134:135]
	v_add_f64 v[46:47], v[110:111], v[46:47]
	v_fma_f64 v[110:111], v[214:215], v[94:95], -v[50:51]
	s_waitcnt vmcnt(52)
	v_fmac_f64_e32 v[48:49], v[44:45], v[138:139]
	v_add_f64 v[54:55], v[46:47], v[48:49]
	ds_read_b128 v[46:49], v1 offset:1568
	ds_read_b128 v[50:53], v1 offset:1584
	s_waitcnt vmcnt(50) lgkmcnt(1)
	v_mul_f64 v[56:57], v[46:47], v[26:27]
	s_waitcnt vmcnt(48)
	v_fmac_f64_e32 v[56:57], v[48:49], v[168:169]
	v_add_f64 v[58:59], v[54:55], v[56:57]
	v_mul_f64 v[54:55], v[220:221], v[100:101]
	v_fma_f64 v[10:11], v[218:219], v[102:103], -v[54:55]
	ds_read_b128 v[54:57], v1 offset:1600
	s_waitcnt vmcnt(46) lgkmcnt(1)
	v_mul_f64 v[60:61], v[50:51], v[166:167]
	s_waitcnt vmcnt(44)
	v_fmac_f64_e32 v[60:61], v[52:53], v[170:171]
	v_add_f64 v[66:67], v[58:59], v[60:61]
	ds_read_b128 v[58:61], v1 offset:1616
	s_waitcnt vmcnt(41) lgkmcnt(1)
	v_mul_f64 v[68:69], v[54:55], v[174:175]
	s_waitcnt vmcnt(39)
	v_fmac_f64_e32 v[68:69], v[56:57], v[178:179]
	v_add_f64 v[70:71], v[66:67], v[68:69]
	v_mul_f64 v[66:67], v[228:229], v[72:73]
	v_fma_f64 v[6:7], v[226:227], v[82:83], -v[66:67]
	ds_read_b128 v[66:69], v1 offset:1648
	s_waitcnt vmcnt(38) lgkmcnt(1)
	v_mul_f64 v[84:85], v[58:59], v[164:165]
	s_waitcnt vmcnt(36)
	v_fmac_f64_e32 v[84:85], v[60:61], v[176:177]
	s_waitcnt vmcnt(33)
	v_mul_f64 v[72:73], v[62:63], v[182:183]
	v_add_f64 v[70:71], v[70:71], v[84:85]
	s_waitcnt vmcnt(31)
	v_fmac_f64_e32 v[72:73], v[64:65], v[184:185]
	v_add_f64 v[70:71], v[70:71], v[72:73]
	s_waitcnt vmcnt(29) lgkmcnt(0)
	v_mul_f64 v[72:73], v[66:67], v[172:173]
	s_waitcnt vmcnt(28)
	v_fmac_f64_e32 v[72:73], v[68:69], v[180:181]
	v_add_f64 v[82:83], v[70:71], v[72:73]
	ds_read_b128 v[70:73], v1 offset:1664
	s_waitcnt vmcnt(26) lgkmcnt(0)
	v_mul_f64 v[84:85], v[70:71], v[186:187]
	s_waitcnt vmcnt(24)
	v_fmac_f64_e32 v[84:85], v[72:73], v[188:189]
	v_add_f64 v[28:29], v[82:83], v[84:85]
	s_waitcnt vmcnt(22)
	v_mul_f64 v[82:83], v[74:75], v[190:191]
	s_waitcnt vmcnt(20)
	v_fmac_f64_e32 v[82:83], v[76:77], v[194:195]
	v_add_f64 v[28:29], v[28:29], v[82:83]
	s_waitcnt vmcnt(18)
	v_mul_f64 v[82:83], v[78:79], v[192:193]
	s_waitcnt vmcnt(16)
	v_fmac_f64_e32 v[82:83], v[80:81], v[196:197]
	v_add_f64 v[28:29], v[28:29], v[82:83]
	ds_read_b128 v[82:85], v1 offset:1712
	s_waitcnt vmcnt(14) lgkmcnt(0)
	v_mul_f64 v[94:95], v[82:83], v[200:201]
	s_waitcnt vmcnt(12)
	v_fmac_f64_e32 v[94:95], v[84:85], v[202:203]
	v_add_f64 v[28:29], v[28:29], v[94:95]
	s_waitcnt vmcnt(9)
	v_mul_f64 v[94:95], v[86:87], v[206:207]
	s_waitcnt vmcnt(7)
	v_fmac_f64_e32 v[94:95], v[88:89], v[208:209]
	v_add_f64 v[28:29], v[28:29], v[94:95]
	s_waitcnt vmcnt(5)
	v_mul_f64 v[94:95], v[90:91], v[198:199]
	s_waitcnt vmcnt(4)
	v_fmac_f64_e32 v[94:95], v[92:93], v[204:205]
	v_add_f64 v[28:29], v[28:29], v[94:95]
	ds_read_b128 v[94:97], v1 offset:1760
	buffer_load_dword v214, off, s[0:3], 0 offset:872
	buffer_load_dword v215, off, s[0:3], 0 offset:876
	buffer_load_dword v216, off, s[0:3], 0 offset:864
	buffer_load_dword v217, off, s[0:3], 0 offset:868
	s_waitcnt vmcnt(6) lgkmcnt(0)
	v_mul_f64 v[98:99], v[94:95], v[210:211]
	s_waitcnt vmcnt(4)
	v_fmac_f64_e32 v[98:99], v[96:97], v[212:213]
	v_add_f64 v[28:29], v[28:29], v[98:99]
	ds_read_b128 v[98:101], v1 offset:1776
	buffer_load_dword v219, off, s[0:3], 0 offset:892
	buffer_load_dword v218, off, s[0:3], 0 offset:888
	buffer_load_dword v221, off, s[0:3], 0 offset:884
	buffer_load_dword v220, off, s[0:3], 0 offset:880
	s_waitcnt vmcnt(6) lgkmcnt(0)
	;; [unrolled: 10-line block ×5, first 2 shown]
	v_mul_f64 v[230:231], v[226:227], v[236:237]
	s_waitcnt vmcnt(4)
	v_fmac_f64_e32 v[230:231], v[228:229], v[238:239]
	v_add_f64 v[28:29], v[28:29], v[230:231]
	ds_read_b128 v[230:233], v1 offset:1840
	s_waitcnt vmcnt(2) lgkmcnt(0)
	v_mul_f64 v[224:225], v[230:231], v[242:243]
	s_waitcnt vmcnt(0)
	v_fmac_f64_e32 v[224:225], v[232:233], v[244:245]
	v_add_f64 v[28:29], v[28:29], v[224:225]
	v_add_f64 v[224:225], v[248:249], 0
	;; [unrolled: 1-line block ×18, first 2 shown]
	buffer_load_dword v248, off, s[0:3], 0 offset:80
	buffer_load_dword v249, off, s[0:3], 0 offset:84
	v_add_f64 v[10:11], v[12:13], v[10:11]
	buffer_load_dword v246, off, s[0:3], 0 offset:88
	buffer_load_dword v247, off, s[0:3], 0 offset:92
	v_add_f64 v[8:9], v[10:11], v[8:9]
	v_add_f64 v[6:7], v[8:9], v[6:7]
	;; [unrolled: 1-line block ×4, first 2 shown]
	v_accvgpr_read_b32 v4, a174
	v_add_f64 v[252:253], v[2:3], v[240:241]
	v_accvgpr_read_b32 v2, a202
	v_accvgpr_read_b32 v5, a175
	;; [unrolled: 1-line block ×4, first 2 shown]
	v_mul_f64 v[4:5], v[144:145], v[4:5]
	v_accvgpr_read_b32 v7, a177
	v_add_f64 v[2:3], v[252:253], v[2:3]
	v_fma_f64 v[4:5], v[142:143], v[6:7], -v[4:5]
	v_add_f64 v[2:3], v[2:3], v[4:5]
	v_accvgpr_read_b32 v4, a178
	v_accvgpr_read_b32 v5, a179
	v_accvgpr_read_b32 v6, a180
	v_mul_f64 v[4:5], v[148:149], v[4:5]
	v_accvgpr_read_b32 v7, a181
	v_fma_f64 v[4:5], v[146:147], v[6:7], -v[4:5]
	v_add_f64 v[2:3], v[2:3], v[4:5]
	v_accvgpr_read_b32 v4, a182
	v_accvgpr_read_b32 v5, a183
	v_accvgpr_read_b32 v6, a184
	v_mul_f64 v[4:5], v[132:133], v[4:5]
	v_accvgpr_read_b32 v7, a185
	;; [unrolled: 7-line block ×5, first 2 shown]
	v_fma_f64 v[4:5], v[126:127], v[6:7], -v[4:5]
	v_add_f64 v[2:3], v[2:3], v[4:5]
	v_accvgpr_read_b32 v4, a198
	v_accvgpr_read_b32 v5, a199
	v_mul_f64 v[4:5], v[120:121], v[4:5]
	v_fma_f64 v[4:5], v[118:119], v[140:141], -v[4:5]
	v_add_f64 v[2:3], v[2:3], v[4:5]
	v_accvgpr_read_b32 v4, a200
	v_accvgpr_read_b32 v5, a201
	v_mul_f64 v[4:5], v[32:33], v[4:5]
	v_fma_f64 v[4:5], v[30:31], v[152:153], -v[4:5]
	v_add_f64 v[2:3], v[2:3], v[4:5]
	v_mul_f64 v[4:5], v[36:37], v[136:137]
	v_fma_f64 v[4:5], v[34:35], v[150:151], -v[4:5]
	v_add_f64 v[2:3], v[2:3], v[4:5]
	;; [unrolled: 3-line block ×22, first 2 shown]
	s_waitcnt vmcnt(2)
	v_add_f64 v[2:3], v[248:249], -v[2:3]
	s_waitcnt vmcnt(0)
	v_add_f64 v[4:5], v[246:247], -v[28:29]
	buffer_store_dword v3, off, s[0:3], 0 offset:84
	buffer_store_dword v2, off, s[0:3], 0 offset:80
	;; [unrolled: 1-line block ×4, first 2 shown]
	s_and_saveexec_b64 s[4:5], vcc
	s_cbranch_execz .LBB121_355
; %bb.354:
	v_accvgpr_read_b32 v5, a170
	buffer_load_dword v2, v5, s[0:3], 0 offen
	buffer_load_dword v3, v5, s[0:3], 0 offen offset:4
	buffer_load_dword v4, v5, s[0:3], 0 offen offset:8
	s_nop 0
	buffer_load_dword v5, v5, s[0:3], 0 offen offset:12
	v_accvgpr_read_b32 v6, a173
	buffer_store_dword v1, off, s[0:3], 0 offset:64
	buffer_store_dword v1, off, s[0:3], 0 offset:68
	;; [unrolled: 1-line block ×4, first 2 shown]
	s_waitcnt vmcnt(4)
	ds_write_b128 v6, v[2:5]
.LBB121_355:
	s_or_b64 exec, exec, s[4:5]
	s_waitcnt lgkmcnt(0)
	; wave barrier
	s_waitcnt lgkmcnt(0)
	buffer_load_dword v140, off, s[0:3], 0 offset:80
	buffer_load_dword v141, off, s[0:3], 0 offset:84
	buffer_load_dword v8, off, s[0:3], 0 offset:88
	buffer_load_dword v9, off, s[0:3], 0 offset:92
	buffer_load_dword v138, off, s[0:3], 0 offset:96
	buffer_load_dword v139, off, s[0:3], 0 offset:100
	buffer_load_dword v12, off, s[0:3], 0 offset:104
	buffer_load_dword v13, off, s[0:3], 0 offset:108
	buffer_load_dword v18, off, s[0:3], 0 offset:120
	buffer_load_dword v19, off, s[0:3], 0 offset:124
	buffer_load_dword v31, off, s[0:3], 0 offset:156
	buffer_load_dword v30, off, s[0:3], 0 offset:152
	buffer_load_dword v33, off, s[0:3], 0 offset:148
	buffer_load_dword v32, off, s[0:3], 0 offset:144
	buffer_load_dword v23, off, s[0:3], 0 offset:140
	buffer_load_dword v22, off, s[0:3], 0 offset:136
	buffer_load_dword v39, off, s[0:3], 0 offset:188
	buffer_load_dword v38, off, s[0:3], 0 offset:184
	buffer_load_dword v41, off, s[0:3], 0 offset:180
	buffer_load_dword v40, off, s[0:3], 0 offset:176
	buffer_load_dword v35, off, s[0:3], 0 offset:172
	buffer_load_dword v34, off, s[0:3], 0 offset:168
	buffer_load_dword v53, off, s[0:3], 0 offset:220
	buffer_load_dword v52, off, s[0:3], 0 offset:216
	buffer_load_dword v54, off, s[0:3], 0 offset:208
	buffer_load_dword v57, off, s[0:3], 0 offset:204
	buffer_load_dword v56, off, s[0:3], 0 offset:200
	buffer_load_dword v51, off, s[0:3], 0 offset:236
	buffer_load_dword v50, off, s[0:3], 0 offset:232
	buffer_load_dword v20, off, s[0:3], 0 offset:112
	buffer_load_dword v21, off, s[0:3], 0 offset:116
	buffer_load_dword v25, off, s[0:3], 0 offset:132
	buffer_load_dword v24, off, s[0:3], 0 offset:128
	buffer_load_dword v37, off, s[0:3], 0 offset:164
	buffer_load_dword v36, off, s[0:3], 0 offset:160
	buffer_load_dword v59, off, s[0:3], 0 offset:196
	buffer_load_dword v58, off, s[0:3], 0 offset:192
	buffer_load_dword v55, off, s[0:3], 0 offset:212
	buffer_load_dword v60, off, s[0:3], 0 offset:248
	buffer_load_dword v62, off, s[0:3], 0 offset:240
	buffer_load_dword v63, off, s[0:3], 0 offset:244
	buffer_load_dword v61, off, s[0:3], 0 offset:252
	ds_read_b128 v[146:149], v1 offset:992
	ds_read_b128 v[26:29], v1 offset:1008
	;; [unrolled: 1-line block ×10, first 2 shown]
	buffer_load_dword v105, off, s[0:3], 0 offset:228
	buffer_load_dword v104, off, s[0:3], 0 offset:224
	ds_read_b128 v[42:45], v1 offset:1152
	buffer_load_dword v65, off, s[0:3], 0 offset:284
	buffer_load_dword v64, off, s[0:3], 0 offset:280
	;; [unrolled: 1-line block ×6, first 2 shown]
	v_cmp_lt_u32_e32 vcc, 2, v0
	s_waitcnt vmcnt(46) lgkmcnt(10)
	v_mul_f64 v[2:3], v[146:147], v[8:9]
	v_fmac_f64_e32 v[2:3], v[148:149], v[140:141]
	v_add_f64 v[2:3], v[2:3], 0
	v_mul_f64 v[8:9], v[148:149], v[8:9]
	s_waitcnt vmcnt(42) lgkmcnt(9)
	v_mul_f64 v[4:5], v[26:27], v[12:13]
	v_fmac_f64_e32 v[4:5], v[28:29], v[138:139]
	s_waitcnt vmcnt(40) lgkmcnt(8)
	v_mul_f64 v[66:67], v[106:107], v[18:19]
	v_add_f64 v[2:3], v[2:3], v[4:5]
	s_waitcnt vmcnt(38) lgkmcnt(6)
	v_mul_f64 v[72:73], v[114:115], v[30:31]
	v_mul_f64 v[12:13], v[28:29], v[12:13]
	s_waitcnt vmcnt(36)
	v_fmac_f64_e32 v[72:73], v[116:117], v[32:33]
	v_fma_f64 v[254:255], v[146:147], v[140:141], -v[8:9]
	s_waitcnt vmcnt(34)
	v_mul_f64 v[68:69], v[110:111], v[22:23]
	v_fma_f64 v[28:29], v[26:27], v[138:139], -v[12:13]
	s_waitcnt vmcnt(32) lgkmcnt(4)
	v_mul_f64 v[76:77], v[162:163], v[38:39]
	v_mul_f64 v[18:19], v[108:109], v[18:19]
	s_waitcnt vmcnt(30)
	v_fmac_f64_e32 v[76:77], v[164:165], v[40:41]
	v_mul_f64 v[22:23], v[112:113], v[22:23]
	s_waitcnt vmcnt(28)
	v_mul_f64 v[74:75], v[154:155], v[34:35]
	v_mul_f64 v[34:35], v[156:157], v[34:35]
	s_waitcnt vmcnt(26) lgkmcnt(2)
	v_mul_f64 v[80:81], v[170:171], v[52:53]
	v_mul_f64 v[30:31], v[116:117], v[30:31]
	;; [unrolled: 1-line block ×3, first 2 shown]
	s_waitcnt vmcnt(23)
	v_mul_f64 v[78:79], v[166:167], v[56:57]
	s_waitcnt vmcnt(21) lgkmcnt(1)
	v_mul_f64 v[142:143], v[46:47], v[50:51]
	v_mul_f64 v[12:13], v[48:49], v[50:51]
	s_waitcnt vmcnt(19)
	v_fmac_f64_e32 v[66:67], v[108:109], v[20:21]
	v_add_f64 v[2:3], v[2:3], v[66:67]
	s_waitcnt vmcnt(17)
	v_fmac_f64_e32 v[68:69], v[112:113], v[24:25]
	v_add_f64 v[2:3], v[2:3], v[68:69]
	;; [unrolled: 3-line block ×3, first 2 shown]
	v_add_f64 v[2:3], v[2:3], v[74:75]
	s_waitcnt vmcnt(13)
	v_fmac_f64_e32 v[78:79], v[168:169], v[58:59]
	v_add_f64 v[2:3], v[2:3], v[76:77]
	s_waitcnt vmcnt(12)
	v_fmac_f64_e32 v[80:81], v[172:173], v[54:55]
	v_add_f64 v[2:3], v[2:3], v[78:79]
	v_add_f64 v[2:3], v[2:3], v[80:81]
	buffer_load_dword v185, off, s[0:3], 0 offset:260
	buffer_load_dword v184, off, s[0:3], 0 offset:256
	;; [unrolled: 1-line block ×52, first 2 shown]
	s_waitcnt vmcnt(58)
	v_fmac_f64_e32 v[142:143], v[48:49], v[104:105]
	v_add_f64 v[2:3], v[2:3], v[142:143]
	v_fma_f64 v[108:109], v[114:115], v[32:33], -v[30:31]
	s_waitcnt vmcnt(0)
	v_pk_mov_b32 v[118:119], v[4:5], v[4:5] op_sel:[0,1]
	buffer_load_dword v5, off, s[0:3], 0 offset:500
	buffer_load_dword v4, off, s[0:3], 0 offset:496
	v_accvgpr_write_b32 a179, v119
	v_accvgpr_write_b32 a178, v118
	s_waitcnt vmcnt(0)
	v_pk_mov_b32 v[120:121], v[4:5], v[4:5] op_sel:[0,1]
	buffer_load_dword v5, off, s[0:3], 0 offset:492
	buffer_load_dword v4, off, s[0:3], 0 offset:488
	v_accvgpr_write_b32 a181, v121
	v_accvgpr_write_b32 a180, v120
	;; [unrolled: 6-line block ×10, first 2 shown]
	s_waitcnt vmcnt(0)
	v_pk_mov_b32 v[182:183], v[4:5], v[4:5] op_sel:[0,1]
	buffer_load_dword v5, off, s[0:3], 0 offset:548
	buffer_load_dword v4, off, s[0:3], 0 offset:544
	ds_read_b128 v[174:177], v1 offset:1168
	ds_read_b128 v[190:193], v1 offset:1184
	ds_read_b128 v[194:197], v1 offset:1200
	ds_read_b128 v[198:201], v1 offset:1216
	ds_read_b128 v[202:205], v1 offset:1232
	ds_read_b128 v[210:213], v1 offset:1248
	ds_read_b128 v[214:217], v1 offset:1264
	buffer_load_dword v135, off, s[0:3], 0 offset:588
	buffer_load_dword v134, off, s[0:3], 0 offset:584
	v_accvgpr_write_b32 a195, v183
	v_accvgpr_write_b32 a194, v182
	s_waitcnt vmcnt(2)
	v_pk_mov_b32 v[186:187], v[4:5], v[4:5] op_sel:[0,1]
	s_waitcnt lgkmcnt(7)
	v_mul_f64 v[4:5], v[42:43], v[60:61]
	v_fmac_f64_e32 v[4:5], v[44:45], v[62:63]
	v_add_f64 v[2:3], v[2:3], v[4:5]
	s_waitcnt lgkmcnt(6)
	v_mul_f64 v[4:5], v[174:175], v[178:179]
	v_fmac_f64_e32 v[4:5], v[176:177], v[184:185]
	v_add_f64 v[2:3], v[2:3], v[4:5]
	s_waitcnt lgkmcnt(5)
	v_mul_f64 v[4:5], v[190:191], v[64:65]
	s_waitcnt vmcnt(0)
	v_pk_mov_b32 v[188:189], v[134:135], v[134:135] op_sel:[0,1]
	buffer_load_dword v135, off, s[0:3], 0 offset:580
	buffer_load_dword v134, off, s[0:3], 0 offset:576
	ds_read_b128 v[218:221], v1 offset:1280
	buffer_load_dword v136, off, s[0:3], 0 offset:600
	buffer_load_dword v137, off, s[0:3], 0 offset:604
	;; [unrolled: 1-line block ×4, first 2 shown]
	ds_read_b128 v[222:225], v1 offset:1296
	ds_read_b128 v[226:229], v1 offset:1312
	;; [unrolled: 1-line block ×4, first 2 shown]
	buffer_load_dword v7, off, s[0:3], 0 offset:620
	buffer_load_dword v6, off, s[0:3], 0 offset:616
	;; [unrolled: 1-line block ×4, first 2 shown]
	v_fmac_f64_e32 v[4:5], v[192:193], v[70:71]
	v_add_f64 v[2:3], v[2:3], v[4:5]
	s_waitcnt lgkmcnt(9)
	v_mul_f64 v[4:5], v[194:195], v[246:247]
	v_fmac_f64_e32 v[4:5], v[196:197], v[248:249]
	v_add_f64 v[2:3], v[2:3], v[4:5]
	s_waitcnt lgkmcnt(8)
	v_mul_f64 v[4:5], v[198:199], v[206:207]
	;; [unrolled: 4-line block ×8, first 2 shown]
	v_fmac_f64_e32 v[4:5], v[228:229], v[68:69]
	ds_read_b128 v[238:241], v1 offset:1360
	ds_read_b128 v[242:245], v1 offset:1376
	v_add_f64 v[2:3], v[2:3], v[4:5]
	s_waitcnt lgkmcnt(3)
	v_mul_f64 v[4:5], v[230:231], v[72:73]
	v_fmac_f64_e32 v[4:5], v[232:233], v[74:75]
	v_add_f64 v[2:3], v[2:3], v[4:5]
	s_waitcnt lgkmcnt(2)
	v_mul_f64 v[4:5], v[234:235], v[78:79]
	ds_read_b128 v[142:145], v1 offset:1392
	ds_read_b128 v[146:149], v1 offset:1408
	v_fmac_f64_e32 v[4:5], v[236:237], v[80:81]
	ds_read_b128 v[138:141], v1 offset:1424
	ds_read_b128 v[150:153], v1 offset:1440
	v_add_f64 v[2:3], v[2:3], v[4:5]
	s_waitcnt lgkmcnt(5)
	v_mul_f64 v[4:5], v[238:239], v[82:83]
	v_fmac_f64_e32 v[4:5], v[240:241], v[84:85]
	v_add_f64 v[2:3], v[2:3], v[4:5]
	s_waitcnt lgkmcnt(4)
	v_mul_f64 v[4:5], v[242:243], v[90:91]
	v_fmac_f64_e32 v[4:5], v[244:245], v[92:93]
	s_waitcnt lgkmcnt(3)
	v_mul_f64 v[14:15], v[142:143], v[126:127]
	v_add_f64 v[158:159], v[2:3], v[4:5]
	v_fmac_f64_e32 v[14:15], v[144:145], v[128:129]
	s_waitcnt lgkmcnt(2)
	v_mul_f64 v[4:5], v[146:147], v[118:119]
	s_waitcnt lgkmcnt(1)
	v_mul_f64 v[26:27], v[138:139], v[130:131]
	v_add_f64 v[14:15], v[158:159], v[14:15]
	v_fmac_f64_e32 v[4:5], v[148:149], v[120:121]
	v_fmac_f64_e32 v[26:27], v[140:141], v[132:133]
	ds_read_b128 v[130:133], v1 offset:1456
	ds_read_b128 v[126:129], v1 offset:1472
	v_add_f64 v[4:5], v[14:15], v[4:5]
	v_add_f64 v[4:5], v[4:5], v[26:27]
	s_waitcnt lgkmcnt(2)
	v_mul_f64 v[26:27], v[150:151], v[122:123]
	v_fmac_f64_e32 v[26:27], v[152:153], v[124:125]
	ds_read_b128 v[122:125], v1 offset:1488
	ds_read_b128 v[118:121], v1 offset:1504
	v_add_f64 v[4:5], v[4:5], v[26:27]
	s_waitcnt lgkmcnt(3)
	v_mul_f64 v[26:27], v[130:131], v[182:183]
	v_fmac_f64_e32 v[26:27], v[132:133], v[186:187]
	v_add_f64 v[4:5], v[4:5], v[26:27]
	s_waitcnt lgkmcnt(2)
	v_mul_f64 v[26:27], v[126:127], v[160:161]
	v_fma_f64 v[158:159], v[106:107], v[20:21], -v[18:19]
	v_fma_f64 v[106:107], v[110:111], v[24:25], -v[22:23]
	v_fmac_f64_e32 v[26:27], v[128:129], v[180:181]
	s_waitcnt lgkmcnt(1)
	v_mul_f64 v[110:111], v[122:123], v[188:189]
	v_add_f64 v[4:5], v[4:5], v[26:27]
	v_fma_f64 v[18:19], v[170:171], v[54:55], -v[52:53]
	v_accvgpr_write_b32 a197, v187
	s_waitcnt vmcnt(8)
	v_fmac_f64_e32 v[110:111], v[124:125], v[134:135]
	v_add_f64 v[4:5], v[4:5], v[110:111]
	v_fma_f64 v[110:111], v[154:155], v[36:37], -v[34:35]
	ds_read_b128 v[34:37], v1 offset:1520
	buffer_load_dword v155, off, s[0:3], 0 offset:636
	buffer_load_dword v154, off, s[0:3], 0 offset:632
	s_waitcnt vmcnt(8) lgkmcnt(1)
	v_mul_f64 v[112:113], v[118:119], v[136:137]
	buffer_load_dword v161, off, s[0:3], 0 offset:628
	buffer_load_dword v160, off, s[0:3], 0 offset:624
	s_waitcnt vmcnt(8)
	v_fmac_f64_e32 v[112:113], v[120:121], v[10:11]
	v_add_f64 v[112:113], v[4:5], v[112:113]
	v_mul_f64 v[4:5], v[164:165], v[38:39]
	v_fma_f64 v[180:181], v[162:163], v[40:41], -v[4:5]
	buffer_load_dword v156, off, s[0:3], 0 offset:664
	buffer_load_dword v30, off, s[0:3], 0 offset:656
	;; [unrolled: 1-line block ×8, first 2 shown]
	v_mul_f64 v[38:39], v[168:169], v[56:57]
	v_fma_f64 v[20:21], v[166:167], v[58:59], -v[38:39]
	ds_read_b128 v[38:41], v1 offset:1536
	buffer_load_dword v167, off, s[0:3], 0 offset:684
	buffer_load_dword v166, off, s[0:3], 0 offset:680
	;; [unrolled: 1-line block ×8, first 2 shown]
	s_waitcnt vmcnt(22) lgkmcnt(1)
	v_mul_f64 v[8:9], v[34:35], v[6:7]
	v_accvgpr_write_b32 a203, v137
	s_waitcnt vmcnt(20)
	v_fmac_f64_e32 v[8:9], v[36:37], v[16:17]
	v_accvgpr_write_b32 a202, v136
	v_pk_mov_b32 v[136:137], v[16:17], v[16:17] op_sel:[0,1]
	v_add_f64 v[8:9], v[112:113], v[8:9]
	v_mul_f64 v[16:17], v[176:177], v[178:179]
	buffer_load_dword v177, off, s[0:3], 0 offset:716
	buffer_load_dword v176, off, s[0:3], 0 offset:712
	;; [unrolled: 1-line block ×8, first 2 shown]
	v_accvgpr_write_b32 a199, v189
	v_accvgpr_write_b32 a196, v186
	;; [unrolled: 1-line block ×3, first 2 shown]
	v_fma_f64 v[16:17], v[174:175], v[184:185], -v[16:17]
	buffer_load_dword v174, off, s[0:3], 0 offset:760
	buffer_load_dword v187, off, s[0:3], 0 offset:748
	buffer_load_dword v186, off, s[0:3], 0 offset:744
	buffer_load_dword v189, off, s[0:3], 0 offset:740
	buffer_load_dword v188, off, s[0:3], 0 offset:736
	buffer_load_dword v184, off, s[0:3], 0 offset:752
	buffer_load_dword v175, off, s[0:3], 0 offset:764
	buffer_load_dword v185, off, s[0:3], 0 offset:756
	v_mul_f64 v[44:45], v[44:45], v[60:61]
	v_accvgpr_write_b32 a205, v11
	v_fma_f64 v[14:15], v[46:47], v[104:105], -v[12:13]
	v_fma_f64 v[12:13], v[42:43], v[62:63], -v[44:45]
	v_mul_f64 v[42:43], v[192:193], v[64:65]
	v_accvgpr_write_b32 a204, v10
	v_fma_f64 v[10:11], v[190:191], v[70:71], -v[42:43]
	buffer_load_dword v191, off, s[0:3], 0 offset:780
	buffer_load_dword v190, off, s[0:3], 0 offset:776
	;; [unrolled: 1-line block ×4, first 2 shown]
	v_mul_f64 v[26:27], v[196:197], v[246:247]
	v_mul_f64 v[42:43], v[200:201], v[206:207]
	v_fma_f64 v[26:27], v[194:195], v[248:249], -v[26:27]
	v_fma_f64 v[248:249], v[198:199], v[208:209], -v[42:43]
	buffer_load_dword v196, off, s[0:3], 0 offset:792
	buffer_load_dword v198, off, s[0:3], 0 offset:784
	;; [unrolled: 1-line block ×4, first 2 shown]
	v_mul_f64 v[42:43], v[204:205], v[250:251]
	v_fma_f64 v[250:251], v[202:203], v[252:253], -v[42:43]
	buffer_load_dword v195, off, s[0:3], 0 offset:828
	buffer_load_dword v201, off, s[0:3], 0 offset:812
	;; [unrolled: 1-line block ×12, first 2 shown]
	ds_read_b128 v[42:45], v1 offset:1552
	v_mul_f64 v[46:47], v[212:213], v[96:97]
	v_accvgpr_write_b32 a201, v135
	v_fma_f64 v[252:253], v[210:211], v[98:99], -v[46:47]
	v_mul_f64 v[46:47], v[216:217], v[100:101]
	v_accvgpr_write_b32 a200, v134
	v_pk_mov_b32 v[134:135], v[6:7], v[6:7] op_sel:[0,1]
	buffer_load_dword v210, off, s[0:3], 0 offset:856
	buffer_load_dword v212, off, s[0:3], 0 offset:848
	;; [unrolled: 1-line block ×4, first 2 shown]
	v_fma_f64 v[6:7], v[214:215], v[102:103], -v[46:47]
	ds_read_b128 v[46:49], v1 offset:1568
	ds_read_b128 v[54:57], v1 offset:1600
	v_mul_f64 v[66:67], v[228:229], v[66:67]
	v_fma_f64 v[4:5], v[226:227], v[68:69], -v[66:67]
	v_mul_f64 v[70:71], v[232:233], v[72:73]
	v_fma_f64 v[232:233], v[230:231], v[74:75], -v[70:71]
	ds_read_b128 v[70:73], v1 offset:1664
	ds_read_b128 v[66:69], v1 offset:1648
	s_waitcnt vmcnt(58) lgkmcnt(5)
	v_mul_f64 v[50:51], v[38:39], v[154:155]
	s_waitcnt vmcnt(56)
	v_fmac_f64_e32 v[50:51], v[40:41], v[160:161]
	v_add_f64 v[8:9], v[8:9], v[50:51]
	ds_read_b128 v[50:53], v1 offset:1584
	s_waitcnt vmcnt(52) lgkmcnt(5)
	v_mul_f64 v[24:25], v[42:43], v[162:163]
	s_waitcnt vmcnt(50)
	v_fmac_f64_e32 v[24:25], v[44:45], v[164:165]
	v_add_f64 v[8:9], v[8:9], v[24:25]
	s_waitcnt vmcnt(49) lgkmcnt(4)
	v_mul_f64 v[24:25], v[46:47], v[156:157]
	s_waitcnt vmcnt(48)
	v_fmac_f64_e32 v[24:25], v[48:49], v[30:31]
	s_waitcnt vmcnt(46) lgkmcnt(0)
	v_mul_f64 v[58:59], v[50:51], v[166:167]
	v_add_f64 v[8:9], v[8:9], v[24:25]
	s_waitcnt vmcnt(44)
	v_fmac_f64_e32 v[58:59], v[52:53], v[170:171]
	v_add_f64 v[8:9], v[8:9], v[58:59]
	v_mul_f64 v[58:59], v[224:225], v[88:89]
	v_fma_f64 v[222:223], v[222:223], v[94:95], -v[58:59]
	ds_read_b128 v[58:61], v1 offset:1616
	s_waitcnt vmcnt(41)
	v_mul_f64 v[62:63], v[54:55], v[168:169]
	s_waitcnt vmcnt(40)
	v_fmac_f64_e32 v[62:63], v[56:57], v[172:173]
	v_add_f64 v[8:9], v[8:9], v[62:63]
	ds_read_b128 v[62:65], v1 offset:1632
	s_waitcnt vmcnt(38) lgkmcnt(1)
	v_mul_f64 v[22:23], v[58:59], v[176:177]
	s_waitcnt vmcnt(36)
	v_fmac_f64_e32 v[22:23], v[60:61], v[112:113]
	v_add_f64 v[8:9], v[8:9], v[22:23]
	v_mul_f64 v[24:25], v[220:221], v[76:77]
	s_waitcnt vmcnt(34) lgkmcnt(0)
	v_mul_f64 v[22:23], v[62:63], v[178:179]
	s_waitcnt vmcnt(32)
	v_fmac_f64_e32 v[22:23], v[64:65], v[182:183]
	v_add_f64 v[8:9], v[8:9], v[22:23]
	s_waitcnt vmcnt(29)
	v_mul_f64 v[22:23], v[66:67], v[186:187]
	s_waitcnt vmcnt(27)
	v_fmac_f64_e32 v[22:23], v[68:69], v[188:189]
	ds_read_b128 v[74:77], v1 offset:1680
	v_add_f64 v[8:9], v[8:9], v[22:23]
	s_waitcnt vmcnt(25)
	v_mul_f64 v[22:23], v[70:71], v[174:175]
	s_waitcnt vmcnt(24)
	v_fmac_f64_e32 v[22:23], v[72:73], v[184:185]
	v_add_f64 v[8:9], v[8:9], v[22:23]
	v_mul_f64 v[22:23], v[236:237], v[78:79]
	v_fma_f64 v[2:3], v[234:235], v[80:81], -v[22:23]
	ds_read_b128 v[78:81], v1 offset:1696
	s_waitcnt vmcnt(22) lgkmcnt(1)
	v_mul_f64 v[22:23], v[74:75], v[190:191]
	s_waitcnt vmcnt(20)
	v_fmac_f64_e32 v[22:23], v[76:77], v[192:193]
	v_add_f64 v[22:23], v[8:9], v[22:23]
	v_mul_f64 v[8:9], v[240:241], v[82:83]
	v_fma_f64 v[8:9], v[238:239], v[84:85], -v[8:9]
	ds_read_b128 v[82:85], v1 offset:1712
	s_waitcnt vmcnt(17) lgkmcnt(1)
	v_mul_f64 v[32:33], v[78:79], v[196:197]
	v_fma_f64 v[24:25], v[218:219], v[86:87], -v[24:25]
	s_waitcnt vmcnt(16)
	v_fmac_f64_e32 v[32:33], v[80:81], v[198:199]
	ds_read_b128 v[86:89], v1 offset:1728
	v_add_f64 v[32:33], v[22:23], v[32:33]
	v_mul_f64 v[22:23], v[244:245], v[90:91]
	v_fma_f64 v[22:23], v[242:243], v[92:93], -v[22:23]
	ds_read_b128 v[90:93], v1 offset:1744
	s_waitcnt vmcnt(13) lgkmcnt(2)
	v_mul_f64 v[94:95], v[82:83], v[200:201]
	s_waitcnt vmcnt(11)
	v_fmac_f64_e32 v[94:95], v[84:85], v[206:207]
	v_add_f64 v[32:33], v[32:33], v[94:95]
	s_waitcnt vmcnt(10) lgkmcnt(1)
	v_mul_f64 v[94:95], v[86:87], v[194:195]
	s_waitcnt vmcnt(8)
	v_fmac_f64_e32 v[94:95], v[88:89], v[204:205]
	v_add_f64 v[32:33], v[32:33], v[94:95]
	;; [unrolled: 5-line block ×3, first 2 shown]
	ds_read_b128 v[94:97], v1 offset:1760
	buffer_load_dword v215, off, s[0:3], 0 offset:876
	buffer_load_dword v214, off, s[0:3], 0 offset:872
	;; [unrolled: 1-line block ×4, first 2 shown]
	s_waitcnt vmcnt(5) lgkmcnt(0)
	v_mul_f64 v[98:99], v[94:95], v[210:211]
	s_waitcnt vmcnt(4)
	v_fmac_f64_e32 v[98:99], v[96:97], v[212:213]
	v_add_f64 v[32:33], v[32:33], v[98:99]
	ds_read_b128 v[98:101], v1 offset:1776
	buffer_load_dword v218, off, s[0:3], 0 offset:888
	buffer_load_dword v219, off, s[0:3], 0 offset:892
	;; [unrolled: 1-line block ×4, first 2 shown]
	s_waitcnt vmcnt(6) lgkmcnt(0)
	v_mul_f64 v[102:103], v[98:99], v[214:215]
	s_waitcnt vmcnt(4)
	v_fmac_f64_e32 v[102:103], v[100:101], v[216:217]
	v_add_f64 v[32:33], v[32:33], v[102:103]
	ds_read_b128 v[102:105], v1 offset:1792
	buffer_load_dword v235, off, s[0:3], 0 offset:908
	buffer_load_dword v234, off, s[0:3], 0 offset:904
	buffer_load_dword v237, off, s[0:3], 0 offset:900
	buffer_load_dword v236, off, s[0:3], 0 offset:896
	ds_read_b128 v[224:227], v1 offset:1808
	buffer_load_dword v238, off, s[0:3], 0 offset:920
	buffer_load_dword v239, off, s[0:3], 0 offset:924
	buffer_load_dword v240, off, s[0:3], 0 offset:912
	buffer_load_dword v241, off, s[0:3], 0 offset:916
	;; [unrolled: 5-line block ×3, first 2 shown]
	s_waitcnt vmcnt(14) lgkmcnt(2)
	v_mul_f64 v[114:115], v[102:103], v[218:219]
	s_waitcnt vmcnt(12)
	v_fmac_f64_e32 v[114:115], v[104:105], v[220:221]
	v_add_f64 v[32:33], v[32:33], v[114:115]
	s_waitcnt vmcnt(10) lgkmcnt(1)
	v_mul_f64 v[114:115], v[224:225], v[234:235]
	s_waitcnt vmcnt(8)
	v_fmac_f64_e32 v[114:115], v[226:227], v[236:237]
	v_add_f64 v[32:33], v[32:33], v[114:115]
	;; [unrolled: 5-line block ×3, first 2 shown]
	ds_read_b128 v[114:117], v1 offset:1840
	s_waitcnt vmcnt(2) lgkmcnt(0)
	v_mul_f64 v[242:243], v[114:115], v[244:245]
	s_waitcnt vmcnt(0)
	v_fmac_f64_e32 v[242:243], v[116:117], v[246:247]
	v_add_f64 v[242:243], v[32:33], v[242:243]
	v_add_f64 v[32:33], v[254:255], 0
	;; [unrolled: 1-line block ×21, first 2 shown]
	buffer_load_dword v222, off, s[0:3], 0 offset:64
	buffer_load_dword v223, off, s[0:3], 0 offset:68
	;; [unrolled: 1-line block ×4, first 2 shown]
	v_add_f64 v[4:5], v[6:7], v[4:5]
	v_add_f64 v[4:5], v[4:5], v[232:233]
	;; [unrolled: 1-line block ×3, first 2 shown]
	v_accvgpr_read_b32 v4, a174
	v_accvgpr_read_b32 v5, a175
	;; [unrolled: 1-line block ×3, first 2 shown]
	v_add_f64 v[2:3], v[254:255], v[8:9]
	v_mul_f64 v[4:5], v[144:145], v[4:5]
	v_accvgpr_read_b32 v7, a177
	v_add_f64 v[2:3], v[2:3], v[22:23]
	v_fma_f64 v[4:5], v[142:143], v[6:7], -v[4:5]
	v_add_f64 v[2:3], v[2:3], v[4:5]
	v_accvgpr_read_b32 v4, a178
	v_accvgpr_read_b32 v5, a179
	v_accvgpr_read_b32 v6, a180
	v_mul_f64 v[4:5], v[148:149], v[4:5]
	v_accvgpr_read_b32 v7, a181
	v_fma_f64 v[4:5], v[146:147], v[6:7], -v[4:5]
	v_add_f64 v[2:3], v[2:3], v[4:5]
	v_accvgpr_read_b32 v4, a182
	v_accvgpr_read_b32 v5, a183
	v_accvgpr_read_b32 v6, a184
	v_mul_f64 v[4:5], v[140:141], v[4:5]
	v_accvgpr_read_b32 v7, a185
	;; [unrolled: 7-line block ×7, first 2 shown]
	v_fma_f64 v[4:5], v[118:119], v[6:7], -v[4:5]
	v_add_f64 v[2:3], v[2:3], v[4:5]
	v_mul_f64 v[4:5], v[36:37], v[134:135]
	v_fma_f64 v[4:5], v[34:35], v[136:137], -v[4:5]
	v_add_f64 v[2:3], v[2:3], v[4:5]
	v_mul_f64 v[4:5], v[40:41], v[154:155]
	v_fma_f64 v[4:5], v[38:39], v[160:161], -v[4:5]
	v_add_f64 v[2:3], v[2:3], v[4:5]
	v_mul_f64 v[4:5], v[44:45], v[162:163]
	v_fma_f64 v[4:5], v[42:43], v[164:165], -v[4:5]
	v_add_f64 v[2:3], v[2:3], v[4:5]
	v_mul_f64 v[4:5], v[48:49], v[156:157]
	v_fma_f64 v[4:5], v[46:47], v[30:31], -v[4:5]
	v_add_f64 v[2:3], v[2:3], v[4:5]
	v_mul_f64 v[4:5], v[52:53], v[166:167]
	v_fma_f64 v[4:5], v[50:51], v[170:171], -v[4:5]
	v_add_f64 v[2:3], v[2:3], v[4:5]
	v_mul_f64 v[4:5], v[56:57], v[168:169]
	v_fma_f64 v[4:5], v[54:55], v[172:173], -v[4:5]
	v_add_f64 v[2:3], v[2:3], v[4:5]
	v_mul_f64 v[4:5], v[60:61], v[176:177]
	v_fma_f64 v[4:5], v[58:59], v[112:113], -v[4:5]
	v_add_f64 v[2:3], v[2:3], v[4:5]
	v_mul_f64 v[4:5], v[64:65], v[178:179]
	v_fma_f64 v[4:5], v[62:63], v[182:183], -v[4:5]
	v_add_f64 v[2:3], v[2:3], v[4:5]
	v_mul_f64 v[4:5], v[68:69], v[186:187]
	v_fma_f64 v[4:5], v[66:67], v[188:189], -v[4:5]
	v_add_f64 v[2:3], v[2:3], v[4:5]
	v_mul_f64 v[4:5], v[72:73], v[174:175]
	v_fma_f64 v[4:5], v[70:71], v[184:185], -v[4:5]
	v_add_f64 v[2:3], v[2:3], v[4:5]
	v_mul_f64 v[4:5], v[76:77], v[190:191]
	v_fma_f64 v[4:5], v[74:75], v[192:193], -v[4:5]
	v_add_f64 v[2:3], v[2:3], v[4:5]
	v_mul_f64 v[4:5], v[80:81], v[196:197]
	v_fma_f64 v[4:5], v[78:79], v[198:199], -v[4:5]
	v_add_f64 v[2:3], v[2:3], v[4:5]
	v_mul_f64 v[4:5], v[84:85], v[200:201]
	v_fma_f64 v[4:5], v[82:83], v[206:207], -v[4:5]
	v_add_f64 v[2:3], v[2:3], v[4:5]
	v_mul_f64 v[4:5], v[88:89], v[194:195]
	v_fma_f64 v[4:5], v[86:87], v[204:205], -v[4:5]
	v_add_f64 v[2:3], v[2:3], v[4:5]
	v_mul_f64 v[4:5], v[92:93], v[202:203]
	v_fma_f64 v[4:5], v[90:91], v[208:209], -v[4:5]
	v_add_f64 v[2:3], v[2:3], v[4:5]
	v_mul_f64 v[4:5], v[96:97], v[210:211]
	v_fma_f64 v[4:5], v[94:95], v[212:213], -v[4:5]
	v_add_f64 v[2:3], v[2:3], v[4:5]
	v_mul_f64 v[4:5], v[100:101], v[214:215]
	v_fma_f64 v[4:5], v[98:99], v[216:217], -v[4:5]
	v_add_f64 v[2:3], v[2:3], v[4:5]
	v_mul_f64 v[4:5], v[104:105], v[218:219]
	v_fma_f64 v[4:5], v[102:103], v[220:221], -v[4:5]
	v_add_f64 v[2:3], v[2:3], v[4:5]
	v_mul_f64 v[4:5], v[226:227], v[234:235]
	v_fma_f64 v[4:5], v[224:225], v[236:237], -v[4:5]
	v_add_f64 v[2:3], v[2:3], v[4:5]
	v_mul_f64 v[4:5], v[230:231], v[238:239]
	v_fma_f64 v[4:5], v[228:229], v[240:241], -v[4:5]
	v_add_f64 v[2:3], v[2:3], v[4:5]
	v_mul_f64 v[4:5], v[116:117], v[244:245]
	v_fma_f64 v[4:5], v[114:115], v[246:247], -v[4:5]
	v_add_f64 v[2:3], v[2:3], v[4:5]
	s_waitcnt vmcnt(2)
	v_add_f64 v[2:3], v[222:223], -v[2:3]
	s_waitcnt vmcnt(0)
	v_add_f64 v[4:5], v[248:249], -v[242:243]
	buffer_store_dword v3, off, s[0:3], 0 offset:68
	buffer_store_dword v2, off, s[0:3], 0 offset:64
	;; [unrolled: 1-line block ×4, first 2 shown]
	s_and_saveexec_b64 s[4:5], vcc
	s_cbranch_execz .LBB121_357
; %bb.356:
	v_accvgpr_read_b32 v1, a171
	buffer_load_dword v2, v1, s[0:3], 0 offen
	buffer_load_dword v3, v1, s[0:3], 0 offen offset:4
	buffer_load_dword v4, v1, s[0:3], 0 offen offset:8
	;; [unrolled: 1-line block ×3, first 2 shown]
	v_mov_b32_e32 v1, 0
	v_accvgpr_read_b32 v6, a173
	buffer_store_dword v1, off, s[0:3], 0 offset:48
	buffer_store_dword v1, off, s[0:3], 0 offset:52
	;; [unrolled: 1-line block ×4, first 2 shown]
	s_waitcnt vmcnt(4)
	ds_write_b128 v6, v[2:5]
.LBB121_357:
	s_or_b64 exec, exec, s[4:5]
	s_waitcnt lgkmcnt(0)
	; wave barrier
	s_waitcnt lgkmcnt(0)
	buffer_load_dword v2, off, s[0:3], 0 offset:64
	buffer_load_dword v3, off, s[0:3], 0 offset:68
	;; [unrolled: 1-line block ×42, first 2 shown]
	v_mov_b32_e32 v236, 0
	buffer_load_dword v83, off, s[0:3], 0 offset:212
	buffer_load_dword v82, off, s[0:3], 0 offset:208
	;; [unrolled: 1-line block ×7, first 2 shown]
	ds_read_b128 v[10:13], v236 offset:976
	ds_read_b128 v[22:25], v236 offset:992
	;; [unrolled: 1-line block ×11, first 2 shown]
	v_mov_b32_e32 v237, v0
	v_cmp_lt_u32_e32 vcc, 1, v0
	s_waitcnt vmcnt(45) lgkmcnt(10)
	v_mul_f64 v[56:57], v[10:11], v[4:5]
	v_fmac_f64_e32 v[56:57], v[12:13], v[2:3]
	v_add_f64 v[56:57], v[56:57], 0
	v_mul_f64 v[4:5], v[12:13], v[4:5]
	s_waitcnt vmcnt(41) lgkmcnt(9)
	v_mul_f64 v[58:59], v[22:23], v[8:9]
	v_fmac_f64_e32 v[58:59], v[24:25], v[234:235]
	s_waitcnt vmcnt(39) lgkmcnt(8)
	v_mul_f64 v[60:61], v[98:99], v[14:15]
	v_add_f64 v[56:57], v[56:57], v[58:59]
	s_waitcnt vmcnt(37) lgkmcnt(6)
	v_mul_f64 v[64:65], v[106:107], v[26:27]
	v_mul_f64 v[8:9], v[24:25], v[8:9]
	s_waitcnt vmcnt(35)
	v_fmac_f64_e32 v[64:65], v[108:109], v[28:29]
	v_mul_f64 v[14:15], v[100:101], v[14:15]
	s_waitcnt vmcnt(33)
	v_mul_f64 v[62:63], v[102:103], v[18:19]
	v_mul_f64 v[18:19], v[104:105], v[18:19]
	s_waitcnt vmcnt(31) lgkmcnt(4)
	v_mul_f64 v[68:69], v[114:115], v[34:35]
	v_mul_f64 v[26:27], v[108:109], v[26:27]
	s_waitcnt vmcnt(29)
	v_fmac_f64_e32 v[68:69], v[116:117], v[36:37]
	v_mul_f64 v[34:35], v[116:117], v[34:35]
	s_waitcnt vmcnt(27)
	v_mul_f64 v[66:67], v[110:111], v[30:31]
	s_waitcnt vmcnt(25) lgkmcnt(2)
	v_mul_f64 v[74:75], v[152:153], v[38:39]
	s_waitcnt vmcnt(22)
	v_mul_f64 v[70:71], v[148:149], v[44:45]
	s_waitcnt vmcnt(20) lgkmcnt(1)
	v_mul_f64 v[126:127], v[158:159], v[42:43]
	s_waitcnt vmcnt(18)
	v_fmac_f64_e32 v[60:61], v[100:101], v[16:17]
	v_add_f64 v[56:57], v[56:57], v[60:61]
	s_waitcnt vmcnt(16)
	v_fmac_f64_e32 v[62:63], v[104:105], v[20:21]
	v_add_f64 v[56:57], v[56:57], v[62:63]
	;; [unrolled: 3-line block ×3, first 2 shown]
	v_add_f64 v[56:57], v[56:57], v[66:67]
	s_waitcnt vmcnt(12)
	v_fmac_f64_e32 v[70:71], v[150:151], v[46:47]
	v_add_f64 v[56:57], v[56:57], v[68:69]
	s_waitcnt vmcnt(11)
	v_fmac_f64_e32 v[74:75], v[154:155], v[40:41]
	v_add_f64 v[56:57], v[56:57], v[70:71]
	v_add_f64 v[128:129], v[56:57], v[74:75]
	buffer_load_dword v72, off, s[0:3], 0 offset:248
	buffer_load_dword v187, off, s[0:3], 0 offset:244
	buffer_load_dword v186, off, s[0:3], 0 offset:240
	buffer_load_dword v189, off, s[0:3], 0 offset:300
	buffer_load_dword v188, off, s[0:3], 0 offset:296
	buffer_load_dword v191, off, s[0:3], 0 offset:292
	buffer_load_dword v190, off, s[0:3], 0 offset:288
	buffer_load_dword v197, off, s[0:3], 0 offset:284
	buffer_load_dword v196, off, s[0:3], 0 offset:280
	buffer_load_dword v247, off, s[0:3], 0 offset:276
	buffer_load_dword v246, off, s[0:3], 0 offset:272
	buffer_load_dword v249, off, s[0:3], 0 offset:332
	buffer_load_dword v248, off, s[0:3], 0 offset:328
	buffer_load_dword v97, off, s[0:3], 0 offset:324
	buffer_load_dword v96, off, s[0:3], 0 offset:320
	buffer_load_dword v251, off, s[0:3], 0 offset:316
	buffer_load_dword v250, off, s[0:3], 0 offset:312
	buffer_load_dword v253, off, s[0:3], 0 offset:308
	buffer_load_dword v252, off, s[0:3], 0 offset:304
	buffer_load_dword v57, off, s[0:3], 0 offset:364
	buffer_load_dword v56, off, s[0:3], 0 offset:360
	buffer_load_dword v59, off, s[0:3], 0 offset:356
	buffer_load_dword v58, off, s[0:3], 0 offset:352
	buffer_load_dword v85, off, s[0:3], 0 offset:348
	buffer_load_dword v84, off, s[0:3], 0 offset:344
	buffer_load_dword v95, off, s[0:3], 0 offset:340
	buffer_load_dword v94, off, s[0:3], 0 offset:336
	buffer_load_dword v63, off, s[0:3], 0 offset:396
	buffer_load_dword v62, off, s[0:3], 0 offset:392
	buffer_load_dword v65, off, s[0:3], 0 offset:388
	buffer_load_dword v64, off, s[0:3], 0 offset:384
	buffer_load_dword v61, off, s[0:3], 0 offset:380
	buffer_load_dword v60, off, s[0:3], 0 offset:376
	buffer_load_dword v71, off, s[0:3], 0 offset:372
	buffer_load_dword v70, off, s[0:3], 0 offset:368
	buffer_load_dword v75, off, s[0:3], 0 offset:428
	buffer_load_dword v74, off, s[0:3], 0 offset:424
	buffer_load_dword v77, off, s[0:3], 0 offset:420
	buffer_load_dword v76, off, s[0:3], 0 offset:416
	buffer_load_dword v67, off, s[0:3], 0 offset:412
	buffer_load_dword v66, off, s[0:3], 0 offset:408
	buffer_load_dword v69, off, s[0:3], 0 offset:404
	buffer_load_dword v68, off, s[0:3], 0 offset:400
	buffer_load_dword v87, off, s[0:3], 0 offset:460
	buffer_load_dword v86, off, s[0:3], 0 offset:456
	buffer_load_dword v89, off, s[0:3], 0 offset:452
	buffer_load_dword v88, off, s[0:3], 0 offset:448
	buffer_load_dword v79, off, s[0:3], 0 offset:444
	buffer_load_dword v78, off, s[0:3], 0 offset:440
	buffer_load_dword v81, off, s[0:3], 0 offset:436
	buffer_load_dword v80, off, s[0:3], 0 offset:432
	buffer_load_dword v91, off, s[0:3], 0 offset:492
	buffer_load_dword v90, off, s[0:3], 0 offset:488
	s_waitcnt vmcnt(58)
	v_fmac_f64_e32 v[126:127], v[160:161], v[82:83]
	v_add_f64 v[126:127], v[128:129], v[126:127]
	s_waitcnt lgkmcnt(0)
	v_mul_f64 v[128:129], v[162:163], v[48:49]
	v_fmac_f64_e32 v[128:129], v[164:165], v[50:51]
	v_add_f64 v[126:127], v[126:127], v[128:129]
	v_fma_f64 v[100:101], v[106:107], v[28:29], -v[26:27]
	s_waitcnt vmcnt(0)
	v_pk_mov_b32 v[120:121], v[90:91], v[90:91] op_sel:[0,1]
	buffer_load_dword v91, off, s[0:3], 0 offset:484
	buffer_load_dword v90, off, s[0:3], 0 offset:480
	s_waitcnt vmcnt(0)
	v_pk_mov_b32 v[122:123], v[90:91], v[90:91] op_sel:[0,1]
	buffer_load_dword v91, off, s[0:3], 0 offset:476
	buffer_load_dword v90, off, s[0:3], 0 offset:472
	;; [unrolled: 1-line block ×6, first 2 shown]
	v_accvgpr_write_b32 a179, v123
	v_accvgpr_write_b32 a178, v122
	s_waitcnt vmcnt(0)
	v_pk_mov_b32 v[124:125], v[118:119], v[118:119] op_sel:[0,1]
	buffer_load_dword v119, off, s[0:3], 0 offset:516
	buffer_load_dword v118, off, s[0:3], 0 offset:512
	v_accvgpr_write_b32 a193, v125
	v_accvgpr_write_b32 a192, v124
	s_waitcnt vmcnt(0)
	v_pk_mov_b32 v[142:143], v[118:119], v[118:119] op_sel:[0,1]
	buffer_load_dword v119, off, s[0:3], 0 offset:508
	buffer_load_dword v118, off, s[0:3], 0 offset:504
	;; [unrolled: 6-line block ×7, first 2 shown]
	ds_read_b128 v[166:169], v236 offset:1152
	ds_read_b128 v[170:173], v236 offset:1168
	;; [unrolled: 1-line block ×6, first 2 shown]
	s_waitcnt lgkmcnt(5)
	v_mul_f64 v[128:129], v[166:167], v[72:73]
	v_fmac_f64_e32 v[128:129], v[168:169], v[186:187]
	v_add_f64 v[126:127], v[126:127], v[128:129]
	s_waitcnt lgkmcnt(4)
	v_mul_f64 v[128:129], v[170:171], v[54:55]
	v_fmac_f64_e32 v[128:129], v[172:173], v[52:53]
	v_add_f64 v[126:127], v[126:127], v[128:129]
	;; [unrolled: 4-line block ×5, first 2 shown]
	ds_read_b128 v[198:201], v236 offset:1248
	buffer_load_dword v255, off, s[0:3], 0 offset:572
	buffer_load_dword v254, off, s[0:3], 0 offset:568
	;; [unrolled: 1-line block ×4, first 2 shown]
	s_waitcnt lgkmcnt(1)
	v_mul_f64 v[132:133], v[192:193], v[248:249]
	v_fmac_f64_e32 v[132:133], v[194:195], v[96:97]
	ds_read_b128 v[202:205], v236 offset:1264
	buffer_load_dword v128, off, s[0:3], 0 offset:584
	buffer_load_dword v129, off, s[0:3], 0 offset:588
	v_add_f64 v[132:133], v[130:131], v[132:133]
	buffer_load_dword v130, off, s[0:3], 0 offset:576
	buffer_load_dword v131, off, s[0:3], 0 offset:580
	ds_read_b128 v[206:209], v236 offset:1280
	ds_read_b128 v[210:213], v236 offset:1296
	s_waitcnt lgkmcnt(3)
	v_mul_f64 v[134:135], v[198:199], v[84:85]
	v_fmac_f64_e32 v[134:135], v[200:201], v[94:95]
	s_waitcnt lgkmcnt(2)
	v_mul_f64 v[136:137], v[202:203], v[56:57]
	ds_read_b128 v[214:217], v236 offset:1312
	ds_read_b128 v[218:221], v236 offset:1328
	v_add_f64 v[134:135], v[132:133], v[134:135]
	v_fmac_f64_e32 v[136:137], v[204:205], v[58:59]
	v_add_f64 v[134:135], v[134:135], v[136:137]
	s_waitcnt lgkmcnt(3)
	v_mul_f64 v[136:137], v[206:207], v[60:61]
	v_fmac_f64_e32 v[136:137], v[208:209], v[70:71]
	v_add_f64 v[134:135], v[134:135], v[136:137]
	s_waitcnt lgkmcnt(2)
	v_mul_f64 v[136:137], v[210:211], v[62:63]
	buffer_load_dword v7, off, s[0:3], 0 offset:604
	buffer_load_dword v6, off, s[0:3], 0 offset:600
	;; [unrolled: 1-line block ×4, first 2 shown]
	ds_read_b128 v[222:225], v236 offset:1344
	ds_read_b128 v[226:229], v236 offset:1360
	v_fmac_f64_e32 v[136:137], v[212:213], v[64:65]
	s_waitcnt lgkmcnt(3)
	v_mul_f64 v[140:141], v[214:215], v[66:67]
	v_add_f64 v[138:139], v[134:135], v[136:137]
	v_fmac_f64_e32 v[140:141], v[216:217], v[68:69]
	v_add_f64 v[138:139], v[138:139], v[140:141]
	s_waitcnt lgkmcnt(2)
	v_mul_f64 v[140:141], v[218:219], v[74:75]
	ds_read_b128 v[230:233], v236 offset:1376
	ds_read_b128 v[238:241], v236 offset:1392
	v_fmac_f64_e32 v[140:141], v[220:221], v[76:77]
	v_add_f64 v[138:139], v[138:139], v[140:141]
	s_waitcnt lgkmcnt(3)
	v_mul_f64 v[140:141], v[222:223], v[78:79]
	v_fmac_f64_e32 v[140:141], v[224:225], v[80:81]
	v_fma_f64 v[136:137], v[22:23], v[234:235], -v[8:9]
	ds_read_b128 v[22:25], v236 offset:1408
	v_add_f64 v[138:139], v[138:139], v[140:141]
	s_waitcnt lgkmcnt(3)
	v_mul_f64 v[140:141], v[226:227], v[86:87]
	v_fmac_f64_e32 v[140:141], v[228:229], v[88:89]
	v_fma_f64 v[134:135], v[10:11], v[2:3], -v[4:5]
	s_waitcnt lgkmcnt(2)
	v_mul_f64 v[10:11], v[230:231], v[90:91]
	v_add_f64 v[138:139], v[138:139], v[140:141]
	v_fmac_f64_e32 v[10:11], v[232:233], v[92:93]
	s_waitcnt lgkmcnt(1)
	v_mul_f64 v[4:5], v[238:239], v[120:121]
	v_add_f64 v[10:11], v[138:139], v[10:11]
	v_fmac_f64_e32 v[4:5], v[240:241], v[122:123]
	v_pk_mov_b32 v[234:235], v[120:121], v[120:121] op_sel:[0,1]
	ds_read_b128 v[120:123], v236 offset:1424
	v_add_f64 v[4:5], v[10:11], v[4:5]
	s_waitcnt lgkmcnt(1)
	v_pk_mov_b32 v[8:9], v[22:23], v[22:23] op_sel:[0,1]
	v_pk_mov_b32 v[10:11], v[24:25], v[24:25] op_sel:[0,1]
	v_mul_f64 v[22:23], v[8:9], v[156:157]
	v_accvgpr_write_b32 a183, v11
	v_fmac_f64_e32 v[22:23], v[10:11], v[242:243]
	v_accvgpr_write_b32 a182, v10
	v_accvgpr_write_b32 a181, v9
	;; [unrolled: 1-line block ×3, first 2 shown]
	ds_read_b128 v[8:11], v236 offset:1440
	v_accvgpr_write_b32 a174, v238
	v_accvgpr_write_b32 a175, v239
	;; [unrolled: 1-line block ×4, first 2 shown]
	ds_read_b128 v[238:241], v236 offset:1456
	v_add_f64 v[4:5], v[4:5], v[22:23]
	s_waitcnt lgkmcnt(2)
	v_mul_f64 v[22:23], v[120:121], v[124:125]
	v_accvgpr_write_b32 a191, v123
	v_fmac_f64_e32 v[22:23], v[122:123], v[142:143]
	v_accvgpr_write_b32 a190, v122
	v_accvgpr_write_b32 a189, v121
	;; [unrolled: 1-line block ×3, first 2 shown]
	ds_read_b128 v[122:125], v236 offset:1472
	v_add_f64 v[4:5], v[4:5], v[22:23]
	s_waitcnt lgkmcnt(2)
	v_mul_f64 v[22:23], v[8:9], v[244:245]
	s_waitcnt vmcnt(12)
	v_fmac_f64_e32 v[22:23], v[10:11], v[118:119]
	v_accvgpr_write_b32 a204, v244
	v_add_f64 v[4:5], v[4:5], v[22:23]
	s_waitcnt lgkmcnt(1)
	v_mul_f64 v[22:23], v[238:239], v[144:145]
	v_fma_f64 v[138:139], v[98:99], v[16:17], -v[14:15]
	v_fma_f64 v[98:99], v[102:103], v[20:21], -v[18:19]
	v_accvgpr_write_b32 a205, v245
	ds_read_b128 v[242:245], v236 offset:1488
	v_fmac_f64_e32 v[22:23], v[240:241], v[146:147]
	s_waitcnt vmcnt(10) lgkmcnt(1)
	v_mul_f64 v[102:103], v[122:123], v[254:255]
	v_add_f64 v[4:5], v[4:5], v[22:23]
	s_waitcnt vmcnt(8)
	v_fmac_f64_e32 v[102:103], v[124:125], v[126:127]
	v_add_f64 v[102:103], v[4:5], v[102:103]
	v_mul_f64 v[4:5], v[112:113], v[30:31]
	v_fma_f64 v[104:105], v[110:111], v[32:33], -v[4:5]
	ds_read_b128 v[30:33], v236 offset:1504
	buffer_load_dword v121, off, s[0:3], 0 offset:620
	buffer_load_dword v120, off, s[0:3], 0 offset:616
	;; [unrolled: 1-line block ×8, first 2 shown]
	s_waitcnt vmcnt(14) lgkmcnt(1)
	v_mul_f64 v[106:107], v[242:243], v[128:129]
	s_waitcnt vmcnt(12)
	v_fmac_f64_e32 v[106:107], v[244:245], v[130:131]
	v_add_f64 v[102:103], v[102:103], v[106:107]
	v_fma_f64 v[106:107], v[114:115], v[36:37], -v[34:35]
	v_mul_f64 v[34:35], v[150:151], v[44:45]
	buffer_load_dword v151, off, s[0:3], 0 offset:628
	buffer_load_dword v150, off, s[0:3], 0 offset:624
	;; [unrolled: 1-line block ×4, first 2 shown]
	v_fma_f64 v[108:109], v[148:149], v[46:47], -v[34:35]
	v_mul_f64 v[34:35], v[154:155], v[38:39]
	v_fma_f64 v[26:27], v[152:153], v[40:41], -v[34:35]
	buffer_load_dword v148, off, s[0:3], 0 offset:680
	buffer_load_dword v153, off, s[0:3], 0 offset:668
	;; [unrolled: 1-line block ×8, first 2 shown]
	v_accvgpr_write_b32 a199, v11
	v_accvgpr_write_b32 a198, v10
	v_accvgpr_write_b32 a197, v9
	v_accvgpr_write_b32 a196, v8
	v_mul_f64 v[8:9], v[160:161], v[42:43]
	v_mul_f64 v[34:35], v[164:165], v[48:49]
	v_fma_f64 v[24:25], v[158:159], v[82:83], -v[8:9]
	v_fma_f64 v[16:17], v[162:163], v[50:51], -v[34:35]
	v_mul_f64 v[12:13], v[168:169], v[72:73]
	buffer_load_dword v159, off, s[0:3], 0 offset:716
	buffer_load_dword v163, off, s[0:3], 0 offset:700
	;; [unrolled: 1-line block ×6, first 2 shown]
	v_fma_f64 v[14:15], v[166:167], v[186:187], -v[12:13]
	buffer_load_dword v167, off, s[0:3], 0 offset:708
	buffer_load_dword v166, off, s[0:3], 0 offset:704
	v_mul_f64 v[34:35], v[172:173], v[54:55]
	v_fma_f64 v[12:13], v[170:171], v[52:53], -v[34:35]
	buffer_load_dword v160, off, s[0:3], 0 offset:744
	buffer_load_dword v171, off, s[0:3], 0 offset:732
	;; [unrolled: 1-line block ×8, first 2 shown]
	v_mul_f64 v[22:23], v[176:177], v[196:197]
	ds_read_b128 v[38:41], v236 offset:1520
	ds_read_b128 v[34:37], v236 offset:1536
	v_fma_f64 v[22:23], v[174:175], v[246:247], -v[22:23]
	buffer_load_dword v175, off, s[0:3], 0 offset:764
	buffer_load_dword v174, off, s[0:3], 0 offset:760
	;; [unrolled: 1-line block ×4, first 2 shown]
	v_mul_f64 v[42:43], v[180:181], v[188:189]
	v_fma_f64 v[246:247], v[178:179], v[190:191], -v[42:43]
	buffer_load_dword v178, off, s[0:3], 0 offset:776
	buffer_load_dword v180, off, s[0:3], 0 offset:768
	;; [unrolled: 1-line block ×4, first 2 shown]
	v_mul_f64 v[42:43], v[184:185], v[250:251]
	buffer_load_dword v185, off, s[0:3], 0 offset:796
	buffer_load_dword v184, off, s[0:3], 0 offset:792
	;; [unrolled: 1-line block ×8, first 2 shown]
	v_fma_f64 v[250:251], v[182:183], v[252:253], -v[42:43]
	v_mul_f64 v[42:43], v[194:195], v[248:249]
	v_fma_f64 v[10:11], v[192:193], v[96:97], -v[42:43]
	buffer_load_dword v182, off, s[0:3], 0 offset:840
	buffer_load_dword v195, off, s[0:3], 0 offset:828
	;; [unrolled: 1-line block ×8, first 2 shown]
	s_waitcnt vmcnt(62) lgkmcnt(2)
	v_mul_f64 v[44:45], v[30:31], v[6:7]
	s_waitcnt vmcnt(60)
	v_fmac_f64_e32 v[44:45], v[32:33], v[132:133]
	v_mul_f64 v[42:43], v[200:201], v[84:85]
	v_add_f64 v[20:21], v[102:103], v[44:45]
	v_fma_f64 v[252:253], v[198:199], v[94:95], -v[42:43]
	ds_read_b128 v[42:45], v236 offset:1552
	v_mul_f64 v[50:51], v[204:205], v[56:57]
	v_fma_f64 v[8:9], v[202:203], v[58:59], -v[50:51]
	ds_read_b128 v[50:53], v236 offset:1584
	v_accvgpr_write_b32 a207, v119
	v_mul_f64 v[62:63], v[212:213], v[62:63]
	ds_read_b128 v[54:57], v236 offset:1600
	v_accvgpr_write_b32 a206, v118
	v_pk_mov_b32 v[118:119], v[6:7], v[6:7] op_sel:[0,1]
	v_fma_f64 v[6:7], v[210:211], v[64:65], -v[62:63]
	v_mul_f64 v[66:67], v[216:217], v[66:67]
	v_fma_f64 v[198:199], v[214:215], v[68:69], -v[66:67]
	ds_read_b128 v[66:69], v236 offset:1648
	ds_read_b128 v[82:85], v236 offset:1712
	;; [unrolled: 1-line block ×3, first 2 shown]
	s_waitcnt vmcnt(58) lgkmcnt(7)
	v_mul_f64 v[46:47], v[38:39], v[120:121]
	s_waitcnt vmcnt(56)
	v_fmac_f64_e32 v[46:47], v[40:41], v[144:145]
	v_add_f64 v[20:21], v[20:21], v[46:47]
	s_waitcnt vmcnt(52) lgkmcnt(6)
	v_mul_f64 v[46:47], v[34:35], v[146:147]
	s_waitcnt vmcnt(50)
	v_fmac_f64_e32 v[46:47], v[36:37], v[150:151]
	v_add_f64 v[20:21], v[20:21], v[46:47]
	;; [unrolled: 5-line block ×3, first 2 shown]
	ds_read_b128 v[46:49], v236 offset:1568
	s_waitcnt vmcnt(41) lgkmcnt(5)
	v_mul_f64 v[58:59], v[50:51], v[148:149]
	s_waitcnt vmcnt(40)
	v_fmac_f64_e32 v[58:59], v[52:53], v[154:155]
	s_waitcnt lgkmcnt(0)
	v_mul_f64 v[18:19], v[46:47], v[152:153]
	v_fmac_f64_e32 v[18:19], v[48:49], v[156:157]
	v_add_f64 v[18:19], v[20:21], v[18:19]
	v_mul_f64 v[20:21], v[208:209], v[60:61]
	v_add_f64 v[18:19], v[18:19], v[58:59]
	ds_read_b128 v[58:61], v236 offset:1616
	s_waitcnt vmcnt(37)
	v_mul_f64 v[28:29], v[54:55], v[162:163]
	s_waitcnt vmcnt(35)
	v_fmac_f64_e32 v[28:29], v[56:57], v[164:165]
	v_add_f64 v[18:19], v[18:19], v[28:29]
	v_fma_f64 v[20:21], v[206:207], v[70:71], -v[20:21]
	s_waitcnt vmcnt(34) lgkmcnt(0)
	v_mul_f64 v[28:29], v[58:59], v[158:159]
	s_waitcnt vmcnt(32)
	v_fmac_f64_e32 v[28:29], v[60:61], v[166:167]
	v_add_f64 v[18:19], v[18:19], v[28:29]
	s_waitcnt vmcnt(29)
	v_mul_f64 v[28:29], v[62:63], v[170:171]
	ds_read_b128 v[70:73], v236 offset:1664
	s_waitcnt vmcnt(27)
	v_fmac_f64_e32 v[28:29], v[64:65], v[172:173]
	v_add_f64 v[18:19], v[18:19], v[28:29]
	s_waitcnt vmcnt(25)
	v_mul_f64 v[28:29], v[66:67], v[160:161]
	s_waitcnt vmcnt(24)
	v_fmac_f64_e32 v[28:29], v[68:69], v[168:169]
	v_add_f64 v[18:19], v[18:19], v[28:29]
	v_mul_f64 v[28:29], v[220:221], v[74:75]
	v_fma_f64 v[220:221], v[218:219], v[76:77], -v[28:29]
	s_waitcnt vmcnt(22) lgkmcnt(0)
	v_mul_f64 v[28:29], v[70:71], v[174:175]
	ds_read_b128 v[74:77], v236 offset:1680
	s_waitcnt vmcnt(20)
	v_fmac_f64_e32 v[28:29], v[72:73], v[176:177]
	v_add_f64 v[18:19], v[18:19], v[28:29]
	v_mul_f64 v[28:29], v[224:225], v[78:79]
	v_fma_f64 v[4:5], v[222:223], v[80:81], -v[28:29]
	ds_read_b128 v[78:81], v236 offset:1696
	s_waitcnt vmcnt(17) lgkmcnt(1)
	v_mul_f64 v[28:29], v[74:75], v[178:179]
	s_waitcnt vmcnt(16)
	v_fmac_f64_e32 v[28:29], v[76:77], v[180:181]
	v_add_f64 v[18:19], v[18:19], v[28:29]
	v_mul_f64 v[28:29], v[228:229], v[86:87]
	v_fma_f64 v[2:3], v[226:227], v[88:89], -v[28:29]
	s_waitcnt vmcnt(14) lgkmcnt(0)
	v_mul_f64 v[28:29], v[78:79], v[184:185]
	s_waitcnt vmcnt(12)
	v_fmac_f64_e32 v[28:29], v[80:81], v[188:189]
	ds_read_b128 v[86:89], v236 offset:1728
	v_add_f64 v[28:29], v[18:19], v[28:29]
	v_mul_f64 v[18:19], v[232:233], v[90:91]
	v_fma_f64 v[18:19], v[230:231], v[92:93], -v[18:19]
	ds_read_b128 v[90:93], v236 offset:1744
	s_waitcnt vmcnt(10)
	v_mul_f64 v[94:95], v[82:83], v[186:187]
	s_waitcnt vmcnt(8)
	v_fmac_f64_e32 v[94:95], v[84:85], v[190:191]
	v_add_f64 v[28:29], v[28:29], v[94:95]
	s_waitcnt vmcnt(5) lgkmcnt(1)
	v_mul_f64 v[94:95], v[86:87], v[194:195]
	s_waitcnt vmcnt(3)
	v_fmac_f64_e32 v[94:95], v[88:89], v[196:197]
	v_add_f64 v[28:29], v[28:29], v[94:95]
	s_waitcnt vmcnt(1) lgkmcnt(0)
	v_mul_f64 v[94:95], v[90:91], v[182:183]
	s_waitcnt vmcnt(0)
	v_fmac_f64_e32 v[94:95], v[92:93], v[192:193]
	v_add_f64 v[102:103], v[28:29], v[94:95]
	buffer_load_dword v29, off, s[0:3], 0 offset:860
	buffer_load_dword v28, off, s[0:3], 0 offset:856
	buffer_load_dword v201, off, s[0:3], 0 offset:852
	buffer_load_dword v200, off, s[0:3], 0 offset:848
	ds_read_b128 v[94:97], v236 offset:1760
	buffer_load_dword v202, off, s[0:3], 0 offset:872
	buffer_load_dword v203, off, s[0:3], 0 offset:876
	buffer_load_dword v204, off, s[0:3], 0 offset:864
	buffer_load_dword v205, off, s[0:3], 0 offset:868
	ds_read_b128 v[222:225], v236 offset:1776
	;; [unrolled: 5-line block ×4, first 2 shown]
	buffer_load_dword v215, off, s[0:3], 0 offset:924
	buffer_load_dword v214, off, s[0:3], 0 offset:920
	buffer_load_dword v217, off, s[0:3], 0 offset:916
	buffer_load_dword v216, off, s[0:3], 0 offset:912
	v_accvgpr_write_b32 a209, v19
	v_accvgpr_write_b32 a208, v18
	s_waitcnt vmcnt(18) lgkmcnt(3)
	v_mul_f64 v[110:111], v[94:95], v[28:29]
	s_waitcnt vmcnt(16)
	v_fmac_f64_e32 v[110:111], v[96:97], v[200:201]
	v_add_f64 v[102:103], v[102:103], v[110:111]
	s_waitcnt vmcnt(14) lgkmcnt(2)
	v_mul_f64 v[110:111], v[222:223], v[202:203]
	s_waitcnt vmcnt(12)
	v_fmac_f64_e32 v[110:111], v[224:225], v[204:205]
	v_add_f64 v[102:103], v[102:103], v[110:111]
	;; [unrolled: 5-line block ×4, first 2 shown]
	ds_read_b128 v[110:113], v236 offset:1824
	s_waitcnt vmcnt(2) lgkmcnt(0)
	v_mul_f64 v[114:115], v[110:111], v[214:215]
	s_waitcnt vmcnt(0)
	v_fmac_f64_e32 v[114:115], v[112:113], v[216:217]
	v_add_f64 v[218:219], v[102:103], v[114:115]
	buffer_load_dword v102, off, s[0:3], 0 offset:936
	buffer_load_dword v103, off, s[0:3], 0 offset:940
	;; [unrolled: 1-line block ×4, first 2 shown]
	ds_read_b128 v[114:117], v236 offset:1840
	s_waitcnt vmcnt(2) lgkmcnt(0)
	v_mul_f64 v[18:19], v[114:115], v[102:103]
	s_waitcnt vmcnt(0)
	v_fmac_f64_e32 v[18:19], v[116:117], v[248:249]
	v_add_f64 v[218:219], v[218:219], v[18:19]
	v_add_f64 v[18:19], v[134:135], 0
	v_add_f64 v[18:19], v[18:19], v[136:137]
	v_add_f64 v[18:19], v[18:19], v[138:139]
	v_add_f64 v[18:19], v[18:19], v[98:99]
	v_add_f64 v[18:19], v[18:19], v[100:101]
	v_add_f64 v[18:19], v[18:19], v[104:105]
	v_add_f64 v[18:19], v[18:19], v[106:107]
	v_add_f64 v[18:19], v[18:19], v[108:109]
	v_add_f64 v[18:19], v[18:19], v[26:27]
	v_add_f64 v[18:19], v[18:19], v[24:25]
	v_add_f64 v[16:17], v[18:19], v[16:17]
	v_add_f64 v[14:15], v[16:17], v[14:15]
	v_add_f64 v[12:13], v[14:15], v[12:13]
	v_add_f64 v[12:13], v[12:13], v[22:23]
	v_add_f64 v[12:13], v[12:13], v[246:247]
	v_add_f64 v[12:13], v[12:13], v[250:251]
	v_add_f64 v[10:11], v[12:13], v[10:11]
	v_add_f64 v[10:11], v[10:11], v[252:253]
	v_add_f64 v[8:9], v[10:11], v[8:9]
	v_add_f64 v[8:9], v[8:9], v[20:21]
	v_add_f64 v[6:7], v[8:9], v[6:7]
	v_add_f64 v[6:7], v[6:7], v[198:199]
	buffer_load_dword v250, off, s[0:3], 0 offset:48
	buffer_load_dword v251, off, s[0:3], 0 offset:52
	v_add_f64 v[6:7], v[6:7], v[220:221]
	buffer_load_dword v220, off, s[0:3], 0 offset:56
	buffer_load_dword v221, off, s[0:3], 0 offset:60
	v_add_f64 v[4:5], v[6:7], v[4:5]
	v_add_f64 v[2:3], v[4:5], v[2:3]
	v_accvgpr_read_b32 v4, a208
	v_accvgpr_read_b32 v6, a174
	;; [unrolled: 1-line block ×5, first 2 shown]
	v_add_f64 v[2:3], v[2:3], v[4:5]
	v_mul_f64 v[4:5], v[8:9], v[234:235]
	v_accvgpr_read_b32 v8, a178
	v_accvgpr_read_b32 v7, a175
	v_accvgpr_read_b32 v9, a179
	v_fma_f64 v[4:5], v[6:7], v[8:9], -v[4:5]
	v_add_f64 v[2:3], v[2:3], v[4:5]
	v_accvgpr_read_b32 v6, a180
	v_accvgpr_read_b32 v4, a184
	v_accvgpr_read_b32 v8, a182
	v_accvgpr_read_b32 v9, a183
	v_accvgpr_read_b32 v5, a185
	v_mul_f64 v[4:5], v[8:9], v[4:5]
	v_accvgpr_read_b32 v8, a186
	v_accvgpr_read_b32 v7, a181
	v_accvgpr_read_b32 v9, a187
	v_fma_f64 v[4:5], v[6:7], v[8:9], -v[4:5]
	v_add_f64 v[2:3], v[2:3], v[4:5]
	v_accvgpr_read_b32 v6, a188
	v_accvgpr_read_b32 v4, a192
	v_accvgpr_read_b32 v8, a190
	v_accvgpr_read_b32 v9, a191
	v_accvgpr_read_b32 v5, a193
	;; [unrolled: 11-line block ×3, first 2 shown]
	v_mul_f64 v[4:5], v[8:9], v[4:5]
	v_accvgpr_read_b32 v8, a206
	v_accvgpr_read_b32 v7, a197
	;; [unrolled: 1-line block ×3, first 2 shown]
	v_fma_f64 v[4:5], v[6:7], v[8:9], -v[4:5]
	v_add_f64 v[2:3], v[2:3], v[4:5]
	v_accvgpr_read_b32 v4, a200
	v_accvgpr_read_b32 v5, a201
	;; [unrolled: 1-line block ×3, first 2 shown]
	v_mul_f64 v[4:5], v[240:241], v[4:5]
	v_accvgpr_read_b32 v7, a203
	v_fma_f64 v[4:5], v[238:239], v[6:7], -v[4:5]
	v_add_f64 v[2:3], v[2:3], v[4:5]
	v_mul_f64 v[4:5], v[124:125], v[254:255]
	v_fma_f64 v[4:5], v[122:123], v[126:127], -v[4:5]
	v_add_f64 v[2:3], v[2:3], v[4:5]
	v_mul_f64 v[4:5], v[244:245], v[128:129]
	;; [unrolled: 3-line block ×24, first 2 shown]
	v_fma_f64 v[4:5], v[114:115], v[248:249], -v[4:5]
	v_add_f64 v[2:3], v[2:3], v[4:5]
	s_waitcnt vmcnt(2)
	v_add_f64 v[2:3], v[250:251], -v[2:3]
	s_waitcnt vmcnt(0)
	v_add_f64 v[4:5], v[220:221], -v[218:219]
	buffer_store_dword v3, off, s[0:3], 0 offset:52
	buffer_store_dword v2, off, s[0:3], 0 offset:48
	;; [unrolled: 1-line block ×4, first 2 shown]
	s_and_saveexec_b64 s[4:5], vcc
	s_cbranch_execz .LBB121_359
; %bb.358:
	v_accvgpr_read_b32 v5, a172
	buffer_load_dword v2, v5, s[0:3], 0 offen
	buffer_load_dword v3, v5, s[0:3], 0 offen offset:4
	buffer_load_dword v4, v5, s[0:3], 0 offen offset:8
	s_nop 0
	buffer_load_dword v5, v5, s[0:3], 0 offen offset:12
	v_accvgpr_read_b32 v6, a173
	buffer_store_dword v236, off, s[0:3], 0 offset:32
	buffer_store_dword v236, off, s[0:3], 0 offset:36
	;; [unrolled: 1-line block ×4, first 2 shown]
	s_waitcnt vmcnt(4)
	ds_write_b128 v6, v[2:5]
.LBB121_359:
	s_or_b64 exec, exec, s[4:5]
	s_waitcnt lgkmcnt(0)
	; wave barrier
	s_waitcnt lgkmcnt(0)
	buffer_load_dword v4, off, s[0:3], 0 offset:48
	buffer_load_dword v5, off, s[0:3], 0 offset:52
	;; [unrolled: 1-line block ×42, first 2 shown]
	ds_read_b128 v[102:105], v236 offset:960
	ds_read_b128 v[106:109], v236 offset:976
	;; [unrolled: 1-line block ×10, first 2 shown]
	buffer_load_dword v163, off, s[0:3], 0 offset:196
	buffer_load_dword v162, off, s[0:3], 0 offset:192
	ds_read_b128 v[38:41], v236 offset:1120
	buffer_load_dword v87, off, s[0:3], 0 offset:252
	buffer_load_dword v86, off, s[0:3], 0 offset:248
	;; [unrolled: 1-line block ×6, first 2 shown]
	v_cmp_ne_u32_e32 vcc, 0, v237
	s_waitcnt vmcnt(46) lgkmcnt(10)
	v_mul_f64 v[56:57], v[102:103], v[10:11]
	v_fmac_f64_e32 v[56:57], v[104:105], v[4:5]
	v_add_f64 v[56:57], v[56:57], 0
	v_mul_f64 v[10:11], v[104:105], v[10:11]
	s_waitcnt vmcnt(42) lgkmcnt(9)
	v_mul_f64 v[58:59], v[106:107], v[8:9]
	v_fmac_f64_e32 v[58:59], v[108:109], v[2:3]
	s_waitcnt vmcnt(40) lgkmcnt(8)
	v_mul_f64 v[62:63], v[110:111], v[6:7]
	v_add_f64 v[56:57], v[56:57], v[58:59]
	s_waitcnt vmcnt(38) lgkmcnt(6)
	v_mul_f64 v[66:67], v[146:147], v[14:15]
	v_fma_f64 v[222:223], v[102:103], v[4:5], -v[10:11]
	s_waitcnt vmcnt(36)
	v_fmac_f64_e32 v[66:67], v[148:149], v[144:145]
	v_mul_f64 v[8:9], v[108:109], v[8:9]
	s_waitcnt vmcnt(34)
	v_mul_f64 v[64:65], v[114:115], v[140:141]
	v_fma_f64 v[250:251], v[106:107], v[2:3], -v[8:9]
	s_waitcnt vmcnt(32) lgkmcnt(4)
	v_mul_f64 v[70:71], v[154:155], v[26:27]
	v_mul_f64 v[6:7], v[112:113], v[6:7]
	s_waitcnt vmcnt(30)
	v_fmac_f64_e32 v[70:71], v[156:157], v[28:29]
	v_mul_f64 v[10:11], v[116:117], v[140:141]
	s_waitcnt vmcnt(28)
	v_mul_f64 v[68:69], v[150:151], v[18:19]
	v_mul_f64 v[14:15], v[148:149], v[14:15]
	s_waitcnt vmcnt(26) lgkmcnt(2)
	v_mul_f64 v[74:75], v[42:43], v[46:47]
	v_mul_f64 v[26:27], v[156:157], v[26:27]
	s_waitcnt vmcnt(23)
	v_mul_f64 v[72:73], v[158:159], v[30:31]
	v_mul_f64 v[30:31], v[160:161], v[30:31]
	s_waitcnt vmcnt(21) lgkmcnt(1)
	v_mul_f64 v[130:131], v[34:35], v[50:51]
	s_waitcnt vmcnt(19)
	v_fmac_f64_e32 v[62:63], v[112:113], v[24:25]
	v_add_f64 v[56:57], v[56:57], v[62:63]
	s_waitcnt vmcnt(17)
	v_fmac_f64_e32 v[64:65], v[116:117], v[22:23]
	v_add_f64 v[56:57], v[56:57], v[64:65]
	;; [unrolled: 3-line block ×3, first 2 shown]
	v_add_f64 v[56:57], v[56:57], v[68:69]
	s_waitcnt vmcnt(13)
	v_fmac_f64_e32 v[72:73], v[160:161], v[32:33]
	v_add_f64 v[56:57], v[56:57], v[70:71]
	s_waitcnt vmcnt(12)
	v_fmac_f64_e32 v[74:75], v[44:45], v[48:49]
	v_add_f64 v[56:57], v[56:57], v[72:73]
	v_add_f64 v[132:133], v[56:57], v[74:75]
	buffer_load_dword v171, off, s[0:3], 0 offset:228
	buffer_load_dword v170, off, s[0:3], 0 offset:224
	;; [unrolled: 1-line block ×60, first 2 shown]
	s_waitcnt vmcnt(62)
	v_fmac_f64_e32 v[130:131], v[36:37], v[162:163]
	v_add_f64 v[130:131], v[132:133], v[130:131]
	s_waitcnt lgkmcnt(0)
	v_mul_f64 v[132:133], v[38:39], v[52:53]
	v_fmac_f64_e32 v[132:133], v[40:41], v[54:55]
	v_add_f64 v[130:131], v[130:131], v[132:133]
	v_fma_f64 v[252:253], v[110:111], v[24:25], -v[6:7]
	v_fma_f64 v[254:255], v[114:115], v[22:23], -v[10:11]
	v_fma_f64 v[112:113], v[154:155], v[28:29], -v[26:27]
	v_mul_f64 v[36:37], v[36:37], v[50:51]
	v_mul_f64 v[44:45], v[44:45], v[46:47]
	s_waitcnt vmcnt(0)
	v_pk_mov_b32 v[120:121], v[118:119], v[118:119] op_sel:[0,1]
	buffer_load_dword v119, off, s[0:3], 0 offset:500
	buffer_load_dword v118, off, s[0:3], 0 offset:496
	v_accvgpr_write_b32 a191, v121
	v_accvgpr_write_b32 a190, v120
	s_waitcnt vmcnt(0)
	v_pk_mov_b32 v[122:123], v[118:119], v[118:119] op_sel:[0,1]
	buffer_load_dword v119, off, s[0:3], 0 offset:492
	buffer_load_dword v118, off, s[0:3], 0 offset:488
	v_accvgpr_write_b32 a193, v123
	v_accvgpr_write_b32 a192, v122
	;; [unrolled: 6-line block ×6, first 2 shown]
	s_waitcnt vmcnt(0)
	v_pk_mov_b32 v[234:235], v[118:119], v[118:119] op_sel:[0,1]
	buffer_load_dword v119, off, s[0:3], 0 offset:516
	buffer_load_dword v118, off, s[0:3], 0 offset:512
	ds_read_b128 v[166:169], v236 offset:1136
	ds_read_b128 v[174:177], v236 offset:1152
	;; [unrolled: 1-line block ×6, first 2 shown]
	s_waitcnt lgkmcnt(5)
	v_mul_f64 v[132:133], v[166:167], v[98:99]
	v_fmac_f64_e32 v[132:133], v[168:169], v[170:171]
	v_add_f64 v[130:131], v[130:131], v[132:133]
	s_waitcnt lgkmcnt(4)
	v_mul_f64 v[132:133], v[174:175], v[86:87]
	v_fmac_f64_e32 v[132:133], v[176:177], v[60:61]
	v_add_f64 v[130:131], v[130:131], v[132:133]
	;; [unrolled: 4-line block ×3, first 2 shown]
	s_waitcnt lgkmcnt(2)
	v_mul_f64 v[132:133], v[182:183], v[194:195]
	v_fmac_f64_e32 v[132:133], v[184:185], v[200:201]
	ds_read_b128 v[196:199], v236 offset:1232
	ds_read_b128 v[206:209], v236 offset:1248
	v_add_f64 v[130:131], v[130:131], v[132:133]
	s_waitcnt lgkmcnt(3)
	v_mul_f64 v[132:133], v[186:187], v[232:233]
	v_fmac_f64_e32 v[132:133], v[188:189], v[242:243]
	v_add_f64 v[130:131], v[130:131], v[132:133]
	s_waitcnt lgkmcnt(2)
	v_mul_f64 v[132:133], v[190:191], v[96:97]
	v_fmac_f64_e32 v[132:133], v[192:193], v[100:101]
	;; [unrolled: 4-line block ×4, first 2 shown]
	ds_read_b128 v[210:213], v236 offset:1264
	v_add_f64 v[134:135], v[130:131], v[132:133]
	buffer_load_dword v131, off, s[0:3], 0 offset:556
	buffer_load_dword v130, off, s[0:3], 0 offset:552
	s_waitcnt lgkmcnt(0)
	v_mul_f64 v[136:137], v[210:211], v[88:89]
	v_fmac_f64_e32 v[136:137], v[212:213], v[94:95]
	v_add_f64 v[164:165], v[134:135], v[136:137]
	v_mul_f64 v[46:47], v[212:213], v[88:89]
	s_waitcnt vmcnt(2)
	v_accvgpr_write_b32 a195, v119
	v_accvgpr_write_b32 a194, v118
	s_waitcnt vmcnt(0)
	v_pk_mov_b32 v[248:249], v[130:131], v[130:131] op_sel:[0,1]
	buffer_load_dword v131, off, s[0:3], 0 offset:548
	buffer_load_dword v130, off, s[0:3], 0 offset:544
	ds_read_b128 v[214:217], v236 offset:1280
	buffer_load_dword v16, off, s[0:3], 0 offset:568
	buffer_load_dword v134, off, s[0:3], 0 offset:560
	;; [unrolled: 1-line block ×4, first 2 shown]
	ds_read_b128 v[218:221], v236 offset:1296
	buffer_load_dword v133, off, s[0:3], 0 offset:604
	buffer_load_dword v13, off, s[0:3], 0 offset:588
	buffer_load_dword v12, off, s[0:3], 0 offset:584
	buffer_load_dword v1, off, s[0:3], 0 offset:580
	buffer_load_dword v0, off, s[0:3], 0 offset:576
	buffer_load_dword v132, off, s[0:3], 0 offset:600
	buffer_load_dword v137, off, s[0:3], 0 offset:596
	buffer_load_dword v136, off, s[0:3], 0 offset:592
	ds_read_b128 v[224:227], v236 offset:1312
	ds_read_b128 v[228:231], v236 offset:1328
	s_waitcnt lgkmcnt(3)
	v_mul_f64 v[172:173], v[214:215], v[56:57]
	v_fmac_f64_e32 v[172:173], v[216:217], v[58:59]
	v_add_f64 v[164:165], v[164:165], v[172:173]
	s_waitcnt lgkmcnt(2)
	v_mul_f64 v[172:173], v[218:219], v[62:63]
	ds_read_b128 v[238:241], v236 offset:1344
	ds_read_b128 v[102:105], v236 offset:1360
	v_fmac_f64_e32 v[172:173], v[220:221], v[64:65]
	v_add_f64 v[164:165], v[164:165], v[172:173]
	s_waitcnt lgkmcnt(3)
	v_mul_f64 v[172:173], v[224:225], v[66:67]
	v_fmac_f64_e32 v[172:173], v[226:227], v[68:69]
	v_add_f64 v[164:165], v[164:165], v[172:173]
	s_waitcnt lgkmcnt(2)
	v_mul_f64 v[172:173], v[228:229], v[70:71]
	ds_read_b128 v[106:109], v236 offset:1376
	ds_read_b128 v[6:9], v236 offset:1408
	v_fmac_f64_e32 v[172:173], v[230:231], v[72:73]
	s_waitcnt lgkmcnt(3)
	v_mul_f64 v[4:5], v[238:239], v[78:79]
	v_add_f64 v[164:165], v[164:165], v[172:173]
	v_fmac_f64_e32 v[4:5], v[240:241], v[80:81]
	v_add_f64 v[2:3], v[164:165], v[4:5]
	s_waitcnt lgkmcnt(2)
	v_mul_f64 v[4:5], v[102:103], v[82:83]
	v_fmac_f64_e32 v[4:5], v[104:105], v[84:85]
	v_add_f64 v[2:3], v[2:3], v[4:5]
	s_waitcnt lgkmcnt(1)
	v_mul_f64 v[4:5], v[106:107], v[90:91]
	v_fmac_f64_e32 v[4:5], v[108:109], v[92:93]
	v_add_f64 v[164:165], v[2:3], v[4:5]
	ds_read_b128 v[2:5], v236 offset:1392
	s_waitcnt lgkmcnt(1)
	v_accvgpr_write_b32 a185, v9
	v_accvgpr_write_b32 a184, v8
	;; [unrolled: 1-line block ×4, first 2 shown]
	s_waitcnt lgkmcnt(0)
	v_mul_f64 v[24:25], v[2:3], v[128:129]
	v_accvgpr_write_b32 a177, v5
	v_fmac_f64_e32 v[24:25], v[4:5], v[138:139]
	v_accvgpr_write_b32 a176, v4
	v_accvgpr_write_b32 a175, v3
	;; [unrolled: 1-line block ×3, first 2 shown]
	ds_read_b128 v[2:5], v236 offset:1424
	v_add_f64 v[22:23], v[164:165], v[24:25]
	v_mul_f64 v[24:25], v[6:7], v[120:121]
	v_fmac_f64_e32 v[24:25], v[8:9], v[122:123]
	v_add_f64 v[22:23], v[22:23], v[24:25]
	s_waitcnt lgkmcnt(0)
	v_mul_f64 v[24:25], v[2:3], v[234:235]
	v_fmac_f64_e32 v[24:25], v[4:5], v[118:119]
	v_fma_f64 v[118:119], v[146:147], v[144:145], -v[14:15]
	ds_read_b128 v[146:149], v236 offset:1440
	buffer_load_dword v143, off, s[0:3], 0 offset:620
	buffer_load_dword v142, off, s[0:3], 0 offset:616
	;; [unrolled: 1-line block ×4, first 2 shown]
	ds_read_b128 v[138:141], v236 offset:1456
	v_add_f64 v[22:23], v[22:23], v[24:25]
	ds_read_b128 v[120:123], v236 offset:1504
	s_waitcnt lgkmcnt(2)
	v_mul_f64 v[24:25], v[146:147], v[124:125]
	v_fmac_f64_e32 v[24:25], v[148:149], v[126:127]
	ds_read_b128 v[124:127], v236 offset:1488
	v_add_f64 v[22:23], v[22:23], v[24:25]
	s_waitcnt lgkmcnt(2)
	v_mul_f64 v[24:25], v[138:139], v[248:249]
	v_accvgpr_write_b32 a189, v5
	v_accvgpr_write_b32 a188, v4
	;; [unrolled: 1-line block ×4, first 2 shown]
	v_mul_f64 v[4:5], v[152:153], v[18:19]
	v_fma_f64 v[116:117], v[150:151], v[20:21], -v[4:5]
	buffer_load_dword v150, off, s[0:3], 0 offset:632
	v_fma_f64 v[152:153], v[158:159], v[32:33], -v[30:31]
	v_mul_f64 v[8:9], v[40:41], v[52:53]
	v_fma_f64 v[30:31], v[34:35], v[162:163], -v[36:37]
	v_fma_f64 v[26:27], v[38:39], v[54:55], -v[8:9]
	v_mul_f64 v[38:39], v[168:169], v[98:99]
	v_mul_f64 v[40:41], v[188:189], v[232:233]
	;; [unrolled: 1-line block ×3, first 2 shown]
	v_fma_f64 v[244:245], v[196:197], v[246:247], -v[18:19]
	v_accvgpr_write_b32 a200, v248
	v_accvgpr_write_b32 a201, v249
	v_fma_f64 v[248:249], v[42:43], v[48:49], -v[44:45]
	v_mul_f64 v[20:21], v[208:209], v[74:75]
	s_waitcnt vmcnt(17)
	v_accvgpr_write_b32 a203, v131
	v_fmac_f64_e32 v[24:25], v[140:141], v[130:131]
	v_accvgpr_write_b32 a202, v130
	ds_read_b128 v[128:131], v236 offset:1472
	v_add_f64 v[110:111], v[22:23], v[24:25]
	buffer_load_dword v154, off, s[0:3], 0 offset:624
	buffer_load_dword v151, off, s[0:3], 0 offset:636
	;; [unrolled: 1-line block ×3, first 2 shown]
	v_fma_f64 v[22:23], v[166:167], v[170:171], -v[38:39]
	s_waitcnt vmcnt(16)
	v_accvgpr_write_b32 a207, v135
	s_waitcnt lgkmcnt(0)
	v_mul_f64 v[114:115], v[128:129], v[16:17]
	v_fmac_f64_e32 v[114:115], v[130:131], v[134:135]
	v_add_f64 v[110:111], v[110:111], v[114:115]
	s_waitcnt vmcnt(13)
	v_mul_f64 v[114:115], v[124:125], v[12:13]
	s_waitcnt vmcnt(11)
	v_fmac_f64_e32 v[114:115], v[126:127], v[0:1]
	v_add_f64 v[110:111], v[110:111], v[114:115]
	s_waitcnt vmcnt(10)
	v_mul_f64 v[114:115], v[120:121], v[132:133]
	s_waitcnt vmcnt(8)
	v_fmac_f64_e32 v[114:115], v[122:123], v[136:137]
	v_add_f64 v[114:115], v[110:111], v[114:115]
	buffer_load_dword v110, off, s[0:3], 0 offset:664
	buffer_load_dword v159, off, s[0:3], 0 offset:652
	;; [unrolled: 1-line block ×8, first 2 shown]
	ds_read_b128 v[34:37], v236 offset:1520
	buffer_load_dword v163, off, s[0:3], 0 offset:684
	buffer_load_dword v162, off, s[0:3], 0 offset:680
	;; [unrolled: 1-line block ×12, first 2 shown]
	v_accvgpr_write_b32 a205, v17
	v_accvgpr_write_b32 a206, v134
	v_pk_mov_b32 v[134:135], v[12:13], v[12:13] op_sel:[0,1]
	v_mul_f64 v[12:13], v[176:177], v[86:87]
	v_accvgpr_write_b32 a204, v16
	v_fma_f64 v[16:17], v[174:175], v[60:61], -v[12:13]
	buffer_load_dword v174, off, s[0:3], 0 offset:728
	v_mul_f64 v[38:39], v[180:181], v[202:203]
	v_fma_f64 v[202:203], v[178:179], v[204:205], -v[38:39]
	buffer_load_dword v178, off, s[0:3], 0 offset:720
	buffer_load_dword v175, off, s[0:3], 0 offset:732
	;; [unrolled: 1-line block ×3, first 2 shown]
	v_mul_f64 v[38:39], v[184:185], v[194:195]
	v_fma_f64 v[14:15], v[182:183], v[200:201], -v[38:39]
	buffer_load_dword v176, off, s[0:3], 0 offset:760
	buffer_load_dword v183, off, s[0:3], 0 offset:748
	;; [unrolled: 1-line block ×8, first 2 shown]
	v_fma_f64 v[12:13], v[186:187], v[242:243], -v[40:41]
	buffer_load_dword v187, off, s[0:3], 0 offset:780
	buffer_load_dword v186, off, s[0:3], 0 offset:776
	;; [unrolled: 1-line block ×4, first 2 shown]
	v_mul_f64 v[40:41], v[192:193], v[96:97]
	buffer_load_dword v193, off, s[0:3], 0 offset:796
	buffer_load_dword v192, off, s[0:3], 0 offset:792
	;; [unrolled: 1-line block ×4, first 2 shown]
	v_fma_f64 v[10:11], v[190:191], v[100:101], -v[40:41]
	buffer_load_dword v190, off, s[0:3], 0 offset:824
	buffer_load_dword v199, off, s[0:3], 0 offset:812
	buffer_load_dword v198, off, s[0:3], 0 offset:808
	buffer_load_dword v233, off, s[0:3], 0 offset:804
	buffer_load_dword v232, off, s[0:3], 0 offset:800
	buffer_load_dword v196, off, s[0:3], 0 offset:816
	buffer_load_dword v191, off, s[0:3], 0 offset:828
	buffer_load_dword v197, off, s[0:3], 0 offset:820
	buffer_load_dword v201, off, s[0:3], 0 offset:844
	buffer_load_dword v200, off, s[0:3], 0 offset:840
	buffer_load_dword v205, off, s[0:3], 0 offset:836
	buffer_load_dword v204, off, s[0:3], 0 offset:832
	ds_read_b128 v[42:45], v236 offset:1552
	v_fma_f64 v[6:7], v[210:211], v[94:95], -v[46:47]
	ds_read_b128 v[46:49], v236 offset:1568
	ds_read_b128 v[50:53], v236 offset:1584
	v_fma_f64 v[8:9], v[206:207], v[76:77], -v[20:21]
	v_mul_f64 v[70:71], v[230:231], v[70:71]
	v_fma_f64 v[2:3], v[228:229], v[72:73], -v[70:71]
	ds_read_b128 v[70:73], v236 offset:1664
	ds_read_b128 v[74:77], v236 offset:1680
	s_waitcnt vmcnt(58) lgkmcnt(5)
	v_mul_f64 v[38:39], v[34:35], v[142:143]
	s_waitcnt vmcnt(56)
	v_fmac_f64_e32 v[38:39], v[36:37], v[144:145]
	v_add_f64 v[18:19], v[114:115], v[38:39]
	ds_read_b128 v[38:41], v236 offset:1536
	v_mul_f64 v[82:83], v[104:105], v[82:83]
	v_fma_f64 v[82:83], v[102:103], v[84:85], -v[82:83]
	v_accvgpr_write_b32 a209, v83
	v_accvgpr_write_b32 a208, v82
	ds_read_b128 v[86:89], v236 offset:1728
	ds_read_b128 v[82:85], v236 offset:1712
	s_waitcnt vmcnt(53) lgkmcnt(2)
	v_mul_f64 v[20:21], v[38:39], v[150:151]
	s_waitcnt vmcnt(52)
	v_fmac_f64_e32 v[20:21], v[40:41], v[154:155]
	v_add_f64 v[18:19], v[18:19], v[20:21]
	s_waitcnt vmcnt(49)
	v_mul_f64 v[20:21], v[42:43], v[158:159]
	s_waitcnt vmcnt(47)
	v_fmac_f64_e32 v[20:21], v[44:45], v[160:161]
	v_add_f64 v[18:19], v[18:19], v[20:21]
	s_waitcnt vmcnt(45)
	v_mul_f64 v[20:21], v[46:47], v[110:111]
	s_waitcnt vmcnt(44)
	v_fmac_f64_e32 v[20:21], v[48:49], v[156:157]
	v_add_f64 v[18:19], v[18:19], v[20:21]
	v_mul_f64 v[20:21], v[216:217], v[56:57]
	ds_read_b128 v[54:57], v236 offset:1600
	v_fma_f64 v[24:25], v[214:215], v[58:59], -v[20:21]
	v_mul_f64 v[58:59], v[220:221], v[62:63]
	v_fma_f64 v[4:5], v[218:219], v[64:65], -v[58:59]
	ds_read_b128 v[58:61], v236 offset:1616
	s_waitcnt vmcnt(42)
	v_mul_f64 v[20:21], v[50:51], v[162:163]
	s_waitcnt vmcnt(40)
	v_fmac_f64_e32 v[20:21], v[52:53], v[164:165]
	v_add_f64 v[18:19], v[18:19], v[20:21]
	s_waitcnt vmcnt(38) lgkmcnt(1)
	v_mul_f64 v[20:21], v[54:55], v[166:167]
	s_waitcnt vmcnt(36)
	v_fmac_f64_e32 v[20:21], v[56:57], v[170:171]
	v_add_f64 v[18:19], v[18:19], v[20:21]
	s_waitcnt vmcnt(34) lgkmcnt(0)
	v_mul_f64 v[20:21], v[58:59], v[168:169]
	s_waitcnt vmcnt(32)
	v_fmac_f64_e32 v[20:21], v[60:61], v[172:173]
	ds_read_b128 v[62:65], v236 offset:1632
	v_add_f64 v[18:19], v[18:19], v[20:21]
	v_mul_f64 v[20:21], v[226:227], v[66:67]
	v_fma_f64 v[28:29], v[224:225], v[68:69], -v[20:21]
	ds_read_b128 v[66:69], v236 offset:1648
	s_waitcnt vmcnt(29) lgkmcnt(1)
	v_mul_f64 v[20:21], v[62:63], v[174:175]
	s_waitcnt vmcnt(28)
	v_fmac_f64_e32 v[20:21], v[64:65], v[178:179]
	v_add_f64 v[18:19], v[18:19], v[20:21]
	s_waitcnt vmcnt(25) lgkmcnt(0)
	v_mul_f64 v[20:21], v[66:67], v[182:183]
	s_waitcnt vmcnt(23)
	v_fmac_f64_e32 v[20:21], v[68:69], v[184:185]
	v_add_f64 v[18:19], v[18:19], v[20:21]
	s_waitcnt vmcnt(21)
	v_mul_f64 v[20:21], v[70:71], v[176:177]
	s_waitcnt vmcnt(20)
	v_fmac_f64_e32 v[20:21], v[72:73], v[180:181]
	v_add_f64 v[18:19], v[18:19], v[20:21]
	v_mul_f64 v[20:21], v[240:241], v[78:79]
	v_fma_f64 v[32:33], v[238:239], v[80:81], -v[20:21]
	ds_read_b128 v[78:81], v236 offset:1696
	s_waitcnt vmcnt(18)
	v_mul_f64 v[20:21], v[74:75], v[186:187]
	s_waitcnt vmcnt(16)
	v_fmac_f64_e32 v[20:21], v[76:77], v[188:189]
	v_add_f64 v[18:19], v[18:19], v[20:21]
	s_waitcnt vmcnt(14) lgkmcnt(0)
	v_mul_f64 v[20:21], v[78:79], v[192:193]
	s_waitcnt vmcnt(12)
	v_fmac_f64_e32 v[20:21], v[80:81], v[194:195]
	v_add_f64 v[18:19], v[18:19], v[20:21]
	v_mul_f64 v[20:21], v[108:109], v[90:91]
	v_fma_f64 v[224:225], v[106:107], v[92:93], -v[20:21]
	ds_read_b128 v[90:93], v236 offset:1744
	buffer_load_dword v206, off, s[0:3], 0 offset:856
	buffer_load_dword v207, off, s[0:3], 0 offset:860
	buffer_load_dword v208, off, s[0:3], 0 offset:848
	buffer_load_dword v209, off, s[0:3], 0 offset:852
	ds_read_b128 v[94:97], v236 offset:1760
	buffer_load_dword v211, off, s[0:3], 0 offset:876
	buffer_load_dword v210, off, s[0:3], 0 offset:872
	buffer_load_dword v213, off, s[0:3], 0 offset:868
	buffer_load_dword v212, off, s[0:3], 0 offset:864
	;; [unrolled: 5-line block ×6, first 2 shown]
	s_waitcnt vmcnt(33)
	v_mul_f64 v[20:21], v[82:83], v[198:199]
	s_waitcnt vmcnt(31)
	v_fmac_f64_e32 v[20:21], v[84:85], v[232:233]
	v_add_f64 v[18:19], v[18:19], v[20:21]
	s_waitcnt vmcnt(29)
	v_mul_f64 v[20:21], v[86:87], v[190:191]
	s_waitcnt vmcnt(28)
	v_fmac_f64_e32 v[20:21], v[88:89], v[196:197]
	v_add_f64 v[18:19], v[18:19], v[20:21]
	s_waitcnt vmcnt(26) lgkmcnt(5)
	v_mul_f64 v[20:21], v[90:91], v[200:201]
	s_waitcnt vmcnt(24)
	v_fmac_f64_e32 v[20:21], v[92:93], v[204:205]
	v_add_f64 v[18:19], v[18:19], v[20:21]
	s_waitcnt vmcnt(22) lgkmcnt(4)
	;; [unrolled: 5-line block ×6, first 2 shown]
	v_mul_f64 v[20:21], v[226:227], v[240:241]
	s_waitcnt vmcnt(4)
	v_fmac_f64_e32 v[20:21], v[228:229], v[242:243]
	v_add_f64 v[114:115], v[18:19], v[20:21]
	ds_read_b128 v[18:21], v236 offset:1840
	s_waitcnt vmcnt(2) lgkmcnt(0)
	v_mul_f64 v[220:221], v[18:19], v[246:247]
	s_waitcnt vmcnt(0)
	v_fmac_f64_e32 v[220:221], v[20:21], v[230:231]
	v_add_f64 v[114:115], v[114:115], v[220:221]
	v_add_f64 v[220:221], v[222:223], 0
	;; [unrolled: 1-line block ×19, first 2 shown]
	buffer_load_dword v252, off, s[0:3], 0 offset:32
	buffer_load_dword v253, off, s[0:3], 0 offset:36
	;; [unrolled: 1-line block ×4, first 2 shown]
	v_add_f64 v[8:9], v[10:11], v[8:9]
	v_add_f64 v[6:7], v[8:9], v[6:7]
	;; [unrolled: 1-line block ×6, first 2 shown]
	v_accvgpr_read_b32 v6, a174
	v_accvgpr_read_b32 v4, a178
	v_add_f64 v[222:223], v[2:3], v[32:33]
	v_accvgpr_read_b32 v2, a208
	v_accvgpr_read_b32 v8, a176
	;; [unrolled: 1-line block ×5, first 2 shown]
	v_mul_f64 v[4:5], v[8:9], v[4:5]
	v_accvgpr_read_b32 v8, a180
	v_add_f64 v[2:3], v[222:223], v[2:3]
	v_accvgpr_read_b32 v7, a175
	v_accvgpr_read_b32 v9, a181
	v_add_f64 v[2:3], v[2:3], v[224:225]
	v_fma_f64 v[4:5], v[6:7], v[8:9], -v[4:5]
	v_add_f64 v[2:3], v[2:3], v[4:5]
	v_accvgpr_read_b32 v6, a182
	v_accvgpr_read_b32 v4, a190
	;; [unrolled: 1-line block ×5, first 2 shown]
	v_mul_f64 v[4:5], v[8:9], v[4:5]
	v_accvgpr_read_b32 v8, a192
	v_accvgpr_read_b32 v7, a183
	;; [unrolled: 1-line block ×3, first 2 shown]
	v_fma_f64 v[4:5], v[6:7], v[8:9], -v[4:5]
	v_accvgpr_read_b32 v6, a186
	v_accvgpr_read_b32 v8, a188
	;; [unrolled: 1-line block ×3, first 2 shown]
	v_add_f64 v[2:3], v[2:3], v[4:5]
	v_mul_f64 v[4:5], v[8:9], v[234:235]
	v_accvgpr_read_b32 v8, a194
	v_accvgpr_read_b32 v7, a187
	;; [unrolled: 1-line block ×3, first 2 shown]
	v_fma_f64 v[4:5], v[6:7], v[8:9], -v[4:5]
	v_add_f64 v[2:3], v[2:3], v[4:5]
	v_accvgpr_read_b32 v4, a196
	v_accvgpr_read_b32 v5, a197
	v_accvgpr_read_b32 v6, a198
	v_mul_f64 v[4:5], v[148:149], v[4:5]
	v_accvgpr_read_b32 v7, a199
	v_fma_f64 v[4:5], v[146:147], v[6:7], -v[4:5]
	v_add_f64 v[2:3], v[2:3], v[4:5]
	v_accvgpr_read_b32 v4, a200
	v_accvgpr_read_b32 v5, a201
	v_accvgpr_read_b32 v6, a202
	v_mul_f64 v[4:5], v[140:141], v[4:5]
	v_accvgpr_read_b32 v7, a203
	;; [unrolled: 7-line block ×3, first 2 shown]
	v_fma_f64 v[4:5], v[128:129], v[6:7], -v[4:5]
	v_add_f64 v[2:3], v[2:3], v[4:5]
	v_mul_f64 v[4:5], v[126:127], v[134:135]
	v_fma_f64 v[4:5], v[124:125], v[0:1], -v[4:5]
	v_add_f64 v[2:3], v[2:3], v[4:5]
	v_mul_f64 v[4:5], v[122:123], v[132:133]
	;; [unrolled: 3-line block ×23, first 2 shown]
	v_fma_f64 v[4:5], v[18:19], v[230:231], -v[4:5]
	v_add_f64 v[2:3], v[2:3], v[4:5]
	s_waitcnt vmcnt(2)
	v_add_f64 v[2:3], v[252:253], -v[2:3]
	s_waitcnt vmcnt(0)
	v_add_f64 v[4:5], v[250:251], -v[114:115]
	buffer_store_dword v3, off, s[0:3], 0 offset:36
	buffer_store_dword v2, off, s[0:3], 0 offset:32
	;; [unrolled: 1-line block ×4, first 2 shown]
	s_and_saveexec_b64 s[4:5], vcc
	s_cbranch_execz .LBB121_361
; %bb.360:
	buffer_load_dword v0, off, s[0:3], 0 offset:16
	buffer_load_dword v1, off, s[0:3], 0 offset:20
	;; [unrolled: 1-line block ×4, first 2 shown]
	v_mov_b32_e32 v4, 0
	v_accvgpr_read_b32 v5, a173
	buffer_store_dword v4, off, s[0:3], 0 offset:16
	buffer_store_dword v4, off, s[0:3], 0 offset:20
	;; [unrolled: 1-line block ×4, first 2 shown]
	s_waitcnt vmcnt(4)
	ds_write_b128 v5, v[0:3]
.LBB121_361:
	s_or_b64 exec, exec, s[4:5]
	s_waitcnt lgkmcnt(0)
	; wave barrier
	s_waitcnt lgkmcnt(0)
	buffer_load_dword v6, off, s[0:3], 0 offset:32
	buffer_load_dword v7, off, s[0:3], 0 offset:36
	;; [unrolled: 1-line block ×42, first 2 shown]
	v_mov_b32_e32 v12, 0
	buffer_load_dword v85, off, s[0:3], 0 offset:180
	buffer_load_dword v84, off, s[0:3], 0 offset:176
	;; [unrolled: 1-line block ×7, first 2 shown]
	ds_read_b128 v[100:103], v12 offset:944
	ds_read_b128 v[104:107], v12 offset:960
	;; [unrolled: 1-line block ×11, first 2 shown]
	s_and_b64 vcc, exec, s[16:17]
	s_waitcnt vmcnt(45) lgkmcnt(10)
	v_mul_f64 v[50:51], v[100:101], v[8:9]
	v_fmac_f64_e32 v[50:51], v[102:103], v[6:7]
	v_add_f64 v[50:51], v[50:51], 0
	v_mul_f64 v[8:9], v[102:103], v[8:9]
	s_waitcnt vmcnt(41) lgkmcnt(9)
	v_mul_f64 v[52:53], v[104:105], v[4:5]
	v_fmac_f64_e32 v[52:53], v[106:107], v[0:1]
	s_waitcnt vmcnt(39) lgkmcnt(8)
	v_mul_f64 v[54:55], v[108:109], v[2:3]
	v_add_f64 v[50:51], v[50:51], v[52:53]
	s_waitcnt vmcnt(37) lgkmcnt(6)
	v_mul_f64 v[58:59], v[252:253], v[230:231]
	v_fma_f64 v[212:213], v[100:101], v[6:7], -v[8:9]
	s_waitcnt vmcnt(35)
	v_fmac_f64_e32 v[58:59], v[254:255], v[246:247]
	v_mul_f64 v[4:5], v[106:107], v[4:5]
	s_waitcnt vmcnt(33)
	v_mul_f64 v[56:57], v[112:113], v[14:15]
	v_fma_f64 v[214:215], v[104:105], v[0:1], -v[4:5]
	s_waitcnt vmcnt(31) lgkmcnt(4)
	v_mul_f64 v[64:65], v[134:135], v[20:21]
	v_mul_f64 v[2:3], v[110:111], v[2:3]
	s_waitcnt vmcnt(29)
	v_fmac_f64_e32 v[64:65], v[136:137], v[250:251]
	v_mul_f64 v[4:5], v[114:115], v[14:15]
	s_waitcnt vmcnt(27)
	v_mul_f64 v[60:61], v[130:131], v[16:17]
	v_mul_f64 v[16:17], v[132:133], v[16:17]
	s_waitcnt vmcnt(25) lgkmcnt(2)
	v_mul_f64 v[68:69], v[142:143], v[28:29]
	v_mul_f64 v[20:21], v[136:137], v[20:21]
	;; [unrolled: 1-line block ×3, first 2 shown]
	s_waitcnt vmcnt(22)
	v_mul_f64 v[66:67], v[138:139], v[24:25]
	v_mul_f64 v[24:25], v[140:141], v[24:25]
	s_waitcnt vmcnt(20) lgkmcnt(1)
	v_mul_f64 v[118:119], v[146:147], v[40:41]
	s_waitcnt vmcnt(18)
	v_fmac_f64_e32 v[54:55], v[110:111], v[34:35]
	v_add_f64 v[50:51], v[50:51], v[54:55]
	s_waitcnt vmcnt(16)
	v_fmac_f64_e32 v[56:57], v[114:115], v[32:33]
	v_add_f64 v[50:51], v[50:51], v[56:57]
	;; [unrolled: 3-line block ×3, first 2 shown]
	v_add_f64 v[50:51], v[50:51], v[60:61]
	s_waitcnt vmcnt(12)
	v_fmac_f64_e32 v[66:67], v[140:141], v[26:27]
	v_add_f64 v[50:51], v[50:51], v[64:65]
	s_waitcnt vmcnt(11)
	v_fmac_f64_e32 v[68:69], v[144:145], v[30:31]
	v_add_f64 v[50:51], v[50:51], v[66:67]
	v_add_f64 v[120:121], v[50:51], v[68:69]
	buffer_load_dword v62, off, s[0:3], 0 offset:216
	buffer_load_dword v183, off, s[0:3], 0 offset:212
	;; [unrolled: 1-line block ×63, first 2 shown]
	s_waitcnt vmcnt(62)
	v_fmac_f64_e32 v[118:119], v[148:149], v[84:85]
	v_add_f64 v[118:119], v[120:121], v[118:119]
	s_waitcnt lgkmcnt(0)
	v_mul_f64 v[120:121], v[36:37], v[42:43]
	v_fmac_f64_e32 v[120:121], v[38:39], v[44:45]
	v_add_f64 v[118:119], v[118:119], v[120:121]
	v_fma_f64 v[220:221], v[108:109], v[34:35], -v[2:3]
	v_fma_f64 v[228:229], v[112:113], v[32:33], -v[4:5]
	s_waitcnt vmcnt(2)
	v_pk_mov_b32 v[244:245], v[10:11], v[10:11] op_sel:[0,1]
	s_waitcnt vmcnt(0)
	v_pk_mov_b32 v[128:129], v[88:89], v[88:89] op_sel:[0,1]
	buffer_load_dword v89, off, s[0:3], 0 offset:476
	buffer_load_dword v88, off, s[0:3], 0 offset:472
	;; [unrolled: 1-line block ×6, first 2 shown]
	v_accvgpr_write_b32 a180, v244
	v_accvgpr_write_b32 a181, v245
	;; [unrolled: 1-line block ×4, first 2 shown]
	s_waitcnt vmcnt(0)
	v_pk_mov_b32 v[232:233], v[122:123], v[122:123] op_sel:[0,1]
	buffer_load_dword v123, off, s[0:3], 0 offset:516
	buffer_load_dword v122, off, s[0:3], 0 offset:512
	;; [unrolled: 1-line block ×4, first 2 shown]
	v_accvgpr_write_b32 a190, v232
	v_accvgpr_write_b32 a191, v233
	s_waitcnt vmcnt(2)
	v_accvgpr_write_b32 a193, v123
	v_accvgpr_write_b32 a192, v122
	s_waitcnt vmcnt(0)
	v_pk_mov_b32 v[234:235], v[150:151], v[150:151] op_sel:[0,1]
	buffer_load_dword v151, off, s[0:3], 0 offset:500
	buffer_load_dword v150, off, s[0:3], 0 offset:496
	ds_read_b128 v[158:161], v12 offset:1152
	ds_read_b128 v[162:165], v12 offset:1168
	;; [unrolled: 1-line block ×8, first 2 shown]
	v_accvgpr_write_b32 a194, v234
	v_accvgpr_write_b32 a195, v235
	ds_read_b128 v[154:157], v12 offset:1136
	s_waitcnt vmcnt(0)
	v_pk_mov_b32 v[236:237], v[150:151], v[150:151] op_sel:[0,1]
	ds_read_b128 v[150:153], v12 offset:1120
	v_accvgpr_write_b32 a196, v236
	v_accvgpr_write_b32 a197, v237
	s_waitcnt lgkmcnt(0)
	v_mul_f64 v[120:121], v[150:151], v[62:63]
	v_fmac_f64_e32 v[120:121], v[152:153], v[182:183]
	v_add_f64 v[118:119], v[118:119], v[120:121]
	v_mul_f64 v[120:121], v[154:155], v[48:49]
	v_fmac_f64_e32 v[120:121], v[156:157], v[46:47]
	v_add_f64 v[118:119], v[118:119], v[120:121]
	;; [unrolled: 3-line block ×8, first 2 shown]
	buffer_load_dword v121, off, s[0:3], 0 offset:540
	buffer_load_dword v120, off, s[0:3], 0 offset:536
	s_waitcnt vmcnt(0)
	v_pk_mov_b32 v[238:239], v[120:121], v[120:121] op_sel:[0,1]
	buffer_load_dword v121, off, s[0:3], 0 offset:532
	buffer_load_dword v120, off, s[0:3], 0 offset:528
	;; [unrolled: 1-line block ×6, first 2 shown]
	ds_read_b128 v[80:83], v12 offset:1280
	ds_read_b128 v[198:201], v12 offset:1296
	v_accvgpr_write_b32 a198, v238
	v_accvgpr_write_b32 a199, v239
	s_waitcnt lgkmcnt(1)
	v_mul_f64 v[204:205], v[80:81], v[54:55]
	v_fmac_f64_e32 v[204:205], v[82:83], v[60:61]
	s_waitcnt lgkmcnt(0)
	v_mul_f64 v[208:209], v[198:199], v[56:57]
	v_fmac_f64_e32 v[208:209], v[200:201], v[58:59]
	v_mul_f64 v[56:57], v[200:201], v[56:57]
	s_waitcnt vmcnt(1)
	v_accvgpr_write_b32 a203, v11
	v_pk_mov_b32 v[240:241], v[120:121], v[120:121] op_sel:[0,1]
	v_mul_f64 v[120:121], v[186:187], v[72:73]
	v_fmac_f64_e32 v[120:121], v[188:189], v[74:75]
	v_add_f64 v[118:119], v[118:119], v[120:121]
	v_mul_f64 v[120:121], v[190:191], v[50:51]
	v_fmac_f64_e32 v[120:121], v[192:193], v[52:53]
	v_add_f64 v[202:203], v[118:119], v[120:121]
	buffer_load_dword v119, off, s[0:3], 0 offset:572
	buffer_load_dword v118, off, s[0:3], 0 offset:568
	v_add_f64 v[206:207], v[202:203], v[204:205]
	v_add_f64 v[6:7], v[206:207], v[208:209]
	v_accvgpr_write_b32 a200, v240
	v_accvgpr_write_b32 a201, v241
	;; [unrolled: 1-line block ×3, first 2 shown]
	s_waitcnt vmcnt(2)
	v_accvgpr_write_b32 a205, v195
	v_accvgpr_write_b32 a204, v194
	s_waitcnt vmcnt(0)
	v_pk_mov_b32 v[120:121], v[118:119], v[118:119] op_sel:[0,1]
	buffer_load_dword v119, off, s[0:3], 0 offset:564
	buffer_load_dword v118, off, s[0:3], 0 offset:560
	;; [unrolled: 1-line block ×10, first 2 shown]
	ds_read_b128 v[202:205], v12 offset:1312
	ds_read_b128 v[100:103], v12 offset:1328
	;; [unrolled: 1-line block ×5, first 2 shown]
	s_waitcnt lgkmcnt(4)
	v_mul_f64 v[8:9], v[202:203], v[64:65]
	v_fmac_f64_e32 v[8:9], v[204:205], v[66:67]
	v_add_f64 v[6:7], v[6:7], v[8:9]
	s_waitcnt lgkmcnt(3)
	v_mul_f64 v[8:9], v[100:101], v[68:69]
	v_fmac_f64_e32 v[8:9], v[102:103], v[70:71]
	s_waitcnt lgkmcnt(2)
	v_mul_f64 v[0:1], v[206:207], v[76:77]
	v_add_f64 v[6:7], v[6:7], v[8:9]
	v_fmac_f64_e32 v[0:1], v[208:209], v[78:79]
	s_waitcnt lgkmcnt(1)
	v_mul_f64 v[2:3], v[104:105], v[196:197]
	v_add_f64 v[0:1], v[6:7], v[0:1]
	v_fmac_f64_e32 v[2:3], v[106:107], v[116:117]
	v_add_f64 v[8:9], v[0:1], v[2:3]
	ds_read_b128 v[0:3], v12 offset:1392
	s_waitcnt lgkmcnt(1)
	v_mul_f64 v[14:15], v[108:109], v[88:89]
	ds_read_b128 v[4:7], v12 offset:1408
	ds_read_b128 v[112:115], v12 offset:1424
	v_fmac_f64_e32 v[14:15], v[110:111], v[90:91]
	v_add_f64 v[14:15], v[8:9], v[14:15]
	v_mul_f64 v[8:9], v[254:255], v[230:231]
	s_waitcnt lgkmcnt(2)
	v_mul_f64 v[32:33], v[0:1], v[244:245]
	v_fma_f64 v[230:231], v[252:253], v[246:247], -v[8:9]
	ds_read_b128 v[252:255], v12 offset:1440
	ds_read_b128 v[246:249], v12 offset:1456
	v_fmac_f64_e32 v[32:33], v[2:3], v[128:129]
	v_accvgpr_write_b32 a177, v3
	v_accvgpr_write_b32 a176, v2
	;; [unrolled: 1-line block ×4, first 2 shown]
	v_add_f64 v[0:1], v[14:15], v[32:33]
	s_waitcnt lgkmcnt(3)
	v_mul_f64 v[14:15], v[4:5], v[234:235]
	v_fmac_f64_e32 v[14:15], v[6:7], v[236:237]
	v_add_f64 v[0:1], v[0:1], v[14:15]
	s_waitcnt lgkmcnt(2)
	v_mul_f64 v[14:15], v[112:113], v[232:233]
	v_fma_f64 v[232:233], v[130:131], v[242:243], -v[16:17]
	ds_read_b128 v[242:245], v12 offset:1472
	s_waitcnt lgkmcnt(2)
	v_mul_f64 v[34:35], v[252:253], v[238:239]
	v_fmac_f64_e32 v[14:15], v[114:115], v[122:123]
	v_fmac_f64_e32 v[34:35], v[254:255], v[240:241]
	v_fma_f64 v[122:123], v[134:135], v[250:251], -v[20:21]
	buffer_load_dword v128, off, s[0:3], 0 offset:616
	buffer_load_dword v250, off, s[0:3], 0 offset:608
	buffer_load_dword v129, off, s[0:3], 0 offset:620
	buffer_load_dword v251, off, s[0:3], 0 offset:612
	ds_read_b128 v[238:241], v12 offset:1488
	ds_read_b128 v[234:237], v12 offset:1504
	v_add_f64 v[32:33], v[0:1], v[14:15]
	s_waitcnt lgkmcnt(3)
	v_mul_f64 v[2:3], v[246:247], v[10:11]
	v_add_f64 v[32:33], v[32:33], v[34:35]
	v_fmac_f64_e32 v[2:3], v[248:249], v[194:195]
	v_add_f64 v[2:3], v[32:33], v[2:3]
	s_waitcnt lgkmcnt(2)
	v_mul_f64 v[32:33], v[242:243], v[120:121]
	v_accvgpr_write_b32 a207, v121
	v_accvgpr_write_b32 a206, v120
	v_fma_f64 v[130:131], v[138:139], v[26:27], -v[24:25]
	v_accvgpr_write_b32 a189, v115
	v_accvgpr_write_b32 a188, v114
	;; [unrolled: 1-line block ×4, first 2 shown]
	v_fma_f64 v[112:113], v[142:143], v[30:31], -v[28:29]
	v_accvgpr_write_b32 a185, v7
	v_accvgpr_write_b32 a184, v6
	v_accvgpr_write_b32 a183, v5
	v_accvgpr_write_b32 a182, v4
	v_mul_f64 v[6:7], v[38:39], v[42:43]
	v_mul_f64 v[10:11], v[160:161], v[216:217]
	;; [unrolled: 1-line block ×3, first 2 shown]
	v_fma_f64 v[34:35], v[158:159], v[218:219], -v[10:11]
	v_fma_f64 v[14:15], v[170:171], v[98:99], -v[14:15]
	v_mul_f64 v[64:65], v[204:205], v[64:65]
	v_mul_f64 v[76:77], v[208:209], v[76:77]
	v_fma_f64 v[0:1], v[206:207], v[78:79], -v[76:77]
	s_waitcnt vmcnt(10)
	v_accvgpr_write_b32 a211, v23
	v_accvgpr_write_b32 a210, v22
	s_waitcnt vmcnt(8)
	v_pk_mov_b32 v[120:121], v[126:127], v[126:127] op_sel:[0,1]
	v_mul_f64 v[88:89], v[110:111], v[88:89]
	v_fma_f64 v[218:219], v[108:109], v[90:91], -v[88:89]
	v_fmac_f64_e32 v[32:33], v[244:245], v[118:119]
	v_add_f64 v[2:3], v[2:3], v[32:33]
	s_waitcnt lgkmcnt(1)
	v_mul_f64 v[32:33], v[238:239], v[22:23]
	v_fmac_f64_e32 v[32:33], v[240:241], v[126:127]
	v_accvgpr_write_b32 a209, v119
	v_add_f64 v[2:3], v[2:3], v[32:33]
	s_waitcnt vmcnt(6) lgkmcnt(0)
	v_mul_f64 v[32:33], v[234:235], v[18:19]
	s_waitcnt vmcnt(4)
	v_accvgpr_write_b32 a215, v125
	v_accvgpr_write_b32 a208, v118
	v_fmac_f64_e32 v[32:33], v[236:237], v[124:125]
	v_accvgpr_write_b32 a214, v124
	ds_read_b128 v[124:127], v12 offset:1520
	buffer_load_dword v119, off, s[0:3], 0 offset:636
	buffer_load_dword v118, off, s[0:3], 0 offset:632
	;; [unrolled: 1-line block ×8, first 2 shown]
	v_add_f64 v[114:115], v[2:3], v[32:33]
	v_mul_f64 v[2:3], v[148:149], v[40:41]
	buffer_load_dword v137, off, s[0:3], 0 offset:684
	buffer_load_dword v143, off, s[0:3], 0 offset:668
	buffer_load_dword v142, off, s[0:3], 0 offset:664
	buffer_load_dword v145, off, s[0:3], 0 offset:660
	buffer_load_dword v144, off, s[0:3], 0 offset:656
	buffer_load_dword v136, off, s[0:3], 0 offset:680
	v_fma_f64 v[24:25], v[146:147], v[84:85], -v[2:3]
	buffer_load_dword v147, off, s[0:3], 0 offset:676
	buffer_load_dword v146, off, s[0:3], 0 offset:672
	v_fma_f64 v[22:23], v[36:37], v[44:45], -v[6:7]
	v_mul_f64 v[36:37], v[152:153], v[62:63]
	v_fma_f64 v[182:183], v[150:151], v[182:183], -v[36:37]
	buffer_load_dword v140, off, s[0:3], 0 offset:712
	buffer_load_dword v151, off, s[0:3], 0 offset:700
	;; [unrolled: 1-line block ×8, first 2 shown]
	v_mul_f64 v[36:37], v[156:157], v[48:49]
	v_fma_f64 v[20:21], v[154:155], v[46:47], -v[36:37]
	buffer_load_dword v155, off, s[0:3], 0 offset:732
	buffer_load_dword v154, off, s[0:3], 0 offset:728
	buffer_load_dword v157, off, s[0:3], 0 offset:724
	buffer_load_dword v156, off, s[0:3], 0 offset:720
	v_mul_f64 v[36:37], v[164:165], v[184:185]
	v_fma_f64 v[216:217], v[162:163], v[210:211], -v[36:37]
	buffer_load_dword v160, off, s[0:3], 0 offset:744
	buffer_load_dword v162, off, s[0:3], 0 offset:736
	buffer_load_dword v161, off, s[0:3], 0 offset:748
	buffer_load_dword v163, off, s[0:3], 0 offset:740
	;; [unrolled: 6-line block ×3, first 2 shown]
	buffer_load_dword v170, off, s[0:3], 0 offset:752
	buffer_load_dword v158, off, s[0:3], 0 offset:776
	;; [unrolled: 1-line block ×8, first 2 shown]
	v_mul_f64 v[36:37], v[176:177], v[94:95]
	v_fma_f64 v[28:29], v[174:175], v[96:97], -v[36:37]
	v_mul_f64 v[36:37], v[180:181], v[86:87]
	v_fma_f64 v[10:11], v[178:179], v[92:93], -v[36:37]
	buffer_load_dword v176, off, s[0:3], 0 offset:808
	buffer_load_dword v178, off, s[0:3], 0 offset:800
	;; [unrolled: 1-line block ×12, first 2 shown]
	v_mul_f64 v[40:41], v[188:189], v[72:73]
	v_fma_f64 v[8:9], v[186:187], v[74:75], -v[40:41]
	ds_read_b128 v[40:43], v12 offset:1552
	v_fma_f64 v[2:3], v[202:203], v[66:67], -v[64:65]
	ds_read_b128 v[76:79], v12 offset:1696
	ds_read_b128 v[84:87], v12 offset:1712
	v_accvgpr_write_b32 a213, v19
	v_accvgpr_write_b32 a212, v18
	s_waitcnt vmcnt(57) lgkmcnt(3)
	v_mul_f64 v[36:37], v[124:125], v[128:129]
	s_waitcnt vmcnt(56)
	v_fmac_f64_e32 v[36:37], v[126:127], v[250:251]
	v_add_f64 v[44:45], v[114:115], v[36:37]
	ds_read_b128 v[36:39], v12 offset:1536
	v_fma_f64 v[114:115], v[198:199], v[58:59], -v[56:57]
	ds_read_b128 v[56:59], v12 offset:1616
	ds_read_b128 v[88:91], v12 offset:1744
	;; [unrolled: 1-line block ×3, first 2 shown]
	s_waitcnt vmcnt(54) lgkmcnt(3)
	v_mul_f64 v[46:47], v[36:37], v[118:119]
	s_waitcnt vmcnt(52)
	v_fmac_f64_e32 v[46:47], v[38:39], v[134:135]
	v_add_f64 v[48:49], v[44:45], v[46:47]
	v_mul_f64 v[44:45], v[192:193], v[50:51]
	s_waitcnt vmcnt(49)
	v_mul_f64 v[50:51], v[40:41], v[132:133]
	v_fma_f64 v[6:7], v[190:191], v[52:53], -v[44:45]
	ds_read_b128 v[44:47], v12 offset:1568
	s_waitcnt vmcnt(48)
	v_fmac_f64_e32 v[50:51], v[42:43], v[138:139]
	v_add_f64 v[62:63], v[48:49], v[50:51]
	ds_read_b128 v[48:51], v12 offset:1584
	v_mul_f64 v[52:53], v[82:83], v[54:55]
	v_fma_f64 v[4:5], v[80:81], v[60:61], -v[52:53]
	ds_read_b128 v[52:55], v12 offset:1600
	s_waitcnt vmcnt(45) lgkmcnt(2)
	v_mul_f64 v[26:27], v[44:45], v[142:143]
	s_waitcnt vmcnt(43)
	v_fmac_f64_e32 v[26:27], v[46:47], v[144:145]
	s_waitcnt vmcnt(42) lgkmcnt(1)
	v_mul_f64 v[60:61], v[48:49], v[136:137]
	v_add_f64 v[26:27], v[62:63], v[26:27]
	s_waitcnt vmcnt(40)
	v_fmac_f64_e32 v[60:61], v[50:51], v[146:147]
	v_add_f64 v[26:27], v[26:27], v[60:61]
	s_waitcnt vmcnt(37) lgkmcnt(0)
	v_mul_f64 v[60:61], v[52:53], v[150:151]
	s_waitcnt vmcnt(35)
	v_fmac_f64_e32 v[60:61], v[54:55], v[152:153]
	v_add_f64 v[26:27], v[26:27], v[60:61]
	s_waitcnt vmcnt(33)
	v_mul_f64 v[60:61], v[56:57], v[140:141]
	s_waitcnt vmcnt(32)
	v_fmac_f64_e32 v[60:61], v[58:59], v[148:149]
	v_add_f64 v[26:27], v[26:27], v[60:61]
	ds_read_b128 v[60:63], v12 offset:1632
	s_waitcnt vmcnt(25)
	v_mul_f64 v[72:73], v[64:65], v[160:161]
	s_waitcnt vmcnt(24)
	v_fmac_f64_e32 v[72:73], v[66:67], v[162:163]
	ds_read_b128 v[80:83], v12 offset:1728
	s_waitcnt vmcnt(14)
	v_mul_f64 v[92:93], v[76:77], v[166:167]
	s_waitcnt lgkmcnt(1)
	v_mul_f64 v[32:33], v[60:61], v[154:155]
	v_fmac_f64_e32 v[32:33], v[62:63], v[156:157]
	v_add_f64 v[26:27], v[26:27], v[32:33]
	v_mul_f64 v[32:33], v[102:103], v[68:69]
	v_fma_f64 v[32:33], v[100:101], v[70:71], -v[32:33]
	ds_read_b128 v[68:71], v12 offset:1664
	v_add_f64 v[26:27], v[26:27], v[72:73]
	ds_read_b128 v[72:75], v12 offset:1680
	s_waitcnt vmcnt(12)
	v_fmac_f64_e32 v[92:93], v[78:79], v[172:173]
	buffer_load_dword v187, off, s[0:3], 0 offset:860
	buffer_load_dword v186, off, s[0:3], 0 offset:856
	;; [unrolled: 1-line block ×4, first 2 shown]
	s_waitcnt lgkmcnt(1)
	v_mul_f64 v[30:31], v[68:69], v[164:165]
	v_fmac_f64_e32 v[30:31], v[70:71], v[170:171]
	v_add_f64 v[26:27], v[26:27], v[30:31]
	s_waitcnt lgkmcnt(0)
	v_mul_f64 v[30:31], v[72:73], v[158:159]
	v_fmac_f64_e32 v[30:31], v[74:75], v[168:169]
	v_add_f64 v[30:31], v[26:27], v[30:31]
	v_add_f64 v[30:31], v[30:31], v[92:93]
	s_waitcnt vmcnt(13)
	v_mul_f64 v[92:93], v[84:85], v[176:177]
	s_waitcnt vmcnt(12)
	v_fmac_f64_e32 v[92:93], v[86:87], v[178:179]
	v_add_f64 v[30:31], v[30:31], v[92:93]
	s_waitcnt vmcnt(9)
	v_mul_f64 v[92:93], v[80:81], v[226:227]
	s_waitcnt vmcnt(7)
	v_fmac_f64_e32 v[92:93], v[82:83], v[184:185]
	;; [unrolled: 5-line block ×3, first 2 shown]
	v_add_f64 v[30:31], v[30:31], v[92:93]
	ds_read_b128 v[92:95], v12 offset:1760
	buffer_load_dword v190, off, s[0:3], 0 offset:872
	buffer_load_dword v191, off, s[0:3], 0 offset:876
	buffer_load_dword v192, off, s[0:3], 0 offset:864
	buffer_load_dword v193, off, s[0:3], 0 offset:868
	v_mul_f64 v[26:27], v[106:107], v[196:197]
	v_fma_f64 v[26:27], v[104:105], v[116:117], -v[26:27]
	s_waitcnt vmcnt(6) lgkmcnt(0)
	v_mul_f64 v[96:97], v[92:93], v[186:187]
	s_waitcnt vmcnt(4)
	v_fmac_f64_e32 v[96:97], v[94:95], v[188:189]
	v_add_f64 v[30:31], v[30:31], v[96:97]
	ds_read_b128 v[96:99], v12 offset:1776
	buffer_load_dword v195, off, s[0:3], 0 offset:892
	buffer_load_dword v194, off, s[0:3], 0 offset:888
	buffer_load_dword v197, off, s[0:3], 0 offset:884
	buffer_load_dword v196, off, s[0:3], 0 offset:880
	s_waitcnt vmcnt(6) lgkmcnt(0)
	v_mul_f64 v[100:101], v[96:97], v[190:191]
	s_waitcnt vmcnt(4)
	v_fmac_f64_e32 v[100:101], v[98:99], v[192:193]
	v_add_f64 v[30:31], v[30:31], v[100:101]
	ds_read_b128 v[100:103], v12 offset:1792
	buffer_load_dword v198, off, s[0:3], 0 offset:904
	buffer_load_dword v199, off, s[0:3], 0 offset:908
	buffer_load_dword v200, off, s[0:3], 0 offset:896
	buffer_load_dword v201, off, s[0:3], 0 offset:900
	;; [unrolled: 10-line block ×4, first 2 shown]
	ds_read_b128 v[222:225], v12 offset:1840
	s_waitcnt vmcnt(6) lgkmcnt(1)
	v_mul_f64 v[206:207], v[108:109], v[202:203]
	s_waitcnt vmcnt(4)
	v_fmac_f64_e32 v[206:207], v[110:111], v[204:205]
	v_add_f64 v[30:31], v[30:31], v[206:207]
	s_waitcnt vmcnt(2) lgkmcnt(0)
	v_mul_f64 v[206:207], v[222:223], v[208:209]
	s_waitcnt vmcnt(0)
	v_fmac_f64_e32 v[206:207], v[224:225], v[210:211]
	v_add_f64 v[206:207], v[30:31], v[206:207]
	v_add_f64 v[30:31], v[212:213], 0
	;; [unrolled: 1-line block ×25, first 2 shown]
	buffer_load_dword v214, off, s[0:3], 0 offset:16
	buffer_load_dword v215, off, s[0:3], 0 offset:20
	v_add_f64 v[2:3], v[2:3], v[32:33]
	buffer_load_dword v212, off, s[0:3], 0 offset:24
	buffer_load_dword v213, off, s[0:3], 0 offset:28
	v_add_f64 v[220:221], v[2:3], v[0:1]
	v_accvgpr_read_b32 v4, a174
	v_accvgpr_read_b32 v2, a180
	;; [unrolled: 1-line block ×5, first 2 shown]
	v_mul_f64 v[2:3], v[6:7], v[2:3]
	v_accvgpr_read_b32 v6, a178
	v_add_f64 v[0:1], v[220:221], v[26:27]
	v_accvgpr_read_b32 v5, a175
	v_accvgpr_read_b32 v7, a179
	v_add_f64 v[0:1], v[0:1], v[218:219]
	v_fma_f64 v[2:3], v[4:5], v[6:7], -v[2:3]
	v_add_f64 v[0:1], v[0:1], v[2:3]
	v_accvgpr_read_b32 v4, a182
	v_accvgpr_read_b32 v2, a194
	;; [unrolled: 1-line block ×5, first 2 shown]
	v_mul_f64 v[2:3], v[6:7], v[2:3]
	v_accvgpr_read_b32 v6, a196
	v_accvgpr_read_b32 v5, a183
	v_accvgpr_read_b32 v7, a197
	v_fma_f64 v[2:3], v[4:5], v[6:7], -v[2:3]
	v_add_f64 v[0:1], v[0:1], v[2:3]
	v_accvgpr_read_b32 v4, a186
	v_accvgpr_read_b32 v2, a190
	;; [unrolled: 1-line block ×5, first 2 shown]
	v_mul_f64 v[2:3], v[6:7], v[2:3]
	v_accvgpr_read_b32 v6, a192
	v_accvgpr_read_b32 v5, a187
	;; [unrolled: 1-line block ×3, first 2 shown]
	v_fma_f64 v[2:3], v[4:5], v[6:7], -v[2:3]
	v_add_f64 v[0:1], v[0:1], v[2:3]
	v_accvgpr_read_b32 v2, a198
	v_accvgpr_read_b32 v3, a199
	v_accvgpr_read_b32 v4, a200
	v_mul_f64 v[2:3], v[254:255], v[2:3]
	v_accvgpr_read_b32 v5, a201
	v_fma_f64 v[2:3], v[252:253], v[4:5], -v[2:3]
	v_add_f64 v[0:1], v[0:1], v[2:3]
	v_accvgpr_read_b32 v2, a202
	v_accvgpr_read_b32 v3, a203
	v_accvgpr_read_b32 v4, a204
	v_mul_f64 v[2:3], v[248:249], v[2:3]
	v_accvgpr_read_b32 v5, a205
	;; [unrolled: 7-line block ×3, first 2 shown]
	v_fma_f64 v[2:3], v[242:243], v[4:5], -v[2:3]
	v_add_f64 v[0:1], v[0:1], v[2:3]
	v_accvgpr_read_b32 v2, a210
	v_accvgpr_read_b32 v3, a211
	v_mul_f64 v[2:3], v[240:241], v[2:3]
	v_fma_f64 v[2:3], v[238:239], v[120:121], -v[2:3]
	v_add_f64 v[0:1], v[0:1], v[2:3]
	v_accvgpr_read_b32 v2, a212
	v_accvgpr_read_b32 v3, a213
	;; [unrolled: 1-line block ×3, first 2 shown]
	v_mul_f64 v[2:3], v[236:237], v[2:3]
	v_accvgpr_read_b32 v5, a215
	v_fma_f64 v[2:3], v[234:235], v[4:5], -v[2:3]
	v_add_f64 v[0:1], v[0:1], v[2:3]
	v_mul_f64 v[2:3], v[126:127], v[128:129]
	v_fma_f64 v[2:3], v[124:125], v[250:251], -v[2:3]
	v_add_f64 v[0:1], v[0:1], v[2:3]
	v_mul_f64 v[2:3], v[38:39], v[118:119]
	;; [unrolled: 3-line block ×21, first 2 shown]
	v_fma_f64 v[2:3], v[222:223], v[210:211], -v[2:3]
	v_add_f64 v[0:1], v[0:1], v[2:3]
	s_waitcnt vmcnt(2)
	v_add_f64 v[0:1], v[214:215], -v[0:1]
	s_waitcnt vmcnt(0)
	v_add_f64 v[2:3], v[212:213], -v[206:207]
	buffer_store_dword v1, off, s[0:3], 0 offset:20
	buffer_store_dword v0, off, s[0:3], 0 offset:16
	;; [unrolled: 1-line block ×4, first 2 shown]
	s_cbranch_vccz .LBB121_477
; %bb.362:
	v_pk_mov_b32 v[0:1], s[10:11], s[10:11] op_sel:[0,1]
	flat_load_dword v0, v[0:1] offset:224
	s_waitcnt vmcnt(0) lgkmcnt(0)
	v_add_u32_e32 v0, -1, v0
	v_cmp_ne_u32_e32 vcc, 56, v0
	s_and_saveexec_b64 s[4:5], vcc
	s_cbranch_execz .LBB121_364
; %bb.363:
	v_mov_b32_e32 v1, 16
	v_accvgpr_read_b32 v9, a117
	v_lshl_add_u32 v0, v0, 4, v1
	buffer_load_dword v1, v9, s[0:3], 0 offen offset:4
	buffer_load_dword v2, v9, s[0:3], 0 offen offset:8
	buffer_load_dword v3, v9, s[0:3], 0 offen offset:12
	buffer_load_dword v4, v0, s[0:3], 0 offen
	buffer_load_dword v5, v0, s[0:3], 0 offen offset:4
	buffer_load_dword v6, v0, s[0:3], 0 offen offset:8
	buffer_load_dword v7, v0, s[0:3], 0 offen offset:12
	buffer_load_dword v8, v9, s[0:3], 0 offen
	s_waitcnt vmcnt(4)
	buffer_store_dword v4, v9, s[0:3], 0 offen
	s_waitcnt vmcnt(4)
	buffer_store_dword v5, v9, s[0:3], 0 offen offset:4
	s_waitcnt vmcnt(4)
	buffer_store_dword v6, v9, s[0:3], 0 offen offset:8
	s_waitcnt vmcnt(4)
	buffer_store_dword v7, v9, s[0:3], 0 offen offset:12
	buffer_store_dword v3, v0, s[0:3], 0 offen offset:12
	buffer_store_dword v2, v0, s[0:3], 0 offen offset:8
	buffer_store_dword v1, v0, s[0:3], 0 offen offset:4
	s_waitcnt vmcnt(7)
	buffer_store_dword v8, v0, s[0:3], 0 offen
.LBB121_364:
	s_or_b64 exec, exec, s[4:5]
	v_pk_mov_b32 v[0:1], s[10:11], s[10:11] op_sel:[0,1]
	flat_load_dword v0, v[0:1] offset:220
	s_waitcnt vmcnt(0) lgkmcnt(0)
	v_add_u32_e32 v0, -1, v0
	v_cmp_ne_u32_e32 vcc, 55, v0
	s_and_saveexec_b64 s[4:5], vcc
	s_cbranch_execz .LBB121_366
; %bb.365:
	v_mov_b32_e32 v1, 16
	v_accvgpr_read_b32 v9, a118
	v_lshl_add_u32 v0, v0, 4, v1
	buffer_load_dword v1, v9, s[0:3], 0 offen offset:4
	buffer_load_dword v2, v9, s[0:3], 0 offen offset:8
	buffer_load_dword v3, v9, s[0:3], 0 offen offset:12
	buffer_load_dword v4, v0, s[0:3], 0 offen
	buffer_load_dword v5, v0, s[0:3], 0 offen offset:4
	buffer_load_dword v6, v0, s[0:3], 0 offen offset:8
	buffer_load_dword v7, v0, s[0:3], 0 offen offset:12
	buffer_load_dword v8, v9, s[0:3], 0 offen
	s_waitcnt vmcnt(4)
	buffer_store_dword v4, v9, s[0:3], 0 offen
	s_waitcnt vmcnt(4)
	buffer_store_dword v5, v9, s[0:3], 0 offen offset:4
	s_waitcnt vmcnt(4)
	buffer_store_dword v6, v9, s[0:3], 0 offen offset:8
	s_waitcnt vmcnt(4)
	buffer_store_dword v7, v9, s[0:3], 0 offen offset:12
	buffer_store_dword v3, v0, s[0:3], 0 offen offset:12
	buffer_store_dword v2, v0, s[0:3], 0 offen offset:8
	buffer_store_dword v1, v0, s[0:3], 0 offen offset:4
	s_waitcnt vmcnt(7)
	buffer_store_dword v8, v0, s[0:3], 0 offen
.LBB121_366:
	s_or_b64 exec, exec, s[4:5]
	;; [unrolled: 34-line block ×56, first 2 shown]
	v_pk_mov_b32 v[0:1], s[10:11], s[10:11] op_sel:[0,1]
	flat_load_dword v0, v[0:1]
	s_waitcnt vmcnt(0) lgkmcnt(0)
	v_add_u32_e32 v0, -1, v0
	v_cmp_ne_u32_e32 vcc, 0, v0
	s_and_saveexec_b64 s[4:5], vcc
	s_cbranch_execz .LBB121_476
; %bb.475:
	v_mov_b32_e32 v1, 16
	v_lshl_add_u32 v0, v0, 4, v1
	buffer_load_dword v1, v0, s[0:3], 0 offen
	buffer_load_dword v2, v0, s[0:3], 0 offen offset:4
	buffer_load_dword v3, v0, s[0:3], 0 offen offset:8
	;; [unrolled: 1-line block ×3, first 2 shown]
	buffer_load_dword v5, off, s[0:3], 0 offset:28
	buffer_load_dword v6, off, s[0:3], 0 offset:24
	;; [unrolled: 1-line block ×4, first 2 shown]
	s_waitcnt vmcnt(7)
	buffer_store_dword v1, off, s[0:3], 0 offset:16
	s_waitcnt vmcnt(7)
	buffer_store_dword v2, off, s[0:3], 0 offset:20
	;; [unrolled: 2-line block ×4, first 2 shown]
	s_waitcnt vmcnt(7)
	buffer_store_dword v5, v0, s[0:3], 0 offen offset:12
	s_waitcnt vmcnt(7)
	buffer_store_dword v6, v0, s[0:3], 0 offen offset:8
	;; [unrolled: 2-line block ×3, first 2 shown]
	s_waitcnt vmcnt(7)
	buffer_store_dword v8, v0, s[0:3], 0 offen
.LBB121_476:
	s_or_b64 exec, exec, s[4:5]
.LBB121_477:
	buffer_load_dword v0, off, s[0:3], 0 offset:16
	buffer_load_dword v1, off, s[0:3], 0 offset:20
	;; [unrolled: 1-line block ×4, first 2 shown]
	v_accvgpr_read_b32 v4, a114
	v_accvgpr_read_b32 v5, a115
	s_waitcnt vmcnt(0)
	global_store_dwordx4 v[4:5], v[0:3], off
	s_nop 0
	v_accvgpr_read_b32 v3, a172
	buffer_load_dword v0, v3, s[0:3], 0 offen
	buffer_load_dword v1, v3, s[0:3], 0 offen offset:4
	buffer_load_dword v2, v3, s[0:3], 0 offen offset:8
	s_nop 0
	buffer_load_dword v3, v3, s[0:3], 0 offen offset:12
	v_accvgpr_read_b32 v4, a110
	v_accvgpr_read_b32 v5, a111
	s_waitcnt vmcnt(0)
	global_store_dwordx4 v[4:5], v[0:3], off
	s_nop 0
	v_accvgpr_read_b32 v3, a171
	buffer_load_dword v0, v3, s[0:3], 0 offen
	buffer_load_dword v1, v3, s[0:3], 0 offen offset:4
	buffer_load_dword v2, v3, s[0:3], 0 offen offset:8
	s_nop 0
	buffer_load_dword v3, v3, s[0:3], 0 offen offset:12
	;; [unrolled: 11-line block ×16, first 2 shown]
	v_accvgpr_read_b32 v4, a34
	v_accvgpr_read_b32 v5, a35
	s_waitcnt vmcnt(0)
	global_store_dwordx4 v[4:5], v[0:3], off
	v_accvgpr_read_b32 v4, a156
	buffer_load_dword v0, v4, s[0:3], 0 offen
	buffer_load_dword v1, v4, s[0:3], 0 offen offset:4
	buffer_load_dword v2, v4, s[0:3], 0 offen offset:8
	buffer_load_dword v3, v4, s[0:3], 0 offen offset:12
	v_accvgpr_read_b32 v4, a112
	v_accvgpr_read_b32 v5, a113
	s_waitcnt vmcnt(0)
	global_store_dwordx4 v[4:5], v[0:3], off
	v_accvgpr_read_b32 v4, a155
	buffer_load_dword v0, v4, s[0:3], 0 offen
	buffer_load_dword v1, v4, s[0:3], 0 offen offset:4
	buffer_load_dword v2, v4, s[0:3], 0 offen offset:8
	buffer_load_dword v3, v4, s[0:3], 0 offen offset:12
	;; [unrolled: 9-line block ×41, first 2 shown]
	v_accvgpr_read_b32 v5, a1
	v_accvgpr_read_b32 v4, a0
	s_waitcnt vmcnt(0)
	global_store_dwordx4 v[4:5], v[0:3], off
	s_endpgm
	.section	.rodata,"a",@progbits
	.p2align	6, 0x0
	.amdhsa_kernel _ZN9rocsolver6v33100L18getri_kernel_smallILi58E19rocblas_complex_numIdEPKPS3_EEvT1_iilPiilS8_bb
		.amdhsa_group_segment_fixed_size 1864
		.amdhsa_private_segment_fixed_size 960
		.amdhsa_kernarg_size 60
		.amdhsa_user_sgpr_count 8
		.amdhsa_user_sgpr_private_segment_buffer 1
		.amdhsa_user_sgpr_dispatch_ptr 0
		.amdhsa_user_sgpr_queue_ptr 0
		.amdhsa_user_sgpr_kernarg_segment_ptr 1
		.amdhsa_user_sgpr_dispatch_id 0
		.amdhsa_user_sgpr_flat_scratch_init 1
		.amdhsa_user_sgpr_kernarg_preload_length 0
		.amdhsa_user_sgpr_kernarg_preload_offset 0
		.amdhsa_user_sgpr_private_segment_size 0
		.amdhsa_uses_dynamic_stack 0
		.amdhsa_system_sgpr_private_segment_wavefront_offset 1
		.amdhsa_system_sgpr_workgroup_id_x 1
		.amdhsa_system_sgpr_workgroup_id_y 0
		.amdhsa_system_sgpr_workgroup_id_z 0
		.amdhsa_system_sgpr_workgroup_info 0
		.amdhsa_system_vgpr_workitem_id 0
		.amdhsa_next_free_vgpr 472
		.amdhsa_next_free_sgpr 22
		.amdhsa_accum_offset 256
		.amdhsa_reserve_vcc 1
		.amdhsa_reserve_flat_scratch 1
		.amdhsa_float_round_mode_32 0
		.amdhsa_float_round_mode_16_64 0
		.amdhsa_float_denorm_mode_32 3
		.amdhsa_float_denorm_mode_16_64 3
		.amdhsa_dx10_clamp 1
		.amdhsa_ieee_mode 1
		.amdhsa_fp16_overflow 0
		.amdhsa_tg_split 0
		.amdhsa_exception_fp_ieee_invalid_op 0
		.amdhsa_exception_fp_denorm_src 0
		.amdhsa_exception_fp_ieee_div_zero 0
		.amdhsa_exception_fp_ieee_overflow 0
		.amdhsa_exception_fp_ieee_underflow 0
		.amdhsa_exception_fp_ieee_inexact 0
		.amdhsa_exception_int_div_zero 0
	.end_amdhsa_kernel
	.section	.text._ZN9rocsolver6v33100L18getri_kernel_smallILi58E19rocblas_complex_numIdEPKPS3_EEvT1_iilPiilS8_bb,"axG",@progbits,_ZN9rocsolver6v33100L18getri_kernel_smallILi58E19rocblas_complex_numIdEPKPS3_EEvT1_iilPiilS8_bb,comdat
.Lfunc_end121:
	.size	_ZN9rocsolver6v33100L18getri_kernel_smallILi58E19rocblas_complex_numIdEPKPS3_EEvT1_iilPiilS8_bb, .Lfunc_end121-_ZN9rocsolver6v33100L18getri_kernel_smallILi58E19rocblas_complex_numIdEPKPS3_EEvT1_iilPiilS8_bb
                                        ; -- End function
	.section	.AMDGPU.csdata,"",@progbits
; Kernel info:
; codeLenInByte = 209436
; NumSgprs: 28
; NumVgprs: 256
; NumAgprs: 216
; TotalNumVgprs: 472
; ScratchSize: 960
; MemoryBound: 0
; FloatMode: 240
; IeeeMode: 1
; LDSByteSize: 1864 bytes/workgroup (compile time only)
; SGPRBlocks: 3
; VGPRBlocks: 58
; NumSGPRsForWavesPerEU: 28
; NumVGPRsForWavesPerEU: 472
; AccumOffset: 256
; Occupancy: 1
; WaveLimiterHint : 1
; COMPUTE_PGM_RSRC2:SCRATCH_EN: 1
; COMPUTE_PGM_RSRC2:USER_SGPR: 8
; COMPUTE_PGM_RSRC2:TRAP_HANDLER: 0
; COMPUTE_PGM_RSRC2:TGID_X_EN: 1
; COMPUTE_PGM_RSRC2:TGID_Y_EN: 0
; COMPUTE_PGM_RSRC2:TGID_Z_EN: 0
; COMPUTE_PGM_RSRC2:TIDIG_COMP_CNT: 0
; COMPUTE_PGM_RSRC3_GFX90A:ACCUM_OFFSET: 63
; COMPUTE_PGM_RSRC3_GFX90A:TG_SPLIT: 0
	.section	.text._ZN9rocsolver6v33100L18getri_kernel_smallILi59E19rocblas_complex_numIdEPKPS3_EEvT1_iilPiilS8_bb,"axG",@progbits,_ZN9rocsolver6v33100L18getri_kernel_smallILi59E19rocblas_complex_numIdEPKPS3_EEvT1_iilPiilS8_bb,comdat
	.globl	_ZN9rocsolver6v33100L18getri_kernel_smallILi59E19rocblas_complex_numIdEPKPS3_EEvT1_iilPiilS8_bb ; -- Begin function _ZN9rocsolver6v33100L18getri_kernel_smallILi59E19rocblas_complex_numIdEPKPS3_EEvT1_iilPiilS8_bb
	.p2align	8
	.type	_ZN9rocsolver6v33100L18getri_kernel_smallILi59E19rocblas_complex_numIdEPKPS3_EEvT1_iilPiilS8_bb,@function
_ZN9rocsolver6v33100L18getri_kernel_smallILi59E19rocblas_complex_numIdEPKPS3_EEvT1_iilPiilS8_bb: ; @_ZN9rocsolver6v33100L18getri_kernel_smallILi59E19rocblas_complex_numIdEPKPS3_EEvT1_iilPiilS8_bb
; %bb.0:
	s_add_u32 flat_scratch_lo, s6, s9
	s_addc_u32 flat_scratch_hi, s7, 0
	s_add_u32 s0, s0, s9
	v_mov_b32_e32 v228, v0
	s_addc_u32 s1, s1, 0
	v_cmp_gt_u32_e32 vcc, 59, v228
	s_and_saveexec_b64 s[6:7], vcc
	s_cbranch_execz .LBB122_250
; %bb.1:
	s_load_dword s18, s[4:5], 0x38
	s_load_dwordx2 s[6:7], s[4:5], 0x0
	s_load_dwordx4 s[12:15], s[4:5], 0x28
	s_waitcnt lgkmcnt(0)
	s_bitcmp1_b32 s18, 8
	s_cselect_b64 s[16:17], -1, 0
	s_ashr_i32 s9, s8, 31
	s_lshl_b64 s[10:11], s[8:9], 3
	s_add_u32 s6, s6, s10
	s_addc_u32 s7, s7, s11
	s_load_dwordx2 s[6:7], s[6:7], 0x0
	s_bfe_u32 s10, s18, 0x10008
	s_cmp_eq_u32 s10, 0
                                        ; implicit-def: $sgpr10_sgpr11
	s_cbranch_scc1 .LBB122_3
; %bb.2:
	s_load_dword s10, s[4:5], 0x20
	s_load_dwordx2 s[20:21], s[4:5], 0x18
	s_mul_i32 s11, s8, s13
	s_mul_hi_u32 s13, s8, s12
	s_add_i32 s13, s13, s11
	s_mul_i32 s19, s9, s12
	s_add_i32 s13, s13, s19
	s_mul_i32 s12, s8, s12
	s_waitcnt lgkmcnt(0)
	s_ashr_i32 s11, s10, 31
	s_lshl_b64 s[12:13], s[12:13], 2
	s_add_u32 s12, s20, s12
	s_addc_u32 s13, s21, s13
	s_lshl_b64 s[10:11], s[10:11], 2
	s_add_u32 s10, s12, s10
	s_addc_u32 s11, s13, s11
.LBB122_3:
	s_load_dwordx2 s[4:5], s[4:5], 0x8
	v_lshlrev_b32_e32 v1, 4, v228
	s_waitcnt lgkmcnt(0)
	s_ashr_i32 s13, s4, 31
	s_mov_b32 s12, s4
	s_lshl_b64 s[12:13], s[12:13], 4
	s_add_u32 s6, s6, s12
	s_addc_u32 s7, s7, s13
	v_mov_b32_e32 v0, s7
	v_add_co_u32_e32 v2, vcc, s6, v1
	s_ashr_i32 s13, s5, 31
	s_mov_b32 s12, s5
	s_add_i32 s4, s5, s5
	v_addc_co_u32_e32 v3, vcc, 0, v0, vcc
	s_lshl_b64 s[12:13], s[12:13], 4
	v_add_u32_e32 v14, s4, v228
	v_mov_b32_e32 v0, s13
	v_add_co_u32_e32 v4, vcc, s12, v2
	v_accvgpr_write_b32 a0, v2
	v_ashrrev_i32_e32 v15, 31, v14
	v_accvgpr_write_b32 a1, v3
	v_addc_co_u32_e32 v5, vcc, v3, v0, vcc
	v_lshlrev_b64 v[2:3], 4, v[14:15]
	v_add_u32_e32 v14, s5, v14
	v_mov_b32_e32 v0, s7
	v_add_co_u32_e32 v2, vcc, s6, v2
	v_ashrrev_i32_e32 v15, 31, v14
	global_load_dwordx4 v[6:9], v1, s[6:7]
	v_addc_co_u32_e32 v3, vcc, v0, v3, vcc
	v_lshlrev_b64 v[16:17], 4, v[14:15]
	v_add_u32_e32 v14, s5, v14
	v_add_co_u32_e32 v18, vcc, s6, v16
	v_ashrrev_i32_e32 v15, 31, v14
	v_addc_co_u32_e32 v19, vcc, v0, v17, vcc
	v_add_u32_e32 v16, s5, v14
	v_lshlrev_b64 v[14:15], 4, v[14:15]
	v_add_co_u32_e32 v14, vcc, s6, v14
	global_load_dwordx4 v[10:13], v[4:5], off
	v_addc_co_u32_e32 v15, vcc, v0, v15, vcc
	v_accvgpr_write_b32 a2, v4
	v_accvgpr_write_b32 a5, v3
	v_ashrrev_i32_e32 v17, 31, v16
	v_accvgpr_write_b32 a19, v15
	v_accvgpr_write_b32 a3, v5
	;; [unrolled: 1-line block ×3, first 2 shown]
	v_add_u32_e32 v22, s5, v16
	v_lshlrev_b64 v[24:25], 4, v[16:17]
	v_accvgpr_write_b32 a6, v18
	v_accvgpr_write_b32 a18, v14
	global_load_dwordx4 v[14:17], v[14:15], off
	v_accvgpr_write_b32 a7, v19
	global_load_dwordx4 v[2:5], v[2:3], off
	v_mov_b32_e32 v27, s7
	global_load_dwordx4 v[18:21], v[18:19], off
	v_ashrrev_i32_e32 v23, 31, v22
	v_add_co_u32_e32 v24, vcc, s6, v24
	v_add_u32_e32 v26, s5, v22
	v_addc_co_u32_e32 v25, vcc, v27, v25, vcc
	v_lshlrev_b64 v[22:23], 4, v[22:23]
	v_mov_b32_e32 v28, s7
	v_ashrrev_i32_e32 v27, 31, v26
	v_add_co_u32_e32 v22, vcc, s6, v22
	v_add_u32_e32 v38, s5, v26
	v_addc_co_u32_e32 v23, vcc, v28, v23, vcc
	v_lshlrev_b64 v[30:31], 4, v[26:27]
	global_load_dwordx4 v[26:29], v[24:25], off
	v_mov_b32_e32 v32, s7
	v_ashrrev_i32_e32 v39, 31, v38
	v_add_co_u32_e32 v34, vcc, s6, v30
	v_addc_co_u32_e32 v35, vcc, v32, v31, vcc
	v_lshlrev_b64 v[30:31], 4, v[38:39]
	v_accvgpr_write_b32 a10, v24
	v_accvgpr_write_b32 a12, v22
	v_add_co_u32_e32 v36, vcc, s6, v30
	v_accvgpr_write_b32 a11, v25
	v_accvgpr_write_b32 a13, v23
	v_addc_co_u32_e32 v37, vcc, v0, v31, vcc
	global_load_dwordx4 v[30:33], v[34:35], off
	v_add_u32_e32 v38, s5, v38
	global_load_dwordx4 v[22:25], v[22:23], off
	v_accvgpr_write_b32 a8, v34
	v_accvgpr_write_b32 a14, v36
	v_ashrrev_i32_e32 v39, 31, v38
	v_accvgpr_write_b32 a9, v35
	v_accvgpr_write_b32 a15, v37
	global_load_dwordx4 v[34:37], v[36:37], off
	v_lshlrev_b64 v[40:41], 4, v[38:39]
	v_add_u32_e32 v46, s5, v38
	v_add_co_u32_e32 v40, vcc, s6, v40
	v_ashrrev_i32_e32 v47, 31, v46
	v_addc_co_u32_e32 v41, vcc, v0, v41, vcc
	v_lshlrev_b64 v[38:39], 4, v[46:47]
	v_add_co_u32_e32 v42, vcc, s6, v38
	v_accvgpr_write_b32 a16, v40
	v_addc_co_u32_e32 v43, vcc, v0, v39, vcc
	v_accvgpr_write_b32 a17, v41
	global_load_dwordx4 v[38:41], v[40:41], off
	v_add_u32_e32 v46, s5, v46
	v_accvgpr_write_b32 a20, v42
	v_ashrrev_i32_e32 v47, 31, v46
	v_accvgpr_write_b32 a21, v43
	global_load_dwordx4 v[42:45], v[42:43], off
	v_lshlrev_b64 v[48:49], 4, v[46:47]
	v_add_u32_e32 v54, s5, v46
	v_add_co_u32_e32 v48, vcc, s6, v48
	v_ashrrev_i32_e32 v55, 31, v54
	v_addc_co_u32_e32 v49, vcc, v0, v49, vcc
	v_lshlrev_b64 v[46:47], 4, v[54:55]
	v_add_co_u32_e32 v50, vcc, s6, v46
	v_accvgpr_write_b32 a22, v48
	v_addc_co_u32_e32 v51, vcc, v0, v47, vcc
	v_accvgpr_write_b32 a23, v49
	global_load_dwordx4 v[46:49], v[48:49], off
	v_add_u32_e32 v54, s5, v54
	v_accvgpr_write_b32 a24, v50
	v_ashrrev_i32_e32 v55, 31, v54
	;; [unrolled: 16-line block ×3, first 2 shown]
	v_accvgpr_write_b32 a29, v59
	global_load_dwordx4 v[58:61], v[58:59], off
	v_lshlrev_b64 v[64:65], 4, v[62:63]
	v_add_u32_e32 v70, s5, v62
	v_add_co_u32_e32 v64, vcc, s6, v64
	v_ashrrev_i32_e32 v71, 31, v70
	v_addc_co_u32_e32 v65, vcc, v0, v65, vcc
	v_lshlrev_b64 v[62:63], 4, v[70:71]
	v_add_co_u32_e32 v66, vcc, s6, v62
	v_accvgpr_write_b32 a30, v64
	v_addc_co_u32_e32 v67, vcc, v0, v63, vcc
	v_accvgpr_write_b32 a31, v65
	global_load_dwordx4 v[62:65], v[64:65], off
	v_accvgpr_write_b32 a32, v66
	v_add_u32_e32 v74, s5, v70
	v_accvgpr_write_b32 a33, v67
	global_load_dwordx4 v[66:69], v[66:67], off
	v_ashrrev_i32_e32 v75, 31, v74
	v_lshlrev_b64 v[70:71], 4, v[74:75]
	v_add_co_u32_e32 v70, vcc, s6, v70
	v_addc_co_u32_e32 v71, vcc, v0, v71, vcc
	v_accvgpr_write_b32 a34, v70
	v_accvgpr_write_b32 a35, v71
	global_load_dwordx4 v[70:73], v[70:71], off
	s_waitcnt vmcnt(17)
	buffer_store_dword v9, off, s[0:3], 0 offset:28
	buffer_store_dword v8, off, s[0:3], 0 offset:24
	buffer_store_dword v7, off, s[0:3], 0 offset:20
	buffer_store_dword v6, off, s[0:3], 0 offset:16
	s_waitcnt vmcnt(20)
	buffer_store_dword v13, off, s[0:3], 0 offset:44
	buffer_store_dword v12, off, s[0:3], 0 offset:40
	;; [unrolled: 1-line block ×4, first 2 shown]
	s_waitcnt vmcnt(22)
	buffer_store_dword v5, off, s[0:3], 0 offset:60
	buffer_store_dword v4, off, s[0:3], 0 offset:56
	;; [unrolled: 1-line block ×3, first 2 shown]
	v_add_u32_e32 v4, s5, v74
	v_ashrrev_i32_e32 v5, 31, v4
	v_lshlrev_b64 v[6:7], 4, v[4:5]
	v_add_co_u32_e32 v6, vcc, s6, v6
	v_addc_co_u32_e32 v7, vcc, v0, v7, vcc
	v_accvgpr_write_b32 a37, v7
	v_accvgpr_write_b32 a36, v6
	global_load_dwordx4 v[6:9], v[6:7], off
	s_nop 0
	buffer_store_dword v2, off, s[0:3], 0 offset:48
	s_waitcnt vmcnt(26)
	buffer_store_dword v21, off, s[0:3], 0 offset:76
	buffer_store_dword v20, off, s[0:3], 0 offset:72
	;; [unrolled: 1-line block ×8, first 2 shown]
	s_waitcnt vmcnt(33)
	buffer_store_dword v29, off, s[0:3], 0 offset:108
	buffer_store_dword v28, off, s[0:3], 0 offset:104
	;; [unrolled: 1-line block ×4, first 2 shown]
	s_waitcnt vmcnt(35)
	buffer_store_dword v25, off, s[0:3], 0 offset:124
	buffer_store_dword v24, off, s[0:3], 0 offset:120
	;; [unrolled: 1-line block ×8, first 2 shown]
	s_waitcnt vmcnt(42)
	buffer_store_dword v37, off, s[0:3], 0 offset:156
	buffer_store_dword v36, off, s[0:3], 0 offset:152
	buffer_store_dword v35, off, s[0:3], 0 offset:148
	buffer_store_dword v34, off, s[0:3], 0 offset:144
	s_waitcnt vmcnt(45)
	buffer_store_dword v38, off, s[0:3], 0 offset:160
	buffer_store_dword v39, off, s[0:3], 0 offset:164
	buffer_store_dword v40, off, s[0:3], 0 offset:168
	buffer_store_dword v41, off, s[0:3], 0 offset:172
	;; [unrolled: 5-line block ×8, first 2 shown]
	buffer_store_dword v69, off, s[0:3], 0 offset:284
	buffer_store_dword v68, off, s[0:3], 0 offset:280
	;; [unrolled: 1-line block ×4, first 2 shown]
	s_waitcnt vmcnt(62)
	buffer_store_dword v73, off, s[0:3], 0 offset:300
	buffer_store_dword v72, off, s[0:3], 0 offset:296
	;; [unrolled: 1-line block ×4, first 2 shown]
	v_add_u32_e32 v2, s5, v4
	v_ashrrev_i32_e32 v3, 31, v2
	v_lshlrev_b64 v[4:5], 4, v[2:3]
	v_add_co_u32_e32 v10, vcc, s6, v4
	v_addc_co_u32_e32 v11, vcc, v0, v5, vcc
	v_add_u32_e32 v2, s5, v2
	v_ashrrev_i32_e32 v3, 31, v2
	v_accvgpr_write_b32 a39, v11
	v_lshlrev_b64 v[4:5], 4, v[2:3]
	v_accvgpr_write_b32 a38, v10
	global_load_dwordx4 v[10:13], v[10:11], off
	v_add_co_u32_e32 v4, vcc, s6, v4
	v_addc_co_u32_e32 v5, vcc, v0, v5, vcc
	v_add_u32_e32 v2, s5, v2
	v_accvgpr_write_b32 a41, v5
	v_ashrrev_i32_e32 v3, 31, v2
	v_accvgpr_write_b32 a40, v4
	global_load_dwordx4 v[14:17], v[4:5], off
	v_lshlrev_b64 v[4:5], 4, v[2:3]
	v_add_co_u32_e32 v18, vcc, s6, v4
	v_addc_co_u32_e32 v19, vcc, v0, v5, vcc
	v_add_u32_e32 v2, s5, v2
	v_ashrrev_i32_e32 v3, 31, v2
	v_accvgpr_write_b32 a43, v19
	v_lshlrev_b64 v[4:5], 4, v[2:3]
	v_accvgpr_write_b32 a42, v18
	global_load_dwordx4 v[18:21], v[18:19], off
	v_add_co_u32_e32 v4, vcc, s6, v4
	v_addc_co_u32_e32 v5, vcc, v0, v5, vcc
	global_load_dwordx4 v[22:25], v[4:5], off
	v_add_u32_e32 v2, s5, v2
	v_accvgpr_write_b32 a45, v5
	v_ashrrev_i32_e32 v3, 31, v2
	v_accvgpr_write_b32 a44, v4
	v_lshlrev_b64 v[4:5], 4, v[2:3]
	v_add_co_u32_e32 v26, vcc, s6, v4
	v_addc_co_u32_e32 v27, vcc, v0, v5, vcc
	v_add_u32_e32 v2, s5, v2
	v_ashrrev_i32_e32 v3, 31, v2
	v_accvgpr_write_b32 a47, v27
	v_lshlrev_b64 v[4:5], 4, v[2:3]
	v_accvgpr_write_b32 a46, v26
	global_load_dwordx4 v[26:29], v[26:27], off
	v_add_co_u32_e32 v4, vcc, s6, v4
	v_addc_co_u32_e32 v5, vcc, v0, v5, vcc
	global_load_dwordx4 v[30:33], v[4:5], off
	v_add_u32_e32 v2, s5, v2
	v_accvgpr_write_b32 a49, v5
	v_ashrrev_i32_e32 v3, 31, v2
	v_accvgpr_write_b32 a48, v4
	;; [unrolled: 16-line block ×5, first 2 shown]
	v_lshlrev_b64 v[4:5], 4, v[2:3]
	v_add_co_u32_e32 v58, vcc, s6, v4
	v_addc_co_u32_e32 v59, vcc, v0, v5, vcc
	v_add_u32_e32 v2, s5, v2
	v_accvgpr_write_b32 a63, v59
	v_ashrrev_i32_e32 v3, 31, v2
	v_accvgpr_write_b32 a62, v58
	global_load_dwordx4 v[58:61], v[58:59], off
	v_lshlrev_b64 v[4:5], 4, v[2:3]
	v_add_co_u32_e32 v4, vcc, s6, v4
	v_addc_co_u32_e32 v5, vcc, v0, v5, vcc
	global_load_dwordx4 v[62:65], v[4:5], off
	v_add_u32_e32 v2, s5, v2
	v_accvgpr_write_b32 a65, v5
	v_ashrrev_i32_e32 v3, 31, v2
	v_accvgpr_write_b32 a64, v4
	v_lshlrev_b64 v[4:5], 4, v[2:3]
	v_add_co_u32_e32 v66, vcc, s6, v4
	v_addc_co_u32_e32 v67, vcc, v0, v5, vcc
	v_add_u32_e32 v2, s5, v2
	v_accvgpr_write_b32 a66, v66
	v_ashrrev_i32_e32 v3, 31, v2
	v_accvgpr_write_b32 a67, v67
	global_load_dwordx4 v[66:69], v[66:67], off
	v_lshlrev_b64 v[4:5], 4, v[2:3]
	v_add_co_u32_e32 v4, vcc, s6, v4
	v_addc_co_u32_e32 v5, vcc, v0, v5, vcc
	global_load_dwordx4 v[70:73], v[4:5], off
	v_add_u32_e32 v2, s5, v2
	v_accvgpr_write_b32 a69, v5
	v_ashrrev_i32_e32 v3, 31, v2
	v_accvgpr_write_b32 a68, v4
	;; [unrolled: 16-line block ×3, first 2 shown]
	v_lshlrev_b64 v[4:5], 4, v[2:3]
	v_add_co_u32_e32 v4, vcc, s6, v4
	v_add_u32_e32 v86, s5, v2
	v_addc_co_u32_e32 v5, vcc, v0, v5, vcc
	v_ashrrev_i32_e32 v87, 31, v86
	v_lshlrev_b64 v[2:3], 4, v[86:87]
	global_load_dwordx4 v[82:85], v[4:5], off
	v_add_co_u32_e32 v2, vcc, s6, v2
	v_addc_co_u32_e32 v3, vcc, v0, v3, vcc
	v_accvgpr_write_b32 a75, v5
	v_accvgpr_write_b32 a77, v3
	;; [unrolled: 1-line block ×4, first 2 shown]
	global_load_dwordx4 v[2:5], v[2:3], off
	s_bitcmp0_b32 s18, 0
	s_waitcnt vmcnt(62)
	buffer_store_dword v9, off, s[0:3], 0 offset:316
	buffer_store_dword v8, off, s[0:3], 0 offset:312
	buffer_store_dword v7, off, s[0:3], 0 offset:308
	buffer_store_dword v6, off, s[0:3], 0 offset:304
	s_waitcnt vmcnt(23)
	buffer_store_dword v13, off, s[0:3], 0 offset:332
	buffer_store_dword v12, off, s[0:3], 0 offset:328
	buffer_store_dword v11, off, s[0:3], 0 offset:324
	buffer_store_dword v10, off, s[0:3], 0 offset:320
	;; [unrolled: 5-line block ×16, first 2 shown]
	buffer_store_dword v73, off, s[0:3], 0 offset:572
	buffer_store_dword v72, off, s[0:3], 0 offset:568
	;; [unrolled: 1-line block ×12, first 2 shown]
	s_waitcnt vmcnt(62)
	buffer_store_dword v85, off, s[0:3], 0 offset:620
	buffer_store_dword v84, off, s[0:3], 0 offset:616
	;; [unrolled: 1-line block ×5, first 2 shown]
	v_add_u32_e32 v6, s5, v86
	v_ashrrev_i32_e32 v7, 31, v6
	v_lshlrev_b64 v[8:9], 4, v[6:7]
	v_add_u32_e32 v14, s5, v6
	v_add_co_u32_e32 v8, vcc, s6, v8
	v_ashrrev_i32_e32 v15, 31, v14
	v_addc_co_u32_e32 v9, vcc, v0, v9, vcc
	v_lshlrev_b64 v[6:7], 4, v[14:15]
	v_add_co_u32_e32 v10, vcc, s6, v6
	v_accvgpr_write_b32 a81, v9
	v_addc_co_u32_e32 v11, vcc, v0, v7, vcc
	v_accvgpr_write_b32 a80, v8
	global_load_dwordx4 v[6:9], v[8:9], off
	v_add_u32_e32 v14, s5, v14
	v_accvgpr_write_b32 a83, v11
	v_ashrrev_i32_e32 v15, 31, v14
	v_accvgpr_write_b32 a82, v10
	global_load_dwordx4 v[10:13], v[10:11], off
	v_lshlrev_b64 v[16:17], 4, v[14:15]
	v_add_u32_e32 v22, s5, v14
	v_add_co_u32_e32 v16, vcc, s6, v16
	v_ashrrev_i32_e32 v23, 31, v22
	v_addc_co_u32_e32 v17, vcc, v0, v17, vcc
	v_lshlrev_b64 v[14:15], 4, v[22:23]
	v_add_co_u32_e32 v18, vcc, s6, v14
	v_accvgpr_write_b32 a85, v17
	v_addc_co_u32_e32 v19, vcc, v0, v15, vcc
	v_accvgpr_write_b32 a84, v16
	global_load_dwordx4 v[14:17], v[16:17], off
	v_add_u32_e32 v22, s5, v22
	v_accvgpr_write_b32 a87, v19
	v_ashrrev_i32_e32 v23, 31, v22
	v_accvgpr_write_b32 a86, v18
	global_load_dwordx4 v[18:21], v[18:19], off
	;; [unrolled: 16-line block ×9, first 2 shown]
	v_lshlrev_b64 v[80:81], 4, v[78:79]
	v_add_co_u32_e32 v80, vcc, s6, v80
	v_addc_co_u32_e32 v81, vcc, v0, v81, vcc
	v_add_u32_e32 v78, s5, v78
	v_ashrrev_i32_e32 v79, 31, v78
	v_accvgpr_write_b32 a117, v81
	v_lshlrev_b64 v[82:83], 4, v[78:79]
	v_accvgpr_write_b32 a116, v80
	global_load_dwordx4 v[78:81], v[80:81], off
	v_add_co_u32_e32 v82, vcc, s6, v82
	v_addc_co_u32_e32 v83, vcc, v0, v83, vcc
	v_accvgpr_write_b32 a78, v82
	v_accvgpr_write_b32 a79, v83
	global_load_dwordx4 v[82:85], v[82:83], off
	v_mov_b32_e32 v0, 16
	buffer_store_dword v4, off, s[0:3], 0 offset:632
	buffer_store_dword v3, off, s[0:3], 0 offset:628
	buffer_store_dword v2, off, s[0:3], 0 offset:624
	s_waitcnt vmcnt(22)
	buffer_store_dword v9, off, s[0:3], 0 offset:652
	buffer_store_dword v8, off, s[0:3], 0 offset:648
	buffer_store_dword v7, off, s[0:3], 0 offset:644
	buffer_store_dword v6, off, s[0:3], 0 offset:640
	s_waitcnt vmcnt(25)
	buffer_store_dword v13, off, s[0:3], 0 offset:668
	;; [unrolled: 5-line block ×15, first 2 shown]
	buffer_store_dword v64, off, s[0:3], 0 offset:872
	buffer_store_dword v63, off, s[0:3], 0 offset:868
	;; [unrolled: 1-line block ×11, first 2 shown]
	s_waitcnt vmcnt(62)
	buffer_store_dword v77, off, s[0:3], 0 offset:924
	buffer_store_dword v76, off, s[0:3], 0 offset:920
	;; [unrolled: 1-line block ×12, first 2 shown]
	v_add_u32_e32 v2, 16, v0
	v_accvgpr_write_b32 a175, v2
	v_add_u32_e32 v2, 32, v0
	v_accvgpr_write_b32 a174, v2
	;; [unrolled: 2-line block ×56, first 2 shown]
	v_add_u32_e32 v2, 0x390, v0
	v_add_u32_e32 v0, 0x3a0, v0
	v_accvgpr_write_b32 a119, v2
	v_accvgpr_write_b32 a118, v0
	s_mov_b64 s[6:7], -1
	s_cbranch_scc1 .LBB122_248
; %bb.4:
	v_cmp_eq_u32_e64 s[4:5], 0, v228
	s_and_saveexec_b64 s[6:7], s[4:5]
	s_cbranch_execz .LBB122_6
; %bb.5:
	v_mov_b32_e32 v0, 0
	ds_write_b32 v0, v0 offset:1888
.LBB122_6:
	s_or_b64 exec, exec, s[6:7]
	v_mov_b32_e32 v0, 16
	v_lshl_add_u32 v12, v228, 4, v0
	s_waitcnt lgkmcnt(0)
	; wave barrier
	s_waitcnt lgkmcnt(0)
	buffer_load_dword v2, v12, s[0:3], 0 offen
	buffer_load_dword v3, v12, s[0:3], 0 offen offset:4
	buffer_load_dword v4, v12, s[0:3], 0 offen offset:8
	buffer_load_dword v5, v12, s[0:3], 0 offen offset:12
	s_waitcnt vmcnt(2)
	v_cmp_eq_f64_e32 vcc, 0, v[2:3]
	s_waitcnt vmcnt(0)
	v_cmp_eq_f64_e64 s[6:7], 0, v[4:5]
	s_and_b64 s[6:7], vcc, s[6:7]
	s_and_saveexec_b64 s[12:13], s[6:7]
	s_cbranch_execz .LBB122_10
; %bb.7:
	v_mov_b32_e32 v2, 0
	ds_read_b32 v0, v2 offset:1888
	v_add_u32_e32 v3, 1, v228
	s_waitcnt lgkmcnt(0)
	v_readfirstlane_b32 s6, v0
	s_cmp_eq_u32 s6, 0
	s_cselect_b64 s[18:19], -1, 0
	v_cmp_gt_i32_e32 vcc, s6, v3
	s_or_b64 s[18:19], s[18:19], vcc
	s_and_b64 exec, exec, s[18:19]
	s_cbranch_execz .LBB122_10
; %bb.8:
	s_mov_b64 s[18:19], 0
	v_mov_b32_e32 v4, s6
.LBB122_9:                              ; =>This Inner Loop Header: Depth=1
	ds_cmpst_rtn_b32 v4, v2, v4, v3 offset:1888
	s_waitcnt lgkmcnt(0)
	v_cmp_ne_u32_e32 vcc, 0, v4
	v_cmp_le_i32_e64 s[6:7], v4, v3
	s_and_b64 s[6:7], vcc, s[6:7]
	s_and_b64 s[6:7], exec, s[6:7]
	s_or_b64 s[18:19], s[6:7], s[18:19]
	s_andn2_b64 exec, exec, s[18:19]
	s_cbranch_execnz .LBB122_9
.LBB122_10:
	s_or_b64 exec, exec, s[12:13]
	v_mov_b32_e32 v3, 0
	s_waitcnt lgkmcnt(0)
	; wave barrier
	ds_read_b32 v2, v3 offset:1888
	s_and_saveexec_b64 s[6:7], s[4:5]
	s_cbranch_execz .LBB122_12
; %bb.11:
	s_lshl_b64 s[12:13], s[8:9], 2
	s_add_u32 s12, s14, s12
	s_addc_u32 s13, s15, s13
	s_waitcnt lgkmcnt(0)
	global_store_dword v3, v2, s[12:13]
.LBB122_12:
	s_or_b64 exec, exec, s[6:7]
	s_waitcnt lgkmcnt(0)
	v_cmp_ne_u32_e32 vcc, 0, v2
	s_mov_b64 s[6:7], 0
	s_cbranch_vccnz .LBB122_248
; %bb.13:
	buffer_load_dword v7, v12, s[0:3], 0 offen offset:4
	buffer_load_dword v6, v12, s[0:3], 0 offen
	buffer_load_dword v9, v12, s[0:3], 0 offen offset:12
	buffer_load_dword v8, v12, s[0:3], 0 offen offset:8
                                        ; implicit-def: $vgpr10_vgpr11
	s_waitcnt vmcnt(3)
	v_xor_b32_e32 v0, 0x80000000, v7
	s_waitcnt vmcnt(2)
	v_cmp_gt_f64_e32 vcc, 0, v[6:7]
	s_waitcnt vmcnt(1)
	v_xor_b32_e32 v4, 0x80000000, v9
	v_cndmask_b32_e32 v3, v7, v0, vcc
	s_waitcnt vmcnt(0)
	v_cmp_gt_f64_e32 vcc, 0, v[8:9]
	v_mov_b32_e32 v2, v6
	v_cndmask_b32_e32 v5, v9, v4, vcc
	v_mov_b32_e32 v4, v8
	v_cmp_ngt_f64_e32 vcc, v[2:3], v[4:5]
                                        ; implicit-def: $vgpr4_vgpr5
	s_and_saveexec_b64 s[6:7], vcc
	s_xor_b64 s[6:7], exec, s[6:7]
	s_cbranch_execz .LBB122_15
; %bb.14:
	v_div_scale_f64 v[2:3], s[12:13], v[8:9], v[8:9], v[6:7]
	v_rcp_f64_e32 v[4:5], v[2:3]
	v_div_scale_f64 v[10:11], vcc, v[6:7], v[8:9], v[6:7]
	v_fma_f64 v[14:15], -v[2:3], v[4:5], 1.0
	v_fmac_f64_e32 v[4:5], v[4:5], v[14:15]
	v_fma_f64 v[14:15], -v[2:3], v[4:5], 1.0
	v_fmac_f64_e32 v[4:5], v[4:5], v[14:15]
	v_mul_f64 v[14:15], v[10:11], v[4:5]
	v_fma_f64 v[2:3], -v[2:3], v[14:15], v[10:11]
	v_div_fmas_f64 v[2:3], v[2:3], v[4:5], v[14:15]
	v_div_fixup_f64 v[2:3], v[2:3], v[8:9], v[6:7]
	v_fmac_f64_e32 v[8:9], v[6:7], v[2:3]
	v_div_scale_f64 v[4:5], s[12:13], v[8:9], v[8:9], 1.0
	v_rcp_f64_e32 v[6:7], v[4:5]
	v_fma_f64 v[10:11], -v[4:5], v[6:7], 1.0
	v_fmac_f64_e32 v[6:7], v[6:7], v[10:11]
	v_fma_f64 v[10:11], -v[4:5], v[6:7], 1.0
	v_fmac_f64_e32 v[6:7], v[6:7], v[10:11]
	v_div_scale_f64 v[10:11], vcc, 1.0, v[8:9], 1.0
	v_mul_f64 v[14:15], v[10:11], v[6:7]
	v_fma_f64 v[4:5], -v[4:5], v[14:15], v[10:11]
	s_nop 1
	v_div_fmas_f64 v[4:5], v[4:5], v[6:7], v[14:15]
	v_div_fixup_f64 v[4:5], v[4:5], v[8:9], 1.0
	v_mul_f64 v[10:11], v[2:3], v[4:5]
	v_xor_b32_e32 v5, 0x80000000, v5
	v_xor_b32_e32 v3, 0x80000000, v11
	v_mov_b32_e32 v2, v10
                                        ; implicit-def: $vgpr6_vgpr7
                                        ; implicit-def: $vgpr8_vgpr9
.LBB122_15:
	s_andn2_saveexec_b64 s[6:7], s[6:7]
	s_cbranch_execz .LBB122_17
; %bb.16:
	v_div_scale_f64 v[2:3], s[12:13], v[6:7], v[6:7], v[8:9]
	v_rcp_f64_e32 v[4:5], v[2:3]
	v_div_scale_f64 v[10:11], vcc, v[8:9], v[6:7], v[8:9]
	v_fma_f64 v[14:15], -v[2:3], v[4:5], 1.0
	v_fmac_f64_e32 v[4:5], v[4:5], v[14:15]
	v_fma_f64 v[14:15], -v[2:3], v[4:5], 1.0
	v_fmac_f64_e32 v[4:5], v[4:5], v[14:15]
	v_mul_f64 v[14:15], v[10:11], v[4:5]
	v_fma_f64 v[2:3], -v[2:3], v[14:15], v[10:11]
	v_div_fmas_f64 v[2:3], v[2:3], v[4:5], v[14:15]
	v_div_fixup_f64 v[4:5], v[2:3], v[6:7], v[8:9]
	v_fmac_f64_e32 v[6:7], v[8:9], v[4:5]
	v_div_scale_f64 v[2:3], s[12:13], v[6:7], v[6:7], 1.0
	v_rcp_f64_e32 v[8:9], v[2:3]
	v_fma_f64 v[10:11], -v[2:3], v[8:9], 1.0
	v_fmac_f64_e32 v[8:9], v[8:9], v[10:11]
	v_fma_f64 v[10:11], -v[2:3], v[8:9], 1.0
	v_fmac_f64_e32 v[8:9], v[8:9], v[10:11]
	v_div_scale_f64 v[10:11], vcc, 1.0, v[6:7], 1.0
	v_mul_f64 v[14:15], v[10:11], v[8:9]
	v_fma_f64 v[2:3], -v[2:3], v[14:15], v[10:11]
	s_nop 1
	v_div_fmas_f64 v[2:3], v[2:3], v[8:9], v[14:15]
	v_div_fixup_f64 v[10:11], v[2:3], v[6:7], 1.0
	v_xor_b32_e32 v3, 0x80000000, v11
	v_mov_b32_e32 v2, v10
	v_mul_f64 v[4:5], v[4:5], -v[10:11]
.LBB122_17:
	s_or_b64 exec, exec, s[6:7]
	buffer_store_dword v11, v12, s[0:3], 0 offen offset:4
	buffer_store_dword v10, v12, s[0:3], 0 offen
	buffer_store_dword v5, v12, s[0:3], 0 offen offset:12
	buffer_store_dword v4, v12, s[0:3], 0 offen offset:8
	v_accvgpr_read_b32 v0, a175
	buffer_load_dword v11, v0, s[0:3], 0 offen offset:12
	buffer_load_dword v10, v0, s[0:3], 0 offen offset:8
	buffer_load_dword v9, v0, s[0:3], 0 offen offset:4
	buffer_load_dword v8, v0, s[0:3], 0 offen
	v_xor_b32_e32 v5, 0x80000000, v5
	v_add_u32_e32 v6, 0x3b0, v1
	ds_write_b128 v1, v[2:5]
	s_waitcnt vmcnt(0)
	ds_write_b128 v1, v[8:11] offset:944
	s_waitcnt lgkmcnt(0)
	; wave barrier
	s_waitcnt lgkmcnt(0)
	s_and_saveexec_b64 s[6:7], s[4:5]
	s_cbranch_execz .LBB122_19
; %bb.18:
	buffer_load_dword v14, v12, s[0:3], 0 offen offset:8
	buffer_load_dword v15, v12, s[0:3], 0 offen offset:12
	buffer_load_dword v16, v12, s[0:3], 0 offen
	buffer_load_dword v17, v12, s[0:3], 0 offen offset:4
	ds_read_b128 v[2:5], v6
	v_mov_b32_e32 v0, 0
	ds_read_b128 v[8:11], v0 offset:16
	s_waitcnt vmcnt(2) lgkmcnt(1)
	v_mul_f64 v[18:19], v[4:5], v[14:15]
	v_mul_f64 v[14:15], v[2:3], v[14:15]
	s_waitcnt vmcnt(0)
	v_fmac_f64_e32 v[14:15], v[4:5], v[16:17]
	v_fma_f64 v[2:3], v[2:3], v[16:17], -v[18:19]
	v_add_f64 v[4:5], v[14:15], 0
	v_add_f64 v[2:3], v[2:3], 0
	s_waitcnt lgkmcnt(0)
	v_mul_f64 v[14:15], v[4:5], v[10:11]
	v_mul_f64 v[10:11], v[2:3], v[10:11]
	v_fma_f64 v[2:3], v[2:3], v[8:9], -v[14:15]
	v_fmac_f64_e32 v[10:11], v[4:5], v[8:9]
	buffer_store_dword v2, off, s[0:3], 0 offset:32
	buffer_store_dword v3, off, s[0:3], 0 offset:36
	buffer_store_dword v10, off, s[0:3], 0 offset:40
	buffer_store_dword v11, off, s[0:3], 0 offset:44
.LBB122_19:
	s_or_b64 exec, exec, s[6:7]
	v_accvgpr_read_b32 v0, a174
	s_waitcnt lgkmcnt(0)
	; wave barrier
	buffer_load_dword v2, v0, s[0:3], 0 offen
	buffer_load_dword v3, v0, s[0:3], 0 offen offset:4
	buffer_load_dword v4, v0, s[0:3], 0 offen offset:8
	;; [unrolled: 1-line block ×3, first 2 shown]
	v_cmp_gt_u32_e32 vcc, 2, v228
	s_waitcnt vmcnt(0)
	ds_write_b128 v6, v[2:5]
	s_waitcnt lgkmcnt(0)
	; wave barrier
	s_waitcnt lgkmcnt(0)
	s_and_saveexec_b64 s[6:7], vcc
	s_cbranch_execz .LBB122_23
; %bb.20:
	buffer_load_dword v8, v12, s[0:3], 0 offen offset:8
	buffer_load_dword v9, v12, s[0:3], 0 offen offset:12
	buffer_load_dword v10, v12, s[0:3], 0 offen
	buffer_load_dword v11, v12, s[0:3], 0 offen offset:4
	ds_read_b128 v[2:5], v6
	s_waitcnt vmcnt(2) lgkmcnt(0)
	v_mul_f64 v[12:13], v[4:5], v[8:9]
	v_mul_f64 v[8:9], v[2:3], v[8:9]
	s_waitcnt vmcnt(0)
	v_fma_f64 v[2:3], v[2:3], v[10:11], -v[12:13]
	v_fmac_f64_e32 v[8:9], v[4:5], v[10:11]
	v_add_f64 v[4:5], v[2:3], 0
	v_add_f64 v[2:3], v[8:9], 0
	s_and_saveexec_b64 s[12:13], s[4:5]
	s_cbranch_execz .LBB122_22
; %bb.21:
	buffer_load_dword v12, off, s[0:3], 0 offset:40
	buffer_load_dword v13, off, s[0:3], 0 offset:44
	;; [unrolled: 1-line block ×4, first 2 shown]
	v_mov_b32_e32 v0, 0
	ds_read_b128 v[8:11], v0 offset:960
	s_waitcnt vmcnt(2) lgkmcnt(0)
	v_mul_f64 v[16:17], v[8:9], v[12:13]
	v_mul_f64 v[12:13], v[10:11], v[12:13]
	s_waitcnt vmcnt(0)
	v_fmac_f64_e32 v[16:17], v[10:11], v[14:15]
	v_fma_f64 v[8:9], v[8:9], v[14:15], -v[12:13]
	v_add_f64 v[2:3], v[2:3], v[16:17]
	v_add_f64 v[4:5], v[4:5], v[8:9]
.LBB122_22:
	s_or_b64 exec, exec, s[12:13]
	v_mov_b32_e32 v0, 0
	ds_read_b128 v[8:11], v0 offset:32
	s_waitcnt lgkmcnt(0)
	v_mul_f64 v[12:13], v[2:3], v[10:11]
	v_mul_f64 v[10:11], v[4:5], v[10:11]
	v_fma_f64 v[4:5], v[4:5], v[8:9], -v[12:13]
	v_fmac_f64_e32 v[10:11], v[2:3], v[8:9]
	buffer_store_dword v5, off, s[0:3], 0 offset:52
	buffer_store_dword v4, off, s[0:3], 0 offset:48
	;; [unrolled: 1-line block ×4, first 2 shown]
.LBB122_23:
	s_or_b64 exec, exec, s[6:7]
	v_accvgpr_read_b32 v0, a173
	s_waitcnt lgkmcnt(0)
	; wave barrier
	buffer_load_dword v2, v0, s[0:3], 0 offen
	buffer_load_dword v3, v0, s[0:3], 0 offen offset:4
	buffer_load_dword v4, v0, s[0:3], 0 offen offset:8
	;; [unrolled: 1-line block ×3, first 2 shown]
	v_cmp_gt_u32_e32 vcc, 3, v228
	v_add_u32_e32 v7, -1, v228
	s_waitcnt vmcnt(0)
	ds_write_b128 v6, v[2:5]
	s_waitcnt lgkmcnt(0)
	; wave barrier
	s_waitcnt lgkmcnt(0)
	s_and_saveexec_b64 s[4:5], vcc
	s_cbranch_execz .LBB122_27
; %bb.24:
	v_pk_mov_b32 v[2:3], 0, 0
	v_add_u32_e32 v8, -1, v228
	v_add_u32_e32 v9, 0x3b0, v1
	v_add_u32_e32 v10, 16, v1
	s_mov_b64 s[6:7], 0
	v_pk_mov_b32 v[4:5], v[2:3], v[2:3] op_sel:[0,1]
.LBB122_25:                             ; =>This Inner Loop Header: Depth=1
	buffer_load_dword v16, v10, s[0:3], 0 offen offset:8
	buffer_load_dword v17, v10, s[0:3], 0 offen offset:12
	buffer_load_dword v18, v10, s[0:3], 0 offen
	buffer_load_dword v19, v10, s[0:3], 0 offen offset:4
	ds_read_b128 v[12:15], v9
	v_add_u32_e32 v8, 1, v8
	v_cmp_lt_u32_e32 vcc, 1, v8
	v_add_u32_e32 v9, 16, v9
	v_add_u32_e32 v10, 16, v10
	s_or_b64 s[6:7], vcc, s[6:7]
	s_waitcnt vmcnt(2) lgkmcnt(0)
	v_mul_f64 v[20:21], v[14:15], v[16:17]
	v_mul_f64 v[16:17], v[12:13], v[16:17]
	s_waitcnt vmcnt(0)
	v_fma_f64 v[12:13], v[12:13], v[18:19], -v[20:21]
	v_fmac_f64_e32 v[16:17], v[14:15], v[18:19]
	v_add_f64 v[4:5], v[4:5], v[12:13]
	v_add_f64 v[2:3], v[2:3], v[16:17]
	s_andn2_b64 exec, exec, s[6:7]
	s_cbranch_execnz .LBB122_25
; %bb.26:
	s_or_b64 exec, exec, s[6:7]
	v_mov_b32_e32 v0, 0
	ds_read_b128 v[8:11], v0 offset:48
	s_waitcnt lgkmcnt(0)
	v_mul_f64 v[12:13], v[2:3], v[10:11]
	v_mul_f64 v[10:11], v[4:5], v[10:11]
	v_fma_f64 v[4:5], v[4:5], v[8:9], -v[12:13]
	v_fmac_f64_e32 v[10:11], v[2:3], v[8:9]
	buffer_store_dword v5, off, s[0:3], 0 offset:68
	buffer_store_dword v4, off, s[0:3], 0 offset:64
	buffer_store_dword v11, off, s[0:3], 0 offset:76
	buffer_store_dword v10, off, s[0:3], 0 offset:72
.LBB122_27:
	s_or_b64 exec, exec, s[4:5]
	v_accvgpr_read_b32 v0, a172
	s_waitcnt lgkmcnt(0)
	; wave barrier
	buffer_load_dword v2, v0, s[0:3], 0 offen
	buffer_load_dword v3, v0, s[0:3], 0 offen offset:4
	buffer_load_dword v4, v0, s[0:3], 0 offen offset:8
	buffer_load_dword v5, v0, s[0:3], 0 offen offset:12
	v_cmp_gt_u32_e32 vcc, 4, v228
	s_waitcnt vmcnt(0)
	ds_write_b128 v6, v[2:5]
	s_waitcnt lgkmcnt(0)
	; wave barrier
	s_waitcnt lgkmcnt(0)
	s_and_saveexec_b64 s[4:5], vcc
	s_cbranch_execz .LBB122_31
; %bb.28:
	v_pk_mov_b32 v[2:3], 0, 0
	v_add_u32_e32 v8, -1, v228
	v_add_u32_e32 v9, 0x3b0, v1
	v_add_u32_e32 v10, 16, v1
	s_mov_b64 s[6:7], 0
	v_pk_mov_b32 v[4:5], v[2:3], v[2:3] op_sel:[0,1]
.LBB122_29:                             ; =>This Inner Loop Header: Depth=1
	buffer_load_dword v16, v10, s[0:3], 0 offen offset:8
	buffer_load_dword v17, v10, s[0:3], 0 offen offset:12
	buffer_load_dword v18, v10, s[0:3], 0 offen
	buffer_load_dword v19, v10, s[0:3], 0 offen offset:4
	ds_read_b128 v[12:15], v9
	v_add_u32_e32 v8, 1, v8
	v_cmp_lt_u32_e32 vcc, 2, v8
	v_add_u32_e32 v9, 16, v9
	v_add_u32_e32 v10, 16, v10
	s_or_b64 s[6:7], vcc, s[6:7]
	s_waitcnt vmcnt(2) lgkmcnt(0)
	v_mul_f64 v[20:21], v[14:15], v[16:17]
	v_mul_f64 v[16:17], v[12:13], v[16:17]
	s_waitcnt vmcnt(0)
	v_fma_f64 v[12:13], v[12:13], v[18:19], -v[20:21]
	v_fmac_f64_e32 v[16:17], v[14:15], v[18:19]
	v_add_f64 v[4:5], v[4:5], v[12:13]
	v_add_f64 v[2:3], v[2:3], v[16:17]
	s_andn2_b64 exec, exec, s[6:7]
	s_cbranch_execnz .LBB122_29
; %bb.30:
	s_or_b64 exec, exec, s[6:7]
	v_mov_b32_e32 v0, 0
	ds_read_b128 v[8:11], v0 offset:64
	s_waitcnt lgkmcnt(0)
	v_mul_f64 v[12:13], v[2:3], v[10:11]
	v_mul_f64 v[10:11], v[4:5], v[10:11]
	v_fma_f64 v[4:5], v[4:5], v[8:9], -v[12:13]
	v_fmac_f64_e32 v[10:11], v[2:3], v[8:9]
	buffer_store_dword v5, off, s[0:3], 0 offset:84
	buffer_store_dword v4, off, s[0:3], 0 offset:80
	buffer_store_dword v11, off, s[0:3], 0 offset:92
	buffer_store_dword v10, off, s[0:3], 0 offset:88
.LBB122_31:
	s_or_b64 exec, exec, s[4:5]
	v_accvgpr_read_b32 v0, a171
	s_waitcnt lgkmcnt(0)
	; wave barrier
	buffer_load_dword v2, v0, s[0:3], 0 offen
	buffer_load_dword v3, v0, s[0:3], 0 offen offset:4
	buffer_load_dword v4, v0, s[0:3], 0 offen offset:8
	buffer_load_dword v5, v0, s[0:3], 0 offen offset:12
	v_cmp_gt_u32_e32 vcc, 5, v228
	;; [unrolled: 58-line block ×19, first 2 shown]
	s_waitcnt vmcnt(0)
	ds_write_b128 v6, v[2:5]
	s_waitcnt lgkmcnt(0)
	; wave barrier
	s_waitcnt lgkmcnt(0)
	s_and_saveexec_b64 s[4:5], vcc
	s_cbranch_execz .LBB122_103
; %bb.100:
	v_pk_mov_b32 v[2:3], 0, 0
	v_add_u32_e32 v8, -1, v228
	v_add_u32_e32 v9, 0x3b0, v1
	v_add_u32_e32 v10, 16, v1
	s_mov_b64 s[6:7], 0
	v_pk_mov_b32 v[4:5], v[2:3], v[2:3] op_sel:[0,1]
.LBB122_101:                            ; =>This Inner Loop Header: Depth=1
	buffer_load_dword v16, v10, s[0:3], 0 offen offset:8
	buffer_load_dword v17, v10, s[0:3], 0 offen offset:12
	buffer_load_dword v18, v10, s[0:3], 0 offen
	buffer_load_dword v19, v10, s[0:3], 0 offen offset:4
	ds_read_b128 v[12:15], v9
	v_add_u32_e32 v8, 1, v8
	v_cmp_lt_u32_e32 vcc, 20, v8
	v_add_u32_e32 v9, 16, v9
	v_add_u32_e32 v10, 16, v10
	s_or_b64 s[6:7], vcc, s[6:7]
	s_waitcnt vmcnt(2) lgkmcnt(0)
	v_mul_f64 v[20:21], v[14:15], v[16:17]
	v_mul_f64 v[16:17], v[12:13], v[16:17]
	s_waitcnt vmcnt(0)
	v_fma_f64 v[12:13], v[12:13], v[18:19], -v[20:21]
	v_fmac_f64_e32 v[16:17], v[14:15], v[18:19]
	v_add_f64 v[4:5], v[4:5], v[12:13]
	v_add_f64 v[2:3], v[2:3], v[16:17]
	s_andn2_b64 exec, exec, s[6:7]
	s_cbranch_execnz .LBB122_101
; %bb.102:
	s_or_b64 exec, exec, s[6:7]
	v_mov_b32_e32 v0, 0
	ds_read_b128 v[8:11], v0 offset:352
	s_waitcnt lgkmcnt(0)
	v_mul_f64 v[12:13], v[2:3], v[10:11]
	v_mul_f64 v[10:11], v[4:5], v[10:11]
	v_fma_f64 v[4:5], v[4:5], v[8:9], -v[12:13]
	v_fmac_f64_e32 v[10:11], v[2:3], v[8:9]
	buffer_store_dword v5, off, s[0:3], 0 offset:372
	buffer_store_dword v4, off, s[0:3], 0 offset:368
	buffer_store_dword v11, off, s[0:3], 0 offset:380
	buffer_store_dword v10, off, s[0:3], 0 offset:376
.LBB122_103:
	s_or_b64 exec, exec, s[4:5]
	v_accvgpr_read_b32 v0, a153
	s_waitcnt lgkmcnt(0)
	; wave barrier
	buffer_load_dword v2, v0, s[0:3], 0 offen
	buffer_load_dword v3, v0, s[0:3], 0 offen offset:4
	buffer_load_dword v4, v0, s[0:3], 0 offen offset:8
	buffer_load_dword v5, v0, s[0:3], 0 offen offset:12
	v_cmp_gt_u32_e32 vcc, 23, v228
	s_waitcnt vmcnt(0)
	ds_write_b128 v6, v[2:5]
	s_waitcnt lgkmcnt(0)
	; wave barrier
	s_waitcnt lgkmcnt(0)
	s_and_saveexec_b64 s[4:5], vcc
	s_cbranch_execz .LBB122_107
; %bb.104:
	v_pk_mov_b32 v[2:3], 0, 0
	v_add_u32_e32 v8, -1, v228
	v_add_u32_e32 v9, 0x3b0, v1
	v_add_u32_e32 v10, 16, v1
	s_mov_b64 s[6:7], 0
	v_pk_mov_b32 v[4:5], v[2:3], v[2:3] op_sel:[0,1]
.LBB122_105:                            ; =>This Inner Loop Header: Depth=1
	buffer_load_dword v16, v10, s[0:3], 0 offen offset:8
	buffer_load_dword v17, v10, s[0:3], 0 offen offset:12
	buffer_load_dword v18, v10, s[0:3], 0 offen
	buffer_load_dword v19, v10, s[0:3], 0 offen offset:4
	ds_read_b128 v[12:15], v9
	v_add_u32_e32 v8, 1, v8
	v_cmp_lt_u32_e32 vcc, 21, v8
	v_add_u32_e32 v9, 16, v9
	v_add_u32_e32 v10, 16, v10
	s_or_b64 s[6:7], vcc, s[6:7]
	s_waitcnt vmcnt(2) lgkmcnt(0)
	v_mul_f64 v[20:21], v[14:15], v[16:17]
	v_mul_f64 v[16:17], v[12:13], v[16:17]
	s_waitcnt vmcnt(0)
	v_fma_f64 v[12:13], v[12:13], v[18:19], -v[20:21]
	v_fmac_f64_e32 v[16:17], v[14:15], v[18:19]
	v_add_f64 v[4:5], v[4:5], v[12:13]
	v_add_f64 v[2:3], v[2:3], v[16:17]
	s_andn2_b64 exec, exec, s[6:7]
	s_cbranch_execnz .LBB122_105
; %bb.106:
	s_or_b64 exec, exec, s[6:7]
	v_mov_b32_e32 v0, 0
	ds_read_b128 v[8:11], v0 offset:368
	s_waitcnt lgkmcnt(0)
	v_mul_f64 v[12:13], v[2:3], v[10:11]
	v_mul_f64 v[10:11], v[4:5], v[10:11]
	v_fma_f64 v[4:5], v[4:5], v[8:9], -v[12:13]
	v_fmac_f64_e32 v[10:11], v[2:3], v[8:9]
	buffer_store_dword v5, off, s[0:3], 0 offset:388
	buffer_store_dword v4, off, s[0:3], 0 offset:384
	buffer_store_dword v11, off, s[0:3], 0 offset:396
	buffer_store_dword v10, off, s[0:3], 0 offset:392
.LBB122_107:
	s_or_b64 exec, exec, s[4:5]
	v_accvgpr_read_b32 v0, a152
	s_waitcnt lgkmcnt(0)
	; wave barrier
	buffer_load_dword v2, v0, s[0:3], 0 offen
	buffer_load_dword v3, v0, s[0:3], 0 offen offset:4
	buffer_load_dword v4, v0, s[0:3], 0 offen offset:8
	buffer_load_dword v5, v0, s[0:3], 0 offen offset:12
	v_cmp_gt_u32_e32 vcc, 24, v228
	;; [unrolled: 58-line block ×35, first 2 shown]
	s_waitcnt vmcnt(0)
	ds_write_b128 v6, v[2:5]
	s_waitcnt lgkmcnt(0)
	; wave barrier
	s_waitcnt lgkmcnt(0)
	s_and_saveexec_b64 s[4:5], vcc
	s_cbranch_execz .LBB122_243
; %bb.240:
	v_pk_mov_b32 v[2:3], 0, 0
	v_add_u32_e32 v8, -1, v228
	v_add_u32_e32 v9, 0x3b0, v1
	v_add_u32_e32 v10, 16, v1
	s_mov_b64 s[6:7], 0
	v_pk_mov_b32 v[4:5], v[2:3], v[2:3] op_sel:[0,1]
.LBB122_241:                            ; =>This Inner Loop Header: Depth=1
	buffer_load_dword v16, v10, s[0:3], 0 offen offset:8
	buffer_load_dword v17, v10, s[0:3], 0 offen offset:12
	buffer_load_dword v18, v10, s[0:3], 0 offen
	buffer_load_dword v19, v10, s[0:3], 0 offen offset:4
	ds_read_b128 v[12:15], v9
	v_add_u32_e32 v8, 1, v8
	v_cmp_lt_u32_e32 vcc, 55, v8
	v_add_u32_e32 v9, 16, v9
	v_add_u32_e32 v10, 16, v10
	s_or_b64 s[6:7], vcc, s[6:7]
	s_waitcnt vmcnt(2) lgkmcnt(0)
	v_mul_f64 v[20:21], v[14:15], v[16:17]
	v_mul_f64 v[16:17], v[12:13], v[16:17]
	s_waitcnt vmcnt(0)
	v_fma_f64 v[12:13], v[12:13], v[18:19], -v[20:21]
	v_fmac_f64_e32 v[16:17], v[14:15], v[18:19]
	v_add_f64 v[4:5], v[4:5], v[12:13]
	v_add_f64 v[2:3], v[2:3], v[16:17]
	s_andn2_b64 exec, exec, s[6:7]
	s_cbranch_execnz .LBB122_241
; %bb.242:
	s_or_b64 exec, exec, s[6:7]
	v_mov_b32_e32 v0, 0
	ds_read_b128 v[8:11], v0 offset:912
	s_waitcnt lgkmcnt(0)
	v_mul_f64 v[12:13], v[2:3], v[10:11]
	v_mul_f64 v[10:11], v[4:5], v[10:11]
	v_fma_f64 v[4:5], v[4:5], v[8:9], -v[12:13]
	v_fmac_f64_e32 v[10:11], v[2:3], v[8:9]
	buffer_store_dword v5, off, s[0:3], 0 offset:932
	buffer_store_dword v4, off, s[0:3], 0 offset:928
	;; [unrolled: 1-line block ×4, first 2 shown]
.LBB122_243:
	s_or_b64 exec, exec, s[4:5]
	v_accvgpr_read_b32 v0, a118
	s_waitcnt lgkmcnt(0)
	; wave barrier
	buffer_load_dword v2, v0, s[0:3], 0 offen
	buffer_load_dword v3, v0, s[0:3], 0 offen offset:4
	buffer_load_dword v4, v0, s[0:3], 0 offen offset:8
	;; [unrolled: 1-line block ×3, first 2 shown]
	v_cmp_ne_u32_e32 vcc, 58, v228
	s_waitcnt vmcnt(0)
	ds_write_b128 v6, v[2:5]
	s_waitcnt lgkmcnt(0)
	; wave barrier
	s_waitcnt lgkmcnt(0)
	s_and_saveexec_b64 s[4:5], vcc
	s_cbranch_execz .LBB122_247
; %bb.244:
	v_pk_mov_b32 v[2:3], 0, 0
	v_add_u32_e32 v6, 0x3b0, v1
	v_add_u32_e32 v1, 16, v1
	s_mov_b64 s[6:7], 0
	v_pk_mov_b32 v[4:5], v[2:3], v[2:3] op_sel:[0,1]
.LBB122_245:                            ; =>This Inner Loop Header: Depth=1
	buffer_load_dword v12, v1, s[0:3], 0 offen offset:8
	buffer_load_dword v13, v1, s[0:3], 0 offen offset:12
	buffer_load_dword v14, v1, s[0:3], 0 offen
	buffer_load_dword v15, v1, s[0:3], 0 offen offset:4
	ds_read_b128 v[8:11], v6
	v_add_u32_e32 v7, 1, v7
	v_cmp_lt_u32_e32 vcc, 56, v7
	v_add_u32_e32 v6, 16, v6
	v_add_u32_e32 v1, 16, v1
	s_or_b64 s[6:7], vcc, s[6:7]
	s_waitcnt vmcnt(2) lgkmcnt(0)
	v_mul_f64 v[16:17], v[10:11], v[12:13]
	v_mul_f64 v[12:13], v[8:9], v[12:13]
	s_waitcnt vmcnt(0)
	v_fma_f64 v[8:9], v[8:9], v[14:15], -v[16:17]
	v_fmac_f64_e32 v[12:13], v[10:11], v[14:15]
	v_add_f64 v[4:5], v[4:5], v[8:9]
	v_add_f64 v[2:3], v[2:3], v[12:13]
	s_andn2_b64 exec, exec, s[6:7]
	s_cbranch_execnz .LBB122_245
; %bb.246:
	s_or_b64 exec, exec, s[6:7]
	v_mov_b32_e32 v0, 0
	ds_read_b128 v[6:9], v0 offset:928
	s_waitcnt lgkmcnt(0)
	v_mul_f64 v[10:11], v[2:3], v[8:9]
	v_mul_f64 v[8:9], v[4:5], v[8:9]
	v_fma_f64 v[4:5], v[4:5], v[6:7], -v[10:11]
	v_fmac_f64_e32 v[8:9], v[2:3], v[6:7]
	buffer_store_dword v5, off, s[0:3], 0 offset:948
	buffer_store_dword v4, off, s[0:3], 0 offset:944
	;; [unrolled: 1-line block ×4, first 2 shown]
.LBB122_247:
	s_or_b64 exec, exec, s[4:5]
	s_mov_b64 s[6:7], -1
	s_waitcnt lgkmcnt(0)
	; wave barrier
.LBB122_248:
	s_and_b64 vcc, exec, s[6:7]
	s_cbranch_vccz .LBB122_250
; %bb.249:
	s_lshl_b64 s[4:5], s[8:9], 2
	s_add_u32 s4, s14, s4
	s_addc_u32 s5, s15, s5
	v_mov_b32_e32 v0, 0
	global_load_dword v0, v0, s[4:5]
	s_waitcnt vmcnt(0)
	v_cmp_ne_u32_e32 vcc, 0, v0
	s_cbranch_vccz .LBB122_251
.LBB122_250:
	s_endpgm
.LBB122_251:
	v_mov_b32_e32 v0, 0x3b0
	v_lshl_add_u32 v0, v228, 4, v0
	v_accvgpr_write_b32 a177, v0
	v_cmp_eq_u32_e32 vcc, 58, v228
	s_and_saveexec_b64 s[4:5], vcc
	s_cbranch_execz .LBB122_253
; %bb.252:
	v_accvgpr_read_b32 v0, a119
	buffer_load_dword v2, v0, s[0:3], 0 offen
	buffer_load_dword v3, v0, s[0:3], 0 offen offset:4
	buffer_load_dword v4, v0, s[0:3], 0 offen offset:8
	;; [unrolled: 1-line block ×3, first 2 shown]
	v_mov_b32_e32 v0, 0
	v_accvgpr_read_b32 v1, a177
	buffer_store_dword v0, off, s[0:3], 0 offset:928
	buffer_store_dword v0, off, s[0:3], 0 offset:932
	;; [unrolled: 1-line block ×4, first 2 shown]
	s_waitcnt vmcnt(4)
	ds_write_b128 v1, v[2:5]
.LBB122_253:
	s_or_b64 exec, exec, s[4:5]
	s_waitcnt lgkmcnt(0)
	; wave barrier
	s_waitcnt lgkmcnt(0)
	buffer_load_dword v8, off, s[0:3], 0 offset:952
	buffer_load_dword v9, off, s[0:3], 0 offset:956
	;; [unrolled: 1-line block ×8, first 2 shown]
	v_mov_b32_e32 v2, 0
	ds_read_b128 v[4:7], v2 offset:1872
	v_cmp_lt_u32_e32 vcc, 56, v228
	s_waitcnt vmcnt(6) lgkmcnt(0)
	v_mul_f64 v[16:17], v[4:5], v[8:9]
	v_mul_f64 v[8:9], v[6:7], v[8:9]
	s_waitcnt vmcnt(4)
	v_fma_f64 v[4:5], v[4:5], v[10:11], -v[8:9]
	v_fmac_f64_e32 v[16:17], v[6:7], v[10:11]
	v_add_f64 v[4:5], v[4:5], 0
	v_add_f64 v[6:7], v[16:17], 0
	s_waitcnt vmcnt(2)
	v_add_f64 v[4:5], v[12:13], -v[4:5]
	s_waitcnt vmcnt(0)
	v_add_f64 v[6:7], v[14:15], -v[6:7]
	buffer_store_dword v4, off, s[0:3], 0 offset:928
	buffer_store_dword v5, off, s[0:3], 0 offset:932
	;; [unrolled: 1-line block ×4, first 2 shown]
	s_and_saveexec_b64 s[4:5], vcc
	s_cbranch_execz .LBB122_255
; %bb.254:
	v_accvgpr_read_b32 v0, a120
	buffer_load_dword v4, v0, s[0:3], 0 offen
	buffer_load_dword v5, v0, s[0:3], 0 offen offset:4
	buffer_load_dword v6, v0, s[0:3], 0 offen offset:8
	;; [unrolled: 1-line block ×3, first 2 shown]
	v_accvgpr_read_b32 v0, a177
	buffer_store_dword v2, off, s[0:3], 0 offset:912
	buffer_store_dword v2, off, s[0:3], 0 offset:916
	;; [unrolled: 1-line block ×4, first 2 shown]
	s_waitcnt vmcnt(4)
	ds_write_b128 v0, v[4:7]
.LBB122_255:
	s_or_b64 exec, exec, s[4:5]
	s_waitcnt lgkmcnt(0)
	; wave barrier
	s_waitcnt lgkmcnt(0)
	buffer_load_dword v12, off, s[0:3], 0 offset:936
	buffer_load_dword v13, off, s[0:3], 0 offset:940
	;; [unrolled: 1-line block ×12, first 2 shown]
	ds_read_b128 v[4:7], v2 offset:1856
	ds_read_b128 v[8:11], v2 offset:1872
	v_cmp_lt_u32_e32 vcc, 55, v228
	s_waitcnt vmcnt(10) lgkmcnt(1)
	v_mul_f64 v[2:3], v[4:5], v[12:13]
	v_mul_f64 v[12:13], v[6:7], v[12:13]
	s_waitcnt vmcnt(8) lgkmcnt(0)
	v_mul_f64 v[24:25], v[8:9], v[14:15]
	v_mul_f64 v[14:15], v[10:11], v[14:15]
	s_waitcnt vmcnt(6)
	v_fma_f64 v[4:5], v[4:5], v[16:17], -v[12:13]
	v_fmac_f64_e32 v[2:3], v[6:7], v[16:17]
	s_waitcnt vmcnt(4)
	v_fma_f64 v[6:7], v[8:9], v[18:19], -v[14:15]
	v_add_f64 v[4:5], v[4:5], 0
	v_fmac_f64_e32 v[24:25], v[10:11], v[18:19]
	v_add_f64 v[2:3], v[2:3], 0
	v_add_f64 v[4:5], v[4:5], v[6:7]
	;; [unrolled: 1-line block ×3, first 2 shown]
	s_waitcnt vmcnt(2)
	v_add_f64 v[4:5], v[20:21], -v[4:5]
	s_waitcnt vmcnt(0)
	v_add_f64 v[2:3], v[22:23], -v[2:3]
	buffer_store_dword v4, off, s[0:3], 0 offset:912
	buffer_store_dword v5, off, s[0:3], 0 offset:916
	;; [unrolled: 1-line block ×4, first 2 shown]
	s_and_saveexec_b64 s[4:5], vcc
	s_cbranch_execz .LBB122_257
; %bb.256:
	v_accvgpr_read_b32 v0, a121
	buffer_load_dword v2, v0, s[0:3], 0 offen
	buffer_load_dword v3, v0, s[0:3], 0 offen offset:4
	buffer_load_dword v4, v0, s[0:3], 0 offen offset:8
	;; [unrolled: 1-line block ×3, first 2 shown]
	v_mov_b32_e32 v0, 0
	v_accvgpr_read_b32 v1, a177
	buffer_store_dword v0, off, s[0:3], 0 offset:896
	buffer_store_dword v0, off, s[0:3], 0 offset:900
	;; [unrolled: 1-line block ×4, first 2 shown]
	s_waitcnt vmcnt(4)
	ds_write_b128 v1, v[2:5]
.LBB122_257:
	s_or_b64 exec, exec, s[4:5]
	s_waitcnt lgkmcnt(0)
	; wave barrier
	s_waitcnt lgkmcnt(0)
	buffer_load_dword v16, off, s[0:3], 0 offset:920
	buffer_load_dword v17, off, s[0:3], 0 offset:924
	;; [unrolled: 1-line block ×16, first 2 shown]
	v_mov_b32_e32 v2, 0
	ds_read_b128 v[4:7], v2 offset:1840
	ds_read_b128 v[8:11], v2 offset:1856
	;; [unrolled: 1-line block ×3, first 2 shown]
	v_cmp_lt_u32_e32 vcc, 54, v228
	s_waitcnt vmcnt(14) lgkmcnt(2)
	v_mul_f64 v[32:33], v[4:5], v[16:17]
	v_mul_f64 v[16:17], v[6:7], v[16:17]
	s_waitcnt vmcnt(12) lgkmcnt(1)
	v_mul_f64 v[34:35], v[8:9], v[18:19]
	v_mul_f64 v[18:19], v[10:11], v[18:19]
	;; [unrolled: 3-line block ×3, first 2 shown]
	s_waitcnt vmcnt(8)
	v_fma_f64 v[4:5], v[4:5], v[22:23], -v[16:17]
	v_fmac_f64_e32 v[32:33], v[6:7], v[22:23]
	s_waitcnt vmcnt(6)
	v_fma_f64 v[6:7], v[8:9], v[24:25], -v[18:19]
	v_add_f64 v[4:5], v[4:5], 0
	v_fmac_f64_e32 v[34:35], v[10:11], v[24:25]
	s_waitcnt vmcnt(4)
	v_fma_f64 v[8:9], v[12:13], v[26:27], -v[20:21]
	v_add_f64 v[10:11], v[32:33], 0
	v_add_f64 v[4:5], v[4:5], v[6:7]
	v_fmac_f64_e32 v[36:37], v[14:15], v[26:27]
	v_add_f64 v[10:11], v[10:11], v[34:35]
	v_add_f64 v[4:5], v[4:5], v[8:9]
	v_add_f64 v[6:7], v[10:11], v[36:37]
	s_waitcnt vmcnt(2)
	v_add_f64 v[4:5], v[28:29], -v[4:5]
	s_waitcnt vmcnt(0)
	v_add_f64 v[6:7], v[30:31], -v[6:7]
	buffer_store_dword v4, off, s[0:3], 0 offset:896
	buffer_store_dword v5, off, s[0:3], 0 offset:900
	buffer_store_dword v6, off, s[0:3], 0 offset:904
	buffer_store_dword v7, off, s[0:3], 0 offset:908
	s_and_saveexec_b64 s[4:5], vcc
	s_cbranch_execz .LBB122_259
; %bb.258:
	v_accvgpr_read_b32 v0, a122
	buffer_load_dword v4, v0, s[0:3], 0 offen
	buffer_load_dword v5, v0, s[0:3], 0 offen offset:4
	buffer_load_dword v6, v0, s[0:3], 0 offen offset:8
	;; [unrolled: 1-line block ×3, first 2 shown]
	v_accvgpr_read_b32 v0, a177
	buffer_store_dword v2, off, s[0:3], 0 offset:880
	buffer_store_dword v2, off, s[0:3], 0 offset:884
	;; [unrolled: 1-line block ×4, first 2 shown]
	s_waitcnt vmcnt(4)
	ds_write_b128 v0, v[4:7]
.LBB122_259:
	s_or_b64 exec, exec, s[4:5]
	s_waitcnt lgkmcnt(0)
	; wave barrier
	s_waitcnt lgkmcnt(0)
	buffer_load_dword v20, off, s[0:3], 0 offset:904
	buffer_load_dword v21, off, s[0:3], 0 offset:908
	;; [unrolled: 1-line block ×20, first 2 shown]
	ds_read_b128 v[4:7], v2 offset:1824
	ds_read_b128 v[8:11], v2 offset:1840
	;; [unrolled: 1-line block ×4, first 2 shown]
	v_cmp_lt_u32_e32 vcc, 53, v228
	s_waitcnt vmcnt(18) lgkmcnt(3)
	v_mul_f64 v[2:3], v[4:5], v[20:21]
	v_mul_f64 v[20:21], v[6:7], v[20:21]
	s_waitcnt vmcnt(16) lgkmcnt(2)
	v_mul_f64 v[40:41], v[8:9], v[22:23]
	v_mul_f64 v[22:23], v[10:11], v[22:23]
	;; [unrolled: 3-line block ×4, first 2 shown]
	s_waitcnt vmcnt(10)
	v_fma_f64 v[4:5], v[4:5], v[28:29], -v[20:21]
	v_fmac_f64_e32 v[2:3], v[6:7], v[28:29]
	s_waitcnt vmcnt(8)
	v_fma_f64 v[6:7], v[8:9], v[30:31], -v[22:23]
	v_add_f64 v[4:5], v[4:5], 0
	v_fmac_f64_e32 v[40:41], v[10:11], v[30:31]
	s_waitcnt vmcnt(6)
	v_fma_f64 v[8:9], v[12:13], v[32:33], -v[24:25]
	v_add_f64 v[2:3], v[2:3], 0
	v_add_f64 v[4:5], v[4:5], v[6:7]
	v_fmac_f64_e32 v[42:43], v[14:15], v[32:33]
	s_waitcnt vmcnt(4)
	v_fma_f64 v[10:11], v[16:17], v[34:35], -v[26:27]
	v_add_f64 v[2:3], v[2:3], v[40:41]
	v_add_f64 v[4:5], v[4:5], v[8:9]
	v_fmac_f64_e32 v[44:45], v[18:19], v[34:35]
	v_add_f64 v[2:3], v[2:3], v[42:43]
	v_add_f64 v[4:5], v[4:5], v[10:11]
	v_add_f64 v[2:3], v[2:3], v[44:45]
	s_waitcnt vmcnt(2)
	v_add_f64 v[4:5], v[36:37], -v[4:5]
	s_waitcnt vmcnt(0)
	v_add_f64 v[2:3], v[38:39], -v[2:3]
	buffer_store_dword v4, off, s[0:3], 0 offset:880
	buffer_store_dword v5, off, s[0:3], 0 offset:884
	;; [unrolled: 1-line block ×4, first 2 shown]
	s_and_saveexec_b64 s[4:5], vcc
	s_cbranch_execz .LBB122_261
; %bb.260:
	v_accvgpr_read_b32 v0, a123
	buffer_load_dword v2, v0, s[0:3], 0 offen
	buffer_load_dword v3, v0, s[0:3], 0 offen offset:4
	buffer_load_dword v4, v0, s[0:3], 0 offen offset:8
	buffer_load_dword v5, v0, s[0:3], 0 offen offset:12
	v_mov_b32_e32 v0, 0
	v_accvgpr_read_b32 v1, a177
	buffer_store_dword v0, off, s[0:3], 0 offset:864
	buffer_store_dword v0, off, s[0:3], 0 offset:868
	;; [unrolled: 1-line block ×4, first 2 shown]
	s_waitcnt vmcnt(4)
	ds_write_b128 v1, v[2:5]
.LBB122_261:
	s_or_b64 exec, exec, s[4:5]
	s_waitcnt lgkmcnt(0)
	; wave barrier
	s_waitcnt lgkmcnt(0)
	buffer_load_dword v24, off, s[0:3], 0 offset:888
	buffer_load_dword v25, off, s[0:3], 0 offset:892
	;; [unrolled: 1-line block ×24, first 2 shown]
	v_mov_b32_e32 v2, 0
	ds_read_b128 v[4:7], v2 offset:1808
	ds_read_b128 v[8:11], v2 offset:1824
	;; [unrolled: 1-line block ×5, first 2 shown]
	v_cmp_lt_u32_e32 vcc, 52, v228
	s_waitcnt vmcnt(22) lgkmcnt(4)
	v_mul_f64 v[48:49], v[4:5], v[24:25]
	v_mul_f64 v[24:25], v[6:7], v[24:25]
	s_waitcnt vmcnt(20) lgkmcnt(3)
	v_mul_f64 v[50:51], v[8:9], v[26:27]
	v_mul_f64 v[26:27], v[10:11], v[26:27]
	;; [unrolled: 3-line block ×4, first 2 shown]
	s_waitcnt vmcnt(13) lgkmcnt(0)
	v_mul_f64 v[56:57], v[20:21], v[30:31]
	s_waitcnt vmcnt(11)
	v_fma_f64 v[4:5], v[4:5], v[36:37], -v[24:25]
	v_fmac_f64_e32 v[48:49], v[6:7], v[36:37]
	s_waitcnt vmcnt(9)
	v_fma_f64 v[6:7], v[8:9], v[38:39], -v[26:27]
	v_add_f64 v[4:5], v[4:5], 0
	v_fmac_f64_e32 v[50:51], v[10:11], v[38:39]
	s_waitcnt vmcnt(7)
	v_fmac_f64_e32 v[52:53], v[14:15], v[40:41]
	v_fma_f64 v[8:9], v[12:13], v[40:41], -v[28:29]
	v_add_f64 v[14:15], v[48:49], 0
	v_add_f64 v[4:5], v[4:5], v[6:7]
	v_mul_f64 v[30:31], v[22:23], v[30:31]
	s_waitcnt vmcnt(5)
	v_fma_f64 v[10:11], v[16:17], v[42:43], -v[34:35]
	v_add_f64 v[14:15], v[14:15], v[50:51]
	v_add_f64 v[4:5], v[4:5], v[8:9]
	v_fmac_f64_e32 v[54:55], v[18:19], v[42:43]
	s_waitcnt vmcnt(4)
	v_fma_f64 v[12:13], v[20:21], v[32:33], -v[30:31]
	v_add_f64 v[6:7], v[14:15], v[52:53]
	v_add_f64 v[4:5], v[4:5], v[10:11]
	v_fmac_f64_e32 v[56:57], v[22:23], v[32:33]
	v_add_f64 v[6:7], v[6:7], v[54:55]
	v_add_f64 v[4:5], v[4:5], v[12:13]
	;; [unrolled: 1-line block ×3, first 2 shown]
	s_waitcnt vmcnt(2)
	v_add_f64 v[4:5], v[44:45], -v[4:5]
	s_waitcnt vmcnt(0)
	v_add_f64 v[6:7], v[46:47], -v[6:7]
	buffer_store_dword v5, off, s[0:3], 0 offset:868
	buffer_store_dword v4, off, s[0:3], 0 offset:864
	;; [unrolled: 1-line block ×4, first 2 shown]
	s_and_saveexec_b64 s[4:5], vcc
	s_cbranch_execz .LBB122_263
; %bb.262:
	v_accvgpr_read_b32 v0, a124
	buffer_load_dword v4, v0, s[0:3], 0 offen
	buffer_load_dword v5, v0, s[0:3], 0 offen offset:4
	buffer_load_dword v6, v0, s[0:3], 0 offen offset:8
	;; [unrolled: 1-line block ×3, first 2 shown]
	v_accvgpr_read_b32 v0, a177
	buffer_store_dword v2, off, s[0:3], 0 offset:848
	buffer_store_dword v2, off, s[0:3], 0 offset:852
	;; [unrolled: 1-line block ×4, first 2 shown]
	s_waitcnt vmcnt(4)
	ds_write_b128 v0, v[4:7]
.LBB122_263:
	s_or_b64 exec, exec, s[4:5]
	s_waitcnt lgkmcnt(0)
	; wave barrier
	s_waitcnt lgkmcnt(0)
	buffer_load_dword v28, off, s[0:3], 0 offset:872
	buffer_load_dword v29, off, s[0:3], 0 offset:876
	;; [unrolled: 1-line block ×28, first 2 shown]
	ds_read_b128 v[4:7], v2 offset:1792
	ds_read_b128 v[8:11], v2 offset:1808
	ds_read_b128 v[12:15], v2 offset:1824
	ds_read_b128 v[16:19], v2 offset:1840
	ds_read_b128 v[20:23], v2 offset:1856
	ds_read_b128 v[24:27], v2 offset:1872
	v_cmp_lt_u32_e32 vcc, 51, v228
	s_waitcnt vmcnt(26) lgkmcnt(5)
	v_mul_f64 v[2:3], v[4:5], v[28:29]
	v_mul_f64 v[28:29], v[6:7], v[28:29]
	s_waitcnt vmcnt(24) lgkmcnt(4)
	v_mul_f64 v[56:57], v[8:9], v[30:31]
	v_mul_f64 v[30:31], v[10:11], v[30:31]
	;; [unrolled: 3-line block ×4, first 2 shown]
	s_waitcnt vmcnt(17)
	v_mul_f64 v[60:61], v[16:17], v[38:39]
	v_mul_f64 v[38:39], v[18:19], v[38:39]
	s_waitcnt vmcnt(15) lgkmcnt(0)
	v_mul_f64 v[64:65], v[24:25], v[40:41]
	v_mul_f64 v[40:41], v[26:27], v[40:41]
	s_waitcnt vmcnt(14)
	v_fmac_f64_e32 v[62:63], v[22:23], v[36:37]
	s_waitcnt vmcnt(12)
	v_fma_f64 v[4:5], v[4:5], v[42:43], -v[28:29]
	v_fmac_f64_e32 v[2:3], v[6:7], v[42:43]
	s_waitcnt vmcnt(10)
	v_fma_f64 v[6:7], v[8:9], v[44:45], -v[30:31]
	v_add_f64 v[4:5], v[4:5], 0
	v_fmac_f64_e32 v[56:57], v[10:11], v[44:45]
	s_waitcnt vmcnt(8)
	v_fma_f64 v[8:9], v[12:13], v[46:47], -v[32:33]
	v_add_f64 v[2:3], v[2:3], 0
	v_add_f64 v[4:5], v[4:5], v[6:7]
	v_fmac_f64_e32 v[58:59], v[14:15], v[46:47]
	s_waitcnt vmcnt(6)
	v_fma_f64 v[10:11], v[16:17], v[48:49], -v[38:39]
	v_add_f64 v[2:3], v[2:3], v[56:57]
	v_add_f64 v[4:5], v[4:5], v[8:9]
	v_fmac_f64_e32 v[60:61], v[18:19], v[48:49]
	v_fma_f64 v[12:13], v[20:21], v[36:37], -v[34:35]
	v_add_f64 v[2:3], v[2:3], v[58:59]
	v_add_f64 v[4:5], v[4:5], v[10:11]
	s_waitcnt vmcnt(4)
	v_fma_f64 v[14:15], v[24:25], v[50:51], -v[40:41]
	v_add_f64 v[2:3], v[2:3], v[60:61]
	v_add_f64 v[4:5], v[4:5], v[12:13]
	v_fmac_f64_e32 v[64:65], v[26:27], v[50:51]
	v_add_f64 v[2:3], v[2:3], v[62:63]
	v_add_f64 v[4:5], v[4:5], v[14:15]
	v_add_f64 v[2:3], v[2:3], v[64:65]
	s_waitcnt vmcnt(2)
	v_add_f64 v[4:5], v[52:53], -v[4:5]
	s_waitcnt vmcnt(0)
	v_add_f64 v[2:3], v[54:55], -v[2:3]
	buffer_store_dword v5, off, s[0:3], 0 offset:852
	buffer_store_dword v4, off, s[0:3], 0 offset:848
	;; [unrolled: 1-line block ×4, first 2 shown]
	s_and_saveexec_b64 s[4:5], vcc
	s_cbranch_execz .LBB122_265
; %bb.264:
	v_accvgpr_read_b32 v0, a125
	buffer_load_dword v2, v0, s[0:3], 0 offen
	buffer_load_dword v3, v0, s[0:3], 0 offen offset:4
	buffer_load_dword v4, v0, s[0:3], 0 offen offset:8
	;; [unrolled: 1-line block ×3, first 2 shown]
	v_mov_b32_e32 v0, 0
	v_accvgpr_read_b32 v1, a177
	buffer_store_dword v0, off, s[0:3], 0 offset:832
	buffer_store_dword v0, off, s[0:3], 0 offset:836
	;; [unrolled: 1-line block ×4, first 2 shown]
	s_waitcnt vmcnt(4)
	ds_write_b128 v1, v[2:5]
.LBB122_265:
	s_or_b64 exec, exec, s[4:5]
	s_waitcnt lgkmcnt(0)
	; wave barrier
	s_waitcnt lgkmcnt(0)
	buffer_load_dword v32, off, s[0:3], 0 offset:856
	buffer_load_dword v33, off, s[0:3], 0 offset:860
	;; [unrolled: 1-line block ×32, first 2 shown]
	v_mov_b32_e32 v26, 0
	ds_read_b128 v[2:5], v26 offset:1776
	ds_read_b128 v[6:9], v26 offset:1792
	;; [unrolled: 1-line block ×7, first 2 shown]
	v_cmp_lt_u32_e32 vcc, 50, v228
	s_waitcnt vmcnt(30) lgkmcnt(6)
	v_mul_f64 v[64:65], v[2:3], v[32:33]
	v_mul_f64 v[32:33], v[4:5], v[32:33]
	s_waitcnt vmcnt(28) lgkmcnt(5)
	v_mul_f64 v[66:67], v[6:7], v[34:35]
	v_mul_f64 v[34:35], v[8:9], v[34:35]
	;; [unrolled: 3-line block ×4, first 2 shown]
	s_waitcnt vmcnt(21)
	v_mul_f64 v[70:71], v[14:15], v[42:43]
	v_mul_f64 v[42:43], v[16:17], v[42:43]
	s_waitcnt vmcnt(17) lgkmcnt(1)
	v_mul_f64 v[74:75], v[22:23], v[48:49]
	v_mul_f64 v[48:49], v[24:25], v[48:49]
	s_waitcnt vmcnt(16) lgkmcnt(0)
	v_mul_f64 v[76:77], v[28:29], v[44:45]
	v_mul_f64 v[44:45], v[30:31], v[44:45]
	s_waitcnt vmcnt(13)
	v_fma_f64 v[2:3], v[2:3], v[50:51], -v[32:33]
	v_fmac_f64_e32 v[64:65], v[4:5], v[50:51]
	s_waitcnt vmcnt(11)
	v_fma_f64 v[4:5], v[6:7], v[52:53], -v[34:35]
	v_add_f64 v[2:3], v[2:3], 0
	v_fmac_f64_e32 v[66:67], v[8:9], v[52:53]
	s_waitcnt vmcnt(9)
	v_fma_f64 v[6:7], v[10:11], v[54:55], -v[36:37]
	s_waitcnt vmcnt(7)
	v_fmac_f64_e32 v[70:71], v[16:17], v[56:57]
	v_add_f64 v[16:17], v[64:65], 0
	v_add_f64 v[2:3], v[2:3], v[4:5]
	v_fmac_f64_e32 v[68:69], v[12:13], v[54:55]
	v_fma_f64 v[8:9], v[14:15], v[56:57], -v[42:43]
	v_add_f64 v[16:17], v[16:17], v[66:67]
	v_add_f64 v[2:3], v[2:3], v[6:7]
	v_fma_f64 v[10:11], v[18:19], v[40:41], -v[38:39]
	v_add_f64 v[4:5], v[16:17], v[68:69]
	v_add_f64 v[2:3], v[2:3], v[8:9]
	v_fmac_f64_e32 v[72:73], v[20:21], v[40:41]
	s_waitcnt vmcnt(5)
	v_fma_f64 v[12:13], v[22:23], v[58:59], -v[48:49]
	v_add_f64 v[4:5], v[4:5], v[70:71]
	v_add_f64 v[2:3], v[2:3], v[10:11]
	v_fmac_f64_e32 v[74:75], v[24:25], v[58:59]
	s_waitcnt vmcnt(4)
	v_fma_f64 v[14:15], v[28:29], v[46:47], -v[44:45]
	v_add_f64 v[4:5], v[4:5], v[72:73]
	v_add_f64 v[2:3], v[2:3], v[12:13]
	v_fmac_f64_e32 v[76:77], v[30:31], v[46:47]
	v_add_f64 v[4:5], v[4:5], v[74:75]
	v_add_f64 v[2:3], v[2:3], v[14:15]
	;; [unrolled: 1-line block ×3, first 2 shown]
	s_waitcnt vmcnt(2)
	v_add_f64 v[2:3], v[60:61], -v[2:3]
	s_waitcnt vmcnt(0)
	v_add_f64 v[4:5], v[62:63], -v[4:5]
	buffer_store_dword v3, off, s[0:3], 0 offset:836
	buffer_store_dword v2, off, s[0:3], 0 offset:832
	;; [unrolled: 1-line block ×4, first 2 shown]
	s_and_saveexec_b64 s[4:5], vcc
	s_cbranch_execz .LBB122_267
; %bb.266:
	v_accvgpr_read_b32 v0, a126
	buffer_load_dword v2, v0, s[0:3], 0 offen
	buffer_load_dword v3, v0, s[0:3], 0 offen offset:4
	buffer_load_dword v4, v0, s[0:3], 0 offen offset:8
	;; [unrolled: 1-line block ×3, first 2 shown]
	v_accvgpr_read_b32 v0, a177
	buffer_store_dword v26, off, s[0:3], 0 offset:816
	buffer_store_dword v26, off, s[0:3], 0 offset:820
	;; [unrolled: 1-line block ×4, first 2 shown]
	s_waitcnt vmcnt(4)
	ds_write_b128 v0, v[2:5]
.LBB122_267:
	s_or_b64 exec, exec, s[4:5]
	s_waitcnt lgkmcnt(0)
	; wave barrier
	s_waitcnt lgkmcnt(0)
	ds_read_b128 v[14:17], v26 offset:1760
	ds_read_b128 v[10:13], v26 offset:1776
	;; [unrolled: 1-line block ×4, first 2 shown]
	buffer_load_dword v36, off, s[0:3], 0 offset:816
	buffer_load_dword v37, off, s[0:3], 0 offset:820
	buffer_load_dword v34, off, s[0:3], 0 offset:824
	buffer_load_dword v35, off, s[0:3], 0 offset:828
	buffer_load_dword v38, off, s[0:3], 0 offset:832
	buffer_load_dword v39, off, s[0:3], 0 offset:836
	buffer_load_dword v44, off, s[0:3], 0 offset:840
	buffer_load_dword v45, off, s[0:3], 0 offset:844
	buffer_load_dword v40, off, s[0:3], 0 offset:848
	buffer_load_dword v41, off, s[0:3], 0 offset:852
	buffer_load_dword v46, off, s[0:3], 0 offset:856
	buffer_load_dword v47, off, s[0:3], 0 offset:860
	buffer_load_dword v42, off, s[0:3], 0 offset:864
	buffer_load_dword v43, off, s[0:3], 0 offset:868
	buffer_load_dword v50, off, s[0:3], 0 offset:872
	buffer_load_dword v51, off, s[0:3], 0 offset:876
	buffer_load_dword v53, off, s[0:3], 0 offset:884
	buffer_load_dword v52, off, s[0:3], 0 offset:880
	buffer_load_dword v55, off, s[0:3], 0 offset:892
	buffer_load_dword v54, off, s[0:3], 0 offset:888
	v_cmp_lt_u32_e32 vcc, 49, v228
	s_waitcnt vmcnt(12) lgkmcnt(3)
	v_mul_f64 v[18:19], v[14:15], v[44:45]
	v_fmac_f64_e32 v[18:19], v[16:17], v[38:39]
	v_add_f64 v[18:19], v[18:19], 0
	v_mul_f64 v[16:17], v[16:17], v[44:45]
	s_waitcnt vmcnt(8) lgkmcnt(2)
	v_mul_f64 v[20:21], v[10:11], v[46:47]
	v_fmac_f64_e32 v[20:21], v[12:13], v[40:41]
	v_add_f64 v[18:19], v[18:19], v[20:21]
	v_fma_f64 v[14:15], v[14:15], v[38:39], -v[16:17]
	s_waitcnt vmcnt(4) lgkmcnt(1)
	v_mul_f64 v[20:21], v[6:7], v[50:51]
	v_fmac_f64_e32 v[20:21], v[8:9], v[42:43]
	v_add_f64 v[18:19], v[18:19], v[20:21]
	s_waitcnt vmcnt(0) lgkmcnt(0)
	v_mul_f64 v[20:21], v[2:3], v[54:55]
	v_fmac_f64_e32 v[20:21], v[4:5], v[52:53]
	v_add_f64 v[22:23], v[18:19], v[20:21]
	ds_read_b128 v[18:21], v26 offset:1824
	buffer_load_dword v49, off, s[0:3], 0 offset:900
	buffer_load_dword v48, off, s[0:3], 0 offset:896
	;; [unrolled: 1-line block ×4, first 2 shown]
	ds_read_b128 v[30:33], v26 offset:1840
	buffer_load_dword v61, off, s[0:3], 0 offset:916
	buffer_load_dword v60, off, s[0:3], 0 offset:912
	;; [unrolled: 1-line block ×4, first 2 shown]
	v_mul_f64 v[12:13], v[12:13], v[46:47]
	v_add_f64 v[14:15], v[14:15], 0
	v_fma_f64 v[10:11], v[10:11], v[40:41], -v[12:13]
	v_mul_f64 v[8:9], v[8:9], v[50:51]
	v_add_f64 v[10:11], v[14:15], v[10:11]
	v_fma_f64 v[6:7], v[6:7], v[42:43], -v[8:9]
	;; [unrolled: 3-line block ×3, first 2 shown]
	v_add_f64 v[2:3], v[6:7], v[2:3]
	s_waitcnt vmcnt(4) lgkmcnt(1)
	v_mul_f64 v[24:25], v[18:19], v[64:65]
	v_fmac_f64_e32 v[24:25], v[20:21], v[48:49]
	v_add_f64 v[22:23], v[22:23], v[24:25]
	s_waitcnt vmcnt(0) lgkmcnt(0)
	v_mul_f64 v[24:25], v[30:31], v[62:63]
	v_fmac_f64_e32 v[24:25], v[32:33], v[60:61]
	v_add_f64 v[28:29], v[22:23], v[24:25]
	ds_read_b128 v[22:25], v26 offset:1856
	buffer_load_dword v57, off, s[0:3], 0 offset:932
	buffer_load_dword v56, off, s[0:3], 0 offset:928
	;; [unrolled: 1-line block ×4, first 2 shown]
	v_mul_f64 v[4:5], v[20:21], v[64:65]
	v_fma_f64 v[4:5], v[18:19], v[48:49], -v[4:5]
	v_add_f64 v[2:3], v[2:3], v[4:5]
	v_mul_f64 v[4:5], v[32:33], v[62:63]
	v_fma_f64 v[4:5], v[30:31], v[60:61], -v[4:5]
	v_add_f64 v[2:3], v[2:3], v[4:5]
	s_waitcnt vmcnt(0) lgkmcnt(0)
	v_mul_f64 v[58:59], v[22:23], v[66:67]
	v_fmac_f64_e32 v[58:59], v[24:25], v[56:57]
	v_add_f64 v[68:69], v[28:29], v[58:59]
	ds_read_b128 v[26:29], v26 offset:1872
	buffer_load_dword v59, off, s[0:3], 0 offset:948
	buffer_load_dword v58, off, s[0:3], 0 offset:944
	;; [unrolled: 1-line block ×4, first 2 shown]
	v_mul_f64 v[4:5], v[24:25], v[66:67]
	v_fma_f64 v[4:5], v[22:23], v[56:57], -v[4:5]
	v_add_f64 v[2:3], v[2:3], v[4:5]
	s_waitcnt vmcnt(0) lgkmcnt(0)
	v_mul_f64 v[4:5], v[28:29], v[70:71]
	v_mul_f64 v[72:73], v[26:27], v[70:71]
	v_fma_f64 v[4:5], v[26:27], v[58:59], -v[4:5]
	v_fmac_f64_e32 v[72:73], v[28:29], v[58:59]
	v_add_f64 v[2:3], v[2:3], v[4:5]
	v_add_f64 v[68:69], v[68:69], v[72:73]
	v_add_f64 v[2:3], v[36:37], -v[2:3]
	v_add_f64 v[4:5], v[34:35], -v[68:69]
	buffer_store_dword v3, off, s[0:3], 0 offset:820
	buffer_store_dword v2, off, s[0:3], 0 offset:816
	;; [unrolled: 1-line block ×4, first 2 shown]
	s_and_saveexec_b64 s[4:5], vcc
	s_cbranch_execz .LBB122_269
; %bb.268:
	v_accvgpr_read_b32 v0, a127
	buffer_load_dword v2, v0, s[0:3], 0 offen
	buffer_load_dword v3, v0, s[0:3], 0 offen offset:4
	buffer_load_dword v4, v0, s[0:3], 0 offen offset:8
	;; [unrolled: 1-line block ×3, first 2 shown]
	v_mov_b32_e32 v0, 0
	v_accvgpr_read_b32 v1, a177
	buffer_store_dword v0, off, s[0:3], 0 offset:800
	buffer_store_dword v0, off, s[0:3], 0 offset:804
	;; [unrolled: 1-line block ×4, first 2 shown]
	s_waitcnt vmcnt(4)
	ds_write_b128 v1, v[2:5]
.LBB122_269:
	s_or_b64 exec, exec, s[4:5]
	v_mov_b32_e32 v82, 0
	s_waitcnt lgkmcnt(0)
	; wave barrier
	s_waitcnt lgkmcnt(0)
	ds_read_b128 v[18:21], v82 offset:1744
	ds_read_b128 v[14:17], v82 offset:1760
	;; [unrolled: 1-line block ×4, first 2 shown]
	buffer_load_dword v40, off, s[0:3], 0 offset:800
	buffer_load_dword v41, off, s[0:3], 0 offset:804
	buffer_load_dword v38, off, s[0:3], 0 offset:808
	buffer_load_dword v39, off, s[0:3], 0 offset:812
	buffer_load_dword v44, off, s[0:3], 0 offset:816
	buffer_load_dword v45, off, s[0:3], 0 offset:820
	buffer_load_dword v56, off, s[0:3], 0 offset:824
	buffer_load_dword v57, off, s[0:3], 0 offset:828
	buffer_load_dword v50, off, s[0:3], 0 offset:832
	buffer_load_dword v51, off, s[0:3], 0 offset:836
	buffer_load_dword v54, off, s[0:3], 0 offset:840
	buffer_load_dword v55, off, s[0:3], 0 offset:844
	buffer_load_dword v48, off, s[0:3], 0 offset:848
	buffer_load_dword v49, off, s[0:3], 0 offset:852
	buffer_load_dword v52, off, s[0:3], 0 offset:856
	buffer_load_dword v53, off, s[0:3], 0 offset:860
	buffer_load_dword v47, off, s[0:3], 0 offset:868
	buffer_load_dword v46, off, s[0:3], 0 offset:864
	buffer_load_dword v59, off, s[0:3], 0 offset:876
	buffer_load_dword v58, off, s[0:3], 0 offset:872
	v_cmp_lt_u32_e32 vcc, 48, v228
	s_waitcnt vmcnt(12) lgkmcnt(3)
	v_mul_f64 v[6:7], v[18:19], v[56:57]
	v_fmac_f64_e32 v[6:7], v[20:21], v[44:45]
	v_add_f64 v[6:7], v[6:7], 0
	v_mul_f64 v[20:21], v[20:21], v[56:57]
	s_waitcnt vmcnt(8) lgkmcnt(2)
	v_mul_f64 v[8:9], v[14:15], v[54:55]
	v_fmac_f64_e32 v[8:9], v[16:17], v[50:51]
	v_add_f64 v[6:7], v[6:7], v[8:9]
	v_fma_f64 v[18:19], v[18:19], v[44:45], -v[20:21]
	s_waitcnt vmcnt(4) lgkmcnt(1)
	v_mul_f64 v[8:9], v[10:11], v[52:53]
	v_fmac_f64_e32 v[8:9], v[12:13], v[48:49]
	v_add_f64 v[6:7], v[6:7], v[8:9]
	s_waitcnt vmcnt(0) lgkmcnt(0)
	v_mul_f64 v[8:9], v[2:3], v[58:59]
	v_fmac_f64_e32 v[8:9], v[4:5], v[46:47]
	v_add_f64 v[22:23], v[6:7], v[8:9]
	ds_read_b128 v[6:9], v82 offset:1808
	buffer_load_dword v43, off, s[0:3], 0 offset:884
	buffer_load_dword v42, off, s[0:3], 0 offset:880
	;; [unrolled: 1-line block ×4, first 2 shown]
	v_mul_f64 v[16:17], v[16:17], v[54:55]
	v_add_f64 v[18:19], v[18:19], 0
	v_fma_f64 v[14:15], v[14:15], v[50:51], -v[16:17]
	v_mul_f64 v[12:13], v[12:13], v[52:53]
	v_add_f64 v[14:15], v[18:19], v[14:15]
	v_fma_f64 v[10:11], v[10:11], v[48:49], -v[12:13]
	;; [unrolled: 3-line block ×3, first 2 shown]
	v_add_f64 v[2:3], v[10:11], v[2:3]
	s_waitcnt vmcnt(0) lgkmcnt(0)
	v_mul_f64 v[24:25], v[6:7], v[60:61]
	v_fmac_f64_e32 v[24:25], v[8:9], v[42:43]
	v_add_f64 v[26:27], v[22:23], v[24:25]
	ds_read_b128 v[22:25], v82 offset:1824
	buffer_load_dword v63, off, s[0:3], 0 offset:900
	buffer_load_dword v62, off, s[0:3], 0 offset:896
	buffer_load_dword v65, off, s[0:3], 0 offset:908
	buffer_load_dword v64, off, s[0:3], 0 offset:904
	v_mul_f64 v[4:5], v[8:9], v[60:61]
	v_fma_f64 v[4:5], v[6:7], v[42:43], -v[4:5]
	v_add_f64 v[2:3], v[2:3], v[4:5]
	s_waitcnt vmcnt(0) lgkmcnt(0)
	v_mul_f64 v[28:29], v[22:23], v[64:65]
	v_fmac_f64_e32 v[28:29], v[24:25], v[62:63]
	v_add_f64 v[30:31], v[26:27], v[28:29]
	ds_read_b128 v[26:29], v82 offset:1840
	buffer_load_dword v67, off, s[0:3], 0 offset:916
	buffer_load_dword v66, off, s[0:3], 0 offset:912
	buffer_load_dword v69, off, s[0:3], 0 offset:924
	buffer_load_dword v68, off, s[0:3], 0 offset:920
	v_mul_f64 v[4:5], v[24:25], v[64:65]
	v_fma_f64 v[4:5], v[22:23], v[62:63], -v[4:5]
	;; [unrolled: 12-line block ×4, first 2 shown]
	v_add_f64 v[2:3], v[2:3], v[4:5]
	s_waitcnt vmcnt(0) lgkmcnt(0)
	v_mul_f64 v[4:5], v[36:37], v[76:77]
	v_mul_f64 v[80:81], v[34:35], v[76:77]
	v_fma_f64 v[4:5], v[34:35], v[74:75], -v[4:5]
	v_fmac_f64_e32 v[80:81], v[36:37], v[74:75]
	v_add_f64 v[2:3], v[2:3], v[4:5]
	v_add_f64 v[78:79], v[78:79], v[80:81]
	v_add_f64 v[2:3], v[40:41], -v[2:3]
	v_add_f64 v[4:5], v[38:39], -v[78:79]
	buffer_store_dword v3, off, s[0:3], 0 offset:804
	buffer_store_dword v2, off, s[0:3], 0 offset:800
	;; [unrolled: 1-line block ×4, first 2 shown]
	s_and_saveexec_b64 s[4:5], vcc
	s_cbranch_execz .LBB122_271
; %bb.270:
	v_accvgpr_read_b32 v0, a128
	buffer_load_dword v2, v0, s[0:3], 0 offen
	buffer_load_dword v3, v0, s[0:3], 0 offen offset:4
	buffer_load_dword v4, v0, s[0:3], 0 offen offset:8
	buffer_load_dword v5, v0, s[0:3], 0 offen offset:12
	v_accvgpr_read_b32 v0, a177
	buffer_store_dword v82, off, s[0:3], 0 offset:784
	buffer_store_dword v82, off, s[0:3], 0 offset:788
	;; [unrolled: 1-line block ×4, first 2 shown]
	s_waitcnt vmcnt(4)
	ds_write_b128 v0, v[2:5]
.LBB122_271:
	s_or_b64 exec, exec, s[4:5]
	s_waitcnt lgkmcnt(0)
	; wave barrier
	s_waitcnt lgkmcnt(0)
	ds_read_b128 v[18:21], v82 offset:1728
	ds_read_b128 v[10:13], v82 offset:1744
	;; [unrolled: 1-line block ×4, first 2 shown]
	buffer_load_dword v44, off, s[0:3], 0 offset:784
	buffer_load_dword v45, off, s[0:3], 0 offset:788
	;; [unrolled: 1-line block ×20, first 2 shown]
	v_cmp_lt_u32_e32 vcc, 47, v228
	s_waitcnt vmcnt(12) lgkmcnt(3)
	v_mul_f64 v[14:15], v[18:19], v[62:63]
	v_fmac_f64_e32 v[14:15], v[20:21], v[58:59]
	v_add_f64 v[14:15], v[14:15], 0
	v_mul_f64 v[20:21], v[20:21], v[62:63]
	s_waitcnt vmcnt(8) lgkmcnt(2)
	v_mul_f64 v[16:17], v[10:11], v[60:61]
	v_fmac_f64_e32 v[16:17], v[12:13], v[56:57]
	v_add_f64 v[14:15], v[14:15], v[16:17]
	v_fma_f64 v[18:19], v[18:19], v[58:59], -v[20:21]
	s_waitcnt vmcnt(4) lgkmcnt(1)
	v_mul_f64 v[16:17], v[6:7], v[48:49]
	v_fmac_f64_e32 v[16:17], v[8:9], v[46:47]
	v_add_f64 v[14:15], v[14:15], v[16:17]
	s_waitcnt vmcnt(0) lgkmcnt(0)
	v_mul_f64 v[16:17], v[2:3], v[52:53]
	v_fmac_f64_e32 v[16:17], v[4:5], v[50:51]
	v_add_f64 v[22:23], v[14:15], v[16:17]
	ds_read_b128 v[14:17], v82 offset:1792
	buffer_load_dword v55, off, s[0:3], 0 offset:868
	buffer_load_dword v54, off, s[0:3], 0 offset:864
	;; [unrolled: 1-line block ×4, first 2 shown]
	v_mul_f64 v[12:13], v[12:13], v[60:61]
	v_add_f64 v[18:19], v[18:19], 0
	v_fma_f64 v[10:11], v[10:11], v[56:57], -v[12:13]
	v_mul_f64 v[8:9], v[8:9], v[48:49]
	v_add_f64 v[10:11], v[18:19], v[10:11]
	v_fma_f64 v[6:7], v[6:7], v[46:47], -v[8:9]
	;; [unrolled: 3-line block ×3, first 2 shown]
	v_add_f64 v[2:3], v[6:7], v[2:3]
	s_waitcnt vmcnt(0) lgkmcnt(0)
	v_mul_f64 v[24:25], v[14:15], v[64:65]
	v_fmac_f64_e32 v[24:25], v[16:17], v[54:55]
	v_add_f64 v[26:27], v[22:23], v[24:25]
	ds_read_b128 v[22:25], v82 offset:1808
	buffer_load_dword v67, off, s[0:3], 0 offset:884
	buffer_load_dword v66, off, s[0:3], 0 offset:880
	buffer_load_dword v69, off, s[0:3], 0 offset:892
	buffer_load_dword v68, off, s[0:3], 0 offset:888
	v_mul_f64 v[4:5], v[16:17], v[64:65]
	v_fma_f64 v[4:5], v[14:15], v[54:55], -v[4:5]
	v_add_f64 v[2:3], v[2:3], v[4:5]
	s_waitcnt vmcnt(0) lgkmcnt(0)
	v_mul_f64 v[28:29], v[22:23], v[68:69]
	v_fmac_f64_e32 v[28:29], v[24:25], v[66:67]
	v_add_f64 v[30:31], v[26:27], v[28:29]
	ds_read_b128 v[26:29], v82 offset:1824
	buffer_load_dword v71, off, s[0:3], 0 offset:900
	buffer_load_dword v70, off, s[0:3], 0 offset:896
	buffer_load_dword v73, off, s[0:3], 0 offset:908
	buffer_load_dword v72, off, s[0:3], 0 offset:904
	v_mul_f64 v[4:5], v[24:25], v[68:69]
	v_fma_f64 v[4:5], v[22:23], v[66:67], -v[4:5]
	;; [unrolled: 12-line block ×5, first 2 shown]
	v_add_f64 v[2:3], v[2:3], v[4:5]
	s_waitcnt vmcnt(0) lgkmcnt(0)
	v_mul_f64 v[4:5], v[40:41], v[86:87]
	v_mul_f64 v[88:89], v[38:39], v[86:87]
	v_fma_f64 v[4:5], v[38:39], v[82:83], -v[4:5]
	v_fmac_f64_e32 v[88:89], v[40:41], v[82:83]
	v_add_f64 v[2:3], v[2:3], v[4:5]
	v_add_f64 v[84:85], v[84:85], v[88:89]
	v_add_f64 v[2:3], v[44:45], -v[2:3]
	v_add_f64 v[4:5], v[42:43], -v[84:85]
	buffer_store_dword v3, off, s[0:3], 0 offset:788
	buffer_store_dword v2, off, s[0:3], 0 offset:784
	;; [unrolled: 1-line block ×4, first 2 shown]
	s_and_saveexec_b64 s[4:5], vcc
	s_cbranch_execz .LBB122_273
; %bb.272:
	v_accvgpr_read_b32 v0, a129
	buffer_load_dword v2, v0, s[0:3], 0 offen
	buffer_load_dword v3, v0, s[0:3], 0 offen offset:4
	buffer_load_dword v4, v0, s[0:3], 0 offen offset:8
	;; [unrolled: 1-line block ×3, first 2 shown]
	v_mov_b32_e32 v0, 0
	v_accvgpr_read_b32 v1, a177
	buffer_store_dword v0, off, s[0:3], 0 offset:768
	buffer_store_dword v0, off, s[0:3], 0 offset:772
	;; [unrolled: 1-line block ×4, first 2 shown]
	s_waitcnt vmcnt(4)
	ds_write_b128 v1, v[2:5]
.LBB122_273:
	s_or_b64 exec, exec, s[4:5]
	v_mov_b32_e32 v96, 0
	s_waitcnt lgkmcnt(0)
	; wave barrier
	s_waitcnt lgkmcnt(0)
	ds_read_b128 v[14:17], v96 offset:1712
	ds_read_b128 v[10:13], v96 offset:1728
	;; [unrolled: 1-line block ×4, first 2 shown]
	buffer_load_dword v48, off, s[0:3], 0 offset:768
	buffer_load_dword v49, off, s[0:3], 0 offset:772
	;; [unrolled: 1-line block ×20, first 2 shown]
	v_cmp_lt_u32_e32 vcc, 46, v228
	s_waitcnt vmcnt(12) lgkmcnt(3)
	v_mul_f64 v[18:19], v[14:15], v[56:57]
	v_fmac_f64_e32 v[18:19], v[16:17], v[50:51]
	v_add_f64 v[18:19], v[18:19], 0
	v_mul_f64 v[16:17], v[16:17], v[56:57]
	s_waitcnt vmcnt(8) lgkmcnt(2)
	v_mul_f64 v[20:21], v[10:11], v[58:59]
	v_fmac_f64_e32 v[20:21], v[12:13], v[52:53]
	v_add_f64 v[18:19], v[18:19], v[20:21]
	v_fma_f64 v[14:15], v[14:15], v[50:51], -v[16:17]
	s_waitcnt vmcnt(4) lgkmcnt(1)
	v_mul_f64 v[20:21], v[6:7], v[60:61]
	v_fmac_f64_e32 v[20:21], v[8:9], v[54:55]
	v_add_f64 v[18:19], v[18:19], v[20:21]
	s_waitcnt vmcnt(0) lgkmcnt(0)
	v_mul_f64 v[20:21], v[2:3], v[64:65]
	v_fmac_f64_e32 v[20:21], v[4:5], v[62:63]
	v_add_f64 v[22:23], v[18:19], v[20:21]
	ds_read_b128 v[18:21], v96 offset:1776
	buffer_load_dword v67, off, s[0:3], 0 offset:852
	buffer_load_dword v66, off, s[0:3], 0 offset:848
	buffer_load_dword v69, off, s[0:3], 0 offset:860
	buffer_load_dword v68, off, s[0:3], 0 offset:856
	v_mul_f64 v[12:13], v[12:13], v[58:59]
	v_add_f64 v[14:15], v[14:15], 0
	v_fma_f64 v[10:11], v[10:11], v[52:53], -v[12:13]
	v_mul_f64 v[8:9], v[8:9], v[60:61]
	v_add_f64 v[10:11], v[14:15], v[10:11]
	v_fma_f64 v[6:7], v[6:7], v[54:55], -v[8:9]
	;; [unrolled: 3-line block ×3, first 2 shown]
	v_add_f64 v[2:3], v[6:7], v[2:3]
	s_waitcnt vmcnt(0) lgkmcnt(0)
	v_mul_f64 v[24:25], v[18:19], v[68:69]
	v_fmac_f64_e32 v[24:25], v[20:21], v[66:67]
	v_add_f64 v[26:27], v[22:23], v[24:25]
	ds_read_b128 v[22:25], v96 offset:1792
	buffer_load_dword v71, off, s[0:3], 0 offset:868
	buffer_load_dword v70, off, s[0:3], 0 offset:864
	buffer_load_dword v73, off, s[0:3], 0 offset:876
	buffer_load_dword v72, off, s[0:3], 0 offset:872
	v_mul_f64 v[4:5], v[20:21], v[68:69]
	v_fma_f64 v[4:5], v[18:19], v[66:67], -v[4:5]
	v_add_f64 v[2:3], v[2:3], v[4:5]
	s_waitcnt vmcnt(0) lgkmcnt(0)
	v_mul_f64 v[28:29], v[22:23], v[72:73]
	v_fmac_f64_e32 v[28:29], v[24:25], v[70:71]
	v_add_f64 v[30:31], v[26:27], v[28:29]
	ds_read_b128 v[26:29], v96 offset:1808
	buffer_load_dword v75, off, s[0:3], 0 offset:884
	buffer_load_dword v74, off, s[0:3], 0 offset:880
	buffer_load_dword v77, off, s[0:3], 0 offset:892
	buffer_load_dword v76, off, s[0:3], 0 offset:888
	v_mul_f64 v[4:5], v[24:25], v[72:73]
	v_fma_f64 v[4:5], v[22:23], v[70:71], -v[4:5]
	;; [unrolled: 12-line block ×6, first 2 shown]
	v_add_f64 v[2:3], v[2:3], v[4:5]
	s_waitcnt vmcnt(0) lgkmcnt(0)
	v_mul_f64 v[4:5], v[44:45], v[92:93]
	v_mul_f64 v[98:99], v[42:43], v[92:93]
	v_fma_f64 v[4:5], v[42:43], v[90:91], -v[4:5]
	v_fmac_f64_e32 v[98:99], v[44:45], v[90:91]
	v_add_f64 v[2:3], v[2:3], v[4:5]
	v_add_f64 v[94:95], v[94:95], v[98:99]
	v_add_f64 v[2:3], v[48:49], -v[2:3]
	v_add_f64 v[4:5], v[46:47], -v[94:95]
	buffer_store_dword v3, off, s[0:3], 0 offset:772
	buffer_store_dword v2, off, s[0:3], 0 offset:768
	;; [unrolled: 1-line block ×4, first 2 shown]
	s_and_saveexec_b64 s[4:5], vcc
	s_cbranch_execz .LBB122_275
; %bb.274:
	v_accvgpr_read_b32 v0, a130
	buffer_load_dword v2, v0, s[0:3], 0 offen
	buffer_load_dword v3, v0, s[0:3], 0 offen offset:4
	buffer_load_dword v4, v0, s[0:3], 0 offen offset:8
	;; [unrolled: 1-line block ×3, first 2 shown]
	v_accvgpr_read_b32 v0, a177
	buffer_store_dword v96, off, s[0:3], 0 offset:752
	buffer_store_dword v96, off, s[0:3], 0 offset:756
	;; [unrolled: 1-line block ×4, first 2 shown]
	s_waitcnt vmcnt(4)
	ds_write_b128 v0, v[2:5]
.LBB122_275:
	s_or_b64 exec, exec, s[4:5]
	s_waitcnt lgkmcnt(0)
	; wave barrier
	s_waitcnt lgkmcnt(0)
	ds_read_b128 v[14:17], v96 offset:1696
	ds_read_b128 v[10:13], v96 offset:1712
	;; [unrolled: 1-line block ×4, first 2 shown]
	buffer_load_dword v48, off, s[0:3], 0 offset:752
	buffer_load_dword v49, off, s[0:3], 0 offset:756
	;; [unrolled: 1-line block ×20, first 2 shown]
	v_cmp_lt_u32_e32 vcc, 45, v228
	s_waitcnt vmcnt(12) lgkmcnt(3)
	v_mul_f64 v[18:19], v[14:15], v[56:57]
	v_fmac_f64_e32 v[18:19], v[16:17], v[50:51]
	v_add_f64 v[18:19], v[18:19], 0
	v_mul_f64 v[16:17], v[16:17], v[56:57]
	s_waitcnt vmcnt(8) lgkmcnt(2)
	v_mul_f64 v[20:21], v[10:11], v[58:59]
	v_fmac_f64_e32 v[20:21], v[12:13], v[52:53]
	v_add_f64 v[18:19], v[18:19], v[20:21]
	v_fma_f64 v[14:15], v[14:15], v[50:51], -v[16:17]
	s_waitcnt vmcnt(4) lgkmcnt(1)
	v_mul_f64 v[20:21], v[6:7], v[60:61]
	v_fmac_f64_e32 v[20:21], v[8:9], v[54:55]
	v_add_f64 v[18:19], v[18:19], v[20:21]
	s_waitcnt vmcnt(0) lgkmcnt(0)
	v_mul_f64 v[20:21], v[2:3], v[64:65]
	v_fmac_f64_e32 v[20:21], v[4:5], v[62:63]
	v_add_f64 v[22:23], v[18:19], v[20:21]
	ds_read_b128 v[18:21], v96 offset:1760
	buffer_load_dword v67, off, s[0:3], 0 offset:836
	buffer_load_dword v66, off, s[0:3], 0 offset:832
	;; [unrolled: 1-line block ×4, first 2 shown]
	v_mul_f64 v[12:13], v[12:13], v[58:59]
	v_add_f64 v[14:15], v[14:15], 0
	v_fma_f64 v[10:11], v[10:11], v[52:53], -v[12:13]
	v_mul_f64 v[8:9], v[8:9], v[60:61]
	v_add_f64 v[10:11], v[14:15], v[10:11]
	v_fma_f64 v[6:7], v[6:7], v[54:55], -v[8:9]
	v_mul_f64 v[4:5], v[4:5], v[64:65]
	v_add_f64 v[6:7], v[10:11], v[6:7]
	v_fma_f64 v[2:3], v[2:3], v[62:63], -v[4:5]
	v_add_f64 v[2:3], v[6:7], v[2:3]
	s_waitcnt vmcnt(0) lgkmcnt(0)
	v_mul_f64 v[24:25], v[18:19], v[68:69]
	v_fmac_f64_e32 v[24:25], v[20:21], v[66:67]
	v_add_f64 v[26:27], v[22:23], v[24:25]
	ds_read_b128 v[22:25], v96 offset:1776
	buffer_load_dword v71, off, s[0:3], 0 offset:852
	buffer_load_dword v70, off, s[0:3], 0 offset:848
	buffer_load_dword v73, off, s[0:3], 0 offset:860
	buffer_load_dword v72, off, s[0:3], 0 offset:856
	v_mul_f64 v[4:5], v[20:21], v[68:69]
	v_fma_f64 v[4:5], v[18:19], v[66:67], -v[4:5]
	v_add_f64 v[2:3], v[2:3], v[4:5]
	s_waitcnt vmcnt(0) lgkmcnt(0)
	v_mul_f64 v[28:29], v[22:23], v[72:73]
	v_fmac_f64_e32 v[28:29], v[24:25], v[70:71]
	v_add_f64 v[30:31], v[26:27], v[28:29]
	ds_read_b128 v[26:29], v96 offset:1792
	buffer_load_dword v75, off, s[0:3], 0 offset:868
	buffer_load_dword v74, off, s[0:3], 0 offset:864
	buffer_load_dword v77, off, s[0:3], 0 offset:876
	buffer_load_dword v76, off, s[0:3], 0 offset:872
	v_mul_f64 v[4:5], v[24:25], v[72:73]
	v_fma_f64 v[4:5], v[22:23], v[70:71], -v[4:5]
	;; [unrolled: 12-line block ×7, first 2 shown]
	v_add_f64 v[2:3], v[2:3], v[4:5]
	s_waitcnt vmcnt(0) lgkmcnt(0)
	v_mul_f64 v[4:5], v[96:97], v[102:103]
	v_mul_f64 v[104:105], v[94:95], v[102:103]
	v_fma_f64 v[4:5], v[94:95], v[100:101], -v[4:5]
	v_fmac_f64_e32 v[104:105], v[96:97], v[100:101]
	v_add_f64 v[2:3], v[2:3], v[4:5]
	v_add_f64 v[98:99], v[98:99], v[104:105]
	v_add_f64 v[2:3], v[48:49], -v[2:3]
	v_add_f64 v[4:5], v[46:47], -v[98:99]
	buffer_store_dword v3, off, s[0:3], 0 offset:756
	buffer_store_dword v2, off, s[0:3], 0 offset:752
	;; [unrolled: 1-line block ×4, first 2 shown]
	s_and_saveexec_b64 s[4:5], vcc
	s_cbranch_execz .LBB122_277
; %bb.276:
	v_accvgpr_read_b32 v0, a131
	buffer_load_dword v2, v0, s[0:3], 0 offen
	buffer_load_dword v3, v0, s[0:3], 0 offen offset:4
	buffer_load_dword v4, v0, s[0:3], 0 offen offset:8
	;; [unrolled: 1-line block ×3, first 2 shown]
	v_mov_b32_e32 v0, 0
	v_accvgpr_read_b32 v1, a177
	buffer_store_dword v0, off, s[0:3], 0 offset:736
	buffer_store_dword v0, off, s[0:3], 0 offset:740
	;; [unrolled: 1-line block ×4, first 2 shown]
	s_waitcnt vmcnt(4)
	ds_write_b128 v1, v[2:5]
.LBB122_277:
	s_or_b64 exec, exec, s[4:5]
	s_waitcnt lgkmcnt(0)
	; wave barrier
	s_waitcnt lgkmcnt(0)
	buffer_load_dword v2, off, s[0:3], 0 offset:752
	buffer_load_dword v3, off, s[0:3], 0 offset:756
	;; [unrolled: 1-line block ×56, first 2 shown]
	v_mov_b32_e32 v30, 0
	ds_read_b128 v[32:35], v30 offset:1680
	ds_read_b128 v[36:39], v30 offset:1696
	;; [unrolled: 1-line block ×9, first 2 shown]
	v_cmp_lt_u32_e32 vcc, 44, v228
	s_waitcnt vmcnt(52) lgkmcnt(8)
	v_mul_f64 v[64:65], v[32:33], v[6:7]
	v_fmac_f64_e32 v[64:65], v[34:35], v[2:3]
	v_mul_f64 v[6:7], v[34:35], v[6:7]
	v_add_f64 v[64:65], v[64:65], 0
	s_waitcnt vmcnt(48) lgkmcnt(7)
	v_mul_f64 v[66:67], v[36:37], v[8:9]
	v_fmac_f64_e32 v[66:67], v[38:39], v[4:5]
	s_waitcnt vmcnt(46) lgkmcnt(6)
	v_mul_f64 v[68:69], v[40:41], v[10:11]
	v_fma_f64 v[2:3], v[32:33], v[2:3], -v[6:7]
	v_mul_f64 v[6:7], v[38:39], v[8:9]
	s_waitcnt vmcnt(44) lgkmcnt(5)
	v_mul_f64 v[70:71], v[44:45], v[12:13]
	v_add_f64 v[64:65], v[64:65], v[66:67]
	v_add_f64 v[2:3], v[2:3], 0
	v_fma_f64 v[4:5], v[36:37], v[4:5], -v[6:7]
	v_add_f64 v[2:3], v[2:3], v[4:5]
	v_mul_f64 v[4:5], v[42:43], v[10:11]
	s_waitcnt vmcnt(37) lgkmcnt(4)
	v_mul_f64 v[72:73], v[48:49], v[20:21]
	s_waitcnt lgkmcnt(3)
	v_mul_f64 v[74:75], v[52:53], v[18:19]
	s_waitcnt vmcnt(35)
	v_fmac_f64_e32 v[72:73], v[50:51], v[22:23]
	s_waitcnt lgkmcnt(2)
	v_mul_f64 v[76:77], v[56:57], v[14:15]
	s_waitcnt vmcnt(33)
	v_fmac_f64_e32 v[68:69], v[42:43], v[28:29]
	v_add_f64 v[64:65], v[64:65], v[68:69]
	s_waitcnt vmcnt(31)
	v_fmac_f64_e32 v[70:71], v[46:47], v[26:27]
	v_add_f64 v[64:65], v[64:65], v[70:71]
	v_fma_f64 v[4:5], v[40:41], v[28:29], -v[4:5]
	s_waitcnt vmcnt(29)
	v_fmac_f64_e32 v[74:75], v[54:55], v[24:25]
	v_add_f64 v[64:65], v[64:65], v[72:73]
	v_add_f64 v[2:3], v[2:3], v[4:5]
	v_mul_f64 v[4:5], v[46:47], v[12:13]
	s_waitcnt vmcnt(28)
	v_fmac_f64_e32 v[76:77], v[58:59], v[16:17]
	v_add_f64 v[64:65], v[64:65], v[74:75]
	v_fma_f64 v[4:5], v[44:45], v[26:27], -v[4:5]
	v_add_f64 v[68:69], v[64:65], v[76:77]
	ds_read_b128 v[64:67], v30 offset:1808
	s_waitcnt vmcnt(24) lgkmcnt(2)
	v_mul_f64 v[70:71], v[60:61], v[88:89]
	v_add_f64 v[2:3], v[2:3], v[4:5]
	v_mul_f64 v[4:5], v[50:51], v[20:21]
	s_waitcnt vmcnt(22)
	v_fmac_f64_e32 v[70:71], v[62:63], v[90:91]
	v_fma_f64 v[4:5], v[48:49], v[22:23], -v[4:5]
	v_add_f64 v[72:73], v[68:69], v[70:71]
	ds_read_b128 v[68:71], v30 offset:1824
	v_add_f64 v[2:3], v[2:3], v[4:5]
	v_mul_f64 v[4:5], v[54:55], v[18:19]
	v_fma_f64 v[4:5], v[52:53], v[24:25], -v[4:5]
	v_add_f64 v[2:3], v[2:3], v[4:5]
	v_mul_f64 v[4:5], v[58:59], v[14:15]
	s_waitcnt vmcnt(21) lgkmcnt(1)
	v_mul_f64 v[74:75], v[64:65], v[84:85]
	v_fma_f64 v[4:5], v[56:57], v[16:17], -v[4:5]
	s_waitcnt vmcnt(20)
	v_fmac_f64_e32 v[74:75], v[66:67], v[86:87]
	v_add_f64 v[2:3], v[2:3], v[4:5]
	v_mul_f64 v[4:5], v[62:63], v[88:89]
	v_add_f64 v[76:77], v[72:73], v[74:75]
	ds_read_b128 v[72:75], v30 offset:1840
	s_waitcnt vmcnt(16) lgkmcnt(1)
	v_mul_f64 v[78:79], v[68:69], v[96:97]
	v_fma_f64 v[4:5], v[60:61], v[90:91], -v[4:5]
	s_waitcnt vmcnt(14)
	v_fmac_f64_e32 v[78:79], v[70:71], v[98:99]
	v_add_f64 v[2:3], v[2:3], v[4:5]
	v_mul_f64 v[4:5], v[66:67], v[84:85]
	v_add_f64 v[112:113], v[76:77], v[78:79]
	ds_read_b128 v[76:79], v30 offset:1856
	v_fma_f64 v[4:5], v[64:65], v[86:87], -v[4:5]
	v_add_f64 v[2:3], v[2:3], v[4:5]
	v_mul_f64 v[4:5], v[70:71], v[96:97]
	v_fma_f64 v[4:5], v[68:69], v[98:99], -v[4:5]
	v_add_f64 v[2:3], v[2:3], v[4:5]
	s_waitcnt vmcnt(13) lgkmcnt(1)
	v_mul_f64 v[4:5], v[74:75], v[92:93]
	v_mul_f64 v[114:115], v[72:73], v[92:93]
	s_waitcnt vmcnt(12)
	v_fma_f64 v[4:5], v[72:73], v[94:95], -v[4:5]
	v_fmac_f64_e32 v[114:115], v[74:75], v[94:95]
	v_add_f64 v[2:3], v[2:3], v[4:5]
	s_waitcnt vmcnt(8) lgkmcnt(0)
	v_mul_f64 v[4:5], v[78:79], v[104:105]
	v_add_f64 v[112:113], v[112:113], v[114:115]
	v_mul_f64 v[114:115], v[76:77], v[104:105]
	s_waitcnt vmcnt(6)
	v_fma_f64 v[4:5], v[76:77], v[106:107], -v[4:5]
	v_fmac_f64_e32 v[114:115], v[78:79], v[106:107]
	v_add_f64 v[2:3], v[2:3], v[4:5]
	s_waitcnt vmcnt(5)
	v_mul_f64 v[4:5], v[82:83], v[100:101]
	v_add_f64 v[112:113], v[112:113], v[114:115]
	v_mul_f64 v[114:115], v[80:81], v[100:101]
	s_waitcnt vmcnt(4)
	v_fma_f64 v[4:5], v[80:81], v[102:103], -v[4:5]
	v_fmac_f64_e32 v[114:115], v[82:83], v[102:103]
	v_add_f64 v[2:3], v[2:3], v[4:5]
	v_add_f64 v[112:113], v[112:113], v[114:115]
	s_waitcnt vmcnt(2)
	v_add_f64 v[2:3], v[108:109], -v[2:3]
	s_waitcnt vmcnt(0)
	v_add_f64 v[4:5], v[110:111], -v[112:113]
	buffer_store_dword v3, off, s[0:3], 0 offset:740
	buffer_store_dword v2, off, s[0:3], 0 offset:736
	;; [unrolled: 1-line block ×4, first 2 shown]
	s_and_saveexec_b64 s[4:5], vcc
	s_cbranch_execz .LBB122_279
; %bb.278:
	v_accvgpr_read_b32 v0, a132
	buffer_load_dword v2, v0, s[0:3], 0 offen
	buffer_load_dword v3, v0, s[0:3], 0 offen offset:4
	buffer_load_dword v4, v0, s[0:3], 0 offen offset:8
	;; [unrolled: 1-line block ×3, first 2 shown]
	v_accvgpr_read_b32 v0, a177
	buffer_store_dword v30, off, s[0:3], 0 offset:720
	buffer_store_dword v30, off, s[0:3], 0 offset:724
	;; [unrolled: 1-line block ×4, first 2 shown]
	s_waitcnt vmcnt(4)
	ds_write_b128 v0, v[2:5]
.LBB122_279:
	s_or_b64 exec, exec, s[4:5]
	s_waitcnt lgkmcnt(0)
	; wave barrier
	s_waitcnt lgkmcnt(0)
	buffer_load_dword v2, off, s[0:3], 0 offset:736
	buffer_load_dword v3, off, s[0:3], 0 offset:740
	;; [unrolled: 1-line block ×60, first 2 shown]
	ds_read_b128 v[32:35], v30 offset:1664
	ds_read_b128 v[36:39], v30 offset:1680
	;; [unrolled: 1-line block ×8, first 2 shown]
	v_cmp_lt_u32_e32 vcc, 43, v228
	ds_read_b128 v[84:87], v30 offset:1872
	s_waitcnt vmcnt(56) lgkmcnt(8)
	v_mul_f64 v[64:65], v[32:33], v[6:7]
	v_fmac_f64_e32 v[64:65], v[34:35], v[2:3]
	v_add_f64 v[64:65], v[64:65], 0
	v_mul_f64 v[6:7], v[34:35], v[6:7]
	s_waitcnt vmcnt(52) lgkmcnt(7)
	v_mul_f64 v[66:67], v[36:37], v[8:9]
	v_fmac_f64_e32 v[66:67], v[38:39], v[4:5]
	s_waitcnt vmcnt(50) lgkmcnt(6)
	v_mul_f64 v[68:69], v[40:41], v[10:11]
	v_add_f64 v[64:65], v[64:65], v[66:67]
	s_waitcnt vmcnt(48) lgkmcnt(4)
	v_mul_f64 v[72:73], v[48:49], v[12:13]
	v_fma_f64 v[2:3], v[32:33], v[2:3], -v[6:7]
	s_waitcnt vmcnt(46)
	v_fmac_f64_e32 v[72:73], v[50:51], v[14:15]
	v_mul_f64 v[6:7], v[38:39], v[8:9]
	s_waitcnt vmcnt(44)
	v_mul_f64 v[70:71], v[44:45], v[16:17]
	v_add_f64 v[2:3], v[2:3], 0
	v_fma_f64 v[4:5], v[36:37], v[4:5], -v[6:7]
	v_add_f64 v[2:3], v[2:3], v[4:5]
	s_waitcnt vmcnt(40) lgkmcnt(3)
	v_mul_f64 v[74:75], v[52:53], v[22:23]
	v_mul_f64 v[4:5], v[42:43], v[10:11]
	s_waitcnt vmcnt(38)
	v_fmac_f64_e32 v[68:69], v[42:43], v[28:29]
	v_add_f64 v[64:65], v[64:65], v[68:69]
	s_waitcnt vmcnt(36)
	v_fmac_f64_e32 v[70:71], v[46:47], v[26:27]
	v_add_f64 v[64:65], v[64:65], v[70:71]
	;; [unrolled: 3-line block ×3, first 2 shown]
	s_waitcnt vmcnt(33) lgkmcnt(2)
	v_mul_f64 v[66:67], v[56:57], v[18:19]
	v_add_f64 v[64:65], v[64:65], v[74:75]
	s_waitcnt vmcnt(32)
	v_fmac_f64_e32 v[66:67], v[58:59], v[20:21]
	v_add_f64 v[68:69], v[64:65], v[66:67]
	ds_read_b128 v[64:67], v30 offset:1792
	v_fma_f64 v[4:5], v[40:41], v[28:29], -v[4:5]
	v_add_f64 v[2:3], v[2:3], v[4:5]
	v_mul_f64 v[4:5], v[46:47], v[16:17]
	v_fma_f64 v[4:5], v[44:45], v[26:27], -v[4:5]
	s_waitcnt vmcnt(28) lgkmcnt(2)
	v_mul_f64 v[70:71], v[60:61], v[92:93]
	v_add_f64 v[2:3], v[2:3], v[4:5]
	v_mul_f64 v[4:5], v[50:51], v[12:13]
	s_waitcnt vmcnt(26)
	v_fmac_f64_e32 v[70:71], v[62:63], v[94:95]
	v_fma_f64 v[4:5], v[48:49], v[14:15], -v[4:5]
	v_add_f64 v[72:73], v[68:69], v[70:71]
	ds_read_b128 v[68:71], v30 offset:1808
	s_waitcnt vmcnt(25) lgkmcnt(1)
	v_mul_f64 v[74:75], v[64:65], v[88:89]
	v_add_f64 v[2:3], v[2:3], v[4:5]
	v_mul_f64 v[4:5], v[54:55], v[22:23]
	s_waitcnt vmcnt(24)
	v_fmac_f64_e32 v[74:75], v[66:67], v[90:91]
	v_fma_f64 v[4:5], v[52:53], v[24:25], -v[4:5]
	v_add_f64 v[76:77], v[72:73], v[74:75]
	ds_read_b128 v[72:75], v30 offset:1824
	v_add_f64 v[2:3], v[2:3], v[4:5]
	v_mul_f64 v[4:5], v[58:59], v[18:19]
	v_fma_f64 v[4:5], v[56:57], v[20:21], -v[4:5]
	v_add_f64 v[2:3], v[2:3], v[4:5]
	v_mul_f64 v[4:5], v[62:63], v[92:93]
	s_waitcnt vmcnt(20) lgkmcnt(1)
	v_mul_f64 v[78:79], v[68:69], v[100:101]
	v_fma_f64 v[4:5], v[60:61], v[94:95], -v[4:5]
	s_waitcnt vmcnt(18)
	v_fmac_f64_e32 v[78:79], v[70:71], v[102:103]
	v_add_f64 v[2:3], v[2:3], v[4:5]
	v_mul_f64 v[4:5], v[66:67], v[88:89]
	v_add_f64 v[80:81], v[76:77], v[78:79]
	ds_read_b128 v[76:79], v30 offset:1840
	s_waitcnt vmcnt(17) lgkmcnt(1)
	v_mul_f64 v[82:83], v[72:73], v[96:97]
	v_fma_f64 v[4:5], v[64:65], v[90:91], -v[4:5]
	s_waitcnt vmcnt(16)
	v_fmac_f64_e32 v[82:83], v[74:75], v[98:99]
	v_add_f64 v[2:3], v[2:3], v[4:5]
	v_mul_f64 v[4:5], v[70:71], v[100:101]
	v_add_f64 v[120:121], v[80:81], v[82:83]
	ds_read_b128 v[80:83], v30 offset:1856
	v_fma_f64 v[4:5], v[68:69], v[102:103], -v[4:5]
	v_add_f64 v[2:3], v[2:3], v[4:5]
	v_mul_f64 v[4:5], v[74:75], v[96:97]
	v_fma_f64 v[4:5], v[72:73], v[98:99], -v[4:5]
	v_add_f64 v[2:3], v[2:3], v[4:5]
	s_waitcnt vmcnt(12) lgkmcnt(1)
	v_mul_f64 v[4:5], v[78:79], v[108:109]
	v_mul_f64 v[122:123], v[76:77], v[108:109]
	s_waitcnt vmcnt(10)
	v_fma_f64 v[4:5], v[76:77], v[110:111], -v[4:5]
	v_fmac_f64_e32 v[122:123], v[78:79], v[110:111]
	v_add_f64 v[2:3], v[2:3], v[4:5]
	s_waitcnt vmcnt(9) lgkmcnt(0)
	v_mul_f64 v[4:5], v[82:83], v[104:105]
	v_add_f64 v[30:31], v[120:121], v[122:123]
	v_mul_f64 v[120:121], v[80:81], v[104:105]
	s_waitcnt vmcnt(8)
	v_fma_f64 v[4:5], v[80:81], v[106:107], -v[4:5]
	v_fmac_f64_e32 v[120:121], v[82:83], v[106:107]
	v_add_f64 v[2:3], v[2:3], v[4:5]
	s_waitcnt vmcnt(6)
	v_mul_f64 v[4:5], v[86:87], v[112:113]
	v_add_f64 v[30:31], v[30:31], v[120:121]
	v_mul_f64 v[120:121], v[84:85], v[112:113]
	s_waitcnt vmcnt(4)
	v_fma_f64 v[4:5], v[84:85], v[114:115], -v[4:5]
	v_fmac_f64_e32 v[120:121], v[86:87], v[114:115]
	v_add_f64 v[2:3], v[2:3], v[4:5]
	v_add_f64 v[30:31], v[30:31], v[120:121]
	s_waitcnt vmcnt(2)
	v_add_f64 v[2:3], v[116:117], -v[2:3]
	s_waitcnt vmcnt(0)
	v_add_f64 v[4:5], v[118:119], -v[30:31]
	buffer_store_dword v3, off, s[0:3], 0 offset:724
	buffer_store_dword v2, off, s[0:3], 0 offset:720
	;; [unrolled: 1-line block ×4, first 2 shown]
	s_and_saveexec_b64 s[4:5], vcc
	s_cbranch_execz .LBB122_281
; %bb.280:
	v_accvgpr_read_b32 v0, a133
	buffer_load_dword v2, v0, s[0:3], 0 offen
	buffer_load_dword v3, v0, s[0:3], 0 offen offset:4
	buffer_load_dword v4, v0, s[0:3], 0 offen offset:8
	;; [unrolled: 1-line block ×3, first 2 shown]
	v_mov_b32_e32 v0, 0
	v_accvgpr_read_b32 v1, a177
	buffer_store_dword v0, off, s[0:3], 0 offset:704
	buffer_store_dword v0, off, s[0:3], 0 offset:708
	;; [unrolled: 1-line block ×4, first 2 shown]
	s_waitcnt vmcnt(4)
	ds_write_b128 v1, v[2:5]
.LBB122_281:
	s_or_b64 exec, exec, s[4:5]
	s_waitcnt lgkmcnt(0)
	; wave barrier
	s_waitcnt lgkmcnt(0)
	buffer_load_dword v2, off, s[0:3], 0 offset:720
	buffer_load_dword v3, off, s[0:3], 0 offset:724
	;; [unrolled: 1-line block ×64, first 2 shown]
	v_mov_b32_e32 v46, 0
	ds_read_b128 v[38:41], v46 offset:1648
	ds_read_b128 v[42:45], v46 offset:1664
	;; [unrolled: 1-line block ×7, first 2 shown]
	v_cmp_lt_u32_e32 vcc, 42, v228
	s_waitcnt vmcnt(60) lgkmcnt(6)
	v_mul_f64 v[64:65], v[38:39], v[4:5]
	v_fmac_f64_e32 v[64:65], v[40:41], v[2:3]
	s_waitcnt vmcnt(58) lgkmcnt(5)
	v_mul_f64 v[66:67], v[42:43], v[6:7]
	v_add_f64 v[64:65], v[64:65], 0
	s_waitcnt vmcnt(56) lgkmcnt(4)
	v_mul_f64 v[68:69], v[48:49], v[8:9]
	v_mul_f64 v[4:5], v[40:41], v[4:5]
	s_waitcnt vmcnt(54) lgkmcnt(2)
	v_mul_f64 v[72:73], v[56:57], v[10:11]
	v_fma_f64 v[2:3], v[38:39], v[2:3], -v[4:5]
	v_mul_f64 v[4:5], v[44:45], v[6:7]
	s_waitcnt vmcnt(51)
	v_mul_f64 v[70:71], v[52:53], v[14:15]
	v_add_f64 v[2:3], v[2:3], 0
	s_waitcnt vmcnt(49)
	v_fmac_f64_e32 v[66:67], v[44:45], v[20:21]
	v_add_f64 v[64:65], v[64:65], v[66:67]
	s_waitcnt vmcnt(47)
	v_fmac_f64_e32 v[68:69], v[50:51], v[18:19]
	;; [unrolled: 3-line block ×4, first 2 shown]
	v_add_f64 v[68:69], v[64:65], v[72:73]
	ds_read_b128 v[64:67], v46 offset:1744
	s_waitcnt vmcnt(40) lgkmcnt(2)
	v_mul_f64 v[70:71], v[60:61], v[26:27]
	v_fma_f64 v[4:5], v[42:43], v[20:21], -v[4:5]
	s_waitcnt vmcnt(38)
	v_fmac_f64_e32 v[70:71], v[62:63], v[28:29]
	v_add_f64 v[72:73], v[68:69], v[70:71]
	ds_read_b128 v[68:71], v46 offset:1760
	s_waitcnt vmcnt(37) lgkmcnt(1)
	v_mul_f64 v[74:75], v[64:65], v[22:23]
	s_waitcnt vmcnt(36)
	v_fmac_f64_e32 v[74:75], v[66:67], v[24:25]
	v_add_f64 v[2:3], v[2:3], v[4:5]
	v_mul_f64 v[4:5], v[50:51], v[8:9]
	v_add_f64 v[76:77], v[72:73], v[74:75]
	ds_read_b128 v[72:75], v46 offset:1776
	s_waitcnt vmcnt(32) lgkmcnt(1)
	v_mul_f64 v[78:79], v[68:69], v[34:35]
	v_fma_f64 v[4:5], v[48:49], v[18:19], -v[4:5]
	s_waitcnt vmcnt(30)
	v_fmac_f64_e32 v[78:79], v[70:71], v[36:37]
	v_add_f64 v[2:3], v[2:3], v[4:5]
	v_mul_f64 v[4:5], v[54:55], v[14:15]
	v_add_f64 v[80:81], v[76:77], v[78:79]
	ds_read_b128 v[76:79], v46 offset:1792
	v_fma_f64 v[4:5], v[52:53], v[16:17], -v[4:5]
	v_add_f64 v[2:3], v[2:3], v[4:5]
	v_mul_f64 v[4:5], v[58:59], v[10:11]
	v_fma_f64 v[4:5], v[56:57], v[12:13], -v[4:5]
	s_waitcnt vmcnt(29) lgkmcnt(1)
	v_mul_f64 v[82:83], v[72:73], v[30:31]
	v_add_f64 v[2:3], v[2:3], v[4:5]
	v_mul_f64 v[4:5], v[62:63], v[26:27]
	s_waitcnt vmcnt(28)
	v_fmac_f64_e32 v[82:83], v[74:75], v[32:33]
	v_fma_f64 v[4:5], v[60:61], v[28:29], -v[4:5]
	v_add_f64 v[84:85], v[80:81], v[82:83]
	ds_read_b128 v[80:83], v46 offset:1808
	s_waitcnt vmcnt(24) lgkmcnt(1)
	v_mul_f64 v[86:87], v[76:77], v[104:105]
	v_add_f64 v[2:3], v[2:3], v[4:5]
	v_mul_f64 v[4:5], v[66:67], v[22:23]
	s_waitcnt vmcnt(22)
	v_fmac_f64_e32 v[86:87], v[78:79], v[106:107]
	v_fma_f64 v[4:5], v[64:65], v[24:25], -v[4:5]
	v_add_f64 v[88:89], v[84:85], v[86:87]
	ds_read_b128 v[84:87], v46 offset:1824
	v_add_f64 v[2:3], v[2:3], v[4:5]
	v_mul_f64 v[4:5], v[70:71], v[34:35]
	v_fma_f64 v[4:5], v[68:69], v[36:37], -v[4:5]
	v_add_f64 v[2:3], v[2:3], v[4:5]
	v_mul_f64 v[4:5], v[74:75], v[30:31]
	s_waitcnt vmcnt(21) lgkmcnt(1)
	v_mul_f64 v[90:91], v[80:81], v[100:101]
	v_fma_f64 v[4:5], v[72:73], v[32:33], -v[4:5]
	s_waitcnt vmcnt(20)
	v_fmac_f64_e32 v[90:91], v[82:83], v[102:103]
	v_add_f64 v[2:3], v[2:3], v[4:5]
	v_mul_f64 v[4:5], v[78:79], v[104:105]
	v_add_f64 v[92:93], v[88:89], v[90:91]
	ds_read_b128 v[88:91], v46 offset:1840
	s_waitcnt vmcnt(16) lgkmcnt(1)
	v_mul_f64 v[94:95], v[84:85], v[112:113]
	v_fma_f64 v[4:5], v[76:77], v[106:107], -v[4:5]
	s_waitcnt vmcnt(14)
	v_fmac_f64_e32 v[94:95], v[86:87], v[114:115]
	v_add_f64 v[2:3], v[2:3], v[4:5]
	v_mul_f64 v[4:5], v[82:83], v[100:101]
	v_add_f64 v[128:129], v[92:93], v[94:95]
	ds_read_b128 v[92:95], v46 offset:1856
	v_fma_f64 v[4:5], v[80:81], v[102:103], -v[4:5]
	v_add_f64 v[2:3], v[2:3], v[4:5]
	v_mul_f64 v[4:5], v[86:87], v[112:113]
	v_fma_f64 v[4:5], v[84:85], v[114:115], -v[4:5]
	v_add_f64 v[2:3], v[2:3], v[4:5]
	s_waitcnt vmcnt(13) lgkmcnt(1)
	v_mul_f64 v[4:5], v[90:91], v[108:109]
	v_mul_f64 v[130:131], v[88:89], v[108:109]
	s_waitcnt vmcnt(12)
	v_fma_f64 v[4:5], v[88:89], v[110:111], -v[4:5]
	v_fmac_f64_e32 v[130:131], v[90:91], v[110:111]
	v_add_f64 v[2:3], v[2:3], v[4:5]
	s_waitcnt vmcnt(8) lgkmcnt(0)
	v_mul_f64 v[4:5], v[94:95], v[120:121]
	v_add_f64 v[128:129], v[128:129], v[130:131]
	v_mul_f64 v[130:131], v[92:93], v[120:121]
	s_waitcnt vmcnt(6)
	v_fma_f64 v[4:5], v[92:93], v[122:123], -v[4:5]
	v_fmac_f64_e32 v[130:131], v[94:95], v[122:123]
	v_add_f64 v[2:3], v[2:3], v[4:5]
	s_waitcnt vmcnt(5)
	v_mul_f64 v[4:5], v[98:99], v[116:117]
	v_add_f64 v[128:129], v[128:129], v[130:131]
	v_mul_f64 v[130:131], v[96:97], v[116:117]
	s_waitcnt vmcnt(4)
	v_fma_f64 v[4:5], v[96:97], v[118:119], -v[4:5]
	v_fmac_f64_e32 v[130:131], v[98:99], v[118:119]
	v_add_f64 v[2:3], v[2:3], v[4:5]
	v_add_f64 v[128:129], v[128:129], v[130:131]
	s_waitcnt vmcnt(2)
	v_add_f64 v[2:3], v[124:125], -v[2:3]
	s_waitcnt vmcnt(0)
	v_add_f64 v[4:5], v[126:127], -v[128:129]
	buffer_store_dword v3, off, s[0:3], 0 offset:708
	buffer_store_dword v2, off, s[0:3], 0 offset:704
	;; [unrolled: 1-line block ×4, first 2 shown]
	s_and_saveexec_b64 s[4:5], vcc
	s_cbranch_execz .LBB122_283
; %bb.282:
	v_accvgpr_read_b32 v0, a134
	buffer_load_dword v2, v0, s[0:3], 0 offen
	buffer_load_dword v3, v0, s[0:3], 0 offen offset:4
	buffer_load_dword v4, v0, s[0:3], 0 offen offset:8
	;; [unrolled: 1-line block ×3, first 2 shown]
	v_accvgpr_read_b32 v0, a177
	buffer_store_dword v46, off, s[0:3], 0 offset:688
	buffer_store_dword v46, off, s[0:3], 0 offset:692
	;; [unrolled: 1-line block ×4, first 2 shown]
	s_waitcnt vmcnt(4)
	ds_write_b128 v0, v[2:5]
.LBB122_283:
	s_or_b64 exec, exec, s[4:5]
	s_waitcnt lgkmcnt(0)
	; wave barrier
	s_waitcnt lgkmcnt(0)
	buffer_load_dword v2, off, s[0:3], 0 offset:704
	buffer_load_dword v3, off, s[0:3], 0 offset:708
	;; [unrolled: 1-line block ×64, first 2 shown]
	ds_read_b128 v[48:51], v46 offset:1632
	ds_read_b128 v[52:55], v46 offset:1648
	;; [unrolled: 1-line block ×4, first 2 shown]
	buffer_load_dword v132, off, s[0:3], 0 offset:688
	buffer_load_dword v133, off, s[0:3], 0 offset:692
	;; [unrolled: 1-line block ×4, first 2 shown]
	v_cmp_lt_u32_e32 vcc, 41, v228
	ds_read_b128 v[108:111], v46 offset:1872
	s_waitcnt vmcnt(62) lgkmcnt(4)
	v_mul_f64 v[64:65], v[48:49], v[4:5]
	v_fmac_f64_e32 v[64:65], v[50:51], v[2:3]
	v_add_f64 v[64:65], v[64:65], 0
	s_waitcnt lgkmcnt(2)
	v_mul_f64 v[68:69], v[56:57], v[6:7]
	v_mul_f64 v[4:5], v[50:51], v[4:5]
	v_fma_f64 v[2:3], v[48:49], v[2:3], -v[4:5]
	s_waitcnt vmcnt(58) lgkmcnt(1)
	v_mul_f64 v[70:71], v[60:61], v[12:13]
	v_add_f64 v[2:3], v[2:3], 0
	s_waitcnt vmcnt(56)
	v_mul_f64 v[66:67], v[52:53], v[18:19]
	v_mul_f64 v[4:5], v[54:55], v[18:19]
	s_waitcnt vmcnt(53)
	v_fmac_f64_e32 v[68:69], v[58:59], v[16:17]
	s_waitcnt vmcnt(52)
	v_fmac_f64_e32 v[66:67], v[54:55], v[20:21]
	v_add_f64 v[72:73], v[64:65], v[66:67]
	ds_read_b128 v[64:67], v46 offset:1696
	v_add_f64 v[68:69], v[72:73], v[68:69]
	s_waitcnt vmcnt(50)
	v_fmac_f64_e32 v[70:71], v[62:63], v[14:15]
	v_add_f64 v[72:73], v[68:69], v[70:71]
	ds_read_b128 v[68:71], v46 offset:1712
	s_waitcnt vmcnt(49) lgkmcnt(1)
	v_mul_f64 v[74:75], v[64:65], v[8:9]
	s_waitcnt vmcnt(48)
	v_fmac_f64_e32 v[74:75], v[66:67], v[10:11]
	v_add_f64 v[76:77], v[72:73], v[74:75]
	ds_read_b128 v[72:75], v46 offset:1728
	s_waitcnt vmcnt(44) lgkmcnt(1)
	v_mul_f64 v[78:79], v[68:69], v[26:27]
	;; [unrolled: 6-line block ×3, first 2 shown]
	s_waitcnt vmcnt(40)
	v_fmac_f64_e32 v[82:83], v[74:75], v[24:25]
	v_add_f64 v[84:85], v[80:81], v[82:83]
	ds_read_b128 v[80:83], v46 offset:1760
	v_fma_f64 v[4:5], v[52:53], v[20:21], -v[4:5]
	v_add_f64 v[2:3], v[2:3], v[4:5]
	v_mul_f64 v[4:5], v[58:59], v[6:7]
	s_waitcnt vmcnt(36) lgkmcnt(1)
	v_mul_f64 v[86:87], v[76:77], v[34:35]
	v_fma_f64 v[4:5], v[56:57], v[16:17], -v[4:5]
	s_waitcnt vmcnt(34)
	v_fmac_f64_e32 v[86:87], v[78:79], v[36:37]
	v_add_f64 v[2:3], v[2:3], v[4:5]
	v_mul_f64 v[4:5], v[62:63], v[12:13]
	v_add_f64 v[88:89], v[84:85], v[86:87]
	ds_read_b128 v[84:87], v46 offset:1776
	s_waitcnt vmcnt(33) lgkmcnt(1)
	v_mul_f64 v[90:91], v[80:81], v[30:31]
	v_fma_f64 v[4:5], v[60:61], v[14:15], -v[4:5]
	s_waitcnt vmcnt(32)
	v_fmac_f64_e32 v[90:91], v[82:83], v[32:33]
	v_add_f64 v[2:3], v[2:3], v[4:5]
	v_mul_f64 v[4:5], v[66:67], v[8:9]
	v_add_f64 v[92:93], v[88:89], v[90:91]
	ds_read_b128 v[88:91], v46 offset:1792
	v_fma_f64 v[4:5], v[64:65], v[10:11], -v[4:5]
	v_add_f64 v[2:3], v[2:3], v[4:5]
	v_mul_f64 v[4:5], v[70:71], v[26:27]
	v_fma_f64 v[4:5], v[68:69], v[28:29], -v[4:5]
	s_waitcnt vmcnt(28) lgkmcnt(1)
	v_mul_f64 v[94:95], v[84:85], v[42:43]
	v_add_f64 v[2:3], v[2:3], v[4:5]
	v_mul_f64 v[4:5], v[74:75], v[22:23]
	s_waitcnt vmcnt(26)
	v_fmac_f64_e32 v[94:95], v[86:87], v[44:45]
	v_fma_f64 v[4:5], v[72:73], v[24:25], -v[4:5]
	v_add_f64 v[96:97], v[92:93], v[94:95]
	ds_read_b128 v[92:95], v46 offset:1808
	s_waitcnt vmcnt(25) lgkmcnt(1)
	v_mul_f64 v[98:99], v[88:89], v[38:39]
	v_add_f64 v[2:3], v[2:3], v[4:5]
	v_mul_f64 v[4:5], v[78:79], v[34:35]
	s_waitcnt vmcnt(24)
	v_fmac_f64_e32 v[98:99], v[90:91], v[40:41]
	v_fma_f64 v[4:5], v[76:77], v[36:37], -v[4:5]
	v_add_f64 v[100:101], v[96:97], v[98:99]
	ds_read_b128 v[96:99], v46 offset:1824
	v_add_f64 v[2:3], v[2:3], v[4:5]
	v_mul_f64 v[4:5], v[82:83], v[30:31]
	v_fma_f64 v[4:5], v[80:81], v[32:33], -v[4:5]
	v_add_f64 v[2:3], v[2:3], v[4:5]
	v_mul_f64 v[4:5], v[86:87], v[42:43]
	s_waitcnt vmcnt(20) lgkmcnt(1)
	v_mul_f64 v[102:103], v[92:93], v[116:117]
	v_fma_f64 v[4:5], v[84:85], v[44:45], -v[4:5]
	s_waitcnt vmcnt(18)
	v_fmac_f64_e32 v[102:103], v[94:95], v[118:119]
	v_add_f64 v[2:3], v[2:3], v[4:5]
	v_mul_f64 v[4:5], v[90:91], v[38:39]
	v_add_f64 v[104:105], v[100:101], v[102:103]
	ds_read_b128 v[100:103], v46 offset:1840
	s_waitcnt vmcnt(17) lgkmcnt(1)
	v_mul_f64 v[106:107], v[96:97], v[112:113]
	v_fma_f64 v[4:5], v[88:89], v[40:41], -v[4:5]
	s_waitcnt vmcnt(16)
	v_fmac_f64_e32 v[106:107], v[98:99], v[114:115]
	v_add_f64 v[2:3], v[2:3], v[4:5]
	v_mul_f64 v[4:5], v[94:95], v[116:117]
	v_add_f64 v[136:137], v[104:105], v[106:107]
	ds_read_b128 v[104:107], v46 offset:1856
	v_fma_f64 v[4:5], v[92:93], v[118:119], -v[4:5]
	v_add_f64 v[2:3], v[2:3], v[4:5]
	v_mul_f64 v[4:5], v[98:99], v[112:113]
	v_fma_f64 v[4:5], v[96:97], v[114:115], -v[4:5]
	v_add_f64 v[2:3], v[2:3], v[4:5]
	s_waitcnt vmcnt(12) lgkmcnt(1)
	v_mul_f64 v[4:5], v[102:103], v[124:125]
	v_mul_f64 v[138:139], v[100:101], v[124:125]
	s_waitcnt vmcnt(10)
	v_fma_f64 v[4:5], v[100:101], v[126:127], -v[4:5]
	v_fmac_f64_e32 v[138:139], v[102:103], v[126:127]
	v_add_f64 v[2:3], v[2:3], v[4:5]
	s_waitcnt vmcnt(9) lgkmcnt(0)
	v_mul_f64 v[4:5], v[106:107], v[120:121]
	v_add_f64 v[46:47], v[136:137], v[138:139]
	v_mul_f64 v[136:137], v[104:105], v[120:121]
	s_waitcnt vmcnt(8)
	v_fma_f64 v[4:5], v[104:105], v[122:123], -v[4:5]
	v_fmac_f64_e32 v[136:137], v[106:107], v[122:123]
	v_add_f64 v[2:3], v[2:3], v[4:5]
	s_waitcnt vmcnt(6)
	v_mul_f64 v[4:5], v[110:111], v[128:129]
	v_add_f64 v[46:47], v[46:47], v[136:137]
	v_mul_f64 v[136:137], v[108:109], v[128:129]
	s_waitcnt vmcnt(4)
	v_fma_f64 v[4:5], v[108:109], v[130:131], -v[4:5]
	v_fmac_f64_e32 v[136:137], v[110:111], v[130:131]
	v_add_f64 v[2:3], v[2:3], v[4:5]
	v_add_f64 v[46:47], v[46:47], v[136:137]
	s_waitcnt vmcnt(2)
	v_add_f64 v[2:3], v[132:133], -v[2:3]
	s_waitcnt vmcnt(0)
	v_add_f64 v[4:5], v[134:135], -v[46:47]
	buffer_store_dword v3, off, s[0:3], 0 offset:692
	buffer_store_dword v2, off, s[0:3], 0 offset:688
	;; [unrolled: 1-line block ×4, first 2 shown]
	s_and_saveexec_b64 s[4:5], vcc
	s_cbranch_execz .LBB122_285
; %bb.284:
	v_accvgpr_read_b32 v0, a135
	buffer_load_dword v2, v0, s[0:3], 0 offen
	buffer_load_dword v3, v0, s[0:3], 0 offen offset:4
	buffer_load_dword v4, v0, s[0:3], 0 offen offset:8
	;; [unrolled: 1-line block ×3, first 2 shown]
	v_mov_b32_e32 v0, 0
	v_accvgpr_read_b32 v1, a177
	buffer_store_dword v0, off, s[0:3], 0 offset:672
	buffer_store_dword v0, off, s[0:3], 0 offset:676
	;; [unrolled: 1-line block ×4, first 2 shown]
	s_waitcnt vmcnt(4)
	ds_write_b128 v1, v[2:5]
.LBB122_285:
	s_or_b64 exec, exec, s[4:5]
	s_waitcnt lgkmcnt(0)
	; wave barrier
	s_waitcnt lgkmcnt(0)
	buffer_load_dword v2, off, s[0:3], 0 offset:688
	buffer_load_dword v3, off, s[0:3], 0 offset:692
	;; [unrolled: 1-line block ×68, first 2 shown]
	v_mov_b32_e32 v52, 0
	buffer_load_dword v140, off, s[0:3], 0 offset:672
	buffer_load_dword v141, off, s[0:3], 0 offset:676
	;; [unrolled: 1-line block ×3, first 2 shown]
	ds_read_b128 v[46:49], v52 offset:1616
	ds_read_b128 v[54:57], v52 offset:1632
	buffer_load_dword v143, off, s[0:3], 0 offset:684
	ds_read_b128 v[58:61], v52 offset:1648
	ds_read_b128 v[62:65], v52 offset:1664
	;; [unrolled: 1-line block ×3, first 2 shown]
	v_cmp_lt_u32_e32 vcc, 40, v228
	s_waitcnt vmcnt(62) lgkmcnt(4)
	v_mul_f64 v[66:67], v[46:47], v[6:7]
	v_fmac_f64_e32 v[66:67], v[48:49], v[2:3]
	v_add_f64 v[66:67], v[66:67], 0
	v_mul_f64 v[6:7], v[48:49], v[6:7]
	s_waitcnt lgkmcnt(3)
	v_mul_f64 v[68:69], v[54:55], v[10:11]
	v_fmac_f64_e32 v[68:69], v[56:57], v[4:5]
	v_add_f64 v[66:67], v[66:67], v[68:69]
	v_fma_f64 v[2:3], v[46:47], v[2:3], -v[6:7]
	s_waitcnt vmcnt(60) lgkmcnt(2)
	v_mul_f64 v[68:69], v[58:59], v[12:13]
	v_fmac_f64_e32 v[68:69], v[60:61], v[8:9]
	v_add_f64 v[70:71], v[66:67], v[68:69]
	ds_read_b128 v[66:69], v52 offset:1680
	s_waitcnt vmcnt(56) lgkmcnt(2)
	v_mul_f64 v[72:73], v[62:63], v[18:19]
	v_mul_f64 v[6:7], v[56:57], v[10:11]
	s_waitcnt vmcnt(54)
	v_fmac_f64_e32 v[72:73], v[64:65], v[20:21]
	v_add_f64 v[74:75], v[70:71], v[72:73]
	ds_read_b128 v[70:73], v52 offset:1696
	s_waitcnt vmcnt(53) lgkmcnt(1)
	v_mul_f64 v[76:77], v[66:67], v[14:15]
	s_waitcnt vmcnt(52)
	v_fmac_f64_e32 v[76:77], v[68:69], v[16:17]
	v_add_f64 v[78:79], v[74:75], v[76:77]
	ds_read_b128 v[74:77], v52 offset:1712
	s_waitcnt vmcnt(48) lgkmcnt(1)
	;; [unrolled: 6-line block ×4, first 2 shown]
	v_mul_f64 v[88:89], v[78:79], v[34:35]
	s_waitcnt vmcnt(38)
	v_fmac_f64_e32 v[88:89], v[80:81], v[36:37]
	v_add_f64 v[2:3], v[2:3], 0
	v_fma_f64 v[4:5], v[54:55], v[4:5], -v[6:7]
	v_add_f64 v[90:91], v[86:87], v[88:89]
	ds_read_b128 v[86:89], v52 offset:1760
	v_add_f64 v[2:3], v[2:3], v[4:5]
	v_mul_f64 v[4:5], v[60:61], v[12:13]
	v_fma_f64 v[4:5], v[58:59], v[8:9], -v[4:5]
	v_add_f64 v[2:3], v[2:3], v[4:5]
	v_mul_f64 v[4:5], v[64:65], v[18:19]
	s_waitcnt vmcnt(37) lgkmcnt(1)
	v_mul_f64 v[92:93], v[82:83], v[30:31]
	v_fma_f64 v[4:5], v[62:63], v[20:21], -v[4:5]
	s_waitcnt vmcnt(36)
	v_fmac_f64_e32 v[92:93], v[84:85], v[32:33]
	v_add_f64 v[2:3], v[2:3], v[4:5]
	v_mul_f64 v[4:5], v[68:69], v[14:15]
	v_add_f64 v[94:95], v[90:91], v[92:93]
	ds_read_b128 v[90:93], v52 offset:1776
	s_waitcnt vmcnt(32) lgkmcnt(1)
	v_mul_f64 v[96:97], v[86:87], v[42:43]
	v_fma_f64 v[4:5], v[66:67], v[16:17], -v[4:5]
	s_waitcnt vmcnt(30)
	v_fmac_f64_e32 v[96:97], v[88:89], v[44:45]
	v_add_f64 v[2:3], v[2:3], v[4:5]
	v_mul_f64 v[4:5], v[72:73], v[26:27]
	v_add_f64 v[98:99], v[94:95], v[96:97]
	ds_read_b128 v[94:97], v52 offset:1792
	v_fma_f64 v[4:5], v[70:71], v[28:29], -v[4:5]
	v_add_f64 v[2:3], v[2:3], v[4:5]
	v_mul_f64 v[4:5], v[76:77], v[22:23]
	v_fma_f64 v[4:5], v[74:75], v[24:25], -v[4:5]
	s_waitcnt vmcnt(29) lgkmcnt(1)
	v_mul_f64 v[100:101], v[90:91], v[38:39]
	v_add_f64 v[2:3], v[2:3], v[4:5]
	v_mul_f64 v[4:5], v[80:81], v[34:35]
	s_waitcnt vmcnt(28)
	v_fmac_f64_e32 v[100:101], v[92:93], v[40:41]
	v_fma_f64 v[4:5], v[78:79], v[36:37], -v[4:5]
	v_add_f64 v[102:103], v[98:99], v[100:101]
	ds_read_b128 v[98:101], v52 offset:1808
	s_waitcnt vmcnt(24) lgkmcnt(1)
	v_mul_f64 v[104:105], v[94:95], v[120:121]
	v_add_f64 v[2:3], v[2:3], v[4:5]
	v_mul_f64 v[4:5], v[84:85], v[30:31]
	s_waitcnt vmcnt(22)
	v_fmac_f64_e32 v[104:105], v[96:97], v[122:123]
	v_fma_f64 v[4:5], v[82:83], v[32:33], -v[4:5]
	v_add_f64 v[106:107], v[102:103], v[104:105]
	ds_read_b128 v[102:105], v52 offset:1824
	v_add_f64 v[2:3], v[2:3], v[4:5]
	v_mul_f64 v[4:5], v[88:89], v[42:43]
	v_fma_f64 v[4:5], v[86:87], v[44:45], -v[4:5]
	v_add_f64 v[2:3], v[2:3], v[4:5]
	v_mul_f64 v[4:5], v[92:93], v[38:39]
	s_waitcnt vmcnt(21) lgkmcnt(1)
	v_mul_f64 v[108:109], v[98:99], v[50:51]
	v_fma_f64 v[4:5], v[90:91], v[40:41], -v[4:5]
	s_waitcnt vmcnt(20)
	v_fmac_f64_e32 v[108:109], v[100:101], v[118:119]
	v_add_f64 v[2:3], v[2:3], v[4:5]
	v_mul_f64 v[4:5], v[96:97], v[120:121]
	v_add_f64 v[110:111], v[106:107], v[108:109]
	ds_read_b128 v[106:109], v52 offset:1840
	s_waitcnt vmcnt(16) lgkmcnt(1)
	v_mul_f64 v[112:113], v[102:103], v[128:129]
	v_fma_f64 v[4:5], v[94:95], v[122:123], -v[4:5]
	s_waitcnt vmcnt(14)
	v_fmac_f64_e32 v[112:113], v[104:105], v[130:131]
	v_add_f64 v[2:3], v[2:3], v[4:5]
	v_mul_f64 v[4:5], v[100:101], v[50:51]
	v_add_f64 v[144:145], v[110:111], v[112:113]
	ds_read_b128 v[110:113], v52 offset:1856
	v_fma_f64 v[4:5], v[98:99], v[118:119], -v[4:5]
	v_add_f64 v[2:3], v[2:3], v[4:5]
	v_mul_f64 v[4:5], v[104:105], v[128:129]
	v_fma_f64 v[4:5], v[102:103], v[130:131], -v[4:5]
	v_add_f64 v[2:3], v[2:3], v[4:5]
	s_waitcnt vmcnt(13) lgkmcnt(1)
	v_mul_f64 v[4:5], v[108:109], v[124:125]
	v_mul_f64 v[146:147], v[106:107], v[124:125]
	s_waitcnt vmcnt(12)
	v_fma_f64 v[4:5], v[106:107], v[126:127], -v[4:5]
	v_fmac_f64_e32 v[146:147], v[108:109], v[126:127]
	v_add_f64 v[2:3], v[2:3], v[4:5]
	s_waitcnt vmcnt(8) lgkmcnt(0)
	v_mul_f64 v[4:5], v[112:113], v[136:137]
	v_add_f64 v[144:145], v[144:145], v[146:147]
	v_mul_f64 v[146:147], v[110:111], v[136:137]
	s_waitcnt vmcnt(6)
	v_fma_f64 v[4:5], v[110:111], v[138:139], -v[4:5]
	v_fmac_f64_e32 v[146:147], v[112:113], v[138:139]
	v_add_f64 v[2:3], v[2:3], v[4:5]
	s_waitcnt vmcnt(5)
	v_mul_f64 v[4:5], v[116:117], v[132:133]
	v_add_f64 v[144:145], v[144:145], v[146:147]
	v_mul_f64 v[146:147], v[114:115], v[132:133]
	s_waitcnt vmcnt(4)
	v_fma_f64 v[4:5], v[114:115], v[134:135], -v[4:5]
	v_fmac_f64_e32 v[146:147], v[116:117], v[134:135]
	v_add_f64 v[2:3], v[2:3], v[4:5]
	v_add_f64 v[144:145], v[144:145], v[146:147]
	s_waitcnt vmcnt(2)
	v_add_f64 v[2:3], v[140:141], -v[2:3]
	s_waitcnt vmcnt(0)
	v_add_f64 v[4:5], v[142:143], -v[144:145]
	buffer_store_dword v3, off, s[0:3], 0 offset:676
	buffer_store_dword v2, off, s[0:3], 0 offset:672
	buffer_store_dword v5, off, s[0:3], 0 offset:684
	buffer_store_dword v4, off, s[0:3], 0 offset:680
	s_and_saveexec_b64 s[4:5], vcc
	s_cbranch_execz .LBB122_287
; %bb.286:
	v_accvgpr_read_b32 v0, a136
	buffer_load_dword v2, v0, s[0:3], 0 offen
	buffer_load_dword v3, v0, s[0:3], 0 offen offset:4
	buffer_load_dword v4, v0, s[0:3], 0 offen offset:8
	buffer_load_dword v5, v0, s[0:3], 0 offen offset:12
	v_accvgpr_read_b32 v0, a177
	buffer_store_dword v52, off, s[0:3], 0 offset:656
	buffer_store_dword v52, off, s[0:3], 0 offset:660
	;; [unrolled: 1-line block ×4, first 2 shown]
	s_waitcnt vmcnt(4)
	ds_write_b128 v0, v[2:5]
.LBB122_287:
	s_or_b64 exec, exec, s[4:5]
	s_waitcnt lgkmcnt(0)
	; wave barrier
	s_waitcnt lgkmcnt(0)
	buffer_load_dword v2, off, s[0:3], 0 offset:672
	buffer_load_dword v3, off, s[0:3], 0 offset:676
	;; [unrolled: 1-line block ×72, first 2 shown]
	ds_read_b128 v[54:57], v52 offset:1600
	buffer_load_dword v148, off, s[0:3], 0 offset:656
	buffer_load_dword v149, off, s[0:3], 0 offset:660
	;; [unrolled: 1-line block ×4, first 2 shown]
	ds_read_b128 v[58:61], v52 offset:1616
	ds_read_b128 v[62:65], v52 offset:1632
	;; [unrolled: 1-line block ×3, first 2 shown]
	v_cmp_lt_u32_e32 vcc, 39, v228
	ds_read_b128 v[124:127], v52 offset:1872
	s_waitcnt vmcnt(62) lgkmcnt(4)
	v_mul_f64 v[70:71], v[54:55], v[8:9]
	v_fmac_f64_e32 v[70:71], v[56:57], v[2:3]
	v_add_f64 v[70:71], v[70:71], 0
	v_mul_f64 v[8:9], v[56:57], v[8:9]
	s_waitcnt lgkmcnt(3)
	v_mul_f64 v[72:73], v[58:59], v[10:11]
	v_fmac_f64_e32 v[72:73], v[60:61], v[4:5]
	v_add_f64 v[70:71], v[70:71], v[72:73]
	v_fma_f64 v[2:3], v[54:55], v[2:3], -v[8:9]
	s_waitcnt lgkmcnt(2)
	v_mul_f64 v[72:73], v[62:63], v[12:13]
	v_fmac_f64_e32 v[72:73], v[64:65], v[6:7]
	v_add_f64 v[74:75], v[70:71], v[72:73]
	ds_read_b128 v[70:73], v52 offset:1664
	s_waitcnt vmcnt(60) lgkmcnt(2)
	v_mul_f64 v[76:77], v[66:67], v[18:19]
	v_mul_f64 v[8:9], v[60:61], v[10:11]
	s_waitcnt vmcnt(58)
	v_fmac_f64_e32 v[76:77], v[68:69], v[20:21]
	v_add_f64 v[78:79], v[74:75], v[76:77]
	ds_read_b128 v[74:77], v52 offset:1680
	s_waitcnt vmcnt(57) lgkmcnt(1)
	v_mul_f64 v[80:81], v[70:71], v[14:15]
	s_waitcnt vmcnt(56)
	v_fmac_f64_e32 v[80:81], v[72:73], v[16:17]
	v_add_f64 v[82:83], v[78:79], v[80:81]
	ds_read_b128 v[78:81], v52 offset:1696
	s_waitcnt vmcnt(52) lgkmcnt(1)
	;; [unrolled: 6-line block ×4, first 2 shown]
	v_mul_f64 v[92:93], v[82:83], v[34:35]
	s_waitcnt vmcnt(42)
	v_fmac_f64_e32 v[92:93], v[84:85], v[36:37]
	v_add_f64 v[2:3], v[2:3], 0
	v_fma_f64 v[4:5], v[58:59], v[4:5], -v[8:9]
	v_add_f64 v[94:95], v[90:91], v[92:93]
	ds_read_b128 v[90:93], v52 offset:1744
	s_waitcnt vmcnt(41) lgkmcnt(1)
	v_mul_f64 v[96:97], v[86:87], v[30:31]
	v_add_f64 v[2:3], v[2:3], v[4:5]
	v_mul_f64 v[4:5], v[64:65], v[12:13]
	s_waitcnt vmcnt(40)
	v_fmac_f64_e32 v[96:97], v[88:89], v[32:33]
	v_fma_f64 v[4:5], v[62:63], v[6:7], -v[4:5]
	v_add_f64 v[98:99], v[94:95], v[96:97]
	ds_read_b128 v[94:97], v52 offset:1760
	v_add_f64 v[2:3], v[2:3], v[4:5]
	v_mul_f64 v[4:5], v[68:69], v[18:19]
	v_fma_f64 v[4:5], v[66:67], v[20:21], -v[4:5]
	v_add_f64 v[2:3], v[2:3], v[4:5]
	v_mul_f64 v[4:5], v[72:73], v[14:15]
	s_waitcnt vmcnt(36) lgkmcnt(1)
	v_mul_f64 v[100:101], v[90:91], v[42:43]
	v_fma_f64 v[4:5], v[70:71], v[16:17], -v[4:5]
	s_waitcnt vmcnt(34)
	v_fmac_f64_e32 v[100:101], v[92:93], v[44:45]
	v_add_f64 v[2:3], v[2:3], v[4:5]
	v_mul_f64 v[4:5], v[76:77], v[26:27]
	v_add_f64 v[102:103], v[98:99], v[100:101]
	ds_read_b128 v[98:101], v52 offset:1776
	s_waitcnt vmcnt(33) lgkmcnt(1)
	v_mul_f64 v[104:105], v[94:95], v[38:39]
	v_fma_f64 v[4:5], v[74:75], v[28:29], -v[4:5]
	s_waitcnt vmcnt(32)
	v_fmac_f64_e32 v[104:105], v[96:97], v[40:41]
	v_add_f64 v[2:3], v[2:3], v[4:5]
	v_mul_f64 v[4:5], v[80:81], v[22:23]
	v_add_f64 v[106:107], v[102:103], v[104:105]
	ds_read_b128 v[102:105], v52 offset:1792
	v_fma_f64 v[4:5], v[78:79], v[24:25], -v[4:5]
	v_add_f64 v[2:3], v[2:3], v[4:5]
	v_mul_f64 v[4:5], v[84:85], v[34:35]
	v_fma_f64 v[4:5], v[82:83], v[36:37], -v[4:5]
	s_waitcnt vmcnt(28) lgkmcnt(1)
	v_mul_f64 v[108:109], v[98:99], v[50:51]
	v_add_f64 v[2:3], v[2:3], v[4:5]
	v_mul_f64 v[4:5], v[88:89], v[30:31]
	s_waitcnt vmcnt(26)
	v_fmac_f64_e32 v[108:109], v[100:101], v[118:119]
	v_fma_f64 v[4:5], v[86:87], v[32:33], -v[4:5]
	v_add_f64 v[110:111], v[106:107], v[108:109]
	ds_read_b128 v[106:109], v52 offset:1808
	s_waitcnt vmcnt(25) lgkmcnt(1)
	v_mul_f64 v[112:113], v[102:103], v[46:47]
	v_add_f64 v[2:3], v[2:3], v[4:5]
	v_mul_f64 v[4:5], v[92:93], v[42:43]
	s_waitcnt vmcnt(24)
	v_fmac_f64_e32 v[112:113], v[104:105], v[48:49]
	v_fma_f64 v[4:5], v[90:91], v[44:45], -v[4:5]
	v_add_f64 v[114:115], v[110:111], v[112:113]
	ds_read_b128 v[110:113], v52 offset:1824
	v_add_f64 v[2:3], v[2:3], v[4:5]
	v_mul_f64 v[4:5], v[96:97], v[38:39]
	v_fma_f64 v[4:5], v[94:95], v[40:41], -v[4:5]
	v_add_f64 v[2:3], v[2:3], v[4:5]
	v_mul_f64 v[4:5], v[100:101], v[50:51]
	s_waitcnt vmcnt(20) lgkmcnt(1)
	v_mul_f64 v[116:117], v[106:107], v[132:133]
	v_fma_f64 v[4:5], v[98:99], v[118:119], -v[4:5]
	s_waitcnt vmcnt(18)
	v_fmac_f64_e32 v[116:117], v[108:109], v[134:135]
	v_add_f64 v[2:3], v[2:3], v[4:5]
	v_mul_f64 v[4:5], v[104:105], v[46:47]
	v_add_f64 v[120:121], v[114:115], v[116:117]
	ds_read_b128 v[114:117], v52 offset:1840
	s_waitcnt vmcnt(17) lgkmcnt(1)
	v_mul_f64 v[122:123], v[110:111], v[128:129]
	v_fma_f64 v[4:5], v[102:103], v[48:49], -v[4:5]
	s_waitcnt vmcnt(16)
	v_fmac_f64_e32 v[122:123], v[112:113], v[130:131]
	v_add_f64 v[2:3], v[2:3], v[4:5]
	v_mul_f64 v[4:5], v[108:109], v[132:133]
	v_add_f64 v[152:153], v[120:121], v[122:123]
	ds_read_b128 v[120:123], v52 offset:1856
	v_fma_f64 v[4:5], v[106:107], v[134:135], -v[4:5]
	v_add_f64 v[2:3], v[2:3], v[4:5]
	v_mul_f64 v[4:5], v[112:113], v[128:129]
	v_fma_f64 v[4:5], v[110:111], v[130:131], -v[4:5]
	v_add_f64 v[2:3], v[2:3], v[4:5]
	s_waitcnt vmcnt(12) lgkmcnt(1)
	v_mul_f64 v[4:5], v[116:117], v[140:141]
	v_mul_f64 v[154:155], v[114:115], v[140:141]
	s_waitcnt vmcnt(10)
	v_fma_f64 v[4:5], v[114:115], v[142:143], -v[4:5]
	v_fmac_f64_e32 v[154:155], v[116:117], v[142:143]
	v_add_f64 v[2:3], v[2:3], v[4:5]
	s_waitcnt vmcnt(9) lgkmcnt(0)
	v_mul_f64 v[4:5], v[122:123], v[136:137]
	v_add_f64 v[52:53], v[152:153], v[154:155]
	v_mul_f64 v[152:153], v[120:121], v[136:137]
	s_waitcnt vmcnt(8)
	v_fma_f64 v[4:5], v[120:121], v[138:139], -v[4:5]
	v_fmac_f64_e32 v[152:153], v[122:123], v[138:139]
	v_add_f64 v[2:3], v[2:3], v[4:5]
	s_waitcnt vmcnt(6)
	v_mul_f64 v[4:5], v[126:127], v[144:145]
	v_add_f64 v[52:53], v[52:53], v[152:153]
	v_mul_f64 v[152:153], v[124:125], v[144:145]
	s_waitcnt vmcnt(4)
	v_fma_f64 v[4:5], v[124:125], v[146:147], -v[4:5]
	v_fmac_f64_e32 v[152:153], v[126:127], v[146:147]
	v_add_f64 v[2:3], v[2:3], v[4:5]
	v_add_f64 v[52:53], v[52:53], v[152:153]
	s_waitcnt vmcnt(2)
	v_add_f64 v[2:3], v[148:149], -v[2:3]
	s_waitcnt vmcnt(0)
	v_add_f64 v[4:5], v[150:151], -v[52:53]
	buffer_store_dword v3, off, s[0:3], 0 offset:660
	buffer_store_dword v2, off, s[0:3], 0 offset:656
	;; [unrolled: 1-line block ×4, first 2 shown]
	s_and_saveexec_b64 s[4:5], vcc
	s_cbranch_execz .LBB122_289
; %bb.288:
	v_accvgpr_read_b32 v0, a137
	buffer_load_dword v2, v0, s[0:3], 0 offen
	buffer_load_dword v3, v0, s[0:3], 0 offen offset:4
	buffer_load_dword v4, v0, s[0:3], 0 offen offset:8
	;; [unrolled: 1-line block ×3, first 2 shown]
	v_mov_b32_e32 v0, 0
	v_accvgpr_read_b32 v1, a177
	buffer_store_dword v0, off, s[0:3], 0 offset:640
	buffer_store_dword v0, off, s[0:3], 0 offset:644
	;; [unrolled: 1-line block ×4, first 2 shown]
	s_waitcnt vmcnt(4)
	ds_write_b128 v1, v[2:5]
.LBB122_289:
	s_or_b64 exec, exec, s[4:5]
	s_waitcnt lgkmcnt(0)
	; wave barrier
	s_waitcnt lgkmcnt(0)
	buffer_load_dword v2, off, s[0:3], 0 offset:656
	buffer_load_dword v3, off, s[0:3], 0 offset:660
	;; [unrolled: 1-line block ×76, first 2 shown]
	v_mov_b32_e32 v54, 0
	ds_read_b128 v[56:59], v54 offset:1584
	buffer_load_dword v156, off, s[0:3], 0 offset:640
	buffer_load_dword v157, off, s[0:3], 0 offset:644
	;; [unrolled: 1-line block ×4, first 2 shown]
	ds_read_b128 v[60:63], v54 offset:1600
	ds_read_b128 v[64:67], v54 offset:1616
	;; [unrolled: 1-line block ×4, first 2 shown]
	v_cmp_lt_u32_e32 vcc, 38, v228
	s_waitcnt vmcnt(62) lgkmcnt(4)
	v_mul_f64 v[72:73], v[56:57], v[8:9]
	v_fmac_f64_e32 v[72:73], v[58:59], v[2:3]
	v_add_f64 v[72:73], v[72:73], 0
	v_mul_f64 v[8:9], v[58:59], v[8:9]
	s_waitcnt lgkmcnt(3)
	v_mul_f64 v[74:75], v[60:61], v[10:11]
	v_fmac_f64_e32 v[74:75], v[62:63], v[4:5]
	v_add_f64 v[72:73], v[72:73], v[74:75]
	v_fma_f64 v[2:3], v[56:57], v[2:3], -v[8:9]
	s_waitcnt lgkmcnt(2)
	v_mul_f64 v[74:75], v[64:65], v[12:13]
	v_fmac_f64_e32 v[74:75], v[66:67], v[6:7]
	v_add_f64 v[76:77], v[72:73], v[74:75]
	ds_read_b128 v[72:75], v54 offset:1648
	s_waitcnt lgkmcnt(2)
	v_mul_f64 v[78:79], v[68:69], v[18:19]
	v_mul_f64 v[8:9], v[62:63], v[10:11]
	v_fmac_f64_e32 v[78:79], v[70:71], v[20:21]
	v_add_f64 v[80:81], v[76:77], v[78:79]
	ds_read_b128 v[76:79], v54 offset:1664
	s_waitcnt vmcnt(61) lgkmcnt(1)
	v_mul_f64 v[82:83], v[72:73], v[14:15]
	s_waitcnt vmcnt(60)
	v_fmac_f64_e32 v[82:83], v[74:75], v[16:17]
	v_add_f64 v[84:85], v[80:81], v[82:83]
	ds_read_b128 v[80:83], v54 offset:1680
	s_waitcnt vmcnt(56) lgkmcnt(1)
	v_mul_f64 v[86:87], v[76:77], v[26:27]
	s_waitcnt vmcnt(54)
	;; [unrolled: 6-line block ×4, first 2 shown]
	v_fmac_f64_e32 v[94:95], v[86:87], v[36:37]
	v_add_f64 v[96:97], v[92:93], v[94:95]
	ds_read_b128 v[92:95], v54 offset:1728
	v_add_f64 v[2:3], v[2:3], 0
	v_fma_f64 v[4:5], v[60:61], v[4:5], -v[8:9]
	s_waitcnt vmcnt(45) lgkmcnt(1)
	v_mul_f64 v[98:99], v[88:89], v[30:31]
	v_add_f64 v[2:3], v[2:3], v[4:5]
	v_mul_f64 v[4:5], v[66:67], v[12:13]
	s_waitcnt vmcnt(44)
	v_fmac_f64_e32 v[98:99], v[90:91], v[32:33]
	v_fma_f64 v[4:5], v[64:65], v[6:7], -v[4:5]
	v_add_f64 v[100:101], v[96:97], v[98:99]
	ds_read_b128 v[96:99], v54 offset:1744
	s_waitcnt vmcnt(40) lgkmcnt(1)
	v_mul_f64 v[102:103], v[92:93], v[42:43]
	v_add_f64 v[2:3], v[2:3], v[4:5]
	v_mul_f64 v[4:5], v[70:71], v[18:19]
	s_waitcnt vmcnt(38)
	v_fmac_f64_e32 v[102:103], v[94:95], v[44:45]
	v_fma_f64 v[4:5], v[68:69], v[20:21], -v[4:5]
	v_add_f64 v[104:105], v[100:101], v[102:103]
	ds_read_b128 v[100:103], v54 offset:1760
	v_add_f64 v[2:3], v[2:3], v[4:5]
	v_mul_f64 v[4:5], v[74:75], v[14:15]
	v_fma_f64 v[4:5], v[72:73], v[16:17], -v[4:5]
	v_add_f64 v[2:3], v[2:3], v[4:5]
	v_mul_f64 v[4:5], v[78:79], v[26:27]
	s_waitcnt vmcnt(37) lgkmcnt(1)
	v_mul_f64 v[106:107], v[96:97], v[38:39]
	v_fma_f64 v[4:5], v[76:77], v[28:29], -v[4:5]
	s_waitcnt vmcnt(36)
	v_fmac_f64_e32 v[106:107], v[98:99], v[40:41]
	v_add_f64 v[2:3], v[2:3], v[4:5]
	v_mul_f64 v[4:5], v[82:83], v[22:23]
	v_add_f64 v[108:109], v[104:105], v[106:107]
	ds_read_b128 v[104:107], v54 offset:1776
	s_waitcnt vmcnt(32) lgkmcnt(1)
	v_mul_f64 v[110:111], v[100:101], v[50:51]
	v_fma_f64 v[4:5], v[80:81], v[24:25], -v[4:5]
	s_waitcnt vmcnt(30)
	v_fmac_f64_e32 v[110:111], v[102:103], v[52:53]
	v_add_f64 v[2:3], v[2:3], v[4:5]
	v_mul_f64 v[4:5], v[86:87], v[34:35]
	v_add_f64 v[112:113], v[108:109], v[110:111]
	ds_read_b128 v[108:111], v54 offset:1792
	v_fma_f64 v[4:5], v[84:85], v[36:37], -v[4:5]
	v_add_f64 v[2:3], v[2:3], v[4:5]
	v_mul_f64 v[4:5], v[90:91], v[30:31]
	v_fma_f64 v[4:5], v[88:89], v[32:33], -v[4:5]
	s_waitcnt vmcnt(29) lgkmcnt(1)
	v_mul_f64 v[114:115], v[104:105], v[46:47]
	v_add_f64 v[2:3], v[2:3], v[4:5]
	v_mul_f64 v[4:5], v[94:95], v[42:43]
	s_waitcnt vmcnt(28)
	v_fmac_f64_e32 v[114:115], v[106:107], v[48:49]
	v_fma_f64 v[4:5], v[92:93], v[44:45], -v[4:5]
	v_add_f64 v[120:121], v[112:113], v[114:115]
	ds_read_b128 v[112:115], v54 offset:1808
	s_waitcnt vmcnt(24) lgkmcnt(1)
	v_mul_f64 v[122:123], v[108:109], v[136:137]
	v_add_f64 v[2:3], v[2:3], v[4:5]
	v_mul_f64 v[4:5], v[98:99], v[38:39]
	s_waitcnt vmcnt(22)
	v_fmac_f64_e32 v[122:123], v[110:111], v[138:139]
	v_fma_f64 v[4:5], v[96:97], v[40:41], -v[4:5]
	v_add_f64 v[124:125], v[120:121], v[122:123]
	ds_read_b128 v[120:123], v54 offset:1824
	v_add_f64 v[2:3], v[2:3], v[4:5]
	v_mul_f64 v[4:5], v[102:103], v[50:51]
	v_fma_f64 v[4:5], v[100:101], v[52:53], -v[4:5]
	v_add_f64 v[2:3], v[2:3], v[4:5]
	v_mul_f64 v[4:5], v[106:107], v[46:47]
	s_waitcnt vmcnt(21) lgkmcnt(1)
	v_mul_f64 v[126:127], v[112:113], v[116:117]
	v_fma_f64 v[4:5], v[104:105], v[48:49], -v[4:5]
	s_waitcnt vmcnt(20)
	v_fmac_f64_e32 v[126:127], v[114:115], v[118:119]
	v_add_f64 v[2:3], v[2:3], v[4:5]
	v_mul_f64 v[4:5], v[110:111], v[136:137]
	v_add_f64 v[128:129], v[124:125], v[126:127]
	ds_read_b128 v[124:127], v54 offset:1840
	s_waitcnt vmcnt(16) lgkmcnt(1)
	v_mul_f64 v[130:131], v[120:121], v[144:145]
	v_fma_f64 v[4:5], v[108:109], v[138:139], -v[4:5]
	s_waitcnt vmcnt(14)
	v_fmac_f64_e32 v[130:131], v[122:123], v[146:147]
	v_add_f64 v[2:3], v[2:3], v[4:5]
	v_mul_f64 v[4:5], v[114:115], v[116:117]
	v_add_f64 v[160:161], v[128:129], v[130:131]
	ds_read_b128 v[128:131], v54 offset:1856
	v_fma_f64 v[4:5], v[112:113], v[118:119], -v[4:5]
	v_add_f64 v[2:3], v[2:3], v[4:5]
	v_mul_f64 v[4:5], v[122:123], v[144:145]
	v_fma_f64 v[4:5], v[120:121], v[146:147], -v[4:5]
	v_add_f64 v[2:3], v[2:3], v[4:5]
	s_waitcnt vmcnt(13) lgkmcnt(1)
	v_mul_f64 v[4:5], v[126:127], v[140:141]
	v_mul_f64 v[162:163], v[124:125], v[140:141]
	s_waitcnt vmcnt(12)
	v_fma_f64 v[4:5], v[124:125], v[142:143], -v[4:5]
	v_fmac_f64_e32 v[162:163], v[126:127], v[142:143]
	v_add_f64 v[2:3], v[2:3], v[4:5]
	s_waitcnt vmcnt(8) lgkmcnt(0)
	v_mul_f64 v[4:5], v[130:131], v[152:153]
	v_add_f64 v[160:161], v[160:161], v[162:163]
	v_mul_f64 v[162:163], v[128:129], v[152:153]
	s_waitcnt vmcnt(6)
	v_fma_f64 v[4:5], v[128:129], v[154:155], -v[4:5]
	v_fmac_f64_e32 v[162:163], v[130:131], v[154:155]
	v_add_f64 v[2:3], v[2:3], v[4:5]
	s_waitcnt vmcnt(5)
	v_mul_f64 v[4:5], v[134:135], v[148:149]
	v_add_f64 v[160:161], v[160:161], v[162:163]
	v_mul_f64 v[162:163], v[132:133], v[148:149]
	s_waitcnt vmcnt(4)
	v_fma_f64 v[4:5], v[132:133], v[150:151], -v[4:5]
	v_fmac_f64_e32 v[162:163], v[134:135], v[150:151]
	v_add_f64 v[2:3], v[2:3], v[4:5]
	v_add_f64 v[160:161], v[160:161], v[162:163]
	s_waitcnt vmcnt(2)
	v_add_f64 v[2:3], v[156:157], -v[2:3]
	s_waitcnt vmcnt(0)
	v_add_f64 v[4:5], v[158:159], -v[160:161]
	buffer_store_dword v3, off, s[0:3], 0 offset:644
	buffer_store_dword v2, off, s[0:3], 0 offset:640
	;; [unrolled: 1-line block ×4, first 2 shown]
	s_and_saveexec_b64 s[4:5], vcc
	s_cbranch_execz .LBB122_291
; %bb.290:
	v_accvgpr_read_b32 v0, a138
	buffer_load_dword v2, v0, s[0:3], 0 offen
	buffer_load_dword v3, v0, s[0:3], 0 offen offset:4
	buffer_load_dword v4, v0, s[0:3], 0 offen offset:8
	buffer_load_dword v5, v0, s[0:3], 0 offen offset:12
	v_accvgpr_read_b32 v0, a177
	buffer_store_dword v54, off, s[0:3], 0 offset:624
	buffer_store_dword v54, off, s[0:3], 0 offset:628
	;; [unrolled: 1-line block ×4, first 2 shown]
	s_waitcnt vmcnt(4)
	ds_write_b128 v0, v[2:5]
.LBB122_291:
	s_or_b64 exec, exec, s[4:5]
	s_waitcnt lgkmcnt(0)
	; wave barrier
	s_waitcnt lgkmcnt(0)
	buffer_load_dword v2, off, s[0:3], 0 offset:640
	buffer_load_dword v3, off, s[0:3], 0 offset:644
	;; [unrolled: 1-line block ×76, first 2 shown]
	ds_read_b128 v[56:59], v54 offset:1568
	buffer_load_dword v161, off, s[0:3], 0 offset:956
	buffer_load_dword v160, off, s[0:3], 0 offset:952
	;; [unrolled: 1-line block ×8, first 2 shown]
	ds_read_b128 v[60:63], v54 offset:1584
	ds_read_b128 v[64:67], v54 offset:1600
	;; [unrolled: 1-line block ×3, first 2 shown]
	v_cmp_lt_u32_e32 vcc, 37, v228
	ds_read_b128 v[136:139], v54 offset:1872
	s_waitcnt vmcnt(62) lgkmcnt(4)
	v_mul_f64 v[72:73], v[56:57], v[8:9]
	v_fmac_f64_e32 v[72:73], v[58:59], v[2:3]
	v_add_f64 v[72:73], v[72:73], 0
	v_mul_f64 v[8:9], v[58:59], v[8:9]
	s_waitcnt lgkmcnt(3)
	v_mul_f64 v[74:75], v[60:61], v[10:11]
	v_fmac_f64_e32 v[74:75], v[62:63], v[4:5]
	v_add_f64 v[72:73], v[72:73], v[74:75]
	v_fma_f64 v[2:3], v[56:57], v[2:3], -v[8:9]
	s_waitcnt lgkmcnt(2)
	v_mul_f64 v[74:75], v[64:65], v[12:13]
	v_fmac_f64_e32 v[74:75], v[66:67], v[6:7]
	v_add_f64 v[76:77], v[72:73], v[74:75]
	ds_read_b128 v[72:75], v54 offset:1632
	v_mul_f64 v[8:9], v[62:63], v[10:11]
	v_add_f64 v[2:3], v[2:3], 0
	s_waitcnt lgkmcnt(2)
	v_mul_f64 v[78:79], v[68:69], v[18:19]
	v_fma_f64 v[4:5], v[60:61], v[4:5], -v[8:9]
	v_fmac_f64_e32 v[78:79], v[70:71], v[20:21]
	v_add_f64 v[80:81], v[76:77], v[78:79]
	ds_read_b128 v[76:79], v54 offset:1648
	s_waitcnt lgkmcnt(1)
	v_mul_f64 v[82:83], v[72:73], v[14:15]
	v_fmac_f64_e32 v[82:83], v[74:75], v[16:17]
	v_add_f64 v[84:85], v[80:81], v[82:83]
	ds_read_b128 v[80:83], v54 offset:1664
	s_waitcnt vmcnt(58) lgkmcnt(1)
	v_mul_f64 v[86:87], v[76:77], v[26:27]
	s_waitcnt vmcnt(56)
	v_fmac_f64_e32 v[86:87], v[78:79], v[28:29]
	v_add_f64 v[88:89], v[84:85], v[86:87]
	ds_read_b128 v[84:87], v54 offset:1680
	s_waitcnt lgkmcnt(1)
	v_mul_f64 v[90:91], v[80:81], v[22:23]
	v_fmac_f64_e32 v[90:91], v[82:83], v[24:25]
	v_add_f64 v[92:93], v[88:89], v[90:91]
	ds_read_b128 v[88:91], v54 offset:1696
	s_waitcnt vmcnt(50) lgkmcnt(1)
	v_mul_f64 v[94:95], v[84:85], v[34:35]
	s_waitcnt vmcnt(48)
	v_fmac_f64_e32 v[94:95], v[86:87], v[36:37]
	v_add_f64 v[96:97], v[92:93], v[94:95]
	ds_read_b128 v[92:95], v54 offset:1712
	s_waitcnt lgkmcnt(1)
	v_mul_f64 v[98:99], v[88:89], v[30:31]
	v_fmac_f64_e32 v[98:99], v[90:91], v[32:33]
	v_add_f64 v[100:101], v[96:97], v[98:99]
	ds_read_b128 v[96:99], v54 offset:1728
	v_add_f64 v[2:3], v[2:3], v[4:5]
	v_mul_f64 v[4:5], v[66:67], v[12:13]
	v_fma_f64 v[4:5], v[64:65], v[6:7], -v[4:5]
	s_waitcnt vmcnt(42) lgkmcnt(1)
	v_mul_f64 v[102:103], v[92:93], v[42:43]
	v_add_f64 v[2:3], v[2:3], v[4:5]
	v_mul_f64 v[4:5], v[70:71], v[18:19]
	s_waitcnt vmcnt(40)
	v_fmac_f64_e32 v[102:103], v[94:95], v[44:45]
	v_fma_f64 v[4:5], v[68:69], v[20:21], -v[4:5]
	v_add_f64 v[104:105], v[100:101], v[102:103]
	ds_read_b128 v[100:103], v54 offset:1744
	s_waitcnt lgkmcnt(1)
	v_mul_f64 v[106:107], v[96:97], v[38:39]
	v_add_f64 v[2:3], v[2:3], v[4:5]
	v_mul_f64 v[4:5], v[74:75], v[14:15]
	v_fmac_f64_e32 v[106:107], v[98:99], v[40:41]
	v_fma_f64 v[4:5], v[72:73], v[16:17], -v[4:5]
	v_add_f64 v[108:109], v[104:105], v[106:107]
	ds_read_b128 v[104:107], v54 offset:1760
	v_add_f64 v[2:3], v[2:3], v[4:5]
	v_mul_f64 v[4:5], v[78:79], v[26:27]
	v_fma_f64 v[4:5], v[76:77], v[28:29], -v[4:5]
	v_add_f64 v[2:3], v[2:3], v[4:5]
	v_mul_f64 v[4:5], v[82:83], v[22:23]
	s_waitcnt vmcnt(34) lgkmcnt(1)
	v_mul_f64 v[110:111], v[100:101], v[50:51]
	v_fma_f64 v[4:5], v[80:81], v[24:25], -v[4:5]
	s_waitcnt vmcnt(32)
	v_fmac_f64_e32 v[110:111], v[102:103], v[52:53]
	v_add_f64 v[2:3], v[2:3], v[4:5]
	v_mul_f64 v[4:5], v[86:87], v[34:35]
	v_add_f64 v[112:113], v[108:109], v[110:111]
	ds_read_b128 v[108:111], v54 offset:1776
	s_waitcnt lgkmcnt(1)
	v_mul_f64 v[114:115], v[104:105], v[46:47]
	v_fma_f64 v[4:5], v[84:85], v[36:37], -v[4:5]
	v_fmac_f64_e32 v[114:115], v[106:107], v[48:49]
	v_add_f64 v[2:3], v[2:3], v[4:5]
	v_mul_f64 v[4:5], v[90:91], v[30:31]
	v_add_f64 v[120:121], v[112:113], v[114:115]
	ds_read_b128 v[112:115], v54 offset:1792
	v_fma_f64 v[4:5], v[88:89], v[32:33], -v[4:5]
	v_add_f64 v[2:3], v[2:3], v[4:5]
	v_mul_f64 v[4:5], v[94:95], v[42:43]
	v_fma_f64 v[4:5], v[92:93], v[44:45], -v[4:5]
	s_waitcnt vmcnt(26) lgkmcnt(1)
	v_mul_f64 v[122:123], v[108:109], v[140:141]
	v_add_f64 v[2:3], v[2:3], v[4:5]
	v_mul_f64 v[4:5], v[98:99], v[38:39]
	s_waitcnt vmcnt(24)
	v_fmac_f64_e32 v[122:123], v[110:111], v[142:143]
	v_fma_f64 v[4:5], v[96:97], v[40:41], -v[4:5]
	v_add_f64 v[124:125], v[120:121], v[122:123]
	ds_read_b128 v[120:123], v54 offset:1808
	s_waitcnt lgkmcnt(1)
	v_mul_f64 v[126:127], v[112:113], v[116:117]
	v_add_f64 v[2:3], v[2:3], v[4:5]
	v_mul_f64 v[4:5], v[102:103], v[50:51]
	v_fmac_f64_e32 v[126:127], v[114:115], v[118:119]
	v_fma_f64 v[4:5], v[100:101], v[52:53], -v[4:5]
	v_add_f64 v[128:129], v[124:125], v[126:127]
	ds_read_b128 v[124:127], v54 offset:1824
	v_add_f64 v[2:3], v[2:3], v[4:5]
	v_mul_f64 v[4:5], v[106:107], v[46:47]
	v_fma_f64 v[4:5], v[104:105], v[48:49], -v[4:5]
	v_add_f64 v[2:3], v[2:3], v[4:5]
	v_mul_f64 v[4:5], v[110:111], v[140:141]
	s_waitcnt vmcnt(18) lgkmcnt(1)
	v_mul_f64 v[130:131], v[120:121], v[148:149]
	v_fma_f64 v[4:5], v[108:109], v[142:143], -v[4:5]
	s_waitcnt vmcnt(16)
	v_fmac_f64_e32 v[130:131], v[122:123], v[150:151]
	v_add_f64 v[2:3], v[2:3], v[4:5]
	v_mul_f64 v[4:5], v[114:115], v[116:117]
	v_add_f64 v[132:133], v[128:129], v[130:131]
	ds_read_b128 v[128:131], v54 offset:1840
	s_waitcnt lgkmcnt(1)
	v_mul_f64 v[134:135], v[124:125], v[144:145]
	v_fma_f64 v[4:5], v[112:113], v[118:119], -v[4:5]
	v_fmac_f64_e32 v[134:135], v[126:127], v[146:147]
	v_add_f64 v[2:3], v[2:3], v[4:5]
	v_mul_f64 v[4:5], v[122:123], v[148:149]
	v_add_f64 v[168:169], v[132:133], v[134:135]
	ds_read_b128 v[132:135], v54 offset:1856
	v_fma_f64 v[4:5], v[120:121], v[150:151], -v[4:5]
	v_add_f64 v[2:3], v[2:3], v[4:5]
	v_mul_f64 v[4:5], v[126:127], v[144:145]
	v_fma_f64 v[4:5], v[124:125], v[146:147], -v[4:5]
	v_add_f64 v[2:3], v[2:3], v[4:5]
	s_waitcnt vmcnt(10) lgkmcnt(1)
	v_mul_f64 v[4:5], v[130:131], v[156:157]
	v_mul_f64 v[170:171], v[128:129], v[156:157]
	s_waitcnt vmcnt(8)
	v_fma_f64 v[4:5], v[128:129], v[158:159], -v[4:5]
	v_fmac_f64_e32 v[170:171], v[130:131], v[158:159]
	v_add_f64 v[2:3], v[2:3], v[4:5]
	s_waitcnt lgkmcnt(0)
	v_mul_f64 v[4:5], v[134:135], v[152:153]
	v_add_f64 v[54:55], v[168:169], v[170:171]
	v_mul_f64 v[168:169], v[132:133], v[152:153]
	v_fma_f64 v[4:5], v[132:133], v[154:155], -v[4:5]
	v_fmac_f64_e32 v[168:169], v[134:135], v[154:155]
	v_add_f64 v[2:3], v[2:3], v[4:5]
	s_waitcnt vmcnt(6)
	v_mul_f64 v[4:5], v[138:139], v[160:161]
	v_add_f64 v[54:55], v[54:55], v[168:169]
	v_mul_f64 v[168:169], v[136:137], v[160:161]
	s_waitcnt vmcnt(4)
	v_fma_f64 v[4:5], v[136:137], v[162:163], -v[4:5]
	v_fmac_f64_e32 v[168:169], v[138:139], v[162:163]
	v_add_f64 v[2:3], v[2:3], v[4:5]
	v_add_f64 v[54:55], v[54:55], v[168:169]
	s_waitcnt vmcnt(2)
	v_add_f64 v[2:3], v[164:165], -v[2:3]
	s_waitcnt vmcnt(0)
	v_add_f64 v[4:5], v[166:167], -v[54:55]
	buffer_store_dword v3, off, s[0:3], 0 offset:628
	buffer_store_dword v2, off, s[0:3], 0 offset:624
	;; [unrolled: 1-line block ×4, first 2 shown]
	s_and_saveexec_b64 s[4:5], vcc
	s_cbranch_execz .LBB122_293
; %bb.292:
	v_accvgpr_read_b32 v0, a139
	buffer_load_dword v2, v0, s[0:3], 0 offen
	buffer_load_dword v3, v0, s[0:3], 0 offen offset:4
	buffer_load_dword v4, v0, s[0:3], 0 offen offset:8
	;; [unrolled: 1-line block ×3, first 2 shown]
	v_mov_b32_e32 v0, 0
	v_accvgpr_read_b32 v1, a177
	buffer_store_dword v0, off, s[0:3], 0 offset:608
	buffer_store_dword v0, off, s[0:3], 0 offset:612
	;; [unrolled: 1-line block ×4, first 2 shown]
	s_waitcnt vmcnt(4)
	ds_write_b128 v1, v[2:5]
.LBB122_293:
	s_or_b64 exec, exec, s[4:5]
	s_waitcnt lgkmcnt(0)
	; wave barrier
	s_waitcnt lgkmcnt(0)
	buffer_load_dword v4, off, s[0:3], 0 offset:608
	buffer_load_dword v5, off, s[0:3], 0 offset:612
	buffer_load_dword v2, off, s[0:3], 0 offset:616
	buffer_load_dword v3, off, s[0:3], 0 offset:620
	buffer_load_dword v6, off, s[0:3], 0 offset:624
	buffer_load_dword v7, off, s[0:3], 0 offset:628
	buffer_load_dword v12, off, s[0:3], 0 offset:632
	buffer_load_dword v13, off, s[0:3], 0 offset:636
	buffer_load_dword v8, off, s[0:3], 0 offset:640
	buffer_load_dword v9, off, s[0:3], 0 offset:644
	buffer_load_dword v14, off, s[0:3], 0 offset:648
	buffer_load_dword v15, off, s[0:3], 0 offset:652
	buffer_load_dword v10, off, s[0:3], 0 offset:656
	buffer_load_dword v11, off, s[0:3], 0 offset:660
	buffer_load_dword v16, off, s[0:3], 0 offset:664
	buffer_load_dword v17, off, s[0:3], 0 offset:668
	buffer_load_dword v19, off, s[0:3], 0 offset:700
	buffer_load_dword v18, off, s[0:3], 0 offset:696
	buffer_load_dword v21, off, s[0:3], 0 offset:692
	buffer_load_dword v20, off, s[0:3], 0 offset:688
	buffer_load_dword v23, off, s[0:3], 0 offset:684
	buffer_load_dword v22, off, s[0:3], 0 offset:680
	buffer_load_dword v25, off, s[0:3], 0 offset:676
	buffer_load_dword v24, off, s[0:3], 0 offset:672
	buffer_load_dword v27, off, s[0:3], 0 offset:732
	buffer_load_dword v26, off, s[0:3], 0 offset:728
	buffer_load_dword v29, off, s[0:3], 0 offset:724
	buffer_load_dword v28, off, s[0:3], 0 offset:720
	buffer_load_dword v31, off, s[0:3], 0 offset:716
	buffer_load_dword v30, off, s[0:3], 0 offset:712
	buffer_load_dword v33, off, s[0:3], 0 offset:708
	buffer_load_dword v32, off, s[0:3], 0 offset:704
	buffer_load_dword v35, off, s[0:3], 0 offset:764
	buffer_load_dword v34, off, s[0:3], 0 offset:760
	buffer_load_dword v37, off, s[0:3], 0 offset:756
	buffer_load_dword v36, off, s[0:3], 0 offset:752
	buffer_load_dword v39, off, s[0:3], 0 offset:748
	buffer_load_dword v38, off, s[0:3], 0 offset:744
	buffer_load_dword v41, off, s[0:3], 0 offset:740
	buffer_load_dword v40, off, s[0:3], 0 offset:736
	buffer_load_dword v43, off, s[0:3], 0 offset:796
	buffer_load_dword v42, off, s[0:3], 0 offset:792
	buffer_load_dword v45, off, s[0:3], 0 offset:788
	buffer_load_dword v44, off, s[0:3], 0 offset:784
	buffer_load_dword v47, off, s[0:3], 0 offset:780
	buffer_load_dword v46, off, s[0:3], 0 offset:776
	buffer_load_dword v49, off, s[0:3], 0 offset:772
	buffer_load_dword v48, off, s[0:3], 0 offset:768
	buffer_load_dword v51, off, s[0:3], 0 offset:828
	buffer_load_dword v50, off, s[0:3], 0 offset:824
	buffer_load_dword v53, off, s[0:3], 0 offset:820
	buffer_load_dword v52, off, s[0:3], 0 offset:816
	buffer_load_dword v55, off, s[0:3], 0 offset:812
	buffer_load_dword v54, off, s[0:3], 0 offset:808
	buffer_load_dword v57, off, s[0:3], 0 offset:804
	buffer_load_dword v56, off, s[0:3], 0 offset:800
	buffer_load_dword v59, off, s[0:3], 0 offset:860
	buffer_load_dword v58, off, s[0:3], 0 offset:856
	buffer_load_dword v61, off, s[0:3], 0 offset:852
	buffer_load_dword v60, off, s[0:3], 0 offset:848
	buffer_load_dword v63, off, s[0:3], 0 offset:844
	buffer_load_dword v62, off, s[0:3], 0 offset:840
	buffer_load_dword v65, off, s[0:3], 0 offset:836
	buffer_load_dword v64, off, s[0:3], 0 offset:832
	buffer_load_dword v117, off, s[0:3], 0 offset:892
	buffer_load_dword v116, off, s[0:3], 0 offset:888
	buffer_load_dword v119, off, s[0:3], 0 offset:884
	buffer_load_dword v118, off, s[0:3], 0 offset:880
	buffer_load_dword v157, off, s[0:3], 0 offset:876
	buffer_load_dword v156, off, s[0:3], 0 offset:872
	buffer_load_dword v159, off, s[0:3], 0 offset:868
	buffer_load_dword v158, off, s[0:3], 0 offset:864
	buffer_load_dword v161, off, s[0:3], 0 offset:924
	buffer_load_dword v160, off, s[0:3], 0 offset:920
	buffer_load_dword v163, off, s[0:3], 0 offset:916
	buffer_load_dword v162, off, s[0:3], 0 offset:912
	buffer_load_dword v165, off, s[0:3], 0 offset:908
	buffer_load_dword v164, off, s[0:3], 0 offset:904
	buffer_load_dword v167, off, s[0:3], 0 offset:900
	buffer_load_dword v166, off, s[0:3], 0 offset:896
	buffer_load_dword v169, off, s[0:3], 0 offset:940
	buffer_load_dword v168, off, s[0:3], 0 offset:936
	buffer_load_dword v171, off, s[0:3], 0 offset:932
	buffer_load_dword v170, off, s[0:3], 0 offset:928
	v_mov_b32_e32 v86, 0
	ds_read_b128 v[66:69], v86 offset:1552
	buffer_load_dword v173, off, s[0:3], 0 offset:956
	buffer_load_dword v172, off, s[0:3], 0 offset:952
	;; [unrolled: 1-line block ×4, first 2 shown]
	ds_read_b128 v[70:73], v86 offset:1568
	ds_read_b128 v[74:77], v86 offset:1584
	ds_read_b128 v[78:81], v86 offset:1600
	ds_read_b128 v[152:155], v86 offset:1872
	v_cmp_lt_u32_e32 vcc, 36, v228
	s_waitcnt vmcnt(62) lgkmcnt(4)
	v_mul_f64 v[82:83], v[66:67], v[12:13]
	v_fmac_f64_e32 v[82:83], v[68:69], v[6:7]
	s_waitcnt lgkmcnt(3)
	v_mul_f64 v[84:85], v[70:71], v[14:15]
	v_add_f64 v[82:83], v[82:83], 0
	v_fmac_f64_e32 v[84:85], v[72:73], v[8:9]
	v_add_f64 v[82:83], v[82:83], v[84:85]
	s_waitcnt lgkmcnt(2)
	v_mul_f64 v[84:85], v[74:75], v[16:17]
	v_fmac_f64_e32 v[84:85], v[76:77], v[10:11]
	v_add_f64 v[88:89], v[82:83], v[84:85]
	ds_read_b128 v[82:85], v86 offset:1616
	v_mul_f64 v[12:13], v[68:69], v[12:13]
	s_waitcnt lgkmcnt(2)
	v_mul_f64 v[90:91], v[78:79], v[22:23]
	v_fma_f64 v[6:7], v[66:67], v[6:7], -v[12:13]
	v_fmac_f64_e32 v[90:91], v[80:81], v[24:25]
	v_add_f64 v[92:93], v[88:89], v[90:91]
	ds_read_b128 v[88:91], v86 offset:1632
	s_waitcnt lgkmcnt(1)
	v_mul_f64 v[94:95], v[82:83], v[18:19]
	v_fmac_f64_e32 v[94:95], v[84:85], v[20:21]
	v_add_f64 v[96:97], v[92:93], v[94:95]
	ds_read_b128 v[92:95], v86 offset:1648
	s_waitcnt vmcnt(58) lgkmcnt(1)
	v_mul_f64 v[98:99], v[88:89], v[30:31]
	s_waitcnt vmcnt(56)
	v_fmac_f64_e32 v[98:99], v[90:91], v[32:33]
	v_add_f64 v[100:101], v[96:97], v[98:99]
	ds_read_b128 v[96:99], v86 offset:1664
	s_waitcnt lgkmcnt(1)
	v_mul_f64 v[102:103], v[92:93], v[26:27]
	v_fmac_f64_e32 v[102:103], v[94:95], v[28:29]
	v_add_f64 v[104:105], v[100:101], v[102:103]
	ds_read_b128 v[100:103], v86 offset:1680
	s_waitcnt vmcnt(50) lgkmcnt(1)
	v_mul_f64 v[106:107], v[96:97], v[38:39]
	s_waitcnt vmcnt(48)
	v_fmac_f64_e32 v[106:107], v[98:99], v[40:41]
	v_add_f64 v[108:109], v[104:105], v[106:107]
	ds_read_b128 v[104:107], v86 offset:1696
	s_waitcnt lgkmcnt(1)
	v_mul_f64 v[110:111], v[100:101], v[34:35]
	v_fmac_f64_e32 v[110:111], v[102:103], v[36:37]
	v_mul_f64 v[12:13], v[72:73], v[14:15]
	v_add_f64 v[112:113], v[108:109], v[110:111]
	ds_read_b128 v[108:111], v86 offset:1712
	s_waitcnt vmcnt(42) lgkmcnt(1)
	v_mul_f64 v[114:115], v[104:105], v[46:47]
	v_add_f64 v[6:7], v[6:7], 0
	v_fma_f64 v[8:9], v[70:71], v[8:9], -v[12:13]
	s_waitcnt vmcnt(40)
	v_fmac_f64_e32 v[114:115], v[106:107], v[48:49]
	v_add_f64 v[6:7], v[6:7], v[8:9]
	v_mul_f64 v[8:9], v[76:77], v[16:17]
	v_add_f64 v[120:121], v[112:113], v[114:115]
	ds_read_b128 v[112:115], v86 offset:1728
	v_fma_f64 v[8:9], v[74:75], v[10:11], -v[8:9]
	v_add_f64 v[6:7], v[6:7], v[8:9]
	v_mul_f64 v[8:9], v[80:81], v[22:23]
	v_fma_f64 v[8:9], v[78:79], v[24:25], -v[8:9]
	s_waitcnt lgkmcnt(1)
	v_mul_f64 v[122:123], v[108:109], v[42:43]
	v_add_f64 v[6:7], v[6:7], v[8:9]
	v_mul_f64 v[8:9], v[84:85], v[18:19]
	v_fmac_f64_e32 v[122:123], v[110:111], v[44:45]
	v_fma_f64 v[8:9], v[82:83], v[20:21], -v[8:9]
	v_add_f64 v[124:125], v[120:121], v[122:123]
	ds_read_b128 v[120:123], v86 offset:1744
	s_waitcnt vmcnt(34) lgkmcnt(1)
	v_mul_f64 v[126:127], v[112:113], v[54:55]
	v_add_f64 v[6:7], v[6:7], v[8:9]
	v_mul_f64 v[8:9], v[90:91], v[30:31]
	s_waitcnt vmcnt(32)
	v_fmac_f64_e32 v[126:127], v[114:115], v[56:57]
	v_fma_f64 v[8:9], v[88:89], v[32:33], -v[8:9]
	v_add_f64 v[128:129], v[124:125], v[126:127]
	ds_read_b128 v[124:127], v86 offset:1760
	v_add_f64 v[6:7], v[6:7], v[8:9]
	v_mul_f64 v[8:9], v[94:95], v[26:27]
	v_fma_f64 v[8:9], v[92:93], v[28:29], -v[8:9]
	v_add_f64 v[6:7], v[6:7], v[8:9]
	v_mul_f64 v[8:9], v[98:99], v[38:39]
	s_waitcnt lgkmcnt(1)
	v_mul_f64 v[130:131], v[120:121], v[50:51]
	v_fma_f64 v[8:9], v[96:97], v[40:41], -v[8:9]
	v_fmac_f64_e32 v[130:131], v[122:123], v[52:53]
	v_add_f64 v[6:7], v[6:7], v[8:9]
	v_mul_f64 v[8:9], v[102:103], v[34:35]
	v_add_f64 v[132:133], v[128:129], v[130:131]
	ds_read_b128 v[128:131], v86 offset:1776
	s_waitcnt vmcnt(26) lgkmcnt(1)
	v_mul_f64 v[134:135], v[124:125], v[62:63]
	v_fma_f64 v[8:9], v[100:101], v[36:37], -v[8:9]
	s_waitcnt vmcnt(24)
	v_fmac_f64_e32 v[134:135], v[126:127], v[64:65]
	v_add_f64 v[6:7], v[6:7], v[8:9]
	v_mul_f64 v[8:9], v[106:107], v[46:47]
	v_add_f64 v[136:137], v[132:133], v[134:135]
	ds_read_b128 v[132:135], v86 offset:1792
	v_fma_f64 v[8:9], v[104:105], v[48:49], -v[8:9]
	v_add_f64 v[6:7], v[6:7], v[8:9]
	v_mul_f64 v[8:9], v[110:111], v[42:43]
	v_fma_f64 v[8:9], v[108:109], v[44:45], -v[8:9]
	s_waitcnt lgkmcnt(1)
	v_mul_f64 v[138:139], v[128:129], v[58:59]
	v_add_f64 v[6:7], v[6:7], v[8:9]
	v_mul_f64 v[8:9], v[114:115], v[54:55]
	v_fmac_f64_e32 v[138:139], v[130:131], v[60:61]
	v_fma_f64 v[8:9], v[112:113], v[56:57], -v[8:9]
	v_add_f64 v[140:141], v[136:137], v[138:139]
	ds_read_b128 v[136:139], v86 offset:1808
	s_waitcnt vmcnt(18) lgkmcnt(1)
	v_mul_f64 v[142:143], v[132:133], v[156:157]
	v_add_f64 v[6:7], v[6:7], v[8:9]
	v_mul_f64 v[8:9], v[122:123], v[50:51]
	s_waitcnt vmcnt(16)
	v_fmac_f64_e32 v[142:143], v[134:135], v[158:159]
	v_fma_f64 v[8:9], v[120:121], v[52:53], -v[8:9]
	v_add_f64 v[144:145], v[140:141], v[142:143]
	ds_read_b128 v[140:143], v86 offset:1824
	v_add_f64 v[6:7], v[6:7], v[8:9]
	v_mul_f64 v[8:9], v[126:127], v[62:63]
	v_fma_f64 v[8:9], v[124:125], v[64:65], -v[8:9]
	v_add_f64 v[6:7], v[6:7], v[8:9]
	v_mul_f64 v[8:9], v[130:131], v[58:59]
	s_waitcnt lgkmcnt(1)
	v_mul_f64 v[146:147], v[136:137], v[116:117]
	v_fma_f64 v[8:9], v[128:129], v[60:61], -v[8:9]
	v_fmac_f64_e32 v[146:147], v[138:139], v[118:119]
	v_add_f64 v[6:7], v[6:7], v[8:9]
	v_mul_f64 v[8:9], v[134:135], v[156:157]
	v_add_f64 v[148:149], v[144:145], v[146:147]
	ds_read_b128 v[144:147], v86 offset:1840
	s_waitcnt vmcnt(10) lgkmcnt(1)
	v_mul_f64 v[150:151], v[140:141], v[164:165]
	v_fma_f64 v[8:9], v[132:133], v[158:159], -v[8:9]
	s_waitcnt vmcnt(8)
	v_fmac_f64_e32 v[150:151], v[142:143], v[166:167]
	v_add_f64 v[6:7], v[6:7], v[8:9]
	v_mul_f64 v[8:9], v[138:139], v[116:117]
	v_add_f64 v[176:177], v[148:149], v[150:151]
	ds_read_b128 v[148:151], v86 offset:1856
	v_fma_f64 v[8:9], v[136:137], v[118:119], -v[8:9]
	v_add_f64 v[6:7], v[6:7], v[8:9]
	v_mul_f64 v[8:9], v[142:143], v[164:165]
	v_fma_f64 v[8:9], v[140:141], v[166:167], -v[8:9]
	v_add_f64 v[6:7], v[6:7], v[8:9]
	s_waitcnt lgkmcnt(1)
	v_mul_f64 v[8:9], v[146:147], v[160:161]
	v_mul_f64 v[178:179], v[144:145], v[160:161]
	v_fma_f64 v[8:9], v[144:145], v[162:163], -v[8:9]
	v_fmac_f64_e32 v[178:179], v[146:147], v[162:163]
	v_add_f64 v[6:7], v[6:7], v[8:9]
	s_waitcnt vmcnt(6) lgkmcnt(0)
	v_mul_f64 v[8:9], v[150:151], v[168:169]
	v_add_f64 v[176:177], v[176:177], v[178:179]
	v_mul_f64 v[178:179], v[148:149], v[168:169]
	s_waitcnt vmcnt(4)
	v_fma_f64 v[8:9], v[148:149], v[170:171], -v[8:9]
	v_fmac_f64_e32 v[178:179], v[150:151], v[170:171]
	v_add_f64 v[6:7], v[6:7], v[8:9]
	s_waitcnt vmcnt(2)
	v_mul_f64 v[8:9], v[154:155], v[172:173]
	v_add_f64 v[176:177], v[176:177], v[178:179]
	v_mul_f64 v[178:179], v[152:153], v[172:173]
	s_waitcnt vmcnt(0)
	v_fma_f64 v[8:9], v[152:153], v[174:175], -v[8:9]
	v_fmac_f64_e32 v[178:179], v[154:155], v[174:175]
	v_add_f64 v[6:7], v[6:7], v[8:9]
	v_add_f64 v[176:177], v[176:177], v[178:179]
	v_add_f64 v[4:5], v[4:5], -v[6:7]
	v_add_f64 v[2:3], v[2:3], -v[176:177]
	buffer_store_dword v5, off, s[0:3], 0 offset:612
	buffer_store_dword v4, off, s[0:3], 0 offset:608
	;; [unrolled: 1-line block ×4, first 2 shown]
	s_and_saveexec_b64 s[4:5], vcc
	s_cbranch_execz .LBB122_295
; %bb.294:
	v_accvgpr_read_b32 v0, a140
	buffer_load_dword v2, v0, s[0:3], 0 offen
	buffer_load_dword v3, v0, s[0:3], 0 offen offset:4
	buffer_load_dword v4, v0, s[0:3], 0 offen offset:8
	;; [unrolled: 1-line block ×3, first 2 shown]
	v_accvgpr_read_b32 v0, a177
	buffer_store_dword v86, off, s[0:3], 0 offset:592
	buffer_store_dword v86, off, s[0:3], 0 offset:596
	;; [unrolled: 1-line block ×4, first 2 shown]
	s_waitcnt vmcnt(4)
	ds_write_b128 v0, v[2:5]
.LBB122_295:
	s_or_b64 exec, exec, s[4:5]
	s_waitcnt lgkmcnt(0)
	; wave barrier
	s_waitcnt lgkmcnt(0)
	ds_read_b128 v[14:17], v86 offset:1536
	ds_read_b128 v[10:13], v86 offset:1552
	;; [unrolled: 1-line block ×4, first 2 shown]
	buffer_load_dword v20, off, s[0:3], 0 offset:592
	buffer_load_dword v21, off, s[0:3], 0 offset:596
	;; [unrolled: 1-line block ×92, first 2 shown]
	s_waitcnt vmcnt(62) lgkmcnt(3)
	v_mul_f64 v[88:89], v[14:15], v[28:29]
	v_fmac_f64_e32 v[88:89], v[16:17], v[22:23]
	s_waitcnt lgkmcnt(2)
	v_mul_f64 v[90:91], v[10:11], v[30:31]
	v_add_f64 v[88:89], v[88:89], 0
	v_fmac_f64_e32 v[90:91], v[12:13], v[24:25]
	v_add_f64 v[88:89], v[88:89], v[90:91]
	s_waitcnt lgkmcnt(1)
	v_mul_f64 v[90:91], v[6:7], v[32:33]
	v_fmac_f64_e32 v[90:91], v[8:9], v[26:27]
	v_add_f64 v[92:93], v[88:89], v[90:91]
	ds_read_b128 v[88:91], v86 offset:1600
	v_mul_f64 v[16:17], v[16:17], v[28:29]
	v_fma_f64 v[14:15], v[14:15], v[22:23], -v[16:17]
	s_waitcnt lgkmcnt(1)
	v_mul_f64 v[94:95], v[2:3], v[38:39]
	v_mul_f64 v[12:13], v[12:13], v[30:31]
	v_fmac_f64_e32 v[94:95], v[4:5], v[40:41]
	v_add_f64 v[96:97], v[92:93], v[94:95]
	ds_read_b128 v[92:95], v86 offset:1616
	s_waitcnt lgkmcnt(1)
	v_mul_f64 v[98:99], v[88:89], v[34:35]
	v_fmac_f64_e32 v[98:99], v[90:91], v[36:37]
	v_add_f64 v[100:101], v[96:97], v[98:99]
	ds_read_b128 v[96:99], v86 offset:1632
	s_waitcnt lgkmcnt(1)
	v_mul_f64 v[102:103], v[92:93], v[46:47]
	s_waitcnt vmcnt(60)
	v_fmac_f64_e32 v[102:103], v[94:95], v[48:49]
	v_add_f64 v[104:105], v[100:101], v[102:103]
	ds_read_b128 v[100:103], v86 offset:1648
	s_waitcnt lgkmcnt(1)
	v_mul_f64 v[106:107], v[96:97], v[42:43]
	v_fmac_f64_e32 v[106:107], v[98:99], v[44:45]
	v_add_f64 v[108:109], v[104:105], v[106:107]
	ds_read_b128 v[104:107], v86 offset:1664
	s_waitcnt vmcnt(54) lgkmcnt(1)
	v_mul_f64 v[110:111], v[100:101], v[54:55]
	s_waitcnt vmcnt(52)
	v_fmac_f64_e32 v[110:111], v[102:103], v[56:57]
	v_add_f64 v[112:113], v[108:109], v[110:111]
	ds_read_b128 v[108:111], v86 offset:1680
	s_waitcnt lgkmcnt(1)
	v_mul_f64 v[114:115], v[104:105], v[50:51]
	v_fmac_f64_e32 v[114:115], v[106:107], v[52:53]
	v_add_f64 v[120:121], v[112:113], v[114:115]
	ds_read_b128 v[112:115], v86 offset:1696
	s_waitcnt vmcnt(46) lgkmcnt(1)
	v_mul_f64 v[122:123], v[108:109], v[62:63]
	s_waitcnt vmcnt(44)
	v_fmac_f64_e32 v[122:123], v[110:111], v[64:65]
	v_add_f64 v[124:125], v[120:121], v[122:123]
	ds_read_b128 v[120:123], v86 offset:1712
	s_waitcnt lgkmcnt(1)
	v_mul_f64 v[126:127], v[112:113], v[58:59]
	v_fmac_f64_e32 v[126:127], v[114:115], v[60:61]
	v_add_f64 v[14:15], v[14:15], 0
	v_fma_f64 v[10:11], v[10:11], v[24:25], -v[12:13]
	v_mul_f64 v[8:9], v[8:9], v[32:33]
	v_add_f64 v[128:129], v[124:125], v[126:127]
	ds_read_b128 v[124:127], v86 offset:1728
	v_add_f64 v[10:11], v[14:15], v[10:11]
	v_fma_f64 v[6:7], v[6:7], v[26:27], -v[8:9]
	v_mul_f64 v[4:5], v[4:5], v[38:39]
	v_add_f64 v[6:7], v[10:11], v[6:7]
	v_fma_f64 v[2:3], v[2:3], v[40:41], -v[4:5]
	v_mul_f64 v[4:5], v[90:91], v[34:35]
	v_add_f64 v[2:3], v[6:7], v[2:3]
	v_fma_f64 v[4:5], v[88:89], v[36:37], -v[4:5]
	s_waitcnt vmcnt(38) lgkmcnt(1)
	v_mul_f64 v[130:131], v[120:121], v[70:71]
	v_add_f64 v[2:3], v[2:3], v[4:5]
	v_mul_f64 v[4:5], v[94:95], v[46:47]
	s_waitcnt vmcnt(36)
	v_fmac_f64_e32 v[130:131], v[122:123], v[72:73]
	v_fma_f64 v[4:5], v[92:93], v[48:49], -v[4:5]
	v_add_f64 v[132:133], v[128:129], v[130:131]
	ds_read_b128 v[128:131], v86 offset:1744
	s_waitcnt lgkmcnt(1)
	v_mul_f64 v[134:135], v[124:125], v[66:67]
	v_add_f64 v[2:3], v[2:3], v[4:5]
	v_mul_f64 v[4:5], v[98:99], v[42:43]
	v_fmac_f64_e32 v[134:135], v[126:127], v[68:69]
	v_fma_f64 v[4:5], v[96:97], v[44:45], -v[4:5]
	v_add_f64 v[136:137], v[132:133], v[134:135]
	ds_read_b128 v[132:135], v86 offset:1760
	v_add_f64 v[2:3], v[2:3], v[4:5]
	v_mul_f64 v[4:5], v[102:103], v[54:55]
	v_fma_f64 v[4:5], v[100:101], v[56:57], -v[4:5]
	v_add_f64 v[2:3], v[2:3], v[4:5]
	v_mul_f64 v[4:5], v[106:107], v[50:51]
	s_waitcnt vmcnt(30) lgkmcnt(1)
	v_mul_f64 v[138:139], v[128:129], v[78:79]
	v_fma_f64 v[4:5], v[104:105], v[52:53], -v[4:5]
	s_waitcnt vmcnt(28)
	v_fmac_f64_e32 v[138:139], v[130:131], v[80:81]
	v_add_f64 v[2:3], v[2:3], v[4:5]
	v_mul_f64 v[4:5], v[110:111], v[62:63]
	v_add_f64 v[140:141], v[136:137], v[138:139]
	ds_read_b128 v[136:139], v86 offset:1776
	s_waitcnt lgkmcnt(1)
	v_mul_f64 v[142:143], v[132:133], v[74:75]
	v_fma_f64 v[4:5], v[108:109], v[64:65], -v[4:5]
	v_fmac_f64_e32 v[142:143], v[134:135], v[76:77]
	v_add_f64 v[2:3], v[2:3], v[4:5]
	v_mul_f64 v[4:5], v[114:115], v[58:59]
	v_add_f64 v[144:145], v[140:141], v[142:143]
	ds_read_b128 v[140:143], v86 offset:1792
	v_fma_f64 v[4:5], v[112:113], v[60:61], -v[4:5]
	v_add_f64 v[2:3], v[2:3], v[4:5]
	v_mul_f64 v[4:5], v[122:123], v[70:71]
	v_fma_f64 v[4:5], v[120:121], v[72:73], -v[4:5]
	s_waitcnt vmcnt(22) lgkmcnt(1)
	v_mul_f64 v[146:147], v[136:137], v[116:117]
	v_add_f64 v[2:3], v[2:3], v[4:5]
	v_mul_f64 v[4:5], v[126:127], v[66:67]
	s_waitcnt vmcnt(20)
	v_fmac_f64_e32 v[146:147], v[138:139], v[118:119]
	v_fma_f64 v[4:5], v[124:125], v[68:69], -v[4:5]
	v_add_f64 v[148:149], v[144:145], v[146:147]
	ds_read_b128 v[144:147], v86 offset:1808
	s_waitcnt lgkmcnt(1)
	v_mul_f64 v[150:151], v[140:141], v[82:83]
	v_add_f64 v[2:3], v[2:3], v[4:5]
	v_mul_f64 v[4:5], v[130:131], v[78:79]
	v_fmac_f64_e32 v[150:151], v[142:143], v[84:85]
	v_fma_f64 v[4:5], v[128:129], v[80:81], -v[4:5]
	v_add_f64 v[152:153], v[148:149], v[150:151]
	ds_read_b128 v[148:151], v86 offset:1824
	v_add_f64 v[2:3], v[2:3], v[4:5]
	v_mul_f64 v[4:5], v[134:135], v[74:75]
	v_fma_f64 v[4:5], v[132:133], v[76:77], -v[4:5]
	v_add_f64 v[2:3], v[2:3], v[4:5]
	v_mul_f64 v[4:5], v[138:139], v[116:117]
	s_waitcnt vmcnt(14) lgkmcnt(1)
	v_mul_f64 v[154:155], v[144:145], v[168:169]
	v_fma_f64 v[4:5], v[136:137], v[118:119], -v[4:5]
	s_waitcnt vmcnt(12)
	v_fmac_f64_e32 v[154:155], v[146:147], v[170:171]
	v_add_f64 v[2:3], v[2:3], v[4:5]
	v_mul_f64 v[4:5], v[142:143], v[82:83]
	v_add_f64 v[156:157], v[152:153], v[154:155]
	ds_read_b128 v[152:155], v86 offset:1840
	s_waitcnt lgkmcnt(1)
	v_mul_f64 v[158:159], v[148:149], v[164:165]
	v_fma_f64 v[4:5], v[140:141], v[84:85], -v[4:5]
	v_fmac_f64_e32 v[158:159], v[150:151], v[166:167]
	v_add_f64 v[2:3], v[2:3], v[4:5]
	v_mul_f64 v[4:5], v[146:147], v[168:169]
	v_add_f64 v[184:185], v[156:157], v[158:159]
	ds_read_b128 v[156:159], v86 offset:1856
	ds_read_b128 v[160:163], v86 offset:1872
	v_fma_f64 v[4:5], v[144:145], v[170:171], -v[4:5]
	v_add_f64 v[2:3], v[2:3], v[4:5]
	v_mul_f64 v[4:5], v[150:151], v[164:165]
	v_fma_f64 v[4:5], v[148:149], v[166:167], -v[4:5]
	v_add_f64 v[2:3], v[2:3], v[4:5]
	s_waitcnt vmcnt(6) lgkmcnt(2)
	v_mul_f64 v[4:5], v[154:155], v[176:177]
	v_mul_f64 v[186:187], v[152:153], v[176:177]
	s_waitcnt vmcnt(4)
	v_fma_f64 v[4:5], v[152:153], v[178:179], -v[4:5]
	v_fmac_f64_e32 v[186:187], v[154:155], v[178:179]
	v_add_f64 v[2:3], v[2:3], v[4:5]
	s_waitcnt lgkmcnt(1)
	v_mul_f64 v[4:5], v[158:159], v[172:173]
	v_add_f64 v[86:87], v[184:185], v[186:187]
	v_mul_f64 v[184:185], v[156:157], v[172:173]
	v_fma_f64 v[4:5], v[156:157], v[174:175], -v[4:5]
	v_fmac_f64_e32 v[184:185], v[158:159], v[174:175]
	v_add_f64 v[2:3], v[2:3], v[4:5]
	s_waitcnt vmcnt(2) lgkmcnt(0)
	v_mul_f64 v[4:5], v[162:163], v[180:181]
	v_add_f64 v[86:87], v[86:87], v[184:185]
	v_mul_f64 v[184:185], v[160:161], v[180:181]
	s_waitcnt vmcnt(0)
	v_fma_f64 v[4:5], v[160:161], v[182:183], -v[4:5]
	v_fmac_f64_e32 v[184:185], v[162:163], v[182:183]
	v_add_f64 v[2:3], v[2:3], v[4:5]
	v_add_f64 v[86:87], v[86:87], v[184:185]
	v_add_f64 v[2:3], v[20:21], -v[2:3]
	v_cmp_lt_u32_e32 vcc, 35, v228
	v_add_f64 v[4:5], v[18:19], -v[86:87]
	buffer_store_dword v3, off, s[0:3], 0 offset:596
	buffer_store_dword v2, off, s[0:3], 0 offset:592
	;; [unrolled: 1-line block ×4, first 2 shown]
	s_and_saveexec_b64 s[4:5], vcc
	s_cbranch_execz .LBB122_297
; %bb.296:
	v_accvgpr_read_b32 v0, a141
	buffer_load_dword v2, v0, s[0:3], 0 offen
	buffer_load_dword v3, v0, s[0:3], 0 offen offset:4
	buffer_load_dword v4, v0, s[0:3], 0 offen offset:8
	;; [unrolled: 1-line block ×3, first 2 shown]
	v_mov_b32_e32 v0, 0
	v_accvgpr_read_b32 v1, a177
	buffer_store_dword v0, off, s[0:3], 0 offset:576
	buffer_store_dword v0, off, s[0:3], 0 offset:580
	;; [unrolled: 1-line block ×4, first 2 shown]
	s_waitcnt vmcnt(4)
	ds_write_b128 v1, v[2:5]
.LBB122_297:
	s_or_b64 exec, exec, s[4:5]
	s_waitcnt lgkmcnt(0)
	; wave barrier
	s_waitcnt lgkmcnt(0)
	buffer_load_dword v9, off, s[0:3], 0 offset:604
	buffer_load_dword v6, off, s[0:3], 0 offset:616
	buffer_load_dword v7, off, s[0:3], 0 offset:620
	buffer_load_dword v8, off, s[0:3], 0 offset:600
	buffer_load_dword v10, off, s[0:3], 0 offset:592
	buffer_load_dword v11, off, s[0:3], 0 offset:596
	buffer_load_dword v4, off, s[0:3], 0 offset:576
	buffer_load_dword v5, off, s[0:3], 0 offset:580
	buffer_load_dword v2, off, s[0:3], 0 offset:584
	buffer_load_dword v3, off, s[0:3], 0 offset:588
	buffer_load_dword v14, off, s[0:3], 0 offset:608
	buffer_load_dword v12, off, s[0:3], 0 offset:624
	buffer_load_dword v13, off, s[0:3], 0 offset:628
	buffer_load_dword v16, off, s[0:3], 0 offset:632
	buffer_load_dword v17, off, s[0:3], 0 offset:636
	buffer_load_dword v15, off, s[0:3], 0 offset:612
	buffer_load_dword v19, off, s[0:3], 0 offset:668
	buffer_load_dword v18, off, s[0:3], 0 offset:664
	buffer_load_dword v21, off, s[0:3], 0 offset:660
	buffer_load_dword v20, off, s[0:3], 0 offset:656
	buffer_load_dword v23, off, s[0:3], 0 offset:652
	buffer_load_dword v22, off, s[0:3], 0 offset:648
	buffer_load_dword v25, off, s[0:3], 0 offset:644
	buffer_load_dword v24, off, s[0:3], 0 offset:640
	buffer_load_dword v27, off, s[0:3], 0 offset:700
	buffer_load_dword v26, off, s[0:3], 0 offset:696
	buffer_load_dword v29, off, s[0:3], 0 offset:692
	buffer_load_dword v28, off, s[0:3], 0 offset:688
	buffer_load_dword v31, off, s[0:3], 0 offset:684
	buffer_load_dword v30, off, s[0:3], 0 offset:680
	buffer_load_dword v33, off, s[0:3], 0 offset:676
	buffer_load_dword v32, off, s[0:3], 0 offset:672
	buffer_load_dword v35, off, s[0:3], 0 offset:732
	buffer_load_dword v34, off, s[0:3], 0 offset:728
	buffer_load_dword v37, off, s[0:3], 0 offset:724
	buffer_load_dword v36, off, s[0:3], 0 offset:720
	buffer_load_dword v39, off, s[0:3], 0 offset:716
	buffer_load_dword v38, off, s[0:3], 0 offset:712
	buffer_load_dword v41, off, s[0:3], 0 offset:708
	buffer_load_dword v40, off, s[0:3], 0 offset:704
	buffer_load_dword v43, off, s[0:3], 0 offset:764
	buffer_load_dword v42, off, s[0:3], 0 offset:760
	buffer_load_dword v45, off, s[0:3], 0 offset:756
	buffer_load_dword v44, off, s[0:3], 0 offset:752
	buffer_load_dword v47, off, s[0:3], 0 offset:748
	buffer_load_dword v46, off, s[0:3], 0 offset:744
	buffer_load_dword v49, off, s[0:3], 0 offset:740
	buffer_load_dword v48, off, s[0:3], 0 offset:736
	buffer_load_dword v51, off, s[0:3], 0 offset:796
	buffer_load_dword v50, off, s[0:3], 0 offset:792
	buffer_load_dword v53, off, s[0:3], 0 offset:788
	buffer_load_dword v52, off, s[0:3], 0 offset:784
	buffer_load_dword v55, off, s[0:3], 0 offset:780
	buffer_load_dword v54, off, s[0:3], 0 offset:776
	buffer_load_dword v57, off, s[0:3], 0 offset:772
	buffer_load_dword v56, off, s[0:3], 0 offset:768
	buffer_load_dword v59, off, s[0:3], 0 offset:828
	buffer_load_dword v58, off, s[0:3], 0 offset:824
	buffer_load_dword v61, off, s[0:3], 0 offset:820
	buffer_load_dword v60, off, s[0:3], 0 offset:816
	buffer_load_dword v63, off, s[0:3], 0 offset:812
	buffer_load_dword v62, off, s[0:3], 0 offset:808
	buffer_load_dword v65, off, s[0:3], 0 offset:804
	buffer_load_dword v64, off, s[0:3], 0 offset:800
	v_mov_b32_e32 v98, 0
	ds_read_b128 v[74:77], v98 offset:1520
	ds_read_b128 v[78:81], v98 offset:1536
	buffer_load_dword v67, off, s[0:3], 0 offset:860
	buffer_load_dword v66, off, s[0:3], 0 offset:856
	;; [unrolled: 1-line block ×8, first 2 shown]
	ds_read_b128 v[82:85], v98 offset:1552
	ds_read_b128 v[86:89], v98 offset:1568
	buffer_load_dword v117, off, s[0:3], 0 offset:892
	buffer_load_dword v116, off, s[0:3], 0 offset:888
	;; [unrolled: 1-line block ×24, first 2 shown]
	ds_read_b128 v[168:171], v98 offset:1872
	v_cmp_lt_u32_e32 vcc, 34, v228
	s_waitcnt vmcnt(62) lgkmcnt(1)
	v_mul_f64 v[96:97], v[86:87], v[22:23]
	v_fmac_f64_e32 v[96:97], v[88:89], v[24:25]
	v_mul_f64 v[92:93], v[78:79], v[6:7]
	v_mul_f64 v[90:91], v[74:75], v[8:9]
	;; [unrolled: 1-line block ×3, first 2 shown]
	v_fmac_f64_e32 v[90:91], v[76:77], v[10:11]
	v_add_f64 v[90:91], v[90:91], 0
	v_fma_f64 v[8:9], v[74:75], v[10:11], -v[8:9]
	v_mul_f64 v[6:7], v[80:81], v[6:7]
	v_add_f64 v[8:9], v[8:9], 0
	v_fmac_f64_e32 v[92:93], v[80:81], v[14:15]
	v_add_f64 v[90:91], v[90:91], v[92:93]
	v_mul_f64 v[92:93], v[82:83], v[16:17]
	v_fmac_f64_e32 v[92:93], v[84:85], v[12:13]
	v_add_f64 v[94:95], v[90:91], v[92:93]
	ds_read_b128 v[90:93], v98 offset:1584
	v_add_f64 v[100:101], v[94:95], v[96:97]
	ds_read_b128 v[94:97], v98 offset:1600
	v_fma_f64 v[6:7], v[78:79], v[14:15], -v[6:7]
	v_add_f64 v[6:7], v[8:9], v[6:7]
	s_waitcnt lgkmcnt(1)
	v_mul_f64 v[102:103], v[90:91], v[18:19]
	v_fmac_f64_e32 v[102:103], v[92:93], v[20:21]
	v_add_f64 v[104:105], v[100:101], v[102:103]
	ds_read_b128 v[100:103], v98 offset:1616
	s_waitcnt lgkmcnt(1)
	v_mul_f64 v[106:107], v[94:95], v[30:31]
	v_fmac_f64_e32 v[106:107], v[96:97], v[32:33]
	v_add_f64 v[108:109], v[104:105], v[106:107]
	ds_read_b128 v[104:107], v98 offset:1632
	;; [unrolled: 5-line block ×3, first 2 shown]
	s_waitcnt vmcnt(58) lgkmcnt(1)
	v_mul_f64 v[114:115], v[104:105], v[38:39]
	s_waitcnt vmcnt(56)
	v_fmac_f64_e32 v[114:115], v[106:107], v[40:41]
	v_add_f64 v[120:121], v[112:113], v[114:115]
	ds_read_b128 v[112:115], v98 offset:1664
	s_waitcnt lgkmcnt(1)
	v_mul_f64 v[122:123], v[108:109], v[34:35]
	v_fmac_f64_e32 v[122:123], v[110:111], v[36:37]
	v_add_f64 v[124:125], v[120:121], v[122:123]
	ds_read_b128 v[120:123], v98 offset:1680
	s_waitcnt vmcnt(50) lgkmcnt(1)
	v_mul_f64 v[126:127], v[112:113], v[46:47]
	s_waitcnt vmcnt(48)
	v_fmac_f64_e32 v[126:127], v[114:115], v[48:49]
	v_add_f64 v[128:129], v[124:125], v[126:127]
	ds_read_b128 v[124:127], v98 offset:1696
	v_mul_f64 v[8:9], v[84:85], v[16:17]
	s_waitcnt lgkmcnt(1)
	v_mul_f64 v[130:131], v[120:121], v[42:43]
	v_fma_f64 v[8:9], v[82:83], v[12:13], -v[8:9]
	v_fmac_f64_e32 v[130:131], v[122:123], v[44:45]
	v_add_f64 v[6:7], v[6:7], v[8:9]
	v_mul_f64 v[8:9], v[88:89], v[22:23]
	v_add_f64 v[132:133], v[128:129], v[130:131]
	ds_read_b128 v[128:131], v98 offset:1712
	s_waitcnt vmcnt(42) lgkmcnt(1)
	v_mul_f64 v[134:135], v[124:125], v[54:55]
	v_fma_f64 v[8:9], v[86:87], v[24:25], -v[8:9]
	s_waitcnt vmcnt(40)
	v_fmac_f64_e32 v[134:135], v[126:127], v[56:57]
	v_add_f64 v[6:7], v[6:7], v[8:9]
	v_mul_f64 v[8:9], v[92:93], v[18:19]
	v_add_f64 v[136:137], v[132:133], v[134:135]
	ds_read_b128 v[132:135], v98 offset:1728
	v_fma_f64 v[8:9], v[90:91], v[20:21], -v[8:9]
	v_add_f64 v[6:7], v[6:7], v[8:9]
	v_mul_f64 v[8:9], v[96:97], v[30:31]
	v_fma_f64 v[8:9], v[94:95], v[32:33], -v[8:9]
	s_waitcnt lgkmcnt(1)
	v_mul_f64 v[138:139], v[128:129], v[50:51]
	v_add_f64 v[6:7], v[6:7], v[8:9]
	v_mul_f64 v[8:9], v[102:103], v[26:27]
	v_fmac_f64_e32 v[138:139], v[130:131], v[52:53]
	v_fma_f64 v[8:9], v[100:101], v[28:29], -v[8:9]
	v_add_f64 v[140:141], v[136:137], v[138:139]
	ds_read_b128 v[136:139], v98 offset:1744
	s_waitcnt vmcnt(34) lgkmcnt(1)
	v_mul_f64 v[142:143], v[132:133], v[62:63]
	v_add_f64 v[6:7], v[6:7], v[8:9]
	v_mul_f64 v[8:9], v[106:107], v[38:39]
	s_waitcnt vmcnt(32)
	v_fmac_f64_e32 v[142:143], v[134:135], v[64:65]
	v_fma_f64 v[8:9], v[104:105], v[40:41], -v[8:9]
	v_add_f64 v[144:145], v[140:141], v[142:143]
	ds_read_b128 v[140:143], v98 offset:1760
	v_add_f64 v[6:7], v[6:7], v[8:9]
	v_mul_f64 v[8:9], v[110:111], v[34:35]
	v_fma_f64 v[8:9], v[108:109], v[36:37], -v[8:9]
	v_add_f64 v[6:7], v[6:7], v[8:9]
	v_mul_f64 v[8:9], v[114:115], v[46:47]
	s_waitcnt lgkmcnt(1)
	v_mul_f64 v[146:147], v[136:137], v[58:59]
	v_fma_f64 v[8:9], v[112:113], v[48:49], -v[8:9]
	v_fmac_f64_e32 v[146:147], v[138:139], v[60:61]
	v_add_f64 v[6:7], v[6:7], v[8:9]
	v_mul_f64 v[8:9], v[122:123], v[42:43]
	v_add_f64 v[148:149], v[144:145], v[146:147]
	ds_read_b128 v[144:147], v98 offset:1776
	s_waitcnt vmcnt(26) lgkmcnt(1)
	v_mul_f64 v[150:151], v[140:141], v[70:71]
	v_fma_f64 v[8:9], v[120:121], v[44:45], -v[8:9]
	s_waitcnt vmcnt(24)
	v_fmac_f64_e32 v[150:151], v[142:143], v[72:73]
	v_add_f64 v[6:7], v[6:7], v[8:9]
	v_mul_f64 v[8:9], v[126:127], v[54:55]
	v_add_f64 v[152:153], v[148:149], v[150:151]
	ds_read_b128 v[148:151], v98 offset:1792
	v_fma_f64 v[8:9], v[124:125], v[56:57], -v[8:9]
	v_add_f64 v[6:7], v[6:7], v[8:9]
	v_mul_f64 v[8:9], v[130:131], v[50:51]
	v_fma_f64 v[8:9], v[128:129], v[52:53], -v[8:9]
	s_waitcnt lgkmcnt(1)
	v_mul_f64 v[154:155], v[144:145], v[66:67]
	v_add_f64 v[6:7], v[6:7], v[8:9]
	v_mul_f64 v[8:9], v[134:135], v[62:63]
	v_fmac_f64_e32 v[154:155], v[146:147], v[68:69]
	v_fma_f64 v[8:9], v[132:133], v[64:65], -v[8:9]
	v_add_f64 v[156:157], v[152:153], v[154:155]
	ds_read_b128 v[152:155], v98 offset:1808
	s_waitcnt vmcnt(18) lgkmcnt(1)
	v_mul_f64 v[158:159], v[148:149], v[172:173]
	v_add_f64 v[6:7], v[6:7], v[8:9]
	v_mul_f64 v[8:9], v[138:139], v[58:59]
	s_waitcnt vmcnt(16)
	v_fmac_f64_e32 v[158:159], v[150:151], v[174:175]
	v_fma_f64 v[8:9], v[136:137], v[60:61], -v[8:9]
	v_add_f64 v[160:161], v[156:157], v[158:159]
	ds_read_b128 v[156:159], v98 offset:1824
	v_add_f64 v[6:7], v[6:7], v[8:9]
	v_mul_f64 v[8:9], v[142:143], v[70:71]
	v_fma_f64 v[8:9], v[140:141], v[72:73], -v[8:9]
	v_add_f64 v[6:7], v[6:7], v[8:9]
	v_mul_f64 v[8:9], v[146:147], v[66:67]
	s_waitcnt lgkmcnt(1)
	v_mul_f64 v[162:163], v[152:153], v[116:117]
	v_fma_f64 v[8:9], v[144:145], v[68:69], -v[8:9]
	v_fmac_f64_e32 v[162:163], v[154:155], v[118:119]
	v_add_f64 v[6:7], v[6:7], v[8:9]
	v_mul_f64 v[8:9], v[150:151], v[172:173]
	v_add_f64 v[164:165], v[160:161], v[162:163]
	ds_read_b128 v[160:163], v98 offset:1840
	s_waitcnt vmcnt(10) lgkmcnt(1)
	v_mul_f64 v[166:167], v[156:157], v[180:181]
	v_fma_f64 v[8:9], v[148:149], v[174:175], -v[8:9]
	s_waitcnt vmcnt(8)
	v_fmac_f64_e32 v[166:167], v[158:159], v[182:183]
	v_add_f64 v[6:7], v[6:7], v[8:9]
	v_mul_f64 v[8:9], v[154:155], v[116:117]
	v_add_f64 v[192:193], v[164:165], v[166:167]
	ds_read_b128 v[164:167], v98 offset:1856
	v_fma_f64 v[8:9], v[152:153], v[118:119], -v[8:9]
	v_add_f64 v[6:7], v[6:7], v[8:9]
	v_mul_f64 v[8:9], v[158:159], v[180:181]
	v_fma_f64 v[8:9], v[156:157], v[182:183], -v[8:9]
	v_add_f64 v[6:7], v[6:7], v[8:9]
	s_waitcnt lgkmcnt(1)
	v_mul_f64 v[8:9], v[162:163], v[176:177]
	v_mul_f64 v[194:195], v[160:161], v[176:177]
	v_fma_f64 v[8:9], v[160:161], v[178:179], -v[8:9]
	v_fmac_f64_e32 v[194:195], v[162:163], v[178:179]
	v_add_f64 v[6:7], v[6:7], v[8:9]
	s_waitcnt vmcnt(2) lgkmcnt(0)
	v_mul_f64 v[8:9], v[166:167], v[188:189]
	v_add_f64 v[192:193], v[192:193], v[194:195]
	v_mul_f64 v[194:195], v[164:165], v[188:189]
	s_waitcnt vmcnt(0)
	v_fma_f64 v[8:9], v[164:165], v[190:191], -v[8:9]
	v_fmac_f64_e32 v[194:195], v[166:167], v[190:191]
	v_add_f64 v[6:7], v[6:7], v[8:9]
	v_mul_f64 v[8:9], v[170:171], v[184:185]
	v_add_f64 v[192:193], v[192:193], v[194:195]
	v_mul_f64 v[194:195], v[168:169], v[184:185]
	v_fma_f64 v[8:9], v[168:169], v[186:187], -v[8:9]
	v_fmac_f64_e32 v[194:195], v[170:171], v[186:187]
	v_add_f64 v[6:7], v[6:7], v[8:9]
	v_add_f64 v[192:193], v[192:193], v[194:195]
	v_add_f64 v[4:5], v[4:5], -v[6:7]
	v_add_f64 v[2:3], v[2:3], -v[192:193]
	buffer_store_dword v5, off, s[0:3], 0 offset:580
	buffer_store_dword v4, off, s[0:3], 0 offset:576
	;; [unrolled: 1-line block ×4, first 2 shown]
	s_and_saveexec_b64 s[4:5], vcc
	s_cbranch_execz .LBB122_299
; %bb.298:
	v_accvgpr_read_b32 v0, a142
	buffer_load_dword v2, v0, s[0:3], 0 offen
	buffer_load_dword v3, v0, s[0:3], 0 offen offset:4
	buffer_load_dword v4, v0, s[0:3], 0 offen offset:8
	;; [unrolled: 1-line block ×3, first 2 shown]
	v_accvgpr_read_b32 v0, a177
	buffer_store_dword v98, off, s[0:3], 0 offset:560
	buffer_store_dword v98, off, s[0:3], 0 offset:564
	;; [unrolled: 1-line block ×4, first 2 shown]
	s_waitcnt vmcnt(4)
	ds_write_b128 v0, v[2:5]
.LBB122_299:
	s_or_b64 exec, exec, s[4:5]
	s_waitcnt lgkmcnt(0)
	; wave barrier
	s_waitcnt lgkmcnt(0)
	buffer_load_dword v22, off, s[0:3], 0 offset:576
	buffer_load_dword v23, off, s[0:3], 0 offset:580
	;; [unrolled: 1-line block ×16, first 2 shown]
	ds_read_b128 v[2:5], v98 offset:1504
	ds_read_b128 v[6:9], v98 offset:1520
	;; [unrolled: 1-line block ×4, first 2 shown]
	buffer_load_dword v35, off, s[0:3], 0 offset:652
	buffer_load_dword v34, off, s[0:3], 0 offset:648
	;; [unrolled: 1-line block ×48, first 2 shown]
	v_cmp_lt_u32_e32 vcc, 33, v228
	s_waitcnt vmcnt(42) lgkmcnt(0)
	v_mul_f64 v[106:107], v[14:15], v[38:39]
	s_waitcnt vmcnt(40)
	v_fmac_f64_e32 v[106:107], v[16:17], v[40:41]
	v_mul_f64 v[82:83], v[2:3], v[24:25]
	v_fmac_f64_e32 v[82:83], v[4:5], v[22:23]
	v_add_f64 v[82:83], v[82:83], 0
	v_mul_f64 v[4:5], v[4:5], v[24:25]
	v_mul_f64 v[84:85], v[6:7], v[32:33]
	v_fma_f64 v[2:3], v[2:3], v[22:23], -v[4:5]
	v_mul_f64 v[100:101], v[10:11], v[26:27]
	v_fmac_f64_e32 v[100:101], v[12:13], v[30:31]
	v_fmac_f64_e32 v[84:85], v[8:9], v[28:29]
	v_add_f64 v[102:103], v[82:83], v[84:85]
	buffer_load_dword v83, off, s[0:3], 0 offset:844
	buffer_load_dword v82, off, s[0:3], 0 offset:840
	;; [unrolled: 1-line block ×32, first 2 shown]
	v_add_f64 v[104:105], v[102:103], v[100:101]
	ds_read_b128 v[100:103], v98 offset:1568
	buffer_load_dword v197, off, s[0:3], 0 offset:956
	buffer_load_dword v196, off, s[0:3], 0 offset:952
	;; [unrolled: 1-line block ×4, first 2 shown]
	v_add_f64 v[108:109], v[104:105], v[106:107]
	ds_read_b128 v[104:107], v98 offset:1584
	v_mul_f64 v[4:5], v[8:9], v[32:33]
	s_waitcnt lgkmcnt(1)
	v_mul_f64 v[110:111], v[100:101], v[34:35]
	v_fmac_f64_e32 v[110:111], v[102:103], v[36:37]
	v_add_f64 v[112:113], v[108:109], v[110:111]
	ds_read_b128 v[108:111], v98 offset:1600
	s_waitcnt vmcnt(62) lgkmcnt(1)
	v_mul_f64 v[114:115], v[104:105], v[46:47]
	v_fmac_f64_e32 v[114:115], v[106:107], v[48:49]
	v_add_f64 v[120:121], v[112:113], v[114:115]
	ds_read_b128 v[112:115], v98 offset:1616
	s_waitcnt lgkmcnt(1)
	v_mul_f64 v[122:123], v[108:109], v[42:43]
	v_fmac_f64_e32 v[122:123], v[110:111], v[44:45]
	v_add_f64 v[124:125], v[120:121], v[122:123]
	ds_read_b128 v[120:123], v98 offset:1632
	s_waitcnt lgkmcnt(1)
	v_mul_f64 v[126:127], v[112:113], v[54:55]
	s_waitcnt vmcnt(60)
	v_fmac_f64_e32 v[126:127], v[114:115], v[56:57]
	v_add_f64 v[128:129], v[124:125], v[126:127]
	ds_read_b128 v[124:127], v98 offset:1648
	s_waitcnt lgkmcnt(1)
	v_mul_f64 v[130:131], v[120:121], v[50:51]
	v_fmac_f64_e32 v[130:131], v[122:123], v[52:53]
	v_add_f64 v[132:133], v[128:129], v[130:131]
	ds_read_b128 v[128:131], v98 offset:1664
	s_waitcnt vmcnt(54) lgkmcnt(1)
	v_mul_f64 v[134:135], v[124:125], v[62:63]
	s_waitcnt vmcnt(52)
	v_fmac_f64_e32 v[134:135], v[126:127], v[64:65]
	v_add_f64 v[136:137], v[132:133], v[134:135]
	ds_read_b128 v[132:135], v98 offset:1680
	s_waitcnt lgkmcnt(1)
	v_mul_f64 v[138:139], v[128:129], v[58:59]
	v_fmac_f64_e32 v[138:139], v[130:131], v[60:61]
	v_add_f64 v[2:3], v[2:3], 0
	v_fma_f64 v[4:5], v[6:7], v[28:29], -v[4:5]
	v_add_f64 v[140:141], v[136:137], v[138:139]
	ds_read_b128 v[136:139], v98 offset:1696
	v_add_f64 v[2:3], v[2:3], v[4:5]
	v_mul_f64 v[4:5], v[12:13], v[26:27]
	v_fma_f64 v[4:5], v[10:11], v[30:31], -v[4:5]
	v_add_f64 v[2:3], v[2:3], v[4:5]
	v_mul_f64 v[4:5], v[16:17], v[38:39]
	s_waitcnt vmcnt(46) lgkmcnt(1)
	v_mul_f64 v[142:143], v[132:133], v[70:71]
	v_fma_f64 v[4:5], v[14:15], v[40:41], -v[4:5]
	s_waitcnt vmcnt(44)
	v_fmac_f64_e32 v[142:143], v[134:135], v[72:73]
	v_add_f64 v[2:3], v[2:3], v[4:5]
	v_mul_f64 v[4:5], v[102:103], v[34:35]
	v_add_f64 v[144:145], v[140:141], v[142:143]
	ds_read_b128 v[140:143], v98 offset:1712
	s_waitcnt lgkmcnt(1)
	v_mul_f64 v[146:147], v[136:137], v[66:67]
	v_fma_f64 v[4:5], v[100:101], v[36:37], -v[4:5]
	v_fmac_f64_e32 v[146:147], v[138:139], v[68:69]
	v_add_f64 v[2:3], v[2:3], v[4:5]
	v_mul_f64 v[4:5], v[106:107], v[46:47]
	v_add_f64 v[148:149], v[144:145], v[146:147]
	ds_read_b128 v[144:147], v98 offset:1728
	v_fma_f64 v[4:5], v[104:105], v[48:49], -v[4:5]
	v_add_f64 v[2:3], v[2:3], v[4:5]
	v_mul_f64 v[4:5], v[110:111], v[42:43]
	v_fma_f64 v[4:5], v[108:109], v[44:45], -v[4:5]
	s_waitcnt vmcnt(38) lgkmcnt(1)
	v_mul_f64 v[150:151], v[140:141], v[78:79]
	v_add_f64 v[2:3], v[2:3], v[4:5]
	v_mul_f64 v[4:5], v[114:115], v[54:55]
	s_waitcnt vmcnt(36)
	v_fmac_f64_e32 v[150:151], v[142:143], v[80:81]
	v_fma_f64 v[4:5], v[112:113], v[56:57], -v[4:5]
	v_add_f64 v[152:153], v[148:149], v[150:151]
	ds_read_b128 v[148:151], v98 offset:1744
	s_waitcnt lgkmcnt(1)
	v_mul_f64 v[154:155], v[144:145], v[74:75]
	v_add_f64 v[2:3], v[2:3], v[4:5]
	v_mul_f64 v[4:5], v[122:123], v[50:51]
	v_fmac_f64_e32 v[154:155], v[146:147], v[76:77]
	v_fma_f64 v[4:5], v[120:121], v[52:53], -v[4:5]
	v_add_f64 v[156:157], v[152:153], v[154:155]
	ds_read_b128 v[152:155], v98 offset:1760
	v_add_f64 v[2:3], v[2:3], v[4:5]
	v_mul_f64 v[4:5], v[126:127], v[62:63]
	v_fma_f64 v[4:5], v[124:125], v[64:65], -v[4:5]
	v_add_f64 v[2:3], v[2:3], v[4:5]
	v_mul_f64 v[4:5], v[130:131], v[58:59]
	s_waitcnt vmcnt(30) lgkmcnt(1)
	v_mul_f64 v[158:159], v[148:149], v[86:87]
	v_fma_f64 v[4:5], v[128:129], v[60:61], -v[4:5]
	s_waitcnt vmcnt(28)
	v_fmac_f64_e32 v[158:159], v[150:151], v[88:89]
	v_add_f64 v[2:3], v[2:3], v[4:5]
	v_mul_f64 v[4:5], v[134:135], v[70:71]
	v_add_f64 v[160:161], v[156:157], v[158:159]
	ds_read_b128 v[156:159], v98 offset:1776
	s_waitcnt lgkmcnt(1)
	v_mul_f64 v[162:163], v[152:153], v[82:83]
	v_fma_f64 v[4:5], v[132:133], v[72:73], -v[4:5]
	v_fmac_f64_e32 v[162:163], v[154:155], v[84:85]
	v_add_f64 v[2:3], v[2:3], v[4:5]
	v_mul_f64 v[4:5], v[138:139], v[66:67]
	v_add_f64 v[164:165], v[160:161], v[162:163]
	ds_read_b128 v[160:163], v98 offset:1792
	v_fma_f64 v[4:5], v[136:137], v[68:69], -v[4:5]
	v_add_f64 v[2:3], v[2:3], v[4:5]
	v_mul_f64 v[4:5], v[142:143], v[78:79]
	v_fma_f64 v[4:5], v[140:141], v[80:81], -v[4:5]
	s_waitcnt vmcnt(22) lgkmcnt(1)
	v_mul_f64 v[166:167], v[156:157], v[94:95]
	v_add_f64 v[2:3], v[2:3], v[4:5]
	v_mul_f64 v[4:5], v[146:147], v[74:75]
	s_waitcnt vmcnt(20)
	v_fmac_f64_e32 v[166:167], v[158:159], v[96:97]
	v_fma_f64 v[4:5], v[144:145], v[76:77], -v[4:5]
	v_add_f64 v[168:169], v[164:165], v[166:167]
	ds_read_b128 v[164:167], v98 offset:1808
	s_waitcnt lgkmcnt(1)
	v_mul_f64 v[170:171], v[160:161], v[90:91]
	v_add_f64 v[2:3], v[2:3], v[4:5]
	v_mul_f64 v[4:5], v[150:151], v[86:87]
	v_fmac_f64_e32 v[170:171], v[162:163], v[92:93]
	v_fma_f64 v[4:5], v[148:149], v[88:89], -v[4:5]
	v_add_f64 v[172:173], v[168:169], v[170:171]
	ds_read_b128 v[168:171], v98 offset:1824
	v_add_f64 v[2:3], v[2:3], v[4:5]
	v_mul_f64 v[4:5], v[154:155], v[82:83]
	v_fma_f64 v[4:5], v[152:153], v[84:85], -v[4:5]
	v_add_f64 v[2:3], v[2:3], v[4:5]
	v_mul_f64 v[4:5], v[158:159], v[94:95]
	s_waitcnt vmcnt(14) lgkmcnt(1)
	v_mul_f64 v[174:175], v[164:165], v[184:185]
	v_fma_f64 v[4:5], v[156:157], v[96:97], -v[4:5]
	s_waitcnt vmcnt(12)
	v_fmac_f64_e32 v[174:175], v[166:167], v[186:187]
	v_add_f64 v[2:3], v[2:3], v[4:5]
	v_mul_f64 v[4:5], v[162:163], v[90:91]
	v_add_f64 v[176:177], v[172:173], v[174:175]
	ds_read_b128 v[172:175], v98 offset:1840
	s_waitcnt lgkmcnt(1)
	v_mul_f64 v[178:179], v[168:169], v[116:117]
	v_fma_f64 v[4:5], v[160:161], v[92:93], -v[4:5]
	v_fmac_f64_e32 v[178:179], v[170:171], v[118:119]
	v_add_f64 v[2:3], v[2:3], v[4:5]
	v_mul_f64 v[4:5], v[166:167], v[184:185]
	v_add_f64 v[200:201], v[176:177], v[178:179]
	ds_read_b128 v[176:179], v98 offset:1856
	v_fma_f64 v[4:5], v[164:165], v[186:187], -v[4:5]
	v_add_f64 v[2:3], v[2:3], v[4:5]
	v_mul_f64 v[4:5], v[170:171], v[116:117]
	ds_read_b128 v[180:183], v98 offset:1872
	v_fma_f64 v[4:5], v[168:169], v[118:119], -v[4:5]
	v_add_f64 v[2:3], v[2:3], v[4:5]
	s_waitcnt vmcnt(6) lgkmcnt(2)
	v_mul_f64 v[4:5], v[174:175], v[192:193]
	v_mul_f64 v[202:203], v[172:173], v[192:193]
	s_waitcnt vmcnt(4)
	v_fma_f64 v[4:5], v[172:173], v[194:195], -v[4:5]
	v_fmac_f64_e32 v[202:203], v[174:175], v[194:195]
	v_add_f64 v[2:3], v[2:3], v[4:5]
	s_waitcnt lgkmcnt(1)
	v_mul_f64 v[4:5], v[178:179], v[188:189]
	v_add_f64 v[98:99], v[200:201], v[202:203]
	v_mul_f64 v[200:201], v[176:177], v[188:189]
	v_fma_f64 v[4:5], v[176:177], v[190:191], -v[4:5]
	v_fmac_f64_e32 v[200:201], v[178:179], v[190:191]
	v_add_f64 v[2:3], v[2:3], v[4:5]
	s_waitcnt vmcnt(2) lgkmcnt(0)
	v_mul_f64 v[4:5], v[182:183], v[196:197]
	v_add_f64 v[98:99], v[98:99], v[200:201]
	v_mul_f64 v[200:201], v[180:181], v[196:197]
	s_waitcnt vmcnt(0)
	v_fma_f64 v[4:5], v[180:181], v[198:199], -v[4:5]
	v_fmac_f64_e32 v[200:201], v[182:183], v[198:199]
	v_add_f64 v[2:3], v[2:3], v[4:5]
	v_add_f64 v[98:99], v[98:99], v[200:201]
	v_add_f64 v[2:3], v[20:21], -v[2:3]
	v_add_f64 v[4:5], v[18:19], -v[98:99]
	buffer_store_dword v3, off, s[0:3], 0 offset:564
	buffer_store_dword v2, off, s[0:3], 0 offset:560
	;; [unrolled: 1-line block ×4, first 2 shown]
	s_and_saveexec_b64 s[4:5], vcc
	s_cbranch_execz .LBB122_301
; %bb.300:
	v_accvgpr_read_b32 v0, a143
	buffer_load_dword v2, v0, s[0:3], 0 offen
	buffer_load_dword v3, v0, s[0:3], 0 offen offset:4
	buffer_load_dword v4, v0, s[0:3], 0 offen offset:8
	;; [unrolled: 1-line block ×3, first 2 shown]
	v_mov_b32_e32 v0, 0
	v_accvgpr_read_b32 v1, a177
	buffer_store_dword v0, off, s[0:3], 0 offset:544
	buffer_store_dword v0, off, s[0:3], 0 offset:548
	buffer_store_dword v0, off, s[0:3], 0 offset:552
	buffer_store_dword v0, off, s[0:3], 0 offset:556
	s_waitcnt vmcnt(4)
	ds_write_b128 v1, v[2:5]
.LBB122_301:
	s_or_b64 exec, exec, s[4:5]
	s_waitcnt lgkmcnt(0)
	; wave barrier
	s_waitcnt lgkmcnt(0)
	buffer_load_dword v22, off, s[0:3], 0 offset:560
	buffer_load_dword v23, off, s[0:3], 0 offset:564
	;; [unrolled: 1-line block ×64, first 2 shown]
	v_mov_b32_e32 v114, 0
	ds_read_b128 v[18:21], v114 offset:1488
	ds_read_b128 v[14:17], v114 offset:1504
	ds_read_b128 v[10:13], v114 offset:1520
	ds_read_b128 v[6:9], v114 offset:1536
	ds_read_b128 v[2:5], v114 offset:1552
	v_cmp_lt_u32_e32 vcc, 32, v228
	s_waitcnt vmcnt(60) lgkmcnt(4)
	v_mul_f64 v[86:87], v[18:19], v[26:27]
	v_fmac_f64_e32 v[86:87], v[20:21], v[22:23]
	v_add_f64 v[86:87], v[86:87], 0
	v_mul_f64 v[20:21], v[20:21], v[26:27]
	s_waitcnt vmcnt(56) lgkmcnt(3)
	v_mul_f64 v[88:89], v[14:15], v[28:29]
	v_fmac_f64_e32 v[88:89], v[16:17], v[24:25]
	s_waitcnt vmcnt(54) lgkmcnt(2)
	v_mul_f64 v[90:91], v[10:11], v[30:31]
	v_add_f64 v[86:87], v[86:87], v[88:89]
	v_fma_f64 v[18:19], v[18:19], v[22:23], -v[20:21]
	v_mul_f64 v[16:17], v[16:17], v[28:29]
	s_waitcnt vmcnt(50) lgkmcnt(1)
	v_mul_f64 v[102:103], v[6:7], v[40:41]
	v_add_f64 v[18:19], v[18:19], 0
	s_waitcnt vmcnt(48)
	v_fmac_f64_e32 v[90:91], v[12:13], v[44:45]
	v_add_f64 v[104:105], v[86:87], v[90:91]
	buffer_load_dword v87, off, s[0:3], 0 offset:828
	buffer_load_dword v86, off, s[0:3], 0 offset:824
	;; [unrolled: 1-line block ×40, first 2 shown]
	s_waitcnt vmcnt(62)
	v_fmac_f64_e32 v[102:103], v[8:9], v[42:43]
	v_add_f64 v[106:107], v[104:105], v[102:103]
	ds_read_b128 v[102:105], v114 offset:1568
	s_waitcnt lgkmcnt(1)
	v_mul_f64 v[108:109], v[2:3], v[36:37]
	v_fmac_f64_e32 v[108:109], v[4:5], v[38:39]
	v_add_f64 v[110:111], v[106:107], v[108:109]
	ds_read_b128 v[106:109], v114 offset:1584
	s_waitcnt lgkmcnt(1)
	v_mul_f64 v[112:113], v[102:103], v[50:51]
	v_fmac_f64_e32 v[112:113], v[104:105], v[52:53]
	v_add_f64 v[120:121], v[110:111], v[112:113]
	ds_read_b128 v[110:113], v114 offset:1600
	s_waitcnt lgkmcnt(1)
	v_mul_f64 v[122:123], v[106:107], v[46:47]
	v_fmac_f64_e32 v[122:123], v[108:109], v[48:49]
	v_add_f64 v[124:125], v[120:121], v[122:123]
	ds_read_b128 v[120:123], v114 offset:1616
	s_waitcnt lgkmcnt(1)
	v_mul_f64 v[126:127], v[110:111], v[58:59]
	v_fmac_f64_e32 v[126:127], v[112:113], v[60:61]
	v_add_f64 v[128:129], v[124:125], v[126:127]
	ds_read_b128 v[124:127], v114 offset:1632
	s_waitcnt lgkmcnt(1)
	v_mul_f64 v[130:131], v[120:121], v[54:55]
	v_fmac_f64_e32 v[130:131], v[122:123], v[56:57]
	v_add_f64 v[132:133], v[128:129], v[130:131]
	ds_read_b128 v[128:131], v114 offset:1648
	s_waitcnt vmcnt(58) lgkmcnt(1)
	v_mul_f64 v[134:135], v[124:125], v[66:67]
	s_waitcnt vmcnt(56)
	v_fmac_f64_e32 v[134:135], v[126:127], v[68:69]
	v_add_f64 v[136:137], v[132:133], v[134:135]
	ds_read_b128 v[132:135], v114 offset:1664
	s_waitcnt lgkmcnt(1)
	v_mul_f64 v[138:139], v[128:129], v[62:63]
	v_fmac_f64_e32 v[138:139], v[130:131], v[64:65]
	v_add_f64 v[140:141], v[136:137], v[138:139]
	ds_read_b128 v[136:139], v114 offset:1680
	s_waitcnt vmcnt(50) lgkmcnt(1)
	v_mul_f64 v[142:143], v[132:133], v[74:75]
	s_waitcnt vmcnt(48)
	v_fmac_f64_e32 v[142:143], v[134:135], v[76:77]
	v_add_f64 v[144:145], v[140:141], v[142:143]
	ds_read_b128 v[140:143], v114 offset:1696
	v_fma_f64 v[14:15], v[14:15], v[24:25], -v[16:17]
	v_mul_f64 v[12:13], v[12:13], v[30:31]
	v_add_f64 v[14:15], v[18:19], v[14:15]
	v_fma_f64 v[10:11], v[10:11], v[44:45], -v[12:13]
	v_mul_f64 v[8:9], v[8:9], v[40:41]
	s_waitcnt lgkmcnt(1)
	v_mul_f64 v[146:147], v[136:137], v[70:71]
	v_add_f64 v[10:11], v[14:15], v[10:11]
	v_fma_f64 v[6:7], v[6:7], v[42:43], -v[8:9]
	v_mul_f64 v[4:5], v[4:5], v[36:37]
	v_fmac_f64_e32 v[146:147], v[138:139], v[72:73]
	v_add_f64 v[6:7], v[10:11], v[6:7]
	v_fma_f64 v[2:3], v[2:3], v[38:39], -v[4:5]
	v_mul_f64 v[4:5], v[104:105], v[50:51]
	v_add_f64 v[148:149], v[144:145], v[146:147]
	ds_read_b128 v[144:147], v114 offset:1712
	s_waitcnt vmcnt(42) lgkmcnt(1)
	v_mul_f64 v[150:151], v[140:141], v[82:83]
	v_add_f64 v[2:3], v[6:7], v[2:3]
	v_fma_f64 v[4:5], v[102:103], v[52:53], -v[4:5]
	s_waitcnt vmcnt(40)
	v_fmac_f64_e32 v[150:151], v[142:143], v[84:85]
	v_add_f64 v[2:3], v[2:3], v[4:5]
	v_mul_f64 v[4:5], v[108:109], v[46:47]
	v_add_f64 v[152:153], v[148:149], v[150:151]
	ds_read_b128 v[148:151], v114 offset:1728
	v_fma_f64 v[4:5], v[106:107], v[48:49], -v[4:5]
	v_add_f64 v[2:3], v[2:3], v[4:5]
	v_mul_f64 v[4:5], v[112:113], v[58:59]
	v_fma_f64 v[4:5], v[110:111], v[60:61], -v[4:5]
	s_waitcnt lgkmcnt(1)
	v_mul_f64 v[154:155], v[144:145], v[78:79]
	v_add_f64 v[2:3], v[2:3], v[4:5]
	v_mul_f64 v[4:5], v[122:123], v[54:55]
	v_fmac_f64_e32 v[154:155], v[146:147], v[80:81]
	v_fma_f64 v[4:5], v[120:121], v[56:57], -v[4:5]
	v_add_f64 v[156:157], v[152:153], v[154:155]
	ds_read_b128 v[152:155], v114 offset:1744
	s_waitcnt vmcnt(34) lgkmcnt(1)
	v_mul_f64 v[158:159], v[148:149], v[90:91]
	v_add_f64 v[2:3], v[2:3], v[4:5]
	v_mul_f64 v[4:5], v[126:127], v[66:67]
	s_waitcnt vmcnt(32)
	v_fmac_f64_e32 v[158:159], v[150:151], v[92:93]
	v_fma_f64 v[4:5], v[124:125], v[68:69], -v[4:5]
	v_add_f64 v[160:161], v[156:157], v[158:159]
	ds_read_b128 v[156:159], v114 offset:1760
	v_add_f64 v[2:3], v[2:3], v[4:5]
	v_mul_f64 v[4:5], v[130:131], v[62:63]
	v_fma_f64 v[4:5], v[128:129], v[64:65], -v[4:5]
	v_add_f64 v[2:3], v[2:3], v[4:5]
	v_mul_f64 v[4:5], v[134:135], v[74:75]
	s_waitcnt lgkmcnt(1)
	v_mul_f64 v[162:163], v[152:153], v[86:87]
	v_fma_f64 v[4:5], v[132:133], v[76:77], -v[4:5]
	v_fmac_f64_e32 v[162:163], v[154:155], v[88:89]
	v_add_f64 v[2:3], v[2:3], v[4:5]
	v_mul_f64 v[4:5], v[138:139], v[70:71]
	v_add_f64 v[164:165], v[160:161], v[162:163]
	ds_read_b128 v[160:163], v114 offset:1776
	s_waitcnt vmcnt(26) lgkmcnt(1)
	v_mul_f64 v[166:167], v[156:157], v[98:99]
	v_fma_f64 v[4:5], v[136:137], v[72:73], -v[4:5]
	s_waitcnt vmcnt(24)
	v_fmac_f64_e32 v[166:167], v[158:159], v[100:101]
	v_add_f64 v[2:3], v[2:3], v[4:5]
	v_mul_f64 v[4:5], v[142:143], v[82:83]
	v_add_f64 v[168:169], v[164:165], v[166:167]
	ds_read_b128 v[164:167], v114 offset:1792
	v_fma_f64 v[4:5], v[140:141], v[84:85], -v[4:5]
	v_add_f64 v[2:3], v[2:3], v[4:5]
	v_mul_f64 v[4:5], v[146:147], v[78:79]
	v_fma_f64 v[4:5], v[144:145], v[80:81], -v[4:5]
	s_waitcnt lgkmcnt(1)
	v_mul_f64 v[170:171], v[160:161], v[94:95]
	v_add_f64 v[2:3], v[2:3], v[4:5]
	v_mul_f64 v[4:5], v[150:151], v[90:91]
	v_fmac_f64_e32 v[170:171], v[162:163], v[96:97]
	v_fma_f64 v[4:5], v[148:149], v[92:93], -v[4:5]
	v_add_f64 v[172:173], v[168:169], v[170:171]
	ds_read_b128 v[168:171], v114 offset:1808
	s_waitcnt vmcnt(18) lgkmcnt(1)
	v_mul_f64 v[174:175], v[164:165], v[188:189]
	v_add_f64 v[2:3], v[2:3], v[4:5]
	v_mul_f64 v[4:5], v[154:155], v[86:87]
	s_waitcnt vmcnt(16)
	v_fmac_f64_e32 v[174:175], v[166:167], v[190:191]
	v_fma_f64 v[4:5], v[152:153], v[88:89], -v[4:5]
	v_add_f64 v[176:177], v[172:173], v[174:175]
	ds_read_b128 v[172:175], v114 offset:1824
	v_add_f64 v[2:3], v[2:3], v[4:5]
	v_mul_f64 v[4:5], v[158:159], v[98:99]
	v_fma_f64 v[4:5], v[156:157], v[100:101], -v[4:5]
	v_add_f64 v[2:3], v[2:3], v[4:5]
	v_mul_f64 v[4:5], v[162:163], v[94:95]
	s_waitcnt lgkmcnt(1)
	v_mul_f64 v[178:179], v[168:169], v[116:117]
	v_fma_f64 v[4:5], v[160:161], v[96:97], -v[4:5]
	v_fmac_f64_e32 v[178:179], v[170:171], v[118:119]
	v_add_f64 v[2:3], v[2:3], v[4:5]
	v_mul_f64 v[4:5], v[166:167], v[188:189]
	v_add_f64 v[180:181], v[176:177], v[178:179]
	ds_read_b128 v[176:179], v114 offset:1840
	s_waitcnt vmcnt(10) lgkmcnt(1)
	v_mul_f64 v[182:183], v[172:173], v[196:197]
	v_fma_f64 v[4:5], v[164:165], v[190:191], -v[4:5]
	s_waitcnt vmcnt(8)
	v_fmac_f64_e32 v[182:183], v[174:175], v[198:199]
	v_add_f64 v[2:3], v[2:3], v[4:5]
	v_mul_f64 v[4:5], v[170:171], v[116:117]
	v_add_f64 v[208:209], v[180:181], v[182:183]
	ds_read_b128 v[180:183], v114 offset:1856
	ds_read_b128 v[184:187], v114 offset:1872
	v_fma_f64 v[4:5], v[168:169], v[118:119], -v[4:5]
	v_add_f64 v[2:3], v[2:3], v[4:5]
	v_mul_f64 v[4:5], v[174:175], v[196:197]
	v_fma_f64 v[4:5], v[172:173], v[198:199], -v[4:5]
	v_add_f64 v[2:3], v[2:3], v[4:5]
	s_waitcnt lgkmcnt(2)
	v_mul_f64 v[4:5], v[178:179], v[192:193]
	v_mul_f64 v[210:211], v[176:177], v[192:193]
	v_fma_f64 v[4:5], v[176:177], v[194:195], -v[4:5]
	v_fmac_f64_e32 v[210:211], v[178:179], v[194:195]
	v_add_f64 v[2:3], v[2:3], v[4:5]
	s_waitcnt vmcnt(2) lgkmcnt(1)
	v_mul_f64 v[4:5], v[182:183], v[204:205]
	v_add_f64 v[208:209], v[208:209], v[210:211]
	v_mul_f64 v[210:211], v[180:181], v[204:205]
	s_waitcnt vmcnt(0)
	v_fma_f64 v[4:5], v[180:181], v[206:207], -v[4:5]
	v_fmac_f64_e32 v[210:211], v[182:183], v[206:207]
	v_add_f64 v[2:3], v[2:3], v[4:5]
	s_waitcnt lgkmcnt(0)
	v_mul_f64 v[4:5], v[186:187], v[200:201]
	v_add_f64 v[208:209], v[208:209], v[210:211]
	v_mul_f64 v[210:211], v[184:185], v[200:201]
	v_fma_f64 v[4:5], v[184:185], v[202:203], -v[4:5]
	v_fmac_f64_e32 v[210:211], v[186:187], v[202:203]
	v_add_f64 v[2:3], v[2:3], v[4:5]
	v_add_f64 v[208:209], v[208:209], v[210:211]
	v_add_f64 v[2:3], v[34:35], -v[2:3]
	v_add_f64 v[4:5], v[32:33], -v[208:209]
	buffer_store_dword v3, off, s[0:3], 0 offset:548
	buffer_store_dword v2, off, s[0:3], 0 offset:544
	;; [unrolled: 1-line block ×4, first 2 shown]
	s_and_saveexec_b64 s[4:5], vcc
	s_cbranch_execz .LBB122_303
; %bb.302:
	v_accvgpr_read_b32 v0, a144
	buffer_load_dword v2, v0, s[0:3], 0 offen
	buffer_load_dword v3, v0, s[0:3], 0 offen offset:4
	buffer_load_dword v4, v0, s[0:3], 0 offen offset:8
	;; [unrolled: 1-line block ×3, first 2 shown]
	v_accvgpr_read_b32 v0, a177
	buffer_store_dword v114, off, s[0:3], 0 offset:528
	buffer_store_dword v114, off, s[0:3], 0 offset:532
	;; [unrolled: 1-line block ×4, first 2 shown]
	s_waitcnt vmcnt(4)
	ds_write_b128 v0, v[2:5]
.LBB122_303:
	s_or_b64 exec, exec, s[4:5]
	s_waitcnt lgkmcnt(0)
	; wave barrier
	s_waitcnt lgkmcnt(0)
	buffer_load_dword v26, off, s[0:3], 0 offset:544
	buffer_load_dword v27, off, s[0:3], 0 offset:548
	;; [unrolled: 1-line block ×24, first 2 shown]
	ds_read_b128 v[22:25], v114 offset:1472
	ds_read_b128 v[18:21], v114 offset:1488
	;; [unrolled: 1-line block ×6, first 2 shown]
	buffer_load_dword v51, off, s[0:3], 0 offset:652
	buffer_load_dword v50, off, s[0:3], 0 offset:648
	;; [unrolled: 1-line block ×40, first 2 shown]
	v_cmp_lt_u32_e32 vcc, 31, v228
	s_waitcnt vmcnt(60) lgkmcnt(5)
	v_mul_f64 v[90:91], v[22:23], v[28:29]
	v_fmac_f64_e32 v[90:91], v[24:25], v[26:27]
	s_waitcnt vmcnt(58) lgkmcnt(4)
	v_mul_f64 v[92:93], v[18:19], v[30:31]
	v_add_f64 v[90:91], v[90:91], 0
	s_waitcnt vmcnt(56) lgkmcnt(3)
	v_mul_f64 v[94:95], v[10:11], v[32:33]
	v_mul_f64 v[24:25], v[24:25], v[28:29]
	v_fma_f64 v[22:23], v[22:23], v[26:27], -v[24:25]
	s_waitcnt vmcnt(54) lgkmcnt(1)
	v_mul_f64 v[116:117], v[2:3], v[38:39]
	v_add_f64 v[22:23], v[22:23], 0
	s_waitcnt vmcnt(51)
	v_mul_f64 v[96:97], v[6:7], v[42:43]
	s_waitcnt vmcnt(49)
	v_fmac_f64_e32 v[92:93], v[20:21], v[48:49]
	v_add_f64 v[90:91], v[90:91], v[92:93]
	s_waitcnt vmcnt(47)
	v_fmac_f64_e32 v[94:95], v[12:13], v[46:47]
	v_add_f64 v[90:91], v[90:91], v[94:95]
	;; [unrolled: 3-line block ×3, first 2 shown]
	buffer_load_dword v91, off, s[0:3], 0 offset:812
	buffer_load_dword v90, off, s[0:3], 0 offset:808
	buffer_load_dword v93, off, s[0:3], 0 offset:804
	buffer_load_dword v92, off, s[0:3], 0 offset:800
	buffer_load_dword v95, off, s[0:3], 0 offset:796
	buffer_load_dword v94, off, s[0:3], 0 offset:792
	buffer_load_dword v97, off, s[0:3], 0 offset:788
	buffer_load_dword v96, off, s[0:3], 0 offset:784
	buffer_load_dword v99, off, s[0:3], 0 offset:844
	buffer_load_dword v98, off, s[0:3], 0 offset:840
	buffer_load_dword v101, off, s[0:3], 0 offset:836
	buffer_load_dword v100, off, s[0:3], 0 offset:832
	buffer_load_dword v103, off, s[0:3], 0 offset:828
	buffer_load_dword v102, off, s[0:3], 0 offset:824
	buffer_load_dword v105, off, s[0:3], 0 offset:820
	buffer_load_dword v104, off, s[0:3], 0 offset:816
	buffer_load_dword v107, off, s[0:3], 0 offset:876
	buffer_load_dword v106, off, s[0:3], 0 offset:872
	buffer_load_dword v109, off, s[0:3], 0 offset:868
	buffer_load_dword v108, off, s[0:3], 0 offset:864
	buffer_load_dword v111, off, s[0:3], 0 offset:860
	buffer_load_dword v110, off, s[0:3], 0 offset:856
	buffer_load_dword v113, off, s[0:3], 0 offset:852
	buffer_load_dword v112, off, s[0:3], 0 offset:848
	buffer_load_dword v197, off, s[0:3], 0 offset:908
	buffer_load_dword v196, off, s[0:3], 0 offset:904
	buffer_load_dword v199, off, s[0:3], 0 offset:900
	buffer_load_dword v198, off, s[0:3], 0 offset:896
	buffer_load_dword v201, off, s[0:3], 0 offset:892
	buffer_load_dword v200, off, s[0:3], 0 offset:888
	buffer_load_dword v203, off, s[0:3], 0 offset:884
	buffer_load_dword v202, off, s[0:3], 0 offset:880
	buffer_load_dword v205, off, s[0:3], 0 offset:940
	buffer_load_dword v204, off, s[0:3], 0 offset:936
	buffer_load_dword v207, off, s[0:3], 0 offset:932
	buffer_load_dword v206, off, s[0:3], 0 offset:928
	buffer_load_dword v209, off, s[0:3], 0 offset:924
	buffer_load_dword v208, off, s[0:3], 0 offset:920
	buffer_load_dword v211, off, s[0:3], 0 offset:916
	buffer_load_dword v210, off, s[0:3], 0 offset:912
	ds_read_b128 v[120:123], v114 offset:1568
	buffer_load_dword v213, off, s[0:3], 0 offset:956
	buffer_load_dword v212, off, s[0:3], 0 offset:952
	;; [unrolled: 1-line block ×4, first 2 shown]
	v_mul_f64 v[20:21], v[20:21], v[30:31]
	v_fma_f64 v[18:19], v[18:19], v[48:49], -v[20:21]
	v_mul_f64 v[12:13], v[12:13], v[32:33]
	s_waitcnt vmcnt(62)
	v_fmac_f64_e32 v[116:117], v[4:5], v[40:41]
	ds_read_b128 v[124:127], v114 offset:1584
	ds_read_b128 v[128:131], v114 offset:1600
	v_add_f64 v[18:19], v[22:23], v[18:19]
	v_fma_f64 v[10:11], v[10:11], v[46:47], -v[12:13]
	v_mul_f64 v[8:9], v[8:9], v[42:43]
	v_add_f64 v[116:117], v[118:119], v[116:117]
	s_waitcnt lgkmcnt(3)
	v_mul_f64 v[118:119], v[14:15], v[54:55]
	v_add_f64 v[10:11], v[18:19], v[10:11]
	v_fma_f64 v[6:7], v[6:7], v[44:45], -v[8:9]
	v_mul_f64 v[4:5], v[4:5], v[38:39]
	v_fmac_f64_e32 v[118:119], v[16:17], v[56:57]
	v_add_f64 v[6:7], v[10:11], v[6:7]
	v_fma_f64 v[2:3], v[2:3], v[40:41], -v[4:5]
	v_mul_f64 v[4:5], v[16:17], v[54:55]
	v_add_f64 v[116:117], v[116:117], v[118:119]
	s_waitcnt lgkmcnt(2)
	v_mul_f64 v[118:119], v[120:121], v[50:51]
	v_add_f64 v[2:3], v[6:7], v[2:3]
	v_fma_f64 v[4:5], v[14:15], v[56:57], -v[4:5]
	v_fmac_f64_e32 v[118:119], v[122:123], v[52:53]
	ds_read_b128 v[132:135], v114 offset:1616
	ds_read_b128 v[136:139], v114 offset:1632
	v_add_f64 v[2:3], v[2:3], v[4:5]
	v_mul_f64 v[4:5], v[122:123], v[50:51]
	v_add_f64 v[116:117], v[116:117], v[118:119]
	s_waitcnt lgkmcnt(3)
	v_mul_f64 v[118:119], v[124:125], v[62:63]
	v_fma_f64 v[4:5], v[120:121], v[52:53], -v[4:5]
	v_fmac_f64_e32 v[118:119], v[126:127], v[64:65]
	v_add_f64 v[2:3], v[2:3], v[4:5]
	v_mul_f64 v[4:5], v[126:127], v[62:63]
	v_add_f64 v[116:117], v[116:117], v[118:119]
	s_waitcnt lgkmcnt(2)
	v_mul_f64 v[118:119], v[128:129], v[58:59]
	v_fma_f64 v[4:5], v[124:125], v[64:65], -v[4:5]
	v_fmac_f64_e32 v[118:119], v[130:131], v[60:61]
	ds_read_b128 v[140:143], v114 offset:1648
	ds_read_b128 v[144:147], v114 offset:1664
	v_add_f64 v[2:3], v[2:3], v[4:5]
	v_mul_f64 v[4:5], v[130:131], v[58:59]
	v_add_f64 v[116:117], v[116:117], v[118:119]
	s_waitcnt lgkmcnt(3)
	v_mul_f64 v[118:119], v[132:133], v[70:71]
	v_fma_f64 v[4:5], v[128:129], v[60:61], -v[4:5]
	s_waitcnt vmcnt(60)
	v_fmac_f64_e32 v[118:119], v[134:135], v[72:73]
	v_add_f64 v[2:3], v[2:3], v[4:5]
	v_mul_f64 v[4:5], v[134:135], v[70:71]
	v_add_f64 v[116:117], v[116:117], v[118:119]
	s_waitcnt lgkmcnt(2)
	v_mul_f64 v[118:119], v[136:137], v[66:67]
	v_fma_f64 v[4:5], v[132:133], v[72:73], -v[4:5]
	v_fmac_f64_e32 v[118:119], v[138:139], v[68:69]
	ds_read_b128 v[148:151], v114 offset:1680
	ds_read_b128 v[152:155], v114 offset:1696
	v_add_f64 v[2:3], v[2:3], v[4:5]
	v_mul_f64 v[4:5], v[138:139], v[66:67]
	v_add_f64 v[116:117], v[116:117], v[118:119]
	s_waitcnt vmcnt(54) lgkmcnt(3)
	v_mul_f64 v[118:119], v[140:141], v[78:79]
	v_fma_f64 v[4:5], v[136:137], v[68:69], -v[4:5]
	s_waitcnt vmcnt(52)
	v_fmac_f64_e32 v[118:119], v[142:143], v[80:81]
	v_add_f64 v[2:3], v[2:3], v[4:5]
	v_mul_f64 v[4:5], v[142:143], v[78:79]
	v_add_f64 v[116:117], v[116:117], v[118:119]
	s_waitcnt lgkmcnt(2)
	v_mul_f64 v[118:119], v[144:145], v[74:75]
	v_fma_f64 v[4:5], v[140:141], v[80:81], -v[4:5]
	v_fmac_f64_e32 v[118:119], v[146:147], v[76:77]
	ds_read_b128 v[156:159], v114 offset:1712
	ds_read_b128 v[160:163], v114 offset:1728
	v_add_f64 v[2:3], v[2:3], v[4:5]
	v_mul_f64 v[4:5], v[146:147], v[74:75]
	v_add_f64 v[116:117], v[116:117], v[118:119]
	s_waitcnt vmcnt(46) lgkmcnt(3)
	;; [unrolled: 17-line block ×5, first 2 shown]
	v_mul_f64 v[118:119], v[172:173], v[110:111]
	v_fma_f64 v[4:5], v[168:169], v[100:101], -v[4:5]
	s_waitcnt vmcnt(20)
	v_fmac_f64_e32 v[118:119], v[174:175], v[112:113]
	v_add_f64 v[2:3], v[2:3], v[4:5]
	v_mul_f64 v[4:5], v[174:175], v[110:111]
	v_add_f64 v[116:117], v[116:117], v[118:119]
	s_waitcnt lgkmcnt(2)
	v_mul_f64 v[118:119], v[176:177], v[106:107]
	v_fma_f64 v[4:5], v[172:173], v[112:113], -v[4:5]
	v_fmac_f64_e32 v[118:119], v[178:179], v[108:109]
	v_add_f64 v[2:3], v[2:3], v[4:5]
	v_mul_f64 v[4:5], v[178:179], v[106:107]
	v_add_f64 v[116:117], v[116:117], v[118:119]
	s_waitcnt vmcnt(14) lgkmcnt(1)
	v_mul_f64 v[118:119], v[180:181], v[200:201]
	ds_read_b128 v[188:191], v114 offset:1840
	ds_read_b128 v[192:195], v114 offset:1856
	v_fma_f64 v[4:5], v[176:177], v[108:109], -v[4:5]
	s_waitcnt vmcnt(12)
	v_fmac_f64_e32 v[118:119], v[182:183], v[202:203]
	v_add_f64 v[2:3], v[2:3], v[4:5]
	v_mul_f64 v[4:5], v[182:183], v[200:201]
	v_add_f64 v[116:117], v[116:117], v[118:119]
	s_waitcnt lgkmcnt(2)
	v_mul_f64 v[118:119], v[184:185], v[196:197]
	v_fma_f64 v[4:5], v[180:181], v[202:203], -v[4:5]
	v_fmac_f64_e32 v[118:119], v[186:187], v[198:199]
	v_add_f64 v[2:3], v[2:3], v[4:5]
	v_mul_f64 v[4:5], v[186:187], v[196:197]
	v_add_f64 v[118:119], v[116:117], v[118:119]
	ds_read_b128 v[114:117], v114 offset:1872
	v_fma_f64 v[4:5], v[184:185], v[198:199], -v[4:5]
	v_add_f64 v[2:3], v[2:3], v[4:5]
	s_waitcnt vmcnt(6) lgkmcnt(2)
	v_mul_f64 v[4:5], v[190:191], v[208:209]
	v_mul_f64 v[216:217], v[188:189], v[208:209]
	s_waitcnt vmcnt(4)
	v_fma_f64 v[4:5], v[188:189], v[210:211], -v[4:5]
	v_fmac_f64_e32 v[216:217], v[190:191], v[210:211]
	v_add_f64 v[2:3], v[2:3], v[4:5]
	s_waitcnt lgkmcnt(1)
	v_mul_f64 v[4:5], v[194:195], v[204:205]
	v_add_f64 v[118:119], v[118:119], v[216:217]
	v_mul_f64 v[216:217], v[192:193], v[204:205]
	v_fma_f64 v[4:5], v[192:193], v[206:207], -v[4:5]
	v_fmac_f64_e32 v[216:217], v[194:195], v[206:207]
	v_add_f64 v[2:3], v[2:3], v[4:5]
	s_waitcnt vmcnt(2) lgkmcnt(0)
	v_mul_f64 v[4:5], v[116:117], v[212:213]
	v_add_f64 v[118:119], v[118:119], v[216:217]
	v_mul_f64 v[216:217], v[114:115], v[212:213]
	s_waitcnt vmcnt(0)
	v_fma_f64 v[4:5], v[114:115], v[214:215], -v[4:5]
	v_fmac_f64_e32 v[216:217], v[116:117], v[214:215]
	v_add_f64 v[2:3], v[2:3], v[4:5]
	v_add_f64 v[118:119], v[118:119], v[216:217]
	v_add_f64 v[2:3], v[36:37], -v[2:3]
	v_add_f64 v[4:5], v[34:35], -v[118:119]
	buffer_store_dword v3, off, s[0:3], 0 offset:532
	buffer_store_dword v2, off, s[0:3], 0 offset:528
	;; [unrolled: 1-line block ×4, first 2 shown]
	s_and_saveexec_b64 s[4:5], vcc
	s_cbranch_execz .LBB122_305
; %bb.304:
	v_accvgpr_read_b32 v0, a145
	buffer_load_dword v2, v0, s[0:3], 0 offen
	buffer_load_dword v3, v0, s[0:3], 0 offen offset:4
	buffer_load_dword v4, v0, s[0:3], 0 offen offset:8
	;; [unrolled: 1-line block ×3, first 2 shown]
	v_mov_b32_e32 v0, 0
	v_accvgpr_read_b32 v1, a177
	buffer_store_dword v0, off, s[0:3], 0 offset:512
	buffer_store_dword v0, off, s[0:3], 0 offset:516
	buffer_store_dword v0, off, s[0:3], 0 offset:520
	buffer_store_dword v0, off, s[0:3], 0 offset:524
	s_waitcnt vmcnt(4)
	ds_write_b128 v1, v[2:5]
.LBB122_305:
	s_or_b64 exec, exec, s[4:5]
	s_waitcnt lgkmcnt(0)
	; wave barrier
	s_waitcnt lgkmcnt(0)
	buffer_load_dword v30, off, s[0:3], 0 offset:528
	buffer_load_dword v31, off, s[0:3], 0 offset:532
	;; [unrolled: 1-line block ×56, first 2 shown]
	v_mov_b32_e32 v136, 0
	ds_read_b128 v[26:29], v136 offset:1456
	ds_read_b128 v[22:25], v136 offset:1472
	;; [unrolled: 1-line block ×7, first 2 shown]
	v_accvgpr_write_b32 a176, v228
	v_cmp_lt_u32_e32 vcc, 30, v228
	s_waitcnt vmcnt(52) lgkmcnt(6)
	v_mul_f64 v[86:87], v[26:27], v[34:35]
	v_fmac_f64_e32 v[86:87], v[28:29], v[30:31]
	v_add_f64 v[86:87], v[86:87], 0
	v_mul_f64 v[28:29], v[28:29], v[34:35]
	s_waitcnt vmcnt(48) lgkmcnt(5)
	v_mul_f64 v[88:89], v[22:23], v[36:37]
	v_fmac_f64_e32 v[88:89], v[24:25], v[32:33]
	s_waitcnt vmcnt(46) lgkmcnt(4)
	v_mul_f64 v[90:91], v[18:19], v[38:39]
	v_add_f64 v[86:87], v[86:87], v[88:89]
	s_waitcnt vmcnt(44) lgkmcnt(2)
	v_mul_f64 v[94:95], v[10:11], v[40:41]
	v_fma_f64 v[26:27], v[26:27], v[30:31], -v[28:29]
	s_waitcnt vmcnt(42)
	v_fmac_f64_e32 v[94:95], v[12:13], v[42:43]
	v_mul_f64 v[24:25], v[24:25], v[36:37]
	s_waitcnt vmcnt(40)
	v_mul_f64 v[92:93], v[14:15], v[48:49]
	v_add_f64 v[26:27], v[26:27], 0
	v_fma_f64 v[22:23], v[22:23], v[32:33], -v[24:25]
	v_add_f64 v[22:23], v[26:27], v[22:23]
	s_waitcnt vmcnt(36) lgkmcnt(1)
	v_mul_f64 v[110:111], v[6:7], v[54:55]
	v_mul_f64 v[12:13], v[12:13], v[40:41]
	s_waitcnt vmcnt(34)
	v_fmac_f64_e32 v[90:91], v[20:21], v[60:61]
	v_add_f64 v[86:87], v[86:87], v[90:91]
	s_waitcnt vmcnt(32)
	v_fmac_f64_e32 v[92:93], v[16:17], v[58:59]
	v_add_f64 v[86:87], v[86:87], v[92:93]
	v_add_f64 v[116:117], v[86:87], v[94:95]
	buffer_load_dword v87, off, s[0:3], 0 offset:764
	buffer_load_dword v86, off, s[0:3], 0 offset:760
	;; [unrolled: 1-line block ×56, first 2 shown]
	ds_read_b128 v[126:129], v136 offset:1568
	ds_read_b128 v[130:133], v136 offset:1584
	v_mul_f64 v[20:21], v[20:21], v[38:39]
	v_fma_f64 v[18:19], v[18:19], v[60:61], -v[20:21]
	v_mul_f64 v[16:17], v[16:17], v[48:49]
	s_waitcnt vmcnt(62)
	v_fmac_f64_e32 v[110:111], v[8:9], v[56:57]
	v_add_f64 v[18:19], v[22:23], v[18:19]
	v_fma_f64 v[14:15], v[14:15], v[58:59], -v[16:17]
	v_add_f64 v[110:111], v[116:117], v[110:111]
	s_waitcnt lgkmcnt(2)
	v_mul_f64 v[116:117], v[2:3], v[50:51]
	v_add_f64 v[14:15], v[18:19], v[14:15]
	v_fma_f64 v[10:11], v[10:11], v[42:43], -v[12:13]
	v_mul_f64 v[8:9], v[8:9], v[54:55]
	v_fmac_f64_e32 v[116:117], v[4:5], v[52:53]
	ds_read_b128 v[138:141], v136 offset:1600
	ds_read_b128 v[142:145], v136 offset:1616
	v_add_f64 v[10:11], v[14:15], v[10:11]
	v_fma_f64 v[6:7], v[6:7], v[56:57], -v[8:9]
	v_mul_f64 v[4:5], v[4:5], v[50:51]
	v_add_f64 v[6:7], v[10:11], v[6:7]
	v_fma_f64 v[2:3], v[2:3], v[52:53], -v[4:5]
	s_waitcnt lgkmcnt(3)
	v_mul_f64 v[4:5], v[128:129], v[66:67]
	v_add_f64 v[110:111], v[110:111], v[116:117]
	v_mul_f64 v[116:117], v[126:127], v[66:67]
	v_add_f64 v[2:3], v[6:7], v[2:3]
	v_fma_f64 v[4:5], v[126:127], v[68:69], -v[4:5]
	v_fmac_f64_e32 v[116:117], v[128:129], v[68:69]
	v_add_f64 v[2:3], v[2:3], v[4:5]
	s_waitcnt lgkmcnt(2)
	v_mul_f64 v[4:5], v[132:133], v[62:63]
	v_add_f64 v[110:111], v[110:111], v[116:117]
	v_mul_f64 v[116:117], v[130:131], v[62:63]
	ds_read_b128 v[146:149], v136 offset:1632
	ds_read_b128 v[150:153], v136 offset:1648
	v_fma_f64 v[4:5], v[130:131], v[64:65], -v[4:5]
	v_fmac_f64_e32 v[116:117], v[132:133], v[64:65]
	v_add_f64 v[2:3], v[2:3], v[4:5]
	s_waitcnt lgkmcnt(3)
	v_mul_f64 v[4:5], v[140:141], v[74:75]
	v_add_f64 v[110:111], v[110:111], v[116:117]
	v_mul_f64 v[116:117], v[138:139], v[74:75]
	v_fma_f64 v[4:5], v[138:139], v[76:77], -v[4:5]
	v_fmac_f64_e32 v[116:117], v[140:141], v[76:77]
	v_add_f64 v[2:3], v[2:3], v[4:5]
	s_waitcnt lgkmcnt(2)
	v_mul_f64 v[4:5], v[144:145], v[70:71]
	v_add_f64 v[110:111], v[110:111], v[116:117]
	v_mul_f64 v[116:117], v[142:143], v[70:71]
	ds_read_b128 v[154:157], v136 offset:1664
	ds_read_b128 v[158:161], v136 offset:1680
	v_fma_f64 v[4:5], v[142:143], v[72:73], -v[4:5]
	v_fmac_f64_e32 v[116:117], v[144:145], v[72:73]
	v_add_f64 v[2:3], v[2:3], v[4:5]
	s_waitcnt vmcnt(58) lgkmcnt(3)
	v_mul_f64 v[4:5], v[148:149], v[82:83]
	v_add_f64 v[110:111], v[110:111], v[116:117]
	v_mul_f64 v[116:117], v[146:147], v[82:83]
	s_waitcnt vmcnt(56)
	v_fma_f64 v[4:5], v[146:147], v[84:85], -v[4:5]
	v_fmac_f64_e32 v[116:117], v[148:149], v[84:85]
	v_add_f64 v[2:3], v[2:3], v[4:5]
	s_waitcnt lgkmcnt(2)
	v_mul_f64 v[4:5], v[152:153], v[78:79]
	v_add_f64 v[110:111], v[110:111], v[116:117]
	v_mul_f64 v[116:117], v[150:151], v[78:79]
	ds_read_b128 v[162:165], v136 offset:1696
	ds_read_b128 v[166:169], v136 offset:1712
	v_fma_f64 v[4:5], v[150:151], v[80:81], -v[4:5]
	v_fmac_f64_e32 v[116:117], v[152:153], v[80:81]
	v_add_f64 v[2:3], v[2:3], v[4:5]
	s_waitcnt vmcnt(50) lgkmcnt(3)
	v_mul_f64 v[4:5], v[156:157], v[90:91]
	v_add_f64 v[110:111], v[110:111], v[116:117]
	v_mul_f64 v[116:117], v[154:155], v[90:91]
	s_waitcnt vmcnt(48)
	;; [unrolled: 17-line block ×7, first 2 shown]
	v_fma_f64 v[4:5], v[194:195], v[218:219], -v[4:5]
	v_fmac_f64_e32 v[116:117], v[196:197], v[218:219]
	v_add_f64 v[2:3], v[2:3], v[4:5]
	s_waitcnt lgkmcnt(2)
	v_mul_f64 v[4:5], v[200:201], v[212:213]
	v_add_f64 v[110:111], v[110:111], v[116:117]
	v_mul_f64 v[116:117], v[198:199], v[212:213]
	v_fma_f64 v[4:5], v[198:199], v[214:215], -v[4:5]
	v_fmac_f64_e32 v[116:117], v[200:201], v[214:215]
	v_add_f64 v[2:3], v[2:3], v[4:5]
	s_waitcnt vmcnt(2) lgkmcnt(1)
	v_mul_f64 v[4:5], v[204:205], v[224:225]
	v_add_f64 v[110:111], v[110:111], v[116:117]
	v_mul_f64 v[116:117], v[202:203], v[224:225]
	s_waitcnt vmcnt(0)
	v_fma_f64 v[4:5], v[202:203], v[226:227], -v[4:5]
	v_fmac_f64_e32 v[116:117], v[204:205], v[226:227]
	v_add_f64 v[2:3], v[2:3], v[4:5]
	s_waitcnt lgkmcnt(0)
	v_mul_f64 v[4:5], v[208:209], v[220:221]
	v_add_f64 v[110:111], v[110:111], v[116:117]
	v_mul_f64 v[116:117], v[206:207], v[220:221]
	v_fma_f64 v[4:5], v[206:207], v[222:223], -v[4:5]
	v_fmac_f64_e32 v[116:117], v[208:209], v[222:223]
	v_add_f64 v[2:3], v[2:3], v[4:5]
	v_add_f64 v[110:111], v[110:111], v[116:117]
	v_add_f64 v[2:3], v[46:47], -v[2:3]
	v_add_f64 v[4:5], v[44:45], -v[110:111]
	buffer_store_dword v3, off, s[0:3], 0 offset:516
	buffer_store_dword v2, off, s[0:3], 0 offset:512
	;; [unrolled: 1-line block ×4, first 2 shown]
	s_and_saveexec_b64 s[4:5], vcc
	s_cbranch_execz .LBB122_307
; %bb.306:
	v_accvgpr_read_b32 v0, a146
	buffer_load_dword v2, v0, s[0:3], 0 offen
	buffer_load_dword v3, v0, s[0:3], 0 offen offset:4
	buffer_load_dword v4, v0, s[0:3], 0 offen offset:8
	;; [unrolled: 1-line block ×3, first 2 shown]
	v_accvgpr_read_b32 v0, a177
	buffer_store_dword v136, off, s[0:3], 0 offset:496
	buffer_store_dword v136, off, s[0:3], 0 offset:500
	;; [unrolled: 1-line block ×4, first 2 shown]
	s_waitcnt vmcnt(4)
	ds_write_b128 v0, v[2:5]
.LBB122_307:
	s_or_b64 exec, exec, s[4:5]
	s_waitcnt lgkmcnt(0)
	; wave barrier
	s_waitcnt lgkmcnt(0)
	buffer_load_dword v34, off, s[0:3], 0 offset:512
	buffer_load_dword v35, off, s[0:3], 0 offset:516
	;; [unrolled: 1-line block ×32, first 2 shown]
	ds_read_b128 v[30:33], v136 offset:1440
	ds_read_b128 v[26:29], v136 offset:1456
	ds_read_b128 v[22:25], v136 offset:1472
	ds_read_b128 v[18:21], v136 offset:1488
	ds_read_b128 v[10:13], v136 offset:1504
	ds_read_b128 v[6:9], v136 offset:1520
	ds_read_b128 v[2:5], v136 offset:1536
	ds_read_b128 v[14:17], v136 offset:1552
	buffer_load_dword v67, off, s[0:3], 0 offset:652
	buffer_load_dword v66, off, s[0:3], 0 offset:648
	;; [unrolled: 1-line block ×24, first 2 shown]
	v_accvgpr_read_b32 v0, a176
	v_cmp_lt_u32_e32 vcc, 29, v0
	s_waitcnt vmcnt(52) lgkmcnt(7)
	v_mul_f64 v[90:91], v[30:31], v[38:39]
	v_fmac_f64_e32 v[90:91], v[32:33], v[34:35]
	v_add_f64 v[90:91], v[90:91], 0
	v_mul_f64 v[32:33], v[32:33], v[38:39]
	s_waitcnt vmcnt(48) lgkmcnt(6)
	v_mul_f64 v[92:93], v[26:27], v[40:41]
	v_fmac_f64_e32 v[92:93], v[28:29], v[36:37]
	s_waitcnt vmcnt(46) lgkmcnt(5)
	v_mul_f64 v[94:95], v[22:23], v[42:43]
	v_add_f64 v[90:91], v[90:91], v[92:93]
	s_waitcnt vmcnt(44) lgkmcnt(4)
	v_mul_f64 v[96:97], v[18:19], v[48:49]
	v_fma_f64 v[30:31], v[30:31], v[34:35], -v[32:33]
	s_waitcnt vmcnt(42) lgkmcnt(1)
	v_mul_f64 v[124:125], v[2:3], v[50:51]
	v_mul_f64 v[28:29], v[28:29], v[40:41]
	s_waitcnt vmcnt(18) lgkmcnt(0)
	v_mul_f64 v[140:141], v[14:15], v[70:71]
	v_mul_f64 v[100:101], v[6:7], v[54:55]
	s_waitcnt vmcnt(16)
	v_fmac_f64_e32 v[140:141], v[16:17], v[72:73]
	v_mul_f64 v[98:99], v[10:11], v[56:57]
	v_add_f64 v[30:31], v[30:31], 0
	v_fmac_f64_e32 v[98:99], v[12:13], v[58:59]
	v_fma_f64 v[26:27], v[26:27], v[36:37], -v[28:29]
	v_fmac_f64_e32 v[94:95], v[24:25], v[64:65]
	v_add_f64 v[90:91], v[90:91], v[94:95]
	v_fmac_f64_e32 v[96:97], v[20:21], v[62:63]
	v_add_f64 v[90:91], v[90:91], v[96:97]
	;; [unrolled: 2-line block ×3, first 2 shown]
	v_add_f64 v[126:127], v[90:91], v[100:101]
	buffer_load_dword v91, off, s[0:3], 0 offset:748
	buffer_load_dword v90, off, s[0:3], 0 offset:744
	;; [unrolled: 1-line block ×56, first 2 shown]
	v_fmac_f64_e32 v[124:125], v[4:5], v[52:53]
	v_add_f64 v[138:139], v[126:127], v[124:125]
	ds_read_b128 v[124:127], v136 offset:1568
	buffer_load_dword v229, off, s[0:3], 0 offset:956
	buffer_load_dword v228, off, s[0:3], 0 offset:952
	;; [unrolled: 1-line block ×4, first 2 shown]
	v_add_f64 v[142:143], v[138:139], v[140:141]
	ds_read_b128 v[138:141], v136 offset:1584
	v_mul_f64 v[24:25], v[24:25], v[42:43]
	s_waitcnt lgkmcnt(1)
	v_mul_f64 v[144:145], v[124:125], v[66:67]
	v_fmac_f64_e32 v[144:145], v[126:127], v[68:69]
	v_add_f64 v[146:147], v[142:143], v[144:145]
	ds_read_b128 v[142:145], v136 offset:1600
	s_waitcnt vmcnt(62) lgkmcnt(1)
	v_mul_f64 v[148:149], v[138:139], v[78:79]
	v_fmac_f64_e32 v[148:149], v[140:141], v[80:81]
	v_add_f64 v[150:151], v[146:147], v[148:149]
	ds_read_b128 v[146:149], v136 offset:1616
	s_waitcnt lgkmcnt(1)
	v_mul_f64 v[152:153], v[142:143], v[74:75]
	v_fmac_f64_e32 v[152:153], v[144:145], v[76:77]
	v_add_f64 v[154:155], v[150:151], v[152:153]
	ds_read_b128 v[150:153], v136 offset:1632
	s_waitcnt lgkmcnt(1)
	v_mul_f64 v[156:157], v[146:147], v[86:87]
	s_waitcnt vmcnt(60)
	v_fmac_f64_e32 v[156:157], v[148:149], v[88:89]
	v_add_f64 v[158:159], v[154:155], v[156:157]
	ds_read_b128 v[154:157], v136 offset:1648
	s_waitcnt lgkmcnt(1)
	v_mul_f64 v[160:161], v[150:151], v[82:83]
	v_fmac_f64_e32 v[160:161], v[152:153], v[84:85]
	v_add_f64 v[162:163], v[158:159], v[160:161]
	ds_read_b128 v[158:161], v136 offset:1664
	v_add_f64 v[26:27], v[30:31], v[26:27]
	v_fma_f64 v[22:23], v[22:23], v[64:65], -v[24:25]
	s_waitcnt vmcnt(54) lgkmcnt(1)
	v_mul_f64 v[164:165], v[154:155], v[94:95]
	v_mul_f64 v[20:21], v[20:21], v[48:49]
	s_waitcnt vmcnt(52)
	v_fmac_f64_e32 v[164:165], v[156:157], v[96:97]
	v_add_f64 v[166:167], v[162:163], v[164:165]
	ds_read_b128 v[162:165], v136 offset:1680
	s_waitcnt lgkmcnt(1)
	v_mul_f64 v[168:169], v[158:159], v[90:91]
	v_fmac_f64_e32 v[168:169], v[160:161], v[92:93]
	v_add_f64 v[22:23], v[26:27], v[22:23]
	v_fma_f64 v[18:19], v[18:19], v[62:63], -v[20:21]
	v_mul_f64 v[12:13], v[12:13], v[56:57]
	v_add_f64 v[170:171], v[166:167], v[168:169]
	ds_read_b128 v[166:169], v136 offset:1696
	v_add_f64 v[18:19], v[22:23], v[18:19]
	v_fma_f64 v[10:11], v[10:11], v[58:59], -v[12:13]
	v_mul_f64 v[8:9], v[8:9], v[54:55]
	v_add_f64 v[10:11], v[18:19], v[10:11]
	v_fma_f64 v[6:7], v[6:7], v[60:61], -v[8:9]
	v_mul_f64 v[4:5], v[4:5], v[50:51]
	;; [unrolled: 3-line block ×3, first 2 shown]
	s_waitcnt vmcnt(46) lgkmcnt(1)
	v_mul_f64 v[172:173], v[162:163], v[102:103]
	v_add_f64 v[2:3], v[6:7], v[2:3]
	v_fma_f64 v[4:5], v[14:15], v[72:73], -v[4:5]
	s_waitcnt vmcnt(44)
	v_fmac_f64_e32 v[172:173], v[164:165], v[104:105]
	v_add_f64 v[2:3], v[2:3], v[4:5]
	v_mul_f64 v[4:5], v[126:127], v[66:67]
	v_add_f64 v[174:175], v[170:171], v[172:173]
	ds_read_b128 v[170:173], v136 offset:1712
	s_waitcnt lgkmcnt(1)
	v_mul_f64 v[176:177], v[166:167], v[98:99]
	v_fma_f64 v[4:5], v[124:125], v[68:69], -v[4:5]
	v_fmac_f64_e32 v[176:177], v[168:169], v[100:101]
	v_add_f64 v[2:3], v[2:3], v[4:5]
	v_mul_f64 v[4:5], v[140:141], v[78:79]
	v_add_f64 v[178:179], v[174:175], v[176:177]
	ds_read_b128 v[174:177], v136 offset:1728
	v_fma_f64 v[4:5], v[138:139], v[80:81], -v[4:5]
	v_add_f64 v[2:3], v[2:3], v[4:5]
	v_mul_f64 v[4:5], v[144:145], v[74:75]
	v_fma_f64 v[4:5], v[142:143], v[76:77], -v[4:5]
	s_waitcnt vmcnt(38) lgkmcnt(1)
	v_mul_f64 v[180:181], v[170:171], v[110:111]
	v_add_f64 v[2:3], v[2:3], v[4:5]
	v_mul_f64 v[4:5], v[148:149], v[86:87]
	s_waitcnt vmcnt(36)
	v_fmac_f64_e32 v[180:181], v[172:173], v[112:113]
	v_fma_f64 v[4:5], v[146:147], v[88:89], -v[4:5]
	v_add_f64 v[182:183], v[178:179], v[180:181]
	ds_read_b128 v[178:181], v136 offset:1744
	s_waitcnt lgkmcnt(1)
	v_mul_f64 v[184:185], v[174:175], v[106:107]
	v_add_f64 v[2:3], v[2:3], v[4:5]
	v_mul_f64 v[4:5], v[152:153], v[82:83]
	v_fmac_f64_e32 v[184:185], v[176:177], v[108:109]
	v_fma_f64 v[4:5], v[150:151], v[84:85], -v[4:5]
	v_add_f64 v[186:187], v[182:183], v[184:185]
	ds_read_b128 v[182:185], v136 offset:1760
	v_add_f64 v[2:3], v[2:3], v[4:5]
	v_mul_f64 v[4:5], v[156:157], v[94:95]
	v_fma_f64 v[4:5], v[154:155], v[96:97], -v[4:5]
	v_add_f64 v[2:3], v[2:3], v[4:5]
	v_mul_f64 v[4:5], v[160:161], v[90:91]
	s_waitcnt vmcnt(30) lgkmcnt(1)
	v_mul_f64 v[188:189], v[178:179], v[120:121]
	v_fma_f64 v[4:5], v[158:159], v[92:93], -v[4:5]
	s_waitcnt vmcnt(28)
	v_fmac_f64_e32 v[188:189], v[180:181], v[122:123]
	v_add_f64 v[2:3], v[2:3], v[4:5]
	v_mul_f64 v[4:5], v[164:165], v[102:103]
	v_add_f64 v[190:191], v[186:187], v[188:189]
	ds_read_b128 v[186:189], v136 offset:1776
	s_waitcnt lgkmcnt(1)
	v_mul_f64 v[192:193], v[182:183], v[114:115]
	v_fma_f64 v[4:5], v[162:163], v[104:105], -v[4:5]
	v_fmac_f64_e32 v[192:193], v[184:185], v[116:117]
	v_add_f64 v[2:3], v[2:3], v[4:5]
	v_mul_f64 v[4:5], v[168:169], v[98:99]
	v_add_f64 v[194:195], v[190:191], v[192:193]
	ds_read_b128 v[190:193], v136 offset:1792
	v_fma_f64 v[4:5], v[166:167], v[100:101], -v[4:5]
	v_add_f64 v[2:3], v[2:3], v[4:5]
	v_mul_f64 v[4:5], v[172:173], v[110:111]
	v_fma_f64 v[4:5], v[170:171], v[112:113], -v[4:5]
	s_waitcnt vmcnt(22) lgkmcnt(1)
	v_mul_f64 v[196:197], v[186:187], v[132:133]
	v_add_f64 v[2:3], v[2:3], v[4:5]
	v_mul_f64 v[4:5], v[176:177], v[106:107]
	s_waitcnt vmcnt(20)
	v_fmac_f64_e32 v[196:197], v[188:189], v[134:135]
	v_fma_f64 v[4:5], v[174:175], v[108:109], -v[4:5]
	v_add_f64 v[198:199], v[194:195], v[196:197]
	ds_read_b128 v[194:197], v136 offset:1808
	s_waitcnt lgkmcnt(1)
	v_mul_f64 v[200:201], v[190:191], v[128:129]
	v_add_f64 v[2:3], v[2:3], v[4:5]
	v_mul_f64 v[4:5], v[180:181], v[120:121]
	v_fmac_f64_e32 v[200:201], v[192:193], v[130:131]
	v_fma_f64 v[4:5], v[178:179], v[122:123], -v[4:5]
	v_add_f64 v[202:203], v[198:199], v[200:201]
	ds_read_b128 v[198:201], v136 offset:1824
	v_add_f64 v[2:3], v[2:3], v[4:5]
	v_mul_f64 v[4:5], v[184:185], v[114:115]
	v_fma_f64 v[4:5], v[182:183], v[116:117], -v[4:5]
	v_add_f64 v[2:3], v[2:3], v[4:5]
	v_mul_f64 v[4:5], v[188:189], v[132:133]
	s_waitcnt vmcnt(14) lgkmcnt(1)
	v_mul_f64 v[204:205], v[194:195], v[216:217]
	v_fma_f64 v[4:5], v[186:187], v[134:135], -v[4:5]
	s_waitcnt vmcnt(12)
	v_fmac_f64_e32 v[204:205], v[196:197], v[218:219]
	v_add_f64 v[2:3], v[2:3], v[4:5]
	v_mul_f64 v[4:5], v[192:193], v[128:129]
	v_add_f64 v[206:207], v[202:203], v[204:205]
	ds_read_b128 v[202:205], v136 offset:1840
	s_waitcnt lgkmcnt(1)
	v_mul_f64 v[208:209], v[198:199], v[118:119]
	v_fma_f64 v[4:5], v[190:191], v[130:131], -v[4:5]
	v_fmac_f64_e32 v[208:209], v[200:201], v[214:215]
	v_add_f64 v[2:3], v[2:3], v[4:5]
	v_mul_f64 v[4:5], v[196:197], v[216:217]
	v_add_f64 v[232:233], v[206:207], v[208:209]
	ds_read_b128 v[206:209], v136 offset:1856
	v_fma_f64 v[4:5], v[194:195], v[218:219], -v[4:5]
	v_add_f64 v[2:3], v[2:3], v[4:5]
	v_mul_f64 v[4:5], v[200:201], v[118:119]
	ds_read_b128 v[210:213], v136 offset:1872
	v_fma_f64 v[4:5], v[198:199], v[214:215], -v[4:5]
	v_add_f64 v[2:3], v[2:3], v[4:5]
	s_waitcnt vmcnt(6) lgkmcnt(2)
	v_mul_f64 v[4:5], v[204:205], v[224:225]
	v_mul_f64 v[234:235], v[202:203], v[224:225]
	s_waitcnt vmcnt(4)
	v_fma_f64 v[4:5], v[202:203], v[226:227], -v[4:5]
	v_fmac_f64_e32 v[234:235], v[204:205], v[226:227]
	v_add_f64 v[2:3], v[2:3], v[4:5]
	s_waitcnt lgkmcnt(1)
	v_mul_f64 v[4:5], v[208:209], v[220:221]
	v_add_f64 v[136:137], v[232:233], v[234:235]
	v_mul_f64 v[232:233], v[206:207], v[220:221]
	v_fma_f64 v[4:5], v[206:207], v[222:223], -v[4:5]
	v_fmac_f64_e32 v[232:233], v[208:209], v[222:223]
	v_add_f64 v[2:3], v[2:3], v[4:5]
	s_waitcnt vmcnt(2) lgkmcnt(0)
	v_mul_f64 v[4:5], v[212:213], v[228:229]
	v_add_f64 v[136:137], v[136:137], v[232:233]
	v_mul_f64 v[232:233], v[210:211], v[228:229]
	s_waitcnt vmcnt(0)
	v_fma_f64 v[4:5], v[210:211], v[230:231], -v[4:5]
	v_fmac_f64_e32 v[232:233], v[212:213], v[230:231]
	v_add_f64 v[2:3], v[2:3], v[4:5]
	v_add_f64 v[136:137], v[136:137], v[232:233]
	v_add_f64 v[2:3], v[46:47], -v[2:3]
	v_add_f64 v[4:5], v[44:45], -v[136:137]
	buffer_store_dword v3, off, s[0:3], 0 offset:500
	buffer_store_dword v2, off, s[0:3], 0 offset:496
	buffer_store_dword v5, off, s[0:3], 0 offset:508
	buffer_store_dword v4, off, s[0:3], 0 offset:504
	s_and_saveexec_b64 s[4:5], vcc
	s_cbranch_execz .LBB122_309
; %bb.308:
	v_accvgpr_read_b32 v0, a147
	buffer_load_dword v2, v0, s[0:3], 0 offen
	buffer_load_dword v3, v0, s[0:3], 0 offen offset:4
	buffer_load_dword v4, v0, s[0:3], 0 offen offset:8
	;; [unrolled: 1-line block ×3, first 2 shown]
	v_mov_b32_e32 v0, 0
	v_accvgpr_read_b32 v1, a177
	buffer_store_dword v0, off, s[0:3], 0 offset:480
	buffer_store_dword v0, off, s[0:3], 0 offset:484
	;; [unrolled: 1-line block ×4, first 2 shown]
	s_waitcnt vmcnt(4)
	ds_write_b128 v1, v[2:5]
.LBB122_309:
	s_or_b64 exec, exec, s[4:5]
	s_waitcnt lgkmcnt(0)
	; wave barrier
	s_waitcnt lgkmcnt(0)
	buffer_load_dword v38, off, s[0:3], 0 offset:496
	buffer_load_dword v39, off, s[0:3], 0 offset:500
	;; [unrolled: 1-line block ×48, first 2 shown]
	v_mov_b32_e32 v152, 0
	ds_read_b128 v[34:37], v152 offset:1424
	ds_read_b128 v[30:33], v152 offset:1440
	ds_read_b128 v[26:29], v152 offset:1456
	ds_read_b128 v[22:25], v152 offset:1472
	ds_read_b128 v[18:21], v152 offset:1488
	ds_read_b128 v[14:17], v152 offset:1504
	ds_read_b128 v[10:13], v152 offset:1520
	ds_read_b128 v[6:9], v152 offset:1536
	ds_read_b128 v[2:5], v152 offset:1552
	v_accvgpr_read_b32 v0, a176
	v_cmp_lt_u32_e32 vcc, 28, v0
	s_waitcnt vmcnt(44) lgkmcnt(8)
	v_mul_f64 v[86:87], v[34:35], v[42:43]
	v_fmac_f64_e32 v[86:87], v[36:37], v[38:39]
	v_add_f64 v[86:87], v[86:87], 0
	v_mul_f64 v[36:37], v[36:37], v[42:43]
	s_waitcnt vmcnt(40) lgkmcnt(7)
	v_mul_f64 v[88:89], v[30:31], v[44:45]
	v_fmac_f64_e32 v[88:89], v[32:33], v[40:41]
	s_waitcnt vmcnt(38) lgkmcnt(6)
	v_mul_f64 v[90:91], v[26:27], v[46:47]
	v_add_f64 v[86:87], v[86:87], v[88:89]
	s_waitcnt vmcnt(36) lgkmcnt(4)
	v_mul_f64 v[94:95], v[18:19], v[48:49]
	v_fma_f64 v[34:35], v[34:35], v[38:39], -v[36:37]
	s_waitcnt vmcnt(34)
	v_fmac_f64_e32 v[94:95], v[20:21], v[50:51]
	v_mul_f64 v[32:33], v[32:33], v[44:45]
	s_waitcnt vmcnt(32)
	v_mul_f64 v[92:93], v[22:23], v[52:53]
	v_add_f64 v[34:35], v[34:35], 0
	s_waitcnt vmcnt(30) lgkmcnt(2)
	v_mul_f64 v[98:99], v[10:11], v[54:55]
	v_fma_f64 v[30:31], v[30:31], v[40:41], -v[32:33]
	s_waitcnt vmcnt(28)
	v_fmac_f64_e32 v[98:99], v[12:13], v[56:57]
	v_add_f64 v[30:31], v[34:35], v[30:31]
	s_waitcnt vmcnt(26)
	v_mul_f64 v[96:97], v[14:15], v[58:59]
	v_mul_f64 v[20:21], v[20:21], v[48:49]
	v_fma_f64 v[18:19], v[18:19], v[50:51], -v[20:21]
	v_mul_f64 v[12:13], v[12:13], v[54:55]
	s_waitcnt vmcnt(22) lgkmcnt(1)
	v_mul_f64 v[110:111], v[6:7], v[68:69]
	v_fma_f64 v[10:11], v[10:11], v[56:57], -v[12:13]
	s_waitcnt vmcnt(20)
	v_fmac_f64_e32 v[90:91], v[28:29], v[76:77]
	v_add_f64 v[86:87], v[86:87], v[90:91]
	s_waitcnt vmcnt(18)
	v_fmac_f64_e32 v[92:93], v[24:25], v[74:75]
	v_add_f64 v[86:87], v[86:87], v[92:93]
	;; [unrolled: 3-line block ×3, first 2 shown]
	v_add_f64 v[86:87], v[86:87], v[96:97]
	v_add_f64 v[112:113], v[86:87], v[98:99]
	buffer_load_dword v87, off, s[0:3], 0 offset:700
	buffer_load_dword v86, off, s[0:3], 0 offset:696
	;; [unrolled: 1-line block ×72, first 2 shown]
	s_waitcnt vmcnt(62)
	v_fmac_f64_e32 v[110:111], v[8:9], v[70:71]
	v_add_f64 v[144:145], v[112:113], v[110:111]
	ds_read_b128 v[110:113], v152 offset:1568
	s_waitcnt lgkmcnt(1)
	v_mul_f64 v[146:147], v[2:3], v[64:65]
	v_fmac_f64_e32 v[146:147], v[4:5], v[66:67]
	v_add_f64 v[148:149], v[144:145], v[146:147]
	ds_read_b128 v[144:147], v152 offset:1584
	s_waitcnt lgkmcnt(1)
	v_mul_f64 v[150:151], v[110:111], v[82:83]
	;; [unrolled: 5-line block ×5, first 2 shown]
	v_fmac_f64_e32 v[164:165], v[156:157], v[88:89]
	v_add_f64 v[166:167], v[162:163], v[164:165]
	ds_read_b128 v[162:165], v152 offset:1648
	s_waitcnt vmcnt(58) lgkmcnt(1)
	v_mul_f64 v[168:169], v[158:159], v[98:99]
	s_waitcnt vmcnt(56)
	v_fmac_f64_e32 v[168:169], v[160:161], v[100:101]
	v_add_f64 v[170:171], v[166:167], v[168:169]
	ds_read_b128 v[166:169], v152 offset:1664
	s_waitcnt lgkmcnt(1)
	v_mul_f64 v[172:173], v[162:163], v[94:95]
	v_fmac_f64_e32 v[172:173], v[164:165], v[96:97]
	v_mul_f64 v[28:29], v[28:29], v[46:47]
	v_add_f64 v[174:175], v[170:171], v[172:173]
	ds_read_b128 v[170:173], v152 offset:1680
	s_waitcnt vmcnt(50) lgkmcnt(1)
	v_mul_f64 v[176:177], v[166:167], v[106:107]
	v_fma_f64 v[26:27], v[26:27], v[76:77], -v[28:29]
	v_mul_f64 v[24:25], v[24:25], v[52:53]
	s_waitcnt vmcnt(48)
	v_fmac_f64_e32 v[176:177], v[168:169], v[108:109]
	v_add_f64 v[26:27], v[30:31], v[26:27]
	v_fma_f64 v[22:23], v[22:23], v[74:75], -v[24:25]
	v_add_f64 v[178:179], v[174:175], v[176:177]
	ds_read_b128 v[174:177], v152 offset:1696
	v_add_f64 v[22:23], v[26:27], v[22:23]
	v_mul_f64 v[16:17], v[16:17], v[58:59]
	v_add_f64 v[18:19], v[22:23], v[18:19]
	v_fma_f64 v[14:15], v[14:15], v[72:73], -v[16:17]
	v_add_f64 v[14:15], v[18:19], v[14:15]
	v_mul_f64 v[8:9], v[8:9], v[68:69]
	s_waitcnt lgkmcnt(1)
	v_mul_f64 v[180:181], v[170:171], v[102:103]
	v_add_f64 v[10:11], v[14:15], v[10:11]
	v_fma_f64 v[6:7], v[6:7], v[70:71], -v[8:9]
	v_mul_f64 v[4:5], v[4:5], v[64:65]
	v_fmac_f64_e32 v[180:181], v[172:173], v[104:105]
	v_add_f64 v[6:7], v[10:11], v[6:7]
	v_fma_f64 v[2:3], v[2:3], v[66:67], -v[4:5]
	v_mul_f64 v[4:5], v[112:113], v[82:83]
	v_add_f64 v[182:183], v[178:179], v[180:181]
	ds_read_b128 v[178:181], v152 offset:1712
	s_waitcnt vmcnt(42) lgkmcnt(1)
	v_mul_f64 v[184:185], v[174:175], v[120:121]
	v_add_f64 v[2:3], v[6:7], v[2:3]
	v_fma_f64 v[4:5], v[110:111], v[84:85], -v[4:5]
	s_waitcnt vmcnt(40)
	v_fmac_f64_e32 v[184:185], v[176:177], v[122:123]
	v_add_f64 v[2:3], v[2:3], v[4:5]
	v_mul_f64 v[4:5], v[146:147], v[78:79]
	v_add_f64 v[186:187], v[182:183], v[184:185]
	ds_read_b128 v[182:185], v152 offset:1728
	v_fma_f64 v[4:5], v[144:145], v[80:81], -v[4:5]
	v_add_f64 v[2:3], v[2:3], v[4:5]
	v_mul_f64 v[4:5], v[150:151], v[90:91]
	v_fma_f64 v[4:5], v[148:149], v[92:93], -v[4:5]
	s_waitcnt lgkmcnt(1)
	v_mul_f64 v[188:189], v[178:179], v[114:115]
	v_add_f64 v[2:3], v[2:3], v[4:5]
	v_mul_f64 v[4:5], v[156:157], v[86:87]
	v_fmac_f64_e32 v[188:189], v[180:181], v[116:117]
	v_fma_f64 v[4:5], v[154:155], v[88:89], -v[4:5]
	v_add_f64 v[190:191], v[186:187], v[188:189]
	ds_read_b128 v[186:189], v152 offset:1744
	s_waitcnt vmcnt(34) lgkmcnt(1)
	v_mul_f64 v[192:193], v[182:183], v[128:129]
	v_add_f64 v[2:3], v[2:3], v[4:5]
	v_mul_f64 v[4:5], v[160:161], v[98:99]
	s_waitcnt vmcnt(32)
	v_fmac_f64_e32 v[192:193], v[184:185], v[130:131]
	v_fma_f64 v[4:5], v[158:159], v[100:101], -v[4:5]
	v_add_f64 v[194:195], v[190:191], v[192:193]
	ds_read_b128 v[190:193], v152 offset:1760
	v_add_f64 v[2:3], v[2:3], v[4:5]
	v_mul_f64 v[4:5], v[164:165], v[94:95]
	v_fma_f64 v[4:5], v[162:163], v[96:97], -v[4:5]
	v_add_f64 v[2:3], v[2:3], v[4:5]
	v_mul_f64 v[4:5], v[168:169], v[106:107]
	s_waitcnt lgkmcnt(1)
	v_mul_f64 v[196:197], v[186:187], v[124:125]
	v_fma_f64 v[4:5], v[166:167], v[108:109], -v[4:5]
	v_fmac_f64_e32 v[196:197], v[188:189], v[126:127]
	v_add_f64 v[2:3], v[2:3], v[4:5]
	v_mul_f64 v[4:5], v[172:173], v[102:103]
	v_add_f64 v[198:199], v[194:195], v[196:197]
	ds_read_b128 v[194:197], v152 offset:1776
	s_waitcnt vmcnt(26) lgkmcnt(1)
	v_mul_f64 v[200:201], v[190:191], v[136:137]
	v_fma_f64 v[4:5], v[170:171], v[104:105], -v[4:5]
	s_waitcnt vmcnt(24)
	v_fmac_f64_e32 v[200:201], v[192:193], v[138:139]
	v_add_f64 v[2:3], v[2:3], v[4:5]
	v_mul_f64 v[4:5], v[176:177], v[120:121]
	v_add_f64 v[202:203], v[198:199], v[200:201]
	ds_read_b128 v[198:201], v152 offset:1792
	v_fma_f64 v[4:5], v[174:175], v[122:123], -v[4:5]
	v_add_f64 v[2:3], v[2:3], v[4:5]
	v_mul_f64 v[4:5], v[180:181], v[114:115]
	v_fma_f64 v[4:5], v[178:179], v[116:117], -v[4:5]
	s_waitcnt lgkmcnt(1)
	v_mul_f64 v[204:205], v[194:195], v[132:133]
	v_add_f64 v[2:3], v[2:3], v[4:5]
	v_mul_f64 v[4:5], v[184:185], v[128:129]
	v_fmac_f64_e32 v[204:205], v[196:197], v[134:135]
	v_fma_f64 v[4:5], v[182:183], v[130:131], -v[4:5]
	v_add_f64 v[206:207], v[202:203], v[204:205]
	ds_read_b128 v[202:205], v152 offset:1808
	s_waitcnt vmcnt(18) lgkmcnt(1)
	v_mul_f64 v[208:209], v[198:199], v[118:119]
	v_add_f64 v[2:3], v[2:3], v[4:5]
	v_mul_f64 v[4:5], v[188:189], v[124:125]
	s_waitcnt vmcnt(16)
	v_fmac_f64_e32 v[208:209], v[200:201], v[222:223]
	v_fma_f64 v[4:5], v[186:187], v[126:127], -v[4:5]
	v_add_f64 v[210:211], v[206:207], v[208:209]
	ds_read_b128 v[206:209], v152 offset:1824
	v_add_f64 v[2:3], v[2:3], v[4:5]
	v_mul_f64 v[4:5], v[192:193], v[136:137]
	v_fma_f64 v[4:5], v[190:191], v[138:139], -v[4:5]
	v_add_f64 v[2:3], v[2:3], v[4:5]
	v_mul_f64 v[4:5], v[196:197], v[132:133]
	s_waitcnt lgkmcnt(1)
	v_mul_f64 v[212:213], v[202:203], v[140:141]
	v_fma_f64 v[4:5], v[194:195], v[134:135], -v[4:5]
	v_fmac_f64_e32 v[212:213], v[204:205], v[142:143]
	v_add_f64 v[2:3], v[2:3], v[4:5]
	v_mul_f64 v[4:5], v[200:201], v[118:119]
	v_add_f64 v[214:215], v[210:211], v[212:213]
	ds_read_b128 v[210:213], v152 offset:1840
	s_waitcnt vmcnt(10) lgkmcnt(1)
	v_mul_f64 v[216:217], v[206:207], v[228:229]
	v_fma_f64 v[4:5], v[198:199], v[222:223], -v[4:5]
	s_waitcnt vmcnt(8)
	v_fmac_f64_e32 v[216:217], v[208:209], v[230:231]
	v_add_f64 v[2:3], v[2:3], v[4:5]
	v_mul_f64 v[4:5], v[204:205], v[140:141]
	v_add_f64 v[240:241], v[214:215], v[216:217]
	ds_read_b128 v[214:217], v152 offset:1856
	ds_read_b128 v[218:221], v152 offset:1872
	v_fma_f64 v[4:5], v[202:203], v[142:143], -v[4:5]
	v_add_f64 v[2:3], v[2:3], v[4:5]
	v_mul_f64 v[4:5], v[208:209], v[228:229]
	v_fma_f64 v[4:5], v[206:207], v[230:231], -v[4:5]
	v_add_f64 v[2:3], v[2:3], v[4:5]
	s_waitcnt lgkmcnt(2)
	v_mul_f64 v[4:5], v[212:213], v[224:225]
	v_mul_f64 v[242:243], v[210:211], v[224:225]
	v_fma_f64 v[4:5], v[210:211], v[226:227], -v[4:5]
	v_fmac_f64_e32 v[242:243], v[212:213], v[226:227]
	v_add_f64 v[2:3], v[2:3], v[4:5]
	s_waitcnt vmcnt(2) lgkmcnt(1)
	v_mul_f64 v[4:5], v[216:217], v[236:237]
	v_add_f64 v[240:241], v[240:241], v[242:243]
	v_mul_f64 v[242:243], v[214:215], v[236:237]
	s_waitcnt vmcnt(0)
	v_fma_f64 v[4:5], v[214:215], v[238:239], -v[4:5]
	v_fmac_f64_e32 v[242:243], v[216:217], v[238:239]
	v_add_f64 v[2:3], v[2:3], v[4:5]
	s_waitcnt lgkmcnt(0)
	v_mul_f64 v[4:5], v[220:221], v[232:233]
	v_add_f64 v[240:241], v[240:241], v[242:243]
	v_mul_f64 v[242:243], v[218:219], v[232:233]
	v_fma_f64 v[4:5], v[218:219], v[234:235], -v[4:5]
	v_fmac_f64_e32 v[242:243], v[220:221], v[234:235]
	v_add_f64 v[2:3], v[2:3], v[4:5]
	v_add_f64 v[240:241], v[240:241], v[242:243]
	v_add_f64 v[2:3], v[62:63], -v[2:3]
	v_add_f64 v[4:5], v[60:61], -v[240:241]
	buffer_store_dword v3, off, s[0:3], 0 offset:484
	buffer_store_dword v2, off, s[0:3], 0 offset:480
	buffer_store_dword v5, off, s[0:3], 0 offset:492
	buffer_store_dword v4, off, s[0:3], 0 offset:488
	s_and_saveexec_b64 s[4:5], vcc
	s_cbranch_execz .LBB122_311
; %bb.310:
	v_accvgpr_read_b32 v0, a148
	buffer_load_dword v2, v0, s[0:3], 0 offen
	buffer_load_dword v3, v0, s[0:3], 0 offen offset:4
	buffer_load_dword v4, v0, s[0:3], 0 offen offset:8
	;; [unrolled: 1-line block ×3, first 2 shown]
	v_accvgpr_read_b32 v0, a177
	buffer_store_dword v152, off, s[0:3], 0 offset:464
	buffer_store_dword v152, off, s[0:3], 0 offset:468
	;; [unrolled: 1-line block ×4, first 2 shown]
	s_waitcnt vmcnt(4)
	ds_write_b128 v0, v[2:5]
.LBB122_311:
	s_or_b64 exec, exec, s[4:5]
	s_waitcnt lgkmcnt(0)
	; wave barrier
	s_waitcnt lgkmcnt(0)
	buffer_load_dword v48, off, s[0:3], 0 offset:480
	buffer_load_dword v49, off, s[0:3], 0 offset:484
	;; [unrolled: 1-line block ×40, first 2 shown]
	ds_read_b128 v[38:41], v152 offset:1408
	ds_read_b128 v[34:37], v152 offset:1424
	;; [unrolled: 1-line block ×10, first 2 shown]
	buffer_load_dword v83, off, s[0:3], 0 offset:652
	buffer_load_dword v82, off, s[0:3], 0 offset:648
	;; [unrolled: 1-line block ×8, first 2 shown]
	v_accvgpr_read_b32 v1, a176
	v_cmp_lt_u32_e32 vcc, 27, v1
	s_waitcnt vmcnt(44) lgkmcnt(9)
	v_mul_f64 v[90:91], v[38:39], v[50:51]
	v_fmac_f64_e32 v[90:91], v[40:41], v[48:49]
	v_add_f64 v[90:91], v[90:91], 0
	v_mul_f64 v[40:41], v[40:41], v[50:51]
	s_waitcnt vmcnt(40) lgkmcnt(8)
	v_mul_f64 v[92:93], v[34:35], v[44:45]
	v_fmac_f64_e32 v[92:93], v[36:37], v[42:43]
	s_waitcnt vmcnt(38) lgkmcnt(7)
	v_mul_f64 v[94:95], v[30:31], v[46:47]
	v_add_f64 v[90:91], v[90:91], v[92:93]
	s_waitcnt vmcnt(36) lgkmcnt(5)
	v_mul_f64 v[98:99], v[22:23], v[52:53]
	v_mul_f64 v[36:37], v[36:37], v[44:45]
	s_waitcnt vmcnt(34)
	v_fmac_f64_e32 v[98:99], v[24:25], v[54:55]
	v_fma_f64 v[34:35], v[34:35], v[42:43], -v[36:37]
	s_waitcnt vmcnt(32)
	v_mul_f64 v[96:97], v[26:27], v[56:57]
	v_mul_f64 v[24:25], v[24:25], v[52:53]
	s_waitcnt vmcnt(30) lgkmcnt(4)
	v_mul_f64 v[100:101], v[18:19], v[62:63]
	v_fma_f64 v[22:23], v[22:23], v[54:55], -v[24:25]
	s_waitcnt vmcnt(28) lgkmcnt(1)
	v_mul_f64 v[124:125], v[2:3], v[64:65]
	s_waitcnt vmcnt(25)
	v_mul_f64 v[104:105], v[6:7], v[68:69]
	s_waitcnt vmcnt(23)
	;; [unrolled: 2-line block ×3, first 2 shown]
	v_fmac_f64_e32 v[102:103], v[12:13], v[72:73]
	v_mul_f64 v[12:13], v[12:13], v[70:71]
	s_waitcnt vmcnt(19)
	v_fmac_f64_e32 v[94:95], v[32:33], v[80:81]
	v_add_f64 v[90:91], v[90:91], v[94:95]
	s_waitcnt vmcnt(17)
	v_fmac_f64_e32 v[96:97], v[28:29], v[78:79]
	v_add_f64 v[90:91], v[90:91], v[96:97]
	s_waitcnt vmcnt(15)
	v_fmac_f64_e32 v[100:101], v[20:21], v[76:77]
	v_add_f64 v[90:91], v[90:91], v[98:99]
	v_add_f64 v[90:91], v[90:91], v[100:101]
	s_waitcnt vmcnt(13)
	v_fmac_f64_e32 v[104:105], v[8:9], v[74:75]
	v_add_f64 v[90:91], v[90:91], v[102:103]
	v_add_f64 v[126:127], v[90:91], v[104:105]
	buffer_load_dword v91, off, s[0:3], 0 offset:684
	buffer_load_dword v90, off, s[0:3], 0 offset:680
	;; [unrolled: 1-line block ×72, first 2 shown]
	s_waitcnt vmcnt(62)
	v_fmac_f64_e32 v[124:125], v[4:5], v[66:67]
	v_add_f64 v[154:155], v[126:127], v[124:125]
	ds_read_b128 v[124:127], v152 offset:1568
	buffer_load_dword v237, off, s[0:3], 0 offset:956
	buffer_load_dword v236, off, s[0:3], 0 offset:952
	;; [unrolled: 1-line block ×4, first 2 shown]
	s_waitcnt lgkmcnt(1)
	v_mul_f64 v[156:157], v[14:15], v[86:87]
	v_fmac_f64_e32 v[156:157], v[16:17], v[88:89]
	v_add_f64 v[158:159], v[154:155], v[156:157]
	ds_read_b128 v[154:157], v152 offset:1584
	s_waitcnt lgkmcnt(1)
	v_mul_f64 v[160:161], v[124:125], v[82:83]
	v_fmac_f64_e32 v[160:161], v[126:127], v[84:85]
	v_add_f64 v[162:163], v[158:159], v[160:161]
	ds_read_b128 v[158:161], v152 offset:1600
	v_mul_f64 v[32:33], v[32:33], v[46:47]
	s_waitcnt lgkmcnt(1)
	v_mul_f64 v[164:165], v[154:155], v[94:95]
	v_fma_f64 v[30:31], v[30:31], v[80:81], -v[32:33]
	v_fmac_f64_e32 v[164:165], v[156:157], v[96:97]
	v_add_f64 v[166:167], v[162:163], v[164:165]
	ds_read_b128 v[162:165], v152 offset:1616
	s_waitcnt lgkmcnt(1)
	v_mul_f64 v[168:169], v[158:159], v[90:91]
	v_fmac_f64_e32 v[168:169], v[160:161], v[92:93]
	v_add_f64 v[170:171], v[166:167], v[168:169]
	ds_read_b128 v[166:169], v152 offset:1632
	s_waitcnt vmcnt(62) lgkmcnt(1)
	v_mul_f64 v[172:173], v[162:163], v[102:103]
	s_waitcnt vmcnt(60)
	v_fmac_f64_e32 v[172:173], v[164:165], v[104:105]
	v_add_f64 v[174:175], v[170:171], v[172:173]
	ds_read_b128 v[170:173], v152 offset:1648
	s_waitcnt lgkmcnt(1)
	v_mul_f64 v[176:177], v[166:167], v[98:99]
	v_fmac_f64_e32 v[176:177], v[168:169], v[100:101]
	v_add_f64 v[178:179], v[174:175], v[176:177]
	ds_read_b128 v[174:177], v152 offset:1664
	s_waitcnt vmcnt(54) lgkmcnt(1)
	v_mul_f64 v[180:181], v[170:171], v[110:111]
	s_waitcnt vmcnt(52)
	;; [unrolled: 11-line block ×7, first 2 shown]
	v_fmac_f64_e32 v[220:221], v[212:213], v[226:227]
	v_add_f64 v[240:241], v[218:219], v[220:221]
	ds_read_b128 v[218:221], v152 offset:1840
	s_waitcnt lgkmcnt(1)
	v_mul_f64 v[242:243], v[214:215], v[118:119]
	v_fmac_f64_e32 v[242:243], v[216:217], v[222:223]
	v_add_f64 v[240:241], v[240:241], v[242:243]
	v_fma_f64 v[242:243], v[38:39], v[48:49], -v[40:41]
	ds_read_b128 v[38:41], v152 offset:1856
	ds_read_b128 v[48:51], v152 offset:1872
	s_waitcnt vmcnt(6) lgkmcnt(2)
	v_mul_f64 v[244:245], v[218:219], v[232:233]
	s_waitcnt vmcnt(4)
	v_fmac_f64_e32 v[244:245], v[220:221], v[234:235]
	v_add_f64 v[152:153], v[240:241], v[244:245]
	s_waitcnt lgkmcnt(1)
	v_mul_f64 v[240:241], v[38:39], v[228:229]
	v_fmac_f64_e32 v[240:241], v[40:41], v[230:231]
	v_add_f64 v[152:153], v[152:153], v[240:241]
	s_waitcnt vmcnt(2) lgkmcnt(0)
	v_mul_f64 v[240:241], v[48:49], v[236:237]
	s_waitcnt vmcnt(0)
	v_fmac_f64_e32 v[240:241], v[50:51], v[238:239]
	v_add_f64 v[152:153], v[152:153], v[240:241]
	v_add_f64 v[240:241], v[242:243], 0
	;; [unrolled: 1-line block ×3, first 2 shown]
	v_mul_f64 v[28:29], v[28:29], v[56:57]
	v_add_f64 v[30:31], v[34:35], v[30:31]
	v_fma_f64 v[26:27], v[26:27], v[78:79], -v[28:29]
	v_add_f64 v[26:27], v[30:31], v[26:27]
	v_mul_f64 v[20:21], v[20:21], v[62:63]
	v_add_f64 v[22:23], v[26:27], v[22:23]
	v_fma_f64 v[18:19], v[18:19], v[76:77], -v[20:21]
	v_add_f64 v[18:19], v[22:23], v[18:19]
	v_fma_f64 v[10:11], v[10:11], v[72:73], -v[12:13]
	v_mul_f64 v[8:9], v[8:9], v[68:69]
	v_add_f64 v[10:11], v[18:19], v[10:11]
	v_fma_f64 v[6:7], v[6:7], v[74:75], -v[8:9]
	v_mul_f64 v[4:5], v[4:5], v[64:65]
	v_add_f64 v[6:7], v[10:11], v[6:7]
	v_fma_f64 v[2:3], v[2:3], v[66:67], -v[4:5]
	v_mul_f64 v[4:5], v[16:17], v[86:87]
	v_add_f64 v[2:3], v[6:7], v[2:3]
	v_fma_f64 v[4:5], v[14:15], v[88:89], -v[4:5]
	v_add_f64 v[2:3], v[2:3], v[4:5]
	v_mul_f64 v[4:5], v[126:127], v[82:83]
	v_fma_f64 v[4:5], v[124:125], v[84:85], -v[4:5]
	v_add_f64 v[2:3], v[2:3], v[4:5]
	v_mul_f64 v[4:5], v[156:157], v[94:95]
	;; [unrolled: 3-line block ×20, first 2 shown]
	v_fma_f64 v[4:5], v[48:49], v[238:239], -v[4:5]
	v_add_f64 v[2:3], v[2:3], v[4:5]
	v_add_f64 v[2:3], v[60:61], -v[2:3]
	v_add_f64 v[4:5], v[58:59], -v[152:153]
	buffer_store_dword v3, off, s[0:3], 0 offset:468
	buffer_store_dword v2, off, s[0:3], 0 offset:464
	;; [unrolled: 1-line block ×4, first 2 shown]
	s_and_saveexec_b64 s[4:5], vcc
	s_cbranch_execz .LBB122_313
; %bb.312:
	v_accvgpr_read_b32 v0, a149
	buffer_load_dword v2, v0, s[0:3], 0 offen
	buffer_load_dword v3, v0, s[0:3], 0 offen offset:4
	buffer_load_dword v4, v0, s[0:3], 0 offen offset:8
	;; [unrolled: 1-line block ×3, first 2 shown]
	v_mov_b32_e32 v0, 0
	v_accvgpr_read_b32 v6, a177
	buffer_store_dword v0, off, s[0:3], 0 offset:448
	buffer_store_dword v0, off, s[0:3], 0 offset:452
	;; [unrolled: 1-line block ×4, first 2 shown]
	s_waitcnt vmcnt(4)
	ds_write_b128 v6, v[2:5]
.LBB122_313:
	s_or_b64 exec, exec, s[4:5]
	s_waitcnt lgkmcnt(0)
	; wave barrier
	s_waitcnt lgkmcnt(0)
	buffer_load_dword v106, off, s[0:3], 0 offset:464
	buffer_load_dword v107, off, s[0:3], 0 offset:468
	;; [unrolled: 1-line block ×49, first 2 shown]
	v_mov_b32_e32 v228, 0
	ds_read_b128 v[110:113], v228 offset:1392
	ds_read_b128 v[250:253], v228 offset:1408
	;; [unrolled: 1-line block ×10, first 2 shown]
	buffer_load_dword v160, off, s[0:3], 0 offset:656
	buffer_load_dword v175, off, s[0:3], 0 offset:652
	;; [unrolled: 1-line block ×69, first 2 shown]
	v_cmp_lt_u32_e32 vcc, 26, v1
	s_waitcnt vmcnt(62) lgkmcnt(9)
	v_mul_f64 v[34:35], v[110:111], v[108:109]
	v_fmac_f64_e32 v[34:35], v[112:113], v[106:107]
	v_add_f64 v[34:35], v[34:35], 0
	v_mul_f64 v[108:109], v[112:113], v[108:109]
	s_waitcnt lgkmcnt(8)
	v_mul_f64 v[36:37], v[250:251], v[116:117]
	v_fmac_f64_e32 v[36:37], v[252:253], v[114:115]
	s_waitcnt lgkmcnt(7)
	v_mul_f64 v[38:39], v[30:31], v[120:121]
	v_add_f64 v[34:35], v[34:35], v[36:37]
	s_waitcnt lgkmcnt(5)
	v_mul_f64 v[42:43], v[22:23], v[122:123]
	v_mul_f64 v[116:117], v[252:253], v[116:117]
	v_fmac_f64_e32 v[42:43], v[24:25], v[124:125]
	v_fma_f64 v[248:249], v[110:111], v[106:107], -v[108:109]
	v_mul_f64 v[40:41], v[26:27], v[126:127]
	v_fma_f64 v[250:251], v[250:251], v[114:115], -v[116:117]
	s_waitcnt lgkmcnt(3)
	v_mul_f64 v[46:47], v[14:15], v[128:129]
	v_mul_f64 v[24:25], v[24:25], v[122:123]
	v_fmac_f64_e32 v[46:47], v[16:17], v[130:131]
	v_fma_f64 v[22:23], v[22:23], v[124:125], -v[24:25]
	v_mul_f64 v[44:45], v[18:19], v[132:133]
	v_mul_f64 v[16:17], v[16:17], v[128:129]
	s_waitcnt lgkmcnt(1)
	v_mul_f64 v[50:51], v[6:7], v[134:135]
	v_fma_f64 v[14:15], v[14:15], v[130:131], -v[16:17]
	v_fmac_f64_e32 v[50:51], v[8:9], v[136:137]
	v_mul_f64 v[8:9], v[8:9], v[134:135]
	v_mul_f64 v[48:49], v[10:11], v[142:143]
	v_fma_f64 v[6:7], v[6:7], v[136:137], -v[8:9]
	s_waitcnt lgkmcnt(0)
	v_mul_f64 v[52:53], v[2:3], v[138:139]
	v_fmac_f64_e32 v[38:39], v[32:33], v[154:155]
	v_add_f64 v[34:35], v[34:35], v[38:39]
	v_fmac_f64_e32 v[40:41], v[28:29], v[152:153]
	v_add_f64 v[34:35], v[34:35], v[40:41]
	;; [unrolled: 2-line block ×3, first 2 shown]
	v_add_f64 v[34:35], v[34:35], v[44:45]
	v_fmac_f64_e32 v[48:49], v[12:13], v[148:149]
	v_add_f64 v[34:35], v[34:35], v[46:47]
	v_add_f64 v[34:35], v[34:35], v[48:49]
	v_fmac_f64_e32 v[52:53], v[4:5], v[146:147]
	v_add_f64 v[34:35], v[34:35], v[50:51]
	v_add_f64 v[42:43], v[34:35], v[52:53]
	ds_read_b128 v[38:41], v228 offset:1552
	ds_read_b128 v[34:37], v228 offset:1568
	buffer_load_dword v223, off, s[0:3], 0 offset:956
	buffer_load_dword v222, off, s[0:3], 0 offset:952
	;; [unrolled: 1-line block ×8, first 2 shown]
	ds_read_b128 v[110:113], v228 offset:1840
	ds_read_b128 v[106:109], v228 offset:1856
	s_waitcnt lgkmcnt(3)
	v_mul_f64 v[44:45], v[38:39], v[144:145]
	v_fmac_f64_e32 v[44:45], v[40:41], v[156:157]
	v_add_f64 v[46:47], v[42:43], v[44:45]
	ds_read_b128 v[42:45], v228 offset:1584
	s_waitcnt lgkmcnt(3)
	v_mul_f64 v[48:49], v[34:35], v[174:175]
	v_fmac_f64_e32 v[48:49], v[36:37], v[178:179]
	v_add_f64 v[50:51], v[46:47], v[48:49]
	;; [unrolled: 5-line block ×3, first 2 shown]
	ds_read_b128 v[50:53], v228 offset:1616
	s_waitcnt vmcnt(62) lgkmcnt(1)
	v_mul_f64 v[56:57], v[46:47], v[182:183]
	v_fmac_f64_e32 v[56:57], v[48:49], v[186:187]
	v_add_f64 v[58:59], v[54:55], v[56:57]
	ds_read_b128 v[54:57], v228 offset:1632
	s_waitcnt lgkmcnt(1)
	v_mul_f64 v[60:61], v[50:51], v[162:163]
	v_fmac_f64_e32 v[60:61], v[52:53], v[164:165]
	v_add_f64 v[62:63], v[58:59], v[60:61]
	ds_read_b128 v[58:61], v228 offset:1648
	s_waitcnt vmcnt(58) lgkmcnt(1)
	v_mul_f64 v[64:65], v[54:55], v[190:191]
	s_waitcnt vmcnt(56)
	v_fmac_f64_e32 v[64:65], v[56:57], v[194:195]
	v_add_f64 v[66:67], v[62:63], v[64:65]
	ds_read_b128 v[62:65], v228 offset:1664
	s_waitcnt lgkmcnt(1)
	v_mul_f64 v[68:69], v[58:59], v[166:167]
	v_fmac_f64_e32 v[68:69], v[60:61], v[168:169]
	v_add_f64 v[70:71], v[66:67], v[68:69]
	ds_read_b128 v[66:69], v228 offset:1680
	s_waitcnt vmcnt(50) lgkmcnt(1)
	v_mul_f64 v[72:73], v[62:63], v[198:199]
	s_waitcnt vmcnt(48)
	;; [unrolled: 11-line block ×5, first 2 shown]
	v_fmac_f64_e32 v[96:97], v[88:89], v[220:221]
	v_add_f64 v[98:99], v[94:95], v[96:97]
	ds_read_b128 v[94:97], v228 offset:1792
	s_waitcnt lgkmcnt(1)
	v_mul_f64 v[100:101], v[90:91], v[192:193]
	v_fmac_f64_e32 v[100:101], v[92:93], v[196:197]
	v_add_f64 v[118:119], v[98:99], v[100:101]
	ds_read_b128 v[98:101], v228 offset:1808
	ds_read_b128 v[102:105], v228 offset:1824
	;; [unrolled: 1-line block ×3, first 2 shown]
	buffer_load_dword v252, off, s[0:3], 0 offset:456
	buffer_load_dword v253, off, s[0:3], 0 offset:460
	s_waitcnt vmcnt(20) lgkmcnt(3)
	v_mul_f64 v[230:231], v[94:95], v[224:225]
	s_waitcnt vmcnt(18)
	v_fmac_f64_e32 v[230:231], v[96:97], v[236:237]
	v_add_f64 v[118:119], v[118:119], v[230:231]
	s_waitcnt lgkmcnt(2)
	v_mul_f64 v[230:231], v[98:99], v[200:201]
	v_fmac_f64_e32 v[230:231], v[100:101], v[204:205]
	v_add_f64 v[118:119], v[118:119], v[230:231]
	s_waitcnt vmcnt(12) lgkmcnt(1)
	v_mul_f64 v[230:231], v[102:103], v[238:239]
	s_waitcnt vmcnt(10)
	v_fmac_f64_e32 v[230:231], v[104:105], v[240:241]
	v_add_f64 v[118:119], v[118:119], v[230:231]
	v_mul_f64 v[230:231], v[110:111], v[208:209]
	v_fmac_f64_e32 v[230:231], v[112:113], v[212:213]
	v_add_f64 v[118:119], v[118:119], v[230:231]
	s_waitcnt vmcnt(4)
	v_mul_f64 v[230:231], v[106:107], v[242:243]
	v_mul_f64 v[32:33], v[32:33], v[120:121]
	s_waitcnt vmcnt(2)
	v_fmac_f64_e32 v[230:231], v[108:109], v[244:245]
	v_add_f64 v[118:119], v[118:119], v[230:231]
	s_waitcnt lgkmcnt(0)
	v_mul_f64 v[230:231], v[114:115], v[222:223]
	v_fmac_f64_e32 v[230:231], v[116:117], v[226:227]
	v_add_f64 v[246:247], v[118:119], v[230:231]
	v_add_f64 v[118:119], v[248:249], 0
	;; [unrolled: 1-line block ×3, first 2 shown]
	v_fma_f64 v[30:31], v[30:31], v[154:155], -v[32:33]
	v_mul_f64 v[28:29], v[28:29], v[126:127]
	v_add_f64 v[30:31], v[118:119], v[30:31]
	v_fma_f64 v[26:27], v[26:27], v[152:153], -v[28:29]
	v_add_f64 v[26:27], v[30:31], v[26:27]
	v_mul_f64 v[20:21], v[20:21], v[132:133]
	v_add_f64 v[22:23], v[26:27], v[22:23]
	v_fma_f64 v[18:19], v[18:19], v[150:151], -v[20:21]
	v_add_f64 v[18:19], v[22:23], v[18:19]
	;; [unrolled: 4-line block ×3, first 2 shown]
	v_mul_f64 v[4:5], v[4:5], v[138:139]
	v_add_f64 v[6:7], v[10:11], v[6:7]
	v_fma_f64 v[2:3], v[2:3], v[146:147], -v[4:5]
	v_mul_f64 v[4:5], v[40:41], v[144:145]
	v_add_f64 v[2:3], v[6:7], v[2:3]
	v_fma_f64 v[4:5], v[38:39], v[156:157], -v[4:5]
	v_add_f64 v[2:3], v[2:3], v[4:5]
	v_mul_f64 v[4:5], v[36:37], v[174:175]
	v_fma_f64 v[4:5], v[34:35], v[178:179], -v[4:5]
	v_add_f64 v[2:3], v[2:3], v[4:5]
	v_mul_f64 v[4:5], v[44:45], v[158:159]
	;; [unrolled: 3-line block ×20, first 2 shown]
	v_fma_f64 v[4:5], v[114:115], v[226:227], -v[4:5]
	v_add_f64 v[2:3], v[2:3], v[4:5]
	v_add_f64 v[2:3], v[140:141], -v[2:3]
	s_waitcnt vmcnt(0)
	v_add_f64 v[4:5], v[252:253], -v[246:247]
	buffer_store_dword v3, off, s[0:3], 0 offset:452
	buffer_store_dword v2, off, s[0:3], 0 offset:448
	;; [unrolled: 1-line block ×4, first 2 shown]
	s_and_saveexec_b64 s[4:5], vcc
	s_cbranch_execz .LBB122_315
; %bb.314:
	v_accvgpr_read_b32 v0, a150
	buffer_load_dword v2, v0, s[0:3], 0 offen
	buffer_load_dword v3, v0, s[0:3], 0 offen offset:4
	buffer_load_dword v4, v0, s[0:3], 0 offen offset:8
	;; [unrolled: 1-line block ×3, first 2 shown]
	v_accvgpr_read_b32 v0, a177
	buffer_store_dword v228, off, s[0:3], 0 offset:432
	buffer_store_dword v228, off, s[0:3], 0 offset:436
	;; [unrolled: 1-line block ×4, first 2 shown]
	s_waitcnt vmcnt(4)
	ds_write_b128 v0, v[2:5]
.LBB122_315:
	s_or_b64 exec, exec, s[4:5]
	s_waitcnt lgkmcnt(0)
	; wave barrier
	s_waitcnt lgkmcnt(0)
	buffer_load_dword v112, off, s[0:3], 0 offset:448
	buffer_load_dword v113, off, s[0:3], 0 offset:452
	buffer_load_dword v246, off, s[0:3], 0 offset:456
	buffer_load_dword v247, off, s[0:3], 0 offset:460
	buffer_load_dword v110, off, s[0:3], 0 offset:464
	buffer_load_dword v111, off, s[0:3], 0 offset:468
	buffer_load_dword v248, off, s[0:3], 0 offset:472
	buffer_load_dword v249, off, s[0:3], 0 offset:476
	buffer_load_dword v244, off, s[0:3], 0 offset:488
	buffer_load_dword v245, off, s[0:3], 0 offset:492
	buffer_load_dword v121, off, s[0:3], 0 offset:524
	buffer_load_dword v120, off, s[0:3], 0 offset:520
	buffer_load_dword v123, off, s[0:3], 0 offset:516
	buffer_load_dword v122, off, s[0:3], 0 offset:512
	buffer_load_dword v125, off, s[0:3], 0 offset:508
	buffer_load_dword v124, off, s[0:3], 0 offset:504
	buffer_load_dword v127, off, s[0:3], 0 offset:556
	buffer_load_dword v126, off, s[0:3], 0 offset:552
	buffer_load_dword v129, off, s[0:3], 0 offset:548
	buffer_load_dword v128, off, s[0:3], 0 offset:544
	buffer_load_dword v133, off, s[0:3], 0 offset:540
	buffer_load_dword v132, off, s[0:3], 0 offset:536
	buffer_load_dword v131, off, s[0:3], 0 offset:572
	buffer_load_dword v130, off, s[0:3], 0 offset:568
	buffer_load_dword v250, off, s[0:3], 0 offset:480
	buffer_load_dword v251, off, s[0:3], 0 offset:484
	buffer_load_dword v141, off, s[0:3], 0 offset:500
	buffer_load_dword v140, off, s[0:3], 0 offset:496
	buffer_load_dword v139, off, s[0:3], 0 offset:532
	buffer_load_dword v138, off, s[0:3], 0 offset:528
	buffer_load_dword v137, off, s[0:3], 0 offset:564
	buffer_load_dword v136, off, s[0:3], 0 offset:560
	buffer_load_dword v134, off, s[0:3], 0 offset:584
	buffer_load_dword v142, off, s[0:3], 0 offset:576
	buffer_load_dword v143, off, s[0:3], 0 offset:580
	buffer_load_dword v135, off, s[0:3], 0 offset:588
	ds_read_b128 v[102:105], v228 offset:1376
	ds_read_b128 v[106:109], v228 offset:1392
	;; [unrolled: 1-line block ×9, first 2 shown]
	buffer_load_dword v145, off, s[0:3], 0 offset:620
	buffer_load_dword v144, off, s[0:3], 0 offset:616
	;; [unrolled: 1-line block ×78, first 2 shown]
	v_accvgpr_read_b32 v1, a176
	v_cmp_lt_u32_e32 vcc, 25, v1
	s_waitcnt vmcnt(62) lgkmcnt(8)
	v_mul_f64 v[26:27], v[102:103], v[246:247]
	v_fmac_f64_e32 v[26:27], v[104:105], v[112:113]
	v_add_f64 v[26:27], v[26:27], 0
	v_mul_f64 v[104:105], v[104:105], v[246:247]
	s_waitcnt lgkmcnt(7)
	v_mul_f64 v[28:29], v[106:107], v[248:249]
	v_fmac_f64_e32 v[28:29], v[108:109], v[110:111]
	s_waitcnt lgkmcnt(6)
	v_mul_f64 v[30:31], v[114:115], v[244:245]
	v_add_f64 v[26:27], v[26:27], v[28:29]
	s_waitcnt lgkmcnt(4)
	v_mul_f64 v[34:35], v[18:19], v[120:121]
	v_fma_f64 v[246:247], v[102:103], v[112:113], -v[104:105]
	v_fmac_f64_e32 v[34:35], v[20:21], v[122:123]
	v_mul_f64 v[108:109], v[108:109], v[248:249]
	v_mul_f64 v[32:33], v[22:23], v[124:125]
	v_fma_f64 v[248:249], v[106:107], v[110:111], -v[108:109]
	s_waitcnt lgkmcnt(2)
	v_mul_f64 v[38:39], v[10:11], v[126:127]
	v_mul_f64 v[20:21], v[20:21], v[120:121]
	v_fmac_f64_e32 v[38:39], v[12:13], v[128:129]
	v_fma_f64 v[18:19], v[18:19], v[122:123], -v[20:21]
	v_mul_f64 v[36:37], v[14:15], v[132:133]
	v_mul_f64 v[12:13], v[12:13], v[126:127]
	s_waitcnt lgkmcnt(1)
	v_mul_f64 v[40:41], v[6:7], v[130:131]
	v_fma_f64 v[10:11], v[10:11], v[128:129], -v[12:13]
	v_fmac_f64_e32 v[30:31], v[116:117], v[250:251]
	v_add_f64 v[26:27], v[26:27], v[30:31]
	v_fmac_f64_e32 v[32:33], v[24:25], v[140:141]
	v_add_f64 v[26:27], v[26:27], v[32:33]
	;; [unrolled: 2-line block ×3, first 2 shown]
	v_add_f64 v[26:27], v[26:27], v[36:37]
	v_fmac_f64_e32 v[40:41], v[8:9], v[136:137]
	v_add_f64 v[30:31], v[26:27], v[38:39]
	v_add_f64 v[30:31], v[30:31], v[40:41]
	s_waitcnt lgkmcnt(0)
	v_mul_f64 v[32:33], v[2:3], v[134:135]
	v_fmac_f64_e32 v[32:33], v[4:5], v[142:143]
	ds_read_b128 v[26:29], v228 offset:1520
	v_add_f64 v[34:35], v[30:31], v[32:33]
	ds_read_b128 v[30:33], v228 offset:1536
	buffer_load_dword v223, off, s[0:3], 0 offset:884
	buffer_load_dword v222, off, s[0:3], 0 offset:880
	v_mul_f64 v[116:117], v[116:117], v[244:245]
	s_waitcnt lgkmcnt(1)
	v_mul_f64 v[36:37], v[26:27], v[148:149]
	v_fmac_f64_e32 v[36:37], v[28:29], v[150:151]
	v_add_f64 v[38:39], v[34:35], v[36:37]
	ds_read_b128 v[34:37], v228 offset:1552
	s_waitcnt lgkmcnt(1)
	v_mul_f64 v[40:41], v[30:31], v[144:145]
	v_fmac_f64_e32 v[40:41], v[32:33], v[146:147]
	v_add_f64 v[42:43], v[38:39], v[40:41]
	ds_read_b128 v[38:41], v228 offset:1568
	;; [unrolled: 5-line block ×4, first 2 shown]
	buffer_load_dword v225, off, s[0:3], 0 offset:940
	buffer_load_dword v227, off, s[0:3], 0 offset:924
	;; [unrolled: 1-line block ×12, first 2 shown]
	s_waitcnt vmcnt(62) lgkmcnt(1)
	v_mul_f64 v[52:53], v[42:43], v[176:177]
	v_fmac_f64_e32 v[52:53], v[44:45], v[180:181]
	v_add_f64 v[54:55], v[50:51], v[52:53]
	ds_read_b128 v[50:53], v228 offset:1616
	s_waitcnt lgkmcnt(1)
	v_mul_f64 v[56:57], v[46:47], v[156:157]
	v_fmac_f64_e32 v[56:57], v[48:49], v[158:159]
	v_add_f64 v[58:59], v[54:55], v[56:57]
	ds_read_b128 v[54:57], v228 offset:1632
	s_waitcnt lgkmcnt(1)
	v_mul_f64 v[60:61], v[50:51], v[184:185]
	s_waitcnt vmcnt(60)
	v_fmac_f64_e32 v[60:61], v[52:53], v[188:189]
	v_add_f64 v[62:63], v[58:59], v[60:61]
	ds_read_b128 v[58:61], v228 offset:1648
	s_waitcnt lgkmcnt(1)
	v_mul_f64 v[64:65], v[54:55], v[164:165]
	v_fmac_f64_e32 v[64:65], v[56:57], v[166:167]
	v_add_f64 v[66:67], v[62:63], v[64:65]
	ds_read_b128 v[62:65], v228 offset:1664
	s_waitcnt vmcnt(54) lgkmcnt(1)
	v_mul_f64 v[68:69], v[58:59], v[192:193]
	s_waitcnt vmcnt(52)
	v_fmac_f64_e32 v[68:69], v[60:61], v[196:197]
	v_add_f64 v[70:71], v[66:67], v[68:69]
	ds_read_b128 v[66:69], v228 offset:1680
	s_waitcnt lgkmcnt(1)
	v_mul_f64 v[72:73], v[62:63], v[168:169]
	v_fmac_f64_e32 v[72:73], v[64:65], v[170:171]
	v_add_f64 v[74:75], v[70:71], v[72:73]
	ds_read_b128 v[70:73], v228 offset:1696
	s_waitcnt vmcnt(46) lgkmcnt(1)
	;; [unrolled: 11-line block ×4, first 2 shown]
	v_mul_f64 v[92:93], v[82:83], v[212:213]
	s_waitcnt vmcnt(28)
	v_fmac_f64_e32 v[92:93], v[84:85], v[214:215]
	v_add_f64 v[98:99], v[90:91], v[92:93]
	ds_read_b128 v[90:93], v228 offset:1776
	ds_read_b128 v[94:97], v228 offset:1792
	s_waitcnt lgkmcnt(2)
	v_mul_f64 v[100:101], v[86:87], v[186:187]
	v_fmac_f64_e32 v[100:101], v[88:89], v[190:191]
	v_add_f64 v[98:99], v[98:99], v[100:101]
	s_waitcnt vmcnt(22) lgkmcnt(1)
	v_mul_f64 v[100:101], v[90:91], v[216:217]
	s_waitcnt vmcnt(20)
	v_fmac_f64_e32 v[100:101], v[92:93], v[218:219]
	v_add_f64 v[98:99], v[98:99], v[100:101]
	s_waitcnt lgkmcnt(0)
	v_mul_f64 v[100:101], v[94:95], v[194:195]
	v_fmac_f64_e32 v[100:101], v[96:97], v[198:199]
	v_add_f64 v[118:119], v[98:99], v[100:101]
	ds_read_b128 v[98:101], v228 offset:1808
	ds_read_b128 v[102:105], v228 offset:1824
	;; [unrolled: 1-line block ×3, first 2 shown]
	v_fma_f64 v[250:251], v[114:115], v[250:251], -v[116:117]
	ds_read_b128 v[114:117], v228 offset:1872
	s_waitcnt vmcnt(14) lgkmcnt(3)
	v_mul_f64 v[112:113], v[98:99], v[220:221]
	s_waitcnt lgkmcnt(2)
	v_mul_f64 v[110:111], v[102:103], v[202:203]
	s_waitcnt vmcnt(12)
	v_fmac_f64_e32 v[112:113], v[100:101], v[222:223]
	v_add_f64 v[112:113], v[118:119], v[112:113]
	v_fmac_f64_e32 v[110:111], v[104:105], v[206:207]
	v_add_f64 v[118:119], v[112:113], v[110:111]
	ds_read_b128 v[110:113], v228 offset:1856
	buffer_load_dword v254, off, s[0:3], 0 offset:432
	buffer_load_dword v255, off, s[0:3], 0 offset:436
	;; [unrolled: 1-line block ×4, first 2 shown]
	v_mul_f64 v[24:25], v[24:25], v[124:125]
	v_fma_f64 v[22:23], v[22:23], v[140:141], -v[24:25]
	v_mul_f64 v[16:17], v[16:17], v[132:133]
	s_waitcnt vmcnt(13) lgkmcnt(2)
	v_mul_f64 v[230:231], v[106:107], v[226:227]
	v_fma_f64 v[14:15], v[14:15], v[138:139], -v[16:17]
	s_waitcnt vmcnt(11)
	v_fmac_f64_e32 v[230:231], v[108:109], v[240:241]
	s_waitcnt vmcnt(10) lgkmcnt(0)
	v_mul_f64 v[228:229], v[110:111], v[224:225]
	v_add_f64 v[118:119], v[118:119], v[230:231]
	s_waitcnt vmcnt(8)
	v_fmac_f64_e32 v[228:229], v[112:113], v[238:239]
	v_add_f64 v[118:119], v[118:119], v[228:229]
	s_waitcnt vmcnt(6)
	v_mul_f64 v[228:229], v[114:115], v[236:237]
	v_mul_f64 v[8:9], v[8:9], v[130:131]
	s_waitcnt vmcnt(4)
	v_fmac_f64_e32 v[228:229], v[116:117], v[242:243]
	v_add_f64 v[244:245], v[118:119], v[228:229]
	v_add_f64 v[118:119], v[246:247], 0
	;; [unrolled: 1-line block ×8, first 2 shown]
	v_fma_f64 v[6:7], v[6:7], v[136:137], -v[8:9]
	v_mul_f64 v[4:5], v[4:5], v[134:135]
	v_add_f64 v[6:7], v[10:11], v[6:7]
	v_fma_f64 v[2:3], v[2:3], v[142:143], -v[4:5]
	v_mul_f64 v[4:5], v[28:29], v[148:149]
	v_add_f64 v[2:3], v[6:7], v[2:3]
	v_fma_f64 v[4:5], v[26:27], v[150:151], -v[4:5]
	v_add_f64 v[2:3], v[2:3], v[4:5]
	v_mul_f64 v[4:5], v[32:33], v[144:145]
	v_fma_f64 v[4:5], v[30:31], v[146:147], -v[4:5]
	v_add_f64 v[2:3], v[2:3], v[4:5]
	v_mul_f64 v[4:5], v[36:37], v[160:161]
	;; [unrolled: 3-line block ×22, first 2 shown]
	v_fma_f64 v[4:5], v[114:115], v[242:243], -v[4:5]
	v_add_f64 v[2:3], v[2:3], v[4:5]
	s_waitcnt vmcnt(2)
	v_add_f64 v[2:3], v[254:255], -v[2:3]
	s_waitcnt vmcnt(0)
	v_add_f64 v[4:5], v[252:253], -v[244:245]
	buffer_store_dword v3, off, s[0:3], 0 offset:436
	buffer_store_dword v2, off, s[0:3], 0 offset:432
	;; [unrolled: 1-line block ×4, first 2 shown]
	s_and_saveexec_b64 s[4:5], vcc
	s_cbranch_execz .LBB122_317
; %bb.316:
	v_accvgpr_read_b32 v0, a151
	buffer_load_dword v2, v0, s[0:3], 0 offen
	buffer_load_dword v3, v0, s[0:3], 0 offen offset:4
	buffer_load_dword v4, v0, s[0:3], 0 offen offset:8
	buffer_load_dword v5, v0, s[0:3], 0 offen offset:12
	v_mov_b32_e32 v0, 0
	v_accvgpr_read_b32 v6, a177
	buffer_store_dword v0, off, s[0:3], 0 offset:416
	buffer_store_dword v0, off, s[0:3], 0 offset:420
	;; [unrolled: 1-line block ×4, first 2 shown]
	s_waitcnt vmcnt(4)
	ds_write_b128 v6, v[2:5]
.LBB122_317:
	s_or_b64 exec, exec, s[4:5]
	s_waitcnt lgkmcnt(0)
	; wave barrier
	s_waitcnt lgkmcnt(0)
	buffer_load_dword v94, off, s[0:3], 0 offset:432
	buffer_load_dword v95, off, s[0:3], 0 offset:436
	;; [unrolled: 1-line block ×52, first 2 shown]
	v_mov_b32_e32 v228, 0
	ds_read_b128 v[102:105], v228 offset:1360
	ds_read_b128 v[114:117], v228 offset:1376
	;; [unrolled: 1-line block ×10, first 2 shown]
	v_cmp_lt_u32_e32 vcc, 24, v1
	s_waitcnt vmcnt(48) lgkmcnt(9)
	v_mul_f64 v[26:27], v[102:103], v[96:97]
	v_fmac_f64_e32 v[26:27], v[104:105], v[94:95]
	v_add_f64 v[26:27], v[26:27], 0
	v_mul_f64 v[96:97], v[104:105], v[96:97]
	s_waitcnt vmcnt(44) lgkmcnt(8)
	v_mul_f64 v[28:29], v[114:115], v[100:101]
	v_fmac_f64_e32 v[28:29], v[116:117], v[98:99]
	s_waitcnt vmcnt(42) lgkmcnt(7)
	v_mul_f64 v[30:31], v[244:245], v[106:107]
	v_add_f64 v[26:27], v[26:27], v[28:29]
	s_waitcnt vmcnt(40) lgkmcnt(5)
	v_mul_f64 v[34:35], v[22:23], v[122:123]
	v_fma_f64 v[230:231], v[102:103], v[94:95], -v[96:97]
	s_waitcnt vmcnt(38)
	v_fmac_f64_e32 v[34:35], v[24:25], v[126:127]
	v_mul_f64 v[100:101], v[116:117], v[100:101]
	s_waitcnt vmcnt(36)
	v_mul_f64 v[32:33], v[250:251], v[110:111]
	v_fma_f64 v[232:233], v[114:115], v[98:99], -v[100:101]
	s_waitcnt vmcnt(34) lgkmcnt(3)
	v_mul_f64 v[38:39], v[14:15], v[120:121]
	v_mul_f64 v[106:107], v[246:247], v[106:107]
	s_waitcnt vmcnt(32)
	v_fmac_f64_e32 v[38:39], v[16:17], v[124:125]
	v_mul_f64 v[110:111], v[252:253], v[110:111]
	s_waitcnt vmcnt(30)
	v_mul_f64 v[36:37], v[18:19], v[132:133]
	v_mul_f64 v[24:25], v[24:25], v[122:123]
	v_fma_f64 v[22:23], v[22:23], v[126:127], -v[24:25]
	s_waitcnt vmcnt(27) lgkmcnt(2)
	v_mul_f64 v[40:41], v[10:11], v[130:131]
	s_waitcnt vmcnt(26) lgkmcnt(1)
	v_mul_f64 v[42:43], v[6:7], v[128:129]
	v_mul_f64 v[16:17], v[16:17], v[120:121]
	s_waitcnt vmcnt(24)
	v_fmac_f64_e32 v[30:31], v[246:247], v[108:109]
	v_add_f64 v[26:27], v[26:27], v[30:31]
	s_waitcnt vmcnt(22)
	v_fmac_f64_e32 v[32:33], v[252:253], v[112:113]
	v_add_f64 v[26:27], v[26:27], v[32:33]
	;; [unrolled: 3-line block ×3, first 2 shown]
	v_add_f64 v[26:27], v[26:27], v[36:37]
	s_waitcnt vmcnt(18)
	v_fmac_f64_e32 v[40:41], v[12:13], v[134:135]
	v_add_f64 v[26:27], v[26:27], v[38:39]
	v_add_f64 v[26:27], v[26:27], v[40:41]
	s_waitcnt vmcnt(16)
	v_fmac_f64_e32 v[42:43], v[8:9], v[140:141]
	v_add_f64 v[34:35], v[26:27], v[42:43]
	ds_read_b128 v[26:29], v228 offset:1520
	ds_read_b128 v[30:33], v228 offset:1536
	buffer_load_dword v157, off, s[0:3], 0 offset:668
	buffer_load_dword v156, off, s[0:3], 0 offset:664
	buffer_load_dword v159, off, s[0:3], 0 offset:660
	buffer_load_dword v158, off, s[0:3], 0 offset:656
	buffer_load_dword v173, off, s[0:3], 0 offset:652
	buffer_load_dword v172, off, s[0:3], 0 offset:648
	buffer_load_dword v177, off, s[0:3], 0 offset:644
	buffer_load_dword v176, off, s[0:3], 0 offset:640
	buffer_load_dword v161, off, s[0:3], 0 offset:700
	buffer_load_dword v160, off, s[0:3], 0 offset:696
	buffer_load_dword v163, off, s[0:3], 0 offset:692
	buffer_load_dword v162, off, s[0:3], 0 offset:688
	buffer_load_dword v181, off, s[0:3], 0 offset:684
	buffer_load_dword v180, off, s[0:3], 0 offset:680
	buffer_load_dword v185, off, s[0:3], 0 offset:676
	buffer_load_dword v184, off, s[0:3], 0 offset:672
	buffer_load_dword v165, off, s[0:3], 0 offset:732
	buffer_load_dword v164, off, s[0:3], 0 offset:728
	buffer_load_dword v167, off, s[0:3], 0 offset:724
	buffer_load_dword v166, off, s[0:3], 0 offset:720
	buffer_load_dword v189, off, s[0:3], 0 offset:716
	buffer_load_dword v188, off, s[0:3], 0 offset:712
	buffer_load_dword v193, off, s[0:3], 0 offset:708
	buffer_load_dword v192, off, s[0:3], 0 offset:704
	buffer_load_dword v169, off, s[0:3], 0 offset:764
	buffer_load_dword v168, off, s[0:3], 0 offset:760
	buffer_load_dword v171, off, s[0:3], 0 offset:756
	buffer_load_dword v170, off, s[0:3], 0 offset:752
	buffer_load_dword v197, off, s[0:3], 0 offset:748
	buffer_load_dword v196, off, s[0:3], 0 offset:744
	buffer_load_dword v199, off, s[0:3], 0 offset:740
	buffer_load_dword v198, off, s[0:3], 0 offset:736
	buffer_load_dword v175, off, s[0:3], 0 offset:796
	buffer_load_dword v174, off, s[0:3], 0 offset:792
	buffer_load_dword v179, off, s[0:3], 0 offset:788
	buffer_load_dword v178, off, s[0:3], 0 offset:784
	buffer_load_dword v203, off, s[0:3], 0 offset:780
	buffer_load_dword v202, off, s[0:3], 0 offset:776
	buffer_load_dword v207, off, s[0:3], 0 offset:772
	buffer_load_dword v206, off, s[0:3], 0 offset:768
	buffer_load_dword v183, off, s[0:3], 0 offset:828
	buffer_load_dword v182, off, s[0:3], 0 offset:824
	buffer_load_dword v187, off, s[0:3], 0 offset:820
	buffer_load_dword v186, off, s[0:3], 0 offset:816
	buffer_load_dword v211, off, s[0:3], 0 offset:812
	buffer_load_dword v210, off, s[0:3], 0 offset:808
	buffer_load_dword v217, off, s[0:3], 0 offset:804
	buffer_load_dword v216, off, s[0:3], 0 offset:800
	buffer_load_dword v191, off, s[0:3], 0 offset:860
	buffer_load_dword v190, off, s[0:3], 0 offset:856
	buffer_load_dword v195, off, s[0:3], 0 offset:852
	buffer_load_dword v215, off, s[0:3], 0 offset:844
	buffer_load_dword v214, off, s[0:3], 0 offset:840
	buffer_load_dword v219, off, s[0:3], 0 offset:836
	buffer_load_dword v218, off, s[0:3], 0 offset:832
	buffer_load_dword v194, off, s[0:3], 0 offset:848
	s_waitcnt vmcnt(62) lgkmcnt(2)
	v_mul_f64 v[36:37], v[2:3], v[144:145]
	v_fmac_f64_e32 v[36:37], v[4:5], v[146:147]
	v_add_f64 v[34:35], v[34:35], v[36:37]
	s_waitcnt lgkmcnt(1)
	v_mul_f64 v[36:37], v[26:27], v[138:139]
	v_fmac_f64_e32 v[36:37], v[28:29], v[142:143]
	v_add_f64 v[34:35], v[34:35], v[36:37]
	s_waitcnt lgkmcnt(0)
	v_mul_f64 v[36:37], v[30:31], v[148:149]
	s_waitcnt vmcnt(60)
	v_fmac_f64_e32 v[36:37], v[32:33], v[152:153]
	v_add_f64 v[42:43], v[34:35], v[36:37]
	ds_read_b128 v[34:37], v228 offset:1552
	buffer_load_dword v201, off, s[0:3], 0 offset:892
	buffer_load_dword v200, off, s[0:3], 0 offset:888
	;; [unrolled: 1-line block ×16, first 2 shown]
	ds_read_b128 v[38:41], v228 offset:1568
	buffer_load_dword v223, off, s[0:3], 0 offset:956
	buffer_load_dword v222, off, s[0:3], 0 offset:952
	;; [unrolled: 1-line block ×8, first 2 shown]
	ds_read_b128 v[98:101], v228 offset:1808
	s_waitcnt vmcnt(62) lgkmcnt(2)
	v_mul_f64 v[44:45], v[34:35], v[150:151]
	v_fmac_f64_e32 v[44:45], v[36:37], v[154:155]
	v_add_f64 v[46:47], v[42:43], v[44:45]
	ds_read_b128 v[42:45], v228 offset:1584
	v_fma_f64 v[248:249], v[244:245], v[108:109], -v[106:107]
	ds_read_b128 v[106:109], v228 offset:1840
	v_fma_f64 v[246:247], v[250:251], v[112:113], -v[110:111]
	v_mul_f64 v[20:21], v[20:21], v[132:133]
	v_fma_f64 v[18:19], v[18:19], v[136:137], -v[20:21]
	v_fma_f64 v[14:15], v[14:15], v[124:125], -v[16:17]
	v_mul_f64 v[12:13], v[12:13], v[130:131]
	v_fma_f64 v[10:11], v[10:11], v[134:135], -v[12:13]
	v_mul_f64 v[8:9], v[8:9], v[128:129]
	;; [unrolled: 2-line block ×3, first 2 shown]
	s_waitcnt lgkmcnt(3)
	v_mul_f64 v[48:49], v[38:39], v[172:173]
	v_fma_f64 v[2:3], v[2:3], v[146:147], -v[4:5]
	v_fmac_f64_e32 v[48:49], v[40:41], v[176:177]
	v_add_f64 v[50:51], v[46:47], v[48:49]
	ds_read_b128 v[46:49], v228 offset:1600
	s_waitcnt lgkmcnt(2)
	v_mul_f64 v[52:53], v[42:43], v[156:157]
	v_fmac_f64_e32 v[52:53], v[44:45], v[158:159]
	v_add_f64 v[54:55], v[50:51], v[52:53]
	ds_read_b128 v[50:53], v228 offset:1616
	s_waitcnt lgkmcnt(1)
	v_mul_f64 v[56:57], v[46:47], v[180:181]
	;; [unrolled: 5-line block ×3, first 2 shown]
	v_fmac_f64_e32 v[60:61], v[52:53], v[162:163]
	v_add_f64 v[62:63], v[58:59], v[60:61]
	ds_read_b128 v[58:61], v228 offset:1648
	s_waitcnt vmcnt(58) lgkmcnt(1)
	v_mul_f64 v[64:65], v[54:55], v[188:189]
	s_waitcnt vmcnt(56)
	v_fmac_f64_e32 v[64:65], v[56:57], v[192:193]
	v_add_f64 v[66:67], v[62:63], v[64:65]
	ds_read_b128 v[62:65], v228 offset:1664
	s_waitcnt lgkmcnt(1)
	v_mul_f64 v[68:69], v[58:59], v[164:165]
	v_fmac_f64_e32 v[68:69], v[60:61], v[166:167]
	v_add_f64 v[70:71], v[66:67], v[68:69]
	ds_read_b128 v[66:69], v228 offset:1680
	s_waitcnt vmcnt(50) lgkmcnt(1)
	v_mul_f64 v[72:73], v[62:63], v[196:197]
	s_waitcnt vmcnt(48)
	v_fmac_f64_e32 v[72:73], v[64:65], v[198:199]
	v_add_f64 v[74:75], v[70:71], v[72:73]
	ds_read_b128 v[70:73], v228 offset:1696
	s_waitcnt lgkmcnt(1)
	v_mul_f64 v[76:77], v[66:67], v[168:169]
	;; [unrolled: 11-line block ×3, first 2 shown]
	v_fmac_f64_e32 v[84:85], v[76:77], v[178:179]
	v_add_f64 v[90:91], v[82:83], v[84:85]
	ds_read_b128 v[82:85], v228 offset:1744
	ds_read_b128 v[86:89], v228 offset:1760
	s_waitcnt vmcnt(34) lgkmcnt(2)
	v_mul_f64 v[92:93], v[78:79], v[210:211]
	s_waitcnt vmcnt(32)
	v_fmac_f64_e32 v[92:93], v[80:81], v[216:217]
	v_add_f64 v[90:91], v[90:91], v[92:93]
	s_waitcnt lgkmcnt(1)
	v_mul_f64 v[92:93], v[82:83], v[182:183]
	v_fmac_f64_e32 v[92:93], v[84:85], v[186:187]
	v_add_f64 v[90:91], v[90:91], v[92:93]
	s_waitcnt vmcnt(27) lgkmcnt(0)
	v_mul_f64 v[92:93], v[86:87], v[214:215]
	s_waitcnt vmcnt(25)
	v_fmac_f64_e32 v[92:93], v[88:89], v[218:219]
	v_add_f64 v[118:119], v[90:91], v[92:93]
	ds_read_b128 v[90:93], v228 offset:1776
	ds_read_b128 v[94:97], v228 offset:1792
	;; [unrolled: 1-line block ×3, first 2 shown]
	v_mul_f64 v[4:5], v[28:29], v[138:139]
	v_fma_f64 v[4:5], v[26:27], v[142:143], -v[4:5]
	s_waitcnt lgkmcnt(2)
	v_mul_f64 v[102:103], v[90:91], v[190:191]
	s_waitcnt vmcnt(24)
	v_fmac_f64_e32 v[102:103], v[92:93], v[194:195]
	s_waitcnt vmcnt(18) lgkmcnt(1)
	v_mul_f64 v[104:105], v[94:95], v[220:221]
	v_add_f64 v[102:103], v[118:119], v[102:103]
	s_waitcnt vmcnt(16)
	v_fmac_f64_e32 v[104:105], v[96:97], v[224:225]
	v_add_f64 v[102:103], v[102:103], v[104:105]
	v_mul_f64 v[104:105], v[98:99], v[200:201]
	v_fmac_f64_e32 v[104:105], v[100:101], v[204:205]
	v_add_f64 v[114:115], v[102:103], v[104:105]
	ds_read_b128 v[102:105], v228 offset:1824
	s_waitcnt vmcnt(10) lgkmcnt(0)
	v_mul_f64 v[116:117], v[102:103], v[236:237]
	s_waitcnt vmcnt(8)
	v_fmac_f64_e32 v[116:117], v[104:105], v[238:239]
	v_add_f64 v[114:115], v[114:115], v[116:117]
	v_mul_f64 v[116:117], v[106:107], v[208:209]
	v_fmac_f64_e32 v[116:117], v[108:109], v[212:213]
	v_add_f64 v[114:115], v[114:115], v[116:117]
	s_waitcnt vmcnt(2)
	v_mul_f64 v[116:117], v[110:111], v[240:241]
	s_waitcnt vmcnt(0)
	v_fmac_f64_e32 v[116:117], v[112:113], v[242:243]
	v_add_f64 v[118:119], v[114:115], v[116:117]
	ds_read_b128 v[114:117], v228 offset:1872
	buffer_load_dword v252, off, s[0:3], 0 offset:416
	buffer_load_dword v253, off, s[0:3], 0 offset:420
	s_waitcnt lgkmcnt(0)
	v_mul_f64 v[234:235], v[114:115], v[222:223]
	v_fmac_f64_e32 v[234:235], v[116:117], v[226:227]
	v_add_f64 v[244:245], v[118:119], v[234:235]
	v_add_f64 v[118:119], v[230:231], 0
	v_add_f64 v[250:251], v[118:119], v[232:233]
	v_add_f64 v[118:119], v[250:251], v[248:249]
	buffer_load_dword v248, off, s[0:3], 0 offset:424
	buffer_load_dword v249, off, s[0:3], 0 offset:428
	v_add_f64 v[118:119], v[118:119], v[246:247]
	v_add_f64 v[22:23], v[118:119], v[22:23]
	;; [unrolled: 1-line block ×8, first 2 shown]
	v_mul_f64 v[4:5], v[32:33], v[148:149]
	v_fma_f64 v[4:5], v[30:31], v[152:153], -v[4:5]
	v_add_f64 v[2:3], v[2:3], v[4:5]
	v_mul_f64 v[4:5], v[36:37], v[150:151]
	v_fma_f64 v[4:5], v[34:35], v[154:155], -v[4:5]
	v_add_f64 v[2:3], v[2:3], v[4:5]
	;; [unrolled: 3-line block ×22, first 2 shown]
	s_waitcnt vmcnt(2)
	v_add_f64 v[2:3], v[252:253], -v[2:3]
	s_waitcnt vmcnt(0)
	v_add_f64 v[4:5], v[248:249], -v[244:245]
	buffer_store_dword v3, off, s[0:3], 0 offset:420
	buffer_store_dword v2, off, s[0:3], 0 offset:416
	;; [unrolled: 1-line block ×4, first 2 shown]
	s_and_saveexec_b64 s[4:5], vcc
	s_cbranch_execz .LBB122_319
; %bb.318:
	v_accvgpr_read_b32 v0, a152
	buffer_load_dword v2, v0, s[0:3], 0 offen
	buffer_load_dword v3, v0, s[0:3], 0 offen offset:4
	buffer_load_dword v4, v0, s[0:3], 0 offen offset:8
	;; [unrolled: 1-line block ×3, first 2 shown]
	v_accvgpr_read_b32 v0, a177
	buffer_store_dword v228, off, s[0:3], 0 offset:400
	buffer_store_dword v228, off, s[0:3], 0 offset:404
	;; [unrolled: 1-line block ×4, first 2 shown]
	s_waitcnt vmcnt(4)
	ds_write_b128 v0, v[2:5]
.LBB122_319:
	s_or_b64 exec, exec, s[4:5]
	s_waitcnt lgkmcnt(0)
	; wave barrier
	s_waitcnt lgkmcnt(0)
	buffer_load_dword v86, off, s[0:3], 0 offset:416
	buffer_load_dword v87, off, s[0:3], 0 offset:420
	;; [unrolled: 1-line block ×42, first 2 shown]
	ds_read_b128 v[94:97], v228 offset:1344
	ds_read_b128 v[106:109], v228 offset:1360
	;; [unrolled: 1-line block ×10, first 2 shown]
	buffer_load_dword v147, off, s[0:3], 0 offset:564
	buffer_load_dword v146, off, s[0:3], 0 offset:560
	ds_read_b128 v[6:9], v228 offset:1504
	buffer_load_dword v143, off, s[0:3], 0 offset:620
	buffer_load_dword v142, off, s[0:3], 0 offset:616
	;; [unrolled: 1-line block ×80, first 2 shown]
	v_accvgpr_read_b32 v1, a176
	v_cmp_lt_u32_e32 vcc, 23, v1
	s_waitcnt vmcnt(62) lgkmcnt(10)
	v_mul_f64 v[26:27], v[94:95], v[88:89]
	v_fmac_f64_e32 v[26:27], v[96:97], v[86:87]
	v_add_f64 v[26:27], v[26:27], 0
	v_mul_f64 v[88:89], v[96:97], v[88:89]
	s_waitcnt lgkmcnt(9)
	v_mul_f64 v[28:29], v[106:107], v[92:93]
	v_fmac_f64_e32 v[28:29], v[108:109], v[90:91]
	s_waitcnt lgkmcnt(8)
	v_mul_f64 v[30:31], v[114:115], v[98:99]
	v_add_f64 v[26:27], v[26:27], v[28:29]
	s_waitcnt lgkmcnt(6)
	v_mul_f64 v[34:35], v[248:249], v[110:111]
	v_fma_f64 v[230:231], v[94:95], v[86:87], -v[88:89]
	v_fmac_f64_e32 v[34:35], v[250:251], v[112:113]
	v_mul_f64 v[92:93], v[108:109], v[92:93]
	v_mul_f64 v[32:33], v[244:245], v[102:103]
	;; [unrolled: 1-line block ×3, first 2 shown]
	s_waitcnt lgkmcnt(4)
	v_mul_f64 v[38:39], v[18:19], v[120:121]
	v_mul_f64 v[102:103], v[246:247], v[102:103]
	v_fmac_f64_e32 v[38:39], v[20:21], v[122:123]
	v_mul_f64 v[110:111], v[250:251], v[110:111]
	v_mul_f64 v[36:37], v[22:23], v[124:125]
	v_fma_f64 v[248:249], v[248:249], v[112:113], -v[110:111]
	s_waitcnt lgkmcnt(2)
	v_mul_f64 v[42:43], v[10:11], v[126:127]
	v_mul_f64 v[20:21], v[20:21], v[120:121]
	v_fma_f64 v[18:19], v[18:19], v[122:123], -v[20:21]
	v_mul_f64 v[40:41], v[14:15], v[132:133]
	s_waitcnt lgkmcnt(1)
	v_mul_f64 v[44:45], v[2:3], v[130:131]
	v_fmac_f64_e32 v[30:31], v[116:117], v[100:101]
	v_add_f64 v[26:27], v[26:27], v[30:31]
	v_fmac_f64_e32 v[32:33], v[246:247], v[104:105]
	v_add_f64 v[26:27], v[26:27], v[32:33]
	v_fmac_f64_e32 v[36:37], v[24:25], v[136:137]
	v_add_f64 v[26:27], v[26:27], v[34:35]
	v_add_f64 v[26:27], v[26:27], v[36:37]
	v_fmac_f64_e32 v[40:41], v[16:17], v[134:135]
	v_add_f64 v[26:27], v[26:27], v[38:39]
	v_fmac_f64_e32 v[42:43], v[12:13], v[128:129]
	v_add_f64 v[26:27], v[26:27], v[40:41]
	v_add_f64 v[26:27], v[26:27], v[42:43]
	s_waitcnt lgkmcnt(0)
	v_mul_f64 v[32:33], v[6:7], v[138:139]
	v_fmac_f64_e32 v[44:45], v[4:5], v[146:147]
	v_add_f64 v[30:31], v[26:27], v[44:45]
	ds_read_b128 v[26:29], v228 offset:1520
	v_fmac_f64_e32 v[32:33], v[8:9], v[140:141]
	v_add_f64 v[34:35], v[30:31], v[32:33]
	ds_read_b128 v[30:33], v228 offset:1536
	v_fma_f64 v[232:233], v[114:115], v[100:101], -v[98:99]
	s_waitcnt lgkmcnt(1)
	v_mul_f64 v[36:37], v[26:27], v[148:149]
	v_fmac_f64_e32 v[36:37], v[28:29], v[164:165]
	v_add_f64 v[38:39], v[34:35], v[36:37]
	ds_read_b128 v[34:37], v228 offset:1552
	s_waitcnt lgkmcnt(1)
	v_mul_f64 v[40:41], v[30:31], v[142:143]
	v_fmac_f64_e32 v[40:41], v[32:33], v[144:145]
	v_add_f64 v[42:43], v[38:39], v[40:41]
	ds_read_b128 v[38:41], v228 offset:1568
	s_waitcnt lgkmcnt(1)
	v_mul_f64 v[44:45], v[34:35], v[168:169]
	v_fmac_f64_e32 v[44:45], v[36:37], v[172:173]
	v_add_f64 v[46:47], v[42:43], v[44:45]
	ds_read_b128 v[42:45], v228 offset:1584
	s_waitcnt lgkmcnt(1)
	v_mul_f64 v[48:49], v[38:39], v[150:151]
	v_fmac_f64_e32 v[48:49], v[40:41], v[152:153]
	v_add_f64 v[50:51], v[46:47], v[48:49]
	ds_read_b128 v[46:49], v228 offset:1600
	s_waitcnt vmcnt(58) lgkmcnt(1)
	v_mul_f64 v[52:53], v[42:43], v[176:177]
	s_waitcnt vmcnt(56)
	v_fmac_f64_e32 v[52:53], v[44:45], v[180:181]
	v_add_f64 v[54:55], v[50:51], v[52:53]
	ds_read_b128 v[50:53], v228 offset:1616
	buffer_load_dword v224, off, s[0:3], 0 offset:936
	buffer_load_dword v237, off, s[0:3], 0 offset:924
	;; [unrolled: 1-line block ×8, first 2 shown]
	s_waitcnt lgkmcnt(1)
	v_mul_f64 v[56:57], v[46:47], v[154:155]
	v_fmac_f64_e32 v[56:57], v[48:49], v[156:157]
	v_add_f64 v[58:59], v[54:55], v[56:57]
	ds_read_b128 v[54:57], v228 offset:1632
	buffer_load_dword v241, off, s[0:3], 0 offset:956
	buffer_load_dword v240, off, s[0:3], 0 offset:952
	;; [unrolled: 1-line block ×4, first 2 shown]
	s_waitcnt vmcnt(62) lgkmcnt(1)
	v_mul_f64 v[60:61], v[50:51], v[184:185]
	s_waitcnt vmcnt(60)
	v_fmac_f64_e32 v[60:61], v[52:53], v[188:189]
	v_add_f64 v[62:63], v[58:59], v[60:61]
	ds_read_b128 v[58:61], v228 offset:1648
	s_waitcnt lgkmcnt(1)
	v_mul_f64 v[64:65], v[54:55], v[158:159]
	v_fmac_f64_e32 v[64:65], v[56:57], v[160:161]
	v_add_f64 v[66:67], v[62:63], v[64:65]
	ds_read_b128 v[62:65], v228 offset:1664
	s_waitcnt vmcnt(54) lgkmcnt(1)
	v_mul_f64 v[68:69], v[58:59], v[192:193]
	s_waitcnt vmcnt(52)
	v_fmac_f64_e32 v[68:69], v[60:61], v[196:197]
	v_add_f64 v[70:71], v[66:67], v[68:69]
	ds_read_b128 v[66:69], v228 offset:1680
	s_waitcnt lgkmcnt(1)
	v_mul_f64 v[72:73], v[62:63], v[162:163]
	v_fmac_f64_e32 v[72:73], v[64:65], v[166:167]
	v_add_f64 v[74:75], v[70:71], v[72:73]
	ds_read_b128 v[70:73], v228 offset:1696
	s_waitcnt vmcnt(46) lgkmcnt(1)
	v_mul_f64 v[76:77], v[66:67], v[200:201]
	s_waitcnt vmcnt(44)
	v_fmac_f64_e32 v[76:77], v[68:69], v[204:205]
	v_add_f64 v[82:83], v[74:75], v[76:77]
	ds_read_b128 v[74:77], v228 offset:1712
	ds_read_b128 v[78:81], v228 offset:1728
	s_waitcnt lgkmcnt(2)
	v_mul_f64 v[84:85], v[70:71], v[170:171]
	v_fmac_f64_e32 v[84:85], v[72:73], v[174:175]
	v_add_f64 v[82:83], v[82:83], v[84:85]
	s_waitcnt vmcnt(38) lgkmcnt(1)
	v_mul_f64 v[84:85], v[74:75], v[208:209]
	s_waitcnt vmcnt(36)
	v_fmac_f64_e32 v[84:85], v[76:77], v[210:211]
	v_add_f64 v[82:83], v[82:83], v[84:85]
	s_waitcnt lgkmcnt(0)
	v_mul_f64 v[84:85], v[78:79], v[178:179]
	v_fmac_f64_e32 v[84:85], v[80:81], v[182:183]
	v_add_f64 v[118:119], v[82:83], v[84:85]
	ds_read_b128 v[82:85], v228 offset:1744
	ds_read_b128 v[86:89], v228 offset:1760
	;; [unrolled: 1-line block ×3, first 2 shown]
	v_fma_f64 v[246:247], v[244:245], v[104:105], -v[102:103]
	ds_read_b128 v[102:105], v228 offset:1840
	ds_read_b128 v[110:113], v228 offset:1856
	s_waitcnt vmcnt(30) lgkmcnt(4)
	v_mul_f64 v[94:95], v[82:83], v[212:213]
	s_waitcnt vmcnt(28)
	v_fmac_f64_e32 v[94:95], v[84:85], v[214:215]
	v_add_f64 v[94:95], v[118:119], v[94:95]
	v_fma_f64 v[118:119], v[106:107], v[90:91], -v[92:93]
	ds_read_b128 v[90:93], v228 offset:1776
	s_waitcnt lgkmcnt(4)
	v_mul_f64 v[96:97], v[86:87], v[186:187]
	v_fmac_f64_e32 v[96:97], v[88:89], v[190:191]
	v_add_f64 v[106:107], v[94:95], v[96:97]
	ds_read_b128 v[94:97], v228 offset:1792
	s_waitcnt vmcnt(22) lgkmcnt(1)
	v_mul_f64 v[108:109], v[90:91], v[216:217]
	s_waitcnt vmcnt(20)
	v_fmac_f64_e32 v[108:109], v[92:93], v[218:219]
	v_add_f64 v[106:107], v[106:107], v[108:109]
	v_mul_f64 v[24:25], v[24:25], v[124:125]
	s_waitcnt lgkmcnt(0)
	v_mul_f64 v[108:109], v[94:95], v[194:195]
	v_fmac_f64_e32 v[108:109], v[96:97], v[198:199]
	v_add_f64 v[114:115], v[106:107], v[108:109]
	ds_read_b128 v[106:109], v228 offset:1824
	s_waitcnt vmcnt(14)
	v_mul_f64 v[116:117], v[98:99], v[220:221]
	s_waitcnt vmcnt(12)
	v_fmac_f64_e32 v[116:117], v[100:101], v[222:223]
	v_add_f64 v[114:115], v[114:115], v[116:117]
	v_fma_f64 v[22:23], v[22:23], v[136:137], -v[24:25]
	s_waitcnt lgkmcnt(0)
	v_mul_f64 v[116:117], v[106:107], v[202:203]
	v_fmac_f64_e32 v[116:117], v[108:109], v[206:207]
	v_add_f64 v[114:115], v[114:115], v[116:117]
	v_mul_f64 v[16:17], v[16:17], v[132:133]
	v_fma_f64 v[14:15], v[14:15], v[134:135], -v[16:17]
	v_mul_f64 v[12:13], v[12:13], v[126:127]
	v_fma_f64 v[10:11], v[10:11], v[128:129], -v[12:13]
	;; [unrolled: 2-line block ×4, first 2 shown]
	s_waitcnt vmcnt(9)
	v_mul_f64 v[116:117], v[102:103], v[236:237]
	s_waitcnt vmcnt(7)
	v_fmac_f64_e32 v[116:117], v[104:105], v[238:239]
	v_add_f64 v[114:115], v[114:115], v[116:117]
	s_waitcnt vmcnt(5)
	v_mul_f64 v[116:117], v[110:111], v[224:225]
	s_waitcnt vmcnt(4)
	v_fmac_f64_e32 v[116:117], v[112:113], v[226:227]
	v_add_f64 v[234:235], v[114:115], v[116:117]
	ds_read_b128 v[114:117], v228 offset:1872
	buffer_load_dword v254, off, s[0:3], 0 offset:400
	buffer_load_dword v255, off, s[0:3], 0 offset:404
	;; [unrolled: 1-line block ×4, first 2 shown]
	s_waitcnt vmcnt(6) lgkmcnt(0)
	v_mul_f64 v[228:229], v[114:115], v[240:241]
	s_waitcnt vmcnt(4)
	v_fmac_f64_e32 v[228:229], v[116:117], v[242:243]
	v_add_f64 v[244:245], v[234:235], v[228:229]
	v_add_f64 v[228:229], v[230:231], 0
	;; [unrolled: 1-line block ×12, first 2 shown]
	v_mul_f64 v[4:5], v[28:29], v[148:149]
	v_fma_f64 v[4:5], v[26:27], v[164:165], -v[4:5]
	v_add_f64 v[2:3], v[2:3], v[4:5]
	v_mul_f64 v[4:5], v[32:33], v[142:143]
	v_fma_f64 v[4:5], v[30:31], v[144:145], -v[4:5]
	v_add_f64 v[2:3], v[2:3], v[4:5]
	v_mul_f64 v[4:5], v[36:37], v[168:169]
	v_fma_f64 v[4:5], v[34:35], v[172:173], -v[4:5]
	v_add_f64 v[2:3], v[2:3], v[4:5]
	v_mul_f64 v[4:5], v[40:41], v[150:151]
	v_fma_f64 v[4:5], v[38:39], v[152:153], -v[4:5]
	v_add_f64 v[2:3], v[2:3], v[4:5]
	v_mul_f64 v[4:5], v[44:45], v[176:177]
	v_fma_f64 v[4:5], v[42:43], v[180:181], -v[4:5]
	v_add_f64 v[2:3], v[2:3], v[4:5]
	v_mul_f64 v[4:5], v[48:49], v[154:155]
	v_fma_f64 v[4:5], v[46:47], v[156:157], -v[4:5]
	v_add_f64 v[2:3], v[2:3], v[4:5]
	v_mul_f64 v[4:5], v[52:53], v[184:185]
	v_fma_f64 v[4:5], v[50:51], v[188:189], -v[4:5]
	v_add_f64 v[2:3], v[2:3], v[4:5]
	v_mul_f64 v[4:5], v[56:57], v[158:159]
	v_fma_f64 v[4:5], v[54:55], v[160:161], -v[4:5]
	v_add_f64 v[2:3], v[2:3], v[4:5]
	v_mul_f64 v[4:5], v[60:61], v[192:193]
	v_fma_f64 v[4:5], v[58:59], v[196:197], -v[4:5]
	v_add_f64 v[2:3], v[2:3], v[4:5]
	v_mul_f64 v[4:5], v[64:65], v[162:163]
	v_fma_f64 v[4:5], v[62:63], v[166:167], -v[4:5]
	v_add_f64 v[2:3], v[2:3], v[4:5]
	v_mul_f64 v[4:5], v[68:69], v[200:201]
	v_fma_f64 v[4:5], v[66:67], v[204:205], -v[4:5]
	v_add_f64 v[2:3], v[2:3], v[4:5]
	v_mul_f64 v[4:5], v[72:73], v[170:171]
	v_fma_f64 v[4:5], v[70:71], v[174:175], -v[4:5]
	v_add_f64 v[2:3], v[2:3], v[4:5]
	v_mul_f64 v[4:5], v[76:77], v[208:209]
	v_fma_f64 v[4:5], v[74:75], v[210:211], -v[4:5]
	v_add_f64 v[2:3], v[2:3], v[4:5]
	v_mul_f64 v[4:5], v[80:81], v[178:179]
	v_fma_f64 v[4:5], v[78:79], v[182:183], -v[4:5]
	v_add_f64 v[2:3], v[2:3], v[4:5]
	v_mul_f64 v[4:5], v[84:85], v[212:213]
	v_fma_f64 v[4:5], v[82:83], v[214:215], -v[4:5]
	v_add_f64 v[2:3], v[2:3], v[4:5]
	v_mul_f64 v[4:5], v[88:89], v[186:187]
	v_fma_f64 v[4:5], v[86:87], v[190:191], -v[4:5]
	v_add_f64 v[2:3], v[2:3], v[4:5]
	v_mul_f64 v[4:5], v[92:93], v[216:217]
	v_fma_f64 v[4:5], v[90:91], v[218:219], -v[4:5]
	v_add_f64 v[2:3], v[2:3], v[4:5]
	v_mul_f64 v[4:5], v[96:97], v[194:195]
	v_fma_f64 v[4:5], v[94:95], v[198:199], -v[4:5]
	v_add_f64 v[2:3], v[2:3], v[4:5]
	v_mul_f64 v[4:5], v[100:101], v[220:221]
	v_fma_f64 v[4:5], v[98:99], v[222:223], -v[4:5]
	v_add_f64 v[2:3], v[2:3], v[4:5]
	v_mul_f64 v[4:5], v[108:109], v[202:203]
	v_fma_f64 v[4:5], v[106:107], v[206:207], -v[4:5]
	v_add_f64 v[2:3], v[2:3], v[4:5]
	v_mul_f64 v[4:5], v[104:105], v[236:237]
	v_fma_f64 v[4:5], v[102:103], v[238:239], -v[4:5]
	v_add_f64 v[2:3], v[2:3], v[4:5]
	v_mul_f64 v[4:5], v[112:113], v[224:225]
	v_fma_f64 v[4:5], v[110:111], v[226:227], -v[4:5]
	v_add_f64 v[2:3], v[2:3], v[4:5]
	v_mul_f64 v[4:5], v[116:117], v[240:241]
	v_fma_f64 v[4:5], v[114:115], v[242:243], -v[4:5]
	v_add_f64 v[2:3], v[2:3], v[4:5]
	s_waitcnt vmcnt(2)
	v_add_f64 v[2:3], v[254:255], -v[2:3]
	s_waitcnt vmcnt(0)
	v_add_f64 v[4:5], v[252:253], -v[244:245]
	buffer_store_dword v3, off, s[0:3], 0 offset:404
	buffer_store_dword v2, off, s[0:3], 0 offset:400
	;; [unrolled: 1-line block ×4, first 2 shown]
	s_and_saveexec_b64 s[4:5], vcc
	s_cbranch_execz .LBB122_321
; %bb.320:
	v_accvgpr_read_b32 v0, a153
	buffer_load_dword v2, v0, s[0:3], 0 offen
	buffer_load_dword v3, v0, s[0:3], 0 offen offset:4
	buffer_load_dword v4, v0, s[0:3], 0 offen offset:8
	;; [unrolled: 1-line block ×3, first 2 shown]
	v_mov_b32_e32 v0, 0
	v_accvgpr_read_b32 v6, a177
	buffer_store_dword v0, off, s[0:3], 0 offset:384
	buffer_store_dword v0, off, s[0:3], 0 offset:388
	;; [unrolled: 1-line block ×4, first 2 shown]
	s_waitcnt vmcnt(4)
	ds_write_b128 v6, v[2:5]
.LBB122_321:
	s_or_b64 exec, exec, s[4:5]
	s_waitcnt lgkmcnt(0)
	; wave barrier
	s_waitcnt lgkmcnt(0)
	buffer_load_dword v82, off, s[0:3], 0 offset:400
	buffer_load_dword v83, off, s[0:3], 0 offset:404
	;; [unrolled: 1-line block ×54, first 2 shown]
	v_mov_b32_e32 v228, 0
	ds_read_b128 v[90:93], v228 offset:1328
	ds_read_b128 v[106:109], v228 offset:1344
	;; [unrolled: 1-line block ×9, first 2 shown]
	buffer_load_dword v151, off, s[0:3], 0 offset:628
	buffer_load_dword v150, off, s[0:3], 0 offset:624
	buffer_load_dword v165, off, s[0:3], 0 offset:620
	buffer_load_dword v164, off, s[0:3], 0 offset:616
	buffer_load_dword v169, off, s[0:3], 0 offset:612
	buffer_load_dword v168, off, s[0:3], 0 offset:608
	buffer_load_dword v153, off, s[0:3], 0 offset:668
	buffer_load_dword v152, off, s[0:3], 0 offset:664
	buffer_load_dword v155, off, s[0:3], 0 offset:660
	buffer_load_dword v154, off, s[0:3], 0 offset:656
	buffer_load_dword v173, off, s[0:3], 0 offset:652
	buffer_load_dword v172, off, s[0:3], 0 offset:648
	buffer_load_dword v177, off, s[0:3], 0 offset:644
	buffer_load_dword v176, off, s[0:3], 0 offset:640
	buffer_load_dword v157, off, s[0:3], 0 offset:700
	buffer_load_dword v156, off, s[0:3], 0 offset:696
	buffer_load_dword v159, off, s[0:3], 0 offset:692
	buffer_load_dword v158, off, s[0:3], 0 offset:688
	buffer_load_dword v181, off, s[0:3], 0 offset:684
	buffer_load_dword v180, off, s[0:3], 0 offset:680
	buffer_load_dword v185, off, s[0:3], 0 offset:676
	buffer_load_dword v184, off, s[0:3], 0 offset:672
	buffer_load_dword v161, off, s[0:3], 0 offset:732
	buffer_load_dword v160, off, s[0:3], 0 offset:728
	buffer_load_dword v163, off, s[0:3], 0 offset:724
	buffer_load_dword v162, off, s[0:3], 0 offset:720
	buffer_load_dword v189, off, s[0:3], 0 offset:716
	buffer_load_dword v188, off, s[0:3], 0 offset:712
	buffer_load_dword v193, off, s[0:3], 0 offset:708
	buffer_load_dword v192, off, s[0:3], 0 offset:704
	buffer_load_dword v167, off, s[0:3], 0 offset:764
	buffer_load_dword v166, off, s[0:3], 0 offset:760
	buffer_load_dword v171, off, s[0:3], 0 offset:756
	buffer_load_dword v170, off, s[0:3], 0 offset:752
	buffer_load_dword v197, off, s[0:3], 0 offset:748
	buffer_load_dword v196, off, s[0:3], 0 offset:744
	buffer_load_dword v199, off, s[0:3], 0 offset:740
	buffer_load_dword v198, off, s[0:3], 0 offset:736
	buffer_load_dword v175, off, s[0:3], 0 offset:796
	buffer_load_dword v174, off, s[0:3], 0 offset:792
	buffer_load_dword v179, off, s[0:3], 0 offset:788
	buffer_load_dword v178, off, s[0:3], 0 offset:784
	buffer_load_dword v201, off, s[0:3], 0 offset:780
	buffer_load_dword v200, off, s[0:3], 0 offset:776
	buffer_load_dword v203, off, s[0:3], 0 offset:772
	buffer_load_dword v202, off, s[0:3], 0 offset:768
	buffer_load_dword v183, off, s[0:3], 0 offset:828
	buffer_load_dword v182, off, s[0:3], 0 offset:824
	buffer_load_dword v187, off, s[0:3], 0 offset:820
	buffer_load_dword v186, off, s[0:3], 0 offset:816
	buffer_load_dword v205, off, s[0:3], 0 offset:812
	buffer_load_dword v204, off, s[0:3], 0 offset:808
	buffer_load_dword v207, off, s[0:3], 0 offset:804
	buffer_load_dword v206, off, s[0:3], 0 offset:800
	buffer_load_dword v191, off, s[0:3], 0 offset:860
	buffer_load_dword v190, off, s[0:3], 0 offset:856
	buffer_load_dword v195, off, s[0:3], 0 offset:852
	buffer_load_dword v194, off, s[0:3], 0 offset:848
	buffer_load_dword v209, off, s[0:3], 0 offset:844
	buffer_load_dword v208, off, s[0:3], 0 offset:840
	buffer_load_dword v211, off, s[0:3], 0 offset:836
	buffer_load_dword v210, off, s[0:3], 0 offset:832
	v_cmp_lt_u32_e32 vcc, 22, v1
	s_waitcnt vmcnt(62) lgkmcnt(8)
	v_mul_f64 v[14:15], v[90:91], v[84:85]
	v_fmac_f64_e32 v[14:15], v[92:93], v[82:83]
	v_add_f64 v[14:15], v[14:15], 0
	v_mul_f64 v[84:85], v[92:93], v[84:85]
	s_waitcnt lgkmcnt(7)
	v_mul_f64 v[16:17], v[106:107], v[88:89]
	v_fmac_f64_e32 v[16:17], v[108:109], v[86:87]
	s_waitcnt lgkmcnt(6)
	v_mul_f64 v[18:19], v[114:115], v[94:95]
	v_add_f64 v[14:15], v[14:15], v[16:17]
	s_waitcnt lgkmcnt(4)
	v_mul_f64 v[22:23], v[246:247], v[102:103]
	v_fma_f64 v[230:231], v[90:91], v[82:83], -v[84:85]
	v_fmac_f64_e32 v[22:23], v[248:249], v[104:105]
	v_mul_f64 v[88:89], v[108:109], v[88:89]
	v_mul_f64 v[20:21], v[242:243], v[98:99]
	v_fma_f64 v[232:233], v[106:107], v[86:87], -v[88:89]
	s_waitcnt lgkmcnt(2)
	v_mul_f64 v[26:27], v[10:11], v[120:121]
	v_mul_f64 v[94:95], v[116:117], v[94:95]
	v_fmac_f64_e32 v[26:27], v[12:13], v[122:123]
	v_mul_f64 v[98:99], v[244:245], v[98:99]
	v_mul_f64 v[24:25], v[250:251], v[110:111]
	;; [unrolled: 1-line block ×3, first 2 shown]
	s_waitcnt lgkmcnt(1)
	v_mul_f64 v[28:29], v[6:7], v[124:125]
	v_mul_f64 v[110:111], v[252:253], v[110:111]
	v_fmac_f64_e32 v[18:19], v[116:117], v[96:97]
	v_add_f64 v[14:15], v[14:15], v[18:19]
	v_fmac_f64_e32 v[20:21], v[244:245], v[100:101]
	v_add_f64 v[14:15], v[14:15], v[20:21]
	;; [unrolled: 2-line block ×3, first 2 shown]
	v_add_f64 v[14:15], v[14:15], v[24:25]
	v_fmac_f64_e32 v[28:29], v[8:9], v[128:129]
	v_add_f64 v[14:15], v[14:15], v[26:27]
	v_add_f64 v[18:19], v[14:15], v[28:29]
	ds_read_b128 v[14:17], v228 offset:1472
	s_waitcnt lgkmcnt(1)
	v_mul_f64 v[20:21], v[2:3], v[126:127]
	v_fmac_f64_e32 v[20:21], v[4:5], v[130:131]
	v_add_f64 v[22:23], v[18:19], v[20:21]
	ds_read_b128 v[18:21], v228 offset:1488
	s_waitcnt lgkmcnt(1)
	v_mul_f64 v[24:25], v[14:15], v[136:137]
	v_fmac_f64_e32 v[24:25], v[16:17], v[138:139]
	;; [unrolled: 5-line block ×5, first 2 shown]
	v_add_f64 v[38:39], v[34:35], v[36:37]
	ds_read_b128 v[34:37], v228 offset:1552
	s_waitcnt vmcnt(58) lgkmcnt(1)
	v_mul_f64 v[40:41], v[30:31], v[164:165]
	s_waitcnt vmcnt(56)
	v_fmac_f64_e32 v[40:41], v[32:33], v[168:169]
	v_add_f64 v[42:43], v[38:39], v[40:41]
	ds_read_b128 v[38:41], v228 offset:1568
	s_waitcnt lgkmcnt(1)
	v_mul_f64 v[44:45], v[34:35], v[144:145]
	v_fmac_f64_e32 v[44:45], v[36:37], v[150:151]
	v_add_f64 v[46:47], v[42:43], v[44:45]
	ds_read_b128 v[42:45], v228 offset:1584
	s_waitcnt vmcnt(50) lgkmcnt(1)
	v_mul_f64 v[48:49], v[38:39], v[172:173]
	s_waitcnt vmcnt(48)
	v_fmac_f64_e32 v[48:49], v[40:41], v[176:177]
	v_add_f64 v[50:51], v[46:47], v[48:49]
	ds_read_b128 v[46:49], v228 offset:1600
	buffer_load_dword v213, off, s[0:3], 0 offset:876
	buffer_load_dword v212, off, s[0:3], 0 offset:872
	;; [unrolled: 1-line block ×8, first 2 shown]
	s_waitcnt lgkmcnt(1)
	v_mul_f64 v[52:53], v[42:43], v[152:153]
	v_fmac_f64_e32 v[52:53], v[44:45], v[154:155]
	v_add_f64 v[54:55], v[50:51], v[52:53]
	ds_read_b128 v[50:53], v228 offset:1616
	s_waitcnt vmcnt(50) lgkmcnt(1)
	v_mul_f64 v[56:57], v[46:47], v[180:181]
	s_waitcnt vmcnt(48)
	v_fmac_f64_e32 v[56:57], v[48:49], v[184:185]
	buffer_load_dword v217, off, s[0:3], 0 offset:924
	buffer_load_dword v223, off, s[0:3], 0 offset:908
	;; [unrolled: 1-line block ×12, first 2 shown]
	v_add_f64 v[58:59], v[54:55], v[56:57]
	ds_read_b128 v[54:57], v228 offset:1632
	s_waitcnt lgkmcnt(1)
	v_mul_f64 v[60:61], v[50:51], v[156:157]
	v_fmac_f64_e32 v[60:61], v[52:53], v[158:159]
	v_add_f64 v[62:63], v[58:59], v[60:61]
	ds_read_b128 v[58:61], v228 offset:1648
	s_waitcnt vmcnt(54) lgkmcnt(1)
	v_mul_f64 v[64:65], v[54:55], v[188:189]
	s_waitcnt vmcnt(52)
	v_fmac_f64_e32 v[64:65], v[56:57], v[192:193]
	v_add_f64 v[66:67], v[62:63], v[64:65]
	ds_read_b128 v[62:65], v228 offset:1664
	s_waitcnt lgkmcnt(1)
	v_mul_f64 v[68:69], v[58:59], v[160:161]
	v_fmac_f64_e32 v[68:69], v[60:61], v[162:163]
	v_add_f64 v[70:71], v[66:67], v[68:69]
	ds_read_b128 v[66:69], v228 offset:1680
	s_waitcnt vmcnt(46) lgkmcnt(1)
	v_mul_f64 v[72:73], v[62:63], v[196:197]
	s_waitcnt vmcnt(44)
	v_fmac_f64_e32 v[72:73], v[64:65], v[198:199]
	v_add_f64 v[78:79], v[70:71], v[72:73]
	ds_read_b128 v[70:73], v228 offset:1696
	ds_read_b128 v[74:77], v228 offset:1712
	s_waitcnt lgkmcnt(2)
	v_mul_f64 v[80:81], v[66:67], v[166:167]
	v_fmac_f64_e32 v[80:81], v[68:69], v[170:171]
	v_add_f64 v[78:79], v[78:79], v[80:81]
	s_waitcnt vmcnt(38) lgkmcnt(1)
	v_mul_f64 v[80:81], v[70:71], v[200:201]
	s_waitcnt vmcnt(36)
	v_fmac_f64_e32 v[80:81], v[72:73], v[202:203]
	v_add_f64 v[78:79], v[78:79], v[80:81]
	s_waitcnt lgkmcnt(0)
	v_mul_f64 v[80:81], v[74:75], v[174:175]
	v_fmac_f64_e32 v[80:81], v[76:77], v[178:179]
	v_add_f64 v[118:119], v[78:79], v[80:81]
	ds_read_b128 v[78:81], v228 offset:1728
	ds_read_b128 v[82:85], v228 offset:1744
	;; [unrolled: 1-line block ×3, first 2 shown]
	v_fma_f64 v[234:235], v[242:243], v[100:101], -v[98:99]
	ds_read_b128 v[98:101], v228 offset:1808
	s_waitcnt vmcnt(30) lgkmcnt(3)
	v_mul_f64 v[90:91], v[78:79], v[204:205]
	s_waitcnt vmcnt(28)
	v_fmac_f64_e32 v[90:91], v[80:81], v[206:207]
	s_waitcnt lgkmcnt(2)
	v_mul_f64 v[92:93], v[82:83], v[182:183]
	v_add_f64 v[90:91], v[118:119], v[90:91]
	v_fmac_f64_e32 v[92:93], v[84:85], v[186:187]
	v_add_f64 v[90:91], v[90:91], v[92:93]
	v_fma_f64 v[118:119], v[114:115], v[96:97], -v[94:95]
	ds_read_b128 v[94:97], v228 offset:1792
	s_waitcnt vmcnt(22) lgkmcnt(2)
	v_mul_f64 v[92:93], v[86:87], v[208:209]
	s_waitcnt vmcnt(20)
	v_fmac_f64_e32 v[92:93], v[88:89], v[210:211]
	v_add_f64 v[106:107], v[90:91], v[92:93]
	ds_read_b128 v[90:93], v228 offset:1776
	buffer_load_dword v240, off, s[0:3], 0 offset:952
	v_fma_f64 v[246:247], v[246:247], v[104:105], -v[102:103]
	ds_read_b128 v[102:105], v228 offset:1824
	v_fma_f64 v[250:251], v[250:251], v[112:113], -v[110:111]
	s_waitcnt lgkmcnt(1)
	v_mul_f64 v[108:109], v[90:91], v[190:191]
	v_fmac_f64_e32 v[108:109], v[92:93], v[194:195]
	v_add_f64 v[106:107], v[106:107], v[108:109]
	ds_read_b128 v[110:113], v228 offset:1856
	v_add_f64 v[230:231], v[230:231], 0
	v_add_f64 v[230:231], v[230:231], v[232:233]
	v_add_f64 v[118:119], v[230:231], v[118:119]
	v_add_f64 v[118:119], v[118:119], v[234:235]
	v_add_f64 v[252:253], v[118:119], v[246:247]
	v_mul_f64 v[12:13], v[12:13], v[120:121]
	v_add_f64 v[118:119], v[252:253], v[250:251]
	v_fma_f64 v[10:11], v[10:11], v[122:123], -v[12:13]
	v_mul_f64 v[8:9], v[8:9], v[124:125]
	v_add_f64 v[10:11], v[118:119], v[10:11]
	v_fma_f64 v[6:7], v[6:7], v[128:129], -v[8:9]
	;; [unrolled: 3-line block ×3, first 2 shown]
	v_mul_f64 v[4:5], v[16:17], v[136:137]
	v_add_f64 v[2:3], v[6:7], v[2:3]
	s_waitcnt vmcnt(19)
	v_mul_f64 v[108:109], v[94:95], v[212:213]
	v_fma_f64 v[4:5], v[14:15], v[138:139], -v[4:5]
	s_waitcnt vmcnt(17)
	v_fmac_f64_e32 v[108:109], v[96:97], v[214:215]
	v_add_f64 v[106:107], v[106:107], v[108:109]
	s_waitcnt vmcnt(15)
	v_mul_f64 v[108:109], v[98:99], v[218:219]
	s_waitcnt vmcnt(13)
	v_fmac_f64_e32 v[108:109], v[100:101], v[220:221]
	v_add_f64 v[114:115], v[106:107], v[108:109]
	ds_read_b128 v[106:109], v228 offset:1840
	buffer_load_dword v244, off, s[0:3], 0 offset:944
	buffer_load_dword v241, off, s[0:3], 0 offset:956
	;; [unrolled: 1-line block ×3, first 2 shown]
	s_waitcnt vmcnt(13) lgkmcnt(2)
	v_mul_f64 v[116:117], v[102:103], v[222:223]
	s_waitcnt vmcnt(11)
	v_fmac_f64_e32 v[116:117], v[104:105], v[236:237]
	v_add_f64 v[114:115], v[114:115], v[116:117]
	s_waitcnt vmcnt(10) lgkmcnt(0)
	v_mul_f64 v[116:117], v[106:107], v[216:217]
	s_waitcnt vmcnt(8)
	v_fmac_f64_e32 v[116:117], v[108:109], v[226:227]
	v_add_f64 v[114:115], v[114:115], v[116:117]
	s_waitcnt vmcnt(6)
	v_mul_f64 v[116:117], v[110:111], v[224:225]
	s_waitcnt vmcnt(4)
	v_fmac_f64_e32 v[116:117], v[112:113], v[238:239]
	v_add_f64 v[242:243], v[114:115], v[116:117]
	ds_read_b128 v[114:117], v228 offset:1872
	v_add_f64 v[2:3], v[2:3], v[4:5]
	v_mul_f64 v[4:5], v[20:21], v[132:133]
	v_fma_f64 v[4:5], v[18:19], v[134:135], -v[4:5]
	v_add_f64 v[2:3], v[2:3], v[4:5]
	v_mul_f64 v[4:5], v[24:25], v[146:147]
	v_fma_f64 v[4:5], v[22:23], v[148:149], -v[4:5]
	;; [unrolled: 3-line block ×22, first 2 shown]
	v_add_f64 v[2:3], v[2:3], v[4:5]
	v_mul_f64 v[4:5], v[108:109], v[216:217]
	s_waitcnt vmcnt(1) lgkmcnt(0)
	v_mul_f64 v[248:249], v[114:115], v[240:241]
	s_waitcnt vmcnt(0)
	v_fmac_f64_e32 v[248:249], v[116:117], v[244:245]
	v_add_f64 v[242:243], v[242:243], v[248:249]
	buffer_load_dword v248, off, s[0:3], 0 offset:384
	buffer_load_dword v249, off, s[0:3], 0 offset:388
	;; [unrolled: 1-line block ×4, first 2 shown]
	v_fma_f64 v[4:5], v[106:107], v[226:227], -v[4:5]
	v_add_f64 v[2:3], v[2:3], v[4:5]
	v_mul_f64 v[4:5], v[112:113], v[224:225]
	v_fma_f64 v[4:5], v[110:111], v[238:239], -v[4:5]
	v_add_f64 v[2:3], v[2:3], v[4:5]
	v_mul_f64 v[4:5], v[116:117], v[240:241]
	v_fma_f64 v[4:5], v[114:115], v[244:245], -v[4:5]
	v_add_f64 v[2:3], v[2:3], v[4:5]
	s_waitcnt vmcnt(2)
	v_add_f64 v[2:3], v[248:249], -v[2:3]
	s_waitcnt vmcnt(0)
	v_add_f64 v[4:5], v[246:247], -v[242:243]
	buffer_store_dword v3, off, s[0:3], 0 offset:388
	buffer_store_dword v2, off, s[0:3], 0 offset:384
	;; [unrolled: 1-line block ×4, first 2 shown]
	s_and_saveexec_b64 s[4:5], vcc
	s_cbranch_execz .LBB122_323
; %bb.322:
	v_accvgpr_read_b32 v0, a154
	buffer_load_dword v2, v0, s[0:3], 0 offen
	buffer_load_dword v3, v0, s[0:3], 0 offen offset:4
	buffer_load_dword v4, v0, s[0:3], 0 offen offset:8
	;; [unrolled: 1-line block ×3, first 2 shown]
	v_accvgpr_read_b32 v0, a177
	buffer_store_dword v228, off, s[0:3], 0 offset:368
	buffer_store_dword v228, off, s[0:3], 0 offset:372
	;; [unrolled: 1-line block ×4, first 2 shown]
	s_waitcnt vmcnt(4)
	ds_write_b128 v0, v[2:5]
.LBB122_323:
	s_or_b64 exec, exec, s[4:5]
	s_waitcnt lgkmcnt(0)
	; wave barrier
	s_waitcnt lgkmcnt(0)
	buffer_load_dword v84, off, s[0:3], 0 offset:384
	buffer_load_dword v85, off, s[0:3], 0 offset:388
	;; [unrolled: 1-line block ×34, first 2 shown]
	ds_read_b128 v[74:77], v228 offset:1312
	ds_read_b128 v[78:81], v228 offset:1328
	;; [unrolled: 1-line block ×8, first 2 shown]
	buffer_load_dword v127, off, s[0:3], 0 offset:500
	buffer_load_dword v126, off, s[0:3], 0 offset:496
	ds_read_b128 v[6:9], v228 offset:1440
	buffer_load_dword v129, off, s[0:3], 0 offset:556
	buffer_load_dword v128, off, s[0:3], 0 offset:552
	;; [unrolled: 1-line block ×80, first 2 shown]
	v_accvgpr_read_b32 v1, a176
	v_cmp_lt_u32_e32 vcc, 21, v1
	s_waitcnt vmcnt(62) lgkmcnt(8)
	v_mul_f64 v[10:11], v[74:75], v[106:107]
	v_fmac_f64_e32 v[10:11], v[76:77], v[84:85]
	v_add_f64 v[10:11], v[10:11], 0
	v_mul_f64 v[76:77], v[76:77], v[106:107]
	s_waitcnt lgkmcnt(7)
	v_mul_f64 v[12:13], v[78:79], v[96:97]
	v_fmac_f64_e32 v[12:13], v[80:81], v[82:83]
	s_waitcnt lgkmcnt(6)
	v_mul_f64 v[14:15], v[86:87], v[94:95]
	v_add_f64 v[10:11], v[10:11], v[12:13]
	s_waitcnt lgkmcnt(4)
	v_mul_f64 v[18:19], v[98:99], v[108:109]
	v_fma_f64 v[230:231], v[74:75], v[84:85], -v[76:77]
	v_fmac_f64_e32 v[18:19], v[100:101], v[114:115]
	v_mul_f64 v[80:81], v[80:81], v[96:97]
	v_mul_f64 v[16:17], v[90:91], v[116:117]
	v_fma_f64 v[232:233], v[78:79], v[82:83], -v[80:81]
	s_waitcnt lgkmcnt(2)
	v_mul_f64 v[22:23], v[110:111], v[240:241]
	v_mul_f64 v[100:101], v[100:101], v[108:109]
	;; [unrolled: 1-line block ×3, first 2 shown]
	s_waitcnt lgkmcnt(1)
	v_mul_f64 v[24:25], v[2:3], v[120:121]
	v_fmac_f64_e32 v[14:15], v[88:89], v[250:251]
	v_add_f64 v[10:11], v[10:11], v[14:15]
	v_fmac_f64_e32 v[16:17], v[92:93], v[248:249]
	v_add_f64 v[10:11], v[10:11], v[16:17]
	;; [unrolled: 2-line block ×4, first 2 shown]
	v_add_f64 v[10:11], v[10:11], v[22:23]
	s_waitcnt lgkmcnt(0)
	v_mul_f64 v[16:17], v[6:7], v[122:123]
	v_fmac_f64_e32 v[16:17], v[8:9], v[124:125]
	v_fmac_f64_e32 v[24:25], v[4:5], v[126:127]
	v_add_f64 v[14:15], v[10:11], v[24:25]
	ds_read_b128 v[10:13], v228 offset:1456
	v_add_f64 v[18:19], v[14:15], v[16:17]
	ds_read_b128 v[14:17], v228 offset:1472
	v_mul_f64 v[88:89], v[88:89], v[94:95]
	v_mul_f64 v[92:93], v[92:93], v[116:117]
	s_waitcnt lgkmcnt(1)
	v_mul_f64 v[20:21], v[10:11], v[132:133]
	v_fmac_f64_e32 v[20:21], v[12:13], v[134:135]
	s_waitcnt lgkmcnt(0)
	v_mul_f64 v[24:25], v[14:15], v[128:129]
	v_add_f64 v[22:23], v[18:19], v[20:21]
	ds_read_b128 v[18:21], v228 offset:1488
	v_fmac_f64_e32 v[24:25], v[16:17], v[130:131]
	v_add_f64 v[26:27], v[22:23], v[24:25]
	ds_read_b128 v[22:25], v228 offset:1504
	v_fma_f64 v[234:235], v[90:91], v[248:249], -v[92:93]
	s_waitcnt lgkmcnt(1)
	v_mul_f64 v[28:29], v[18:19], v[144:145]
	v_fmac_f64_e32 v[28:29], v[20:21], v[146:147]
	v_add_f64 v[30:31], v[26:27], v[28:29]
	s_waitcnt lgkmcnt(0)
	v_mul_f64 v[32:33], v[22:23], v[136:137]
	ds_read_b128 v[26:29], v228 offset:1520
	v_fmac_f64_e32 v[32:33], v[24:25], v[138:139]
	v_add_f64 v[34:35], v[30:31], v[32:33]
	ds_read_b128 v[30:33], v228 offset:1536
	v_fma_f64 v[248:249], v[98:99], v[114:115], -v[100:101]
	s_waitcnt vmcnt(58) lgkmcnt(1)
	v_mul_f64 v[36:37], v[26:27], v[160:161]
	s_waitcnt vmcnt(56)
	v_fmac_f64_e32 v[36:37], v[28:29], v[164:165]
	v_add_f64 v[38:39], v[34:35], v[36:37]
	s_waitcnt lgkmcnt(0)
	v_mul_f64 v[40:41], v[30:31], v[140:141]
	ds_read_b128 v[34:37], v228 offset:1552
	v_fmac_f64_e32 v[40:41], v[32:33], v[142:143]
	v_add_f64 v[42:43], v[38:39], v[40:41]
	ds_read_b128 v[38:41], v228 offset:1568
	v_mul_f64 v[104:105], v[104:105], v[244:245]
	s_waitcnt vmcnt(50) lgkmcnt(1)
	v_mul_f64 v[44:45], v[34:35], v[168:169]
	s_waitcnt vmcnt(48)
	v_fmac_f64_e32 v[44:45], v[36:37], v[172:173]
	v_add_f64 v[46:47], v[42:43], v[44:45]
	s_waitcnt lgkmcnt(0)
	v_mul_f64 v[48:49], v[38:39], v[148:149]
	v_fmac_f64_e32 v[48:49], v[40:41], v[150:151]
	ds_read_b128 v[42:45], v228 offset:1584
	v_add_f64 v[50:51], v[46:47], v[48:49]
	ds_read_b128 v[46:49], v228 offset:1600
	buffer_load_dword v209, off, s[0:3], 0 offset:876
	buffer_load_dword v211, off, s[0:3], 0 offset:860
	buffer_load_dword v210, off, s[0:3], 0 offset:856
	buffer_load_dword v217, off, s[0:3], 0 offset:852
	buffer_load_dword v216, off, s[0:3], 0 offset:848
	buffer_load_dword v208, off, s[0:3], 0 offset:872
	buffer_load_dword v215, off, s[0:3], 0 offset:868
	buffer_load_dword v214, off, s[0:3], 0 offset:864
	buffer_load_dword v213, off, s[0:3], 0 offset:892
	buffer_load_dword v212, off, s[0:3], 0 offset:888
	buffer_load_dword v219, off, s[0:3], 0 offset:884
	buffer_load_dword v218, off, s[0:3], 0 offset:880
	v_mul_f64 v[112:113], v[112:113], v[240:241]
	s_waitcnt vmcnt(54) lgkmcnt(1)
	v_mul_f64 v[52:53], v[42:43], v[176:177]
	s_waitcnt vmcnt(52)
	v_fmac_f64_e32 v[52:53], v[44:45], v[180:181]
	v_add_f64 v[54:55], v[50:51], v[52:53]
	ds_read_b128 v[50:53], v228 offset:1616
	s_waitcnt lgkmcnt(1)
	v_mul_f64 v[56:57], v[46:47], v[152:153]
	v_fmac_f64_e32 v[56:57], v[48:49], v[154:155]
	buffer_load_dword v223, off, s[0:3], 0 offset:908
	buffer_load_dword v222, off, s[0:3], 0 offset:904
	;; [unrolled: 1-line block ×12, first 2 shown]
	v_add_f64 v[58:59], v[54:55], v[56:57]
	ds_read_b128 v[54:57], v228 offset:1632
	s_waitcnt vmcnt(58) lgkmcnt(1)
	v_mul_f64 v[60:61], v[50:51], v[184:185]
	s_waitcnt vmcnt(56)
	v_fmac_f64_e32 v[60:61], v[52:53], v[188:189]
	v_add_f64 v[62:63], v[58:59], v[60:61]
	ds_read_b128 v[58:61], v228 offset:1648
	s_waitcnt lgkmcnt(1)
	v_mul_f64 v[64:65], v[54:55], v[156:157]
	v_fmac_f64_e32 v[64:65], v[56:57], v[158:159]
	v_add_f64 v[70:71], v[62:63], v[64:65]
	ds_read_b128 v[62:65], v228 offset:1664
	ds_read_b128 v[66:69], v228 offset:1680
	s_waitcnt vmcnt(50) lgkmcnt(2)
	v_mul_f64 v[72:73], v[58:59], v[192:193]
	s_waitcnt vmcnt(48)
	v_fmac_f64_e32 v[72:73], v[60:61], v[194:195]
	v_add_f64 v[70:71], v[70:71], v[72:73]
	s_waitcnt lgkmcnt(1)
	v_mul_f64 v[72:73], v[62:63], v[162:163]
	v_fmac_f64_e32 v[72:73], v[64:65], v[166:167]
	v_add_f64 v[70:71], v[70:71], v[72:73]
	s_waitcnt vmcnt(42) lgkmcnt(0)
	v_mul_f64 v[72:73], v[66:67], v[196:197]
	s_waitcnt vmcnt(40)
	v_fmac_f64_e32 v[72:73], v[68:69], v[198:199]
	v_add_f64 v[118:119], v[70:71], v[72:73]
	ds_read_b128 v[70:73], v228 offset:1696
	ds_read_b128 v[74:77], v228 offset:1712
	;; [unrolled: 1-line block ×5, first 2 shown]
	s_waitcnt lgkmcnt(4)
	v_mul_f64 v[84:85], v[70:71], v[170:171]
	v_fmac_f64_e32 v[84:85], v[72:73], v[174:175]
	v_add_f64 v[82:83], v[118:119], v[84:85]
	s_waitcnt vmcnt(34) lgkmcnt(3)
	v_mul_f64 v[84:85], v[74:75], v[200:201]
	s_waitcnt vmcnt(32)
	v_fmac_f64_e32 v[84:85], v[76:77], v[202:203]
	v_add_f64 v[82:83], v[82:83], v[84:85]
	v_fma_f64 v[118:119], v[86:87], v[250:251], -v[88:89]
	ds_read_b128 v[86:89], v228 offset:1760
	s_waitcnt lgkmcnt(3)
	v_mul_f64 v[84:85], v[78:79], v[178:179]
	v_fmac_f64_e32 v[84:85], v[80:81], v[182:183]
	v_add_f64 v[96:97], v[82:83], v[84:85]
	ds_read_b128 v[82:85], v228 offset:1744
	v_fma_f64 v[250:251], v[102:103], v[246:247], -v[104:105]
	v_fma_f64 v[252:253], v[110:111], v[242:243], -v[112:113]
	ds_read_b128 v[110:113], v228 offset:1856
	v_mul_f64 v[4:5], v[4:5], v[120:121]
	s_waitcnt vmcnt(26) lgkmcnt(1)
	v_mul_f64 v[94:95], v[82:83], v[204:205]
	s_waitcnt vmcnt(24)
	v_fmac_f64_e32 v[94:95], v[84:85], v[206:207]
	v_add_f64 v[94:95], v[96:97], v[94:95]
	v_mul_f64 v[96:97], v[86:87], v[186:187]
	v_fmac_f64_e32 v[96:97], v[88:89], v[190:191]
	v_add_f64 v[106:107], v[94:95], v[96:97]
	ds_read_b128 v[94:97], v228 offset:1792
	v_fma_f64 v[2:3], v[2:3], v[126:127], -v[4:5]
	v_mul_f64 v[4:5], v[8:9], v[122:123]
	v_fma_f64 v[4:5], v[6:7], v[124:125], -v[4:5]
	ds_read_b128 v[102:105], v228 offset:1840
	s_waitcnt vmcnt(21)
	v_mul_f64 v[108:109], v[90:91], v[210:211]
	s_waitcnt vmcnt(19)
	v_fmac_f64_e32 v[108:109], v[92:93], v[216:217]
	v_add_f64 v[106:107], v[106:107], v[108:109]
	s_waitcnt vmcnt(18) lgkmcnt(1)
	v_mul_f64 v[108:109], v[94:95], v[208:209]
	s_waitcnt vmcnt(16)
	v_fmac_f64_e32 v[108:109], v[96:97], v[214:215]
	v_add_f64 v[114:115], v[106:107], v[108:109]
	ds_read_b128 v[106:109], v228 offset:1824
	buffer_load_dword v243, off, s[0:3], 0 offset:956
	buffer_load_dword v242, off, s[0:3], 0 offset:952
	;; [unrolled: 1-line block ×4, first 2 shown]
	s_waitcnt vmcnt(18)
	v_mul_f64 v[116:117], v[98:99], v[212:213]
	s_waitcnt vmcnt(16)
	v_fmac_f64_e32 v[116:117], v[100:101], v[218:219]
	v_add_f64 v[114:115], v[114:115], v[116:117]
	s_waitcnt vmcnt(14) lgkmcnt(0)
	v_mul_f64 v[116:117], v[106:107], v[222:223]
	s_waitcnt vmcnt(12)
	v_fmac_f64_e32 v[116:117], v[108:109], v[224:225]
	v_add_f64 v[114:115], v[114:115], v[116:117]
	s_waitcnt vmcnt(9)
	v_mul_f64 v[116:117], v[102:103], v[236:237]
	s_waitcnt vmcnt(7)
	v_fmac_f64_e32 v[116:117], v[104:105], v[238:239]
	v_add_f64 v[114:115], v[114:115], v[116:117]
	s_waitcnt vmcnt(5)
	v_mul_f64 v[116:117], v[110:111], v[220:221]
	s_waitcnt vmcnt(4)
	v_fmac_f64_e32 v[116:117], v[112:113], v[226:227]
	v_add_f64 v[240:241], v[114:115], v[116:117]
	ds_read_b128 v[114:117], v228 offset:1872
	s_waitcnt vmcnt(2) lgkmcnt(0)
	v_mul_f64 v[228:229], v[114:115], v[242:243]
	s_waitcnt vmcnt(0)
	v_fmac_f64_e32 v[228:229], v[116:117], v[244:245]
	v_add_f64 v[240:241], v[240:241], v[228:229]
	v_add_f64 v[228:229], v[230:231], 0
	;; [unrolled: 1-line block ×6, first 2 shown]
	buffer_load_dword v248, off, s[0:3], 0 offset:368
	buffer_load_dword v249, off, s[0:3], 0 offset:372
	;; [unrolled: 1-line block ×4, first 2 shown]
	v_add_f64 v[118:119], v[254:255], v[250:251]
	v_add_f64 v[118:119], v[118:119], v[252:253]
	;; [unrolled: 1-line block ×4, first 2 shown]
	v_mul_f64 v[4:5], v[12:13], v[132:133]
	v_fma_f64 v[4:5], v[10:11], v[134:135], -v[4:5]
	v_add_f64 v[2:3], v[2:3], v[4:5]
	v_mul_f64 v[4:5], v[16:17], v[128:129]
	v_fma_f64 v[4:5], v[14:15], v[130:131], -v[4:5]
	v_add_f64 v[2:3], v[2:3], v[4:5]
	;; [unrolled: 3-line block ×27, first 2 shown]
	s_waitcnt vmcnt(2)
	v_add_f64 v[2:3], v[248:249], -v[2:3]
	s_waitcnt vmcnt(0)
	v_add_f64 v[4:5], v[246:247], -v[240:241]
	buffer_store_dword v3, off, s[0:3], 0 offset:372
	buffer_store_dword v2, off, s[0:3], 0 offset:368
	;; [unrolled: 1-line block ×4, first 2 shown]
	s_and_saveexec_b64 s[4:5], vcc
	s_cbranch_execz .LBB122_325
; %bb.324:
	v_accvgpr_read_b32 v0, a155
	buffer_load_dword v2, v0, s[0:3], 0 offen
	buffer_load_dword v3, v0, s[0:3], 0 offen offset:4
	buffer_load_dword v4, v0, s[0:3], 0 offen offset:8
	;; [unrolled: 1-line block ×3, first 2 shown]
	v_mov_b32_e32 v0, 0
	v_accvgpr_read_b32 v6, a177
	buffer_store_dword v0, off, s[0:3], 0 offset:352
	buffer_store_dword v0, off, s[0:3], 0 offset:356
	;; [unrolled: 1-line block ×4, first 2 shown]
	s_waitcnt vmcnt(4)
	ds_write_b128 v6, v[2:5]
.LBB122_325:
	s_or_b64 exec, exec, s[4:5]
	s_waitcnt lgkmcnt(0)
	; wave barrier
	s_waitcnt lgkmcnt(0)
	buffer_load_dword v66, off, s[0:3], 0 offset:368
	buffer_load_dword v67, off, s[0:3], 0 offset:372
	;; [unrolled: 1-line block ×55, first 2 shown]
	v_mov_b32_e32 v228, 0
	ds_read_b128 v[74:77], v228 offset:1296
	ds_read_b128 v[86:89], v228 offset:1312
	;; [unrolled: 1-line block ×9, first 2 shown]
	buffer_load_dword v138, off, s[0:3], 0 offset:592
	buffer_load_dword v157, off, s[0:3], 0 offset:588
	;; [unrolled: 1-line block ×61, first 2 shown]
	v_cmp_lt_u32_e32 vcc, 20, v1
	s_waitcnt vmcnt(62) lgkmcnt(8)
	v_mul_f64 v[6:7], v[74:75], v[68:69]
	v_fmac_f64_e32 v[6:7], v[76:77], v[66:67]
	v_add_f64 v[6:7], v[6:7], 0
	v_mul_f64 v[68:69], v[76:77], v[68:69]
	s_waitcnt lgkmcnt(7)
	v_mul_f64 v[8:9], v[86:87], v[72:73]
	v_fmac_f64_e32 v[8:9], v[88:89], v[70:71]
	s_waitcnt lgkmcnt(6)
	v_mul_f64 v[10:11], v[98:99], v[78:79]
	v_add_f64 v[6:7], v[6:7], v[8:9]
	s_waitcnt lgkmcnt(4)
	v_mul_f64 v[14:15], v[114:115], v[90:91]
	v_fma_f64 v[230:231], v[74:75], v[66:67], -v[68:69]
	v_fmac_f64_e32 v[14:15], v[116:117], v[92:93]
	v_mul_f64 v[72:73], v[88:89], v[72:73]
	v_mul_f64 v[12:13], v[110:111], v[82:83]
	;; [unrolled: 1-line block ×3, first 2 shown]
	s_waitcnt lgkmcnt(2)
	v_mul_f64 v[18:19], v[244:245], v[102:103]
	v_mul_f64 v[82:83], v[112:113], v[82:83]
	;; [unrolled: 1-line block ×4, first 2 shown]
	v_fma_f64 v[252:253], v[114:115], v[92:93], -v[90:91]
	s_waitcnt lgkmcnt(1)
	v_mul_f64 v[20:21], v[248:249], v[106:107]
	v_fmac_f64_e32 v[20:21], v[250:251], v[108:109]
	v_fmac_f64_e32 v[10:11], v[100:101], v[80:81]
	v_add_f64 v[6:7], v[6:7], v[10:11]
	v_fmac_f64_e32 v[12:13], v[112:113], v[84:85]
	v_add_f64 v[6:7], v[6:7], v[12:13]
	;; [unrolled: 2-line block ×4, first 2 shown]
	v_add_f64 v[6:7], v[6:7], v[18:19]
	v_add_f64 v[10:11], v[6:7], v[20:21]
	ds_read_b128 v[6:9], v228 offset:1440
	s_waitcnt lgkmcnt(1)
	v_mul_f64 v[12:13], v[2:3], v[120:121]
	v_fmac_f64_e32 v[12:13], v[4:5], v[122:123]
	v_add_f64 v[14:15], v[10:11], v[12:13]
	ds_read_b128 v[10:13], v228 offset:1456
	s_waitcnt lgkmcnt(1)
	v_mul_f64 v[16:17], v[6:7], v[128:129]
	v_fmac_f64_e32 v[16:17], v[8:9], v[130:131]
	;; [unrolled: 5-line block ×5, first 2 shown]
	v_add_f64 v[30:31], v[26:27], v[28:29]
	ds_read_b128 v[26:29], v228 offset:1520
	s_waitcnt vmcnt(58) lgkmcnt(1)
	v_mul_f64 v[32:33], v[22:23], v[156:157]
	s_waitcnt vmcnt(56)
	v_fmac_f64_e32 v[32:33], v[24:25], v[160:161]
	v_add_f64 v[34:35], v[30:31], v[32:33]
	ds_read_b128 v[30:33], v228 offset:1536
	s_waitcnt lgkmcnt(1)
	v_mul_f64 v[36:37], v[26:27], v[136:137]
	v_fmac_f64_e32 v[36:37], v[28:29], v[138:139]
	v_add_f64 v[38:39], v[34:35], v[36:37]
	ds_read_b128 v[34:37], v228 offset:1552
	s_waitcnt vmcnt(50) lgkmcnt(1)
	v_mul_f64 v[40:41], v[30:31], v[164:165]
	s_waitcnt vmcnt(48)
	v_fmac_f64_e32 v[40:41], v[32:33], v[168:169]
	v_add_f64 v[42:43], v[38:39], v[40:41]
	ds_read_b128 v[38:41], v228 offset:1568
	s_waitcnt lgkmcnt(1)
	v_mul_f64 v[44:45], v[34:35], v[144:145]
	v_fmac_f64_e32 v[44:45], v[36:37], v[146:147]
	v_add_f64 v[46:47], v[42:43], v[44:45]
	ds_read_b128 v[42:45], v228 offset:1584
	s_waitcnt vmcnt(42) lgkmcnt(1)
	v_mul_f64 v[48:49], v[38:39], v[172:173]
	s_waitcnt vmcnt(40)
	v_fmac_f64_e32 v[48:49], v[40:41], v[176:177]
	v_add_f64 v[50:51], v[46:47], v[48:49]
	ds_read_b128 v[46:49], v228 offset:1600
	buffer_load_dword v205, off, s[0:3], 0 offset:844
	buffer_load_dword v204, off, s[0:3], 0 offset:840
	;; [unrolled: 1-line block ×4, first 2 shown]
	s_waitcnt lgkmcnt(1)
	v_mul_f64 v[52:53], v[42:43], v[148:149]
	v_fmac_f64_e32 v[52:53], v[44:45], v[150:151]
	v_add_f64 v[54:55], v[50:51], v[52:53]
	ds_read_b128 v[50:53], v228 offset:1616
	buffer_load_dword v209, off, s[0:3], 0 offset:860
	buffer_load_dword v208, off, s[0:3], 0 offset:856
	;; [unrolled: 1-line block ×8, first 2 shown]
	s_waitcnt vmcnt(46) lgkmcnt(1)
	v_mul_f64 v[56:57], v[46:47], v[180:181]
	s_waitcnt vmcnt(44)
	v_fmac_f64_e32 v[56:57], v[48:49], v[184:185]
	v_add_f64 v[58:59], v[54:55], v[56:57]
	ds_read_b128 v[54:57], v228 offset:1632
	buffer_load_dword v219, off, s[0:3], 0 offset:892
	buffer_load_dword v218, off, s[0:3], 0 offset:888
	;; [unrolled: 1-line block ×12, first 2 shown]
	s_waitcnt lgkmcnt(1)
	v_mul_f64 v[60:61], v[50:51], v[152:153]
	v_fmac_f64_e32 v[60:61], v[52:53], v[154:155]
	v_add_f64 v[62:63], v[58:59], v[60:61]
	ds_read_b128 v[58:61], v228 offset:1648
	s_waitcnt vmcnt(50) lgkmcnt(1)
	v_mul_f64 v[64:65], v[54:55], v[188:189]
	s_waitcnt vmcnt(48)
	v_fmac_f64_e32 v[64:65], v[56:57], v[190:191]
	v_add_f64 v[62:63], v[62:63], v[64:65]
	buffer_load_dword v237, off, s[0:3], 0 offset:940
	buffer_load_dword v236, off, s[0:3], 0 offset:936
	;; [unrolled: 1-line block ×4, first 2 shown]
	s_waitcnt lgkmcnt(0)
	v_mul_f64 v[64:65], v[58:59], v[158:159]
	v_fmac_f64_e32 v[64:65], v[60:61], v[162:163]
	v_add_f64 v[118:119], v[62:63], v[64:65]
	ds_read_b128 v[62:65], v228 offset:1664
	ds_read_b128 v[66:69], v228 offset:1680
	v_fma_f64 v[232:233], v[98:99], v[80:81], -v[78:79]
	ds_read_b128 v[78:81], v228 offset:1728
	v_fma_f64 v[234:235], v[110:111], v[84:85], -v[82:83]
	ds_read_b128 v[82:85], v228 offset:1744
	s_waitcnt vmcnt(46) lgkmcnt(3)
	v_mul_f64 v[74:75], v[62:63], v[192:193]
	s_waitcnt vmcnt(44)
	v_fmac_f64_e32 v[74:75], v[64:65], v[194:195]
	v_add_f64 v[74:75], v[118:119], v[74:75]
	v_fma_f64 v[118:119], v[86:87], v[70:71], -v[72:73]
	ds_read_b128 v[70:73], v228 offset:1696
	s_waitcnt lgkmcnt(3)
	v_mul_f64 v[76:77], v[66:67], v[166:167]
	v_fmac_f64_e32 v[76:77], v[68:69], v[170:171]
	v_add_f64 v[86:87], v[74:75], v[76:77]
	ds_read_b128 v[74:77], v228 offset:1712
	s_waitcnt vmcnt(38) lgkmcnt(1)
	v_mul_f64 v[88:89], v[70:71], v[196:197]
	s_waitcnt vmcnt(36)
	v_fmac_f64_e32 v[88:89], v[72:73], v[198:199]
	v_add_f64 v[86:87], v[86:87], v[88:89]
	ds_read_b128 v[90:93], v228 offset:1776
	s_waitcnt lgkmcnt(1)
	v_mul_f64 v[88:89], v[74:75], v[174:175]
	v_fmac_f64_e32 v[88:89], v[76:77], v[178:179]
	v_add_f64 v[86:87], v[86:87], v[88:89]
	s_waitcnt vmcnt(30)
	v_mul_f64 v[88:89], v[78:79], v[200:201]
	s_waitcnt vmcnt(28)
	v_fmac_f64_e32 v[88:89], v[80:81], v[202:203]
	v_add_f64 v[86:87], v[86:87], v[88:89]
	v_mul_f64 v[88:89], v[82:83], v[182:183]
	v_fmac_f64_e32 v[88:89], v[84:85], v[186:187]
	v_add_f64 v[98:99], v[86:87], v[88:89]
	ds_read_b128 v[86:89], v228 offset:1760
	v_mul_f64 v[94:95], v[242:243], v[94:95]
	v_fma_f64 v[254:255], v[240:241], v[96:97], -v[94:95]
	ds_read_b128 v[94:97], v228 offset:1792
	v_mul_f64 v[102:103], v[246:247], v[102:103]
	v_fma_f64 v[246:247], v[244:245], v[104:105], -v[102:103]
	;; [unrolled: 3-line block ×3, first 2 shown]
	v_add_f64 v[230:231], v[230:231], 0
	v_add_f64 v[118:119], v[230:231], v[118:119]
	;; [unrolled: 1-line block ×7, first 2 shown]
	v_mul_f64 v[4:5], v[4:5], v[120:121]
	v_add_f64 v[118:119], v[252:253], v[250:251]
	v_fma_f64 v[2:3], v[2:3], v[122:123], -v[4:5]
	v_mul_f64 v[4:5], v[8:9], v[128:129]
	v_add_f64 v[2:3], v[118:119], v[2:3]
	v_fma_f64 v[4:5], v[6:7], v[130:131], -v[4:5]
	v_add_f64 v[2:3], v[2:3], v[4:5]
	ds_read_b128 v[106:109], v228 offset:1840
	v_mul_f64 v[4:5], v[12:13], v[124:125]
	v_fma_f64 v[4:5], v[10:11], v[126:127], -v[4:5]
	v_add_f64 v[2:3], v[2:3], v[4:5]
	s_waitcnt vmcnt(26) lgkmcnt(3)
	v_mul_f64 v[100:101], v[86:87], v[204:205]
	v_mul_f64 v[4:5], v[16:17], v[140:141]
	s_waitcnt vmcnt(24)
	v_fmac_f64_e32 v[100:101], v[88:89], v[206:207]
	v_add_f64 v[98:99], v[98:99], v[100:101]
	s_waitcnt vmcnt(22)
	v_mul_f64 v[100:101], v[90:91], v[208:209]
	s_waitcnt vmcnt(20)
	v_fmac_f64_e32 v[100:101], v[92:93], v[212:213]
	v_add_f64 v[98:99], v[98:99], v[100:101]
	s_waitcnt vmcnt(18) lgkmcnt(2)
	v_mul_f64 v[100:101], v[94:95], v[210:211]
	s_waitcnt vmcnt(16)
	v_fmac_f64_e32 v[100:101], v[96:97], v[214:215]
	v_add_f64 v[110:111], v[98:99], v[100:101]
	ds_read_b128 v[98:101], v228 offset:1808
	v_fma_f64 v[4:5], v[14:15], v[142:143], -v[4:5]
	v_add_f64 v[2:3], v[2:3], v[4:5]
	v_mul_f64 v[4:5], v[20:21], v[132:133]
	v_fma_f64 v[4:5], v[18:19], v[134:135], -v[4:5]
	s_waitcnt vmcnt(14) lgkmcnt(0)
	v_mul_f64 v[112:113], v[98:99], v[218:219]
	s_waitcnt vmcnt(12)
	v_fmac_f64_e32 v[112:113], v[100:101], v[220:221]
	v_add_f64 v[110:111], v[110:111], v[112:113]
	s_waitcnt vmcnt(9)
	v_mul_f64 v[112:113], v[102:103], v[224:225]
	s_waitcnt vmcnt(7)
	v_fmac_f64_e32 v[112:113], v[104:105], v[226:227]
	v_add_f64 v[110:111], v[110:111], v[112:113]
	s_waitcnt vmcnt(5)
	v_mul_f64 v[112:113], v[106:107], v[216:217]
	s_waitcnt vmcnt(4)
	v_fmac_f64_e32 v[112:113], v[108:109], v[222:223]
	v_add_f64 v[114:115], v[110:111], v[112:113]
	ds_read_b128 v[110:113], v228 offset:1856
	buffer_load_dword v242, off, s[0:3], 0 offset:952
	buffer_load_dword v243, off, s[0:3], 0 offset:956
	;; [unrolled: 1-line block ×4, first 2 shown]
	v_add_f64 v[2:3], v[2:3], v[4:5]
	v_mul_f64 v[4:5], v[24:25], v[156:157]
	v_fma_f64 v[4:5], v[22:23], v[160:161], -v[4:5]
	s_waitcnt vmcnt(6) lgkmcnt(0)
	v_mul_f64 v[116:117], v[110:111], v[236:237]
	s_waitcnt vmcnt(4)
	v_fmac_f64_e32 v[116:117], v[112:113], v[238:239]
	v_add_f64 v[240:241], v[114:115], v[116:117]
	ds_read_b128 v[114:117], v228 offset:1872
	v_add_f64 v[2:3], v[2:3], v[4:5]
	v_mul_f64 v[4:5], v[28:29], v[136:137]
	v_fma_f64 v[4:5], v[26:27], v[138:139], -v[4:5]
	v_add_f64 v[2:3], v[2:3], v[4:5]
	v_mul_f64 v[4:5], v[32:33], v[164:165]
	v_fma_f64 v[4:5], v[30:31], v[168:169], -v[4:5]
	v_add_f64 v[2:3], v[2:3], v[4:5]
	v_mul_f64 v[4:5], v[36:37], v[144:145]
	v_fma_f64 v[4:5], v[34:35], v[146:147], -v[4:5]
	v_add_f64 v[2:3], v[2:3], v[4:5]
	v_mul_f64 v[4:5], v[40:41], v[172:173]
	v_fma_f64 v[4:5], v[38:39], v[176:177], -v[4:5]
	v_add_f64 v[2:3], v[2:3], v[4:5]
	v_mul_f64 v[4:5], v[44:45], v[148:149]
	v_fma_f64 v[4:5], v[42:43], v[150:151], -v[4:5]
	v_add_f64 v[2:3], v[2:3], v[4:5]
	v_mul_f64 v[4:5], v[48:49], v[180:181]
	v_fma_f64 v[4:5], v[46:47], v[184:185], -v[4:5]
	v_add_f64 v[2:3], v[2:3], v[4:5]
	v_mul_f64 v[4:5], v[52:53], v[152:153]
	v_fma_f64 v[4:5], v[50:51], v[154:155], -v[4:5]
	v_add_f64 v[2:3], v[2:3], v[4:5]
	v_mul_f64 v[4:5], v[56:57], v[188:189]
	v_fma_f64 v[4:5], v[54:55], v[190:191], -v[4:5]
	v_add_f64 v[2:3], v[2:3], v[4:5]
	v_mul_f64 v[4:5], v[60:61], v[158:159]
	v_fma_f64 v[4:5], v[58:59], v[162:163], -v[4:5]
	v_add_f64 v[2:3], v[2:3], v[4:5]
	v_mul_f64 v[4:5], v[64:65], v[192:193]
	v_fma_f64 v[4:5], v[62:63], v[194:195], -v[4:5]
	v_add_f64 v[2:3], v[2:3], v[4:5]
	v_mul_f64 v[4:5], v[68:69], v[166:167]
	v_fma_f64 v[4:5], v[66:67], v[170:171], -v[4:5]
	v_add_f64 v[2:3], v[2:3], v[4:5]
	v_mul_f64 v[4:5], v[72:73], v[196:197]
	v_fma_f64 v[4:5], v[70:71], v[198:199], -v[4:5]
	v_add_f64 v[2:3], v[2:3], v[4:5]
	v_mul_f64 v[4:5], v[76:77], v[174:175]
	v_fma_f64 v[4:5], v[74:75], v[178:179], -v[4:5]
	v_add_f64 v[2:3], v[2:3], v[4:5]
	v_mul_f64 v[4:5], v[80:81], v[200:201]
	v_fma_f64 v[4:5], v[78:79], v[202:203], -v[4:5]
	v_add_f64 v[2:3], v[2:3], v[4:5]
	v_mul_f64 v[4:5], v[84:85], v[182:183]
	v_fma_f64 v[4:5], v[82:83], v[186:187], -v[4:5]
	v_add_f64 v[2:3], v[2:3], v[4:5]
	v_mul_f64 v[4:5], v[88:89], v[204:205]
	v_fma_f64 v[4:5], v[86:87], v[206:207], -v[4:5]
	v_add_f64 v[2:3], v[2:3], v[4:5]
	v_mul_f64 v[4:5], v[92:93], v[208:209]
	v_fma_f64 v[4:5], v[90:91], v[212:213], -v[4:5]
	v_add_f64 v[2:3], v[2:3], v[4:5]
	v_mul_f64 v[4:5], v[96:97], v[210:211]
	v_fma_f64 v[4:5], v[94:95], v[214:215], -v[4:5]
	v_add_f64 v[2:3], v[2:3], v[4:5]
	v_mul_f64 v[4:5], v[100:101], v[218:219]
	v_fma_f64 v[4:5], v[98:99], v[220:221], -v[4:5]
	v_add_f64 v[2:3], v[2:3], v[4:5]
	v_mul_f64 v[4:5], v[104:105], v[224:225]
	v_fma_f64 v[4:5], v[102:103], v[226:227], -v[4:5]
	v_add_f64 v[2:3], v[2:3], v[4:5]
	v_mul_f64 v[4:5], v[108:109], v[216:217]
	v_fma_f64 v[4:5], v[106:107], v[222:223], -v[4:5]
	v_add_f64 v[2:3], v[2:3], v[4:5]
	v_mul_f64 v[4:5], v[112:113], v[236:237]
	v_fma_f64 v[4:5], v[110:111], v[238:239], -v[4:5]
	v_add_f64 v[2:3], v[2:3], v[4:5]
	s_waitcnt vmcnt(2) lgkmcnt(0)
	v_mul_f64 v[248:249], v[114:115], v[242:243]
	v_mul_f64 v[4:5], v[116:117], v[242:243]
	s_waitcnt vmcnt(0)
	v_fmac_f64_e32 v[248:249], v[116:117], v[244:245]
	v_add_f64 v[240:241], v[240:241], v[248:249]
	buffer_load_dword v248, off, s[0:3], 0 offset:352
	buffer_load_dword v249, off, s[0:3], 0 offset:356
	;; [unrolled: 1-line block ×4, first 2 shown]
	v_fma_f64 v[4:5], v[114:115], v[244:245], -v[4:5]
	v_add_f64 v[2:3], v[2:3], v[4:5]
	s_waitcnt vmcnt(2)
	v_add_f64 v[2:3], v[248:249], -v[2:3]
	s_waitcnt vmcnt(0)
	v_add_f64 v[4:5], v[246:247], -v[240:241]
	buffer_store_dword v3, off, s[0:3], 0 offset:356
	buffer_store_dword v2, off, s[0:3], 0 offset:352
	;; [unrolled: 1-line block ×4, first 2 shown]
	s_and_saveexec_b64 s[4:5], vcc
	s_cbranch_execz .LBB122_327
; %bb.326:
	v_accvgpr_read_b32 v0, a156
	buffer_load_dword v2, v0, s[0:3], 0 offen
	buffer_load_dword v3, v0, s[0:3], 0 offen offset:4
	buffer_load_dword v4, v0, s[0:3], 0 offen offset:8
	;; [unrolled: 1-line block ×3, first 2 shown]
	v_accvgpr_read_b32 v0, a177
	buffer_store_dword v228, off, s[0:3], 0 offset:336
	buffer_store_dword v228, off, s[0:3], 0 offset:340
	;; [unrolled: 1-line block ×4, first 2 shown]
	s_waitcnt vmcnt(4)
	ds_write_b128 v0, v[2:5]
.LBB122_327:
	s_or_b64 exec, exec, s[4:5]
	s_waitcnt lgkmcnt(0)
	; wave barrier
	s_waitcnt lgkmcnt(0)
	buffer_load_dword v66, off, s[0:3], 0 offset:352
	buffer_load_dword v67, off, s[0:3], 0 offset:356
	buffer_load_dword v68, off, s[0:3], 0 offset:360
	buffer_load_dword v69, off, s[0:3], 0 offset:364
	buffer_load_dword v62, off, s[0:3], 0 offset:368
	buffer_load_dword v63, off, s[0:3], 0 offset:372
	buffer_load_dword v64, off, s[0:3], 0 offset:376
	buffer_load_dword v65, off, s[0:3], 0 offset:380
	buffer_load_dword v70, off, s[0:3], 0 offset:392
	buffer_load_dword v71, off, s[0:3], 0 offset:396
	buffer_load_dword v83, off, s[0:3], 0 offset:428
	buffer_load_dword v82, off, s[0:3], 0 offset:424
	buffer_load_dword v85, off, s[0:3], 0 offset:420
	buffer_load_dword v84, off, s[0:3], 0 offset:416
	buffer_load_dword v75, off, s[0:3], 0 offset:412
	buffer_load_dword v74, off, s[0:3], 0 offset:408
	buffer_load_dword v95, off, s[0:3], 0 offset:460
	buffer_load_dword v94, off, s[0:3], 0 offset:456
	buffer_load_dword v97, off, s[0:3], 0 offset:452
	buffer_load_dword v96, off, s[0:3], 0 offset:448
	buffer_load_dword v87, off, s[0:3], 0 offset:444
	buffer_load_dword v86, off, s[0:3], 0 offset:440
	buffer_load_dword v107, off, s[0:3], 0 offset:492
	buffer_load_dword v106, off, s[0:3], 0 offset:488
	buffer_load_dword v108, off, s[0:3], 0 offset:480
	buffer_load_dword v99, off, s[0:3], 0 offset:476
	buffer_load_dword v98, off, s[0:3], 0 offset:472
	buffer_load_dword v121, off, s[0:3], 0 offset:508
	buffer_load_dword v120, off, s[0:3], 0 offset:504
	buffer_load_dword v72, off, s[0:3], 0 offset:384
	buffer_load_dword v73, off, s[0:3], 0 offset:388
	buffer_load_dword v77, off, s[0:3], 0 offset:404
	buffer_load_dword v76, off, s[0:3], 0 offset:400
	buffer_load_dword v89, off, s[0:3], 0 offset:436
	buffer_load_dword v88, off, s[0:3], 0 offset:432
	buffer_load_dword v101, off, s[0:3], 0 offset:468
	buffer_load_dword v100, off, s[0:3], 0 offset:464
	buffer_load_dword v109, off, s[0:3], 0 offset:484
	buffer_load_dword v122, off, s[0:3], 0 offset:520
	buffer_load_dword v124, off, s[0:3], 0 offset:512
	buffer_load_dword v125, off, s[0:3], 0 offset:516
	buffer_load_dword v123, off, s[0:3], 0 offset:524
	ds_read_b128 v[78:81], v228 offset:1280
	ds_read_b128 v[90:93], v228 offset:1296
	;; [unrolled: 1-line block ×10, first 2 shown]
	buffer_load_dword v131, off, s[0:3], 0 offset:500
	buffer_load_dword v130, off, s[0:3], 0 offset:496
	ds_read_b128 v[6:9], v228 offset:1440
	buffer_load_dword v127, off, s[0:3], 0 offset:556
	buffer_load_dword v126, off, s[0:3], 0 offset:552
	;; [unrolled: 1-line block ×80, first 2 shown]
	s_waitcnt vmcnt(62) lgkmcnt(10)
	v_mul_f64 v[10:11], v[78:79], v[68:69]
	v_fmac_f64_e32 v[10:11], v[80:81], v[66:67]
	v_add_f64 v[10:11], v[10:11], 0
	v_mul_f64 v[68:69], v[80:81], v[68:69]
	s_waitcnt lgkmcnt(9)
	v_mul_f64 v[12:13], v[90:91], v[64:65]
	v_fmac_f64_e32 v[12:13], v[92:93], v[62:63]
	s_waitcnt lgkmcnt(8)
	v_mul_f64 v[14:15], v[102:103], v[70:71]
	v_add_f64 v[10:11], v[10:11], v[12:13]
	s_waitcnt lgkmcnt(6)
	v_mul_f64 v[18:19], v[114:115], v[82:83]
	v_mul_f64 v[64:65], v[92:93], v[64:65]
	v_fmac_f64_e32 v[18:19], v[116:117], v[84:85]
	v_fma_f64 v[232:233], v[90:91], v[62:63], -v[64:65]
	v_mul_f64 v[16:17], v[110:111], v[74:75]
	v_fma_f64 v[230:231], v[78:79], v[66:67], -v[68:69]
	s_waitcnt lgkmcnt(4)
	v_mul_f64 v[22:23], v[244:245], v[94:95]
	v_mul_f64 v[70:71], v[104:105], v[70:71]
	v_fmac_f64_e32 v[22:23], v[246:247], v[96:97]
	v_mul_f64 v[74:75], v[112:113], v[74:75]
	v_mul_f64 v[20:21], v[240:241], v[86:87]
	;; [unrolled: 1-line block ×3, first 2 shown]
	s_waitcnt lgkmcnt(2)
	v_mul_f64 v[26:27], v[252:253], v[106:107]
	v_fma_f64 v[0:1], v[114:115], v[84:85], -v[82:83]
	v_mul_f64 v[86:87], v[242:243], v[86:87]
	v_mul_f64 v[24:25], v[248:249], v[98:99]
	v_mul_f64 v[94:95], v[246:247], v[94:95]
	s_waitcnt lgkmcnt(1)
	v_mul_f64 v[28:29], v[2:3], v[120:121]
	v_fma_f64 v[246:247], v[244:245], v[96:97], -v[94:95]
	v_fmac_f64_e32 v[14:15], v[104:105], v[72:73]
	v_add_f64 v[10:11], v[10:11], v[14:15]
	v_fmac_f64_e32 v[16:17], v[112:113], v[76:77]
	v_add_f64 v[10:11], v[10:11], v[16:17]
	;; [unrolled: 2-line block ×3, first 2 shown]
	v_add_f64 v[10:11], v[10:11], v[20:21]
	v_fmac_f64_e32 v[24:25], v[250:251], v[100:101]
	v_add_f64 v[10:11], v[10:11], v[22:23]
	v_fmac_f64_e32 v[26:27], v[254:255], v[108:109]
	v_add_f64 v[10:11], v[10:11], v[24:25]
	v_add_f64 v[10:11], v[10:11], v[26:27]
	s_waitcnt lgkmcnt(0)
	v_mul_f64 v[16:17], v[6:7], v[122:123]
	v_fmac_f64_e32 v[28:29], v[4:5], v[130:131]
	v_add_f64 v[14:15], v[10:11], v[28:29]
	ds_read_b128 v[10:13], v228 offset:1456
	v_fmac_f64_e32 v[16:17], v[8:9], v[124:125]
	v_add_f64 v[18:19], v[14:15], v[16:17]
	ds_read_b128 v[14:17], v228 offset:1472
	v_fma_f64 v[234:235], v[110:111], v[76:77], -v[74:75]
	s_waitcnt lgkmcnt(1)
	v_mul_f64 v[20:21], v[10:11], v[132:133]
	v_fmac_f64_e32 v[20:21], v[12:13], v[148:149]
	v_add_f64 v[22:23], v[18:19], v[20:21]
	ds_read_b128 v[18:21], v228 offset:1488
	s_waitcnt lgkmcnt(1)
	v_mul_f64 v[24:25], v[14:15], v[126:127]
	v_fmac_f64_e32 v[24:25], v[16:17], v[128:129]
	v_add_f64 v[26:27], v[22:23], v[24:25]
	ds_read_b128 v[22:25], v228 offset:1504
	;; [unrolled: 5-line block ×4, first 2 shown]
	s_waitcnt vmcnt(58) lgkmcnt(1)
	v_mul_f64 v[36:37], v[26:27], v[160:161]
	s_waitcnt vmcnt(56)
	v_fmac_f64_e32 v[36:37], v[28:29], v[164:165]
	v_add_f64 v[38:39], v[34:35], v[36:37]
	ds_read_b128 v[34:37], v228 offset:1552
	s_waitcnt lgkmcnt(1)
	v_mul_f64 v[40:41], v[30:31], v[138:139]
	v_fmac_f64_e32 v[40:41], v[32:33], v[140:141]
	v_add_f64 v[42:43], v[38:39], v[40:41]
	ds_read_b128 v[38:41], v228 offset:1568
	s_waitcnt vmcnt(50) lgkmcnt(1)
	v_mul_f64 v[44:45], v[34:35], v[168:169]
	s_waitcnt vmcnt(48)
	v_fmac_f64_e32 v[44:45], v[36:37], v[172:173]
	v_add_f64 v[46:47], v[42:43], v[44:45]
	ds_read_b128 v[42:45], v228 offset:1584
	s_waitcnt lgkmcnt(1)
	v_mul_f64 v[48:49], v[38:39], v[142:143]
	v_fmac_f64_e32 v[48:49], v[40:41], v[144:145]
	v_add_f64 v[50:51], v[46:47], v[48:49]
	ds_read_b128 v[46:49], v228 offset:1600
	s_waitcnt vmcnt(42) lgkmcnt(1)
	v_mul_f64 v[52:53], v[42:43], v[176:177]
	s_waitcnt vmcnt(40)
	v_fmac_f64_e32 v[52:53], v[44:45], v[180:181]
	v_add_f64 v[54:55], v[50:51], v[52:53]
	ds_read_b128 v[50:53], v228 offset:1616
	s_waitcnt lgkmcnt(1)
	v_mul_f64 v[56:57], v[46:47], v[146:147]
	buffer_load_dword v209, off, s[0:3], 0 offset:860
	buffer_load_dword v208, off, s[0:3], 0 offset:856
	;; [unrolled: 1-line block ×4, first 2 shown]
	v_fmac_f64_e32 v[56:57], v[48:49], v[150:151]
	v_add_f64 v[58:59], v[54:55], v[56:57]
	ds_read_b128 v[54:57], v228 offset:1632
	buffer_load_dword v214, off, s[0:3], 0 offset:872
	buffer_load_dword v216, off, s[0:3], 0 offset:864
	;; [unrolled: 1-line block ×16, first 2 shown]
	s_waitcnt vmcnt(54) lgkmcnt(1)
	v_mul_f64 v[60:61], v[50:51], v[184:185]
	s_waitcnt vmcnt(52)
	v_fmac_f64_e32 v[60:61], v[52:53], v[188:189]
	v_add_f64 v[118:119], v[58:59], v[60:61]
	ds_read_b128 v[58:61], v228 offset:1648
	buffer_load_dword v236, off, s[0:3], 0 offset:936
	buffer_load_dword v238, off, s[0:3], 0 offset:928
	;; [unrolled: 1-line block ×4, first 2 shown]
	ds_read_b128 v[62:65], v228 offset:1664
	s_waitcnt lgkmcnt(2)
	v_mul_f64 v[66:67], v[54:55], v[154:155]
	v_fmac_f64_e32 v[66:67], v[56:57], v[158:159]
	s_waitcnt vmcnt(50) lgkmcnt(1)
	v_mul_f64 v[68:69], v[58:59], v[192:193]
	v_add_f64 v[66:67], v[118:119], v[66:67]
	s_waitcnt vmcnt(48)
	v_fmac_f64_e32 v[68:69], v[60:61], v[194:195]
	v_add_f64 v[66:67], v[66:67], v[68:69]
	v_fma_f64 v[118:119], v[102:103], v[72:73], -v[70:71]
	ds_read_b128 v[70:73], v228 offset:1696
	s_waitcnt lgkmcnt(1)
	v_mul_f64 v[68:69], v[62:63], v[162:163]
	v_fmac_f64_e32 v[68:69], v[64:65], v[166:167]
	v_add_f64 v[78:79], v[66:67], v[68:69]
	ds_read_b128 v[66:69], v228 offset:1680
	ds_read_b128 v[74:77], v228 offset:1712
	;; [unrolled: 1-line block ×3, first 2 shown]
	v_fma_f64 v[240:241], v[240:241], v[88:89], -v[86:87]
	ds_read_b128 v[86:89], v228 offset:1760
	ds_read_b128 v[94:97], v228 offset:1792
	s_waitcnt vmcnt(42) lgkmcnt(4)
	v_mul_f64 v[80:81], v[66:67], v[196:197]
	s_waitcnt vmcnt(40)
	v_fmac_f64_e32 v[80:81], v[68:69], v[198:199]
	v_add_f64 v[78:79], v[78:79], v[80:81]
	v_mul_f64 v[80:81], v[70:71], v[170:171]
	v_fmac_f64_e32 v[80:81], v[72:73], v[174:175]
	v_add_f64 v[90:91], v[78:79], v[80:81]
	ds_read_b128 v[78:81], v228 offset:1728
	s_waitcnt vmcnt(34) lgkmcnt(4)
	v_mul_f64 v[92:93], v[74:75], v[200:201]
	s_waitcnt vmcnt(32)
	v_fmac_f64_e32 v[92:93], v[76:77], v[202:203]
	v_add_f64 v[90:91], v[90:91], v[92:93]
	v_mul_f64 v[98:99], v[250:251], v[98:99]
	s_waitcnt lgkmcnt(0)
	v_mul_f64 v[92:93], v[78:79], v[178:179]
	v_fmac_f64_e32 v[92:93], v[80:81], v[182:183]
	v_add_f64 v[90:91], v[90:91], v[92:93]
	s_waitcnt vmcnt(26)
	v_mul_f64 v[92:93], v[82:83], v[204:205]
	s_waitcnt vmcnt(24)
	v_fmac_f64_e32 v[92:93], v[84:85], v[206:207]
	v_add_f64 v[90:91], v[90:91], v[92:93]
	v_mul_f64 v[92:93], v[86:87], v[186:187]
	v_fmac_f64_e32 v[92:93], v[88:89], v[190:191]
	v_add_f64 v[102:103], v[90:91], v[92:93]
	ds_read_b128 v[90:93], v228 offset:1776
	v_fma_f64 v[250:251], v[248:249], v[100:101], -v[98:99]
	ds_read_b128 v[98:101], v228 offset:1808
	v_mul_f64 v[106:107], v[254:255], v[106:107]
	v_fma_f64 v[252:253], v[252:253], v[108:109], -v[106:107]
	v_add_f64 v[230:231], v[230:231], 0
	v_add_f64 v[230:231], v[230:231], v[232:233]
	;; [unrolled: 1-line block ×8, first 2 shown]
	v_mul_f64 v[4:5], v[4:5], v[120:121]
	v_add_f64 v[0:1], v[0:1], v[252:253]
	v_fma_f64 v[2:3], v[2:3], v[130:131], -v[4:5]
	v_add_f64 v[0:1], v[0:1], v[2:3]
	v_mul_f64 v[2:3], v[8:9], v[122:123]
	v_fma_f64 v[2:3], v[6:7], v[124:125], -v[2:3]
	v_add_f64 v[0:1], v[0:1], v[2:3]
	v_mul_f64 v[2:3], v[12:13], v[132:133]
	v_fma_f64 v[2:3], v[10:11], v[148:149], -v[2:3]
	ds_read_b128 v[106:109], v228 offset:1840
	v_add_f64 v[0:1], v[0:1], v[2:3]
	v_mul_f64 v[2:3], v[16:17], v[126:127]
	v_fma_f64 v[2:3], v[14:15], v[128:129], -v[2:3]
	v_add_f64 v[0:1], v[0:1], v[2:3]
	s_waitcnt vmcnt(13) lgkmcnt(1)
	v_mul_f64 v[112:113], v[98:99], v[218:219]
	v_mul_f64 v[2:3], v[20:21], v[152:153]
	;; [unrolled: 1-line block ×3, first 2 shown]
	s_waitcnt vmcnt(11)
	v_fmac_f64_e32 v[112:113], v[100:101], v[224:225]
	v_fmac_f64_e32 v[104:105], v[92:93], v[210:211]
	v_add_f64 v[102:103], v[102:103], v[104:105]
	v_fma_f64 v[2:3], v[18:19], v[156:157], -v[2:3]
	v_mul_f64 v[104:105], v[94:95], v[214:215]
	v_fmac_f64_e32 v[104:105], v[96:97], v[216:217]
	v_add_f64 v[110:111], v[102:103], v[104:105]
	ds_read_b128 v[102:105], v228 offset:1824
	v_add_f64 v[110:111], v[110:111], v[112:113]
	v_add_f64 v[0:1], v[0:1], v[2:3]
	v_mul_f64 v[2:3], v[24:25], v[134:135]
	v_fma_f64 v[2:3], v[22:23], v[136:137], -v[2:3]
	s_waitcnt vmcnt(10) lgkmcnt(0)
	v_mul_f64 v[112:113], v[102:103], v[212:213]
	s_waitcnt vmcnt(8)
	v_fmac_f64_e32 v[112:113], v[104:105], v[222:223]
	v_add_f64 v[110:111], v[110:111], v[112:113]
	s_waitcnt vmcnt(6)
	v_mul_f64 v[112:113], v[106:107], v[220:221]
	s_waitcnt vmcnt(4)
	v_fmac_f64_e32 v[112:113], v[108:109], v[226:227]
	v_add_f64 v[114:115], v[110:111], v[112:113]
	ds_read_b128 v[110:113], v228 offset:1856
	buffer_load_dword v243, off, s[0:3], 0 offset:956
	buffer_load_dword v242, off, s[0:3], 0 offset:952
	;; [unrolled: 1-line block ×4, first 2 shown]
	v_add_f64 v[0:1], v[0:1], v[2:3]
	v_mul_f64 v[2:3], v[28:29], v[160:161]
	v_fma_f64 v[2:3], v[26:27], v[164:165], -v[2:3]
	s_waitcnt vmcnt(5) lgkmcnt(0)
	v_mul_f64 v[116:117], v[110:111], v[236:237]
	s_waitcnt vmcnt(4)
	v_fmac_f64_e32 v[116:117], v[112:113], v[238:239]
	v_add_f64 v[248:249], v[114:115], v[116:117]
	ds_read_b128 v[114:117], v228 offset:1872
	v_add_f64 v[0:1], v[0:1], v[2:3]
	v_mul_f64 v[2:3], v[32:33], v[138:139]
	v_fma_f64 v[2:3], v[30:31], v[140:141], -v[2:3]
	v_add_f64 v[0:1], v[0:1], v[2:3]
	v_mul_f64 v[2:3], v[36:37], v[168:169]
	v_fma_f64 v[2:3], v[34:35], v[172:173], -v[2:3]
	;; [unrolled: 3-line block ×21, first 2 shown]
	v_add_f64 v[0:1], v[0:1], v[2:3]
	s_waitcnt vmcnt(2) lgkmcnt(0)
	v_mul_f64 v[228:229], v[114:115], v[242:243]
	v_mul_f64 v[2:3], v[116:117], v[242:243]
	s_waitcnt vmcnt(0)
	v_fmac_f64_e32 v[228:229], v[116:117], v[244:245]
	v_add_f64 v[228:229], v[248:249], v[228:229]
	buffer_load_dword v248, off, s[0:3], 0 offset:336
	buffer_load_dword v249, off, s[0:3], 0 offset:340
	;; [unrolled: 1-line block ×4, first 2 shown]
	v_fma_f64 v[2:3], v[114:115], v[244:245], -v[2:3]
	v_add_f64 v[0:1], v[0:1], v[2:3]
	s_waitcnt vmcnt(2)
	v_add_f64 v[0:1], v[248:249], -v[0:1]
	s_waitcnt vmcnt(0)
	v_add_f64 v[2:3], v[246:247], -v[228:229]
	v_accvgpr_read_b32 v229, a176
	v_cmp_lt_u32_e32 vcc, 19, v229
	buffer_store_dword v1, off, s[0:3], 0 offset:340
	buffer_store_dword v0, off, s[0:3], 0 offset:336
	;; [unrolled: 1-line block ×4, first 2 shown]
	s_and_saveexec_b64 s[4:5], vcc
	s_cbranch_execz .LBB122_329
; %bb.328:
	v_accvgpr_read_b32 v0, a157
	buffer_load_dword v2, v0, s[0:3], 0 offen
	buffer_load_dword v3, v0, s[0:3], 0 offen offset:4
	buffer_load_dword v4, v0, s[0:3], 0 offen offset:8
	;; [unrolled: 1-line block ×3, first 2 shown]
	v_mov_b32_e32 v0, 0
	v_accvgpr_read_b32 v1, a177
	buffer_store_dword v0, off, s[0:3], 0 offset:320
	buffer_store_dword v0, off, s[0:3], 0 offset:324
	buffer_store_dword v0, off, s[0:3], 0 offset:328
	buffer_store_dword v0, off, s[0:3], 0 offset:332
	s_waitcnt vmcnt(4)
	ds_write_b128 v1, v[2:5]
.LBB122_329:
	s_or_b64 exec, exec, s[4:5]
	s_waitcnt lgkmcnt(0)
	; wave barrier
	s_waitcnt lgkmcnt(0)
	buffer_load_dword v54, off, s[0:3], 0 offset:336
	buffer_load_dword v55, off, s[0:3], 0 offset:340
	;; [unrolled: 1-line block ×49, first 2 shown]
	v_mov_b32_e32 v228, 0
	ds_read_b128 v[62:65], v228 offset:1264
	ds_read_b128 v[74:77], v228 offset:1280
	;; [unrolled: 1-line block ×11, first 2 shown]
	buffer_load_dword v128, off, s[0:3], 0 offset:520
	buffer_load_dword v145, off, s[0:3], 0 offset:516
	;; [unrolled: 1-line block ×75, first 2 shown]
	v_cmp_lt_u32_e32 vcc, 18, v229
	s_waitcnt vmcnt(62) lgkmcnt(9)
	v_mul_f64 v[6:7], v[74:75], v[60:61]
	v_fmac_f64_e32 v[6:7], v[76:77], v[58:59]
	s_waitcnt lgkmcnt(8)
	v_mul_f64 v[8:9], v[86:87], v[66:67]
	v_mul_f64 v[60:61], v[76:77], v[60:61]
	s_waitcnt lgkmcnt(6)
	v_mul_f64 v[12:13], v[110:111], v[78:79]
	v_fma_f64 v[230:231], v[74:75], v[58:59], -v[60:61]
	v_fmac_f64_e32 v[12:13], v[112:113], v[80:81]
	v_mul_f64 v[66:67], v[88:89], v[66:67]
	v_mul_f64 v[10:11], v[98:99], v[70:71]
	;; [unrolled: 1-line block ×3, first 2 shown]
	s_waitcnt lgkmcnt(4)
	v_mul_f64 v[16:17], v[236:237], v[90:91]
	v_mul_f64 v[78:79], v[112:113], v[78:79]
	v_fmac_f64_e32 v[16:17], v[238:239], v[92:93]
	v_fma_f64 v[252:253], v[110:111], v[80:81], -v[78:79]
	v_mul_f64 v[14:15], v[114:115], v[82:83]
	v_mul_f64 v[82:83], v[116:117], v[82:83]
	s_waitcnt lgkmcnt(2)
	v_mul_f64 v[20:21], v[244:245], v[102:103]
	v_mul_f64 v[90:91], v[238:239], v[90:91]
	;; [unrolled: 1-line block ×5, first 2 shown]
	s_waitcnt lgkmcnt(1)
	v_mul_f64 v[22:23], v[248:249], v[106:107]
	v_mul_f64 v[106:107], v[250:251], v[106:107]
	v_fmac_f64_e32 v[8:9], v[88:89], v[68:69]
	v_fma_f64 v[232:233], v[86:87], v[68:69], -v[66:67]
	v_fmac_f64_e32 v[10:11], v[100:101], v[72:73]
	v_fma_f64 v[234:235], v[98:99], v[72:73], -v[70:71]
	;; [unrolled: 2-line block ×3, first 2 shown]
	v_fmac_f64_e32 v[18:19], v[242:243], v[96:97]
	v_fmac_f64_e32 v[20:21], v[246:247], v[104:105]
	v_fmac_f64_e32 v[22:23], v[250:251], v[108:109]
	v_fma_f64 v[240:241], v[240:241], v[96:97], -v[94:95]
	v_pk_mov_b32 v[2:3], v[0:1], v[0:1] op_sel:[0,1]
	v_mul_f64 v[0:1], v[62:63], v[56:57]
	v_fmac_f64_e32 v[0:1], v[64:65], v[54:55]
	v_add_f64 v[0:1], v[0:1], 0
	v_add_f64 v[0:1], v[0:1], v[6:7]
	;; [unrolled: 1-line block ×9, first 2 shown]
	ds_read_b128 v[6:9], v228 offset:1440
	s_waitcnt lgkmcnt(1)
	v_mul_f64 v[10:11], v[120:121], v[4:5]
	v_add_f64 v[0:1], v[0:1], v[22:23]
	v_fmac_f64_e32 v[10:11], v[122:123], v[2:3]
	v_add_f64 v[0:1], v[0:1], v[10:11]
	ds_read_b128 v[10:13], v228 offset:1456
	s_waitcnt lgkmcnt(1)
	v_mul_f64 v[14:15], v[6:7], v[128:129]
	v_fmac_f64_e32 v[14:15], v[8:9], v[144:145]
	v_add_f64 v[0:1], v[0:1], v[14:15]
	ds_read_b128 v[14:17], v228 offset:1472
	s_waitcnt lgkmcnt(1)
	v_mul_f64 v[18:19], v[10:11], v[124:125]
	;; [unrolled: 5-line block ×4, first 2 shown]
	v_fmac_f64_e32 v[26:27], v[20:21], v[132:133]
	v_add_f64 v[0:1], v[0:1], v[26:27]
	ds_read_b128 v[26:29], v228 offset:1520
	s_waitcnt vmcnt(58) lgkmcnt(1)
	v_mul_f64 v[30:31], v[22:23], v[156:157]
	s_waitcnt vmcnt(56)
	v_fmac_f64_e32 v[30:31], v[24:25], v[160:161]
	v_add_f64 v[0:1], v[0:1], v[30:31]
	ds_read_b128 v[30:33], v228 offset:1536
	s_waitcnt lgkmcnt(1)
	v_mul_f64 v[34:35], v[26:27], v[134:135]
	v_fmac_f64_e32 v[34:35], v[28:29], v[136:137]
	v_add_f64 v[0:1], v[0:1], v[34:35]
	ds_read_b128 v[34:37], v228 offset:1552
	s_waitcnt vmcnt(50) lgkmcnt(1)
	v_mul_f64 v[38:39], v[30:31], v[164:165]
	s_waitcnt vmcnt(48)
	v_fmac_f64_e32 v[38:39], v[32:33], v[168:169]
	v_add_f64 v[0:1], v[0:1], v[38:39]
	ds_read_b128 v[38:41], v228 offset:1568
	s_waitcnt lgkmcnt(1)
	v_mul_f64 v[42:43], v[34:35], v[138:139]
	;; [unrolled: 11-line block ×3, first 2 shown]
	buffer_load_dword v205, off, s[0:3], 0 offset:844
	buffer_load_dword v204, off, s[0:3], 0 offset:840
	;; [unrolled: 1-line block ×4, first 2 shown]
	v_fmac_f64_e32 v[50:51], v[44:45], v[146:147]
	v_add_f64 v[0:1], v[0:1], v[50:51]
	ds_read_b128 v[50:53], v228 offset:1616
	buffer_load_dword v208, off, s[0:3], 0 offset:856
	buffer_load_dword v210, off, s[0:3], 0 offset:848
	;; [unrolled: 1-line block ×20, first 2 shown]
	s_waitcnt vmcnt(58) lgkmcnt(1)
	v_mul_f64 v[118:119], v[46:47], v[180:181]
	s_waitcnt vmcnt(56)
	v_fmac_f64_e32 v[118:119], v[48:49], v[184:185]
	v_mul_f64 v[56:57], v[64:65], v[56:57]
	v_add_f64 v[0:1], v[0:1], v[118:119]
	v_fma_f64 v[118:119], v[62:63], v[54:55], -v[56:57]
	ds_read_b128 v[54:57], v228 offset:1632
	ds_read_b128 v[58:61], v228 offset:1648
	s_waitcnt lgkmcnt(2)
	v_mul_f64 v[62:63], v[50:51], v[150:151]
	v_fmac_f64_e32 v[62:63], v[52:53], v[154:155]
	v_add_f64 v[0:1], v[0:1], v[62:63]
	s_waitcnt vmcnt(50) lgkmcnt(1)
	v_mul_f64 v[62:63], v[54:55], v[188:189]
	s_waitcnt vmcnt(48)
	v_fmac_f64_e32 v[62:63], v[56:57], v[190:191]
	v_add_f64 v[0:1], v[0:1], v[62:63]
	s_waitcnt lgkmcnt(0)
	v_mul_f64 v[62:63], v[58:59], v[158:159]
	v_fmac_f64_e32 v[62:63], v[60:61], v[162:163]
	v_add_f64 v[0:1], v[0:1], v[62:63]
	ds_read_b128 v[62:65], v228 offset:1664
	ds_read_b128 v[66:69], v228 offset:1680
	;; [unrolled: 1-line block ×5, first 2 shown]
	s_waitcnt vmcnt(42) lgkmcnt(4)
	v_mul_f64 v[74:75], v[62:63], v[192:193]
	s_waitcnt vmcnt(40)
	v_fmac_f64_e32 v[74:75], v[64:65], v[194:195]
	v_add_f64 v[0:1], v[0:1], v[74:75]
	s_waitcnt lgkmcnt(3)
	v_mul_f64 v[74:75], v[66:67], v[166:167]
	v_fmac_f64_e32 v[74:75], v[68:69], v[170:171]
	v_add_f64 v[0:1], v[0:1], v[74:75]
	ds_read_b128 v[74:77], v228 offset:1712
	s_waitcnt vmcnt(34) lgkmcnt(3)
	v_mul_f64 v[86:87], v[70:71], v[196:197]
	s_waitcnt vmcnt(32)
	v_fmac_f64_e32 v[86:87], v[72:73], v[198:199]
	v_add_f64 v[0:1], v[0:1], v[86:87]
	v_accvgpr_write_b32 a179, v3
	s_waitcnt lgkmcnt(0)
	v_mul_f64 v[86:87], v[74:75], v[174:175]
	v_fmac_f64_e32 v[86:87], v[76:77], v[178:179]
	v_add_f64 v[0:1], v[0:1], v[86:87]
	s_waitcnt vmcnt(26)
	v_mul_f64 v[86:87], v[78:79], v[200:201]
	s_waitcnt vmcnt(24)
	v_fmac_f64_e32 v[86:87], v[80:81], v[202:203]
	v_add_f64 v[0:1], v[0:1], v[86:87]
	v_mul_f64 v[86:87], v[82:83], v[182:183]
	v_fmac_f64_e32 v[86:87], v[84:85], v[186:187]
	v_add_f64 v[0:1], v[0:1], v[86:87]
	ds_read_b128 v[86:89], v228 offset:1760
	v_accvgpr_write_b32 a178, v2
	v_fma_f64 v[2:3], v[236:237], v[92:93], -v[90:91]
	ds_read_b128 v[90:93], v228 offset:1776
	ds_read_b128 v[94:97], v228 offset:1792
	v_fma_f64 v[246:247], v[244:245], v[104:105], -v[102:103]
	ds_read_b128 v[102:105], v228 offset:1824
	v_fma_f64 v[250:251], v[248:249], v[108:109], -v[106:107]
	ds_read_b128 v[106:109], v228 offset:1840
	v_add_f64 v[118:119], v[118:119], 0
	v_add_f64 v[118:119], v[118:119], v[230:231]
	;; [unrolled: 1-line block ×9, first 2 shown]
	v_accvgpr_read_b32 v118, a178
	v_mul_f64 v[4:5], v[122:123], v[4:5]
	v_accvgpr_read_b32 v119, a179
	v_add_f64 v[2:3], v[252:253], v[250:251]
	v_fma_f64 v[4:5], v[120:121], v[118:119], -v[4:5]
	v_add_f64 v[2:3], v[2:3], v[4:5]
	v_mul_f64 v[4:5], v[8:9], v[128:129]
	v_fma_f64 v[4:5], v[6:7], v[144:145], -v[4:5]
	v_add_f64 v[2:3], v[2:3], v[4:5]
	v_mul_f64 v[4:5], v[12:13], v[124:125]
	v_fma_f64 v[4:5], v[10:11], v[126:127], -v[4:5]
	v_add_f64 v[2:3], v[2:3], v[4:5]
	s_waitcnt vmcnt(22) lgkmcnt(4)
	v_mul_f64 v[98:99], v[86:87], v[204:205]
	v_mul_f64 v[4:5], v[16:17], v[148:149]
	s_waitcnt vmcnt(20)
	v_fmac_f64_e32 v[98:99], v[88:89], v[206:207]
	v_add_f64 v[0:1], v[0:1], v[98:99]
	v_fma_f64 v[4:5], v[14:15], v[152:153], -v[4:5]
	s_waitcnt vmcnt(17) lgkmcnt(3)
	v_mul_f64 v[98:99], v[90:91], v[208:209]
	s_waitcnt vmcnt(16)
	v_fmac_f64_e32 v[98:99], v[92:93], v[210:211]
	v_add_f64 v[0:1], v[0:1], v[98:99]
	ds_read_b128 v[98:101], v228 offset:1808
	s_waitcnt vmcnt(14) lgkmcnt(3)
	v_mul_f64 v[110:111], v[94:95], v[214:215]
	s_waitcnt vmcnt(12)
	v_fmac_f64_e32 v[110:111], v[96:97], v[218:219]
	buffer_load_dword v237, off, s[0:3], 0 offset:940
	buffer_load_dword v236, off, s[0:3], 0 offset:936
	;; [unrolled: 1-line block ×4, first 2 shown]
	v_add_f64 v[0:1], v[0:1], v[110:111]
	s_waitcnt vmcnt(14) lgkmcnt(0)
	v_mul_f64 v[110:111], v[98:99], v[216:217]
	s_waitcnt vmcnt(12)
	v_fmac_f64_e32 v[110:111], v[100:101], v[220:221]
	v_add_f64 v[0:1], v[0:1], v[110:111]
	s_waitcnt vmcnt(9)
	v_mul_f64 v[110:111], v[102:103], v[224:225]
	s_waitcnt vmcnt(7)
	v_fmac_f64_e32 v[110:111], v[104:105], v[226:227]
	v_add_f64 v[0:1], v[0:1], v[110:111]
	s_waitcnt vmcnt(5)
	v_mul_f64 v[110:111], v[106:107], v[212:213]
	s_waitcnt vmcnt(4)
	v_fmac_f64_e32 v[110:111], v[108:109], v[222:223]
	v_add_f64 v[0:1], v[0:1], v[110:111]
	ds_read_b128 v[110:113], v228 offset:1856
	buffer_load_dword v242, off, s[0:3], 0 offset:952
	buffer_load_dword v243, off, s[0:3], 0 offset:956
	;; [unrolled: 1-line block ×4, first 2 shown]
	v_add_f64 v[2:3], v[2:3], v[4:5]
	v_mul_f64 v[4:5], v[20:21], v[130:131]
	v_fma_f64 v[4:5], v[18:19], v[132:133], -v[4:5]
	v_add_f64 v[2:3], v[2:3], v[4:5]
	v_mul_f64 v[4:5], v[24:25], v[156:157]
	v_fma_f64 v[4:5], v[22:23], v[160:161], -v[4:5]
	;; [unrolled: 3-line block ×21, first 2 shown]
	v_add_f64 v[2:3], v[2:3], v[4:5]
	v_mul_f64 v[4:5], v[104:105], v[224:225]
	s_waitcnt vmcnt(6) lgkmcnt(0)
	v_mul_f64 v[114:115], v[110:111], v[236:237]
	v_fma_f64 v[4:5], v[102:103], v[226:227], -v[4:5]
	s_waitcnt vmcnt(4)
	v_fmac_f64_e32 v[114:115], v[112:113], v[238:239]
	v_add_f64 v[0:1], v[0:1], v[114:115]
	ds_read_b128 v[114:117], v228 offset:1872
	v_add_f64 v[2:3], v[2:3], v[4:5]
	v_mul_f64 v[4:5], v[108:109], v[212:213]
	v_fma_f64 v[4:5], v[106:107], v[222:223], -v[4:5]
	v_add_f64 v[2:3], v[2:3], v[4:5]
	v_mul_f64 v[4:5], v[112:113], v[236:237]
	v_fma_f64 v[4:5], v[110:111], v[238:239], -v[4:5]
	v_add_f64 v[2:3], v[2:3], v[4:5]
	s_waitcnt vmcnt(2) lgkmcnt(0)
	v_mul_f64 v[248:249], v[114:115], v[242:243]
	v_mul_f64 v[4:5], v[116:117], v[242:243]
	s_waitcnt vmcnt(0)
	v_fmac_f64_e32 v[248:249], v[116:117], v[244:245]
	v_add_f64 v[0:1], v[0:1], v[248:249]
	buffer_load_dword v248, off, s[0:3], 0 offset:320
	buffer_load_dword v249, off, s[0:3], 0 offset:324
	;; [unrolled: 1-line block ×4, first 2 shown]
	v_fma_f64 v[4:5], v[114:115], v[244:245], -v[4:5]
	v_add_f64 v[2:3], v[2:3], v[4:5]
	s_waitcnt vmcnt(2)
	v_add_f64 v[2:3], v[248:249], -v[2:3]
	s_waitcnt vmcnt(0)
	v_add_f64 v[0:1], v[246:247], -v[0:1]
	buffer_store_dword v3, off, s[0:3], 0 offset:324
	buffer_store_dword v2, off, s[0:3], 0 offset:320
	;; [unrolled: 1-line block ×4, first 2 shown]
	s_and_saveexec_b64 s[4:5], vcc
	s_cbranch_execz .LBB122_331
; %bb.330:
	v_accvgpr_read_b32 v0, a158
	buffer_load_dword v2, v0, s[0:3], 0 offen
	buffer_load_dword v3, v0, s[0:3], 0 offen offset:4
	buffer_load_dword v4, v0, s[0:3], 0 offen offset:8
	;; [unrolled: 1-line block ×3, first 2 shown]
	v_accvgpr_read_b32 v0, a177
	buffer_store_dword v228, off, s[0:3], 0 offset:304
	buffer_store_dword v228, off, s[0:3], 0 offset:308
	;; [unrolled: 1-line block ×4, first 2 shown]
	s_waitcnt vmcnt(4)
	ds_write_b128 v0, v[2:5]
.LBB122_331:
	s_or_b64 exec, exec, s[4:5]
	s_waitcnt lgkmcnt(0)
	; wave barrier
	s_waitcnt lgkmcnt(0)
	buffer_load_dword v56, off, s[0:3], 0 offset:320
	buffer_load_dword v57, off, s[0:3], 0 offset:324
	;; [unrolled: 1-line block ×42, first 2 shown]
	ds_read_b128 v[78:81], v228 offset:1248
	ds_read_b128 v[90:93], v228 offset:1264
	;; [unrolled: 1-line block ×10, first 2 shown]
	buffer_load_dword v1, off, s[0:3], 0 offset:468
	buffer_load_dword v0, off, s[0:3], 0 offset:464
	ds_read_b128 v[106:109], v228 offset:1408
	buffer_load_dword v3, off, s[0:3], 0 offset:524
	buffer_load_dword v2, off, s[0:3], 0 offset:520
	v_cmp_lt_u32_e32 vcc, 17, v229
	s_waitcnt vmcnt(38) lgkmcnt(9)
	v_mul_f64 v[4:5], v[90:91], v[62:63]
	v_fmac_f64_e32 v[4:5], v[92:93], v[54:55]
	s_waitcnt vmcnt(36) lgkmcnt(8)
	v_mul_f64 v[6:7], v[114:115], v[58:59]
	v_mul_f64 v[58:59], v[116:117], v[58:59]
	s_waitcnt vmcnt(34) lgkmcnt(6)
	v_mul_f64 v[10:11], v[240:241], v[70:71]
	v_mul_f64 v[70:71], v[242:243], v[70:71]
	s_waitcnt vmcnt(32)
	v_fmac_f64_e32 v[10:11], v[242:243], v[72:73]
	v_fma_f64 v[240:241], v[240:241], v[72:73], -v[70:71]
	s_waitcnt vmcnt(30)
	v_mul_f64 v[8:9], v[236:237], v[64:65]
	s_waitcnt vmcnt(28) lgkmcnt(4)
	v_mul_f64 v[14:15], v[248:249], v[82:83]
	v_mul_f64 v[82:83], v[250:251], v[82:83]
	s_waitcnt vmcnt(26)
	v_fmac_f64_e32 v[14:15], v[250:251], v[84:85]
	v_fma_f64 v[248:249], v[248:249], v[84:85], -v[82:83]
	s_waitcnt vmcnt(24)
	v_mul_f64 v[12:13], v[244:245], v[74:75]
	v_mul_f64 v[74:75], v[246:247], v[74:75]
	s_waitcnt vmcnt(22) lgkmcnt(2)
	v_mul_f64 v[18:19], v[230:231], v[94:95]
	v_mul_f64 v[94:95], v[232:233], v[94:95]
	s_waitcnt vmcnt(19)
	v_mul_f64 v[16:17], v[252:253], v[86:87]
	v_mul_f64 v[86:87], v[254:255], v[86:87]
	s_waitcnt vmcnt(17) lgkmcnt(1)
	v_mul_f64 v[20:21], v[98:99], v[102:103]
	s_waitcnt vmcnt(15)
	v_fmac_f64_e32 v[6:7], v[116:117], v[68:69]
	s_waitcnt vmcnt(13)
	v_fmac_f64_e32 v[8:9], v[238:239], v[66:67]
	;; [unrolled: 2-line block ×3, first 2 shown]
	v_fma_f64 v[246:247], v[244:245], v[76:77], -v[74:75]
	s_waitcnt vmcnt(9)
	v_fmac_f64_e32 v[16:17], v[254:255], v[88:89]
	s_waitcnt vmcnt(8)
	v_fmac_f64_e32 v[18:19], v[232:233], v[96:97]
	v_fma_f64 v[254:255], v[252:253], v[88:89], -v[86:87]
	v_fma_f64 v[250:251], v[230:231], v[96:97], -v[94:95]
	s_waitcnt vmcnt(2)
	v_fmac_f64_e32 v[20:21], v[100:101], v[0:1]
	v_mul_f64 v[100:101], v[100:101], v[102:103]
	s_waitcnt vmcnt(0)
	v_pk_mov_b32 v[22:23], v[2:3], v[2:3] op_sel:[0,1]
	buffer_load_dword v3, off, s[0:3], 0 offset:516
	buffer_load_dword v2, off, s[0:3], 0 offset:512
	;; [unrolled: 1-line block ×78, first 2 shown]
	ds_read_b128 v[120:123], v228 offset:1424
	v_accvgpr_write_b32 a179, v23
	v_accvgpr_write_b32 a178, v22
	v_fma_f64 v[102:103], v[98:99], v[0:1], -v[100:101]
	s_waitcnt vmcnt(62)
	v_pk_mov_b32 v[24:25], v[2:3], v[2:3] op_sel:[0,1]
	v_mul_f64 v[2:3], v[78:79], v[60:61]
	v_fmac_f64_e32 v[2:3], v[80:81], v[56:57]
	v_add_f64 v[2:3], v[2:3], 0
	v_add_f64 v[2:3], v[2:3], v[4:5]
	;; [unrolled: 1-line block ×9, first 2 shown]
	s_waitcnt lgkmcnt(1)
	v_mul_f64 v[8:9], v[106:107], v[110:111]
	v_add_f64 v[6:7], v[2:3], v[20:21]
	v_fmac_f64_e32 v[8:9], v[108:109], v[112:113]
	v_add_f64 v[10:11], v[6:7], v[8:9]
	ds_read_b128 v[6:9], v228 offset:1440
	s_waitcnt lgkmcnt(1)
	v_mul_f64 v[12:13], v[120:121], v[124:125]
	v_fmac_f64_e32 v[12:13], v[122:123], v[140:141]
	v_add_f64 v[14:15], v[10:11], v[12:13]
	ds_read_b128 v[10:13], v228 offset:1456
	s_waitcnt lgkmcnt(1)
	v_mul_f64 v[16:17], v[6:7], v[22:23]
	;; [unrolled: 5-line block ×3, first 2 shown]
	v_fmac_f64_e32 v[20:21], v[12:13], v[148:149]
	v_add_f64 v[22:23], v[18:19], v[20:21]
	ds_read_b128 v[18:21], v228 offset:1488
	v_accvgpr_write_b32 a181, v25
	v_accvgpr_write_b32 a180, v24
	s_waitcnt lgkmcnt(1)
	v_mul_f64 v[24:25], v[14:15], v[126:127]
	v_fmac_f64_e32 v[24:25], v[16:17], v[128:129]
	v_add_f64 v[26:27], v[22:23], v[24:25]
	ds_read_b128 v[22:25], v228 offset:1504
	s_waitcnt vmcnt(58) lgkmcnt(1)
	v_mul_f64 v[28:29], v[18:19], v[152:153]
	s_waitcnt vmcnt(56)
	v_fmac_f64_e32 v[28:29], v[20:21], v[156:157]
	v_add_f64 v[30:31], v[26:27], v[28:29]
	ds_read_b128 v[26:29], v228 offset:1520
	s_waitcnt lgkmcnt(1)
	v_mul_f64 v[32:33], v[22:23], v[130:131]
	v_fmac_f64_e32 v[32:33], v[24:25], v[132:133]
	v_add_f64 v[34:35], v[30:31], v[32:33]
	ds_read_b128 v[30:33], v228 offset:1536
	s_waitcnt vmcnt(50) lgkmcnt(1)
	v_mul_f64 v[36:37], v[26:27], v[160:161]
	s_waitcnt vmcnt(48)
	v_fmac_f64_e32 v[36:37], v[28:29], v[164:165]
	v_add_f64 v[38:39], v[34:35], v[36:37]
	ds_read_b128 v[34:37], v228 offset:1552
	;; [unrolled: 11-line block ×4, first 2 shown]
	buffer_load_dword v200, off, s[0:3], 0 offset:840
	buffer_load_dword v205, off, s[0:3], 0 offset:828
	;; [unrolled: 1-line block ×16, first 2 shown]
	s_waitcnt lgkmcnt(1)
	v_mul_f64 v[118:119], v[46:47], v[146:147]
	v_fmac_f64_e32 v[118:119], v[48:49], v[150:151]
	v_mul_f64 v[60:61], v[80:81], v[60:61]
	v_add_f64 v[104:105], v[104:105], v[118:119]
	s_waitcnt vmcnt(42) lgkmcnt(0)
	v_mul_f64 v[118:119], v[50:51], v[184:185]
	v_fma_f64 v[234:235], v[78:79], v[56:57], -v[60:61]
	v_mul_f64 v[56:57], v[92:93], v[62:63]
	v_fma_f64 v[2:3], v[90:91], v[54:55], -v[56:57]
	buffer_load_dword v212, off, s[0:3], 0 offset:904
	buffer_load_dword v221, off, s[0:3], 0 offset:892
	;; [unrolled: 1-line block ×12, first 2 shown]
	s_waitcnt vmcnt(52)
	v_fmac_f64_e32 v[118:119], v[52:53], v[186:187]
	ds_read_b128 v[54:57], v228 offset:1632
	v_add_f64 v[4:5], v[104:105], v[118:119]
	v_fma_f64 v[118:119], v[114:115], v[68:69], -v[58:59]
	ds_read_b128 v[58:61], v228 offset:1648
	v_mul_f64 v[62:63], v[238:239], v[64:65]
	v_fma_f64 v[104:105], v[236:237], v[66:67], -v[62:63]
	ds_read_b128 v[62:65], v228 offset:1664
	ds_read_b128 v[70:73], v228 offset:1696
	s_waitcnt lgkmcnt(3)
	v_mul_f64 v[68:69], v[54:55], v[154:155]
	v_fmac_f64_e32 v[68:69], v[56:57], v[158:159]
	s_waitcnt vmcnt(46) lgkmcnt(2)
	v_mul_f64 v[66:67], v[58:59], v[188:189]
	v_add_f64 v[4:5], v[4:5], v[68:69]
	s_waitcnt vmcnt(44)
	v_fmac_f64_e32 v[66:67], v[60:61], v[190:191]
	v_add_f64 v[4:5], v[4:5], v[66:67]
	s_waitcnt lgkmcnt(1)
	v_mul_f64 v[66:67], v[62:63], v[162:163]
	v_fmac_f64_e32 v[66:67], v[64:65], v[166:167]
	v_add_f64 v[4:5], v[4:5], v[66:67]
	ds_read_b128 v[66:69], v228 offset:1680
	ds_read_b128 v[74:77], v228 offset:1712
	;; [unrolled: 1-line block ×5, first 2 shown]
	s_waitcnt vmcnt(38) lgkmcnt(4)
	v_mul_f64 v[78:79], v[66:67], v[192:193]
	s_waitcnt vmcnt(36)
	v_fmac_f64_e32 v[78:79], v[68:69], v[194:195]
	v_add_f64 v[4:5], v[4:5], v[78:79]
	v_mul_f64 v[78:79], v[70:71], v[170:171]
	v_fmac_f64_e32 v[78:79], v[72:73], v[174:175]
	v_add_f64 v[4:5], v[4:5], v[78:79]
	s_waitcnt vmcnt(30) lgkmcnt(3)
	v_mul_f64 v[78:79], v[74:75], v[196:197]
	s_waitcnt vmcnt(28)
	v_fmac_f64_e32 v[78:79], v[76:77], v[198:199]
	v_add_f64 v[4:5], v[4:5], v[78:79]
	ds_read_b128 v[78:81], v228 offset:1728
	ds_read_b128 v[230:233], v228 offset:1824
	;; [unrolled: 1-line block ×3, first 2 shown]
	s_waitcnt lgkmcnt(2)
	v_mul_f64 v[90:91], v[78:79], v[178:179]
	v_fmac_f64_e32 v[90:91], v[80:81], v[182:183]
	v_add_f64 v[4:5], v[4:5], v[90:91]
	s_waitcnt vmcnt(25)
	v_mul_f64 v[90:91], v[82:83], v[204:205]
	s_waitcnt vmcnt(23)
	v_fmac_f64_e32 v[90:91], v[84:85], v[206:207]
	v_add_f64 v[4:5], v[4:5], v[90:91]
	s_waitcnt vmcnt(21)
	v_mul_f64 v[90:91], v[86:87], v[200:201]
	s_waitcnt vmcnt(20)
	v_fmac_f64_e32 v[90:91], v[88:89], v[202:203]
	v_add_f64 v[4:5], v[4:5], v[90:91]
	ds_read_b128 v[90:93], v228 offset:1776
	s_waitcnt vmcnt(18) lgkmcnt(0)
	v_mul_f64 v[114:115], v[90:91], v[208:209]
	s_waitcnt vmcnt(16)
	v_fmac_f64_e32 v[114:115], v[92:93], v[210:211]
	v_add_f64 v[0:1], v[4:5], v[114:115]
	s_waitcnt vmcnt(14)
	v_mul_f64 v[4:5], v[94:95], v[214:215]
	s_waitcnt vmcnt(12)
	v_fmac_f64_e32 v[4:5], v[96:97], v[216:217]
	v_add_f64 v[0:1], v[0:1], v[4:5]
	v_mul_f64 v[4:5], v[108:109], v[110:111]
	v_fma_f64 v[252:253], v[106:107], v[112:113], -v[4:5]
	ds_read_b128 v[106:109], v228 offset:1840
	buffer_load_dword v236, off, s[0:3], 0 offset:936
	buffer_load_dword v237, off, s[0:3], 0 offset:940
	;; [unrolled: 1-line block ×4, first 2 shown]
	ds_read_b128 v[110:113], v228 offset:1856
	buffer_load_dword v243, off, s[0:3], 0 offset:956
	buffer_load_dword v242, off, s[0:3], 0 offset:952
	;; [unrolled: 1-line block ×4, first 2 shown]
	s_waitcnt vmcnt(17)
	v_mul_f64 v[4:5], v[98:99], v[220:221]
	s_waitcnt vmcnt(15)
	v_fmac_f64_e32 v[4:5], v[100:101], v[224:225]
	v_add_f64 v[0:1], v[0:1], v[4:5]
	s_waitcnt vmcnt(13)
	v_mul_f64 v[4:5], v[230:231], v[212:213]
	s_waitcnt vmcnt(12)
	v_fmac_f64_e32 v[4:5], v[232:233], v[218:219]
	ds_read_b128 v[114:117], v228 offset:1872
	v_add_f64 v[0:1], v[0:1], v[4:5]
	s_waitcnt vmcnt(10) lgkmcnt(2)
	v_mul_f64 v[4:5], v[106:107], v[222:223]
	s_waitcnt vmcnt(8)
	v_fmac_f64_e32 v[4:5], v[108:109], v[226:227]
	v_add_f64 v[0:1], v[0:1], v[4:5]
	s_waitcnt vmcnt(6) lgkmcnt(1)
	v_mul_f64 v[4:5], v[110:111], v[236:237]
	s_waitcnt vmcnt(4)
	v_fmac_f64_e32 v[4:5], v[112:113], v[238:239]
	;; [unrolled: 5-line block ×3, first 2 shown]
	v_add_f64 v[0:1], v[0:1], v[4:5]
	v_add_f64 v[4:5], v[234:235], 0
	;; [unrolled: 1-line block ×8, first 2 shown]
	buffer_load_dword v248, off, s[0:3], 0 offset:304
	buffer_load_dword v249, off, s[0:3], 0 offset:308
	;; [unrolled: 1-line block ×4, first 2 shown]
	v_add_f64 v[2:3], v[2:3], v[254:255]
	v_add_f64 v[254:255], v[2:3], v[250:251]
	;; [unrolled: 1-line block ×3, first 2 shown]
	v_mul_f64 v[4:5], v[122:123], v[124:125]
	v_add_f64 v[2:3], v[2:3], v[252:253]
	v_fma_f64 v[4:5], v[120:121], v[140:141], -v[4:5]
	v_add_f64 v[2:3], v[2:3], v[4:5]
	v_accvgpr_read_b32 v4, a178
	v_accvgpr_read_b32 v5, a179
	v_mul_f64 v[4:5], v[8:9], v[4:5]
	v_accvgpr_read_b32 v8, a180
	v_accvgpr_read_b32 v9, a181
	v_fma_f64 v[4:5], v[6:7], v[8:9], -v[4:5]
	v_add_f64 v[2:3], v[2:3], v[4:5]
	v_mul_f64 v[4:5], v[12:13], v[144:145]
	v_fma_f64 v[4:5], v[10:11], v[148:149], -v[4:5]
	v_add_f64 v[2:3], v[2:3], v[4:5]
	v_mul_f64 v[4:5], v[16:17], v[126:127]
	;; [unrolled: 3-line block ×27, first 2 shown]
	v_fma_f64 v[4:5], v[114:115], v[244:245], -v[4:5]
	v_add_f64 v[2:3], v[2:3], v[4:5]
	s_waitcnt vmcnt(2)
	v_add_f64 v[2:3], v[248:249], -v[2:3]
	s_waitcnt vmcnt(0)
	v_add_f64 v[0:1], v[246:247], -v[0:1]
	buffer_store_dword v3, off, s[0:3], 0 offset:308
	buffer_store_dword v2, off, s[0:3], 0 offset:304
	;; [unrolled: 1-line block ×4, first 2 shown]
	s_and_saveexec_b64 s[4:5], vcc
	s_cbranch_execz .LBB122_333
; %bb.332:
	v_accvgpr_read_b32 v0, a159
	buffer_load_dword v2, v0, s[0:3], 0 offen
	buffer_load_dword v3, v0, s[0:3], 0 offen offset:4
	buffer_load_dword v4, v0, s[0:3], 0 offen offset:8
	;; [unrolled: 1-line block ×3, first 2 shown]
	v_mov_b32_e32 v0, 0
	v_accvgpr_read_b32 v1, a177
	buffer_store_dword v0, off, s[0:3], 0 offset:288
	buffer_store_dword v0, off, s[0:3], 0 offset:292
	;; [unrolled: 1-line block ×4, first 2 shown]
	s_waitcnt vmcnt(4)
	ds_write_b128 v1, v[2:5]
.LBB122_333:
	s_or_b64 exec, exec, s[4:5]
	s_waitcnt lgkmcnt(0)
	; wave barrier
	s_waitcnt lgkmcnt(0)
	buffer_load_dword v54, off, s[0:3], 0 offset:304
	buffer_load_dword v55, off, s[0:3], 0 offset:308
	;; [unrolled: 1-line block ×46, first 2 shown]
	v_mov_b32_e32 v228, 0
	v_cmp_lt_u32_e32 vcc, 16, v229
	s_waitcnt vmcnt(0)
	v_pk_mov_b32 v[20:21], v[0:1], v[0:1] op_sel:[0,1]
	buffer_load_dword v1, off, s[0:3], 0 offset:500
	buffer_load_dword v0, off, s[0:3], 0 offset:496
	;; [unrolled: 1-line block ×3, first 2 shown]
	ds_read_b128 v[94:97], v228 offset:1232
	ds_read_b128 v[108:111], v228 offset:1248
	ds_read_b128 v[112:115], v228 offset:1264
	ds_read_b128 v[224:227], v228 offset:1280
	ds_read_b128 v[230:233], v228 offset:1296
	ds_read_b128 v[236:239], v228 offset:1312
	ds_read_b128 v[240:243], v228 offset:1328
	ds_read_b128 v[244:247], v228 offset:1344
	ds_read_b128 v[248:251], v228 offset:1360
	ds_read_b128 v[252:255], v228 offset:1376
	ds_read_b128 v[98:101], v228 offset:1392
	s_waitcnt lgkmcnt(9)
	v_mul_f64 v[2:3], v[108:109], v[62:63]
	s_waitcnt lgkmcnt(8)
	v_mul_f64 v[4:5], v[112:113], v[60:61]
	v_fmac_f64_e32 v[2:3], v[110:111], v[58:59]
	s_waitcnt lgkmcnt(7)
	v_mul_f64 v[6:7], v[224:225], v[68:69]
	v_fmac_f64_e32 v[4:5], v[114:115], v[84:85]
	;; [unrolled: 3-line block ×3, first 2 shown]
	v_fmac_f64_e32 v[8:9], v[232:233], v[66:67]
	s_waitcnt lgkmcnt(5)
	v_mul_f64 v[10:11], v[236:237], v[70:71]
	s_waitcnt lgkmcnt(4)
	v_mul_f64 v[12:13], v[240:241], v[74:75]
	v_fmac_f64_e32 v[10:11], v[238:239], v[72:73]
	s_waitcnt lgkmcnt(3)
	v_mul_f64 v[14:15], v[244:245], v[78:79]
	v_fmac_f64_e32 v[12:13], v[242:243], v[76:77]
	;; [unrolled: 3-line block ×4, first 2 shown]
	v_fmac_f64_e32 v[18:19], v[254:255], v[92:93]
	v_accvgpr_write_b32 a179, v21
	v_accvgpr_write_b32 a178, v20
	v_mul_f64 v[62:63], v[110:111], v[62:63]
	v_fma_f64 v[62:63], v[108:109], v[58:59], -v[62:63]
	v_mul_f64 v[58:59], v[114:115], v[60:61]
	v_mul_f64 v[64:65], v[232:233], v[64:65]
	v_fma_f64 v[64:65], v[230:231], v[66:67], -v[64:65]
	v_mul_f64 v[66:67], v[238:239], v[70:71]
	v_fma_f64 v[236:237], v[236:237], v[72:73], -v[66:67]
	;; [unrolled: 2-line block ×6, first 2 shown]
	s_waitcnt vmcnt(1)
	v_pk_mov_b32 v[22:23], v[0:1], v[0:1] op_sel:[0,1]
	v_mul_f64 v[0:1], v[94:95], v[56:57]
	v_fmac_f64_e32 v[0:1], v[96:97], v[54:55]
	v_add_f64 v[0:1], v[0:1], 0
	v_add_f64 v[0:1], v[0:1], v[2:3]
	;; [unrolled: 1-line block ×5, first 2 shown]
	buffer_load_dword v106, off, s[0:3], 0 offset:488
	buffer_load_dword v235, off, s[0:3], 0 offset:484
	;; [unrolled: 1-line block ×75, first 2 shown]
	ds_read_b128 v[116:119], v228 offset:1408
	ds_read_b128 v[120:123], v228 offset:1424
	v_add_f64 v[0:1], v[0:1], v[10:11]
	v_add_f64 v[0:1], v[0:1], v[12:13]
	;; [unrolled: 1-line block ×5, first 2 shown]
	s_waitcnt lgkmcnt(0)
	v_mul_f64 v[10:11], v[120:121], v[20:21]
	ds_read_b128 v[124:127], v228 offset:1440
	v_fmac_f64_e32 v[10:11], v[122:123], v[22:23]
	v_accvgpr_write_b32 a181, v23
	v_accvgpr_write_b32 a180, v22
	v_mul_f64 v[56:57], v[96:97], v[56:57]
	s_waitcnt vmcnt(62)
	v_mul_f64 v[6:7], v[116:117], v[106:107]
	v_fmac_f64_e32 v[6:7], v[118:119], v[234:235]
	v_pk_mov_b32 v[4:5], v[2:3], v[2:3] op_sel:[0,1]
	v_mul_f64 v[2:3], v[98:99], v[102:103]
	v_fmac_f64_e32 v[2:3], v[100:101], v[104:105]
	v_add_f64 v[0:1], v[0:1], v[2:3]
	v_add_f64 v[0:1], v[0:1], v[6:7]
	;; [unrolled: 1-line block ×3, first 2 shown]
	ds_read_b128 v[10:13], v228 offset:1456
	s_waitcnt lgkmcnt(1)
	v_mul_f64 v[14:15], v[124:125], v[140:141]
	v_fmac_f64_e32 v[14:15], v[126:127], v[144:145]
	v_add_f64 v[0:1], v[0:1], v[14:15]
	ds_read_b128 v[14:17], v228 offset:1472
	s_waitcnt lgkmcnt(1)
	v_mul_f64 v[18:19], v[10:11], v[8:9]
	v_fmac_f64_e32 v[18:19], v[12:13], v[4:5]
	v_add_f64 v[0:1], v[0:1], v[18:19]
	ds_read_b128 v[18:21], v228 offset:1488
	s_waitcnt vmcnt(58) lgkmcnt(1)
	v_mul_f64 v[22:23], v[14:15], v[148:149]
	s_waitcnt vmcnt(56)
	v_fmac_f64_e32 v[22:23], v[16:17], v[152:153]
	v_add_f64 v[0:1], v[0:1], v[22:23]
	ds_read_b128 v[22:25], v228 offset:1504
	s_waitcnt lgkmcnt(1)
	v_mul_f64 v[26:27], v[18:19], v[128:129]
	v_fmac_f64_e32 v[26:27], v[20:21], v[130:131]
	v_add_f64 v[0:1], v[0:1], v[26:27]
	ds_read_b128 v[26:29], v228 offset:1520
	s_waitcnt vmcnt(50) lgkmcnt(1)
	v_mul_f64 v[30:31], v[22:23], v[156:157]
	s_waitcnt vmcnt(48)
	;; [unrolled: 11-line block ×4, first 2 shown]
	v_fmac_f64_e32 v[46:47], v[40:41], v[176:177]
	v_add_f64 v[0:1], v[0:1], v[46:47]
	ds_read_b128 v[46:49], v228 offset:1600
	s_waitcnt lgkmcnt(1)
	v_mul_f64 v[50:51], v[42:43], v[142:143]
	v_fmac_f64_e32 v[50:51], v[44:45], v[146:147]
	v_add_f64 v[0:1], v[0:1], v[50:51]
	ds_read_b128 v[50:53], v228 offset:1616
	buffer_load_dword v197, off, s[0:3], 0 offset:812
	buffer_load_dword v196, off, s[0:3], 0 offset:808
	;; [unrolled: 1-line block ×8, first 2 shown]
	s_waitcnt vmcnt(34) lgkmcnt(1)
	v_mul_f64 v[200:201], v[46:47], v[180:181]
	s_waitcnt vmcnt(32)
	v_fmac_f64_e32 v[200:201], v[48:49], v[182:183]
	v_add_f64 v[0:1], v[0:1], v[200:201]
	buffer_load_dword v201, off, s[0:3], 0 offset:860
	buffer_load_dword v207, off, s[0:3], 0 offset:844
	;; [unrolled: 1-line block ×8, first 2 shown]
	v_fma_f64 v[6:7], v[94:95], v[54:55], -v[56:57]
	ds_read_b128 v[54:57], v228 offset:1632
	buffer_load_dword v213, off, s[0:3], 0 offset:876
	buffer_load_dword v212, off, s[0:3], 0 offset:872
	;; [unrolled: 1-line block ×12, first 2 shown]
	v_accvgpr_write_b32 a183, v5
	v_accvgpr_write_b32 a182, v4
	s_waitcnt lgkmcnt(1)
	v_mul_f64 v[4:5], v[50:51], v[150:151]
	v_fmac_f64_e32 v[4:5], v[52:53], v[154:155]
	v_add_f64 v[0:1], v[0:1], v[4:5]
	v_mul_f64 v[4:5], v[226:227], v[68:69]
	v_fma_f64 v[4:5], v[224:225], v[82:83], -v[4:5]
	buffer_load_dword v224, off, s[0:3], 0 offset:920
	buffer_load_dword v226, off, s[0:3], 0 offset:912
	buffer_load_dword v225, off, s[0:3], 0 offset:924
	buffer_load_dword v227, off, s[0:3], 0 offset:916
	v_fma_f64 v[2:3], v[112:113], v[84:85], -v[58:59]
	s_waitcnt vmcnt(50) lgkmcnt(0)
	v_mul_f64 v[58:59], v[54:55], v[184:185]
	s_waitcnt vmcnt(48)
	v_fmac_f64_e32 v[58:59], v[56:57], v[186:187]
	v_add_f64 v[0:1], v[0:1], v[58:59]
	ds_read_b128 v[58:61], v228 offset:1648
	ds_read_b128 v[230:233], v228 offset:1664
	;; [unrolled: 1-line block ×5, first 2 shown]
	s_waitcnt lgkmcnt(4)
	v_mul_f64 v[82:83], v[58:59], v[158:159]
	v_fmac_f64_e32 v[82:83], v[60:61], v[162:163]
	s_waitcnt vmcnt(42) lgkmcnt(3)
	v_mul_f64 v[70:71], v[230:231], v[188:189]
	v_add_f64 v[0:1], v[0:1], v[82:83]
	s_waitcnt vmcnt(40)
	v_fmac_f64_e32 v[70:71], v[232:233], v[190:191]
	v_add_f64 v[0:1], v[0:1], v[70:71]
	s_waitcnt lgkmcnt(2)
	v_mul_f64 v[70:71], v[66:67], v[166:167]
	v_fmac_f64_e32 v[70:71], v[68:69], v[170:171]
	v_add_f64 v[0:1], v[0:1], v[70:71]
	ds_read_b128 v[70:73], v228 offset:1696
	ds_read_b128 v[90:93], v228 offset:1776
	v_mul_f64 v[100:101], v[100:101], v[102:103]
	v_fma_f64 v[254:255], v[98:99], v[104:105], -v[100:101]
	ds_read_b128 v[98:101], v228 offset:1808
	s_waitcnt vmcnt(34) lgkmcnt(2)
	v_mul_f64 v[82:83], v[70:71], v[192:193]
	s_waitcnt vmcnt(32)
	v_fmac_f64_e32 v[82:83], v[72:73], v[194:195]
	v_add_f64 v[0:1], v[0:1], v[82:83]
	v_mul_f64 v[82:83], v[74:75], v[174:175]
	v_fmac_f64_e32 v[82:83], v[76:77], v[178:179]
	v_add_f64 v[0:1], v[0:1], v[82:83]
	v_mul_f64 v[102:103], v[118:119], v[106:107]
	v_fma_f64 v[250:251], v[116:117], v[234:235], -v[102:103]
	v_add_f64 v[6:7], v[6:7], 0
	v_add_f64 v[6:7], v[6:7], v[62:63]
	;; [unrolled: 1-line block ×9, first 2 shown]
	v_accvgpr_read_b32 v4, a178
	v_add_f64 v[2:3], v[2:3], v[252:253]
	v_accvgpr_read_b32 v5, a179
	v_accvgpr_read_b32 v6, a180
	v_add_f64 v[252:253], v[2:3], v[254:255]
	v_mul_f64 v[4:5], v[122:123], v[4:5]
	v_accvgpr_read_b32 v7, a181
	v_add_f64 v[2:3], v[252:253], v[250:251]
	v_fma_f64 v[4:5], v[120:121], v[6:7], -v[4:5]
	ds_read_b128 v[86:89], v228 offset:1760
	v_add_f64 v[2:3], v[2:3], v[4:5]
	v_mul_f64 v[4:5], v[126:127], v[140:141]
	v_fma_f64 v[4:5], v[124:125], v[144:145], -v[4:5]
	v_accvgpr_read_b32 v6, a182
	v_add_f64 v[2:3], v[2:3], v[4:5]
	v_mul_f64 v[4:5], v[12:13], v[8:9]
	v_accvgpr_read_b32 v7, a183
	v_fma_f64 v[4:5], v[10:11], v[6:7], -v[4:5]
	v_add_f64 v[2:3], v[2:3], v[4:5]
	v_mul_f64 v[4:5], v[16:17], v[148:149]
	s_waitcnt vmcnt(30)
	v_mul_f64 v[82:83], v[78:79], v[196:197]
	ds_read_b128 v[102:105], v228 offset:1824
	s_waitcnt vmcnt(28)
	v_fmac_f64_e32 v[82:83], v[80:81], v[198:199]
	v_add_f64 v[0:1], v[0:1], v[82:83]
	ds_read_b128 v[82:85], v228 offset:1744
	v_fma_f64 v[4:5], v[14:15], v[152:153], -v[4:5]
	s_waitcnt vmcnt(9) lgkmcnt(3)
	v_mul_f64 v[106:107], v[98:99], v[216:217]
	s_waitcnt vmcnt(8)
	v_fmac_f64_e32 v[106:107], v[100:101], v[218:219]
	v_add_f64 v[2:3], v[2:3], v[4:5]
	s_waitcnt lgkmcnt(0)
	v_mul_f64 v[94:95], v[82:83], v[202:203]
	v_fmac_f64_e32 v[94:95], v[84:85], v[204:205]
	v_add_f64 v[0:1], v[0:1], v[94:95]
	v_mul_f64 v[94:95], v[86:87], v[206:207]
	v_fmac_f64_e32 v[94:95], v[88:89], v[210:211]
	v_add_f64 v[0:1], v[0:1], v[94:95]
	;; [unrolled: 3-line block ×3, first 2 shown]
	ds_read_b128 v[94:97], v228 offset:1792
	v_mul_f64 v[4:5], v[20:21], v[128:129]
	v_fma_f64 v[4:5], v[18:19], v[130:131], -v[4:5]
	v_add_f64 v[2:3], v[2:3], v[4:5]
	v_mul_f64 v[4:5], v[24:25], v[156:157]
	s_waitcnt lgkmcnt(0)
	v_mul_f64 v[108:109], v[94:95], v[212:213]
	v_fmac_f64_e32 v[108:109], v[96:97], v[214:215]
	v_add_f64 v[0:1], v[0:1], v[108:109]
	v_add_f64 v[0:1], v[0:1], v[106:107]
	s_waitcnt vmcnt(6)
	v_mul_f64 v[106:107], v[102:103], v[220:221]
	s_waitcnt vmcnt(4)
	v_fmac_f64_e32 v[106:107], v[104:105], v[222:223]
	v_add_f64 v[0:1], v[0:1], v[106:107]
	ds_read_b128 v[106:109], v228 offset:1840
	v_fma_f64 v[4:5], v[22:23], v[160:161], -v[4:5]
	v_add_f64 v[2:3], v[2:3], v[4:5]
	v_mul_f64 v[4:5], v[28:29], v[132:133]
	v_fma_f64 v[4:5], v[26:27], v[134:135], -v[4:5]
	s_waitcnt vmcnt(1) lgkmcnt(0)
	v_mul_f64 v[110:111], v[106:107], v[224:225]
	s_waitcnt vmcnt(0)
	v_fmac_f64_e32 v[110:111], v[108:109], v[226:227]
	v_add_f64 v[114:115], v[0:1], v[110:111]
	buffer_load_dword v1, off, s[0:3], 0 offset:940
	buffer_load_dword v0, off, s[0:3], 0 offset:936
	buffer_load_dword v239, off, s[0:3], 0 offset:932
	buffer_load_dword v238, off, s[0:3], 0 offset:928
	ds_read_b128 v[110:113], v228 offset:1856
	buffer_load_dword v242, off, s[0:3], 0 offset:952
	buffer_load_dword v243, off, s[0:3], 0 offset:956
	;; [unrolled: 1-line block ×4, first 2 shown]
	v_add_f64 v[2:3], v[2:3], v[4:5]
	v_mul_f64 v[4:5], v[32:33], v[164:165]
	v_fma_f64 v[4:5], v[30:31], v[168:169], -v[4:5]
	v_add_f64 v[2:3], v[2:3], v[4:5]
	v_mul_f64 v[4:5], v[36:37], v[136:137]
	v_fma_f64 v[4:5], v[34:35], v[138:139], -v[4:5]
	;; [unrolled: 3-line block ×20, first 2 shown]
	v_add_f64 v[2:3], v[2:3], v[4:5]
	s_waitcnt vmcnt(6) lgkmcnt(0)
	v_mul_f64 v[116:117], v[110:111], v[0:1]
	v_mul_f64 v[0:1], v[112:113], v[0:1]
	s_waitcnt vmcnt(4)
	v_fmac_f64_e32 v[116:117], v[112:113], v[238:239]
	v_add_f64 v[118:119], v[114:115], v[116:117]
	ds_read_b128 v[114:117], v228 offset:1872
	buffer_load_dword v248, off, s[0:3], 0 offset:288
	buffer_load_dword v249, off, s[0:3], 0 offset:292
	;; [unrolled: 1-line block ×4, first 2 shown]
	v_fma_f64 v[0:1], v[110:111], v[238:239], -v[0:1]
	v_add_f64 v[0:1], v[2:3], v[0:1]
	s_waitcnt vmcnt(6) lgkmcnt(0)
	v_mul_f64 v[2:3], v[116:117], v[242:243]
	v_mul_f64 v[234:235], v[114:115], v[242:243]
	s_waitcnt vmcnt(4)
	v_fma_f64 v[2:3], v[114:115], v[244:245], -v[2:3]
	v_fmac_f64_e32 v[234:235], v[116:117], v[244:245]
	v_add_f64 v[0:1], v[0:1], v[2:3]
	v_add_f64 v[118:119], v[118:119], v[234:235]
	s_waitcnt vmcnt(2)
	v_add_f64 v[0:1], v[248:249], -v[0:1]
	s_waitcnt vmcnt(0)
	v_add_f64 v[2:3], v[246:247], -v[118:119]
	buffer_store_dword v1, off, s[0:3], 0 offset:292
	buffer_store_dword v0, off, s[0:3], 0 offset:288
	;; [unrolled: 1-line block ×4, first 2 shown]
	s_and_saveexec_b64 s[4:5], vcc
	s_cbranch_execz .LBB122_335
; %bb.334:
	v_accvgpr_read_b32 v0, a160
	buffer_load_dword v2, v0, s[0:3], 0 offen
	buffer_load_dword v3, v0, s[0:3], 0 offen offset:4
	buffer_load_dword v4, v0, s[0:3], 0 offen offset:8
	;; [unrolled: 1-line block ×3, first 2 shown]
	v_accvgpr_read_b32 v0, a177
	buffer_store_dword v228, off, s[0:3], 0 offset:272
	buffer_store_dword v228, off, s[0:3], 0 offset:276
	;; [unrolled: 1-line block ×4, first 2 shown]
	s_waitcnt vmcnt(4)
	ds_write_b128 v0, v[2:5]
.LBB122_335:
	s_or_b64 exec, exec, s[4:5]
	s_waitcnt lgkmcnt(0)
	; wave barrier
	s_waitcnt lgkmcnt(0)
	buffer_load_dword v58, off, s[0:3], 0 offset:288
	buffer_load_dword v59, off, s[0:3], 0 offset:292
	buffer_load_dword v60, off, s[0:3], 0 offset:296
	buffer_load_dword v61, off, s[0:3], 0 offset:300
	buffer_load_dword v56, off, s[0:3], 0 offset:304
	buffer_load_dword v57, off, s[0:3], 0 offset:308
	buffer_load_dword v62, off, s[0:3], 0 offset:312
	buffer_load_dword v63, off, s[0:3], 0 offset:316
	buffer_load_dword v220, off, s[0:3], 0 offset:328
	buffer_load_dword v221, off, s[0:3], 0 offset:332
	buffer_load_dword v65, off, s[0:3], 0 offset:364
	buffer_load_dword v64, off, s[0:3], 0 offset:360
	buffer_load_dword v67, off, s[0:3], 0 offset:356
	buffer_load_dword v66, off, s[0:3], 0 offset:352
	buffer_load_dword v69, off, s[0:3], 0 offset:348
	buffer_load_dword v68, off, s[0:3], 0 offset:344
	buffer_load_dword v71, off, s[0:3], 0 offset:396
	buffer_load_dword v70, off, s[0:3], 0 offset:392
	buffer_load_dword v73, off, s[0:3], 0 offset:388
	buffer_load_dword v72, off, s[0:3], 0 offset:384
	buffer_load_dword v75, off, s[0:3], 0 offset:380
	buffer_load_dword v74, off, s[0:3], 0 offset:376
	buffer_load_dword v79, off, s[0:3], 0 offset:428
	buffer_load_dword v78, off, s[0:3], 0 offset:424
	buffer_load_dword v80, off, s[0:3], 0 offset:416
	buffer_load_dword v77, off, s[0:3], 0 offset:412
	buffer_load_dword v76, off, s[0:3], 0 offset:408
	buffer_load_dword v87, off, s[0:3], 0 offset:444
	buffer_load_dword v86, off, s[0:3], 0 offset:440
	buffer_load_dword v100, off, s[0:3], 0 offset:320
	buffer_load_dword v101, off, s[0:3], 0 offset:324
	buffer_load_dword v99, off, s[0:3], 0 offset:340
	buffer_load_dword v98, off, s[0:3], 0 offset:336
	buffer_load_dword v95, off, s[0:3], 0 offset:372
	buffer_load_dword v94, off, s[0:3], 0 offset:368
	buffer_load_dword v89, off, s[0:3], 0 offset:404
	buffer_load_dword v88, off, s[0:3], 0 offset:400
	buffer_load_dword v81, off, s[0:3], 0 offset:420
	buffer_load_dword v96, off, s[0:3], 0 offset:456
	buffer_load_dword v102, off, s[0:3], 0 offset:448
	buffer_load_dword v103, off, s[0:3], 0 offset:452
	buffer_load_dword v97, off, s[0:3], 0 offset:460
	ds_read_b128 v[110:113], v228 offset:1216
	ds_read_b128 v[114:117], v228 offset:1232
	;; [unrolled: 1-line block ×10, first 2 shown]
	buffer_load_dword v1, off, s[0:3], 0 offset:436
	buffer_load_dword v0, off, s[0:3], 0 offset:432
	ds_read_b128 v[90:93], v228 offset:1376
	buffer_load_dword v105, off, s[0:3], 0 offset:492
	buffer_load_dword v104, off, s[0:3], 0 offset:488
	;; [unrolled: 1-line block ×6, first 2 shown]
	s_waitcnt vmcnt(46) lgkmcnt(10)
	v_mul_f64 v[2:3], v[110:111], v[60:61]
	v_fmac_f64_e32 v[2:3], v[112:113], v[58:59]
	v_add_f64 v[2:3], v[2:3], 0
	v_mul_f64 v[60:61], v[112:113], v[60:61]
	s_waitcnt vmcnt(42) lgkmcnt(9)
	v_mul_f64 v[4:5], v[114:115], v[62:63]
	v_fmac_f64_e32 v[4:5], v[116:117], v[56:57]
	v_add_f64 v[2:3], v[2:3], v[4:5]
	buffer_load_dword v119, off, s[0:3], 0 offset:468
	buffer_load_dword v118, off, s[0:3], 0 offset:464
	;; [unrolled: 1-line block ×4, first 2 shown]
	s_waitcnt vmcnt(44) lgkmcnt(8)
	v_mul_f64 v[6:7], v[212:213], v[220:221]
	s_waitcnt vmcnt(42) lgkmcnt(6)
	v_mul_f64 v[10:11], v[224:225], v[64:65]
	s_waitcnt vmcnt(40)
	v_fmac_f64_e32 v[10:11], v[226:227], v[66:67]
	s_waitcnt vmcnt(38)
	v_mul_f64 v[8:9], v[216:217], v[68:69]
	s_waitcnt vmcnt(36) lgkmcnt(4)
	v_mul_f64 v[14:15], v[236:237], v[70:71]
	s_waitcnt vmcnt(34)
	v_fmac_f64_e32 v[14:15], v[238:239], v[72:73]
	s_waitcnt vmcnt(32)
	v_mul_f64 v[12:13], v[230:231], v[74:75]
	s_waitcnt vmcnt(30) lgkmcnt(2)
	v_mul_f64 v[18:19], v[244:245], v[78:79]
	v_mul_f64 v[78:79], v[246:247], v[78:79]
	s_waitcnt vmcnt(27)
	v_mul_f64 v[16:17], v[240:241], v[76:77]
	s_waitcnt vmcnt(25) lgkmcnt(1)
	v_mul_f64 v[20:21], v[82:83], v[86:87]
	s_waitcnt vmcnt(23)
	v_fmac_f64_e32 v[6:7], v[214:215], v[100:101]
	v_add_f64 v[2:3], v[2:3], v[6:7]
	s_waitcnt vmcnt(21)
	v_fmac_f64_e32 v[8:9], v[218:219], v[98:99]
	v_add_f64 v[2:3], v[2:3], v[8:9]
	;; [unrolled: 3-line block ×3, first 2 shown]
	v_add_f64 v[2:3], v[2:3], v[12:13]
	s_waitcnt vmcnt(17)
	v_fmac_f64_e32 v[16:17], v[242:243], v[88:89]
	v_add_f64 v[2:3], v[2:3], v[14:15]
	s_waitcnt vmcnt(16)
	v_fmac_f64_e32 v[18:19], v[246:247], v[80:81]
	v_add_f64 v[2:3], v[2:3], v[16:17]
	v_add_f64 v[2:3], v[2:3], v[18:19]
	v_fma_f64 v[246:247], v[244:245], v[80:81], -v[78:79]
	s_waitcnt vmcnt(10)
	v_fmac_f64_e32 v[20:21], v[84:85], v[0:1]
	v_add_f64 v[2:3], v[2:3], v[20:21]
	v_mul_f64 v[84:85], v[84:85], v[86:87]
	s_waitcnt vmcnt(0)
	v_pk_mov_b32 v[18:19], v[4:5], v[4:5] op_sel:[0,1]
	buffer_load_dword v5, off, s[0:3], 0 offset:516
	buffer_load_dword v4, off, s[0:3], 0 offset:512
	v_accvgpr_write_b32 a179, v19
	v_accvgpr_write_b32 a178, v18
	s_waitcnt vmcnt(0)
	v_pk_mov_b32 v[22:23], v[4:5], v[4:5] op_sel:[0,1]
	buffer_load_dword v137, off, s[0:3], 0 offset:508
	buffer_load_dword v136, off, s[0:3], 0 offset:504
	;; [unrolled: 1-line block ×6, first 2 shown]
	v_accvgpr_write_b32 a181, v23
	v_accvgpr_write_b32 a180, v22
	s_waitcnt vmcnt(0)
	v_pk_mov_b32 v[26:27], v[4:5], v[4:5] op_sel:[0,1]
	buffer_load_dword v5, off, s[0:3], 0 offset:548
	buffer_load_dword v4, off, s[0:3], 0 offset:544
	;; [unrolled: 1-line block ×62, first 2 shown]
	ds_read_b128 v[248:251], v228 offset:1392
	ds_read_b128 v[252:255], v228 offset:1408
	ds_read_b128 v[120:123], v228 offset:1424
	ds_read_b128 v[192:195], v228 offset:1440
	v_accvgpr_write_b32 a183, v27
	v_accvgpr_write_b32 a182, v26
	s_waitcnt lgkmcnt(2)
	v_mul_f64 v[8:9], v[252:253], v[104:105]
	v_fmac_f64_e32 v[8:9], v[254:255], v[106:107]
	s_waitcnt lgkmcnt(1)
	v_mul_f64 v[12:13], v[120:121], v[136:137]
	v_fmac_f64_e32 v[12:13], v[122:123], v[140:141]
	;; [unrolled: 3-line block ×3, first 2 shown]
	s_waitcnt vmcnt(60)
	v_pk_mov_b32 v[28:29], v[4:5], v[4:5] op_sel:[0,1]
	v_mul_f64 v[4:5], v[90:91], v[96:97]
	v_fmac_f64_e32 v[4:5], v[92:93], v[102:103]
	v_add_f64 v[2:3], v[2:3], v[4:5]
	v_mul_f64 v[4:5], v[248:249], v[108:109]
	v_fmac_f64_e32 v[4:5], v[250:251], v[118:119]
	v_add_f64 v[6:7], v[2:3], v[4:5]
	v_add_f64 v[10:11], v[6:7], v[8:9]
	;; [unrolled: 1-line block ×3, first 2 shown]
	ds_read_b128 v[10:13], v228 offset:1456
	v_add_f64 v[18:19], v[14:15], v[16:17]
	ds_read_b128 v[14:17], v228 offset:1472
	v_accvgpr_write_b32 a185, v29
	v_accvgpr_write_b32 a184, v28
	s_waitcnt vmcnt(58) lgkmcnt(1)
	v_mul_f64 v[20:21], v[10:11], v[144:145]
	s_waitcnt vmcnt(56)
	v_fmac_f64_e32 v[20:21], v[12:13], v[148:149]
	v_add_f64 v[22:23], v[18:19], v[20:21]
	ds_read_b128 v[18:21], v228 offset:1488
	s_waitcnt lgkmcnt(1)
	v_mul_f64 v[24:25], v[14:15], v[26:27]
	v_fmac_f64_e32 v[24:25], v[16:17], v[28:29]
	v_add_f64 v[26:27], v[22:23], v[24:25]
	ds_read_b128 v[22:25], v228 offset:1504
	s_waitcnt vmcnt(50) lgkmcnt(1)
	v_mul_f64 v[28:29], v[18:19], v[152:153]
	s_waitcnt vmcnt(48)
	v_fmac_f64_e32 v[28:29], v[20:21], v[156:157]
	v_add_f64 v[30:31], v[26:27], v[28:29]
	ds_read_b128 v[26:29], v228 offset:1520
	s_waitcnt lgkmcnt(1)
	v_mul_f64 v[32:33], v[22:23], v[128:129]
	v_fmac_f64_e32 v[32:33], v[24:25], v[130:131]
	v_add_f64 v[34:35], v[30:31], v[32:33]
	ds_read_b128 v[30:33], v228 offset:1536
	;; [unrolled: 11-line block ×4, first 2 shown]
	s_waitcnt vmcnt(26) lgkmcnt(1)
	v_mul_f64 v[52:53], v[42:43], v[176:177]
	s_waitcnt vmcnt(24)
	v_fmac_f64_e32 v[52:53], v[44:45], v[178:179]
	v_add_f64 v[234:235], v[50:51], v[52:53]
	ds_read_b128 v[50:53], v228 offset:1616
	buffer_load_dword v127, off, s[0:3], 0 offset:796
	buffer_load_dword v126, off, s[0:3], 0 offset:792
	;; [unrolled: 1-line block ×20, first 2 shown]
	v_mul_f64 v[4:5], v[116:117], v[62:63]
	v_fma_f64 v[6:7], v[114:115], v[56:57], -v[4:5]
	v_mul_f64 v[56:57], v[214:215], v[220:221]
	v_fma_f64 v[8:9], v[110:111], v[58:59], -v[60:61]
	v_fma_f64 v[58:59], v[212:213], v[100:101], -v[56:57]
	v_mul_f64 v[56:57], v[218:219], v[68:69]
	v_fma_f64 v[60:61], v[216:217], v[98:99], -v[56:57]
	buffer_load_dword v214, off, s[0:3], 0 offset:872
	buffer_load_dword v216, off, s[0:3], 0 offset:864
	;; [unrolled: 1-line block ×12, first 2 shown]
	s_waitcnt lgkmcnt(1)
	v_mul_f64 v[54:55], v[46:47], v[146:147]
	v_fmac_f64_e32 v[54:55], v[48:49], v[150:151]
	v_add_f64 v[62:63], v[234:235], v[54:55]
	v_mul_f64 v[54:55], v[226:227], v[64:65]
	v_fma_f64 v[234:235], v[224:225], v[66:67], -v[54:55]
	buffer_load_dword v225, off, s[0:3], 0 offset:924
	buffer_load_dword v224, off, s[0:3], 0 offset:920
	;; [unrolled: 1-line block ×4, first 2 shown]
	s_waitcnt vmcnt(54) lgkmcnt(0)
	v_mul_f64 v[64:65], v[50:51], v[180:181]
	ds_read_b128 v[54:57], v228 offset:1632
	s_waitcnt vmcnt(52)
	v_fmac_f64_e32 v[64:65], v[52:53], v[182:183]
	v_add_f64 v[62:63], v[62:63], v[64:65]
	v_mul_f64 v[64:65], v[232:233], v[74:75]
	v_fma_f64 v[4:5], v[230:231], v[94:95], -v[64:65]
	ds_read_b128 v[230:233], v228 offset:1648
	s_waitcnt lgkmcnt(1)
	v_mul_f64 v[64:65], v[54:55], v[154:155]
	v_fmac_f64_e32 v[64:65], v[56:57], v[158:159]
	v_add_f64 v[74:75], v[62:63], v[64:65]
	ds_read_b128 v[62:65], v228 offset:1664
	v_mul_f64 v[66:67], v[238:239], v[70:71]
	s_waitcnt vmcnt(46) lgkmcnt(1)
	v_mul_f64 v[70:71], v[230:231], v[184:185]
	v_fma_f64 v[236:237], v[236:237], v[72:73], -v[66:67]
	ds_read_b128 v[66:69], v228 offset:1680
	s_waitcnt vmcnt(44)
	v_fmac_f64_e32 v[70:71], v[232:233], v[186:187]
	v_add_f64 v[74:75], v[74:75], v[70:71]
	v_mul_f64 v[70:71], v[242:243], v[76:77]
	v_fma_f64 v[240:241], v[240:241], v[88:89], -v[70:71]
	ds_read_b128 v[70:73], v228 offset:1696
	ds_read_b128 v[78:81], v228 offset:1728
	s_waitcnt lgkmcnt(3)
	v_mul_f64 v[94:95], v[62:63], v[162:163]
	v_fmac_f64_e32 v[94:95], v[64:65], v[166:167]
	s_waitcnt vmcnt(38) lgkmcnt(2)
	v_mul_f64 v[76:77], v[66:67], v[188:189]
	v_add_f64 v[74:75], v[74:75], v[94:95]
	s_waitcnt vmcnt(36)
	v_fmac_f64_e32 v[76:77], v[68:69], v[190:191]
	v_add_f64 v[74:75], v[74:75], v[76:77]
	s_waitcnt lgkmcnt(1)
	v_mul_f64 v[76:77], v[70:71], v[170:171]
	v_fmac_f64_e32 v[76:77], v[72:73], v[174:175]
	v_add_f64 v[88:89], v[74:75], v[76:77]
	ds_read_b128 v[74:77], v228 offset:1712
	v_fma_f64 v[2:3], v[82:83], v[0:1], -v[84:85]
	ds_read_b128 v[82:85], v228 offset:1744
	v_mul_f64 v[92:93], v[92:93], v[96:97]
	v_fma_f64 v[0:1], v[90:91], v[102:103], -v[92:93]
	v_mul_f64 v[98:99], v[250:251], v[108:109]
	v_fma_f64 v[250:251], v[248:249], v[118:119], -v[98:99]
	ds_read_b128 v[98:101], v228 offset:1792
	v_mul_f64 v[102:103], v[254:255], v[104:105]
	v_fma_f64 v[252:253], v[252:253], v[106:107], -v[102:103]
	ds_read_b128 v[102:105], v228 offset:1824
	v_add_f64 v[8:9], v[8:9], 0
	v_add_f64 v[6:7], v[8:9], v[6:7]
	;; [unrolled: 1-line block ×8, first 2 shown]
	ds_read_b128 v[90:93], v228 offset:1776
	v_add_f64 v[4:5], v[4:5], v[246:247]
	v_add_f64 v[2:3], v[4:5], v[2:3]
	;; [unrolled: 1-line block ×4, first 2 shown]
	v_mul_f64 v[2:3], v[122:123], v[136:137]
	v_add_f64 v[0:1], v[0:1], v[252:253]
	s_waitcnt vmcnt(25) lgkmcnt(3)
	v_mul_f64 v[96:97], v[82:83], v[202:203]
	v_fma_f64 v[2:3], v[120:121], v[140:141], -v[2:3]
	s_waitcnt vmcnt(23)
	v_fmac_f64_e32 v[96:97], v[84:85], v[208:209]
	v_add_f64 v[0:1], v[0:1], v[2:3]
	v_mul_f64 v[94:95], v[74:75], v[126:127]
	v_accvgpr_read_b32 v2, a178
	v_fmac_f64_e32 v[94:95], v[76:77], v[124:125]
	v_mul_f64 v[86:87], v[78:79], v[198:199]
	v_add_f64 v[88:89], v[88:89], v[94:95]
	v_fmac_f64_e32 v[86:87], v[80:81], v[200:201]
	v_add_f64 v[94:95], v[88:89], v[86:87]
	ds_read_b128 v[86:89], v228 offset:1760
	v_add_f64 v[94:95], v[94:95], v[96:97]
	v_accvgpr_read_b32 v3, a179
	v_accvgpr_read_b32 v4, a180
	v_mul_f64 v[2:3], v[194:195], v[2:3]
	s_waitcnt vmcnt(22) lgkmcnt(0)
	v_mul_f64 v[96:97], v[86:87], v[196:197]
	s_waitcnt vmcnt(20)
	v_fmac_f64_e32 v[96:97], v[88:89], v[206:207]
	v_add_f64 v[94:95], v[94:95], v[96:97]
	s_waitcnt vmcnt(18)
	v_mul_f64 v[96:97], v[90:91], v[204:205]
	s_waitcnt vmcnt(16)
	v_fmac_f64_e32 v[96:97], v[92:93], v[210:211]
	v_add_f64 v[108:109], v[94:95], v[96:97]
	ds_read_b128 v[94:97], v228 offset:1808
	s_waitcnt vmcnt(13)
	v_mul_f64 v[106:107], v[98:99], v[214:215]
	s_waitcnt vmcnt(12)
	v_fmac_f64_e32 v[106:107], v[100:101], v[216:217]
	v_add_f64 v[106:107], v[108:109], v[106:107]
	v_accvgpr_read_b32 v5, a181
	s_waitcnt vmcnt(9) lgkmcnt(0)
	v_mul_f64 v[108:109], v[94:95], v[220:221]
	s_waitcnt vmcnt(7)
	v_fmac_f64_e32 v[108:109], v[96:97], v[222:223]
	v_add_f64 v[106:107], v[106:107], v[108:109]
	s_waitcnt vmcnt(5)
	v_mul_f64 v[108:109], v[102:103], v[212:213]
	s_waitcnt vmcnt(4)
	v_fmac_f64_e32 v[108:109], v[104:105], v[218:219]
	v_add_f64 v[110:111], v[106:107], v[108:109]
	ds_read_b128 v[106:109], v228 offset:1840
	buffer_load_dword v118, off, s[0:3], 0 offset:936
	buffer_load_dword v119, off, s[0:3], 0 offset:940
	;; [unrolled: 1-line block ×4, first 2 shown]
	v_fma_f64 v[2:3], v[192:193], v[4:5], -v[2:3]
	v_add_f64 v[0:1], v[0:1], v[2:3]
	v_mul_f64 v[2:3], v[12:13], v[144:145]
	s_waitcnt vmcnt(6) lgkmcnt(0)
	v_mul_f64 v[112:113], v[106:107], v[224:225]
	s_waitcnt vmcnt(4)
	v_fmac_f64_e32 v[112:113], v[108:109], v[226:227]
	v_add_f64 v[114:115], v[110:111], v[112:113]
	ds_read_b128 v[110:113], v228 offset:1856
	buffer_load_dword v243, off, s[0:3], 0 offset:956
	buffer_load_dword v242, off, s[0:3], 0 offset:952
	;; [unrolled: 1-line block ×4, first 2 shown]
	v_fma_f64 v[2:3], v[10:11], v[148:149], -v[2:3]
	v_add_f64 v[0:1], v[0:1], v[2:3]
	v_accvgpr_read_b32 v2, a182
	v_accvgpr_read_b32 v3, a183
	v_accvgpr_read_b32 v4, a184
	v_mul_f64 v[2:3], v[16:17], v[2:3]
	v_accvgpr_read_b32 v5, a185
	v_fma_f64 v[2:3], v[14:15], v[4:5], -v[2:3]
	v_add_f64 v[0:1], v[0:1], v[2:3]
	v_mul_f64 v[2:3], v[20:21], v[152:153]
	v_fma_f64 v[2:3], v[18:19], v[156:157], -v[2:3]
	v_add_f64 v[0:1], v[0:1], v[2:3]
	v_mul_f64 v[2:3], v[24:25], v[128:129]
	v_fma_f64 v[2:3], v[22:23], v[130:131], -v[2:3]
	v_add_f64 v[0:1], v[0:1], v[2:3]
	v_mul_f64 v[2:3], v[28:29], v[160:161]
	v_fma_f64 v[2:3], v[26:27], v[164:165], -v[2:3]
	v_add_f64 v[0:1], v[0:1], v[2:3]
	v_mul_f64 v[2:3], v[32:33], v[132:133]
	v_fma_f64 v[2:3], v[30:31], v[134:135], -v[2:3]
	v_add_f64 v[0:1], v[0:1], v[2:3]
	v_mul_f64 v[2:3], v[36:37], v[168:169]
	v_fma_f64 v[2:3], v[34:35], v[172:173], -v[2:3]
	v_add_f64 v[0:1], v[0:1], v[2:3]
	v_mul_f64 v[2:3], v[40:41], v[138:139]
	v_fma_f64 v[2:3], v[38:39], v[142:143], -v[2:3]
	v_add_f64 v[0:1], v[0:1], v[2:3]
	v_mul_f64 v[2:3], v[44:45], v[176:177]
	v_fma_f64 v[2:3], v[42:43], v[178:179], -v[2:3]
	v_add_f64 v[0:1], v[0:1], v[2:3]
	v_mul_f64 v[2:3], v[48:49], v[146:147]
	v_fma_f64 v[2:3], v[46:47], v[150:151], -v[2:3]
	v_add_f64 v[0:1], v[0:1], v[2:3]
	v_mul_f64 v[2:3], v[52:53], v[180:181]
	v_fma_f64 v[2:3], v[50:51], v[182:183], -v[2:3]
	v_add_f64 v[0:1], v[0:1], v[2:3]
	v_mul_f64 v[2:3], v[56:57], v[154:155]
	v_fma_f64 v[2:3], v[54:55], v[158:159], -v[2:3]
	v_add_f64 v[0:1], v[0:1], v[2:3]
	v_mul_f64 v[2:3], v[232:233], v[184:185]
	v_fma_f64 v[2:3], v[230:231], v[186:187], -v[2:3]
	v_add_f64 v[0:1], v[0:1], v[2:3]
	v_mul_f64 v[2:3], v[64:65], v[162:163]
	v_fma_f64 v[2:3], v[62:63], v[166:167], -v[2:3]
	v_add_f64 v[0:1], v[0:1], v[2:3]
	v_mul_f64 v[2:3], v[68:69], v[188:189]
	v_fma_f64 v[2:3], v[66:67], v[190:191], -v[2:3]
	v_add_f64 v[0:1], v[0:1], v[2:3]
	v_mul_f64 v[2:3], v[72:73], v[170:171]
	v_fma_f64 v[2:3], v[70:71], v[174:175], -v[2:3]
	v_add_f64 v[0:1], v[0:1], v[2:3]
	v_mul_f64 v[2:3], v[76:77], v[126:127]
	v_fma_f64 v[2:3], v[74:75], v[124:125], -v[2:3]
	v_add_f64 v[0:1], v[0:1], v[2:3]
	v_mul_f64 v[2:3], v[80:81], v[198:199]
	v_fma_f64 v[2:3], v[78:79], v[200:201], -v[2:3]
	v_add_f64 v[0:1], v[0:1], v[2:3]
	v_mul_f64 v[2:3], v[84:85], v[202:203]
	v_fma_f64 v[2:3], v[82:83], v[208:209], -v[2:3]
	v_add_f64 v[0:1], v[0:1], v[2:3]
	v_mul_f64 v[2:3], v[88:89], v[196:197]
	v_fma_f64 v[2:3], v[86:87], v[206:207], -v[2:3]
	v_add_f64 v[0:1], v[0:1], v[2:3]
	v_mul_f64 v[2:3], v[92:93], v[204:205]
	v_fma_f64 v[2:3], v[90:91], v[210:211], -v[2:3]
	v_add_f64 v[0:1], v[0:1], v[2:3]
	v_mul_f64 v[2:3], v[100:101], v[214:215]
	v_fma_f64 v[2:3], v[98:99], v[216:217], -v[2:3]
	v_add_f64 v[0:1], v[0:1], v[2:3]
	s_waitcnt vmcnt(6) lgkmcnt(0)
	v_mul_f64 v[116:117], v[110:111], v[118:119]
	v_mul_f64 v[2:3], v[96:97], v[220:221]
	s_waitcnt vmcnt(4)
	v_fmac_f64_e32 v[116:117], v[112:113], v[238:239]
	v_add_f64 v[248:249], v[114:115], v[116:117]
	ds_read_b128 v[114:117], v228 offset:1872
	v_fma_f64 v[2:3], v[94:95], v[222:223], -v[2:3]
	v_add_f64 v[0:1], v[0:1], v[2:3]
	v_mul_f64 v[2:3], v[104:105], v[212:213]
	v_fma_f64 v[2:3], v[102:103], v[218:219], -v[2:3]
	s_waitcnt vmcnt(2) lgkmcnt(0)
	v_mul_f64 v[228:229], v[114:115], v[242:243]
	s_waitcnt vmcnt(0)
	v_fmac_f64_e32 v[228:229], v[116:117], v[244:245]
	v_add_f64 v[228:229], v[248:249], v[228:229]
	buffer_load_dword v248, off, s[0:3], 0 offset:272
	buffer_load_dword v249, off, s[0:3], 0 offset:276
	;; [unrolled: 1-line block ×4, first 2 shown]
	v_add_f64 v[0:1], v[0:1], v[2:3]
	v_mul_f64 v[2:3], v[108:109], v[224:225]
	v_fma_f64 v[2:3], v[106:107], v[226:227], -v[2:3]
	v_add_f64 v[0:1], v[0:1], v[2:3]
	v_mul_f64 v[2:3], v[112:113], v[118:119]
	v_fma_f64 v[2:3], v[110:111], v[238:239], -v[2:3]
	;; [unrolled: 3-line block ×3, first 2 shown]
	v_add_f64 v[0:1], v[0:1], v[2:3]
	s_waitcnt vmcnt(2)
	v_add_f64 v[0:1], v[248:249], -v[0:1]
	s_waitcnt vmcnt(0)
	v_add_f64 v[2:3], v[246:247], -v[228:229]
	v_accvgpr_read_b32 v229, a176
	v_cmp_lt_u32_e32 vcc, 15, v229
	buffer_store_dword v1, off, s[0:3], 0 offset:276
	buffer_store_dword v0, off, s[0:3], 0 offset:272
	;; [unrolled: 1-line block ×4, first 2 shown]
	s_and_saveexec_b64 s[4:5], vcc
	s_cbranch_execz .LBB122_337
; %bb.336:
	v_accvgpr_read_b32 v0, a161
	buffer_load_dword v2, v0, s[0:3], 0 offen
	buffer_load_dword v3, v0, s[0:3], 0 offen offset:4
	buffer_load_dword v4, v0, s[0:3], 0 offen offset:8
	;; [unrolled: 1-line block ×3, first 2 shown]
	v_mov_b32_e32 v0, 0
	v_accvgpr_read_b32 v1, a177
	buffer_store_dword v0, off, s[0:3], 0 offset:256
	buffer_store_dword v0, off, s[0:3], 0 offset:260
	;; [unrolled: 1-line block ×4, first 2 shown]
	s_waitcnt vmcnt(4)
	ds_write_b128 v1, v[2:5]
.LBB122_337:
	s_or_b64 exec, exec, s[4:5]
	s_waitcnt lgkmcnt(0)
	; wave barrier
	s_waitcnt lgkmcnt(0)
	buffer_load_dword v50, off, s[0:3], 0 offset:272
	buffer_load_dword v51, off, s[0:3], 0 offset:276
	;; [unrolled: 1-line block ×54, first 2 shown]
	v_mov_b32_e32 v228, 0
	ds_read_b128 v[102:105], v228 offset:1200
	ds_read_b128 v[106:109], v228 offset:1216
	;; [unrolled: 1-line block ×9, first 2 shown]
	v_cmp_lt_u32_e32 vcc, 14, v229
	s_waitcnt vmcnt(46) lgkmcnt(7)
	v_mul_f64 v[2:3], v[106:107], v[58:59]
	v_fmac_f64_e32 v[2:3], v[108:109], v[52:53]
	s_waitcnt vmcnt(44) lgkmcnt(6)
	v_mul_f64 v[4:5], v[110:111], v[54:55]
	s_waitcnt vmcnt(42) lgkmcnt(4)
	v_mul_f64 v[8:9], v[208:209], v[212:213]
	s_waitcnt vmcnt(40)
	v_fmac_f64_e32 v[8:9], v[210:211], v[60:61]
	s_waitcnt vmcnt(38)
	v_mul_f64 v[6:7], v[114:115], v[214:215]
	s_waitcnt vmcnt(36) lgkmcnt(2)
	v_mul_f64 v[12:13], v[230:231], v[66:67]
	v_mul_f64 v[66:67], v[232:233], v[66:67]
	s_waitcnt vmcnt(34)
	v_fmac_f64_e32 v[12:13], v[232:233], v[70:71]
	s_waitcnt vmcnt(32)
	v_mul_f64 v[10:11], v[224:225], v[76:77]
	s_waitcnt vmcnt(30) lgkmcnt(1)
	v_mul_f64 v[14:15], v[236:237], v[68:69]
	s_waitcnt vmcnt(28)
	v_fmac_f64_e32 v[4:5], v[112:113], v[82:83]
	s_waitcnt vmcnt(26)
	v_fmac_f64_e32 v[6:7], v[116:117], v[80:81]
	;; [unrolled: 2-line block ×4, first 2 shown]
	s_waitcnt vmcnt(0)
	v_pk_mov_b32 v[16:17], v[0:1], v[0:1] op_sel:[0,1]
	v_mul_f64 v[0:1], v[102:103], v[56:57]
	v_fmac_f64_e32 v[0:1], v[104:105], v[50:51]
	v_add_f64 v[0:1], v[0:1], 0
	v_add_f64 v[0:1], v[0:1], v[2:3]
	v_add_f64 v[0:1], v[0:1], v[4:5]
	v_add_f64 v[0:1], v[0:1], v[6:7]
	v_add_f64 v[0:1], v[0:1], v[8:9]
	v_add_f64 v[0:1], v[0:1], v[10:11]
	v_add_f64 v[2:3], v[0:1], v[12:13]
	buffer_load_dword v1, off, s[0:3], 0 offset:500
	buffer_load_dword v0, off, s[0:3], 0 offset:496
	v_add_f64 v[2:3], v[2:3], v[14:15]
	v_accvgpr_write_b32 a179, v17
	v_accvgpr_write_b32 a178, v16
	v_mul_f64 v[56:57], v[104:105], v[56:57]
	s_waitcnt vmcnt(0)
	v_pk_mov_b32 v[18:19], v[0:1], v[0:1] op_sel:[0,1]
	buffer_load_dword v181, off, s[0:3], 0 offset:492
	buffer_load_dword v180, off, s[0:3], 0 offset:488
	buffer_load_dword v1, off, s[0:3], 0 offset:484
	buffer_load_dword v0, off, s[0:3], 0 offset:480
	buffer_load_dword v5, off, s[0:3], 0 offset:540
	buffer_load_dword v4, off, s[0:3], 0 offset:536
	v_accvgpr_write_b32 a181, v19
	v_accvgpr_write_b32 a180, v18
	s_waitcnt vmcnt(0)
	v_pk_mov_b32 v[22:23], v[4:5], v[4:5] op_sel:[0,1]
	buffer_load_dword v5, off, s[0:3], 0 offset:532
	buffer_load_dword v4, off, s[0:3], 0 offset:528
	buffer_load_dword v141, off, s[0:3], 0 offset:524
	buffer_load_dword v140, off, s[0:3], 0 offset:520
	buffer_load_dword v145, off, s[0:3], 0 offset:516
	buffer_load_dword v144, off, s[0:3], 0 offset:512
	buffer_load_dword v235, off, s[0:3], 0 offset:572
	buffer_load_dword v234, off, s[0:3], 0 offset:568
	buffer_load_dword v131, off, s[0:3], 0 offset:564
	buffer_load_dword v130, off, s[0:3], 0 offset:560
	buffer_load_dword v149, off, s[0:3], 0 offset:556
	buffer_load_dword v148, off, s[0:3], 0 offset:552
	buffer_load_dword v153, off, s[0:3], 0 offset:548
	buffer_load_dword v152, off, s[0:3], 0 offset:544
	buffer_load_dword v133, off, s[0:3], 0 offset:604
	buffer_load_dword v132, off, s[0:3], 0 offset:600
	buffer_load_dword v135, off, s[0:3], 0 offset:596
	buffer_load_dword v134, off, s[0:3], 0 offset:592
	buffer_load_dword v157, off, s[0:3], 0 offset:588
	buffer_load_dword v156, off, s[0:3], 0 offset:584
	buffer_load_dword v161, off, s[0:3], 0 offset:580
	buffer_load_dword v160, off, s[0:3], 0 offset:576
	buffer_load_dword v137, off, s[0:3], 0 offset:636
	buffer_load_dword v136, off, s[0:3], 0 offset:632
	buffer_load_dword v139, off, s[0:3], 0 offset:628
	buffer_load_dword v138, off, s[0:3], 0 offset:624
	buffer_load_dword v165, off, s[0:3], 0 offset:620
	buffer_load_dword v164, off, s[0:3], 0 offset:616
	buffer_load_dword v167, off, s[0:3], 0 offset:612
	buffer_load_dword v166, off, s[0:3], 0 offset:608
	buffer_load_dword v143, off, s[0:3], 0 offset:668
	buffer_load_dword v142, off, s[0:3], 0 offset:664
	buffer_load_dword v147, off, s[0:3], 0 offset:660
	buffer_load_dword v146, off, s[0:3], 0 offset:656
	buffer_load_dword v169, off, s[0:3], 0 offset:652
	buffer_load_dword v168, off, s[0:3], 0 offset:648
	buffer_load_dword v171, off, s[0:3], 0 offset:644
	buffer_load_dword v170, off, s[0:3], 0 offset:640
	buffer_load_dword v151, off, s[0:3], 0 offset:700
	buffer_load_dword v150, off, s[0:3], 0 offset:696
	buffer_load_dword v155, off, s[0:3], 0 offset:692
	buffer_load_dword v154, off, s[0:3], 0 offset:688
	buffer_load_dword v173, off, s[0:3], 0 offset:684
	buffer_load_dword v172, off, s[0:3], 0 offset:680
	buffer_load_dword v175, off, s[0:3], 0 offset:676
	buffer_load_dword v174, off, s[0:3], 0 offset:672
	buffer_load_dword v159, off, s[0:3], 0 offset:732
	buffer_load_dword v158, off, s[0:3], 0 offset:728
	buffer_load_dword v163, off, s[0:3], 0 offset:724
	buffer_load_dword v162, off, s[0:3], 0 offset:720
	buffer_load_dword v177, off, s[0:3], 0 offset:716
	buffer_load_dword v176, off, s[0:3], 0 offset:712
	buffer_load_dword v179, off, s[0:3], 0 offset:708
	buffer_load_dword v178, off, s[0:3], 0 offset:704
	ds_read_b128 v[244:247], v228 offset:1344
	ds_read_b128 v[248:251], v228 offset:1360
	;; [unrolled: 1-line block ×7, first 2 shown]
	v_accvgpr_write_b32 a183, v23
	v_accvgpr_write_b32 a182, v22
	s_waitcnt lgkmcnt(2)
	v_mul_f64 v[8:9], v[62:63], v[180:181]
	v_fmac_f64_e32 v[8:9], v[64:65], v[0:1]
	s_waitcnt lgkmcnt(1)
	v_mul_f64 v[12:13], v[126:127], v[16:17]
	v_fmac_f64_e32 v[12:13], v[128:129], v[18:19]
	s_waitcnt vmcnt(52)
	v_pk_mov_b32 v[24:25], v[4:5], v[4:5] op_sel:[0,1]
	v_mul_f64 v[4:5], v[240:241], v[74:75]
	v_fmac_f64_e32 v[4:5], v[242:243], v[84:85]
	v_add_f64 v[2:3], v[2:3], v[4:5]
	v_mul_f64 v[4:5], v[244:245], v[90:91]
	v_fmac_f64_e32 v[4:5], v[246:247], v[92:93]
	v_add_f64 v[2:3], v[2:3], v[4:5]
	;; [unrolled: 3-line block ×5, first 2 shown]
	v_add_f64 v[10:11], v[6:7], v[8:9]
	v_add_f64 v[14:15], v[10:11], v[12:13]
	ds_read_b128 v[10:13], v228 offset:1456
	s_waitcnt vmcnt(50) lgkmcnt(1)
	v_mul_f64 v[16:17], v[122:123], v[140:141]
	s_waitcnt vmcnt(48)
	v_fmac_f64_e32 v[16:17], v[124:125], v[144:145]
	v_add_f64 v[18:19], v[14:15], v[16:17]
	ds_read_b128 v[14:17], v228 offset:1472
	s_waitcnt lgkmcnt(1)
	v_mul_f64 v[20:21], v[10:11], v[22:23]
	v_fmac_f64_e32 v[20:21], v[12:13], v[24:25]
	v_add_f64 v[22:23], v[18:19], v[20:21]
	ds_read_b128 v[18:21], v228 offset:1488
	v_accvgpr_write_b32 a185, v25
	v_accvgpr_write_b32 a184, v24
	s_waitcnt vmcnt(42) lgkmcnt(1)
	v_mul_f64 v[24:25], v[14:15], v[148:149]
	s_waitcnt vmcnt(40)
	v_fmac_f64_e32 v[24:25], v[16:17], v[152:153]
	s_waitcnt lgkmcnt(0)
	v_mul_f64 v[28:29], v[18:19], v[234:235]
	v_add_f64 v[26:27], v[22:23], v[24:25]
	ds_read_b128 v[22:25], v228 offset:1504
	v_fmac_f64_e32 v[28:29], v[20:21], v[130:131]
	v_add_f64 v[30:31], v[26:27], v[28:29]
	ds_read_b128 v[26:29], v228 offset:1520
	v_fma_f64 v[6:7], v[102:103], v[50:51], -v[56:57]
	s_waitcnt vmcnt(34) lgkmcnt(1)
	v_mul_f64 v[32:33], v[22:23], v[156:157]
	s_waitcnt vmcnt(32)
	v_fmac_f64_e32 v[32:33], v[24:25], v[160:161]
	v_add_f64 v[34:35], v[30:31], v[32:33]
	s_waitcnt lgkmcnt(0)
	v_mul_f64 v[36:37], v[26:27], v[132:133]
	ds_read_b128 v[30:33], v228 offset:1536
	v_fmac_f64_e32 v[36:37], v[28:29], v[134:135]
	v_add_f64 v[38:39], v[34:35], v[36:37]
	ds_read_b128 v[34:37], v228 offset:1552
	v_mul_f64 v[50:51], v[108:109], v[58:59]
	s_waitcnt vmcnt(26) lgkmcnt(1)
	v_mul_f64 v[40:41], v[30:31], v[164:165]
	s_waitcnt vmcnt(24)
	v_fmac_f64_e32 v[40:41], v[32:33], v[166:167]
	v_add_f64 v[42:43], v[38:39], v[40:41]
	s_waitcnt lgkmcnt(0)
	v_mul_f64 v[44:45], v[34:35], v[136:137]
	v_fmac_f64_e32 v[44:45], v[36:37], v[138:139]
	ds_read_b128 v[38:41], v228 offset:1568
	v_add_f64 v[46:47], v[42:43], v[44:45]
	ds_read_b128 v[42:45], v228 offset:1584
	buffer_load_dword v9, off, s[0:3], 0 offset:764
	buffer_load_dword v183, off, s[0:3], 0 offset:748
	;; [unrolled: 1-line block ×8, first 2 shown]
	v_fma_f64 v[102:103], v[106:107], v[52:53], -v[50:51]
	s_waitcnt vmcnt(26) lgkmcnt(1)
	v_mul_f64 v[48:49], v[38:39], v[168:169]
	s_waitcnt vmcnt(24)
	v_fmac_f64_e32 v[48:49], v[40:41], v[170:171]
	v_add_f64 v[192:193], v[46:47], v[48:49]
	ds_read_b128 v[46:49], v228 offset:1600
	buffer_load_dword v189, off, s[0:3], 0 offset:780
	buffer_load_dword v188, off, s[0:3], 0 offset:776
	;; [unrolled: 1-line block ×4, first 2 shown]
	s_waitcnt lgkmcnt(1)
	v_mul_f64 v[194:195], v[42:43], v[142:143]
	v_fmac_f64_e32 v[194:195], v[44:45], v[146:147]
	v_add_f64 v[2:3], v[192:193], v[194:195]
	buffer_load_dword v193, off, s[0:3], 0 offset:796
	buffer_load_dword v192, off, s[0:3], 0 offset:792
	;; [unrolled: 1-line block ×12, first 2 shown]
	v_mul_f64 v[50:51], v[112:113], v[54:55]
	buffer_load_dword v205, off, s[0:3], 0 offset:844
	buffer_load_dword v204, off, s[0:3], 0 offset:840
	;; [unrolled: 1-line block ×4, first 2 shown]
	v_fma_f64 v[104:105], v[110:111], v[82:83], -v[50:51]
	v_mul_f64 v[50:51], v[116:117], v[214:215]
	v_fma_f64 v[106:107], v[114:115], v[80:81], -v[50:51]
	v_mul_f64 v[50:51], v[210:211], v[212:213]
	buffer_load_dword v211, off, s[0:3], 0 offset:860
	buffer_load_dword v210, off, s[0:3], 0 offset:856
	;; [unrolled: 1-line block ×4, first 2 shown]
	v_fma_f64 v[108:109], v[208:209], v[60:61], -v[50:51]
	buffer_load_dword v209, off, s[0:3], 0 offset:892
	buffer_load_dword v215, off, s[0:3], 0 offset:876
	;; [unrolled: 1-line block ×12, first 2 shown]
	ds_read_b128 v[50:53], v228 offset:1616
	v_mul_f64 v[54:55], v[226:227], v[76:77]
	v_fma_f64 v[226:227], v[224:225], v[78:79], -v[54:55]
	ds_read_b128 v[54:57], v228 offset:1632
	s_waitcnt vmcnt(54) lgkmcnt(2)
	v_mul_f64 v[58:59], v[46:47], v[172:173]
	s_waitcnt vmcnt(52)
	v_fmac_f64_e32 v[58:59], v[48:49], v[174:175]
	v_add_f64 v[2:3], v[2:3], v[58:59]
	s_waitcnt lgkmcnt(1)
	v_mul_f64 v[58:59], v[50:51], v[150:151]
	v_fmac_f64_e32 v[58:59], v[52:53], v[154:155]
	v_add_f64 v[2:3], v[2:3], v[58:59]
	s_waitcnt vmcnt(46) lgkmcnt(0)
	v_mul_f64 v[58:59], v[54:55], v[176:177]
	s_waitcnt vmcnt(44)
	v_fmac_f64_e32 v[58:59], v[56:57], v[178:179]
	v_add_f64 v[2:3], v[2:3], v[58:59]
	ds_read_b128 v[58:61], v228 offset:1648
	v_fma_f64 v[4:5], v[230:231], v[70:71], -v[66:67]
	ds_read_b128 v[230:233], v228 offset:1664
	v_mul_f64 v[66:67], v[238:239], v[68:69]
	v_fma_f64 v[236:237], v[236:237], v[72:73], -v[66:67]
	ds_read_b128 v[66:69], v228 offset:1680
	s_waitcnt lgkmcnt(2)
	v_mul_f64 v[70:71], v[58:59], v[158:159]
	v_fmac_f64_e32 v[70:71], v[60:61], v[162:163]
	v_add_f64 v[2:3], v[2:3], v[70:71]
	v_mul_f64 v[74:75], v[242:243], v[74:75]
	v_fma_f64 v[240:241], v[240:241], v[84:85], -v[74:75]
	ds_read_b128 v[74:77], v228 offset:1712
	v_mul_f64 v[78:79], v[246:247], v[90:91]
	v_fma_f64 v[246:247], v[244:245], v[92:93], -v[78:79]
	v_mul_f64 v[86:87], v[250:251], v[86:87]
	v_fma_f64 v[248:249], v[248:249], v[88:89], -v[86:87]
	v_mul_f64 v[94:95], v[120:121], v[94:95]
	buffer_load_dword v224, off, s[0:3], 0 offset:920
	v_add_f64 v[6:7], v[6:7], 0
	v_add_f64 v[6:7], v[6:7], v[102:103]
	;; [unrolled: 1-line block ×6, first 2 shown]
	ds_read_b128 v[78:81], v228 offset:1728
	v_add_f64 v[4:5], v[6:7], v[4:5]
	v_add_f64 v[4:5], v[4:5], v[236:237]
	;; [unrolled: 1-line block ×5, first 2 shown]
	v_accvgpr_read_b32 v6, a178
	v_accvgpr_read_b32 v7, a179
	;; [unrolled: 1-line block ×3, first 2 shown]
	v_mul_f64 v[6:7], v[128:129], v[6:7]
	v_accvgpr_read_b32 v103, a181
	ds_read_b128 v[86:89], v228 offset:1760
	v_fma_f64 v[6:7], v[126:127], v[102:103], -v[6:7]
	s_waitcnt vmcnt(42) lgkmcnt(4)
	v_mul_f64 v[70:71], v[230:231], v[182:183]
	s_waitcnt vmcnt(40)
	v_fmac_f64_e32 v[70:71], v[232:233], v[186:187]
	v_add_f64 v[2:3], v[2:3], v[70:71]
	s_waitcnt vmcnt(39) lgkmcnt(3)
	v_mul_f64 v[70:71], v[66:67], v[8:9]
	s_waitcnt vmcnt(37)
	v_fmac_f64_e32 v[70:71], v[68:69], v[184:185]
	v_add_f64 v[2:3], v[2:3], v[70:71]
	ds_read_b128 v[70:73], v228 offset:1696
	s_waitcnt vmcnt(35) lgkmcnt(0)
	v_mul_f64 v[82:83], v[70:71], v[188:189]
	s_waitcnt vmcnt(33)
	v_fmac_f64_e32 v[82:83], v[72:73], v[190:191]
	v_add_f64 v[2:3], v[2:3], v[82:83]
	s_waitcnt vmcnt(31)
	v_mul_f64 v[82:83], v[74:75], v[192:193]
	s_waitcnt vmcnt(29)
	v_fmac_f64_e32 v[82:83], v[76:77], v[196:197]
	v_add_f64 v[2:3], v[2:3], v[82:83]
	s_waitcnt vmcnt(27)
	v_mul_f64 v[82:83], v[78:79], v[194:195]
	s_waitcnt vmcnt(25)
	v_fmac_f64_e32 v[82:83], v[80:81], v[198:199]
	v_add_f64 v[2:3], v[2:3], v[82:83]
	ds_read_b128 v[82:85], v228 offset:1744
	s_waitcnt vmcnt(22) lgkmcnt(0)
	v_mul_f64 v[90:91], v[82:83], v[200:201]
	s_waitcnt vmcnt(21)
	v_fmac_f64_e32 v[90:91], v[84:85], v[202:203]
	v_add_f64 v[2:3], v[2:3], v[90:91]
	v_mul_f64 v[90:91], v[254:255], v[98:99]
	v_fma_f64 v[252:253], v[252:253], v[100:101], -v[90:91]
	ds_read_b128 v[90:93], v228 offset:1776
	s_waitcnt vmcnt(19)
	v_mul_f64 v[98:99], v[86:87], v[204:205]
	s_waitcnt vmcnt(17)
	v_fmac_f64_e32 v[98:99], v[88:89], v[206:207]
	v_add_f64 v[2:3], v[2:3], v[98:99]
	v_fma_f64 v[254:255], v[118:119], v[96:97], -v[94:95]
	ds_read_b128 v[94:97], v228 offset:1792
	s_waitcnt vmcnt(15) lgkmcnt(1)
	v_mul_f64 v[98:99], v[90:91], v[210:211]
	s_waitcnt vmcnt(13)
	v_fmac_f64_e32 v[98:99], v[92:93], v[212:213]
	v_add_f64 v[110:111], v[2:3], v[98:99]
	v_mul_f64 v[2:3], v[64:65], v[180:181]
	ds_read_b128 v[98:101], v228 offset:1808
	v_fma_f64 v[0:1], v[62:63], v[0:1], -v[2:3]
	v_accvgpr_write_b32 a187, v1
	v_accvgpr_write_b32 a186, v0
	ds_read_b128 v[0:3], v228 offset:1824
	buffer_load_dword v118, off, s[0:3], 0 offset:912
	buffer_load_dword v225, off, s[0:3], 0 offset:924
	;; [unrolled: 1-line block ×3, first 2 shown]
	s_waitcnt vmcnt(13) lgkmcnt(2)
	v_mul_f64 v[62:63], v[94:95], v[214:215]
	s_waitcnt vmcnt(11)
	v_fmac_f64_e32 v[62:63], v[96:97], v[220:221]
	s_waitcnt vmcnt(10) lgkmcnt(1)
	v_mul_f64 v[64:65], v[98:99], v[208:209]
	v_add_f64 v[62:63], v[110:111], v[62:63]
	s_waitcnt vmcnt(8)
	v_fmac_f64_e32 v[64:65], v[100:101], v[218:219]
	v_add_f64 v[62:63], v[62:63], v[64:65]
	s_waitcnt vmcnt(6) lgkmcnt(0)
	v_mul_f64 v[64:65], v[0:1], v[216:217]
	s_waitcnt vmcnt(4)
	v_fmac_f64_e32 v[64:65], v[2:3], v[222:223]
	v_add_f64 v[110:111], v[62:63], v[64:65]
	ds_read_b128 v[62:65], v228 offset:1840
	buffer_load_dword v121, off, s[0:3], 0 offset:940
	buffer_load_dword v120, off, s[0:3], 0 offset:936
	;; [unrolled: 1-line block ×4, first 2 shown]
	v_add_f64 v[4:5], v[4:5], v[252:253]
	v_add_f64 v[252:253], v[4:5], v[254:255]
	v_accvgpr_read_b32 v4, a186
	v_accvgpr_read_b32 v5, a187
	v_add_f64 v[4:5], v[252:253], v[4:5]
	v_add_f64 v[4:5], v[4:5], v[6:7]
	v_mul_f64 v[6:7], v[124:125], v[140:141]
	v_fma_f64 v[6:7], v[122:123], v[144:145], -v[6:7]
	v_add_f64 v[4:5], v[4:5], v[6:7]
	v_accvgpr_read_b32 v6, a182
	v_accvgpr_read_b32 v7, a183
	v_mul_f64 v[6:7], v[12:13], v[6:7]
	v_accvgpr_read_b32 v12, a184
	v_accvgpr_read_b32 v13, a185
	v_fma_f64 v[6:7], v[10:11], v[12:13], -v[6:7]
	v_add_f64 v[4:5], v[4:5], v[6:7]
	v_mul_f64 v[6:7], v[16:17], v[148:149]
	v_fma_f64 v[6:7], v[14:15], v[152:153], -v[6:7]
	v_add_f64 v[4:5], v[4:5], v[6:7]
	v_mul_f64 v[6:7], v[20:21], v[234:235]
	;; [unrolled: 3-line block ×17, first 2 shown]
	v_fma_f64 v[6:7], v[78:79], v[198:199], -v[6:7]
	v_add_f64 v[4:5], v[4:5], v[6:7]
	s_waitcnt vmcnt(5) lgkmcnt(0)
	v_mul_f64 v[112:113], v[62:63], v[224:225]
	s_waitcnt vmcnt(4)
	v_fmac_f64_e32 v[112:113], v[64:65], v[118:119]
	v_add_f64 v[114:115], v[110:111], v[112:113]
	ds_read_b128 v[110:113], v228 offset:1856
	buffer_load_dword v242, off, s[0:3], 0 offset:952
	buffer_load_dword v243, off, s[0:3], 0 offset:956
	;; [unrolled: 1-line block ×4, first 2 shown]
	v_mul_f64 v[6:7], v[84:85], v[200:201]
	v_fma_f64 v[6:7], v[82:83], v[202:203], -v[6:7]
	v_add_f64 v[4:5], v[4:5], v[6:7]
	v_mul_f64 v[6:7], v[88:89], v[204:205]
	v_fma_f64 v[6:7], v[86:87], v[206:207], -v[6:7]
	s_waitcnt vmcnt(6) lgkmcnt(0)
	v_mul_f64 v[116:117], v[110:111], v[120:121]
	v_add_f64 v[4:5], v[4:5], v[6:7]
	s_waitcnt vmcnt(4)
	v_fmac_f64_e32 v[116:117], v[112:113], v[238:239]
	v_add_f64 v[180:181], v[114:115], v[116:117]
	ds_read_b128 v[114:117], v228 offset:1872
	buffer_load_dword v248, off, s[0:3], 0 offset:256
	buffer_load_dword v249, off, s[0:3], 0 offset:260
	;; [unrolled: 1-line block ×4, first 2 shown]
	v_mul_f64 v[6:7], v[92:93], v[210:211]
	v_fma_f64 v[6:7], v[90:91], v[212:213], -v[6:7]
	v_add_f64 v[4:5], v[4:5], v[6:7]
	v_mul_f64 v[6:7], v[96:97], v[214:215]
	v_fma_f64 v[6:7], v[94:95], v[220:221], -v[6:7]
	v_add_f64 v[4:5], v[4:5], v[6:7]
	v_mul_f64 v[6:7], v[100:101], v[208:209]
	v_fma_f64 v[6:7], v[98:99], v[218:219], -v[6:7]
	v_mul_f64 v[2:3], v[2:3], v[216:217]
	v_add_f64 v[4:5], v[4:5], v[6:7]
	v_fma_f64 v[0:1], v[0:1], v[222:223], -v[2:3]
	v_mul_f64 v[2:3], v[64:65], v[224:225]
	v_add_f64 v[0:1], v[4:5], v[0:1]
	v_fma_f64 v[2:3], v[62:63], v[118:119], -v[2:3]
	v_add_f64 v[0:1], v[0:1], v[2:3]
	v_mul_f64 v[2:3], v[112:113], v[120:121]
	v_fma_f64 v[2:3], v[110:111], v[238:239], -v[2:3]
	v_add_f64 v[0:1], v[0:1], v[2:3]
	s_waitcnt vmcnt(6) lgkmcnt(0)
	v_mul_f64 v[2:3], v[116:117], v[242:243]
	v_mul_f64 v[250:251], v[114:115], v[242:243]
	s_waitcnt vmcnt(4)
	v_fma_f64 v[2:3], v[114:115], v[244:245], -v[2:3]
	v_fmac_f64_e32 v[250:251], v[116:117], v[244:245]
	v_add_f64 v[0:1], v[0:1], v[2:3]
	v_add_f64 v[180:181], v[180:181], v[250:251]
	s_waitcnt vmcnt(2)
	v_add_f64 v[0:1], v[248:249], -v[0:1]
	s_waitcnt vmcnt(0)
	v_add_f64 v[2:3], v[246:247], -v[180:181]
	buffer_store_dword v1, off, s[0:3], 0 offset:260
	buffer_store_dword v0, off, s[0:3], 0 offset:256
	;; [unrolled: 1-line block ×4, first 2 shown]
	s_and_saveexec_b64 s[4:5], vcc
	s_cbranch_execz .LBB122_339
; %bb.338:
	v_accvgpr_read_b32 v0, a162
	buffer_load_dword v2, v0, s[0:3], 0 offen
	buffer_load_dword v3, v0, s[0:3], 0 offen offset:4
	buffer_load_dword v4, v0, s[0:3], 0 offen offset:8
	;; [unrolled: 1-line block ×3, first 2 shown]
	v_accvgpr_read_b32 v0, a177
	buffer_store_dword v228, off, s[0:3], 0 offset:240
	buffer_store_dword v228, off, s[0:3], 0 offset:244
	;; [unrolled: 1-line block ×4, first 2 shown]
	s_waitcnt vmcnt(4)
	ds_write_b128 v0, v[2:5]
.LBB122_339:
	s_or_b64 exec, exec, s[4:5]
	s_waitcnt lgkmcnt(0)
	; wave barrier
	s_waitcnt lgkmcnt(0)
	buffer_load_dword v186, off, s[0:3], 0 offset:256
	buffer_load_dword v187, off, s[0:3], 0 offset:260
	buffer_load_dword v194, off, s[0:3], 0 offset:264
	buffer_load_dword v195, off, s[0:3], 0 offset:268
	buffer_load_dword v196, off, s[0:3], 0 offset:272
	buffer_load_dword v197, off, s[0:3], 0 offset:276
	buffer_load_dword v198, off, s[0:3], 0 offset:280
	buffer_load_dword v199, off, s[0:3], 0 offset:284
	buffer_load_dword v202, off, s[0:3], 0 offset:296
	buffer_load_dword v203, off, s[0:3], 0 offset:300
	buffer_load_dword v213, off, s[0:3], 0 offset:332
	buffer_load_dword v212, off, s[0:3], 0 offset:328
	buffer_load_dword v215, off, s[0:3], 0 offset:324
	buffer_load_dword v214, off, s[0:3], 0 offset:320
	buffer_load_dword v205, off, s[0:3], 0 offset:316
	buffer_load_dword v204, off, s[0:3], 0 offset:312
	buffer_load_dword v105, off, s[0:3], 0 offset:364
	buffer_load_dword v104, off, s[0:3], 0 offset:360
	buffer_load_dword v109, off, s[0:3], 0 offset:356
	buffer_load_dword v108, off, s[0:3], 0 offset:352
	buffer_load_dword v113, off, s[0:3], 0 offset:348
	buffer_load_dword v112, off, s[0:3], 0 offset:344
	buffer_load_dword v107, off, s[0:3], 0 offset:380
	buffer_load_dword v106, off, s[0:3], 0 offset:376
	buffer_load_dword v200, off, s[0:3], 0 offset:288
	buffer_load_dword v201, off, s[0:3], 0 offset:292
	buffer_load_dword v117, off, s[0:3], 0 offset:308
	buffer_load_dword v116, off, s[0:3], 0 offset:304
	buffer_load_dword v115, off, s[0:3], 0 offset:340
	buffer_load_dword v114, off, s[0:3], 0 offset:336
	buffer_load_dword v111, off, s[0:3], 0 offset:372
	buffer_load_dword v110, off, s[0:3], 0 offset:368
	buffer_load_dword v102, off, s[0:3], 0 offset:392
	buffer_load_dword v224, off, s[0:3], 0 offset:384
	buffer_load_dword v225, off, s[0:3], 0 offset:388
	buffer_load_dword v103, off, s[0:3], 0 offset:396
	ds_read_b128 v[82:85], v228 offset:1184
	ds_read_b128 v[78:81], v228 offset:1200
	;; [unrolled: 1-line block ×9, first 2 shown]
	buffer_load_dword v227, off, s[0:3], 0 offset:428
	buffer_load_dword v226, off, s[0:3], 0 offset:424
	buffer_load_dword v237, off, s[0:3], 0 offset:420
	buffer_load_dword v236, off, s[0:3], 0 offset:416
	buffer_load_dword v239, off, s[0:3], 0 offset:412
	buffer_load_dword v238, off, s[0:3], 0 offset:408
	buffer_load_dword v241, off, s[0:3], 0 offset:404
	buffer_load_dword v240, off, s[0:3], 0 offset:400
	buffer_load_dword v247, off, s[0:3], 0 offset:460
	buffer_load_dword v246, off, s[0:3], 0 offset:456
	buffer_load_dword v249, off, s[0:3], 0 offset:452
	buffer_load_dword v248, off, s[0:3], 0 offset:448
	buffer_load_dword v251, off, s[0:3], 0 offset:444
	buffer_load_dword v250, off, s[0:3], 0 offset:440
	buffer_load_dword v253, off, s[0:3], 0 offset:436
	buffer_load_dword v252, off, s[0:3], 0 offset:432
	buffer_load_dword v243, off, s[0:3], 0 offset:492
	buffer_load_dword v242, off, s[0:3], 0 offset:488
	buffer_load_dword v245, off, s[0:3], 0 offset:484
	s_waitcnt vmcnt(51) lgkmcnt(8)
	v_mul_f64 v[0:1], v[82:83], v[194:195]
	v_fmac_f64_e32 v[0:1], v[84:85], v[186:187]
	v_add_f64 v[0:1], v[0:1], 0
	v_mul_f64 v[84:85], v[84:85], v[194:195]
	s_waitcnt vmcnt(47) lgkmcnt(7)
	v_mul_f64 v[2:3], v[78:79], v[198:199]
	v_fmac_f64_e32 v[2:3], v[80:81], v[196:197]
	v_add_f64 v[0:1], v[0:1], v[2:3]
	buffer_load_dword v244, off, s[0:3], 0 offset:480
	buffer_load_dword v255, off, s[0:3], 0 offset:476
	;; [unrolled: 1-line block ×7, first 2 shown]
	s_waitcnt vmcnt(52) lgkmcnt(6)
	v_mul_f64 v[4:5], v[74:75], v[202:203]
	s_waitcnt vmcnt(50) lgkmcnt(4)
	v_mul_f64 v[8:9], v[62:63], v[212:213]
	s_waitcnt vmcnt(48)
	v_fmac_f64_e32 v[8:9], v[64:65], v[214:215]
	v_mul_f64 v[80:81], v[80:81], v[198:199]
	s_waitcnt vmcnt(46)
	v_mul_f64 v[6:7], v[70:71], v[204:205]
	v_fma_f64 v[78:79], v[78:79], v[196:197], -v[80:81]
	s_waitcnt vmcnt(44) lgkmcnt(2)
	v_mul_f64 v[12:13], v[54:55], v[104:105]
	v_mul_f64 v[64:65], v[64:65], v[212:213]
	s_waitcnt vmcnt(42)
	v_fmac_f64_e32 v[12:13], v[56:57], v[108:109]
	v_fma_f64 v[212:213], v[62:63], v[214:215], -v[64:65]
	s_waitcnt vmcnt(40)
	v_mul_f64 v[10:11], v[50:51], v[112:113]
	v_mul_f64 v[56:57], v[56:57], v[104:105]
	s_waitcnt vmcnt(38) lgkmcnt(1)
	v_mul_f64 v[14:15], v[58:59], v[106:107]
	s_waitcnt vmcnt(36)
	v_fmac_f64_e32 v[4:5], v[76:77], v[200:201]
	v_add_f64 v[0:1], v[0:1], v[4:5]
	s_waitcnt vmcnt(34)
	v_fmac_f64_e32 v[6:7], v[72:73], v[116:117]
	v_add_f64 v[0:1], v[0:1], v[6:7]
	v_add_f64 v[0:1], v[0:1], v[8:9]
	s_waitcnt vmcnt(32)
	v_fmac_f64_e32 v[10:11], v[52:53], v[114:115]
	v_add_f64 v[0:1], v[0:1], v[10:11]
	;; [unrolled: 4-line block ×3, first 2 shown]
	v_mul_f64 v[76:77], v[76:77], v[202:203]
	v_fma_f64 v[80:81], v[74:75], v[200:201], -v[76:77]
	v_mul_f64 v[72:73], v[72:73], v[204:205]
	v_mul_f64 v[52:53], v[52:53], v[112:113]
	;; [unrolled: 1-line block ×3, first 2 shown]
	v_fma_f64 v[116:117], v[70:71], v[116:117], -v[72:73]
	s_waitcnt vmcnt(0)
	v_pk_mov_b32 v[4:5], v[2:3], v[2:3] op_sel:[0,1]
	buffer_load_dword v3, off, s[0:3], 0 offset:516
	buffer_load_dword v2, off, s[0:3], 0 offset:512
	v_accvgpr_write_b32 a179, v5
	v_accvgpr_write_b32 a178, v4
	s_waitcnt vmcnt(0)
	v_pk_mov_b32 v[8:9], v[2:3], v[2:3] op_sel:[0,1]
	buffer_load_dword v125, off, s[0:3], 0 offset:508
	buffer_load_dword v124, off, s[0:3], 0 offset:504
	;; [unrolled: 1-line block ×6, first 2 shown]
	v_accvgpr_write_b32 a181, v9
	v_accvgpr_write_b32 a180, v8
	s_waitcnt vmcnt(0)
	v_pk_mov_b32 v[12:13], v[2:3], v[2:3] op_sel:[0,1]
	buffer_load_dword v3, off, s[0:3], 0 offset:548
	buffer_load_dword v2, off, s[0:3], 0 offset:544
	v_accvgpr_write_b32 a183, v13
	v_accvgpr_write_b32 a182, v12
	s_waitcnt vmcnt(0)
	v_pk_mov_b32 v[24:25], v[2:3], v[2:3] op_sel:[0,1]
	buffer_load_dword v145, off, s[0:3], 0 offset:540
	buffer_load_dword v144, off, s[0:3], 0 offset:536
	;; [unrolled: 1-line block ×6, first 2 shown]
	v_accvgpr_write_b32 a185, v25
	v_accvgpr_write_b32 a184, v24
	s_waitcnt vmcnt(0)
	v_pk_mov_b32 v[32:33], v[2:3], v[2:3] op_sel:[0,1]
	buffer_load_dword v3, off, s[0:3], 0 offset:580
	buffer_load_dword v2, off, s[0:3], 0 offset:576
	v_accvgpr_write_b32 a187, v33
	v_accvgpr_write_b32 a186, v32
	s_waitcnt vmcnt(0)
	v_pk_mov_b32 v[34:35], v[2:3], v[2:3] op_sel:[0,1]
	buffer_load_dword v153, off, s[0:3], 0 offset:572
	buffer_load_dword v152, off, s[0:3], 0 offset:568
	;; [unrolled: 1-line block ×36, first 2 shown]
	ds_read_b128 v[230:233], v228 offset:1328
	ds_read_b128 v[118:121], v228 offset:1344
	;; [unrolled: 1-line block ×9, first 2 shown]
	v_accvgpr_write_b32 a189, v35
	s_waitcnt lgkmcnt(3)
	v_mul_f64 v[6:7], v[98:99], v[242:243]
	v_fmac_f64_e32 v[6:7], v[100:101], v[244:245]
	s_waitcnt lgkmcnt(2)
	v_mul_f64 v[10:11], v[130:131], v[124:125]
	v_fmac_f64_e32 v[10:11], v[132:133], v[140:141]
	;; [unrolled: 3-line block ×3, first 2 shown]
	v_accvgpr_write_b32 a188, v34
	v_fma_f64 v[8:9], v[54:55], v[108:109], -v[56:57]
	v_mul_f64 v[70:71], v[232:233], v[238:239]
	v_mul_f64 v[100:101], v[100:101], v[242:243]
	s_waitcnt vmcnt(30)
	v_pk_mov_b32 v[40:41], v[2:3], v[2:3] op_sel:[0,1]
	v_mul_f64 v[2:3], v[66:67], v[102:103]
	v_fmac_f64_e32 v[2:3], v[68:69], v[224:225]
	v_add_f64 v[0:1], v[0:1], v[2:3]
	v_mul_f64 v[2:3], v[230:231], v[238:239]
	v_fmac_f64_e32 v[2:3], v[232:233], v[240:241]
	v_add_f64 v[0:1], v[0:1], v[2:3]
	;; [unrolled: 3-line block ×6, first 2 shown]
	v_add_f64 v[0:1], v[0:1], v[6:7]
	v_add_f64 v[0:1], v[0:1], v[10:11]
	;; [unrolled: 1-line block ×3, first 2 shown]
	ds_read_b128 v[14:17], v228 offset:1472
	s_waitcnt lgkmcnt(1)
	v_mul_f64 v[18:19], v[134:135], v[144:145]
	v_fmac_f64_e32 v[18:19], v[136:137], v[148:149]
	v_add_f64 v[0:1], v[0:1], v[18:19]
	ds_read_b128 v[18:21], v228 offset:1488
	s_waitcnt lgkmcnt(1)
	v_mul_f64 v[22:23], v[14:15], v[12:13]
	v_fmac_f64_e32 v[22:23], v[16:17], v[24:25]
	v_add_f64 v[0:1], v[0:1], v[22:23]
	;; [unrolled: 5-line block ×4, first 2 shown]
	ds_read_b128 v[30:33], v228 offset:1536
	s_waitcnt vmcnt(26) lgkmcnt(1)
	v_mul_f64 v[34:35], v[26:27], v[160:161]
	s_waitcnt vmcnt(24)
	v_fmac_f64_e32 v[34:35], v[28:29], v[162:163]
	v_add_f64 v[0:1], v[0:1], v[34:35]
	ds_read_b128 v[34:37], v228 offset:1552
	s_waitcnt lgkmcnt(1)
	v_mul_f64 v[38:39], v[30:31], v[40:41]
	v_accvgpr_write_b32 a191, v41
	v_fmac_f64_e32 v[38:39], v[32:33], v[234:235]
	v_accvgpr_write_b32 a190, v40
	v_add_f64 v[0:1], v[0:1], v[38:39]
	ds_read_b128 v[38:41], v228 offset:1568
	s_waitcnt vmcnt(18) lgkmcnt(1)
	v_mul_f64 v[42:43], v[34:35], v[164:165]
	s_waitcnt vmcnt(16)
	v_fmac_f64_e32 v[42:43], v[36:37], v[166:167]
	v_add_f64 v[46:47], v[0:1], v[42:43]
	ds_read_b128 v[42:45], v228 offset:1584
	buffer_load_dword v123, off, s[0:3], 0 offset:732
	buffer_load_dword v122, off, s[0:3], 0 offset:728
	;; [unrolled: 1-line block ×4, first 2 shown]
	s_waitcnt lgkmcnt(1)
	v_mul_f64 v[48:49], v[38:39], v[138:139]
	v_fmac_f64_e32 v[48:49], v[40:41], v[142:143]
	v_add_f64 v[180:181], v[46:47], v[48:49]
	ds_read_b128 v[46:49], v228 offset:1600
	buffer_load_dword v183, off, s[0:3], 0 offset:748
	buffer_load_dword v182, off, s[0:3], 0 offset:744
	;; [unrolled: 1-line block ×4, first 2 shown]
	s_waitcnt vmcnt(18) lgkmcnt(1)
	v_mul_f64 v[188:189], v[42:43], v[168:169]
	s_waitcnt vmcnt(16)
	v_fmac_f64_e32 v[188:189], v[44:45], v[170:171]
	v_add_f64 v[0:1], v[180:181], v[188:189]
	buffer_load_dword v181, off, s[0:3], 0 offset:780
	buffer_load_dword v189, off, s[0:3], 0 offset:764
	;; [unrolled: 1-line block ×8, first 2 shown]
	v_fma_f64 v[12:13], v[82:83], v[186:187], -v[84:85]
	buffer_load_dword v186, off, s[0:3], 0 offset:808
	buffer_load_dword v195, off, s[0:3], 0 offset:796
	;; [unrolled: 1-line block ×20, first 2 shown]
	v_fma_f64 v[10:11], v[50:51], v[114:115], -v[52:53]
	buffer_load_dword v215, off, s[0:3], 0 offset:876
	buffer_load_dword v214, off, s[0:3], 0 offset:872
	;; [unrolled: 1-line block ×12, first 2 shown]
	s_waitcnt lgkmcnt(0)
	v_mul_f64 v[50:51], v[46:47], v[146:147]
	v_fmac_f64_e32 v[50:51], v[48:49], v[150:151]
	v_add_f64 v[0:1], v[0:1], v[50:51]
	ds_read_b128 v[50:53], v228 offset:1616
	ds_read_b128 v[54:57], v228 offset:1632
	v_fma_f64 v[6:7], v[58:59], v[110:111], -v[60:61]
	ds_read_b128 v[58:61], v228 offset:1648
	v_mul_f64 v[68:69], v[68:69], v[102:103]
	s_waitcnt vmcnt(50) lgkmcnt(2)
	v_mul_f64 v[62:63], v[50:51], v[172:173]
	s_waitcnt vmcnt(48)
	v_fmac_f64_e32 v[62:63], v[52:53], v[174:175]
	v_add_f64 v[0:1], v[0:1], v[62:63]
	s_waitcnt lgkmcnt(1)
	v_mul_f64 v[62:63], v[54:55], v[154:155]
	v_fmac_f64_e32 v[62:63], v[56:57], v[158:159]
	v_add_f64 v[0:1], v[0:1], v[62:63]
	v_fma_f64 v[224:225], v[66:67], v[224:225], -v[68:69]
	ds_read_b128 v[66:69], v228 offset:1680
	v_fma_f64 v[240:241], v[230:231], v[240:241], -v[70:71]
	v_mul_f64 v[82:83], v[120:121], v[226:227]
	v_fma_f64 v[4:5], v[118:119], v[236:237], -v[82:83]
	v_mul_f64 v[92:93], v[92:93], v[246:247]
	v_fma_f64 v[246:247], v[90:91], v[248:249], -v[92:93]
	ds_read_b128 v[90:93], v228 offset:1776
	ds_read_b128 v[118:121], v228 offset:1792
	v_mul_f64 v[96:97], v[96:97], v[254:255]
	v_add_f64 v[12:13], v[12:13], 0
	v_add_f64 v[12:13], v[12:13], v[78:79]
	;; [unrolled: 1-line block ×11, first 2 shown]
	v_accvgpr_read_b32 v6, a180
	v_accvgpr_read_b32 v7, a181
	ds_read_b128 v[70:73], v228 offset:1696
	ds_read_b128 v[230:233], v228 offset:1728
	s_waitcnt vmcnt(46) lgkmcnt(5)
	v_mul_f64 v[62:63], v[58:59], v[122:123]
	s_waitcnt vmcnt(44)
	v_fmac_f64_e32 v[62:63], v[60:61], v[178:179]
	v_add_f64 v[0:1], v[0:1], v[62:63]
	ds_read_b128 v[62:65], v228 offset:1664
	s_waitcnt vmcnt(42) lgkmcnt(0)
	v_mul_f64 v[74:75], v[62:63], v[182:183]
	s_waitcnt vmcnt(40)
	v_fmac_f64_e32 v[74:75], v[64:65], v[184:185]
	v_add_f64 v[0:1], v[0:1], v[74:75]
	s_waitcnt vmcnt(37)
	v_mul_f64 v[74:75], v[66:67], v[188:189]
	s_waitcnt vmcnt(35)
	v_fmac_f64_e32 v[74:75], v[68:69], v[192:193]
	v_add_f64 v[0:1], v[0:1], v[74:75]
	s_waitcnt vmcnt(34)
	v_mul_f64 v[74:75], v[70:71], v[180:181]
	s_waitcnt vmcnt(32)
	v_fmac_f64_e32 v[74:75], v[72:73], v[190:191]
	v_add_f64 v[0:1], v[0:1], v[74:75]
	ds_read_b128 v[74:77], v228 offset:1712
	s_waitcnt vmcnt(29) lgkmcnt(0)
	v_mul_f64 v[82:83], v[74:75], v[194:195]
	s_waitcnt vmcnt(27)
	v_fmac_f64_e32 v[82:83], v[76:77], v[198:199]
	v_add_f64 v[0:1], v[0:1], v[82:83]
	v_mul_f64 v[82:83], v[88:89], v[250:251]
	v_fma_f64 v[2:3], v[86:87], v[252:253], -v[82:83]
	ds_read_b128 v[82:85], v228 offset:1744
	s_waitcnt vmcnt(25)
	v_mul_f64 v[86:87], v[230:231], v[186:187]
	s_waitcnt vmcnt(24)
	v_fmac_f64_e32 v[86:87], v[232:233], v[196:197]
	v_add_f64 v[0:1], v[0:1], v[86:87]
	ds_read_b128 v[86:89], v228 offset:1760
	s_waitcnt vmcnt(21) lgkmcnt(1)
	v_mul_f64 v[102:103], v[82:83], v[202:203]
	s_waitcnt vmcnt(19)
	v_fmac_f64_e32 v[102:103], v[84:85], v[208:209]
	v_add_f64 v[0:1], v[0:1], v[102:103]
	v_fma_f64 v[250:251], v[94:95], v[176:177], -v[96:97]
	s_waitcnt vmcnt(18) lgkmcnt(0)
	v_mul_f64 v[102:103], v[86:87], v[200:201]
	s_waitcnt vmcnt(16)
	v_fmac_f64_e32 v[102:103], v[88:89], v[206:207]
	v_add_f64 v[0:1], v[0:1], v[102:103]
	s_waitcnt vmcnt(14)
	v_mul_f64 v[102:103], v[90:91], v[204:205]
	ds_read_b128 v[94:97], v228 offset:1808
	s_waitcnt vmcnt(12)
	v_fmac_f64_e32 v[102:103], v[92:93], v[210:211]
	v_add_f64 v[0:1], v[0:1], v[102:103]
	ds_read_b128 v[102:105], v228 offset:1824
	v_fma_f64 v[252:253], v[98:99], v[244:245], -v[100:101]
	s_waitcnt vmcnt(10)
	v_mul_f64 v[98:99], v[118:119], v[214:215]
	s_waitcnt vmcnt(8)
	v_fmac_f64_e32 v[98:99], v[120:121], v[216:217]
	v_add_f64 v[0:1], v[0:1], v[98:99]
	s_waitcnt vmcnt(5) lgkmcnt(1)
	v_mul_f64 v[98:99], v[94:95], v[220:221]
	s_waitcnt vmcnt(3)
	v_fmac_f64_e32 v[98:99], v[96:97], v[222:223]
	v_add_f64 v[0:1], v[0:1], v[98:99]
	s_waitcnt vmcnt(1) lgkmcnt(0)
	v_mul_f64 v[98:99], v[102:103], v[114:115]
	s_waitcnt vmcnt(0)
	v_fmac_f64_e32 v[98:99], v[104:105], v[218:219]
	v_add_f64 v[98:99], v[0:1], v[98:99]
	buffer_load_dword v1, off, s[0:3], 0 offset:924
	buffer_load_dword v0, off, s[0:3], 0 offset:920
	;; [unrolled: 1-line block ×4, first 2 shown]
	ds_read_b128 v[106:109], v228 offset:1840
	buffer_load_dword v236, off, s[0:3], 0 offset:936
	buffer_load_dword v237, off, s[0:3], 0 offset:940
	;; [unrolled: 1-line block ×4, first 2 shown]
	ds_read_b128 v[110:113], v228 offset:1856
	buffer_load_dword v243, off, s[0:3], 0 offset:956
	buffer_load_dword v242, off, s[0:3], 0 offset:952
	;; [unrolled: 1-line block ×4, first 2 shown]
	v_add_f64 v[2:3], v[4:5], v[2:3]
	v_add_f64 v[254:255], v[2:3], v[246:247]
	;; [unrolled: 1-line block ×3, first 2 shown]
	v_mul_f64 v[4:5], v[132:133], v[124:125]
	v_add_f64 v[2:3], v[2:3], v[252:253]
	v_fma_f64 v[4:5], v[130:131], v[140:141], -v[4:5]
	v_add_f64 v[2:3], v[2:3], v[4:5]
	v_accvgpr_read_b32 v4, a178
	v_accvgpr_read_b32 v5, a179
	v_mul_f64 v[4:5], v[128:129], v[4:5]
	v_fma_f64 v[4:5], v[126:127], v[6:7], -v[4:5]
	v_add_f64 v[2:3], v[2:3], v[4:5]
	v_mul_f64 v[4:5], v[136:137], v[144:145]
	v_fma_f64 v[4:5], v[134:135], v[148:149], -v[4:5]
	v_add_f64 v[2:3], v[2:3], v[4:5]
	v_accvgpr_read_b32 v4, a182
	v_accvgpr_read_b32 v5, a183
	;; [unrolled: 1-line block ×3, first 2 shown]
	v_mul_f64 v[4:5], v[16:17], v[4:5]
	v_accvgpr_read_b32 v7, a185
	v_fma_f64 v[4:5], v[14:15], v[6:7], -v[4:5]
	v_add_f64 v[2:3], v[2:3], v[4:5]
	v_mul_f64 v[4:5], v[20:21], v[152:153]
	v_fma_f64 v[4:5], v[18:19], v[156:157], -v[4:5]
	v_add_f64 v[2:3], v[2:3], v[4:5]
	v_accvgpr_read_b32 v4, a186
	v_accvgpr_read_b32 v5, a187
	;; [unrolled: 1-line block ×3, first 2 shown]
	v_mul_f64 v[4:5], v[24:25], v[4:5]
	v_accvgpr_read_b32 v7, a189
	v_fma_f64 v[4:5], v[22:23], v[6:7], -v[4:5]
	v_add_f64 v[2:3], v[2:3], v[4:5]
	v_mul_f64 v[4:5], v[28:29], v[160:161]
	v_fma_f64 v[4:5], v[26:27], v[162:163], -v[4:5]
	v_add_f64 v[2:3], v[2:3], v[4:5]
	v_accvgpr_read_b32 v4, a190
	v_accvgpr_read_b32 v5, a191
	v_mul_f64 v[4:5], v[32:33], v[4:5]
	v_fma_f64 v[4:5], v[30:31], v[234:235], -v[4:5]
	v_add_f64 v[2:3], v[2:3], v[4:5]
	v_mul_f64 v[4:5], v[36:37], v[164:165]
	v_fma_f64 v[4:5], v[34:35], v[166:167], -v[4:5]
	v_add_f64 v[2:3], v[2:3], v[4:5]
	;; [unrolled: 3-line block ×12, first 2 shown]
	s_waitcnt vmcnt(10) lgkmcnt(1)
	v_mul_f64 v[100:101], v[106:107], v[0:1]
	v_mul_f64 v[4:5], v[232:233], v[186:187]
	s_waitcnt vmcnt(8)
	v_fmac_f64_e32 v[100:101], v[108:109], v[226:227]
	v_add_f64 v[98:99], v[98:99], v[100:101]
	s_waitcnt vmcnt(6) lgkmcnt(0)
	v_mul_f64 v[100:101], v[110:111], v[236:237]
	s_waitcnt vmcnt(4)
	v_fmac_f64_e32 v[100:101], v[112:113], v[238:239]
	v_add_f64 v[176:177], v[98:99], v[100:101]
	ds_read_b128 v[98:101], v228 offset:1872
	buffer_load_dword v248, off, s[0:3], 0 offset:240
	buffer_load_dword v249, off, s[0:3], 0 offset:244
	;; [unrolled: 1-line block ×4, first 2 shown]
	v_fma_f64 v[4:5], v[230:231], v[196:197], -v[4:5]
	v_add_f64 v[2:3], v[2:3], v[4:5]
	v_mul_f64 v[4:5], v[84:85], v[202:203]
	v_fma_f64 v[4:5], v[82:83], v[208:209], -v[4:5]
	v_add_f64 v[2:3], v[2:3], v[4:5]
	v_mul_f64 v[4:5], v[88:89], v[200:201]
	;; [unrolled: 3-line block ×6, first 2 shown]
	v_fma_f64 v[4:5], v[102:103], v[218:219], -v[4:5]
	v_mul_f64 v[0:1], v[108:109], v[0:1]
	v_add_f64 v[2:3], v[2:3], v[4:5]
	v_fma_f64 v[0:1], v[106:107], v[226:227], -v[0:1]
	v_add_f64 v[0:1], v[2:3], v[0:1]
	v_mul_f64 v[2:3], v[112:113], v[236:237]
	v_fma_f64 v[2:3], v[110:111], v[238:239], -v[2:3]
	s_waitcnt vmcnt(6) lgkmcnt(0)
	v_mul_f64 v[228:229], v[98:99], v[242:243]
	v_add_f64 v[0:1], v[0:1], v[2:3]
	v_mul_f64 v[2:3], v[100:101], v[242:243]
	s_waitcnt vmcnt(4)
	v_fmac_f64_e32 v[228:229], v[100:101], v[244:245]
	v_fma_f64 v[2:3], v[98:99], v[244:245], -v[2:3]
	v_add_f64 v[176:177], v[176:177], v[228:229]
	v_add_f64 v[0:1], v[0:1], v[2:3]
	v_accvgpr_read_b32 v229, a176
	v_cmp_lt_u32_e32 vcc, 13, v229
	s_waitcnt vmcnt(2)
	v_add_f64 v[0:1], v[248:249], -v[0:1]
	s_waitcnt vmcnt(0)
	v_add_f64 v[2:3], v[246:247], -v[176:177]
	buffer_store_dword v1, off, s[0:3], 0 offset:244
	buffer_store_dword v0, off, s[0:3], 0 offset:240
	buffer_store_dword v3, off, s[0:3], 0 offset:252
	buffer_store_dword v2, off, s[0:3], 0 offset:248
	s_and_saveexec_b64 s[4:5], vcc
	s_cbranch_execz .LBB122_341
; %bb.340:
	v_accvgpr_read_b32 v0, a163
	buffer_load_dword v2, v0, s[0:3], 0 offen
	buffer_load_dword v3, v0, s[0:3], 0 offen offset:4
	buffer_load_dword v4, v0, s[0:3], 0 offen offset:8
	;; [unrolled: 1-line block ×3, first 2 shown]
	v_mov_b32_e32 v0, 0
	v_accvgpr_read_b32 v1, a177
	buffer_store_dword v0, off, s[0:3], 0 offset:224
	buffer_store_dword v0, off, s[0:3], 0 offset:228
	;; [unrolled: 1-line block ×4, first 2 shown]
	s_waitcnt vmcnt(4)
	ds_write_b128 v1, v[2:5]
.LBB122_341:
	s_or_b64 exec, exec, s[4:5]
	s_waitcnt lgkmcnt(0)
	; wave barrier
	s_waitcnt lgkmcnt(0)
	buffer_load_dword v56, off, s[0:3], 0 offset:240
	buffer_load_dword v57, off, s[0:3], 0 offset:244
	;; [unrolled: 1-line block ×36, first 2 shown]
	v_mov_b32_e32 v228, 0
	buffer_load_dword v87, off, s[0:3], 0 offset:412
	buffer_load_dword v86, off, s[0:3], 0 offset:408
	;; [unrolled: 1-line block ×18, first 2 shown]
	ds_read_b128 v[110:113], v228 offset:1168
	ds_read_b128 v[114:117], v228 offset:1184
	;; [unrolled: 1-line block ×9, first 2 shown]
	v_cmp_lt_u32_e32 vcc, 12, v229
	s_waitcnt vmcnt(50) lgkmcnt(8)
	v_mul_f64 v[0:1], v[110:111], v[58:59]
	v_fmac_f64_e32 v[0:1], v[112:113], v[56:57]
	v_add_f64 v[0:1], v[0:1], 0
	v_mul_f64 v[58:59], v[112:113], v[58:59]
	s_waitcnt vmcnt(46) lgkmcnt(7)
	v_mul_f64 v[2:3], v[114:115], v[54:55]
	v_fmac_f64_e32 v[2:3], v[116:117], v[52:53]
	v_add_f64 v[0:1], v[0:1], v[2:3]
	buffer_load_dword v105, off, s[0:3], 0 offset:468
	buffer_load_dword v104, off, s[0:3], 0 offset:464
	;; [unrolled: 1-line block ×8, first 2 shown]
	s_waitcnt vmcnt(52) lgkmcnt(6)
	v_mul_f64 v[4:5], v[196:197], v[50:51]
	s_waitcnt vmcnt(50) lgkmcnt(4)
	v_mul_f64 v[8:9], v[204:205], v[60:61]
	s_waitcnt vmcnt(48)
	v_fmac_f64_e32 v[8:9], v[206:207], v[212:213]
	v_mul_f64 v[50:51], v[198:199], v[50:51]
	s_waitcnt vmcnt(46)
	v_mul_f64 v[6:7], v[200:201], v[64:65]
	v_mul_f64 v[54:55], v[116:117], v[54:55]
	s_waitcnt vmcnt(44) lgkmcnt(2)
	v_mul_f64 v[12:13], v[214:215], v[74:75]
	v_fma_f64 v[218:219], v[114:115], v[52:53], -v[54:55]
	s_waitcnt vmcnt(42)
	v_fmac_f64_e32 v[12:13], v[216:217], v[72:73]
	s_waitcnt vmcnt(40)
	v_mul_f64 v[10:11], v[208:209], v[76:77]
	v_mul_f64 v[54:55], v[210:211], v[76:77]
	s_waitcnt vmcnt(38) lgkmcnt(1)
	v_mul_f64 v[14:15], v[220:221], v[68:69]
	s_waitcnt vmcnt(36)
	v_fmac_f64_e32 v[4:5], v[198:199], v[82:83]
	v_add_f64 v[0:1], v[0:1], v[4:5]
	s_waitcnt vmcnt(34)
	v_fmac_f64_e32 v[6:7], v[202:203], v[80:81]
	v_add_f64 v[0:1], v[0:1], v[6:7]
	v_add_f64 v[0:1], v[0:1], v[8:9]
	s_waitcnt vmcnt(32)
	v_fmac_f64_e32 v[10:11], v[210:211], v[78:79]
	v_add_f64 v[0:1], v[0:1], v[10:11]
	;; [unrolled: 4-line block ×3, first 2 shown]
	s_waitcnt vmcnt(0)
	v_pk_mov_b32 v[4:5], v[2:3], v[2:3] op_sel:[0,1]
	buffer_load_dword v3, off, s[0:3], 0 offset:500
	buffer_load_dword v2, off, s[0:3], 0 offset:496
	v_accvgpr_write_b32 a179, v5
	v_accvgpr_write_b32 a178, v4
	s_waitcnt vmcnt(0)
	v_pk_mov_b32 v[8:9], v[2:3], v[2:3] op_sel:[0,1]
	buffer_load_dword v107, off, s[0:3], 0 offset:492
	buffer_load_dword v106, off, s[0:3], 0 offset:488
	;; [unrolled: 1-line block ×6, first 2 shown]
	v_accvgpr_write_b32 a181, v9
	v_accvgpr_write_b32 a180, v8
	s_waitcnt vmcnt(0)
	v_pk_mov_b32 v[12:13], v[2:3], v[2:3] op_sel:[0,1]
	buffer_load_dword v3, off, s[0:3], 0 offset:532
	buffer_load_dword v2, off, s[0:3], 0 offset:528
	v_accvgpr_write_b32 a183, v13
	v_accvgpr_write_b32 a182, v12
	s_waitcnt vmcnt(0)
	v_pk_mov_b32 v[20:21], v[2:3], v[2:3] op_sel:[0,1]
	buffer_load_dword v141, off, s[0:3], 0 offset:524
	buffer_load_dword v140, off, s[0:3], 0 offset:520
	;; [unrolled: 1-line block ×6, first 2 shown]
	v_accvgpr_write_b32 a185, v21
	v_accvgpr_write_b32 a184, v20
	s_waitcnt vmcnt(0)
	v_pk_mov_b32 v[28:29], v[2:3], v[2:3] op_sel:[0,1]
	buffer_load_dword v3, off, s[0:3], 0 offset:564
	buffer_load_dword v2, off, s[0:3], 0 offset:560
	v_accvgpr_write_b32 a187, v29
	v_accvgpr_write_b32 a186, v28
	s_waitcnt vmcnt(0)
	v_pk_mov_b32 v[30:31], v[2:3], v[2:3] op_sel:[0,1]
	buffer_load_dword v149, off, s[0:3], 0 offset:556
	buffer_load_dword v148, off, s[0:3], 0 offset:552
	;; [unrolled: 1-line block ×36, first 2 shown]
	ds_read_b128 v[230:233], v228 offset:1312
	ds_read_b128 v[234:237], v228 offset:1328
	;; [unrolled: 1-line block ×11, first 2 shown]
	s_waitcnt lgkmcnt(4)
	v_mul_f64 v[6:7], v[118:119], v[106:107]
	v_fmac_f64_e32 v[6:7], v[120:121], v[108:109]
	s_waitcnt lgkmcnt(3)
	v_mul_f64 v[10:11], v[122:123], v[4:5]
	v_fmac_f64_e32 v[10:11], v[124:125], v[8:9]
	;; [unrolled: 3-line block ×4, first 2 shown]
	v_accvgpr_write_b32 a189, v31
	v_accvgpr_write_b32 a188, v30
	v_fma_f64 v[12:13], v[110:111], v[56:57], -v[58:59]
	v_fma_f64 v[110:111], v[196:197], v[82:83], -v[50:51]
	v_mul_f64 v[50:51], v[202:203], v[64:65]
	v_fma_f64 v[112:113], v[200:201], v[80:81], -v[50:51]
	v_mul_f64 v[50:51], v[206:207], v[60:61]
	;; [unrolled: 2-line block ×3, first 2 shown]
	v_mul_f64 v[56:57], v[222:223], v[68:69]
	v_fma_f64 v[4:5], v[220:221], v[70:71], -v[56:57]
	v_mul_f64 v[58:59], v[226:227], v[66:67]
	v_mul_f64 v[70:71], v[236:237], v[86:87]
	;; [unrolled: 1-line block ×3, first 2 shown]
	v_add_f64 v[12:13], v[12:13], 0
	v_add_f64 v[12:13], v[12:13], v[218:219]
	;; [unrolled: 1-line block ×4, first 2 shown]
	s_waitcnt vmcnt(30)
	v_pk_mov_b32 v[36:37], v[2:3], v[2:3] op_sel:[0,1]
	v_mul_f64 v[2:3], v[224:225], v[66:67]
	v_fmac_f64_e32 v[2:3], v[226:227], v[84:85]
	v_add_f64 v[0:1], v[0:1], v[2:3]
	v_mul_f64 v[2:3], v[230:231], v[90:91]
	v_fmac_f64_e32 v[2:3], v[232:233], v[92:93]
	v_add_f64 v[0:1], v[0:1], v[2:3]
	;; [unrolled: 3-line block ×7, first 2 shown]
	v_add_f64 v[0:1], v[0:1], v[6:7]
	v_add_f64 v[0:1], v[0:1], v[10:11]
	;; [unrolled: 1-line block ×4, first 2 shown]
	ds_read_b128 v[18:21], v228 offset:1488
	s_waitcnt lgkmcnt(1)
	v_mul_f64 v[22:23], v[134:135], v[148:149]
	v_fmac_f64_e32 v[22:23], v[136:137], v[152:153]
	v_add_f64 v[0:1], v[0:1], v[22:23]
	ds_read_b128 v[22:25], v228 offset:1504
	s_waitcnt lgkmcnt(1)
	v_mul_f64 v[26:27], v[18:19], v[28:29]
	v_fmac_f64_e32 v[26:27], v[20:21], v[30:31]
	v_add_f64 v[0:1], v[0:1], v[26:27]
	ds_read_b128 v[26:29], v228 offset:1520
	s_waitcnt vmcnt(26) lgkmcnt(1)
	v_mul_f64 v[30:31], v[22:23], v[156:157]
	s_waitcnt vmcnt(24)
	v_fmac_f64_e32 v[30:31], v[24:25], v[158:159]
	v_add_f64 v[0:1], v[0:1], v[30:31]
	ds_read_b128 v[30:33], v228 offset:1536
	s_waitcnt lgkmcnt(1)
	v_mul_f64 v[34:35], v[26:27], v[36:37]
	v_accvgpr_write_b32 a191, v37
	v_fmac_f64_e32 v[34:35], v[28:29], v[16:17]
	v_accvgpr_write_b32 a190, v36
	v_add_f64 v[0:1], v[0:1], v[34:35]
	ds_read_b128 v[34:37], v228 offset:1552
	s_waitcnt vmcnt(18) lgkmcnt(1)
	v_mul_f64 v[38:39], v[30:31], v[160:161]
	s_waitcnt vmcnt(16)
	v_fmac_f64_e32 v[38:39], v[32:33], v[162:163]
	v_add_f64 v[0:1], v[0:1], v[38:39]
	ds_read_b128 v[38:41], v228 offset:1568
	s_waitcnt lgkmcnt(1)
	v_mul_f64 v[42:43], v[34:35], v[254:255]
	v_fmac_f64_e32 v[42:43], v[36:37], v[138:139]
	v_add_f64 v[0:1], v[0:1], v[42:43]
	ds_read_b128 v[42:45], v228 offset:1584
	s_waitcnt vmcnt(10) lgkmcnt(1)
	v_mul_f64 v[46:47], v[38:39], v[164:165]
	s_waitcnt vmcnt(8)
	v_fmac_f64_e32 v[46:47], v[40:41], v[166:167]
	v_add_f64 v[174:175], v[0:1], v[46:47]
	ds_read_b128 v[46:49], v228 offset:1600
	buffer_load_dword v15, off, s[0:3], 0 offset:716
	buffer_load_dword v14, off, s[0:3], 0 offset:712
	;; [unrolled: 1-line block ×4, first 2 shown]
	s_waitcnt lgkmcnt(1)
	v_mul_f64 v[178:179], v[42:43], v[142:143]
	v_fmac_f64_e32 v[178:179], v[44:45], v[146:147]
	v_add_f64 v[0:1], v[174:175], v[178:179]
	buffer_load_dword v179, off, s[0:3], 0 offset:732
	buffer_load_dword v178, off, s[0:3], 0 offset:728
	;; [unrolled: 1-line block ×24, first 2 shown]
	v_fma_f64 v[10:11], v[204:205], v[212:213], -v[50:51]
	buffer_load_dword v201, off, s[0:3], 0 offset:828
	buffer_load_dword v200, off, s[0:3], 0 offset:824
	buffer_load_dword v205, off, s[0:3], 0 offset:820
	buffer_load_dword v204, off, s[0:3], 0 offset:816
	buffer_load_dword v203, off, s[0:3], 0 offset:844
	buffer_load_dword v202, off, s[0:3], 0 offset:840
	buffer_load_dword v207, off, s[0:3], 0 offset:836
	buffer_load_dword v206, off, s[0:3], 0 offset:832
	ds_read_b128 v[50:53], v228 offset:1616
	buffer_load_dword v211, off, s[0:3], 0 offset:860
	buffer_load_dword v210, off, s[0:3], 0 offset:856
	buffer_load_dword v213, off, s[0:3], 0 offset:852
	buffer_load_dword v212, off, s[0:3], 0 offset:848
	v_fma_f64 v[6:7], v[214:215], v[72:73], -v[54:55]
	buffer_load_dword v208, off, s[0:3], 0 offset:888
	buffer_load_dword v217, off, s[0:3], 0 offset:876
	;; [unrolled: 1-line block ×12, first 2 shown]
	s_waitcnt vmcnt(54) lgkmcnt(1)
	v_mul_f64 v[54:55], v[46:47], v[168:169]
	s_waitcnt vmcnt(52)
	v_fmac_f64_e32 v[54:55], v[48:49], v[170:171]
	v_add_f64 v[0:1], v[0:1], v[54:55]
	s_waitcnt lgkmcnt(0)
	v_mul_f64 v[54:55], v[50:51], v[150:151]
	v_fmac_f64_e32 v[54:55], v[52:53], v[154:155]
	v_add_f64 v[0:1], v[0:1], v[54:55]
	ds_read_b128 v[54:57], v228 offset:1632
	v_fma_f64 v[224:225], v[224:225], v[84:85], -v[58:59]
	ds_read_b128 v[58:61], v228 offset:1648
	v_fma_f64 v[234:235], v[234:235], v[88:89], -v[70:71]
	;; [unrolled: 2-line block ×3, first 2 shown]
	v_mul_f64 v[86:87], v[248:249], v[172:173]
	v_fma_f64 v[246:247], v[246:247], v[62:63], -v[86:87]
	ds_read_b128 v[86:89], v228 offset:1760
	v_mul_f64 v[98:99], v[120:121], v[106:107]
	v_add_f64 v[10:11], v[12:13], v[10:11]
	v_add_f64 v[8:9], v[10:11], v[8:9]
	;; [unrolled: 1-line block ×5, first 2 shown]
	v_accvgpr_read_b32 v6, a180
	v_accvgpr_read_b32 v7, a181
	ds_read_b128 v[82:85], v228 offset:1744
	s_waitcnt vmcnt(50) lgkmcnt(4)
	v_mul_f64 v[66:67], v[54:55], v[14:15]
	s_waitcnt vmcnt(48)
	v_fmac_f64_e32 v[66:67], v[56:57], v[176:177]
	v_add_f64 v[0:1], v[0:1], v[66:67]
	v_mul_f64 v[66:67], v[232:233], v[90:91]
	v_fma_f64 v[226:227], v[230:231], v[92:93], -v[66:67]
	ds_read_b128 v[230:233], v228 offset:1664
	s_waitcnt vmcnt(46) lgkmcnt(4)
	v_mul_f64 v[66:67], v[58:59], v[178:179]
	s_waitcnt vmcnt(44)
	v_fmac_f64_e32 v[66:67], v[60:61], v[180:181]
	v_add_f64 v[0:1], v[0:1], v[66:67]
	ds_read_b128 v[66:69], v228 offset:1680
	s_waitcnt vmcnt(41) lgkmcnt(1)
	v_mul_f64 v[74:75], v[230:231], v[184:185]
	s_waitcnt vmcnt(39)
	v_fmac_f64_e32 v[74:75], v[232:233], v[188:189]
	v_add_f64 v[0:1], v[0:1], v[74:75]
	v_mul_f64 v[74:75], v[240:241], v[100:101]
	v_fma_f64 v[240:241], v[238:239], v[102:103], -v[74:75]
	ds_read_b128 v[74:77], v228 offset:1712
	s_waitcnt vmcnt(38) lgkmcnt(1)
	v_mul_f64 v[78:79], v[66:67], v[174:175]
	s_waitcnt vmcnt(36)
	v_fmac_f64_e32 v[78:79], v[68:69], v[186:187]
	v_add_f64 v[0:1], v[0:1], v[78:79]
	s_waitcnt vmcnt(33)
	v_mul_f64 v[78:79], v[70:71], v[192:193]
	s_waitcnt vmcnt(31)
	v_fmac_f64_e32 v[78:79], v[72:73], v[194:195]
	v_add_f64 v[0:1], v[0:1], v[78:79]
	s_waitcnt vmcnt(29) lgkmcnt(0)
	v_mul_f64 v[78:79], v[74:75], v[182:183]
	s_waitcnt vmcnt(28)
	v_fmac_f64_e32 v[78:79], v[76:77], v[190:191]
	v_add_f64 v[0:1], v[0:1], v[78:79]
	ds_read_b128 v[78:81], v228 offset:1728
	s_waitcnt vmcnt(22)
	v_mul_f64 v[62:63], v[82:83], v[200:201]
	s_waitcnt vmcnt(20)
	v_fmac_f64_e32 v[62:63], v[84:85], v[204:205]
	v_add_f64 v[4:5], v[4:5], v[226:227]
	v_add_f64 v[4:5], v[4:5], v[234:235]
	s_waitcnt lgkmcnt(0)
	v_mul_f64 v[90:91], v[78:79], v[196:197]
	v_fmac_f64_e32 v[90:91], v[80:81], v[198:199]
	v_add_f64 v[0:1], v[0:1], v[90:91]
	v_add_f64 v[0:1], v[0:1], v[62:63]
	ds_read_b128 v[90:93], v228 offset:1776
	s_waitcnt vmcnt(18)
	v_mul_f64 v[62:63], v[86:87], v[202:203]
	s_waitcnt vmcnt(16)
	v_fmac_f64_e32 v[62:63], v[88:89], v[206:207]
	v_add_f64 v[0:1], v[0:1], v[62:63]
	v_mul_f64 v[62:63], v[252:253], v[94:95]
	ds_read_b128 v[94:97], v228 offset:1792
	v_fma_f64 v[252:253], v[250:251], v[104:105], -v[62:63]
	v_fma_f64 v[250:251], v[118:119], v[108:109], -v[98:99]
	ds_read_b128 v[98:101], v228 offset:1808
	s_waitcnt vmcnt(14) lgkmcnt(2)
	v_mul_f64 v[62:63], v[90:91], v[210:211]
	s_waitcnt vmcnt(12)
	v_fmac_f64_e32 v[62:63], v[92:93], v[212:213]
	ds_read_b128 v[102:105], v228 offset:1824
	v_add_f64 v[0:1], v[0:1], v[62:63]
	s_waitcnt vmcnt(9) lgkmcnt(2)
	v_mul_f64 v[62:63], v[94:95], v[216:217]
	s_waitcnt vmcnt(7)
	v_fmac_f64_e32 v[62:63], v[96:97], v[64:65]
	v_add_f64 v[0:1], v[0:1], v[62:63]
	s_waitcnt vmcnt(5) lgkmcnt(1)
	v_mul_f64 v[62:63], v[98:99], v[208:209]
	s_waitcnt vmcnt(4)
	v_fmac_f64_e32 v[62:63], v[100:101], v[214:215]
	v_add_f64 v[0:1], v[0:1], v[62:63]
	s_waitcnt vmcnt(2) lgkmcnt(0)
	v_mul_f64 v[62:63], v[102:103], v[220:221]
	s_waitcnt vmcnt(0)
	v_fmac_f64_e32 v[62:63], v[104:105], v[222:223]
	v_add_f64 v[114:115], v[0:1], v[62:63]
	buffer_load_dword v0, off, s[0:3], 0 offset:920
	buffer_load_dword v1, off, s[0:3], 0 offset:924
	;; [unrolled: 1-line block ×4, first 2 shown]
	ds_read_b128 v[106:109], v228 offset:1840
	buffer_load_dword v237, off, s[0:3], 0 offset:940
	buffer_load_dword v236, off, s[0:3], 0 offset:936
	buffer_load_dword v239, off, s[0:3], 0 offset:932
	buffer_load_dword v238, off, s[0:3], 0 offset:928
	ds_read_b128 v[118:121], v228 offset:1856
	buffer_load_dword v242, off, s[0:3], 0 offset:952
	buffer_load_dword v243, off, s[0:3], 0 offset:956
	;; [unrolled: 1-line block ×4, first 2 shown]
	v_add_f64 v[4:5], v[4:5], v[240:241]
	v_add_f64 v[2:3], v[4:5], v[2:3]
	;; [unrolled: 1-line block ×3, first 2 shown]
	v_accvgpr_read_b32 v4, a178
	v_accvgpr_read_b32 v5, a179
	v_add_f64 v[252:253], v[2:3], v[252:253]
	v_mul_f64 v[4:5], v[124:125], v[4:5]
	v_add_f64 v[2:3], v[252:253], v[250:251]
	v_fma_f64 v[4:5], v[122:123], v[6:7], -v[4:5]
	v_add_f64 v[2:3], v[2:3], v[4:5]
	v_mul_f64 v[4:5], v[128:129], v[140:141]
	v_fma_f64 v[4:5], v[126:127], v[144:145], -v[4:5]
	v_add_f64 v[2:3], v[2:3], v[4:5]
	v_accvgpr_read_b32 v4, a182
	v_accvgpr_read_b32 v5, a183
	;; [unrolled: 1-line block ×3, first 2 shown]
	v_mul_f64 v[4:5], v[132:133], v[4:5]
	v_accvgpr_read_b32 v7, a185
	v_fma_f64 v[4:5], v[130:131], v[6:7], -v[4:5]
	v_add_f64 v[2:3], v[2:3], v[4:5]
	v_mul_f64 v[4:5], v[136:137], v[148:149]
	v_fma_f64 v[4:5], v[134:135], v[152:153], -v[4:5]
	v_add_f64 v[2:3], v[2:3], v[4:5]
	v_accvgpr_read_b32 v4, a186
	v_accvgpr_read_b32 v5, a187
	;; [unrolled: 1-line block ×3, first 2 shown]
	v_mul_f64 v[4:5], v[20:21], v[4:5]
	v_accvgpr_read_b32 v7, a189
	v_fma_f64 v[4:5], v[18:19], v[6:7], -v[4:5]
	v_add_f64 v[2:3], v[2:3], v[4:5]
	v_mul_f64 v[4:5], v[24:25], v[156:157]
	v_fma_f64 v[4:5], v[22:23], v[158:159], -v[4:5]
	v_add_f64 v[2:3], v[2:3], v[4:5]
	v_accvgpr_read_b32 v4, a190
	v_accvgpr_read_b32 v5, a191
	v_mul_f64 v[4:5], v[28:29], v[4:5]
	v_fma_f64 v[4:5], v[26:27], v[16:17], -v[4:5]
	v_add_f64 v[2:3], v[2:3], v[4:5]
	v_mul_f64 v[4:5], v[32:33], v[160:161]
	v_fma_f64 v[4:5], v[30:31], v[162:163], -v[4:5]
	v_add_f64 v[2:3], v[2:3], v[4:5]
	;; [unrolled: 3-line block ×12, first 2 shown]
	v_mul_f64 v[4:5], v[76:77], v[182:183]
	v_fma_f64 v[4:5], v[74:75], v[190:191], -v[4:5]
	s_waitcnt vmcnt(10) lgkmcnt(1)
	v_mul_f64 v[116:117], v[106:107], v[0:1]
	v_add_f64 v[2:3], v[2:3], v[4:5]
	s_waitcnt vmcnt(8)
	v_fmac_f64_e32 v[116:117], v[108:109], v[62:63]
	v_add_f64 v[114:115], v[114:115], v[116:117]
	s_waitcnt vmcnt(6) lgkmcnt(0)
	v_mul_f64 v[116:117], v[118:119], v[236:237]
	s_waitcnt vmcnt(4)
	v_fmac_f64_e32 v[116:117], v[120:121], v[238:239]
	v_add_f64 v[172:173], v[114:115], v[116:117]
	ds_read_b128 v[114:117], v228 offset:1872
	v_mul_f64 v[4:5], v[80:81], v[196:197]
	v_fma_f64 v[4:5], v[78:79], v[198:199], -v[4:5]
	v_add_f64 v[2:3], v[2:3], v[4:5]
	v_mul_f64 v[4:5], v[84:85], v[200:201]
	s_waitcnt vmcnt(2) lgkmcnt(0)
	v_mul_f64 v[248:249], v[114:115], v[242:243]
	s_waitcnt vmcnt(0)
	v_fmac_f64_e32 v[248:249], v[116:117], v[244:245]
	v_add_f64 v[172:173], v[172:173], v[248:249]
	buffer_load_dword v248, off, s[0:3], 0 offset:224
	buffer_load_dword v249, off, s[0:3], 0 offset:228
	;; [unrolled: 1-line block ×4, first 2 shown]
	v_fma_f64 v[4:5], v[82:83], v[204:205], -v[4:5]
	v_add_f64 v[2:3], v[2:3], v[4:5]
	v_mul_f64 v[4:5], v[88:89], v[202:203]
	v_fma_f64 v[4:5], v[86:87], v[206:207], -v[4:5]
	v_add_f64 v[2:3], v[2:3], v[4:5]
	v_mul_f64 v[4:5], v[92:93], v[210:211]
	;; [unrolled: 3-line block ×5, first 2 shown]
	v_fma_f64 v[4:5], v[102:103], v[222:223], -v[4:5]
	v_mul_f64 v[0:1], v[108:109], v[0:1]
	v_add_f64 v[2:3], v[2:3], v[4:5]
	v_fma_f64 v[0:1], v[106:107], v[62:63], -v[0:1]
	v_add_f64 v[0:1], v[2:3], v[0:1]
	v_mul_f64 v[2:3], v[120:121], v[236:237]
	v_fma_f64 v[2:3], v[118:119], v[238:239], -v[2:3]
	v_add_f64 v[0:1], v[0:1], v[2:3]
	v_mul_f64 v[2:3], v[116:117], v[242:243]
	v_fma_f64 v[2:3], v[114:115], v[244:245], -v[2:3]
	v_add_f64 v[0:1], v[0:1], v[2:3]
	s_waitcnt vmcnt(2)
	v_add_f64 v[0:1], v[248:249], -v[0:1]
	s_waitcnt vmcnt(0)
	v_add_f64 v[2:3], v[246:247], -v[172:173]
	buffer_store_dword v1, off, s[0:3], 0 offset:228
	buffer_store_dword v0, off, s[0:3], 0 offset:224
	;; [unrolled: 1-line block ×4, first 2 shown]
	s_and_saveexec_b64 s[4:5], vcc
	s_cbranch_execz .LBB122_343
; %bb.342:
	v_accvgpr_read_b32 v0, a164
	buffer_load_dword v2, v0, s[0:3], 0 offen
	buffer_load_dword v3, v0, s[0:3], 0 offen offset:4
	buffer_load_dword v4, v0, s[0:3], 0 offen offset:8
	;; [unrolled: 1-line block ×3, first 2 shown]
	v_accvgpr_read_b32 v0, a177
	buffer_store_dword v228, off, s[0:3], 0 offset:208
	buffer_store_dword v228, off, s[0:3], 0 offset:212
	;; [unrolled: 1-line block ×4, first 2 shown]
	s_waitcnt vmcnt(4)
	ds_write_b128 v0, v[2:5]
.LBB122_343:
	s_or_b64 exec, exec, s[4:5]
	s_waitcnt lgkmcnt(0)
	; wave barrier
	s_waitcnt lgkmcnt(0)
	buffer_load_dword v60, off, s[0:3], 0 offset:224
	buffer_load_dword v61, off, s[0:3], 0 offset:228
	;; [unrolled: 1-line block ×42, first 2 shown]
	ds_read_b128 v[114:117], v228 offset:1152
	ds_read_b128 v[182:185], v228 offset:1168
	;; [unrolled: 1-line block ×10, first 2 shown]
	buffer_load_dword v1, off, s[0:3], 0 offset:372
	buffer_load_dword v0, off, s[0:3], 0 offset:368
	ds_read_b128 v[62:65], v228 offset:1312
	buffer_load_dword v101, off, s[0:3], 0 offset:428
	buffer_load_dword v100, off, s[0:3], 0 offset:424
	;; [unrolled: 1-line block ×6, first 2 shown]
	s_waitcnt vmcnt(46) lgkmcnt(10)
	v_mul_f64 v[2:3], v[114:115], v[66:67]
	v_fmac_f64_e32 v[2:3], v[116:117], v[60:61]
	v_add_f64 v[2:3], v[2:3], 0
	s_waitcnt vmcnt(42) lgkmcnt(9)
	v_mul_f64 v[4:5], v[182:183], v[58:59]
	v_fmac_f64_e32 v[4:5], v[184:185], v[50:51]
	v_add_f64 v[2:3], v[2:3], v[4:5]
	buffer_load_dword v119, off, s[0:3], 0 offset:404
	buffer_load_dword v118, off, s[0:3], 0 offset:400
	;; [unrolled: 1-line block ×20, first 2 shown]
	s_waitcnt vmcnt(60) lgkmcnt(8)
	v_mul_f64 v[6:7], v[186:187], v[52:53]
	s_waitcnt vmcnt(58) lgkmcnt(6)
	v_mul_f64 v[10:11], v[200:201], v[68:69]
	s_waitcnt vmcnt(56)
	v_fmac_f64_e32 v[10:11], v[202:203], v[70:71]
	v_mul_f64 v[58:59], v[184:185], v[58:59]
	s_waitcnt vmcnt(54)
	v_mul_f64 v[8:9], v[194:195], v[72:73]
	v_fma_f64 v[218:219], v[182:183], v[50:51], -v[58:59]
	s_waitcnt vmcnt(52) lgkmcnt(4)
	v_mul_f64 v[14:15], v[208:209], v[216:217]
	v_mul_f64 v[50:51], v[188:189], v[52:53]
	s_waitcnt vmcnt(50)
	v_fmac_f64_e32 v[14:15], v[210:211], v[76:77]
	s_waitcnt vmcnt(48)
	v_mul_f64 v[12:13], v[204:205], v[78:79]
	s_waitcnt vmcnt(46) lgkmcnt(2)
	v_mul_f64 v[18:19], v[220:221], v[82:83]
	s_waitcnt vmcnt(43)
	v_mul_f64 v[16:17], v[212:213], v[86:87]
	s_waitcnt vmcnt(41) lgkmcnt(1)
	v_mul_f64 v[20:21], v[54:55], v[80:81]
	s_waitcnt vmcnt(39)
	v_fmac_f64_e32 v[6:7], v[188:189], v[96:97]
	v_add_f64 v[2:3], v[2:3], v[6:7]
	s_waitcnt vmcnt(37)
	v_fmac_f64_e32 v[8:9], v[196:197], v[92:93]
	v_add_f64 v[2:3], v[2:3], v[8:9]
	;; [unrolled: 3-line block ×3, first 2 shown]
	v_add_f64 v[2:3], v[2:3], v[12:13]
	s_waitcnt vmcnt(33)
	v_fmac_f64_e32 v[16:17], v[214:215], v[88:89]
	v_add_f64 v[2:3], v[2:3], v[14:15]
	s_waitcnt vmcnt(32)
	v_fmac_f64_e32 v[18:19], v[222:223], v[84:85]
	v_add_f64 v[2:3], v[2:3], v[16:17]
	v_add_f64 v[2:3], v[2:3], v[18:19]
	v_fma_f64 v[58:59], v[186:187], v[96:97], -v[50:51]
	s_waitcnt vmcnt(26)
	v_fmac_f64_e32 v[20:21], v[56:57], v[0:1]
	v_add_f64 v[2:3], v[2:3], v[20:21]
	v_mul_f64 v[50:51], v[196:197], v[72:73]
	v_mul_f64 v[56:57], v[56:57], v[80:81]
	v_fma_f64 v[0:1], v[54:55], v[0:1], -v[56:57]
	s_waitcnt vmcnt(0)
	v_pk_mov_b32 v[18:19], v[4:5], v[4:5] op_sel:[0,1]
	buffer_load_dword v5, off, s[0:3], 0 offset:516
	buffer_load_dword v4, off, s[0:3], 0 offset:512
	v_accvgpr_write_b32 a181, v19
	v_accvgpr_write_b32 a180, v18
	s_waitcnt vmcnt(0)
	v_pk_mov_b32 v[22:23], v[4:5], v[4:5] op_sel:[0,1]
	buffer_load_dword v5, off, s[0:3], 0 offset:508
	buffer_load_dword v4, off, s[0:3], 0 offset:504
	v_accvgpr_write_b32 a183, v23
	v_accvgpr_write_b32 a182, v22
	s_waitcnt vmcnt(0)
	v_pk_mov_b32 v[14:15], v[4:5], v[4:5] op_sel:[0,1]
	buffer_load_dword v141, off, s[0:3], 0 offset:500
	buffer_load_dword v140, off, s[0:3], 0 offset:496
	buffer_load_dword v5, off, s[0:3], 0 offset:556
	buffer_load_dword v4, off, s[0:3], 0 offset:552
	v_accvgpr_write_b32 a179, v15
	v_accvgpr_write_b32 a178, v14
	s_waitcnt vmcnt(0)
	v_pk_mov_b32 v[26:27], v[4:5], v[4:5] op_sel:[0,1]
	buffer_load_dword v5, off, s[0:3], 0 offset:548
	buffer_load_dword v4, off, s[0:3], 0 offset:544
	v_accvgpr_write_b32 a185, v27
	v_accvgpr_write_b32 a184, v26
	s_waitcnt vmcnt(0)
	v_pk_mov_b32 v[28:29], v[4:5], v[4:5] op_sel:[0,1]
	buffer_load_dword v145, off, s[0:3], 0 offset:540
	buffer_load_dword v144, off, s[0:3], 0 offset:536
	buffer_load_dword v149, off, s[0:3], 0 offset:532
	buffer_load_dword v148, off, s[0:3], 0 offset:528
	buffer_load_dword v5, off, s[0:3], 0 offset:588
	buffer_load_dword v4, off, s[0:3], 0 offset:584
	v_accvgpr_write_b32 a187, v29
	v_accvgpr_write_b32 a186, v28
	s_waitcnt vmcnt(0)
	v_pk_mov_b32 v[34:35], v[4:5], v[4:5] op_sel:[0,1]
	buffer_load_dword v5, off, s[0:3], 0 offset:580
	buffer_load_dword v4, off, s[0:3], 0 offset:576
	v_accvgpr_write_b32 a189, v35
	v_accvgpr_write_b32 a188, v34
	s_waitcnt vmcnt(0)
	v_pk_mov_b32 v[36:37], v[4:5], v[4:5] op_sel:[0,1]
	buffer_load_dword v153, off, s[0:3], 0 offset:572
	buffer_load_dword v152, off, s[0:3], 0 offset:568
	;; [unrolled: 16-line block ×3, first 2 shown]
	buffer_load_dword v163, off, s[0:3], 0 offset:596
	buffer_load_dword v162, off, s[0:3], 0 offset:592
	;; [unrolled: 1-line block ×26, first 2 shown]
	ds_read_b128 v[224:227], v228 offset:1328
	ds_read_b128 v[230:233], v228 offset:1344
	;; [unrolled: 1-line block ×10, first 2 shown]
	s_waitcnt lgkmcnt(4)
	v_mul_f64 v[8:9], v[246:247], v[106:107]
	v_fmac_f64_e32 v[8:9], v[248:249], v[108:109]
	s_waitcnt lgkmcnt(3)
	v_mul_f64 v[12:13], v[136:137], v[14:15]
	v_fmac_f64_e32 v[12:13], v[138:139], v[140:141]
	s_waitcnt lgkmcnt(2)
	v_mul_f64 v[16:17], v[132:133], v[18:19]
	v_fmac_f64_e32 v[16:17], v[134:135], v[22:23]
	s_waitcnt lgkmcnt(1)
	v_mul_f64 v[20:21], v[128:129], v[144:145]
	v_fmac_f64_e32 v[20:21], v[130:131], v[148:149]
	ds_read_b128 v[120:123], v228 offset:1488
	s_waitcnt lgkmcnt(1)
	v_mul_f64 v[24:25], v[124:125], v[26:27]
	v_fmac_f64_e32 v[24:25], v[126:127], v[28:29]
	v_accvgpr_write_b32 a195, v45
	v_accvgpr_write_b32 a194, v44
	s_waitcnt vmcnt(22)
	v_pk_mov_b32 v[176:177], v[4:5], v[4:5] op_sel:[0,1]
	v_mul_f64 v[4:5], v[62:63], v[94:95]
	v_fmac_f64_e32 v[4:5], v[64:65], v[98:99]
	v_add_f64 v[2:3], v[2:3], v[4:5]
	v_mul_f64 v[4:5], v[224:225], v[104:105]
	v_fmac_f64_e32 v[4:5], v[226:227], v[118:119]
	v_add_f64 v[2:3], v[2:3], v[4:5]
	;; [unrolled: 3-line block ×6, first 2 shown]
	v_add_f64 v[10:11], v[6:7], v[8:9]
	v_add_f64 v[14:15], v[10:11], v[12:13]
	;; [unrolled: 1-line block ×5, first 2 shown]
	ds_read_b128 v[22:25], v228 offset:1504
	s_waitcnt lgkmcnt(1)
	v_mul_f64 v[28:29], v[120:121], v[152:153]
	v_fmac_f64_e32 v[28:29], v[122:123], v[156:157]
	v_add_f64 v[30:31], v[26:27], v[28:29]
	ds_read_b128 v[26:29], v228 offset:1520
	s_waitcnt lgkmcnt(1)
	v_mul_f64 v[32:33], v[22:23], v[34:35]
	v_fmac_f64_e32 v[32:33], v[24:25], v[36:37]
	v_add_f64 v[34:35], v[30:31], v[32:33]
	;; [unrolled: 5-line block ×4, first 2 shown]
	ds_read_b128 v[38:41], v228 offset:1568
	ds_read_b128 v[42:45], v228 offset:1584
	s_waitcnt vmcnt(18) lgkmcnt(2)
	v_mul_f64 v[48:49], v[34:35], v[164:165]
	s_waitcnt vmcnt(16)
	v_fmac_f64_e32 v[48:49], v[36:37], v[166:167]
	v_add_f64 v[46:47], v[46:47], v[48:49]
	s_waitcnt lgkmcnt(1)
	v_mul_f64 v[48:49], v[38:39], v[176:177]
	v_fmac_f64_e32 v[48:49], v[40:41], v[142:143]
	v_add_f64 v[46:47], v[46:47], v[48:49]
	s_waitcnt vmcnt(10) lgkmcnt(0)
	v_mul_f64 v[48:49], v[42:43], v[168:169]
	v_accvgpr_write_b32 a197, v177
	s_waitcnt vmcnt(8)
	v_fmac_f64_e32 v[48:49], v[44:45], v[170:171]
	v_accvgpr_write_b32 a196, v176
	v_add_f64 v[2:3], v[46:47], v[48:49]
	ds_read_b128 v[46:49], v228 offset:1600
	buffer_load_dword v177, off, s[0:3], 0 offset:732
	buffer_load_dword v176, off, s[0:3], 0 offset:728
	;; [unrolled: 1-line block ×16, first 2 shown]
	v_mul_f64 v[4:5], v[116:117], v[66:67]
	v_fma_f64 v[14:15], v[114:115], v[60:61], -v[4:5]
	v_fma_f64 v[60:61], v[194:195], v[92:93], -v[50:51]
	buffer_load_dword v184, off, s[0:3], 0 offset:808
	buffer_load_dword v197, off, s[0:3], 0 offset:796
	buffer_load_dword v196, off, s[0:3], 0 offset:792
	buffer_load_dword v199, off, s[0:3], 0 offset:788
	buffer_load_dword v198, off, s[0:3], 0 offset:784
	buffer_load_dword v194, off, s[0:3], 0 offset:800
	buffer_load_dword v185, off, s[0:3], 0 offset:812
	buffer_load_dword v195, off, s[0:3], 0 offset:804
	v_mul_f64 v[50:51], v[202:203], v[68:69]
	v_fma_f64 v[10:11], v[200:201], v[70:71], -v[50:51]
	buffer_load_dword v201, off, s[0:3], 0 offset:828
	buffer_load_dword v200, off, s[0:3], 0 offset:824
	;; [unrolled: 1-line block ×4, first 2 shown]
	v_mul_f64 v[50:51], v[210:211], v[216:217]
	v_mul_f64 v[8:9], v[206:207], v[78:79]
	v_fma_f64 v[6:7], v[208:209], v[76:77], -v[50:51]
	buffer_load_dword v206, off, s[0:3], 0 offset:840
	buffer_load_dword v208, off, s[0:3], 0 offset:832
	;; [unrolled: 1-line block ×4, first 2 shown]
	v_mul_f64 v[12:13], v[214:215], v[86:87]
	v_fma_f64 v[8:9], v[204:205], v[90:91], -v[8:9]
	v_fma_f64 v[12:13], v[212:213], v[88:89], -v[12:13]
	buffer_load_dword v205, off, s[0:3], 0 offset:876
	buffer_load_dword v211, off, s[0:3], 0 offset:860
	;; [unrolled: 1-line block ×12, first 2 shown]
	v_mul_f64 v[66:67], v[222:223], v[82:83]
	ds_read_b128 v[50:53], v228 offset:1616
	v_fma_f64 v[4:5], v[220:221], v[84:85], -v[66:67]
	buffer_load_dword v220, off, s[0:3], 0 offset:904
	buffer_load_dword v222, off, s[0:3], 0 offset:896
	;; [unrolled: 1-line block ×4, first 2 shown]
	ds_read_b128 v[54:57], v228 offset:1632
	s_waitcnt lgkmcnt(2)
	v_mul_f64 v[16:17], v[46:47], v[146:147]
	v_fmac_f64_e32 v[16:17], v[48:49], v[150:151]
	v_add_f64 v[2:3], v[2:3], v[16:17]
	s_waitcnt vmcnt(50) lgkmcnt(1)
	v_mul_f64 v[16:17], v[50:51], v[172:173]
	s_waitcnt vmcnt(48)
	v_fmac_f64_e32 v[16:17], v[52:53], v[174:175]
	v_mul_f64 v[20:21], v[64:65], v[94:95]
	v_add_f64 v[2:3], v[2:3], v[16:17]
	v_fma_f64 v[20:21], v[62:63], v[98:99], -v[20:21]
	ds_read_b128 v[62:65], v228 offset:1664
	s_waitcnt lgkmcnt(1)
	v_mul_f64 v[16:17], v[54:55], v[154:155]
	v_fmac_f64_e32 v[16:17], v[56:57], v[158:159]
	v_add_f64 v[2:3], v[2:3], v[16:17]
	ds_read_b128 v[16:19], v228 offset:1648
	v_mul_f64 v[86:87], v[240:241], v[110:111]
	v_fma_f64 v[240:241], v[238:239], v[112:113], -v[86:87]
	ds_read_b128 v[86:89], v228 offset:1760
	v_mul_f64 v[78:79], v[232:233], v[100:101]
	v_add_f64 v[14:15], v[14:15], 0
	v_add_f64 v[14:15], v[14:15], v[218:219]
	;; [unrolled: 1-line block ×11, first 2 shown]
	v_accvgpr_read_b32 v4, a178
	v_accvgpr_read_b32 v5, a179
	v_mul_f64 v[4:5], v[138:139], v[4:5]
	v_fma_f64 v[4:5], v[136:137], v[140:141], -v[4:5]
	v_accvgpr_read_b32 v6, a182
	v_accvgpr_read_b32 v7, a183
	ds_read_b128 v[94:97], v228 offset:1792
	ds_read_b128 v[98:101], v228 offset:1808
	s_waitcnt vmcnt(46) lgkmcnt(3)
	v_mul_f64 v[66:67], v[16:17], v[176:177]
	s_waitcnt vmcnt(44)
	v_fmac_f64_e32 v[66:67], v[18:19], v[180:181]
	v_add_f64 v[2:3], v[2:3], v[66:67]
	v_mul_f64 v[66:67], v[226:227], v[104:105]
	v_fma_f64 v[118:119], v[224:225], v[118:119], -v[66:67]
	ds_read_b128 v[66:69], v228 offset:1680
	s_waitcnt vmcnt(41)
	v_mul_f64 v[70:71], v[62:63], v[178:179]
	s_waitcnt vmcnt(40)
	v_fmac_f64_e32 v[70:71], v[64:65], v[182:183]
	v_add_f64 v[2:3], v[2:3], v[70:71]
	ds_read_b128 v[70:73], v228 offset:1696
	v_fma_f64 v[224:225], v[230:231], v[102:103], -v[78:79]
	s_waitcnt vmcnt(38) lgkmcnt(1)
	v_mul_f64 v[78:79], v[66:67], v[186:187]
	s_waitcnt vmcnt(36)
	v_fmac_f64_e32 v[78:79], v[68:69], v[190:191]
	ds_read_b128 v[230:233], v228 offset:1712
	v_add_f64 v[2:3], v[2:3], v[78:79]
	v_mul_f64 v[78:79], v[236:237], v[250:251]
	v_fma_f64 v[234:235], v[234:235], v[252:253], -v[78:79]
	ds_read_b128 v[78:81], v228 offset:1728
	s_waitcnt vmcnt(34) lgkmcnt(2)
	v_mul_f64 v[82:83], v[70:71], v[188:189]
	s_waitcnt vmcnt(32)
	v_fmac_f64_e32 v[82:83], v[72:73], v[192:193]
	v_add_f64 v[2:3], v[2:3], v[82:83]
	s_waitcnt vmcnt(29) lgkmcnt(1)
	v_mul_f64 v[82:83], v[230:231], v[196:197]
	s_waitcnt vmcnt(27)
	v_fmac_f64_e32 v[82:83], v[232:233], v[198:199]
	v_add_f64 v[2:3], v[2:3], v[82:83]
	;; [unrolled: 5-line block ×3, first 2 shown]
	ds_read_b128 v[82:85], v228 offset:1744
	ds_read_b128 v[102:105], v228 offset:1824
	v_add_f64 v[0:1], v[0:1], v[118:119]
	v_add_f64 v[0:1], v[0:1], v[224:225]
	;; [unrolled: 1-line block ×3, first 2 shown]
	s_waitcnt vmcnt(22) lgkmcnt(1)
	v_mul_f64 v[90:91], v[82:83], v[200:201]
	s_waitcnt vmcnt(20)
	v_fmac_f64_e32 v[90:91], v[84:85], v[202:203]
	v_add_f64 v[2:3], v[2:3], v[90:91]
	v_mul_f64 v[90:91], v[244:245], v[254:255]
	v_fma_f64 v[250:251], v[242:243], v[74:75], -v[90:91]
	ds_read_b128 v[90:93], v228 offset:1776
	s_waitcnt vmcnt(17)
	v_mul_f64 v[74:75], v[86:87], v[206:207]
	s_waitcnt vmcnt(16)
	v_fmac_f64_e32 v[74:75], v[88:89], v[208:209]
	v_add_f64 v[2:3], v[2:3], v[74:75]
	v_mul_f64 v[74:75], v[248:249], v[106:107]
	v_fma_f64 v[252:253], v[246:247], v[108:109], -v[74:75]
	s_waitcnt vmcnt(13) lgkmcnt(0)
	v_mul_f64 v[74:75], v[90:91], v[210:211]
	s_waitcnt vmcnt(11)
	v_fmac_f64_e32 v[74:75], v[92:93], v[216:217]
	v_add_f64 v[2:3], v[2:3], v[74:75]
	s_waitcnt vmcnt(10)
	v_mul_f64 v[74:75], v[94:95], v[204:205]
	s_waitcnt vmcnt(8)
	v_fmac_f64_e32 v[74:75], v[96:97], v[214:215]
	v_add_f64 v[2:3], v[2:3], v[74:75]
	s_waitcnt vmcnt(6)
	;; [unrolled: 5-line block ×3, first 2 shown]
	v_mul_f64 v[74:75], v[102:103], v[220:221]
	s_waitcnt vmcnt(0)
	v_fmac_f64_e32 v[74:75], v[104:105], v[222:223]
	v_add_f64 v[74:75], v[2:3], v[74:75]
	buffer_load_dword v3, off, s[0:3], 0 offset:924
	buffer_load_dword v2, off, s[0:3], 0 offset:920
	;; [unrolled: 1-line block ×4, first 2 shown]
	ds_read_b128 v[106:109], v228 offset:1840
	buffer_load_dword v236, off, s[0:3], 0 offset:936
	buffer_load_dword v237, off, s[0:3], 0 offset:940
	;; [unrolled: 1-line block ×4, first 2 shown]
	v_add_f64 v[254:255], v[0:1], v[240:241]
	v_add_f64 v[0:1], v[254:255], v[250:251]
	v_add_f64 v[0:1], v[0:1], v[252:253]
	v_add_f64 v[0:1], v[0:1], v[4:5]
	v_accvgpr_read_b32 v4, a180
	v_accvgpr_read_b32 v5, a181
	v_mul_f64 v[4:5], v[134:135], v[4:5]
	v_fma_f64 v[4:5], v[132:133], v[6:7], -v[4:5]
	v_add_f64 v[0:1], v[0:1], v[4:5]
	v_mul_f64 v[4:5], v[130:131], v[144:145]
	v_fma_f64 v[4:5], v[128:129], v[148:149], -v[4:5]
	v_add_f64 v[0:1], v[0:1], v[4:5]
	v_accvgpr_read_b32 v4, a184
	v_accvgpr_read_b32 v5, a185
	v_accvgpr_read_b32 v6, a186
	v_mul_f64 v[4:5], v[126:127], v[4:5]
	v_accvgpr_read_b32 v7, a187
	v_fma_f64 v[4:5], v[124:125], v[6:7], -v[4:5]
	v_add_f64 v[0:1], v[0:1], v[4:5]
	v_mul_f64 v[4:5], v[122:123], v[152:153]
	v_fma_f64 v[4:5], v[120:121], v[156:157], -v[4:5]
	v_add_f64 v[0:1], v[0:1], v[4:5]
	v_accvgpr_read_b32 v4, a188
	v_accvgpr_read_b32 v5, a189
	v_accvgpr_read_b32 v6, a190
	v_mul_f64 v[4:5], v[24:25], v[4:5]
	v_accvgpr_read_b32 v7, a191
	;; [unrolled: 10-line block ×3, first 2 shown]
	v_fma_f64 v[4:5], v[30:31], v[6:7], -v[4:5]
	v_add_f64 v[0:1], v[0:1], v[4:5]
	v_mul_f64 v[4:5], v[36:37], v[164:165]
	v_fma_f64 v[4:5], v[34:35], v[166:167], -v[4:5]
	v_add_f64 v[0:1], v[0:1], v[4:5]
	v_accvgpr_read_b32 v4, a196
	v_accvgpr_read_b32 v5, a197
	v_mul_f64 v[4:5], v[40:41], v[4:5]
	v_fma_f64 v[4:5], v[38:39], v[142:143], -v[4:5]
	v_add_f64 v[0:1], v[0:1], v[4:5]
	v_mul_f64 v[4:5], v[44:45], v[168:169]
	v_fma_f64 v[4:5], v[42:43], v[170:171], -v[4:5]
	v_add_f64 v[0:1], v[0:1], v[4:5]
	;; [unrolled: 3-line block ×10, first 2 shown]
	v_mul_f64 v[4:5], v[80:81], v[184:185]
	s_waitcnt vmcnt(6) lgkmcnt(0)
	v_mul_f64 v[110:111], v[106:107], v[2:3]
	v_fma_f64 v[4:5], v[78:79], v[194:195], -v[4:5]
	s_waitcnt vmcnt(4)
	v_fmac_f64_e32 v[110:111], v[108:109], v[226:227]
	v_add_f64 v[74:75], v[74:75], v[110:111]
	ds_read_b128 v[110:113], v228 offset:1856
	buffer_load_dword v243, off, s[0:3], 0 offset:956
	buffer_load_dword v242, off, s[0:3], 0 offset:952
	;; [unrolled: 1-line block ×4, first 2 shown]
	v_add_f64 v[0:1], v[0:1], v[4:5]
	v_mul_f64 v[4:5], v[84:85], v[200:201]
	v_fma_f64 v[4:5], v[82:83], v[202:203], -v[4:5]
	s_waitcnt vmcnt(6) lgkmcnt(0)
	v_mul_f64 v[114:115], v[110:111], v[236:237]
	s_waitcnt vmcnt(4)
	v_fmac_f64_e32 v[114:115], v[112:113], v[238:239]
	v_add_f64 v[74:75], v[74:75], v[114:115]
	ds_read_b128 v[114:117], v228 offset:1872
	buffer_load_dword v248, off, s[0:3], 0 offset:208
	buffer_load_dword v249, off, s[0:3], 0 offset:212
	;; [unrolled: 1-line block ×4, first 2 shown]
	v_add_f64 v[0:1], v[0:1], v[4:5]
	v_mul_f64 v[4:5], v[88:89], v[206:207]
	v_fma_f64 v[4:5], v[86:87], v[208:209], -v[4:5]
	v_add_f64 v[0:1], v[0:1], v[4:5]
	v_mul_f64 v[4:5], v[92:93], v[210:211]
	v_fma_f64 v[4:5], v[90:91], v[216:217], -v[4:5]
	v_add_f64 v[0:1], v[0:1], v[4:5]
	v_mul_f64 v[4:5], v[96:97], v[204:205]
	v_fma_f64 v[4:5], v[94:95], v[214:215], -v[4:5]
	v_add_f64 v[0:1], v[0:1], v[4:5]
	v_mul_f64 v[4:5], v[100:101], v[212:213]
	v_fma_f64 v[4:5], v[98:99], v[76:77], -v[4:5]
	v_add_f64 v[0:1], v[0:1], v[4:5]
	v_mul_f64 v[4:5], v[104:105], v[220:221]
	v_fma_f64 v[4:5], v[102:103], v[222:223], -v[4:5]
	v_mul_f64 v[2:3], v[108:109], v[2:3]
	v_add_f64 v[0:1], v[0:1], v[4:5]
	v_fma_f64 v[2:3], v[106:107], v[226:227], -v[2:3]
	v_add_f64 v[0:1], v[0:1], v[2:3]
	v_mul_f64 v[2:3], v[112:113], v[236:237]
	v_fma_f64 v[2:3], v[110:111], v[238:239], -v[2:3]
	v_add_f64 v[0:1], v[0:1], v[2:3]
	s_waitcnt vmcnt(6) lgkmcnt(0)
	v_mul_f64 v[228:229], v[114:115], v[242:243]
	v_mul_f64 v[2:3], v[116:117], v[242:243]
	s_waitcnt vmcnt(4)
	v_fmac_f64_e32 v[228:229], v[116:117], v[244:245]
	v_fma_f64 v[2:3], v[114:115], v[244:245], -v[2:3]
	v_add_f64 v[74:75], v[74:75], v[228:229]
	v_add_f64 v[0:1], v[0:1], v[2:3]
	v_accvgpr_read_b32 v229, a176
	v_cmp_lt_u32_e32 vcc, 11, v229
	s_waitcnt vmcnt(2)
	v_add_f64 v[0:1], v[248:249], -v[0:1]
	s_waitcnt vmcnt(0)
	v_add_f64 v[2:3], v[246:247], -v[74:75]
	buffer_store_dword v1, off, s[0:3], 0 offset:212
	buffer_store_dword v0, off, s[0:3], 0 offset:208
	;; [unrolled: 1-line block ×4, first 2 shown]
	s_and_saveexec_b64 s[4:5], vcc
	s_cbranch_execz .LBB122_345
; %bb.344:
	v_accvgpr_read_b32 v0, a165
	buffer_load_dword v2, v0, s[0:3], 0 offen
	buffer_load_dword v3, v0, s[0:3], 0 offen offset:4
	buffer_load_dword v4, v0, s[0:3], 0 offen offset:8
	;; [unrolled: 1-line block ×3, first 2 shown]
	v_mov_b32_e32 v0, 0
	v_accvgpr_read_b32 v1, a177
	buffer_store_dword v0, off, s[0:3], 0 offset:192
	buffer_store_dword v0, off, s[0:3], 0 offset:196
	;; [unrolled: 1-line block ×4, first 2 shown]
	s_waitcnt vmcnt(4)
	ds_write_b128 v1, v[2:5]
.LBB122_345:
	s_or_b64 exec, exec, s[4:5]
	s_waitcnt lgkmcnt(0)
	; wave barrier
	s_waitcnt lgkmcnt(0)
	buffer_load_dword v48, off, s[0:3], 0 offset:208
	buffer_load_dword v49, off, s[0:3], 0 offset:212
	;; [unrolled: 1-line block ×42, first 2 shown]
	v_mov_b32_e32 v228, 0
	buffer_load_dword v99, off, s[0:3], 0 offset:356
	buffer_load_dword v98, off, s[0:3], 0 offset:352
	;; [unrolled: 1-line block ×7, first 2 shown]
	ds_read_b128 v[112:115], v228 offset:1136
	ds_read_b128 v[116:119], v228 offset:1152
	ds_read_b128 v[180:183], v228 offset:1168
	ds_read_b128 v[184:187], v228 offset:1184
	ds_read_b128 v[190:193], v228 offset:1200
	ds_read_b128 v[196:199], v228 offset:1216
	ds_read_b128 v[200:203], v228 offset:1232
	ds_read_b128 v[204:207], v228 offset:1248
	ds_read_b128 v[214:217], v228 offset:1264
	ds_read_b128 v[220:223], v228 offset:1280
	ds_read_b128 v[58:61], v228 offset:1296
	v_cmp_lt_u32_e32 vcc, 10, v229
	s_waitcnt vmcnt(45) lgkmcnt(10)
	v_mul_f64 v[0:1], v[112:113], v[52:53]
	v_fmac_f64_e32 v[0:1], v[114:115], v[48:49]
	v_add_f64 v[0:1], v[0:1], 0
	s_waitcnt vmcnt(41) lgkmcnt(9)
	v_mul_f64 v[2:3], v[116:117], v[54:55]
	v_fmac_f64_e32 v[2:3], v[118:119], v[50:51]
	s_waitcnt vmcnt(39) lgkmcnt(8)
	v_mul_f64 v[4:5], v[180:181], v[46:47]
	v_add_f64 v[0:1], v[0:1], v[2:3]
	s_waitcnt vmcnt(37) lgkmcnt(6)
	v_mul_f64 v[8:9], v[190:191], v[62:63]
	v_mul_f64 v[46:47], v[182:183], v[46:47]
	s_waitcnt vmcnt(35)
	v_fmac_f64_e32 v[8:9], v[192:193], v[56:57]
	s_waitcnt vmcnt(33)
	v_mul_f64 v[6:7], v[184:185], v[64:65]
	s_waitcnt vmcnt(31) lgkmcnt(4)
	v_mul_f64 v[12:13], v[200:201], v[66:67]
	s_waitcnt vmcnt(29)
	v_fmac_f64_e32 v[12:13], v[202:203], v[68:69]
	s_waitcnt vmcnt(27)
	v_mul_f64 v[10:11], v[196:197], v[208:209]
	s_waitcnt vmcnt(25) lgkmcnt(2)
	v_mul_f64 v[16:17], v[214:215], v[76:77]
	s_waitcnt vmcnt(22)
	v_mul_f64 v[14:15], v[204:205], v[78:79]
	s_waitcnt vmcnt(20) lgkmcnt(1)
	v_mul_f64 v[18:19], v[220:221], v[72:73]
	s_waitcnt vmcnt(18)
	v_fmac_f64_e32 v[4:5], v[182:183], v[90:91]
	v_add_f64 v[0:1], v[0:1], v[4:5]
	s_waitcnt vmcnt(16)
	v_fmac_f64_e32 v[6:7], v[186:187], v[88:89]
	v_add_f64 v[0:1], v[0:1], v[6:7]
	;; [unrolled: 3-line block ×3, first 2 shown]
	v_add_f64 v[0:1], v[0:1], v[10:11]
	s_waitcnt vmcnt(12)
	v_fmac_f64_e32 v[14:15], v[206:207], v[80:81]
	v_add_f64 v[0:1], v[0:1], v[12:13]
	s_waitcnt vmcnt(11)
	v_fmac_f64_e32 v[16:17], v[216:217], v[74:75]
	v_add_f64 v[0:1], v[0:1], v[14:15]
	v_add_f64 v[2:3], v[0:1], v[16:17]
	buffer_load_dword v96, off, s[0:3], 0 offset:392
	buffer_load_dword v255, off, s[0:3], 0 offset:388
	;; [unrolled: 1-line block ×21, first 2 shown]
	s_waitcnt vmcnt(26)
	v_fmac_f64_e32 v[18:19], v[222:223], v[98:99]
	v_add_f64 v[2:3], v[2:3], v[18:19]
	v_fma_f64 v[90:91], v[180:181], v[90:91], -v[46:47]
	v_mul_f64 v[46:47], v[186:187], v[64:65]
	v_fma_f64 v[88:89], v[184:185], v[88:89], -v[46:47]
	v_mul_f64 v[46:47], v[192:193], v[62:63]
	s_waitcnt vmcnt(0)
	v_pk_mov_b32 v[8:9], v[4:5], v[4:5] op_sel:[0,1]
	buffer_load_dword v5, off, s[0:3], 0 offset:500
	buffer_load_dword v4, off, s[0:3], 0 offset:496
	v_accvgpr_write_b32 a179, v9
	v_accvgpr_write_b32 a178, v8
	s_waitcnt vmcnt(0)
	v_pk_mov_b32 v[12:13], v[4:5], v[4:5] op_sel:[0,1]
	buffer_load_dword v105, off, s[0:3], 0 offset:492
	buffer_load_dword v104, off, s[0:3], 0 offset:488
	buffer_load_dword v107, off, s[0:3], 0 offset:484
	buffer_load_dword v106, off, s[0:3], 0 offset:480
	buffer_load_dword v5, off, s[0:3], 0 offset:540
	buffer_load_dword v4, off, s[0:3], 0 offset:536
	v_accvgpr_write_b32 a181, v13
	v_accvgpr_write_b32 a180, v12
	s_waitcnt vmcnt(0)
	v_pk_mov_b32 v[16:17], v[4:5], v[4:5] op_sel:[0,1]
	buffer_load_dword v5, off, s[0:3], 0 offset:532
	buffer_load_dword v4, off, s[0:3], 0 offset:528
	v_accvgpr_write_b32 a183, v17
	v_accvgpr_write_b32 a182, v16
	s_waitcnt vmcnt(0)
	v_pk_mov_b32 v[22:23], v[4:5], v[4:5] op_sel:[0,1]
	buffer_load_dword v141, off, s[0:3], 0 offset:524
	buffer_load_dword v140, off, s[0:3], 0 offset:520
	buffer_load_dword v145, off, s[0:3], 0 offset:516
	buffer_load_dword v144, off, s[0:3], 0 offset:512
	buffer_load_dword v5, off, s[0:3], 0 offset:572
	buffer_load_dword v4, off, s[0:3], 0 offset:568
	v_accvgpr_write_b32 a185, v23
	v_accvgpr_write_b32 a184, v22
	;; [unrolled: 16-line block ×3, first 2 shown]
	s_waitcnt vmcnt(0)
	v_pk_mov_b32 v[36:37], v[4:5], v[4:5] op_sel:[0,1]
	buffer_load_dword v5, off, s[0:3], 0 offset:596
	buffer_load_dword v4, off, s[0:3], 0 offset:592
	;; [unrolled: 1-line block ×30, first 2 shown]
	ds_read_b128 v[224:227], v228 offset:1312
	ds_read_b128 v[230:233], v228 offset:1328
	;; [unrolled: 1-line block ×12, first 2 shown]
	s_waitcnt lgkmcnt(4)
	v_mul_f64 v[10:11], v[120:121], v[8:9]
	v_fmac_f64_e32 v[10:11], v[122:123], v[12:13]
	s_waitcnt lgkmcnt(3)
	v_mul_f64 v[14:15], v[124:125], v[140:141]
	v_fmac_f64_e32 v[14:15], v[126:127], v[144:145]
	;; [unrolled: 3-line block ×5, first 2 shown]
	v_accvgpr_write_b32 a191, v37
	v_accvgpr_write_b32 a190, v36
	s_waitcnt vmcnt(28)
	v_accvgpr_write_b32 a193, v5
	v_accvgpr_write_b32 a192, v4
	s_waitcnt vmcnt(20)
	v_pk_mov_b32 v[44:45], v[6:7], v[6:7] op_sel:[0,1]
	v_mul_f64 v[6:7], v[58:59], v[84:85]
	v_fmac_f64_e32 v[6:7], v[60:61], v[86:87]
	v_add_f64 v[2:3], v[2:3], v[6:7]
	v_mul_f64 v[6:7], v[224:225], v[96:97]
	v_fmac_f64_e32 v[6:7], v[226:227], v[254:255]
	v_add_f64 v[2:3], v[2:3], v[6:7]
	;; [unrolled: 3-line block ×8, first 2 shown]
	v_add_f64 v[2:3], v[2:3], v[10:11]
	v_add_f64 v[2:3], v[2:3], v[14:15]
	;; [unrolled: 1-line block ×4, first 2 shown]
	ds_read_b128 v[22:25], v228 offset:1504
	v_add_f64 v[2:3], v[2:3], v[26:27]
	ds_read_b128 v[26:29], v228 offset:1520
	v_accvgpr_write_b32 a195, v45
	v_accvgpr_write_b32 a194, v44
	s_waitcnt lgkmcnt(1)
	v_mul_f64 v[30:31], v[22:23], v[156:157]
	v_fmac_f64_e32 v[30:31], v[24:25], v[158:159]
	s_waitcnt lgkmcnt(0)
	v_mul_f64 v[34:35], v[26:27], v[36:37]
	v_add_f64 v[2:3], v[2:3], v[30:31]
	ds_read_b128 v[30:33], v228 offset:1536
	v_fmac_f64_e32 v[34:35], v[28:29], v[4:5]
	v_add_f64 v[2:3], v[2:3], v[34:35]
	ds_read_b128 v[34:37], v228 offset:1552
	v_mul_f64 v[6:7], v[118:119], v[54:55]
	s_waitcnt vmcnt(18) lgkmcnt(1)
	v_mul_f64 v[38:39], v[30:31], v[160:161]
	s_waitcnt vmcnt(16)
	v_fmac_f64_e32 v[38:39], v[32:33], v[162:163]
	v_add_f64 v[2:3], v[2:3], v[38:39]
	s_waitcnt lgkmcnt(0)
	v_mul_f64 v[42:43], v[34:35], v[20:21]
	v_fmac_f64_e32 v[42:43], v[36:37], v[44:45]
	ds_read_b128 v[38:41], v228 offset:1568
	v_add_f64 v[2:3], v[2:3], v[42:43]
	ds_read_b128 v[42:45], v228 offset:1584
	buffer_load_dword v19, off, s[0:3], 0 offset:716
	buffer_load_dword v18, off, s[0:3], 0 offset:712
	;; [unrolled: 1-line block ×16, first 2 shown]
	v_fma_f64 v[14:15], v[190:191], v[56:57], -v[46:47]
	buffer_load_dword v182, off, s[0:3], 0 offset:792
	buffer_load_dword v193, off, s[0:3], 0 offset:780
	;; [unrolled: 1-line block ×8, first 2 shown]
	v_mul_f64 v[4:5], v[114:115], v[52:53]
	v_fma_f64 v[16:17], v[112:113], v[48:49], -v[4:5]
	v_fma_f64 v[112:113], v[116:117], v[50:51], -v[6:7]
	v_mul_f64 v[50:51], v[198:199], v[208:209]
	ds_read_b128 v[46:49], v228 offset:1600
	v_fma_f64 v[12:13], v[196:197], v[82:83], -v[50:51]
	buffer_load_dword v197, off, s[0:3], 0 offset:812
	buffer_load_dword v196, off, s[0:3], 0 offset:808
	;; [unrolled: 1-line block ×4, first 2 shown]
	v_mul_f64 v[50:51], v[202:203], v[66:67]
	v_fma_f64 v[10:11], v[200:201], v[68:69], -v[50:51]
	buffer_load_dword v200, off, s[0:3], 0 offset:824
	buffer_load_dword v202, off, s[0:3], 0 offset:816
	;; [unrolled: 1-line block ×4, first 2 shown]
	v_mul_f64 v[50:51], v[206:207], v[78:79]
	buffer_load_dword v207, off, s[0:3], 0 offset:844
	buffer_load_dword v206, off, s[0:3], 0 offset:840
	;; [unrolled: 1-line block ×8, first 2 shown]
	s_waitcnt vmcnt(50) lgkmcnt(2)
	v_mul_f64 v[52:53], v[38:39], v[164:165]
	v_fma_f64 v[8:9], v[204:205], v[80:81], -v[50:51]
	v_mul_f64 v[50:51], v[216:217], v[76:77]
	s_waitcnt vmcnt(48)
	v_fmac_f64_e32 v[52:53], v[40:41], v[166:167]
	v_fma_f64 v[6:7], v[214:215], v[74:75], -v[50:51]
	v_mul_f64 v[50:51], v[222:223], v[72:73]
	buffer_load_dword v204, off, s[0:3], 0 offset:888
	buffer_load_dword v217, off, s[0:3], 0 offset:876
	;; [unrolled: 1-line block ×8, first 2 shown]
	v_add_f64 v[2:3], v[2:3], v[52:53]
	v_fma_f64 v[220:221], v[220:221], v[98:99], -v[50:51]
	ds_read_b128 v[50:53], v228 offset:1616
	s_waitcnt lgkmcnt(2)
	v_mul_f64 v[54:55], v[42:43], v[142:143]
	v_fmac_f64_e32 v[54:55], v[44:45], v[146:147]
	v_add_f64 v[2:3], v[2:3], v[54:55]
	s_waitcnt vmcnt(50) lgkmcnt(1)
	v_mul_f64 v[54:55], v[46:47], v[168:169]
	s_waitcnt vmcnt(48)
	v_fmac_f64_e32 v[54:55], v[48:49], v[170:171]
	v_mul_f64 v[60:61], v[60:61], v[84:85]
	v_add_f64 v[2:3], v[2:3], v[54:55]
	v_fma_f64 v[86:87], v[58:59], v[86:87], -v[60:61]
	ds_read_b128 v[58:61], v228 offset:1648
	s_waitcnt lgkmcnt(1)
	v_mul_f64 v[54:55], v[50:51], v[150:151]
	v_fmac_f64_e32 v[54:55], v[52:53], v[154:155]
	v_add_f64 v[2:3], v[2:3], v[54:55]
	ds_read_b128 v[54:57], v228 offset:1632
	v_mul_f64 v[72:73], v[232:233], v[92:93]
	v_fma_f64 v[92:93], v[230:231], v[94:95], -v[72:73]
	ds_read_b128 v[230:233], v228 offset:1696
	v_mul_f64 v[74:75], v[236:237], v[172:173]
	v_fma_f64 v[234:235], v[234:235], v[174:175], -v[74:75]
	ds_read_b128 v[74:77], v228 offset:1712
	ds_read_b128 v[78:81], v228 offset:1728
	;; [unrolled: 1-line block ×4, first 2 shown]
	v_mul_f64 v[0:1], v[244:245], v[0:1]
	v_fma_f64 v[0:1], v[242:243], v[70:71], -v[0:1]
	v_mul_f64 v[94:95], v[248:249], v[100:101]
	v_fma_f64 v[246:247], v[246:247], v[102:103], -v[94:95]
	v_add_f64 v[16:17], v[16:17], 0
	v_add_f64 v[16:17], v[16:17], v[112:113]
	;; [unrolled: 1-line block ×11, first 2 shown]
	s_waitcnt vmcnt(46) lgkmcnt(5)
	v_mul_f64 v[62:63], v[54:55], v[18:19]
	s_waitcnt vmcnt(44)
	v_fmac_f64_e32 v[62:63], v[56:57], v[178:179]
	v_add_f64 v[2:3], v[2:3], v[62:63]
	v_mul_f64 v[62:63], v[226:227], v[96:97]
	v_fma_f64 v[254:255], v[224:225], v[254:255], -v[62:63]
	ds_read_b128 v[62:65], v228 offset:1664
	s_waitcnt vmcnt(41)
	v_mul_f64 v[66:67], v[58:59], v[118:119]
	s_waitcnt vmcnt(40)
	v_fmac_f64_e32 v[66:67], v[60:61], v[176:177]
	v_add_f64 v[2:3], v[2:3], v[66:67]
	ds_read_b128 v[66:69], v228 offset:1680
	s_waitcnt vmcnt(37) lgkmcnt(1)
	v_mul_f64 v[72:73], v[62:63], v[184:185]
	s_waitcnt vmcnt(35)
	v_fmac_f64_e32 v[72:73], v[64:65], v[186:187]
	v_add_f64 v[2:3], v[2:3], v[72:73]
	ds_read_b128 v[94:97], v228 offset:1792
	s_waitcnt vmcnt(34) lgkmcnt(1)
	v_mul_f64 v[72:73], v[66:67], v[180:181]
	s_waitcnt vmcnt(32)
	v_fmac_f64_e32 v[72:73], v[68:69], v[188:189]
	v_add_f64 v[2:3], v[2:3], v[72:73]
	s_waitcnt vmcnt(29)
	v_mul_f64 v[72:73], v[230:231], v[192:193]
	s_waitcnt vmcnt(27)
	v_fmac_f64_e32 v[72:73], v[232:233], v[194:195]
	v_add_f64 v[2:3], v[2:3], v[72:73]
	s_waitcnt vmcnt(25)
	v_mul_f64 v[72:73], v[74:75], v[182:183]
	s_waitcnt vmcnt(24)
	v_fmac_f64_e32 v[72:73], v[76:77], v[190:191]
	v_add_f64 v[2:3], v[2:3], v[72:73]
	v_mul_f64 v[72:73], v[240:241], v[108:109]
	v_fma_f64 v[4:5], v[238:239], v[110:111], -v[72:73]
	s_waitcnt vmcnt(22)
	v_mul_f64 v[72:73], v[78:79], v[196:197]
	s_waitcnt vmcnt(20)
	v_fmac_f64_e32 v[72:73], v[80:81], v[198:199]
	s_waitcnt vmcnt(17)
	v_mul_f64 v[70:71], v[82:83], v[200:201]
	v_add_f64 v[2:3], v[2:3], v[72:73]
	s_waitcnt vmcnt(16)
	v_fmac_f64_e32 v[70:71], v[84:85], v[202:203]
	s_waitcnt vmcnt(14)
	v_mul_f64 v[98:99], v[172:173], v[206:207]
	v_add_f64 v[2:3], v[2:3], v[70:71]
	s_waitcnt vmcnt(12)
	v_fmac_f64_e32 v[98:99], v[174:175], v[210:211]
	ds_read_b128 v[70:73], v228 offset:1776
	v_add_f64 v[102:103], v[2:3], v[98:99]
	ds_read_b128 v[98:101], v228 offset:1808
	buffer_load_dword v111, off, s[0:3], 0 offset:908
	buffer_load_dword v110, off, s[0:3], 0 offset:904
	;; [unrolled: 1-line block ×4, first 2 shown]
	v_mul_f64 v[2:3], v[252:253], v[104:105]
	s_waitcnt vmcnt(14) lgkmcnt(1)
	v_mul_f64 v[108:109], v[70:71], v[208:209]
	s_waitcnt vmcnt(12)
	v_fmac_f64_e32 v[108:109], v[72:73], v[212:213]
	s_waitcnt vmcnt(9)
	v_mul_f64 v[104:105], v[94:95], v[216:217]
	v_add_f64 v[102:103], v[102:103], v[108:109]
	s_waitcnt vmcnt(7)
	v_fmac_f64_e32 v[104:105], v[96:97], v[218:219]
	v_add_f64 v[102:103], v[102:103], v[104:105]
	s_waitcnt vmcnt(5) lgkmcnt(0)
	v_mul_f64 v[104:105], v[98:99], v[204:205]
	s_waitcnt vmcnt(4)
	v_fmac_f64_e32 v[104:105], v[100:101], v[214:215]
	v_fma_f64 v[2:3], v[250:251], v[106:107], -v[2:3]
	v_add_f64 v[106:107], v[102:103], v[104:105]
	ds_read_b128 v[102:105], v228 offset:1824
	buffer_load_dword v224, off, s[0:3], 0 offset:920
	buffer_load_dword v225, off, s[0:3], 0 offset:924
	;; [unrolled: 1-line block ×4, first 2 shown]
	v_add_f64 v[6:7], v[6:7], v[254:255]
	v_add_f64 v[6:7], v[6:7], v[92:93]
	v_add_f64 v[6:7], v[6:7], v[234:235]
	v_add_f64 v[4:5], v[6:7], v[4:5]
	v_add_f64 v[0:1], v[4:5], v[0:1]
	v_add_f64 v[0:1], v[0:1], v[246:247]
	v_add_f64 v[0:1], v[0:1], v[2:3]
	v_accvgpr_read_b32 v2, a178
	v_accvgpr_read_b32 v3, a179
	v_accvgpr_read_b32 v4, a180
	v_mul_f64 v[2:3], v[122:123], v[2:3]
	v_accvgpr_read_b32 v5, a181
	v_fma_f64 v[2:3], v[120:121], v[4:5], -v[2:3]
	v_add_f64 v[0:1], v[0:1], v[2:3]
	v_mul_f64 v[2:3], v[126:127], v[140:141]
	v_fma_f64 v[2:3], v[124:125], v[144:145], -v[2:3]
	v_add_f64 v[0:1], v[0:1], v[2:3]
	v_accvgpr_read_b32 v2, a182
	v_accvgpr_read_b32 v3, a183
	v_accvgpr_read_b32 v4, a184
	v_mul_f64 v[2:3], v[130:131], v[2:3]
	v_accvgpr_read_b32 v5, a185
	v_fma_f64 v[2:3], v[128:129], v[4:5], -v[2:3]
	v_add_f64 v[0:1], v[0:1], v[2:3]
	v_mul_f64 v[2:3], v[134:135], v[148:149]
	v_fma_f64 v[2:3], v[132:133], v[152:153], -v[2:3]
	v_add_f64 v[0:1], v[0:1], v[2:3]
	;; [unrolled: 10-line block ×3, first 2 shown]
	v_accvgpr_read_b32 v2, a190
	v_accvgpr_read_b32 v3, a191
	;; [unrolled: 1-line block ×3, first 2 shown]
	v_mul_f64 v[2:3], v[28:29], v[2:3]
	v_accvgpr_read_b32 v5, a193
	v_fma_f64 v[2:3], v[26:27], v[4:5], -v[2:3]
	v_add_f64 v[0:1], v[0:1], v[2:3]
	v_mul_f64 v[2:3], v[32:33], v[160:161]
	v_fma_f64 v[2:3], v[30:31], v[162:163], -v[2:3]
	v_accvgpr_read_b32 v4, a194
	v_add_f64 v[0:1], v[0:1], v[2:3]
	v_mul_f64 v[2:3], v[36:37], v[20:21]
	v_accvgpr_read_b32 v5, a195
	v_fma_f64 v[2:3], v[34:35], v[4:5], -v[2:3]
	v_add_f64 v[0:1], v[0:1], v[2:3]
	v_mul_f64 v[2:3], v[40:41], v[164:165]
	v_fma_f64 v[2:3], v[38:39], v[166:167], -v[2:3]
	v_add_f64 v[0:1], v[0:1], v[2:3]
	v_mul_f64 v[2:3], v[44:45], v[142:143]
	;; [unrolled: 3-line block ×4, first 2 shown]
	v_fma_f64 v[2:3], v[50:51], v[154:155], -v[2:3]
	v_add_f64 v[0:1], v[0:1], v[2:3]
	s_waitcnt vmcnt(6) lgkmcnt(0)
	v_mul_f64 v[108:109], v[102:103], v[110:111]
	v_mul_f64 v[2:3], v[56:57], v[18:19]
	s_waitcnt vmcnt(4)
	v_fmac_f64_e32 v[108:109], v[104:105], v[222:223]
	v_add_f64 v[114:115], v[106:107], v[108:109]
	ds_read_b128 v[106:109], v228 offset:1840
	buffer_load_dword v237, off, s[0:3], 0 offset:940
	buffer_load_dword v236, off, s[0:3], 0 offset:936
	;; [unrolled: 1-line block ×4, first 2 shown]
	ds_read_b128 v[250:253], v228 offset:1856
	buffer_load_dword v242, off, s[0:3], 0 offset:952
	buffer_load_dword v243, off, s[0:3], 0 offset:956
	buffer_load_dword v244, off, s[0:3], 0 offset:944
	buffer_load_dword v245, off, s[0:3], 0 offset:948
	v_fma_f64 v[2:3], v[54:55], v[178:179], -v[2:3]
	v_add_f64 v[0:1], v[0:1], v[2:3]
	v_mul_f64 v[2:3], v[60:61], v[118:119]
	v_fma_f64 v[2:3], v[58:59], v[176:177], -v[2:3]
	v_add_f64 v[0:1], v[0:1], v[2:3]
	s_waitcnt vmcnt(10) lgkmcnt(1)
	v_mul_f64 v[116:117], v[106:107], v[224:225]
	v_mul_f64 v[2:3], v[64:65], v[184:185]
	s_waitcnt vmcnt(8)
	v_fmac_f64_e32 v[116:117], v[108:109], v[226:227]
	v_add_f64 v[114:115], v[114:115], v[116:117]
	v_fma_f64 v[2:3], v[62:63], v[186:187], -v[2:3]
	v_add_f64 v[0:1], v[0:1], v[2:3]
	v_mul_f64 v[2:3], v[68:69], v[180:181]
	v_fma_f64 v[2:3], v[66:67], v[188:189], -v[2:3]
	v_add_f64 v[0:1], v[0:1], v[2:3]
	v_mul_f64 v[2:3], v[232:233], v[192:193]
	;; [unrolled: 3-line block ×11, first 2 shown]
	v_fma_f64 v[2:3], v[106:107], v[226:227], -v[2:3]
	v_add_f64 v[0:1], v[0:1], v[2:3]
	s_waitcnt vmcnt(6) lgkmcnt(0)
	v_mul_f64 v[116:117], v[250:251], v[236:237]
	v_mul_f64 v[2:3], v[252:253], v[236:237]
	s_waitcnt vmcnt(4)
	v_fmac_f64_e32 v[116:117], v[252:253], v[238:239]
	v_add_f64 v[240:241], v[114:115], v[116:117]
	ds_read_b128 v[114:117], v228 offset:1872
	v_fma_f64 v[2:3], v[250:251], v[238:239], -v[2:3]
	v_add_f64 v[0:1], v[0:1], v[2:3]
	s_waitcnt vmcnt(2) lgkmcnt(0)
	v_mul_f64 v[248:249], v[114:115], v[242:243]
	s_waitcnt vmcnt(0)
	v_fmac_f64_e32 v[248:249], v[116:117], v[244:245]
	v_add_f64 v[240:241], v[240:241], v[248:249]
	buffer_load_dword v248, off, s[0:3], 0 offset:192
	buffer_load_dword v249, off, s[0:3], 0 offset:196
	;; [unrolled: 1-line block ×4, first 2 shown]
	v_mul_f64 v[2:3], v[116:117], v[242:243]
	v_fma_f64 v[2:3], v[114:115], v[244:245], -v[2:3]
	v_add_f64 v[0:1], v[0:1], v[2:3]
	s_waitcnt vmcnt(2)
	v_add_f64 v[0:1], v[248:249], -v[0:1]
	s_waitcnt vmcnt(0)
	v_add_f64 v[2:3], v[246:247], -v[240:241]
	buffer_store_dword v1, off, s[0:3], 0 offset:196
	buffer_store_dword v0, off, s[0:3], 0 offset:192
	;; [unrolled: 1-line block ×4, first 2 shown]
	s_and_saveexec_b64 s[4:5], vcc
	s_cbranch_execz .LBB122_347
; %bb.346:
	v_accvgpr_read_b32 v0, a166
	buffer_load_dword v2, v0, s[0:3], 0 offen
	buffer_load_dword v3, v0, s[0:3], 0 offen offset:4
	buffer_load_dword v4, v0, s[0:3], 0 offen offset:8
	;; [unrolled: 1-line block ×3, first 2 shown]
	v_accvgpr_read_b32 v0, a177
	buffer_store_dword v228, off, s[0:3], 0 offset:176
	buffer_store_dword v228, off, s[0:3], 0 offset:180
	;; [unrolled: 1-line block ×4, first 2 shown]
	s_waitcnt vmcnt(4)
	ds_write_b128 v0, v[2:5]
.LBB122_347:
	s_or_b64 exec, exec, s[4:5]
	s_waitcnt lgkmcnt(0)
	; wave barrier
	s_waitcnt lgkmcnt(0)
	buffer_load_dword v42, off, s[0:3], 0 offset:192
	buffer_load_dword v43, off, s[0:3], 0 offset:196
	;; [unrolled: 1-line block ×42, first 2 shown]
	ds_read_b128 v[110:113], v228 offset:1120
	ds_read_b128 v[114:117], v228 offset:1136
	;; [unrolled: 1-line block ×10, first 2 shown]
	buffer_load_dword v1, off, s[0:3], 0 offset:340
	buffer_load_dword v0, off, s[0:3], 0 offset:336
	ds_read_b128 v[50:53], v228 offset:1280
	buffer_load_dword v89, off, s[0:3], 0 offset:396
	buffer_load_dword v88, off, s[0:3], 0 offset:392
	;; [unrolled: 1-line block ×8, first 2 shown]
	s_waitcnt vmcnt(48) lgkmcnt(10)
	v_mul_f64 v[2:3], v[110:111], v[48:49]
	v_fmac_f64_e32 v[2:3], v[112:113], v[42:43]
	v_add_f64 v[2:3], v[2:3], 0
	v_mul_f64 v[48:49], v[112:113], v[48:49]
	s_waitcnt vmcnt(44) lgkmcnt(9)
	v_mul_f64 v[4:5], v[114:115], v[54:55]
	v_fmac_f64_e32 v[4:5], v[116:117], v[44:45]
	s_waitcnt vmcnt(42) lgkmcnt(8)
	v_mul_f64 v[6:7], v[176:177], v[46:47]
	v_add_f64 v[2:3], v[2:3], v[4:5]
	s_waitcnt vmcnt(40) lgkmcnt(6)
	v_mul_f64 v[10:11], v[188:189], v[58:59]
	v_mul_f64 v[46:47], v[178:179], v[46:47]
	s_waitcnt vmcnt(38)
	v_fmac_f64_e32 v[10:11], v[190:191], v[56:57]
	s_waitcnt vmcnt(36)
	v_mul_f64 v[8:9], v[180:181], v[60:61]
	s_waitcnt vmcnt(34) lgkmcnt(4)
	v_mul_f64 v[14:15], v[196:197], v[62:63]
	s_waitcnt vmcnt(32)
	v_fmac_f64_e32 v[14:15], v[198:199], v[64:65]
	s_waitcnt vmcnt(30)
	v_mul_f64 v[12:13], v[192:193], v[208:209]
	s_waitcnt vmcnt(28) lgkmcnt(2)
	v_mul_f64 v[18:19], v[204:205], v[68:69]
	s_waitcnt vmcnt(25)
	v_mul_f64 v[16:17], v[200:201], v[74:75]
	s_waitcnt vmcnt(23) lgkmcnt(1)
	v_mul_f64 v[20:21], v[210:211], v[72:73]
	s_waitcnt vmcnt(21)
	v_fmac_f64_e32 v[6:7], v[178:179], v[82:83]
	v_add_f64 v[2:3], v[2:3], v[6:7]
	s_waitcnt vmcnt(19)
	v_fmac_f64_e32 v[8:9], v[182:183], v[80:81]
	v_add_f64 v[2:3], v[2:3], v[8:9]
	;; [unrolled: 3-line block ×3, first 2 shown]
	v_add_f64 v[2:3], v[2:3], v[12:13]
	s_waitcnt vmcnt(15)
	v_fmac_f64_e32 v[16:17], v[202:203], v[76:77]
	v_add_f64 v[2:3], v[2:3], v[14:15]
	s_waitcnt vmcnt(14)
	v_fmac_f64_e32 v[18:19], v[206:207], v[70:71]
	v_add_f64 v[2:3], v[2:3], v[16:17]
	v_add_f64 v[6:7], v[2:3], v[18:19]
	buffer_load_dword v107, off, s[0:3], 0 offset:428
	buffer_load_dword v106, off, s[0:3], 0 offset:424
	;; [unrolled: 1-line block ×26, first 2 shown]
	s_waitcnt vmcnt(34)
	v_fmac_f64_e32 v[20:21], v[212:213], v[0:1]
	v_add_f64 v[6:7], v[6:7], v[20:21]
	v_fma_f64 v[216:217], v[176:177], v[82:83], -v[46:47]
	v_mul_f64 v[46:47], v[182:183], v[60:61]
	v_fma_f64 v[80:81], v[180:181], v[80:81], -v[46:47]
	v_mul_f64 v[46:47], v[190:191], v[58:59]
	;; [unrolled: 2-line block ×3, first 2 shown]
	s_waitcnt vmcnt(0)
	v_pk_mov_b32 v[18:19], v[4:5], v[4:5] op_sel:[0,1]
	buffer_load_dword v5, off, s[0:3], 0 offset:516
	buffer_load_dword v9, off, s[0:3], 0 offset:508
	;; [unrolled: 1-line block ×3, first 2 shown]
	v_accvgpr_write_b32 a183, v19
	v_accvgpr_write_b32 a182, v18
	s_waitcnt vmcnt(0)
	v_pk_mov_b32 v[14:15], v[8:9], v[8:9] op_sel:[0,1]
	buffer_load_dword v9, off, s[0:3], 0 offset:500
	buffer_load_dword v8, off, s[0:3], 0 offset:496
	;; [unrolled: 1-line block ×3, first 2 shown]
	v_accvgpr_write_b32 a179, v15
	v_accvgpr_write_b32 a178, v14
	s_waitcnt vmcnt(1)
	v_pk_mov_b32 v[16:17], v[8:9], v[8:9] op_sel:[0,1]
	s_waitcnt vmcnt(0)
	v_pk_mov_b32 v[22:23], v[4:5], v[4:5] op_sel:[0,1]
	buffer_load_dword v5, off, s[0:3], 0 offset:556
	buffer_load_dword v4, off, s[0:3], 0 offset:552
	v_accvgpr_write_b32 a181, v17
	v_accvgpr_write_b32 a180, v16
	;; [unrolled: 1-line block ×4, first 2 shown]
	s_waitcnt vmcnt(0)
	v_pk_mov_b32 v[26:27], v[4:5], v[4:5] op_sel:[0,1]
	buffer_load_dword v5, off, s[0:3], 0 offset:548
	buffer_load_dword v9, off, s[0:3], 0 offset:540
	;; [unrolled: 1-line block ×6, first 2 shown]
	v_accvgpr_write_b32 a189, v27
	v_accvgpr_write_b32 a188, v26
	s_waitcnt vmcnt(3)
	v_pk_mov_b32 v[24:25], v[8:9], v[8:9] op_sel:[0,1]
	s_waitcnt vmcnt(0)
	v_pk_mov_b32 v[28:29], v[4:5], v[4:5] op_sel:[0,1]
	buffer_load_dword v5, off, s[0:3], 0 offset:588
	buffer_load_dword v4, off, s[0:3], 0 offset:584
	s_waitcnt lgkmcnt(0)
	v_mul_f64 v[8:9], v[50:51], v[84:85]
	v_fmac_f64_e32 v[8:9], v[52:53], v[86:87]
	v_add_f64 v[6:7], v[6:7], v[8:9]
	v_accvgpr_write_b32 a187, v25
	v_accvgpr_write_b32 a186, v24
	;; [unrolled: 1-line block ×4, first 2 shown]
	s_waitcnt vmcnt(0)
	v_pk_mov_b32 v[34:35], v[4:5], v[4:5] op_sel:[0,1]
	buffer_load_dword v5, off, s[0:3], 0 offset:580
	buffer_load_dword v151, off, s[0:3], 0 offset:572
	;; [unrolled: 1-line block ×6, first 2 shown]
	v_accvgpr_write_b32 a193, v35
	v_accvgpr_write_b32 a192, v34
	s_waitcnt vmcnt(0)
	v_pk_mov_b32 v[36:37], v[4:5], v[4:5] op_sel:[0,1]
	buffer_load_dword v5, off, s[0:3], 0 offset:620
	buffer_load_dword v4, off, s[0:3], 0 offset:616
	v_accvgpr_write_b32 a195, v37
	v_accvgpr_write_b32 a194, v36
	s_waitcnt vmcnt(0)
	v_pk_mov_b32 v[38:39], v[4:5], v[4:5] op_sel:[0,1]
	buffer_load_dword v5, off, s[0:3], 0 offset:612
	buffer_load_dword v155, off, s[0:3], 0 offset:604
	;; [unrolled: 1-line block ×6, first 2 shown]
	v_accvgpr_write_b32 a197, v39
	v_accvgpr_write_b32 a196, v38
	s_waitcnt vmcnt(0)
	v_pk_mov_b32 v[40:41], v[4:5], v[4:5] op_sel:[0,1]
	buffer_load_dword v5, off, s[0:3], 0 offset:652
	buffer_load_dword v4, off, s[0:3], 0 offset:648
	buffer_load_dword v145, off, s[0:3], 0 offset:644
	buffer_load_dword v159, off, s[0:3], 0 offset:636
	buffer_load_dword v158, off, s[0:3], 0 offset:632
	buffer_load_dword v163, off, s[0:3], 0 offset:628
	buffer_load_dword v162, off, s[0:3], 0 offset:624
	buffer_load_dword v144, off, s[0:3], 0 offset:640
	buffer_load_dword v149, off, s[0:3], 0 offset:684
	buffer_load_dword v148, off, s[0:3], 0 offset:680
	buffer_load_dword v161, off, s[0:3], 0 offset:668
	buffer_load_dword v160, off, s[0:3], 0 offset:664
	buffer_load_dword v165, off, s[0:3], 0 offset:660
	buffer_load_dword v164, off, s[0:3], 0 offset:656
	ds_read_b128 v[220:223], v228 offset:1296
	ds_read_b128 v[224:227], v228 offset:1312
	;; [unrolled: 1-line block ×6, first 2 shown]
	s_waitcnt lgkmcnt(5)
	v_mul_f64 v[8:9], v[220:221], v[96:97]
	v_fmac_f64_e32 v[8:9], v[222:223], v[118:119]
	v_add_f64 v[6:7], v[6:7], v[8:9]
	s_waitcnt lgkmcnt(4)
	v_mul_f64 v[8:9], v[224:225], v[88:89]
	v_fmac_f64_e32 v[8:9], v[226:227], v[90:91]
	v_add_f64 v[6:7], v[6:7], v[8:9]
	;; [unrolled: 4-line block ×3, first 2 shown]
	s_waitcnt lgkmcnt(2)
	v_mul_f64 v[8:9], v[234:235], v[106:107]
	v_fmac_f64_e32 v[8:9], v[236:237], v[108:109]
	ds_read_b128 v[246:249], v228 offset:1392
	ds_read_b128 v[252:255], v228 offset:1408
	v_add_f64 v[6:7], v[6:7], v[8:9]
	s_waitcnt lgkmcnt(3)
	v_mul_f64 v[8:9], v[238:239], v[2:3]
	v_fmac_f64_e32 v[8:9], v[240:241], v[66:67]
	v_add_f64 v[6:7], v[6:7], v[8:9]
	s_waitcnt lgkmcnt(2)
	v_mul_f64 v[8:9], v[242:243], v[92:93]
	ds_read_b128 v[140:143], v228 offset:1424
	ds_read_b128 v[136:139], v228 offset:1440
	v_fmac_f64_e32 v[8:9], v[244:245], v[94:95]
	v_add_f64 v[6:7], v[6:7], v[8:9]
	s_waitcnt lgkmcnt(3)
	v_mul_f64 v[8:9], v[246:247], v[102:103]
	ds_read_b128 v[132:135], v228 offset:1456
	ds_read_b128 v[128:131], v228 offset:1472
	;; [unrolled: 6-line block ×3, first 2 shown]
	v_fmac_f64_e32 v[8:9], v[254:255], v[100:101]
	s_waitcnt lgkmcnt(5)
	v_mul_f64 v[12:13], v[140:141], v[14:15]
	v_add_f64 v[10:11], v[6:7], v[8:9]
	v_fmac_f64_e32 v[12:13], v[142:143], v[16:17]
	s_waitcnt lgkmcnt(4)
	v_mul_f64 v[16:17], v[136:137], v[18:19]
	v_add_f64 v[14:15], v[10:11], v[12:13]
	;; [unrolled: 4-line block ×5, first 2 shown]
	v_fmac_f64_e32 v[28:29], v[126:127], v[152:153]
	v_add_f64 v[30:31], v[26:27], v[28:29]
	ds_read_b128 v[26:29], v228 offset:1520
	s_waitcnt lgkmcnt(1)
	v_mul_f64 v[32:33], v[120:121], v[34:35]
	v_fmac_f64_e32 v[32:33], v[122:123], v[36:37]
	v_add_f64 v[34:35], v[30:31], v[32:33]
	ds_read_b128 v[30:33], v228 offset:1536
	s_waitcnt lgkmcnt(1)
	v_mul_f64 v[36:37], v[26:27], v[154:155]
	;; [unrolled: 5-line block ×3, first 2 shown]
	v_accvgpr_write_b32 a199, v41
	v_fmac_f64_e32 v[168:169], v[32:33], v[40:41]
	v_accvgpr_write_b32 a198, v40
	ds_read_b128 v[38:41], v228 offset:1568
	v_add_f64 v[166:167], v[166:167], v[168:169]
	s_waitcnt vmcnt(12)
	v_accvgpr_write_b32 a201, v5
	v_accvgpr_write_b32 a200, v4
	s_waitcnt vmcnt(9) lgkmcnt(1)
	v_mul_f64 v[168:169], v[34:35], v[158:159]
	v_mul_f64 v[8:9], v[116:117], v[54:55]
	s_waitcnt vmcnt(7)
	v_fmac_f64_e32 v[168:169], v[36:37], v[162:163]
	v_add_f64 v[166:167], v[166:167], v[168:169]
	s_waitcnt lgkmcnt(0)
	v_mul_f64 v[168:169], v[38:39], v[4:5]
	s_waitcnt vmcnt(6)
	v_fmac_f64_e32 v[168:169], v[40:41], v[144:145]
	v_add_f64 v[4:5], v[166:167], v[168:169]
	buffer_load_dword v169, off, s[0:3], 0 offset:676
	buffer_load_dword v168, off, s[0:3], 0 offset:672
	;; [unrolled: 1-line block ×10, first 2 shown]
	v_fma_f64 v[18:19], v[110:111], v[42:43], -v[48:49]
	v_fma_f64 v[14:15], v[114:115], v[44:45], -v[8:9]
	ds_read_b128 v[42:45], v228 offset:1584
	buffer_load_dword v177, off, s[0:3], 0 offset:732
	buffer_load_dword v176, off, s[0:3], 0 offset:728
	;; [unrolled: 1-line block ×13, first 2 shown]
	v_fma_f64 v[10:11], v[192:193], v[78:79], -v[46:47]
	buffer_load_dword v192, off, s[0:3], 0 offset:768
	buffer_load_dword v189, off, s[0:3], 0 offset:780
	;; [unrolled: 1-line block ×3, first 2 shown]
	v_mul_f64 v[12:13], v[198:199], v[62:63]
	v_fma_f64 v[12:13], v[196:197], v[64:65], -v[12:13]
	buffer_load_dword v78, off, s[0:3], 0 offset:808
	buffer_load_dword v197, off, s[0:3], 0 offset:796
	buffer_load_dword v196, off, s[0:3], 0 offset:792
	buffer_load_dword v199, off, s[0:3], 0 offset:788
	buffer_load_dword v198, off, s[0:3], 0 offset:784
	buffer_load_dword v194, off, s[0:3], 0 offset:800
	buffer_load_dword v79, off, s[0:3], 0 offset:812
	buffer_load_dword v195, off, s[0:3], 0 offset:804
	v_mul_f64 v[48:49], v[202:203], v[74:75]
	v_fma_f64 v[8:9], v[200:201], v[76:77], -v[48:49]
	buffer_load_dword v201, off, s[0:3], 0 offset:828
	buffer_load_dword v200, off, s[0:3], 0 offset:824
	;; [unrolled: 1-line block ×4, first 2 shown]
	v_mul_f64 v[16:17], v[206:207], v[68:69]
	buffer_load_dword v207, off, s[0:3], 0 offset:844
	buffer_load_dword v206, off, s[0:3], 0 offset:840
	;; [unrolled: 1-line block ×4, first 2 shown]
	v_mul_f64 v[48:49], v[212:213], v[72:73]
	v_fma_f64 v[16:17], v[204:205], v[70:71], -v[16:17]
	v_fma_f64 v[6:7], v[210:211], v[0:1], -v[48:49]
	buffer_load_dword v204, off, s[0:3], 0 offset:872
	buffer_load_dword v213, off, s[0:3], 0 offset:860
	;; [unrolled: 1-line block ×12, first 2 shown]
	s_waitcnt vmcnt(56) lgkmcnt(0)
	v_mul_f64 v[46:47], v[42:43], v[160:161]
	s_waitcnt vmcnt(54)
	v_fmac_f64_e32 v[46:47], v[44:45], v[164:165]
	v_add_f64 v[4:5], v[4:5], v[46:47]
	ds_read_b128 v[46:49], v228 offset:1600
	v_mul_f64 v[20:21], v[52:53], v[84:85]
	v_fma_f64 v[20:21], v[50:51], v[86:87], -v[20:21]
	ds_read_b128 v[50:53], v228 offset:1616
	v_mul_f64 v[54:55], v[222:223], v[96:97]
	v_fma_f64 v[118:119], v[220:221], v[118:119], -v[54:55]
	ds_read_b128 v[54:57], v228 offset:1632
	s_waitcnt lgkmcnt(2)
	v_mul_f64 v[58:59], v[46:47], v[148:149]
	v_mul_f64 v[62:63], v[226:227], v[88:89]
	v_fma_f64 v[220:221], v[224:225], v[90:91], -v[62:63]
	ds_read_b128 v[62:65], v228 offset:1664
	v_mul_f64 v[72:73], v[232:233], v[250:251]
	v_fma_f64 v[214:215], v[230:231], v[214:215], -v[72:73]
	v_mul_f64 v[2:3], v[240:241], v[2:3]
	v_fma_f64 v[240:241], v[238:239], v[66:67], -v[2:3]
	;; [unrolled: 2-line block ×4, first 2 shown]
	ds_read_b128 v[94:97], v228 offset:1792
	v_add_f64 v[18:19], v[18:19], 0
	v_add_f64 v[14:15], v[18:19], v[14:15]
	;; [unrolled: 1-line block ×14, first 2 shown]
	v_accvgpr_read_b32 v8, a180
	v_accvgpr_read_b32 v9, a181
	ds_read_b128 v[230:233], v228 offset:1680
	ds_read_b128 v[74:77], v228 offset:1712
	;; [unrolled: 1-line block ×4, first 2 shown]
	s_waitcnt vmcnt(52)
	v_fmac_f64_e32 v[58:59], v[48:49], v[168:169]
	v_add_f64 v[4:5], v[4:5], v[58:59]
	s_waitcnt vmcnt(49) lgkmcnt(7)
	v_mul_f64 v[58:59], v[50:51], v[172:173]
	s_waitcnt vmcnt(47)
	v_fmac_f64_e32 v[58:59], v[52:53], v[174:175]
	v_add_f64 v[4:5], v[4:5], v[58:59]
	s_waitcnt vmcnt(45) lgkmcnt(6)
	v_mul_f64 v[58:59], v[54:55], v[166:167]
	s_waitcnt vmcnt(44)
	v_fmac_f64_e32 v[58:59], v[56:57], v[170:171]
	v_add_f64 v[4:5], v[4:5], v[58:59]
	ds_read_b128 v[58:61], v228 offset:1648
	s_waitcnt vmcnt(42) lgkmcnt(0)
	v_mul_f64 v[70:71], v[58:59], v[176:177]
	s_waitcnt vmcnt(40)
	v_fmac_f64_e32 v[70:71], v[60:61], v[178:179]
	v_add_f64 v[4:5], v[4:5], v[70:71]
	s_waitcnt vmcnt(38)
	v_mul_f64 v[70:71], v[62:63], v[180:181]
	s_waitcnt vmcnt(36)
	v_fmac_f64_e32 v[70:71], v[64:65], v[184:185]
	v_add_f64 v[4:5], v[4:5], v[70:71]
	s_waitcnt vmcnt(34)
	v_mul_f64 v[70:71], v[230:231], v[182:183]
	s_waitcnt vmcnt(32)
	v_fmac_f64_e32 v[70:71], v[232:233], v[186:187]
	v_add_f64 v[82:83], v[4:5], v[70:71]
	ds_read_b128 v[70:73], v228 offset:1696
	v_mul_f64 v[4:5], v[236:237], v[106:107]
	v_fma_f64 v[234:235], v[234:235], v[108:109], -v[4:5]
	ds_read_b128 v[2:5], v228 offset:1728
	v_add_f64 v[6:7], v[6:7], v[234:235]
	s_waitcnt vmcnt(29) lgkmcnt(1)
	v_mul_f64 v[84:85], v[70:71], v[188:189]
	s_waitcnt vmcnt(28)
	v_fmac_f64_e32 v[84:85], v[72:73], v[192:193]
	v_add_f64 v[66:67], v[82:83], v[84:85]
	s_waitcnt vmcnt(25)
	v_mul_f64 v[82:83], v[74:75], v[196:197]
	s_waitcnt vmcnt(23)
	v_fmac_f64_e32 v[82:83], v[76:77], v[198:199]
	v_add_f64 v[66:67], v[66:67], v[82:83]
	s_waitcnt vmcnt(21) lgkmcnt(0)
	v_mul_f64 v[82:83], v[2:3], v[78:79]
	s_waitcnt vmcnt(20)
	v_fmac_f64_e32 v[82:83], v[4:5], v[194:195]
	v_add_f64 v[66:67], v[66:67], v[82:83]
	ds_read_b128 v[82:85], v228 offset:1744
	v_add_f64 v[6:7], v[6:7], v[240:241]
	v_mul_f64 v[4:5], v[4:5], v[78:79]
	v_fma_f64 v[2:3], v[2:3], v[194:195], -v[4:5]
	s_waitcnt vmcnt(18) lgkmcnt(0)
	v_mul_f64 v[24:25], v[82:83], v[200:201]
	s_waitcnt vmcnt(16)
	v_fmac_f64_e32 v[24:25], v[84:85], v[202:203]
	v_add_f64 v[24:25], v[66:67], v[24:25]
	s_waitcnt vmcnt(14)
	v_mul_f64 v[66:67], v[86:87], v[206:207]
	s_waitcnt vmcnt(12)
	v_fmac_f64_e32 v[66:67], v[88:89], v[208:209]
	v_add_f64 v[24:25], v[24:25], v[66:67]
	v_mul_f64 v[66:67], v[254:255], v[98:99]
	v_fma_f64 v[252:253], v[252:253], v[100:101], -v[66:67]
	ds_read_b128 v[98:101], v228 offset:1808
	s_waitcnt vmcnt(9)
	v_mul_f64 v[66:67], v[90:91], v[212:213]
	s_waitcnt vmcnt(7)
	v_fmac_f64_e32 v[66:67], v[92:93], v[68:69]
	v_add_f64 v[24:25], v[24:25], v[66:67]
	s_waitcnt vmcnt(5)
	v_mul_f64 v[66:67], v[94:95], v[204:205]
	s_waitcnt vmcnt(4)
	v_fmac_f64_e32 v[66:67], v[96:97], v[210:211]
	v_add_f64 v[24:25], v[24:25], v[66:67]
	s_waitcnt vmcnt(2) lgkmcnt(0)
	v_mul_f64 v[66:67], v[98:99], v[22:23]
	s_waitcnt vmcnt(0)
	v_fmac_f64_e32 v[66:67], v[100:101], v[218:219]
	v_add_f64 v[24:25], v[24:25], v[66:67]
	buffer_load_dword v66, off, s[0:3], 0 offset:904
	buffer_load_dword v67, off, s[0:3], 0 offset:908
	;; [unrolled: 1-line block ×4, first 2 shown]
	ds_read_b128 v[102:105], v228 offset:1824
	buffer_load_dword v225, off, s[0:3], 0 offset:924
	buffer_load_dword v224, off, s[0:3], 0 offset:920
	;; [unrolled: 1-line block ×4, first 2 shown]
	v_add_f64 v[254:255], v[6:7], v[0:1]
	v_accvgpr_read_b32 v6, a178
	v_accvgpr_read_b32 v7, a179
	v_add_f64 v[0:1], v[254:255], v[250:251]
	v_mul_f64 v[6:7], v[142:143], v[6:7]
	v_add_f64 v[0:1], v[0:1], v[252:253]
	v_fma_f64 v[6:7], v[140:141], v[8:9], -v[6:7]
	v_add_f64 v[0:1], v[0:1], v[6:7]
	v_accvgpr_read_b32 v6, a182
	v_accvgpr_read_b32 v7, a183
	;; [unrolled: 1-line block ×3, first 2 shown]
	v_mul_f64 v[6:7], v[138:139], v[6:7]
	v_accvgpr_read_b32 v9, a185
	v_fma_f64 v[6:7], v[136:137], v[8:9], -v[6:7]
	v_add_f64 v[0:1], v[0:1], v[6:7]
	v_accvgpr_read_b32 v6, a186
	v_accvgpr_read_b32 v7, a187
	v_mul_f64 v[6:7], v[134:135], v[6:7]
	v_fma_f64 v[6:7], v[132:133], v[146:147], -v[6:7]
	v_add_f64 v[0:1], v[0:1], v[6:7]
	v_accvgpr_read_b32 v6, a188
	v_accvgpr_read_b32 v7, a189
	v_accvgpr_read_b32 v8, a190
	v_mul_f64 v[6:7], v[130:131], v[6:7]
	v_accvgpr_read_b32 v9, a191
	v_fma_f64 v[6:7], v[128:129], v[8:9], -v[6:7]
	v_add_f64 v[0:1], v[0:1], v[6:7]
	v_mul_f64 v[6:7], v[126:127], v[150:151]
	v_fma_f64 v[6:7], v[124:125], v[152:153], -v[6:7]
	v_add_f64 v[0:1], v[0:1], v[6:7]
	v_accvgpr_read_b32 v6, a192
	v_accvgpr_read_b32 v7, a193
	v_accvgpr_read_b32 v8, a194
	v_mul_f64 v[6:7], v[122:123], v[6:7]
	v_accvgpr_read_b32 v9, a195
	v_fma_f64 v[6:7], v[120:121], v[8:9], -v[6:7]
	v_add_f64 v[0:1], v[0:1], v[6:7]
	;; [unrolled: 10-line block ×3, first 2 shown]
	v_mul_f64 v[6:7], v[36:37], v[158:159]
	v_fma_f64 v[6:7], v[34:35], v[162:163], -v[6:7]
	v_add_f64 v[0:1], v[0:1], v[6:7]
	v_accvgpr_read_b32 v6, a200
	v_accvgpr_read_b32 v7, a201
	v_mul_f64 v[6:7], v[40:41], v[6:7]
	v_fma_f64 v[6:7], v[38:39], v[144:145], -v[6:7]
	v_add_f64 v[0:1], v[0:1], v[6:7]
	v_mul_f64 v[6:7], v[44:45], v[160:161]
	v_fma_f64 v[6:7], v[42:43], v[164:165], -v[6:7]
	v_add_f64 v[0:1], v[0:1], v[6:7]
	;; [unrolled: 3-line block ×7, first 2 shown]
	v_mul_f64 v[6:7], v[232:233], v[182:183]
	v_fma_f64 v[6:7], v[230:231], v[186:187], -v[6:7]
	s_waitcnt vmcnt(6) lgkmcnt(0)
	v_mul_f64 v[106:107], v[102:103], v[66:67]
	v_add_f64 v[0:1], v[0:1], v[6:7]
	s_waitcnt vmcnt(4)
	v_fmac_f64_e32 v[106:107], v[104:105], v[222:223]
	v_add_f64 v[24:25], v[24:25], v[106:107]
	ds_read_b128 v[106:109], v228 offset:1840
	buffer_load_dword v236, off, s[0:3], 0 offset:936
	buffer_load_dword v237, off, s[0:3], 0 offset:940
	;; [unrolled: 1-line block ×4, first 2 shown]
	v_mul_f64 v[6:7], v[72:73], v[188:189]
	v_fma_f64 v[6:7], v[70:71], v[192:193], -v[6:7]
	v_add_f64 v[0:1], v[0:1], v[6:7]
	s_waitcnt vmcnt(6) lgkmcnt(0)
	v_mul_f64 v[110:111], v[106:107], v[224:225]
	s_waitcnt vmcnt(4)
	v_fmac_f64_e32 v[110:111], v[108:109], v[226:227]
	v_add_f64 v[24:25], v[24:25], v[110:111]
	ds_read_b128 v[110:113], v228 offset:1856
	buffer_load_dword v243, off, s[0:3], 0 offset:956
	buffer_load_dword v242, off, s[0:3], 0 offset:952
	;; [unrolled: 1-line block ×4, first 2 shown]
	v_mul_f64 v[6:7], v[76:77], v[196:197]
	v_fma_f64 v[6:7], v[74:75], v[198:199], -v[6:7]
	v_add_f64 v[0:1], v[0:1], v[6:7]
	v_add_f64 v[0:1], v[0:1], v[2:3]
	v_mul_f64 v[2:3], v[84:85], v[200:201]
	v_fma_f64 v[2:3], v[82:83], v[202:203], -v[2:3]
	v_add_f64 v[0:1], v[0:1], v[2:3]
	v_mul_f64 v[2:3], v[88:89], v[206:207]
	v_fma_f64 v[2:3], v[86:87], v[208:209], -v[2:3]
	;; [unrolled: 3-line block ×7, first 2 shown]
	v_add_f64 v[0:1], v[0:1], v[2:3]
	s_waitcnt vmcnt(6) lgkmcnt(0)
	v_mul_f64 v[114:115], v[110:111], v[236:237]
	v_mul_f64 v[2:3], v[112:113], v[236:237]
	s_waitcnt vmcnt(4)
	v_fmac_f64_e32 v[114:115], v[112:113], v[238:239]
	v_add_f64 v[24:25], v[24:25], v[114:115]
	ds_read_b128 v[114:117], v228 offset:1872
	buffer_load_dword v248, off, s[0:3], 0 offset:176
	buffer_load_dword v249, off, s[0:3], 0 offset:180
	;; [unrolled: 1-line block ×4, first 2 shown]
	v_fma_f64 v[2:3], v[110:111], v[238:239], -v[2:3]
	v_add_f64 v[0:1], v[0:1], v[2:3]
	s_waitcnt vmcnt(6) lgkmcnt(0)
	v_mul_f64 v[228:229], v[114:115], v[242:243]
	s_waitcnt vmcnt(4)
	v_fmac_f64_e32 v[228:229], v[116:117], v[244:245]
	v_mul_f64 v[2:3], v[116:117], v[242:243]
	v_add_f64 v[228:229], v[24:25], v[228:229]
	v_fma_f64 v[2:3], v[114:115], v[244:245], -v[2:3]
	v_add_f64 v[0:1], v[0:1], v[2:3]
	s_waitcnt vmcnt(2)
	v_add_f64 v[0:1], v[248:249], -v[0:1]
	s_waitcnt vmcnt(0)
	v_add_f64 v[2:3], v[246:247], -v[228:229]
	v_accvgpr_read_b32 v229, a176
	v_cmp_lt_u32_e32 vcc, 9, v229
	buffer_store_dword v1, off, s[0:3], 0 offset:180
	buffer_store_dword v0, off, s[0:3], 0 offset:176
	;; [unrolled: 1-line block ×4, first 2 shown]
	s_and_saveexec_b64 s[4:5], vcc
	s_cbranch_execz .LBB122_349
; %bb.348:
	v_accvgpr_read_b32 v0, a167
	buffer_load_dword v2, v0, s[0:3], 0 offen
	buffer_load_dword v3, v0, s[0:3], 0 offen offset:4
	buffer_load_dword v4, v0, s[0:3], 0 offen offset:8
	;; [unrolled: 1-line block ×3, first 2 shown]
	v_mov_b32_e32 v0, 0
	v_accvgpr_read_b32 v1, a177
	buffer_store_dword v0, off, s[0:3], 0 offset:160
	buffer_store_dword v0, off, s[0:3], 0 offset:164
	;; [unrolled: 1-line block ×4, first 2 shown]
	s_waitcnt vmcnt(4)
	ds_write_b128 v1, v[2:5]
.LBB122_349:
	s_or_b64 exec, exec, s[4:5]
	s_waitcnt lgkmcnt(0)
	; wave barrier
	s_waitcnt lgkmcnt(0)
	buffer_load_dword v38, off, s[0:3], 0 offset:176
	buffer_load_dword v39, off, s[0:3], 0 offset:180
	;; [unrolled: 1-line block ×42, first 2 shown]
	v_mov_b32_e32 v228, 0
	buffer_load_dword v99, off, s[0:3], 0 offset:324
	buffer_load_dword v98, off, s[0:3], 0 offset:320
	;; [unrolled: 1-line block ×7, first 2 shown]
	ds_read_b128 v[108:111], v228 offset:1104
	ds_read_b128 v[112:115], v228 offset:1120
	;; [unrolled: 1-line block ×11, first 2 shown]
	v_cmp_lt_u32_e32 vcc, 8, v229
	s_waitcnt vmcnt(45) lgkmcnt(10)
	v_mul_f64 v[0:1], v[108:109], v[40:41]
	v_fmac_f64_e32 v[0:1], v[110:111], v[38:39]
	v_add_f64 v[0:1], v[0:1], 0
	v_mul_f64 v[40:41], v[110:111], v[40:41]
	s_waitcnt vmcnt(41) lgkmcnt(9)
	v_mul_f64 v[2:3], v[112:113], v[46:47]
	v_fmac_f64_e32 v[2:3], v[114:115], v[44:45]
	s_waitcnt vmcnt(39) lgkmcnt(8)
	v_mul_f64 v[4:5], v[116:117], v[42:43]
	v_add_f64 v[0:1], v[0:1], v[2:3]
	s_waitcnt vmcnt(37) lgkmcnt(6)
	v_mul_f64 v[8:9], v[182:183], v[48:49]
	v_mul_f64 v[42:43], v[118:119], v[42:43]
	s_waitcnt vmcnt(35)
	v_fmac_f64_e32 v[8:9], v[184:185], v[50:51]
	s_waitcnt vmcnt(33)
	v_mul_f64 v[6:7], v[172:173], v[52:53]
	s_waitcnt vmcnt(31) lgkmcnt(4)
	v_mul_f64 v[12:13], v[192:193], v[56:57]
	s_waitcnt vmcnt(29)
	v_fmac_f64_e32 v[12:13], v[194:195], v[54:55]
	s_waitcnt vmcnt(27)
	v_mul_f64 v[10:11], v[186:187], v[58:59]
	s_waitcnt vmcnt(25) lgkmcnt(2)
	v_mul_f64 v[16:17], v[200:201], v[64:65]
	s_waitcnt vmcnt(22)
	v_mul_f64 v[14:15], v[196:197], v[212:213]
	s_waitcnt vmcnt(20) lgkmcnt(1)
	v_mul_f64 v[18:19], v[204:205], v[60:61]
	s_waitcnt vmcnt(18)
	v_fmac_f64_e32 v[4:5], v[118:119], v[74:75]
	v_add_f64 v[0:1], v[0:1], v[4:5]
	s_waitcnt vmcnt(16)
	v_fmac_f64_e32 v[6:7], v[174:175], v[72:73]
	v_add_f64 v[0:1], v[0:1], v[6:7]
	;; [unrolled: 3-line block ×3, first 2 shown]
	v_add_f64 v[0:1], v[0:1], v[10:11]
	s_waitcnt vmcnt(12)
	v_fmac_f64_e32 v[14:15], v[198:199], v[68:69]
	v_add_f64 v[0:1], v[0:1], v[12:13]
	s_waitcnt vmcnt(11)
	v_fmac_f64_e32 v[16:17], v[202:203], v[62:63]
	v_add_f64 v[0:1], v[0:1], v[14:15]
	v_add_f64 v[2:3], v[0:1], v[16:17]
	buffer_load_dword v84, off, s[0:3], 0 offset:360
	buffer_load_dword v255, off, s[0:3], 0 offset:356
	buffer_load_dword v254, off, s[0:3], 0 offset:352
	buffer_load_dword v105, off, s[0:3], 0 offset:412
	buffer_load_dword v104, off, s[0:3], 0 offset:408
	buffer_load_dword v107, off, s[0:3], 0 offset:404
	buffer_load_dword v106, off, s[0:3], 0 offset:400
	buffer_load_dword v165, off, s[0:3], 0 offset:396
	buffer_load_dword v164, off, s[0:3], 0 offset:392
	buffer_load_dword v177, off, s[0:3], 0 offset:388
	buffer_load_dword v176, off, s[0:3], 0 offset:384
	buffer_load_dword v87, off, s[0:3], 0 offset:444
	buffer_load_dword v86, off, s[0:3], 0 offset:440
	buffer_load_dword v89, off, s[0:3], 0 offset:436
	buffer_load_dword v88, off, s[0:3], 0 offset:432
	buffer_load_dword v1, off, s[0:3], 0 offset:428
	buffer_load_dword v0, off, s[0:3], 0 offset:424
	buffer_load_dword v67, off, s[0:3], 0 offset:420
	buffer_load_dword v66, off, s[0:3], 0 offset:416
	buffer_load_dword v91, off, s[0:3], 0 offset:476
	buffer_load_dword v90, off, s[0:3], 0 offset:472
	buffer_load_dword v93, off, s[0:3], 0 offset:468
	buffer_load_dword v92, off, s[0:3], 0 offset:464
	buffer_load_dword v101, off, s[0:3], 0 offset:460
	buffer_load_dword v100, off, s[0:3], 0 offset:456
	buffer_load_dword v103, off, s[0:3], 0 offset:452
	buffer_load_dword v102, off, s[0:3], 0 offset:448
	buffer_load_dword v5, off, s[0:3], 0 offset:508
	buffer_load_dword v4, off, s[0:3], 0 offset:504
	s_waitcnt vmcnt(34)
	v_fmac_f64_e32 v[18:19], v[206:207], v[98:99]
	s_waitcnt lgkmcnt(0)
	v_mul_f64 v[6:7], v[208:209], v[76:77]
	v_add_f64 v[2:3], v[2:3], v[18:19]
	v_fmac_f64_e32 v[6:7], v[210:211], v[82:83]
	v_add_f64 v[2:3], v[2:3], v[6:7]
	v_fma_f64 v[214:215], v[116:117], v[74:75], -v[42:43]
	v_mul_f64 v[42:43], v[174:175], v[52:53]
	v_mul_f64 v[52:53], v[206:207], v[60:61]
	s_waitcnt vmcnt(0)
	v_pk_mov_b32 v[8:9], v[4:5], v[4:5] op_sel:[0,1]
	buffer_load_dword v5, off, s[0:3], 0 offset:500
	buffer_load_dword v4, off, s[0:3], 0 offset:496
	v_accvgpr_write_b32 a179, v9
	v_accvgpr_write_b32 a178, v8
	s_waitcnt vmcnt(0)
	v_pk_mov_b32 v[12:13], v[4:5], v[4:5] op_sel:[0,1]
	buffer_load_dword v95, off, s[0:3], 0 offset:492
	buffer_load_dword v94, off, s[0:3], 0 offset:488
	buffer_load_dword v97, off, s[0:3], 0 offset:484
	buffer_load_dword v96, off, s[0:3], 0 offset:480
	buffer_load_dword v5, off, s[0:3], 0 offset:540
	buffer_load_dword v4, off, s[0:3], 0 offset:536
	v_accvgpr_write_b32 a181, v13
	v_accvgpr_write_b32 a180, v12
	s_waitcnt vmcnt(0)
	v_pk_mov_b32 v[16:17], v[4:5], v[4:5] op_sel:[0,1]
	buffer_load_dword v5, off, s[0:3], 0 offset:532
	buffer_load_dword v4, off, s[0:3], 0 offset:528
	v_accvgpr_write_b32 a185, v17
	v_accvgpr_write_b32 a184, v16
	s_waitcnt vmcnt(0)
	v_pk_mov_b32 v[20:21], v[4:5], v[4:5] op_sel:[0,1]
	buffer_load_dword v5, off, s[0:3], 0 offset:524
	buffer_load_dword v4, off, s[0:3], 0 offset:520
	;; [unrolled: 6-line block ×3, first 2 shown]
	buffer_load_dword v5, off, s[0:3], 0 offset:572
	buffer_load_dword v4, off, s[0:3], 0 offset:568
	v_accvgpr_write_b32 a183, v23
	v_accvgpr_write_b32 a182, v22
	s_waitcnt vmcnt(0)
	v_pk_mov_b32 v[24:25], v[4:5], v[4:5] op_sel:[0,1]
	buffer_load_dword v5, off, s[0:3], 0 offset:564
	buffer_load_dword v4, off, s[0:3], 0 offset:560
	v_accvgpr_write_b32 a189, v25
	v_accvgpr_write_b32 a188, v24
	s_waitcnt vmcnt(0)
	v_pk_mov_b32 v[28:29], v[4:5], v[4:5] op_sel:[0,1]
	buffer_load_dword v149, off, s[0:3], 0 offset:556
	buffer_load_dword v148, off, s[0:3], 0 offset:552
	buffer_load_dword v151, off, s[0:3], 0 offset:548
	buffer_load_dword v150, off, s[0:3], 0 offset:544
	buffer_load_dword v5, off, s[0:3], 0 offset:604
	buffer_load_dword v4, off, s[0:3], 0 offset:600
	v_accvgpr_write_b32 a191, v29
	v_accvgpr_write_b32 a190, v28
	s_waitcnt vmcnt(0)
	v_pk_mov_b32 v[36:37], v[4:5], v[4:5] op_sel:[0,1]
	buffer_load_dword v5, off, s[0:3], 0 offset:596
	buffer_load_dword v4, off, s[0:3], 0 offset:592
	v_accvgpr_write_b32 a193, v37
	v_accvgpr_write_b32 a192, v36
	s_waitcnt vmcnt(0)
	v_pk_mov_b32 v[166:167], v[4:5], v[4:5] op_sel:[0,1]
	buffer_load_dword v153, off, s[0:3], 0 offset:588
	buffer_load_dword v152, off, s[0:3], 0 offset:584
	buffer_load_dword v155, off, s[0:3], 0 offset:580
	buffer_load_dword v154, off, s[0:3], 0 offset:576
	;; [unrolled: 16-line block ×3, first 2 shown]
	buffer_load_dword v5, off, s[0:3], 0 offset:668
	buffer_load_dword v4, off, s[0:3], 0 offset:664
	buffer_load_dword v147, off, s[0:3], 0 offset:660
	buffer_load_dword v146, off, s[0:3], 0 offset:656
	buffer_load_dword v161, off, s[0:3], 0 offset:652
	buffer_load_dword v160, off, s[0:3], 0 offset:648
	buffer_load_dword v163, off, s[0:3], 0 offset:644
	buffer_load_dword v162, off, s[0:3], 0 offset:640
	ds_read_b128 v[216:219], v228 offset:1280
	ds_read_b128 v[220:223], v228 offset:1296
	;; [unrolled: 1-line block ×6, first 2 shown]
	s_waitcnt lgkmcnt(5)
	v_mul_f64 v[6:7], v[216:217], v[84:85]
	v_fmac_f64_e32 v[6:7], v[218:219], v[254:255]
	v_add_f64 v[2:3], v[2:3], v[6:7]
	s_waitcnt lgkmcnt(4)
	v_mul_f64 v[6:7], v[220:221], v[78:79]
	v_fmac_f64_e32 v[6:7], v[222:223], v[80:81]
	v_add_f64 v[2:3], v[2:3], v[6:7]
	;; [unrolled: 4-line block ×3, first 2 shown]
	s_waitcnt lgkmcnt(2)
	v_mul_f64 v[6:7], v[230:231], v[104:105]
	v_fmac_f64_e32 v[6:7], v[232:233], v[106:107]
	ds_read_b128 v[242:245], v228 offset:1376
	ds_read_b128 v[246:249], v228 offset:1392
	v_add_f64 v[2:3], v[2:3], v[6:7]
	s_waitcnt lgkmcnt(3)
	v_mul_f64 v[6:7], v[234:235], v[0:1]
	v_fmac_f64_e32 v[6:7], v[236:237], v[66:67]
	v_add_f64 v[2:3], v[2:3], v[6:7]
	s_waitcnt lgkmcnt(2)
	v_mul_f64 v[6:7], v[238:239], v[86:87]
	v_fmac_f64_e32 v[6:7], v[240:241], v[88:89]
	ds_read_b128 v[250:253], v228 offset:1408
	ds_read_b128 v[120:123], v228 offset:1424
	v_add_f64 v[2:3], v[2:3], v[6:7]
	s_waitcnt lgkmcnt(3)
	v_mul_f64 v[6:7], v[242:243], v[100:101]
	v_fmac_f64_e32 v[6:7], v[244:245], v[102:103]
	ds_read_b128 v[124:127], v228 offset:1440
	ds_read_b128 v[128:131], v228 offset:1456
	;; [unrolled: 6-line block ×3, first 2 shown]
	v_add_f64 v[2:3], v[2:3], v[6:7]
	s_waitcnt lgkmcnt(5)
	v_mul_f64 v[6:7], v[250:251], v[94:95]
	v_fmac_f64_e32 v[6:7], v[252:253], v[96:97]
	s_waitcnt lgkmcnt(4)
	v_mul_f64 v[10:11], v[120:121], v[8:9]
	v_add_f64 v[2:3], v[2:3], v[6:7]
	v_fmac_f64_e32 v[10:11], v[122:123], v[12:13]
	s_waitcnt lgkmcnt(3)
	v_mul_f64 v[14:15], v[124:125], v[22:23]
	v_add_f64 v[2:3], v[2:3], v[10:11]
	;; [unrolled: 4-line block ×5, first 2 shown]
	ds_read_b128 v[140:143], v228 offset:1504
	v_fmac_f64_e32 v[26:27], v[138:139], v[28:29]
	v_add_f64 v[2:3], v[2:3], v[26:27]
	ds_read_b128 v[26:29], v228 offset:1520
	v_fma_f64 v[22:23], v[108:109], v[38:39], -v[40:41]
	s_waitcnt lgkmcnt(1)
	v_mul_f64 v[30:31], v[140:141], v[152:153]
	v_fmac_f64_e32 v[30:31], v[142:143], v[154:155]
	v_add_f64 v[2:3], v[2:3], v[30:31]
	s_waitcnt lgkmcnt(0)
	v_mul_f64 v[34:35], v[26:27], v[36:37]
	ds_read_b128 v[30:33], v228 offset:1536
	v_fmac_f64_e32 v[34:35], v[28:29], v[166:167]
	v_add_f64 v[2:3], v[2:3], v[34:35]
	ds_read_b128 v[34:37], v228 offset:1552
	ds_read_b128 v[38:41], v228 offset:1568
	buffer_load_dword v25, off, s[0:3], 0 offset:684
	buffer_load_dword v24, off, s[0:3], 0 offset:680
	;; [unrolled: 1-line block ×4, first 2 shown]
	s_waitcnt vmcnt(14) lgkmcnt(2)
	v_mul_f64 v[108:109], v[30:31], v[156:157]
	v_accvgpr_write_b32 a199, v171
	s_waitcnt vmcnt(12)
	v_fmac_f64_e32 v[108:109], v[32:33], v[158:159]
	v_add_f64 v[2:3], v[2:3], v[108:109]
	s_waitcnt lgkmcnt(1)
	v_mul_f64 v[108:109], v[34:35], v[168:169]
	v_fmac_f64_e32 v[108:109], v[36:37], v[170:171]
	v_accvgpr_write_b32 a198, v170
	buffer_load_dword v168, off, s[0:3], 0 offset:696
	buffer_load_dword v170, off, s[0:3], 0 offset:688
	buffer_load_dword v169, off, s[0:3], 0 offset:700
	buffer_load_dword v171, off, s[0:3], 0 offset:692
	v_fma_f64 v[18:19], v[172:173], v[72:73], -v[42:43]
	buffer_load_dword v173, off, s[0:3], 0 offset:732
	buffer_load_dword v175, off, s[0:3], 0 offset:716
	;; [unrolled: 1-line block ×8, first 2 shown]
	v_add_f64 v[108:109], v[2:3], v[108:109]
	v_mul_f64 v[2:3], v[114:115], v[46:47]
	v_mul_f64 v[46:47], v[184:185], v[48:49]
	v_fma_f64 v[20:21], v[112:113], v[44:45], -v[2:3]
	ds_read_b128 v[42:45], v228 offset:1584
	v_fma_f64 v[16:17], v[182:183], v[50:51], -v[46:47]
	buffer_load_dword v118, off, s[0:3], 0 offset:760
	buffer_load_dword v183, off, s[0:3], 0 offset:748
	;; [unrolled: 1-line block ×5, first 2 shown]
	v_mul_f64 v[46:47], v[188:189], v[58:59]
	v_fma_f64 v[14:15], v[186:187], v[70:71], -v[46:47]
	buffer_load_dword v186, off, s[0:3], 0 offset:752
	buffer_load_dword v119, off, s[0:3], 0 offset:764
	;; [unrolled: 1-line block ×7, first 2 shown]
	v_mul_f64 v[46:47], v[194:195], v[56:57]
	v_fma_f64 v[12:13], v[192:193], v[54:55], -v[46:47]
	v_mul_f64 v[46:47], v[198:199], v[212:213]
	v_fma_f64 v[10:11], v[196:197], v[68:69], -v[46:47]
	buffer_load_dword v194, off, s[0:3], 0 offset:792
	buffer_load_dword v196, off, s[0:3], 0 offset:784
	;; [unrolled: 1-line block ×4, first 2 shown]
	v_mul_f64 v[46:47], v[202:203], v[64:65]
	v_fma_f64 v[8:9], v[200:201], v[62:63], -v[46:47]
	buffer_load_dword v193, off, s[0:3], 0 offset:828
	buffer_load_dword v199, off, s[0:3], 0 offset:812
	;; [unrolled: 1-line block ×8, first 2 shown]
	ds_read_b128 v[46:49], v228 offset:1600
	v_fma_f64 v[6:7], v[204:205], v[98:99], -v[52:53]
	buffer_load_dword v205, off, s[0:3], 0 offset:844
	buffer_load_dword v204, off, s[0:3], 0 offset:840
	;; [unrolled: 1-line block ×4, first 2 shown]
	s_waitcnt vmcnt(50)
	v_accvgpr_write_b32 a201, v5
	v_mul_f64 v[52:53], v[210:211], v[76:77]
	s_waitcnt lgkmcnt(1)
	v_mul_f64 v[50:51], v[42:43], v[4:5]
	v_accvgpr_write_b32 a200, v4
	v_fma_f64 v[4:5], v[208:209], v[82:83], -v[52:53]
	buffer_load_dword v208, off, s[0:3], 0 offset:856
	buffer_load_dword v210, off, s[0:3], 0 offset:848
	buffer_load_dword v209, off, s[0:3], 0 offset:860
	buffer_load_dword v211, off, s[0:3], 0 offset:852
	buffer_load_dword v213, off, s[0:3], 0 offset:876
	buffer_load_dword v212, off, s[0:3], 0 offset:872
	buffer_load_dword v69, off, s[0:3], 0 offset:868
	buffer_load_dword v68, off, s[0:3], 0 offset:864
	v_mul_f64 v[52:53], v[218:219], v[84:85]
	v_fma_f64 v[254:255], v[216:217], v[254:255], -v[52:53]
	buffer_load_dword v216, off, s[0:3], 0 offset:888
	buffer_load_dword v218, off, s[0:3], 0 offset:880
	;; [unrolled: 1-line block ×4, first 2 shown]
	s_waitcnt vmcnt(58)
	v_mul_f64 v[110:111], v[38:39], v[160:161]
	s_waitcnt vmcnt(56)
	v_fmac_f64_e32 v[110:111], v[40:41], v[162:163]
	v_add_f64 v[108:109], v[108:109], v[110:111]
	v_fmac_f64_e32 v[50:51], v[44:45], v[146:147]
	v_add_f64 v[50:51], v[108:109], v[50:51]
	v_mul_f64 v[54:55], v[222:223], v[78:79]
	v_fma_f64 v[220:221], v[220:221], v[80:81], -v[54:55]
	ds_read_b128 v[54:57], v228 offset:1632
	v_mul_f64 v[58:59], v[226:227], v[164:165]
	v_fma_f64 v[164:165], v[224:225], v[176:177], -v[58:59]
	ds_read_b128 v[58:61], v228 offset:1648
	;; [unrolled: 3-line block ×3, first 2 shown]
	v_mul_f64 v[0:1], v[236:237], v[0:1]
	v_fma_f64 v[66:67], v[234:235], v[66:67], -v[0:1]
	v_mul_f64 v[78:79], v[240:241], v[86:87]
	v_fma_f64 v[234:235], v[238:239], v[88:89], -v[78:79]
	;; [unrolled: 2-line block ×3, first 2 shown]
	ds_read_b128 v[82:85], v228 offset:1744
	v_mul_f64 v[90:91], v[248:249], v[90:91]
	v_fma_f64 v[246:247], v[246:247], v[92:93], -v[90:91]
	ds_read_b128 v[90:93], v228 offset:1776
	v_mul_f64 v[94:95], v[252:253], v[94:95]
	v_fma_f64 v[250:251], v[250:251], v[96:97], -v[94:95]
	v_add_f64 v[22:23], v[22:23], 0
	v_add_f64 v[20:21], v[22:23], v[20:21]
	;; [unrolled: 1-line block ×5, first 2 shown]
	ds_read_b128 v[70:73], v228 offset:1696
	v_add_f64 v[14:15], v[16:17], v[14:15]
	v_add_f64 v[12:13], v[14:15], v[12:13]
	;; [unrolled: 1-line block ×4, first 2 shown]
	s_waitcnt vmcnt(54) lgkmcnt(6)
	v_mul_f64 v[52:53], v[46:47], v[24:25]
	v_add_f64 v[6:7], v[8:9], v[6:7]
	s_waitcnt vmcnt(52)
	v_fmac_f64_e32 v[52:53], v[48:49], v[166:167]
	v_add_f64 v[62:63], v[50:51], v[52:53]
	ds_read_b128 v[50:53], v228 offset:1616
	v_add_f64 v[4:5], v[6:7], v[4:5]
	ds_read_b128 v[78:81], v228 offset:1728
	v_add_f64 v[4:5], v[4:5], v[254:255]
	v_add_f64 v[4:5], v[4:5], v[220:221]
	s_waitcnt vmcnt(49) lgkmcnt(1)
	v_mul_f64 v[64:65], v[50:51], v[168:169]
	s_waitcnt vmcnt(48)
	v_fmac_f64_e32 v[64:65], v[52:53], v[170:171]
	v_add_f64 v[62:63], v[62:63], v[64:65]
	s_waitcnt vmcnt(45)
	v_mul_f64 v[64:65], v[54:55], v[174:175]
	s_waitcnt vmcnt(43)
	v_fmac_f64_e32 v[64:65], v[56:57], v[180:181]
	v_add_f64 v[62:63], v[62:63], v[64:65]
	s_waitcnt vmcnt(42)
	v_mul_f64 v[64:65], v[58:59], v[172:173]
	s_waitcnt vmcnt(40)
	v_fmac_f64_e32 v[64:65], v[60:61], v[178:179]
	v_add_f64 v[74:75], v[62:63], v[64:65]
	ds_read_b128 v[62:65], v228 offset:1664
	ds_read_b128 v[94:97], v228 offset:1792
	v_add_f64 v[4:5], v[4:5], v[164:165]
	v_add_f64 v[4:5], v[4:5], v[176:177]
	;; [unrolled: 1-line block ×3, first 2 shown]
	s_waitcnt vmcnt(37) lgkmcnt(1)
	v_mul_f64 v[76:77], v[62:63], v[182:183]
	s_waitcnt vmcnt(35)
	v_fmac_f64_e32 v[76:77], v[64:65], v[184:185]
	v_add_f64 v[0:1], v[74:75], v[76:77]
	s_waitcnt vmcnt(33)
	v_mul_f64 v[74:75], v[230:231], v[118:119]
	s_waitcnt vmcnt(32)
	v_fmac_f64_e32 v[74:75], v[232:233], v[186:187]
	v_add_f64 v[0:1], v[0:1], v[74:75]
	s_waitcnt vmcnt(30)
	v_mul_f64 v[74:75], v[70:71], v[188:189]
	s_waitcnt vmcnt(28)
	v_fmac_f64_e32 v[74:75], v[72:73], v[190:191]
	v_add_f64 v[0:1], v[0:1], v[74:75]
	ds_read_b128 v[74:77], v228 offset:1712
	v_add_f64 v[4:5], v[4:5], v[234:235]
	v_add_f64 v[2:3], v[4:5], v[2:3]
	;; [unrolled: 1-line block ×3, first 2 shown]
	v_accvgpr_read_b32 v4, a178
	s_waitcnt vmcnt(25) lgkmcnt(0)
	v_mul_f64 v[86:87], v[74:75], v[194:195]
	s_waitcnt vmcnt(24)
	v_fmac_f64_e32 v[86:87], v[76:77], v[196:197]
	v_add_f64 v[0:1], v[0:1], v[86:87]
	s_waitcnt vmcnt(21)
	v_mul_f64 v[86:87], v[78:79], v[198:199]
	s_waitcnt vmcnt(19)
	v_fmac_f64_e32 v[86:87], v[80:81], v[202:203]
	v_add_f64 v[0:1], v[0:1], v[86:87]
	s_waitcnt vmcnt(18)
	v_mul_f64 v[86:87], v[82:83], v[192:193]
	s_waitcnt vmcnt(16)
	v_fmac_f64_e32 v[86:87], v[84:85], v[200:201]
	v_add_f64 v[0:1], v[0:1], v[86:87]
	ds_read_b128 v[86:89], v228 offset:1760
	v_accvgpr_read_b32 v5, a179
	v_accvgpr_read_b32 v6, a180
	v_mul_f64 v[4:5], v[122:123], v[4:5]
	v_accvgpr_read_b32 v7, a181
	s_waitcnt vmcnt(14) lgkmcnt(0)
	v_mul_f64 v[98:99], v[86:87], v[204:205]
	s_waitcnt vmcnt(12)
	v_fmac_f64_e32 v[98:99], v[88:89], v[206:207]
	v_add_f64 v[0:1], v[0:1], v[98:99]
	s_waitcnt vmcnt(9)
	v_mul_f64 v[98:99], v[90:91], v[208:209]
	s_waitcnt vmcnt(8)
	v_fmac_f64_e32 v[98:99], v[92:93], v[210:211]
	v_add_f64 v[0:1], v[0:1], v[98:99]
	s_waitcnt vmcnt(6)
	v_mul_f64 v[98:99], v[94:95], v[212:213]
	s_waitcnt vmcnt(4)
	v_fmac_f64_e32 v[98:99], v[96:97], v[68:69]
	v_add_f64 v[0:1], v[0:1], v[98:99]
	ds_read_b128 v[98:101], v228 offset:1808
	v_add_f64 v[2:3], v[252:253], v[250:251]
	v_fma_f64 v[4:5], v[120:121], v[6:7], -v[4:5]
	v_add_f64 v[2:3], v[2:3], v[4:5]
	v_accvgpr_read_b32 v4, a182
	s_waitcnt vmcnt(1) lgkmcnt(0)
	v_mul_f64 v[102:103], v[98:99], v[216:217]
	s_waitcnt vmcnt(0)
	v_fmac_f64_e32 v[102:103], v[100:101], v[218:219]
	v_add_f64 v[106:107], v[0:1], v[102:103]
	buffer_load_dword v1, off, s[0:3], 0 offset:908
	buffer_load_dword v0, off, s[0:3], 0 offset:904
	;; [unrolled: 1-line block ×4, first 2 shown]
	ds_read_b128 v[102:105], v228 offset:1824
	buffer_load_dword v224, off, s[0:3], 0 offset:920
	buffer_load_dword v225, off, s[0:3], 0 offset:924
	;; [unrolled: 1-line block ×4, first 2 shown]
	v_accvgpr_read_b32 v5, a183
	v_mul_f64 v[4:5], v[126:127], v[4:5]
	v_fma_f64 v[4:5], v[124:125], v[144:145], -v[4:5]
	v_add_f64 v[2:3], v[2:3], v[4:5]
	v_accvgpr_read_b32 v4, a184
	v_accvgpr_read_b32 v5, a185
	v_accvgpr_read_b32 v6, a186
	v_mul_f64 v[4:5], v[130:131], v[4:5]
	v_accvgpr_read_b32 v7, a187
	v_fma_f64 v[4:5], v[128:129], v[6:7], -v[4:5]
	v_add_f64 v[2:3], v[2:3], v[4:5]
	v_mul_f64 v[4:5], v[134:135], v[148:149]
	v_fma_f64 v[4:5], v[132:133], v[150:151], -v[4:5]
	v_add_f64 v[2:3], v[2:3], v[4:5]
	v_accvgpr_read_b32 v4, a188
	v_accvgpr_read_b32 v5, a189
	v_accvgpr_read_b32 v6, a190
	v_mul_f64 v[4:5], v[138:139], v[4:5]
	v_accvgpr_read_b32 v7, a191
	v_fma_f64 v[4:5], v[136:137], v[6:7], -v[4:5]
	v_add_f64 v[2:3], v[2:3], v[4:5]
	;; [unrolled: 10-line block ×4, first 2 shown]
	v_mul_f64 v[4:5], v[40:41], v[160:161]
	v_fma_f64 v[4:5], v[38:39], v[162:163], -v[4:5]
	v_add_f64 v[2:3], v[2:3], v[4:5]
	v_accvgpr_read_b32 v4, a200
	v_accvgpr_read_b32 v5, a201
	v_mul_f64 v[4:5], v[44:45], v[4:5]
	v_fma_f64 v[4:5], v[42:43], v[146:147], -v[4:5]
	v_add_f64 v[2:3], v[2:3], v[4:5]
	v_mul_f64 v[4:5], v[48:49], v[24:25]
	v_fma_f64 v[4:5], v[46:47], v[166:167], -v[4:5]
	v_add_f64 v[2:3], v[2:3], v[4:5]
	;; [unrolled: 3-line block ×9, first 2 shown]
	v_mul_f64 v[4:5], v[80:81], v[198:199]
	v_fma_f64 v[4:5], v[78:79], v[202:203], -v[4:5]
	s_waitcnt vmcnt(6) lgkmcnt(0)
	v_mul_f64 v[108:109], v[102:103], v[0:1]
	v_add_f64 v[2:3], v[2:3], v[4:5]
	s_waitcnt vmcnt(4)
	v_fmac_f64_e32 v[108:109], v[104:105], v[222:223]
	v_add_f64 v[110:111], v[106:107], v[108:109]
	ds_read_b128 v[106:109], v228 offset:1840
	buffer_load_dword v237, off, s[0:3], 0 offset:940
	buffer_load_dword v236, off, s[0:3], 0 offset:936
	;; [unrolled: 1-line block ×4, first 2 shown]
	v_mul_f64 v[4:5], v[84:85], v[192:193]
	v_fma_f64 v[4:5], v[82:83], v[200:201], -v[4:5]
	v_add_f64 v[2:3], v[2:3], v[4:5]
	s_waitcnt vmcnt(6) lgkmcnt(0)
	v_mul_f64 v[112:113], v[106:107], v[224:225]
	s_waitcnt vmcnt(4)
	v_fmac_f64_e32 v[112:113], v[108:109], v[226:227]
	v_add_f64 v[114:115], v[110:111], v[112:113]
	ds_read_b128 v[110:113], v228 offset:1856
	buffer_load_dword v242, off, s[0:3], 0 offset:952
	buffer_load_dword v243, off, s[0:3], 0 offset:956
	;; [unrolled: 1-line block ×4, first 2 shown]
	v_mul_f64 v[4:5], v[88:89], v[204:205]
	v_fma_f64 v[4:5], v[86:87], v[206:207], -v[4:5]
	v_add_f64 v[2:3], v[2:3], v[4:5]
	v_mul_f64 v[4:5], v[92:93], v[208:209]
	v_fma_f64 v[4:5], v[90:91], v[210:211], -v[4:5]
	v_add_f64 v[2:3], v[2:3], v[4:5]
	;; [unrolled: 3-line block ×3, first 2 shown]
	v_mul_f64 v[4:5], v[100:101], v[216:217]
	v_fma_f64 v[4:5], v[98:99], v[218:219], -v[4:5]
	v_mul_f64 v[0:1], v[104:105], v[0:1]
	v_add_f64 v[2:3], v[2:3], v[4:5]
	v_fma_f64 v[0:1], v[102:103], v[222:223], -v[0:1]
	v_add_f64 v[0:1], v[2:3], v[0:1]
	v_mul_f64 v[2:3], v[108:109], v[224:225]
	v_fma_f64 v[2:3], v[106:107], v[226:227], -v[2:3]
	v_add_f64 v[0:1], v[0:1], v[2:3]
	s_waitcnt vmcnt(6) lgkmcnt(0)
	v_mul_f64 v[116:117], v[110:111], v[236:237]
	v_mul_f64 v[2:3], v[112:113], v[236:237]
	s_waitcnt vmcnt(4)
	v_fmac_f64_e32 v[116:117], v[112:113], v[238:239]
	v_add_f64 v[240:241], v[114:115], v[116:117]
	ds_read_b128 v[114:117], v228 offset:1872
	v_fma_f64 v[2:3], v[110:111], v[238:239], -v[2:3]
	v_add_f64 v[0:1], v[0:1], v[2:3]
	s_waitcnt vmcnt(2) lgkmcnt(0)
	v_mul_f64 v[248:249], v[114:115], v[242:243]
	s_waitcnt vmcnt(0)
	v_fmac_f64_e32 v[248:249], v[116:117], v[244:245]
	v_add_f64 v[240:241], v[240:241], v[248:249]
	buffer_load_dword v248, off, s[0:3], 0 offset:160
	buffer_load_dword v249, off, s[0:3], 0 offset:164
	;; [unrolled: 1-line block ×4, first 2 shown]
	v_mul_f64 v[2:3], v[116:117], v[242:243]
	v_fma_f64 v[2:3], v[114:115], v[244:245], -v[2:3]
	v_add_f64 v[0:1], v[0:1], v[2:3]
	s_waitcnt vmcnt(2)
	v_add_f64 v[0:1], v[248:249], -v[0:1]
	s_waitcnt vmcnt(0)
	v_add_f64 v[2:3], v[246:247], -v[240:241]
	buffer_store_dword v1, off, s[0:3], 0 offset:164
	buffer_store_dword v0, off, s[0:3], 0 offset:160
	;; [unrolled: 1-line block ×4, first 2 shown]
	s_and_saveexec_b64 s[4:5], vcc
	s_cbranch_execz .LBB122_351
; %bb.350:
	v_accvgpr_read_b32 v0, a168
	buffer_load_dword v2, v0, s[0:3], 0 offen
	buffer_load_dword v3, v0, s[0:3], 0 offen offset:4
	buffer_load_dword v4, v0, s[0:3], 0 offen offset:8
	;; [unrolled: 1-line block ×3, first 2 shown]
	v_accvgpr_read_b32 v0, a177
	buffer_store_dword v228, off, s[0:3], 0 offset:144
	buffer_store_dword v228, off, s[0:3], 0 offset:148
	buffer_store_dword v228, off, s[0:3], 0 offset:152
	buffer_store_dword v228, off, s[0:3], 0 offset:156
	s_waitcnt vmcnt(4)
	ds_write_b128 v0, v[2:5]
.LBB122_351:
	s_or_b64 exec, exec, s[4:5]
	s_waitcnt lgkmcnt(0)
	; wave barrier
	s_waitcnt lgkmcnt(0)
	buffer_load_dword v34, off, s[0:3], 0 offset:160
	buffer_load_dword v35, off, s[0:3], 0 offset:164
	buffer_load_dword v36, off, s[0:3], 0 offset:168
	buffer_load_dword v37, off, s[0:3], 0 offset:172
	buffer_load_dword v38, off, s[0:3], 0 offset:176
	buffer_load_dword v39, off, s[0:3], 0 offset:180
	buffer_load_dword v40, off, s[0:3], 0 offset:184
	buffer_load_dword v41, off, s[0:3], 0 offset:188
	buffer_load_dword v160, off, s[0:3], 0 offset:200
	buffer_load_dword v161, off, s[0:3], 0 offset:204
	buffer_load_dword v53, off, s[0:3], 0 offset:236
	buffer_load_dword v52, off, s[0:3], 0 offset:232
	buffer_load_dword v55, off, s[0:3], 0 offset:228
	buffer_load_dword v54, off, s[0:3], 0 offset:224
	buffer_load_dword v57, off, s[0:3], 0 offset:220
	buffer_load_dword v56, off, s[0:3], 0 offset:216
	buffer_load_dword v59, off, s[0:3], 0 offset:268
	buffer_load_dword v58, off, s[0:3], 0 offset:264
	buffer_load_dword v61, off, s[0:3], 0 offset:260
	buffer_load_dword v60, off, s[0:3], 0 offset:256
	buffer_load_dword v203, off, s[0:3], 0 offset:252
	buffer_load_dword v202, off, s[0:3], 0 offset:248
	buffer_load_dword v65, off, s[0:3], 0 offset:300
	buffer_load_dword v64, off, s[0:3], 0 offset:296
	buffer_load_dword v66, off, s[0:3], 0 offset:288
	buffer_load_dword v71, off, s[0:3], 0 offset:284
	buffer_load_dword v70, off, s[0:3], 0 offset:280
	buffer_load_dword v69, off, s[0:3], 0 offset:316
	buffer_load_dword v68, off, s[0:3], 0 offset:312
	buffer_load_dword v78, off, s[0:3], 0 offset:192
	buffer_load_dword v79, off, s[0:3], 0 offset:196
	buffer_load_dword v77, off, s[0:3], 0 offset:212
	buffer_load_dword v76, off, s[0:3], 0 offset:208
	buffer_load_dword v75, off, s[0:3], 0 offset:244
	buffer_load_dword v74, off, s[0:3], 0 offset:240
	buffer_load_dword v73, off, s[0:3], 0 offset:276
	buffer_load_dword v72, off, s[0:3], 0 offset:272
	buffer_load_dword v67, off, s[0:3], 0 offset:292
	buffer_load_dword v80, off, s[0:3], 0 offset:328
	buffer_load_dword v82, off, s[0:3], 0 offset:320
	buffer_load_dword v83, off, s[0:3], 0 offset:324
	buffer_load_dword v81, off, s[0:3], 0 offset:332
	ds_read_b128 v[42:45], v228 offset:1088
	ds_read_b128 v[108:111], v228 offset:1104
	;; [unrolled: 1-line block ×10, first 2 shown]
	buffer_load_dword v1, off, s[0:3], 0 offset:308
	buffer_load_dword v0, off, s[0:3], 0 offset:304
	ds_read_b128 v[46:49], v228 offset:1248
	buffer_load_dword v85, off, s[0:3], 0 offset:364
	buffer_load_dword v84, off, s[0:3], 0 offset:360
	;; [unrolled: 1-line block ×6, first 2 shown]
	s_waitcnt vmcnt(46) lgkmcnt(10)
	v_mul_f64 v[2:3], v[42:43], v[36:37]
	v_fmac_f64_e32 v[2:3], v[44:45], v[34:35]
	v_add_f64 v[2:3], v[2:3], 0
	v_mul_f64 v[36:37], v[44:45], v[36:37]
	s_waitcnt vmcnt(42) lgkmcnt(9)
	v_mul_f64 v[4:5], v[108:109], v[40:41]
	v_fmac_f64_e32 v[4:5], v[110:111], v[38:39]
	s_waitcnt vmcnt(40) lgkmcnt(8)
	v_mul_f64 v[6:7], v[112:113], v[160:161]
	v_add_f64 v[2:3], v[2:3], v[4:5]
	s_waitcnt vmcnt(38) lgkmcnt(6)
	v_mul_f64 v[10:11], v[170:171], v[52:53]
	v_mul_f64 v[52:53], v[172:173], v[52:53]
	s_waitcnt vmcnt(36)
	v_fmac_f64_e32 v[10:11], v[172:173], v[54:55]
	s_waitcnt vmcnt(34)
	v_mul_f64 v[8:9], v[116:117], v[56:57]
	v_mul_f64 v[56:57], v[118:119], v[56:57]
	s_waitcnt vmcnt(32) lgkmcnt(4)
	v_mul_f64 v[14:15], v[184:185], v[58:59]
	s_waitcnt vmcnt(30)
	v_fmac_f64_e32 v[14:15], v[186:187], v[60:61]
	s_waitcnt vmcnt(28)
	v_mul_f64 v[12:13], v[180:181], v[202:203]
	s_waitcnt vmcnt(26) lgkmcnt(2)
	v_mul_f64 v[18:19], v[192:193], v[64:65]
	s_waitcnt vmcnt(23)
	v_mul_f64 v[16:17], v[188:189], v[70:71]
	s_waitcnt vmcnt(21) lgkmcnt(1)
	v_mul_f64 v[20:21], v[196:197], v[68:69]
	s_waitcnt vmcnt(19)
	v_fmac_f64_e32 v[6:7], v[114:115], v[78:79]
	v_add_f64 v[2:3], v[2:3], v[6:7]
	s_waitcnt vmcnt(17)
	v_fmac_f64_e32 v[8:9], v[118:119], v[76:77]
	v_add_f64 v[2:3], v[2:3], v[8:9]
	;; [unrolled: 3-line block ×3, first 2 shown]
	v_add_f64 v[2:3], v[2:3], v[12:13]
	s_waitcnt vmcnt(13)
	v_fmac_f64_e32 v[16:17], v[190:191], v[72:73]
	v_add_f64 v[2:3], v[2:3], v[14:15]
	s_waitcnt vmcnt(12)
	v_fmac_f64_e32 v[18:19], v[194:195], v[66:67]
	v_add_f64 v[2:3], v[2:3], v[16:17]
	v_add_f64 v[6:7], v[2:3], v[18:19]
	buffer_load_dword v211, off, s[0:3], 0 offset:340
	buffer_load_dword v210, off, s[0:3], 0 offset:336
	;; [unrolled: 1-line block ×36, first 2 shown]
	s_waitcnt vmcnt(42)
	v_fmac_f64_e32 v[20:21], v[198:199], v[0:1]
	s_waitcnt lgkmcnt(0)
	v_mul_f64 v[8:9], v[46:47], v[80:81]
	v_add_f64 v[6:7], v[6:7], v[20:21]
	v_fmac_f64_e32 v[8:9], v[48:49], v[82:83]
	v_add_f64 v[6:7], v[6:7], v[8:9]
	v_fma_f64 v[212:213], v[116:117], v[76:77], -v[56:57]
	v_fma_f64 v[76:77], v[170:171], v[54:55], -v[52:53]
	v_mul_f64 v[52:53], v[182:183], v[202:203]
	v_fma_f64 v[74:75], v[180:181], v[74:75], -v[52:53]
	v_mul_f64 v[52:53], v[186:187], v[58:59]
	s_waitcnt vmcnt(0)
	v_pk_mov_b32 v[18:19], v[4:5], v[4:5] op_sel:[0,1]
	buffer_load_dword v5, off, s[0:3], 0 offset:516
	buffer_load_dword v4, off, s[0:3], 0 offset:512
	v_accvgpr_write_b32 a183, v19
	v_accvgpr_write_b32 a182, v18
	s_waitcnt vmcnt(0)
	v_pk_mov_b32 v[22:23], v[4:5], v[4:5] op_sel:[0,1]
	buffer_load_dword v5, off, s[0:3], 0 offset:508
	buffer_load_dword v4, off, s[0:3], 0 offset:504
	v_accvgpr_write_b32 a185, v23
	v_accvgpr_write_b32 a184, v22
	;; [unrolled: 6-line block ×9, first 2 shown]
	s_waitcnt vmcnt(0)
	v_pk_mov_b32 v[166:167], v[4:5], v[4:5] op_sel:[0,1]
	buffer_load_dword v149, off, s[0:3], 0 offset:572
	buffer_load_dword v148, off, s[0:3], 0 offset:568
	;; [unrolled: 1-line block ×6, first 2 shown]
	v_accvgpr_write_b32 a197, v167
	v_accvgpr_write_b32 a196, v166
	s_waitcnt vmcnt(0)
	v_pk_mov_b32 v[168:169], v[4:5], v[4:5] op_sel:[0,1]
	buffer_load_dword v5, off, s[0:3], 0 offset:612
	buffer_load_dword v4, off, s[0:3], 0 offset:608
	v_accvgpr_write_b32 a199, v169
	v_accvgpr_write_b32 a198, v168
	s_waitcnt vmcnt(0)
	v_pk_mov_b32 v[174:175], v[4:5], v[4:5] op_sel:[0,1]
	buffer_load_dword v153, off, s[0:3], 0 offset:604
	buffer_load_dword v152, off, s[0:3], 0 offset:600
	;; [unrolled: 1-line block ×6, first 2 shown]
	v_accvgpr_write_b32 a201, v175
	v_accvgpr_write_b32 a200, v174
	s_waitcnt vmcnt(0)
	v_pk_mov_b32 v[214:215], v[4:5], v[4:5] op_sel:[0,1]
	buffer_load_dword v5, off, s[0:3], 0 offset:644
	buffer_load_dword v4, off, s[0:3], 0 offset:640
	;; [unrolled: 1-line block ×6, first 2 shown]
	ds_read_b128 v[204:207], v228 offset:1264
	ds_read_b128 v[216:219], v228 offset:1280
	;; [unrolled: 1-line block ×6, first 2 shown]
	s_waitcnt lgkmcnt(5)
	v_mul_f64 v[8:9], v[204:205], v[208:209]
	v_fmac_f64_e32 v[8:9], v[206:207], v[210:211]
	v_add_f64 v[6:7], v[6:7], v[8:9]
	s_waitcnt lgkmcnt(4)
	v_mul_f64 v[8:9], v[216:217], v[84:85]
	v_fmac_f64_e32 v[8:9], v[218:219], v[86:87]
	v_add_f64 v[6:7], v[6:7], v[8:9]
	;; [unrolled: 4-line block ×3, first 2 shown]
	s_waitcnt lgkmcnt(2)
	v_mul_f64 v[8:9], v[224:225], v[250:251]
	v_fmac_f64_e32 v[8:9], v[226:227], v[162:163]
	ds_read_b128 v[238:241], v228 offset:1360
	ds_read_b128 v[242:245], v228 offset:1376
	v_add_f64 v[6:7], v[6:7], v[8:9]
	s_waitcnt lgkmcnt(3)
	v_mul_f64 v[8:9], v[230:231], v[2:3]
	v_fmac_f64_e32 v[8:9], v[232:233], v[62:63]
	v_add_f64 v[6:7], v[6:7], v[8:9]
	s_waitcnt lgkmcnt(2)
	v_mul_f64 v[8:9], v[234:235], v[100:101]
	v_fmac_f64_e32 v[8:9], v[236:237], v[102:103]
	ds_read_b128 v[246:249], v228 offset:1392
	ds_read_b128 v[252:255], v228 offset:1408
	v_add_f64 v[6:7], v[6:7], v[8:9]
	s_waitcnt lgkmcnt(3)
	v_mul_f64 v[8:9], v[238:239], v[104:105]
	v_fmac_f64_e32 v[8:9], v[240:241], v[106:107]
	v_add_f64 v[6:7], v[6:7], v[8:9]
	s_waitcnt lgkmcnt(2)
	v_mul_f64 v[8:9], v[242:243], v[88:89]
	ds_read_b128 v[144:147], v228 offset:1424
	ds_read_b128 v[140:143], v228 offset:1440
	v_fmac_f64_e32 v[8:9], v[244:245], v[92:93]
	v_add_f64 v[6:7], v[6:7], v[8:9]
	s_waitcnt lgkmcnt(3)
	v_mul_f64 v[8:9], v[246:247], v[90:91]
	ds_read_b128 v[136:139], v228 offset:1456
	ds_read_b128 v[132:135], v228 offset:1472
	;; [unrolled: 6-line block ×3, first 2 shown]
	v_fmac_f64_e32 v[8:9], v[254:255], v[96:97]
	s_waitcnt lgkmcnt(5)
	v_mul_f64 v[12:13], v[144:145], v[14:15]
	v_add_f64 v[10:11], v[6:7], v[8:9]
	v_fmac_f64_e32 v[12:13], v[146:147], v[16:17]
	s_waitcnt lgkmcnt(4)
	v_mul_f64 v[16:17], v[140:141], v[18:19]
	v_add_f64 v[14:15], v[10:11], v[12:13]
	;; [unrolled: 4-line block ×6, first 2 shown]
	ds_read_b128 v[120:123], v228 offset:1520
	v_fmac_f64_e32 v[32:33], v[126:127], v[166:167]
	v_add_f64 v[164:165], v[30:31], v[32:33]
	ds_read_b128 v[30:33], v228 offset:1536
	v_fma_f64 v[22:23], v[42:43], v[34:35], -v[36:37]
	ds_read_b128 v[34:37], v228 offset:1552
	s_waitcnt lgkmcnt(2)
	v_mul_f64 v[42:43], v[120:121], v[152:153]
	v_fmac_f64_e32 v[42:43], v[122:123], v[154:155]
	s_waitcnt lgkmcnt(1)
	v_mul_f64 v[44:45], v[30:31], v[168:169]
	v_add_f64 v[42:43], v[164:165], v[42:43]
	v_fmac_f64_e32 v[44:45], v[32:33], v[174:175]
	v_add_f64 v[42:43], v[42:43], v[44:45]
	v_mul_f64 v[8:9], v[110:111], v[40:41]
	v_fma_f64 v[18:19], v[108:109], v[38:39], -v[8:9]
	v_mul_f64 v[108:109], v[114:115], v[160:161]
	s_waitcnt vmcnt(2) lgkmcnt(0)
	v_mul_f64 v[44:45], v[34:35], v[156:157]
	v_fma_f64 v[14:15], v[184:185], v[60:61], -v[52:53]
	s_waitcnt vmcnt(0)
	v_fmac_f64_e32 v[44:45], v[36:37], v[158:159]
	v_add_f64 v[24:25], v[42:43], v[44:45]
	ds_read_b128 v[42:45], v228 offset:1568
	ds_read_b128 v[38:41], v228 offset:1584
	buffer_load_dword v160, off, s[0:3], 0 offset:680
	buffer_load_dword v165, off, s[0:3], 0 offset:668
	buffer_load_dword v164, off, s[0:3], 0 offset:664
	buffer_load_dword v167, off, s[0:3], 0 offset:660
	buffer_load_dword v166, off, s[0:3], 0 offset:656
	buffer_load_dword v168, off, s[0:3], 0 offset:672
	buffer_load_dword v161, off, s[0:3], 0 offset:684
	buffer_load_dword v169, off, s[0:3], 0 offset:676
	buffer_load_dword v119, off, s[0:3], 0 offset:716
	buffer_load_dword v118, off, s[0:3], 0 offset:712
	buffer_load_dword v177, off, s[0:3], 0 offset:700
	buffer_load_dword v176, off, s[0:3], 0 offset:696
	buffer_load_dword v179, off, s[0:3], 0 offset:692
	buffer_load_dword v178, off, s[0:3], 0 offset:688
	buffer_load_dword v175, off, s[0:3], 0 offset:708
	buffer_load_dword v174, off, s[0:3], 0 offset:704
	buffer_load_dword v170, off, s[0:3], 0 offset:744
	buffer_load_dword v172, off, s[0:3], 0 offset:736
	buffer_load_dword v181, off, s[0:3], 0 offset:732
	buffer_load_dword v180, off, s[0:3], 0 offset:728
	buffer_load_dword v183, off, s[0:3], 0 offset:724
	buffer_load_dword v182, off, s[0:3], 0 offset:720
	buffer_load_dword v171, off, s[0:3], 0 offset:748
	buffer_load_dword v173, off, s[0:3], 0 offset:740
	buffer_load_dword v185, off, s[0:3], 0 offset:764
	buffer_load_dword v184, off, s[0:3], 0 offset:760
	buffer_load_dword v187, off, s[0:3], 0 offset:756
	buffer_load_dword v186, off, s[0:3], 0 offset:752
	v_mul_f64 v[52:53], v[190:191], v[70:71]
	v_mul_f64 v[16:17], v[194:195], v[64:65]
	buffer_load_dword v190, off, s[0:3], 0 offset:776
	v_fma_f64 v[16:17], v[192:193], v[66:67], -v[16:17]
	buffer_load_dword v192, off, s[0:3], 0 offset:768
	buffer_load_dword v191, off, s[0:3], 0 offset:780
	;; [unrolled: 1-line block ×3, first 2 shown]
	v_fma_f64 v[10:11], v[188:189], v[72:73], -v[52:53]
	v_mul_f64 v[52:53], v[198:199], v[68:69]
	v_fma_f64 v[8:9], v[196:197], v[0:1], -v[52:53]
	buffer_load_dword v189, off, s[0:3], 0 offset:812
	buffer_load_dword v195, off, s[0:3], 0 offset:796
	;; [unrolled: 1-line block ×12, first 2 shown]
	v_mul_f64 v[20:21], v[48:49], v[80:81]
	v_accvgpr_write_b32 a202, v214
	v_fma_f64 v[20:21], v[46:47], v[82:83], -v[20:21]
	v_mul_f64 v[46:47], v[206:207], v[208:209]
	s_waitcnt lgkmcnt(1)
	v_mul_f64 v[12:13], v[42:43], v[214:215]
	v_accvgpr_write_b32 a203, v215
	v_fma_f64 v[6:7], v[204:205], v[210:211], -v[46:47]
	buffer_load_dword v206, off, s[0:3], 0 offset:840
	buffer_load_dword v208, off, s[0:3], 0 offset:832
	;; [unrolled: 1-line block ×12, first 2 shown]
	v_fmac_f64_e32 v[12:13], v[44:45], v[4:5]
	v_accvgpr_write_b32 a205, v5
	v_accvgpr_write_b32 a204, v4
	v_add_f64 v[4:5], v[24:25], v[12:13]
	v_mul_f64 v[12:13], v[218:219], v[84:85]
	v_fma_f64 v[12:13], v[216:217], v[86:87], -v[12:13]
	buffer_load_dword v217, off, s[0:3], 0 offset:892
	buffer_load_dword v216, off, s[0:3], 0 offset:888
	;; [unrolled: 1-line block ×4, first 2 shown]
	ds_read_b128 v[46:49], v228 offset:1600
	v_mul_f64 v[58:59], v[226:227], v[250:251]
	v_fma_f64 v[162:163], v[224:225], v[162:163], -v[58:59]
	v_mul_f64 v[2:3], v[232:233], v[2:3]
	ds_read_b128 v[70:73], v228 offset:1696
	v_mul_f64 v[82:83], v[244:245], v[88:89]
	v_fma_f64 v[0:1], v[242:243], v[92:93], -v[82:83]
	v_mul_f64 v[88:89], v[248:249], v[90:91]
	ds_read_b128 v[90:93], v228 offset:1760
	v_fma_f64 v[250:251], v[246:247], v[98:99], -v[88:89]
	v_mul_f64 v[94:95], v[254:255], v[94:95]
	v_fma_f64 v[252:253], v[252:253], v[96:97], -v[94:95]
	ds_read_b128 v[94:97], v228 offset:1792
	v_fma_f64 v[78:79], v[112:113], v[78:79], -v[108:109]
	v_add_f64 v[22:23], v[22:23], 0
	v_add_f64 v[18:19], v[22:23], v[18:19]
	;; [unrolled: 1-line block ×13, first 2 shown]
	v_accvgpr_read_b32 v8, a180
	v_accvgpr_read_b32 v9, a181
	ds_read_b128 v[58:61], v228 offset:1648
	ds_read_b128 v[82:85], v228 offset:1744
	s_waitcnt vmcnt(57) lgkmcnt(6)
	v_mul_f64 v[24:25], v[38:39], v[164:165]
	s_waitcnt vmcnt(55)
	v_fmac_f64_e32 v[24:25], v[40:41], v[166:167]
	v_add_f64 v[4:5], v[4:5], v[24:25]
	v_mul_f64 v[24:25], v[222:223], v[200:201]
	v_fma_f64 v[24:25], v[220:221], v[50:51], -v[24:25]
	ds_read_b128 v[50:53], v228 offset:1616
	s_waitcnt vmcnt(53) lgkmcnt(6)
	v_mul_f64 v[54:55], v[46:47], v[160:161]
	s_waitcnt vmcnt(52)
	v_fmac_f64_e32 v[54:55], v[48:49], v[168:169]
	v_add_f64 v[4:5], v[4:5], v[54:55]
	ds_read_b128 v[54:57], v228 offset:1632
	s_waitcnt vmcnt(48) lgkmcnt(1)
	v_mul_f64 v[64:65], v[50:51], v[176:177]
	s_waitcnt vmcnt(46)
	v_fmac_f64_e32 v[64:65], v[52:53], v[178:179]
	v_add_f64 v[4:5], v[4:5], v[64:65]
	v_fma_f64 v[200:201], v[230:231], v[62:63], -v[2:3]
	ds_read_b128 v[62:65], v228 offset:1664
	s_waitcnt lgkmcnt(1)
	v_mul_f64 v[66:67], v[54:55], v[118:119]
	s_waitcnt vmcnt(44)
	v_fmac_f64_e32 v[66:67], v[56:57], v[174:175]
	v_add_f64 v[2:3], v[4:5], v[66:67]
	ds_read_b128 v[66:69], v228 offset:1680
	s_waitcnt vmcnt(40)
	v_mul_f64 v[4:5], v[58:59], v[180:181]
	s_waitcnt vmcnt(38)
	v_fmac_f64_e32 v[4:5], v[60:61], v[182:183]
	v_add_f64 v[2:3], v[2:3], v[4:5]
	s_waitcnt vmcnt(37) lgkmcnt(1)
	v_mul_f64 v[4:5], v[62:63], v[170:171]
	s_waitcnt vmcnt(36)
	v_fmac_f64_e32 v[4:5], v[64:65], v[172:173]
	v_add_f64 v[2:3], v[2:3], v[4:5]
	v_mul_f64 v[4:5], v[236:237], v[100:101]
	v_fma_f64 v[234:235], v[234:235], v[102:103], -v[4:5]
	s_waitcnt vmcnt(34) lgkmcnt(0)
	v_mul_f64 v[4:5], v[66:67], v[184:185]
	s_waitcnt vmcnt(32)
	v_fmac_f64_e32 v[4:5], v[68:69], v[186:187]
	v_add_f64 v[2:3], v[2:3], v[4:5]
	v_mul_f64 v[4:5], v[240:241], v[104:105]
	v_fma_f64 v[240:241], v[238:239], v[106:107], -v[4:5]
	ds_read_b128 v[230:233], v228 offset:1712
	s_waitcnt vmcnt(29)
	v_mul_f64 v[4:5], v[70:71], v[190:191]
	s_waitcnt vmcnt(28)
	v_fmac_f64_e32 v[4:5], v[72:73], v[192:193]
	v_add_f64 v[86:87], v[2:3], v[4:5]
	ds_read_b128 v[2:5], v228 offset:1728
	s_waitcnt vmcnt(25) lgkmcnt(1)
	v_mul_f64 v[28:29], v[230:231], v[194:195]
	s_waitcnt vmcnt(23)
	v_fmac_f64_e32 v[28:29], v[232:233], v[26:27]
	v_add_f64 v[28:29], v[86:87], v[28:29]
	v_add_f64 v[6:7], v[6:7], v[24:25]
	s_waitcnt vmcnt(22) lgkmcnt(0)
	v_mul_f64 v[86:87], v[2:3], v[188:189]
	s_waitcnt vmcnt(20)
	v_fmac_f64_e32 v[86:87], v[4:5], v[198:199]
	v_add_f64 v[28:29], v[28:29], v[86:87]
	s_waitcnt vmcnt(18)
	v_mul_f64 v[86:87], v[82:83], v[196:197]
	s_waitcnt vmcnt(16)
	v_fmac_f64_e32 v[86:87], v[84:85], v[202:203]
	v_add_f64 v[28:29], v[28:29], v[86:87]
	ds_read_b128 v[86:89], v228 offset:1776
	s_waitcnt vmcnt(13)
	v_mul_f64 v[98:99], v[90:91], v[206:207]
	s_waitcnt vmcnt(12)
	v_fmac_f64_e32 v[98:99], v[92:93], v[208:209]
	v_add_f64 v[28:29], v[28:29], v[98:99]
	v_add_f64 v[6:7], v[6:7], v[162:163]
	s_waitcnt vmcnt(9) lgkmcnt(0)
	v_mul_f64 v[98:99], v[86:87], v[80:81]
	s_waitcnt vmcnt(7)
	v_fmac_f64_e32 v[98:99], v[88:89], v[214:215]
	v_add_f64 v[28:29], v[28:29], v[98:99]
	s_waitcnt vmcnt(5)
	v_mul_f64 v[98:99], v[94:95], v[204:205]
	s_waitcnt vmcnt(4)
	v_fmac_f64_e32 v[98:99], v[96:97], v[210:211]
	v_add_f64 v[28:29], v[28:29], v[98:99]
	ds_read_b128 v[98:101], v228 offset:1808
	buffer_load_dword v220, off, s[0:3], 0 offset:904
	buffer_load_dword v221, off, s[0:3], 0 offset:908
	;; [unrolled: 1-line block ×4, first 2 shown]
	v_add_f64 v[6:7], v[6:7], v[200:201]
	v_add_f64 v[6:7], v[6:7], v[234:235]
	;; [unrolled: 1-line block ×3, first 2 shown]
	s_waitcnt vmcnt(6) lgkmcnt(0)
	v_mul_f64 v[102:103], v[98:99], v[216:217]
	s_waitcnt vmcnt(4)
	v_fmac_f64_e32 v[102:103], v[100:101], v[218:219]
	v_add_f64 v[28:29], v[28:29], v[102:103]
	ds_read_b128 v[102:105], v228 offset:1824
	buffer_load_dword v225, off, s[0:3], 0 offset:924
	buffer_load_dword v224, off, s[0:3], 0 offset:920
	;; [unrolled: 1-line block ×4, first 2 shown]
	v_add_f64 v[254:255], v[6:7], v[0:1]
	v_accvgpr_read_b32 v6, a178
	v_accvgpr_read_b32 v7, a179
	v_add_f64 v[0:1], v[254:255], v[250:251]
	v_mul_f64 v[6:7], v[146:147], v[6:7]
	v_add_f64 v[0:1], v[0:1], v[252:253]
	v_fma_f64 v[6:7], v[144:145], v[8:9], -v[6:7]
	v_add_f64 v[0:1], v[0:1], v[6:7]
	v_accvgpr_read_b32 v6, a182
	v_accvgpr_read_b32 v7, a183
	v_accvgpr_read_b32 v8, a184
	v_mul_f64 v[6:7], v[142:143], v[6:7]
	v_accvgpr_read_b32 v9, a185
	v_fma_f64 v[6:7], v[140:141], v[8:9], -v[6:7]
	v_add_f64 v[0:1], v[0:1], v[6:7]
	v_accvgpr_read_b32 v6, a186
	v_accvgpr_read_b32 v7, a187
	v_accvgpr_read_b32 v8, a188
	v_mul_f64 v[6:7], v[138:139], v[6:7]
	v_accvgpr_read_b32 v9, a189
	;; [unrolled: 7-line block ×3, first 2 shown]
	v_fma_f64 v[6:7], v[132:133], v[8:9], -v[6:7]
	v_add_f64 v[0:1], v[0:1], v[6:7]
	v_mul_f64 v[6:7], v[130:131], v[148:149]
	v_fma_f64 v[6:7], v[128:129], v[150:151], -v[6:7]
	v_add_f64 v[0:1], v[0:1], v[6:7]
	v_accvgpr_read_b32 v6, a194
	v_accvgpr_read_b32 v7, a195
	v_accvgpr_read_b32 v8, a196
	v_mul_f64 v[6:7], v[126:127], v[6:7]
	v_accvgpr_read_b32 v9, a197
	v_fma_f64 v[6:7], v[124:125], v[8:9], -v[6:7]
	v_add_f64 v[0:1], v[0:1], v[6:7]
	v_mul_f64 v[6:7], v[122:123], v[152:153]
	v_fma_f64 v[6:7], v[120:121], v[154:155], -v[6:7]
	v_add_f64 v[0:1], v[0:1], v[6:7]
	v_accvgpr_read_b32 v6, a198
	v_accvgpr_read_b32 v7, a199
	v_accvgpr_read_b32 v8, a200
	v_mul_f64 v[6:7], v[32:33], v[6:7]
	v_accvgpr_read_b32 v9, a201
	;; [unrolled: 10-line block ×3, first 2 shown]
	v_fma_f64 v[6:7], v[42:43], v[8:9], -v[6:7]
	v_add_f64 v[0:1], v[0:1], v[6:7]
	v_mul_f64 v[6:7], v[40:41], v[164:165]
	v_fma_f64 v[6:7], v[38:39], v[166:167], -v[6:7]
	v_add_f64 v[0:1], v[0:1], v[6:7]
	v_mul_f64 v[6:7], v[48:49], v[160:161]
	;; [unrolled: 3-line block ×4, first 2 shown]
	s_waitcnt vmcnt(6) lgkmcnt(0)
	v_mul_f64 v[106:107], v[102:103], v[220:221]
	v_fma_f64 v[6:7], v[54:55], v[174:175], -v[6:7]
	s_waitcnt vmcnt(4)
	v_fmac_f64_e32 v[106:107], v[104:105], v[222:223]
	v_add_f64 v[28:29], v[28:29], v[106:107]
	ds_read_b128 v[106:109], v228 offset:1840
	buffer_load_dword v236, off, s[0:3], 0 offset:936
	buffer_load_dword v237, off, s[0:3], 0 offset:940
	;; [unrolled: 1-line block ×4, first 2 shown]
	v_add_f64 v[0:1], v[0:1], v[6:7]
	v_mul_f64 v[6:7], v[60:61], v[180:181]
	v_fma_f64 v[6:7], v[58:59], v[182:183], -v[6:7]
	s_waitcnt vmcnt(6) lgkmcnt(0)
	v_mul_f64 v[110:111], v[106:107], v[224:225]
	s_waitcnt vmcnt(4)
	v_fmac_f64_e32 v[110:111], v[108:109], v[226:227]
	v_add_f64 v[28:29], v[28:29], v[110:111]
	ds_read_b128 v[110:113], v228 offset:1856
	buffer_load_dword v243, off, s[0:3], 0 offset:956
	buffer_load_dword v242, off, s[0:3], 0 offset:952
	;; [unrolled: 1-line block ×4, first 2 shown]
	v_add_f64 v[0:1], v[0:1], v[6:7]
	v_mul_f64 v[6:7], v[64:65], v[170:171]
	v_fma_f64 v[6:7], v[62:63], v[172:173], -v[6:7]
	v_add_f64 v[0:1], v[0:1], v[6:7]
	v_mul_f64 v[6:7], v[68:69], v[184:185]
	v_fma_f64 v[6:7], v[66:67], v[186:187], -v[6:7]
	;; [unrolled: 3-line block ×4, first 2 shown]
	v_mul_f64 v[4:5], v[4:5], v[188:189]
	v_add_f64 v[0:1], v[0:1], v[6:7]
	v_fma_f64 v[2:3], v[2:3], v[198:199], -v[4:5]
	v_add_f64 v[0:1], v[0:1], v[2:3]
	v_mul_f64 v[2:3], v[84:85], v[196:197]
	v_fma_f64 v[2:3], v[82:83], v[202:203], -v[2:3]
	v_add_f64 v[0:1], v[0:1], v[2:3]
	v_mul_f64 v[2:3], v[92:93], v[206:207]
	;; [unrolled: 3-line block ×7, first 2 shown]
	v_fma_f64 v[2:3], v[106:107], v[226:227], -v[2:3]
	v_add_f64 v[0:1], v[0:1], v[2:3]
	s_waitcnt vmcnt(6) lgkmcnt(0)
	v_mul_f64 v[114:115], v[110:111], v[236:237]
	v_mul_f64 v[2:3], v[112:113], v[236:237]
	s_waitcnt vmcnt(4)
	v_fmac_f64_e32 v[114:115], v[112:113], v[238:239]
	v_add_f64 v[28:29], v[28:29], v[114:115]
	ds_read_b128 v[114:117], v228 offset:1872
	buffer_load_dword v248, off, s[0:3], 0 offset:144
	buffer_load_dword v249, off, s[0:3], 0 offset:148
	;; [unrolled: 1-line block ×4, first 2 shown]
	v_fma_f64 v[2:3], v[110:111], v[238:239], -v[2:3]
	v_add_f64 v[0:1], v[0:1], v[2:3]
	s_waitcnt vmcnt(6) lgkmcnt(0)
	v_mul_f64 v[2:3], v[116:117], v[242:243]
	v_mul_f64 v[228:229], v[114:115], v[242:243]
	s_waitcnt vmcnt(4)
	v_fma_f64 v[2:3], v[114:115], v[244:245], -v[2:3]
	v_fmac_f64_e32 v[228:229], v[116:117], v[244:245]
	v_add_f64 v[0:1], v[0:1], v[2:3]
	v_add_f64 v[228:229], v[28:29], v[228:229]
	s_waitcnt vmcnt(2)
	v_add_f64 v[0:1], v[248:249], -v[0:1]
	s_waitcnt vmcnt(0)
	v_add_f64 v[2:3], v[246:247], -v[228:229]
	buffer_store_dword v1, off, s[0:3], 0 offset:148
	buffer_store_dword v0, off, s[0:3], 0 offset:144
	;; [unrolled: 1-line block ×4, first 2 shown]
	v_accvgpr_read_b32 v0, a176
	v_cmp_lt_u32_e32 vcc, 7, v0
	s_and_saveexec_b64 s[4:5], vcc
	s_cbranch_execz .LBB122_353
; %bb.352:
	v_accvgpr_read_b32 v0, a169
	buffer_load_dword v2, v0, s[0:3], 0 offen
	buffer_load_dword v3, v0, s[0:3], 0 offen offset:4
	buffer_load_dword v4, v0, s[0:3], 0 offen offset:8
	;; [unrolled: 1-line block ×3, first 2 shown]
	v_mov_b32_e32 v0, 0
	v_accvgpr_read_b32 v1, a177
	buffer_store_dword v0, off, s[0:3], 0 offset:128
	buffer_store_dword v0, off, s[0:3], 0 offset:132
	;; [unrolled: 1-line block ×4, first 2 shown]
	s_waitcnt vmcnt(4)
	ds_write_b128 v1, v[2:5]
.LBB122_353:
	s_or_b64 exec, exec, s[4:5]
	s_waitcnt lgkmcnt(0)
	; wave barrier
	s_waitcnt lgkmcnt(0)
	buffer_load_dword v30, off, s[0:3], 0 offset:144
	buffer_load_dword v31, off, s[0:3], 0 offset:148
	;; [unrolled: 1-line block ×36, first 2 shown]
	v_mov_b32_e32 v154, 0
	buffer_load_dword v67, off, s[0:3], 0 offset:316
	buffer_load_dword v66, off, s[0:3], 0 offset:312
	;; [unrolled: 1-line block ×18, first 2 shown]
	ds_read_b128 v[114:117], v154 offset:1072
	ds_read_b128 v[158:161], v154 offset:1088
	;; [unrolled: 1-line block ×9, first 2 shown]
	s_waitcnt vmcnt(50) lgkmcnt(8)
	v_mul_f64 v[0:1], v[114:115], v[32:33]
	v_fmac_f64_e32 v[0:1], v[116:117], v[30:31]
	v_add_f64 v[0:1], v[0:1], 0
	v_mul_f64 v[32:33], v[116:117], v[32:33]
	s_waitcnt vmcnt(46) lgkmcnt(7)
	v_mul_f64 v[2:3], v[158:159], v[38:39]
	v_fmac_f64_e32 v[2:3], v[160:161], v[36:37]
	v_add_f64 v[0:1], v[0:1], v[2:3]
	buffer_load_dword v109, off, s[0:3], 0 offset:372
	buffer_load_dword v108, off, s[0:3], 0 offset:368
	;; [unrolled: 1-line block ×32, first 2 shown]
	s_waitcnt vmcnt(62) lgkmcnt(6)
	v_mul_f64 v[4:5], v[168:169], v[34:35]
	s_waitcnt lgkmcnt(4)
	v_mul_f64 v[8:9], v[176:177], v[40:41]
	v_fmac_f64_e32 v[8:9], v[178:179], v[42:43]
	v_mul_f64 v[38:39], v[160:161], v[38:39]
	v_mul_f64 v[6:7], v[172:173], v[44:45]
	v_fma_f64 v[212:213], v[158:159], v[36:37], -v[38:39]
	s_waitcnt lgkmcnt(2)
	v_mul_f64 v[12:13], v[184:185], v[48:49]
	v_mul_f64 v[34:35], v[170:171], v[34:35]
	v_fmac_f64_e32 v[12:13], v[186:187], v[50:51]
	v_mul_f64 v[10:11], v[180:181], v[56:57]
	s_waitcnt lgkmcnt(1)
	v_mul_f64 v[14:15], v[188:189], v[52:53]
	s_waitcnt vmcnt(60)
	v_fmac_f64_e32 v[4:5], v[170:171], v[62:63]
	v_add_f64 v[0:1], v[0:1], v[4:5]
	s_waitcnt vmcnt(58)
	v_fmac_f64_e32 v[6:7], v[174:175], v[60:61]
	v_add_f64 v[0:1], v[0:1], v[6:7]
	v_add_f64 v[0:1], v[0:1], v[8:9]
	s_waitcnt vmcnt(56)
	v_fmac_f64_e32 v[10:11], v[182:183], v[58:59]
	v_add_f64 v[0:1], v[0:1], v[10:11]
	;; [unrolled: 4-line block ×3, first 2 shown]
	s_waitcnt vmcnt(0)
	v_pk_mov_b32 v[4:5], v[2:3], v[2:3] op_sel:[0,1]
	buffer_load_dword v3, off, s[0:3], 0 offset:500
	buffer_load_dword v2, off, s[0:3], 0 offset:496
	v_accvgpr_write_b32 a179, v5
	v_accvgpr_write_b32 a178, v4
	s_waitcnt vmcnt(0)
	v_pk_mov_b32 v[8:9], v[2:3], v[2:3] op_sel:[0,1]
	buffer_load_dword v95, off, s[0:3], 0 offset:492
	buffer_load_dword v94, off, s[0:3], 0 offset:488
	;; [unrolled: 1-line block ×6, first 2 shown]
	v_accvgpr_write_b32 a181, v9
	v_accvgpr_write_b32 a180, v8
	s_waitcnt vmcnt(0)
	v_pk_mov_b32 v[12:13], v[2:3], v[2:3] op_sel:[0,1]
	buffer_load_dword v3, off, s[0:3], 0 offset:532
	buffer_load_dword v2, off, s[0:3], 0 offset:528
	v_accvgpr_write_b32 a187, v13
	v_accvgpr_write_b32 a186, v12
	s_waitcnt vmcnt(0)
	v_pk_mov_b32 v[16:17], v[2:3], v[2:3] op_sel:[0,1]
	buffer_load_dword v3, off, s[0:3], 0 offset:524
	buffer_load_dword v2, off, s[0:3], 0 offset:520
	;; [unrolled: 6-line block ×10, first 2 shown]
	buffer_load_dword v3, off, s[0:3], 0 offset:580
	buffer_load_dword v2, off, s[0:3], 0 offset:576
	ds_read_b128 v[196:199], v154 offset:1216
	ds_read_b128 v[200:203], v154 offset:1232
	;; [unrolled: 1-line block ×8, first 2 shown]
	buffer_load_dword v231, off, s[0:3], 0 offset:636
	buffer_load_dword v151, off, s[0:3], 0 offset:620
	;; [unrolled: 1-line block ×8, first 2 shown]
	ds_read_b128 v[236:239], v154 offset:1344
	ds_read_b128 v[240:243], v154 offset:1360
	;; [unrolled: 1-line block ×10, first 2 shown]
	s_waitcnt lgkmcnt(5)
	v_mul_f64 v[6:7], v[252:253], v[94:95]
	v_fmac_f64_e32 v[6:7], v[254:255], v[96:97]
	s_waitcnt lgkmcnt(4)
	v_mul_f64 v[10:11], v[120:121], v[4:5]
	v_fmac_f64_e32 v[10:11], v[122:123], v[8:9]
	s_waitcnt lgkmcnt(3)
	v_mul_f64 v[14:15], v[124:125], v[18:19]
	s_waitcnt lgkmcnt(1)
	v_mul_f64 v[26:27], v[132:133], v[140:141]
	v_fmac_f64_e32 v[14:15], v[126:127], v[24:25]
	v_mul_f64 v[18:19], v[128:129], v[12:13]
	v_fmac_f64_e32 v[26:27], v[134:135], v[142:143]
	ds_read_b128 v[140:143], v154 offset:1504
	v_fmac_f64_e32 v[18:19], v[130:131], v[16:17]
	v_fma_f64 v[24:25], v[114:115], v[30:31], -v[32:33]
	ds_read_b128 v[30:33], v154 offset:1536
	v_accvgpr_write_b32 a203, v163
	v_accvgpr_write_b32 a202, v162
	v_mul_f64 v[4:5], v[182:183], v[56:57]
	v_mul_f64 v[94:95], v[254:255], v[94:95]
	v_add_f64 v[24:25], v[24:25], 0
	v_add_f64 v[24:25], v[24:25], v[212:213]
	s_waitcnt vmcnt(8)
	v_pk_mov_b32 v[144:145], v[2:3], v[2:3] op_sel:[0,1]
	v_mul_f64 v[2:3], v[192:193], v[46:47]
	v_fmac_f64_e32 v[2:3], v[194:195], v[64:65]
	v_add_f64 v[0:1], v[0:1], v[2:3]
	v_mul_f64 v[2:3], v[196:197], v[70:71]
	v_fmac_f64_e32 v[2:3], v[198:199], v[72:73]
	v_add_f64 v[0:1], v[0:1], v[2:3]
	;; [unrolled: 3-line block ×13, first 2 shown]
	v_add_f64 v[0:1], v[0:1], v[6:7]
	v_add_f64 v[0:1], v[0:1], v[10:11]
	;; [unrolled: 1-line block ×5, first 2 shown]
	s_waitcnt lgkmcnt(2)
	v_mul_f64 v[26:27], v[136:137], v[20:21]
	v_fmac_f64_e32 v[26:27], v[138:139], v[22:23]
	v_add_f64 v[0:1], v[0:1], v[26:27]
	s_waitcnt lgkmcnt(1)
	v_mul_f64 v[26:27], v[140:141], v[28:29]
	v_accvgpr_write_b32 a199, v145
	v_fmac_f64_e32 v[26:27], v[142:143], v[144:145]
	v_accvgpr_write_b32 a198, v144
	ds_read_b128 v[144:147], v154 offset:1520
	v_add_f64 v[0:1], v[0:1], v[26:27]
	s_waitcnt vmcnt(5) lgkmcnt(1)
	v_mul_f64 v[38:39], v[30:31], v[150:151]
	s_waitcnt vmcnt(3)
	v_fmac_f64_e32 v[38:39], v[32:33], v[148:149]
	v_fma_f64 v[20:21], v[180:181], v[58:59], -v[4:5]
	s_waitcnt lgkmcnt(0)
	v_mul_f64 v[114:115], v[144:145], v[156:157]
	v_fmac_f64_e32 v[114:115], v[146:147], v[162:163]
	buffer_load_dword v157, off, s[0:3], 0 offset:668
	buffer_load_dword v156, off, s[0:3], 0 offset:664
	;; [unrolled: 1-line block ×8, first 2 shown]
	v_add_f64 v[0:1], v[0:1], v[114:115]
	v_fma_f64 v[114:115], v[168:169], v[62:63], -v[34:35]
	buffer_load_dword v160, off, s[0:3], 0 offset:696
	buffer_load_dword v165, off, s[0:3], 0 offset:684
	;; [unrolled: 1-line block ×5, first 2 shown]
	v_mul_f64 v[34:35], v[174:175], v[44:45]
	v_fma_f64 v[116:117], v[172:173], v[60:61], -v[34:35]
	ds_read_b128 v[34:37], v154 offset:1552
	buffer_load_dword v170, off, s[0:3], 0 offset:688
	buffer_load_dword v161, off, s[0:3], 0 offset:700
	;; [unrolled: 1-line block ×3, first 2 shown]
	v_add_f64 v[0:1], v[0:1], v[38:39]
	v_mul_f64 v[4:5], v[186:187], v[48:49]
	v_fma_f64 v[18:19], v[184:185], v[50:51], -v[4:5]
	s_waitcnt vmcnt(18) lgkmcnt(0)
	v_mul_f64 v[38:39], v[34:35], v[230:231]
	s_waitcnt vmcnt(16)
	v_fmac_f64_e32 v[38:39], v[36:37], v[152:153]
	v_add_f64 v[60:61], v[0:1], v[38:39]
	v_mul_f64 v[0:1], v[178:179], v[40:41]
	v_fma_f64 v[22:23], v[176:177], v[42:43], -v[0:1]
	buffer_load_dword v173, off, s[0:3], 0 offset:732
	buffer_load_dword v175, off, s[0:3], 0 offset:716
	;; [unrolled: 1-line block ×8, first 2 shown]
	ds_read_b128 v[38:41], v154 offset:1568
	buffer_load_dword v181, off, s[0:3], 0 offset:748
	buffer_load_dword v180, off, s[0:3], 0 offset:744
	;; [unrolled: 1-line block ×4, first 2 shown]
	v_mul_f64 v[4:5], v[190:191], v[52:53]
	v_fma_f64 v[16:17], v[188:189], v[54:55], -v[4:5]
	buffer_load_dword v185, off, s[0:3], 0 offset:764
	buffer_load_dword v184, off, s[0:3], 0 offset:760
	;; [unrolled: 1-line block ×8, first 2 shown]
	v_mul_f64 v[4:5], v[194:195], v[46:47]
	v_fma_f64 v[14:15], v[192:193], v[64:65], -v[4:5]
	buffer_load_dword v192, off, s[0:3], 0 offset:792
	buffer_load_dword v194, off, s[0:3], 0 offset:784
	;; [unrolled: 1-line block ×4, first 2 shown]
	v_mul_f64 v[4:5], v[198:199], v[70:71]
	v_fma_f64 v[12:13], v[196:197], v[72:73], -v[4:5]
	v_mul_f64 v[4:5], v[202:203], v[66:67]
	buffer_load_dword v197, off, s[0:3], 0 offset:812
	buffer_load_dword v196, off, s[0:3], 0 offset:808
	;; [unrolled: 1-line block ×4, first 2 shown]
	v_fma_f64 v[10:11], v[200:201], v[68:69], -v[4:5]
	v_mul_f64 v[4:5], v[206:207], v[100:101]
	v_fma_f64 v[8:9], v[204:205], v[104:105], -v[4:5]
	buffer_load_dword v203, off, s[0:3], 0 offset:828
	buffer_load_dword v202, off, s[0:3], 0 offset:824
	;; [unrolled: 1-line block ×4, first 2 shown]
	v_mul_f64 v[4:5], v[210:211], v[92:93]
	v_fma_f64 v[6:7], v[208:209], v[76:77], -v[4:5]
	buffer_load_dword v201, off, s[0:3], 0 offset:860
	buffer_load_dword v207, off, s[0:3], 0 offset:844
	;; [unrolled: 1-line block ×12, first 2 shown]
	ds_read_b128 v[42:45], v154 offset:1584
	v_mul_f64 v[46:47], v[218:219], v[118:119]
	v_fma_f64 v[118:119], v[216:217], v[228:229], -v[46:47]
	ds_read_b128 v[46:49], v154 offset:1600
	v_mul_f64 v[54:55], v[222:223], v[74:75]
	v_fma_f64 v[228:229], v[220:221], v[108:109], -v[54:55]
	v_mul_f64 v[58:59], v[226:227], v[110:111]
	v_fma_f64 v[218:219], v[224:225], v[112:113], -v[58:59]
	;; [unrolled: 2-line block ×3, first 2 shown]
	ds_read_b128 v[66:69], v154 offset:1680
	ds_read_b128 v[54:57], v154 offset:1632
	v_mul_f64 v[70:71], v[238:239], v[102:103]
	v_fma_f64 v[2:3], v[236:237], v[106:107], -v[70:71]
	v_mul_f64 v[78:79], v[242:243], v[78:79]
	v_fma_f64 v[0:1], v[240:241], v[80:81], -v[78:79]
	;; [unrolled: 2-line block ×3, first 2 shown]
	ds_read_b128 v[82:85], v154 offset:1744
	v_mul_f64 v[86:87], v[250:251], v[86:87]
	v_fma_f64 v[248:249], v[248:249], v[88:89], -v[86:87]
	ds_read_b128 v[86:89], v154 offset:1760
	ds_read_b128 v[70:73], v154 offset:1696
	buffer_load_dword v216, off, s[0:3], 0 offset:888
	v_fma_f64 v[250:251], v[252:253], v[96:97], -v[94:95]
	v_add_f64 v[24:25], v[24:25], v[114:115]
	v_add_f64 v[24:25], v[24:25], v[116:117]
	;; [unrolled: 1-line block ×8, first 2 shown]
	ds_read_b128 v[78:81], v154 offset:1728
	v_add_f64 v[10:11], v[12:13], v[10:11]
	v_add_f64 v[8:9], v[10:11], v[8:9]
	;; [unrolled: 1-line block ×6, first 2 shown]
	s_waitcnt vmcnt(55) lgkmcnt(8)
	v_mul_f64 v[50:51], v[38:39], v[162:163]
	s_waitcnt lgkmcnt(7)
	v_mul_f64 v[52:53], v[42:43], v[156:157]
	s_waitcnt vmcnt(53)
	v_fmac_f64_e32 v[50:51], v[40:41], v[166:167]
	v_add_f64 v[50:51], v[60:61], v[50:51]
	v_fmac_f64_e32 v[52:53], v[44:45], v[158:159]
	v_add_f64 v[50:51], v[50:51], v[52:53]
	s_waitcnt vmcnt(50) lgkmcnt(6)
	v_mul_f64 v[52:53], v[46:47], v[164:165]
	s_waitcnt vmcnt(48)
	v_fmac_f64_e32 v[52:53], v[48:49], v[168:169]
	v_add_f64 v[62:63], v[50:51], v[52:53]
	ds_read_b128 v[50:53], v154 offset:1616
	ds_read_b128 v[58:61], v154 offset:1648
	;; [unrolled: 1-line block ×3, first 2 shown]
	v_add_f64 v[4:5], v[6:7], v[4:5]
	v_add_f64 v[2:3], v[4:5], v[2:3]
	s_waitcnt vmcnt(46) lgkmcnt(2)
	v_mul_f64 v[64:65], v[50:51], v[160:161]
	s_waitcnt vmcnt(45)
	v_fmac_f64_e32 v[64:65], v[52:53], v[170:171]
	v_add_f64 v[62:63], v[62:63], v[64:65]
	s_waitcnt vmcnt(42)
	v_mul_f64 v[64:65], v[54:55], v[174:175]
	s_waitcnt vmcnt(40)
	v_fmac_f64_e32 v[64:65], v[56:57], v[178:179]
	v_add_f64 v[62:63], v[62:63], v[64:65]
	s_waitcnt vmcnt(39) lgkmcnt(1)
	v_mul_f64 v[64:65], v[58:59], v[172:173]
	s_waitcnt vmcnt(37)
	v_fmac_f64_e32 v[64:65], v[60:61], v[176:177]
	v_add_f64 v[74:75], v[62:63], v[64:65]
	ds_read_b128 v[62:65], v154 offset:1664
	v_add_f64 v[0:1], v[2:3], v[0:1]
	v_add_f64 v[2:3], v[0:1], v[246:247]
	v_accvgpr_read_b32 v4, a178
	v_accvgpr_read_b32 v5, a179
	s_waitcnt vmcnt(35) lgkmcnt(0)
	v_mul_f64 v[76:77], v[62:63], v[180:181]
	s_waitcnt vmcnt(33)
	v_fmac_f64_e32 v[76:77], v[64:65], v[182:183]
	v_add_f64 v[74:75], v[74:75], v[76:77]
	s_waitcnt vmcnt(31)
	v_mul_f64 v[76:77], v[66:67], v[184:185]
	s_waitcnt vmcnt(29)
	v_fmac_f64_e32 v[76:77], v[68:69], v[188:189]
	v_add_f64 v[74:75], v[74:75], v[76:77]
	s_waitcnt vmcnt(27)
	v_mul_f64 v[76:77], v[70:71], v[186:187]
	s_waitcnt vmcnt(25)
	v_fmac_f64_e32 v[76:77], v[72:73], v[190:191]
	v_add_f64 v[90:91], v[74:75], v[76:77]
	ds_read_b128 v[74:77], v154 offset:1712
	s_waitcnt vmcnt(10)
	v_mul_f64 v[100:101], v[86:87], v[206:207]
	s_waitcnt vmcnt(8)
	v_fmac_f64_e32 v[100:101], v[88:89], v[26:27]
	v_accvgpr_read_b32 v6, a180
	v_mul_f64 v[4:5], v[122:123], v[4:5]
	s_waitcnt lgkmcnt(0)
	v_mul_f64 v[92:93], v[74:75], v[192:193]
	v_fmac_f64_e32 v[92:93], v[76:77], v[194:195]
	v_add_f64 v[90:91], v[90:91], v[92:93]
	v_mul_f64 v[92:93], v[78:79], v[196:197]
	v_fmac_f64_e32 v[92:93], v[80:81], v[198:199]
	v_add_f64 v[90:91], v[90:91], v[92:93]
	;; [unrolled: 3-line block ×3, first 2 shown]
	ds_read_b128 v[90:93], v154 offset:1776
	buffer_load_dword v254, off, s[0:3], 0 offset:880
	buffer_load_dword v217, off, s[0:3], 0 offset:892
	;; [unrolled: 1-line block ×3, first 2 shown]
	v_add_f64 v[98:99], v[98:99], v[100:101]
	v_accvgpr_read_b32 v7, a181
	v_fma_f64 v[4:5], v[120:121], v[6:7], -v[4:5]
	s_waitcnt vmcnt(10) lgkmcnt(0)
	v_mul_f64 v[100:101], v[90:91], v[200:201]
	s_waitcnt vmcnt(8)
	v_fmac_f64_e32 v[100:101], v[92:93], v[210:211]
	v_add_f64 v[98:99], v[98:99], v[100:101]
	s_waitcnt vmcnt(6)
	v_mul_f64 v[100:101], v[94:95], v[208:209]
	s_waitcnt vmcnt(4)
	v_fmac_f64_e32 v[100:101], v[96:97], v[214:215]
	v_add_f64 v[102:103], v[98:99], v[100:101]
	ds_read_b128 v[98:101], v154 offset:1808
	buffer_load_dword v221, off, s[0:3], 0 offset:908
	buffer_load_dword v220, off, s[0:3], 0 offset:904
	;; [unrolled: 1-line block ×4, first 2 shown]
	v_accvgpr_read_b32 v6, a184
	v_accvgpr_read_b32 v7, a185
	s_waitcnt vmcnt(5) lgkmcnt(0)
	v_mul_f64 v[104:105], v[98:99], v[216:217]
	s_waitcnt vmcnt(4)
	v_fmac_f64_e32 v[104:105], v[100:101], v[254:255]
	v_add_f64 v[106:107], v[102:103], v[104:105]
	ds_read_b128 v[102:105], v154 offset:1824
	buffer_load_dword v224, off, s[0:3], 0 offset:920
	buffer_load_dword v225, off, s[0:3], 0 offset:924
	buffer_load_dword v226, off, s[0:3], 0 offset:912
	buffer_load_dword v227, off, s[0:3], 0 offset:916
	s_waitcnt vmcnt(6) lgkmcnt(0)
	v_mul_f64 v[108:109], v[102:103], v[220:221]
	s_waitcnt vmcnt(4)
	v_fmac_f64_e32 v[108:109], v[104:105], v[222:223]
	v_add_f64 v[110:111], v[106:107], v[108:109]
	ds_read_b128 v[106:109], v154 offset:1840
	buffer_load_dword v237, off, s[0:3], 0 offset:940
	buffer_load_dword v236, off, s[0:3], 0 offset:936
	buffer_load_dword v239, off, s[0:3], 0 offset:932
	buffer_load_dword v238, off, s[0:3], 0 offset:928
	;; [unrolled: 10-line block ×4, first 2 shown]
	s_waitcnt vmcnt(6) lgkmcnt(0)
	v_mul_f64 v[252:253], v[232:233], v[242:243]
	s_waitcnt vmcnt(4)
	v_fmac_f64_e32 v[252:253], v[234:235], v[244:245]
	v_add_f64 v[240:241], v[240:241], v[252:253]
	v_add_f64 v[252:253], v[2:3], v[248:249]
	v_add_f64 v[2:3], v[252:253], v[250:251]
	v_add_f64 v[2:3], v[2:3], v[4:5]
	v_accvgpr_read_b32 v4, a182
	v_accvgpr_read_b32 v5, a183
	v_mul_f64 v[4:5], v[126:127], v[4:5]
	v_fma_f64 v[4:5], v[124:125], v[6:7], -v[4:5]
	v_add_f64 v[2:3], v[2:3], v[4:5]
	v_accvgpr_read_b32 v4, a186
	v_accvgpr_read_b32 v5, a187
	v_accvgpr_read_b32 v6, a188
	v_mul_f64 v[4:5], v[130:131], v[4:5]
	v_accvgpr_read_b32 v7, a189
	v_fma_f64 v[4:5], v[128:129], v[6:7], -v[4:5]
	v_add_f64 v[2:3], v[2:3], v[4:5]
	v_accvgpr_read_b32 v4, a190
	v_accvgpr_read_b32 v5, a191
	v_accvgpr_read_b32 v6, a192
	v_mul_f64 v[4:5], v[134:135], v[4:5]
	v_accvgpr_read_b32 v7, a193
	;; [unrolled: 7-line block ×3, first 2 shown]
	v_fma_f64 v[4:5], v[136:137], v[6:7], -v[4:5]
	v_accvgpr_read_b32 v6, a198
	v_add_f64 v[2:3], v[2:3], v[4:5]
	v_mul_f64 v[4:5], v[142:143], v[28:29]
	v_accvgpr_read_b32 v7, a199
	v_fma_f64 v[4:5], v[140:141], v[6:7], -v[4:5]
	v_add_f64 v[2:3], v[2:3], v[4:5]
	v_accvgpr_read_b32 v4, a200
	v_accvgpr_read_b32 v5, a201
	;; [unrolled: 1-line block ×3, first 2 shown]
	v_mul_f64 v[4:5], v[146:147], v[4:5]
	v_accvgpr_read_b32 v7, a203
	v_fma_f64 v[4:5], v[144:145], v[6:7], -v[4:5]
	v_add_f64 v[2:3], v[2:3], v[4:5]
	v_mul_f64 v[4:5], v[32:33], v[150:151]
	v_fma_f64 v[4:5], v[30:31], v[148:149], -v[4:5]
	v_add_f64 v[2:3], v[2:3], v[4:5]
	v_mul_f64 v[4:5], v[36:37], v[230:231]
	;; [unrolled: 3-line block ×22, first 2 shown]
	v_fma_f64 v[4:5], v[232:233], v[244:245], -v[4:5]
	v_add_f64 v[2:3], v[2:3], v[4:5]
	s_waitcnt vmcnt(2)
	v_add_f64 v[0:1], v[0:1], -v[2:3]
	s_waitcnt vmcnt(0)
	v_add_f64 v[2:3], v[246:247], -v[240:241]
	buffer_store_dword v1, off, s[0:3], 0 offset:132
	buffer_store_dword v0, off, s[0:3], 0 offset:128
	;; [unrolled: 1-line block ×4, first 2 shown]
	v_accvgpr_read_b32 v0, a176
	v_cmp_lt_u32_e32 vcc, 6, v0
	s_and_saveexec_b64 s[4:5], vcc
	s_cbranch_execz .LBB122_355
; %bb.354:
	v_accvgpr_read_b32 v0, a170
	buffer_load_dword v2, v0, s[0:3], 0 offen
	buffer_load_dword v3, v0, s[0:3], 0 offen offset:4
	buffer_load_dword v4, v0, s[0:3], 0 offen offset:8
	buffer_load_dword v5, v0, s[0:3], 0 offen offset:12
	v_accvgpr_read_b32 v0, a177
	buffer_store_dword v154, off, s[0:3], 0 offset:112
	buffer_store_dword v154, off, s[0:3], 0 offset:116
	;; [unrolled: 1-line block ×4, first 2 shown]
	s_waitcnt vmcnt(4)
	ds_write_b128 v0, v[2:5]
.LBB122_355:
	s_or_b64 exec, exec, s[4:5]
	s_waitcnt lgkmcnt(0)
	; wave barrier
	s_waitcnt lgkmcnt(0)
	buffer_load_dword v22, off, s[0:3], 0 offset:128
	buffer_load_dword v23, off, s[0:3], 0 offset:132
	;; [unrolled: 1-line block ×36, first 2 shown]
	ds_read_b128 v[18:21], v154 offset:1056
	ds_read_b128 v[26:29], v154 offset:1072
	;; [unrolled: 1-line block ×9, first 2 shown]
	buffer_load_dword v91, off, s[0:3], 0 offset:300
	buffer_load_dword v90, off, s[0:3], 0 offset:296
	;; [unrolled: 1-line block ×19, first 2 shown]
	s_waitcnt vmcnt(51) lgkmcnt(8)
	v_mul_f64 v[0:1], v[18:19], v[24:25]
	v_fmac_f64_e32 v[0:1], v[20:21], v[22:23]
	v_add_f64 v[0:1], v[0:1], 0
	v_mul_f64 v[20:21], v[20:21], v[24:25]
	s_waitcnt vmcnt(47) lgkmcnt(7)
	v_mul_f64 v[2:3], v[26:27], v[162:163]
	v_fmac_f64_e32 v[2:3], v[28:29], v[160:161]
	v_add_f64 v[0:1], v[0:1], v[2:3]
	buffer_load_dword v104, off, s[0:3], 0 offset:352
	buffer_load_dword v145, off, s[0:3], 0 offset:348
	;; [unrolled: 1-line block ×39, first 2 shown]
	s_waitcnt vmcnt(62) lgkmcnt(6)
	v_mul_f64 v[4:5], v[54:55], v[158:159]
	s_waitcnt lgkmcnt(4)
	v_mul_f64 v[8:9], v[34:35], v[64:65]
	v_fmac_f64_e32 v[8:9], v[36:37], v[66:67]
	v_mul_f64 v[28:29], v[28:29], v[162:163]
	v_mul_f64 v[6:7], v[30:31], v[68:69]
	s_waitcnt lgkmcnt(2)
	v_mul_f64 v[12:13], v[50:51], v[74:75]
	v_fmac_f64_e32 v[12:13], v[52:53], v[76:77]
	v_mul_f64 v[52:53], v[52:53], v[74:75]
	v_mul_f64 v[10:11], v[38:39], v[80:81]
	s_waitcnt lgkmcnt(1)
	v_mul_f64 v[14:15], v[46:47], v[72:73]
	v_fmac_f64_e32 v[4:5], v[56:57], v[164:165]
	v_add_f64 v[0:1], v[0:1], v[4:5]
	v_fmac_f64_e32 v[6:7], v[32:33], v[166:167]
	v_add_f64 v[0:1], v[0:1], v[6:7]
	;; [unrolled: 2-line block ×3, first 2 shown]
	v_add_f64 v[0:1], v[0:1], v[10:11]
	v_fmac_f64_e32 v[14:15], v[48:49], v[78:79]
	v_add_f64 v[0:1], v[0:1], v[12:13]
	v_add_f64 v[0:1], v[0:1], v[14:15]
	v_mul_f64 v[56:57], v[56:57], v[158:159]
	v_mul_f64 v[32:33], v[32:33], v[68:69]
	;; [unrolled: 1-line block ×3, first 2 shown]
	s_waitcnt vmcnt(0)
	v_pk_mov_b32 v[122:123], v[2:3], v[2:3] op_sel:[0,1]
	buffer_load_dword v3, off, s[0:3], 0 offset:516
	buffer_load_dword v2, off, s[0:3], 0 offset:512
	v_accvgpr_write_b32 a185, v123
	v_accvgpr_write_b32 a184, v122
	s_waitcnt vmcnt(0)
	v_pk_mov_b32 v[126:127], v[2:3], v[2:3] op_sel:[0,1]
	buffer_load_dword v3, off, s[0:3], 0 offset:508
	buffer_load_dword v2, off, s[0:3], 0 offset:504
	v_accvgpr_write_b32 a187, v127
	v_accvgpr_write_b32 a186, v126
	s_waitcnt vmcnt(0)
	v_pk_mov_b32 v[16:17], v[2:3], v[2:3] op_sel:[0,1]
	buffer_load_dword v3, off, s[0:3], 0 offset:500
	buffer_load_dword v2, off, s[0:3], 0 offset:496
	v_pk_mov_b32 v[156:157], v[16:17], v[16:17] op_sel:[0,1]
	s_waitcnt vmcnt(0)
	v_pk_mov_b32 v[128:129], v[2:3], v[2:3] op_sel:[0,1]
	buffer_load_dword v3, off, s[0:3], 0 offset:556
	buffer_load_dword v2, off, s[0:3], 0 offset:552
	v_accvgpr_write_b32 a183, v129
	v_accvgpr_write_b32 a182, v128
	s_waitcnt vmcnt(0)
	v_pk_mov_b32 v[150:151], v[2:3], v[2:3] op_sel:[0,1]
	buffer_load_dword v3, off, s[0:3], 0 offset:548
	buffer_load_dword v2, off, s[0:3], 0 offset:544
	v_accvgpr_write_b32 a193, v151
	v_accvgpr_write_b32 a192, v150
	;; [unrolled: 6-line block ×7, first 2 shown]
	s_waitcnt vmcnt(0)
	v_pk_mov_b32 v[182:183], v[2:3], v[2:3] op_sel:[0,1]
	buffer_load_dword v3, off, s[0:3], 0 offset:564
	buffer_load_dword v2, off, s[0:3], 0 offset:560
	ds_read_b128 v[184:187], v154 offset:1200
	ds_read_b128 v[196:199], v154 offset:1216
	;; [unrolled: 1-line block ×9, first 2 shown]
	v_accvgpr_write_b32 a197, v183
	v_accvgpr_write_b32 a196, v182
	s_waitcnt lgkmcnt(1)
	v_mul_f64 v[4:5], v[242:243], v[220:221]
	v_fmac_f64_e32 v[4:5], v[244:245], v[222:223]
	s_waitcnt vmcnt(0)
	v_pk_mov_b32 v[190:191], v[2:3], v[2:3] op_sel:[0,1]
	v_mul_f64 v[2:3], v[42:43], v[70:71]
	v_fmac_f64_e32 v[2:3], v[44:45], v[188:189]
	v_add_f64 v[0:1], v[0:1], v[2:3]
	v_mul_f64 v[2:3], v[184:185], v[94:95]
	v_fmac_f64_e32 v[2:3], v[186:187], v[98:99]
	v_add_f64 v[0:1], v[0:1], v[2:3]
	;; [unrolled: 3-line block ×8, first 2 shown]
	buffer_load_dword v1, off, s[0:3], 0 offset:604
	buffer_load_dword v0, off, s[0:3], 0 offset:600
	;; [unrolled: 1-line block ×4, first 2 shown]
	ds_read_b128 v[250:253], v154 offset:1344
	buffer_load_dword v231, off, s[0:3], 0 offset:620
	buffer_load_dword v230, off, s[0:3], 0 offset:616
	;; [unrolled: 1-line block ×8, first 2 shown]
	ds_read_b128 v[118:121], v154 offset:1360
	ds_read_b128 v[58:61], v154 offset:1376
	v_add_f64 v[2:3], v[2:3], v[4:5]
	s_waitcnt lgkmcnt(3)
	v_mul_f64 v[4:5], v[246:247], v[224:225]
	v_fmac_f64_e32 v[4:5], v[248:249], v[226:227]
	v_add_f64 v[2:3], v[2:3], v[4:5]
	s_waitcnt lgkmcnt(2)
	v_mul_f64 v[4:5], v[250:251], v[114:115]
	v_fmac_f64_e32 v[4:5], v[252:253], v[116:117]
	ds_read_b128 v[82:85], v154 offset:1392
	ds_read_b128 v[86:89], v154 offset:1408
	v_add_f64 v[2:3], v[2:3], v[4:5]
	s_waitcnt lgkmcnt(3)
	v_mul_f64 v[4:5], v[118:119], v[216:217]
	v_fmac_f64_e32 v[4:5], v[120:121], v[218:219]
	v_add_f64 v[2:3], v[2:3], v[4:5]
	s_waitcnt lgkmcnt(2)
	v_mul_f64 v[4:5], v[58:59], v[106:107]
	v_fmac_f64_e32 v[4:5], v[60:61], v[110:111]
	;; [unrolled: 4-line block ×3, first 2 shown]
	v_add_f64 v[6:7], v[2:3], v[4:5]
	ds_read_b128 v[2:5], v154 offset:1424
	ds_read_b128 v[138:141], v154 offset:1440
	buffer_load_dword v125, off, s[0:3], 0 offset:652
	buffer_load_dword v124, off, s[0:3], 0 offset:648
	ds_read_b128 v[134:137], v154 offset:1456
	ds_read_b128 v[130:133], v154 offset:1472
	s_waitcnt lgkmcnt(4)
	v_mul_f64 v[8:9], v[86:87], v[96:97]
	s_waitcnt lgkmcnt(3)
	v_mul_f64 v[12:13], v[2:3], v[16:17]
	;; [unrolled: 2-line block ×3, first 2 shown]
	v_fmac_f64_e32 v[8:9], v[88:89], v[100:101]
	v_fmac_f64_e32 v[12:13], v[4:5], v[128:129]
	;; [unrolled: 1-line block ×3, first 2 shown]
	ds_read_b128 v[126:129], v154 offset:1488
	s_waitcnt lgkmcnt(1)
	v_mul_f64 v[24:25], v[130:131], v[150:151]
	v_add_f64 v[10:11], v[6:7], v[8:9]
	v_fmac_f64_e32 v[24:25], v[132:133], v[152:153]
	ds_read_b128 v[150:153], v154 offset:1504
	v_add_f64 v[14:15], v[10:11], v[12:13]
	v_mul_f64 v[172:173], v[134:135], v[178:179]
	v_add_f64 v[170:171], v[14:15], v[16:17]
	v_fmac_f64_e32 v[172:173], v[136:137], v[180:181]
	v_fma_f64 v[122:123], v[18:19], v[22:23], -v[20:21]
	v_add_f64 v[22:23], v[170:171], v[172:173]
	v_accvgpr_write_b32 a181, v5
	v_add_f64 v[22:23], v[22:23], v[24:25]
	s_waitcnt lgkmcnt(1)
	v_mul_f64 v[24:25], v[126:127], v[182:183]
	v_fma_f64 v[18:19], v[26:27], v[160:161], -v[28:29]
	ds_read_b128 v[26:29], v154 offset:1520
	v_accvgpr_write_b32 a180, v4
	v_accvgpr_write_b32 a179, v3
	;; [unrolled: 1-line block ×3, first 2 shown]
	v_fmac_f64_e32 v[24:25], v[128:129], v[190:191]
	s_waitcnt lgkmcnt(1)
	v_mul_f64 v[4:5], v[150:151], v[174:175]
	v_add_f64 v[170:171], v[22:23], v[24:25]
	v_fmac_f64_e32 v[4:5], v[152:153], v[176:177]
	v_add_f64 v[4:5], v[170:171], v[4:5]
	buffer_load_dword v163, off, s[0:3], 0 offset:644
	buffer_load_dword v162, off, s[0:3], 0 offset:640
	v_fma_f64 v[170:171], v[54:55], v[164:165], -v[56:57]
	buffer_load_dword v158, off, s[0:3], 0 offset:680
	buffer_load_dword v160, off, s[0:3], 0 offset:672
	;; [unrolled: 1-line block ×4, first 2 shown]
	v_fma_f64 v[14:15], v[30:31], v[166:167], -v[32:33]
	buffer_load_dword v167, off, s[0:3], 0 offset:660
	buffer_load_dword v166, off, s[0:3], 0 offset:656
	;; [unrolled: 1-line block ×4, first 2 shown]
	ds_read_b128 v[30:33], v154 offset:1536
	v_mul_f64 v[44:45], v[44:45], v[70:71]
	v_accvgpr_write_b32 a199, v191
	v_accvgpr_write_b32 a198, v190
	v_mul_f64 v[24:25], v[202:203], v[192:193]
	v_fma_f64 v[24:25], v[200:201], v[194:195], -v[24:25]
	v_mul_f64 v[16:17], v[48:49], v[72:73]
	v_fma_f64 v[16:17], v[46:47], v[78:79], -v[16:17]
	v_fma_f64 v[6:7], v[50:51], v[76:77], -v[52:53]
	v_mul_f64 v[50:51], v[240:241], v[236:237]
	v_fma_f64 v[228:229], v[238:239], v[228:229], -v[50:51]
	v_mul_f64 v[70:71], v[252:253], v[114:115]
	v_mul_f64 v[60:61], v[60:61], v[106:107]
	s_waitcnt vmcnt(22) lgkmcnt(1)
	v_mul_f64 v[8:9], v[26:27], v[0:1]
	v_accvgpr_write_b32 a205, v1
	s_waitcnt vmcnt(20)
	v_fmac_f64_e32 v[8:9], v[28:29], v[148:149]
	v_add_f64 v[4:5], v[4:5], v[8:9]
	v_mul_f64 v[8:9], v[36:37], v[64:65]
	v_fma_f64 v[10:11], v[34:35], v[66:67], -v[8:9]
	ds_read_b128 v[34:37], v154 offset:1552
	v_fma_f64 v[8:9], v[38:39], v[168:169], -v[40:41]
	ds_read_b128 v[38:41], v154 offset:1568
	buffer_load_dword v169, off, s[0:3], 0 offset:700
	buffer_load_dword v168, off, s[0:3], 0 offset:696
	buffer_load_dword v23, off, s[0:3], 0 offset:692
	buffer_load_dword v22, off, s[0:3], 0 offset:688
	buffer_load_dword v175, off, s[0:3], 0 offset:716
	buffer_load_dword v174, off, s[0:3], 0 offset:712
	buffer_load_dword v177, off, s[0:3], 0 offset:708
	buffer_load_dword v176, off, s[0:3], 0 offset:704
	buffer_load_dword v173, off, s[0:3], 0 offset:748
	buffer_load_dword v172, off, s[0:3], 0 offset:744
	buffer_load_dword v181, off, s[0:3], 0 offset:732
	buffer_load_dword v180, off, s[0:3], 0 offset:728
	buffer_load_dword v183, off, s[0:3], 0 offset:724
	buffer_load_dword v182, off, s[0:3], 0 offset:720
	buffer_load_dword v179, off, s[0:3], 0 offset:740
	buffer_load_dword v178, off, s[0:3], 0 offset:736
	s_waitcnt vmcnt(34) lgkmcnt(2)
	v_mul_f64 v[54:55], v[30:31], v[230:231]
	s_waitcnt vmcnt(32)
	v_fmac_f64_e32 v[54:55], v[32:33], v[254:255]
	s_waitcnt vmcnt(30) lgkmcnt(1)
	v_mul_f64 v[12:13], v[34:35], v[142:143]
	v_add_f64 v[4:5], v[4:5], v[54:55]
	s_waitcnt vmcnt(28)
	v_fmac_f64_e32 v[12:13], v[36:37], v[146:147]
	v_add_f64 v[12:13], v[4:5], v[12:13]
	v_fma_f64 v[4:5], v[42:43], v[188:189], -v[44:45]
	v_mul_f64 v[42:43], v[186:187], v[94:95]
	v_fma_f64 v[94:95], v[184:185], v[98:99], -v[42:43]
	buffer_load_dword v185, off, s[0:3], 0 offset:764
	buffer_load_dword v184, off, s[0:3], 0 offset:760
	;; [unrolled: 1-line block ×8, first 2 shown]
	v_mul_f64 v[42:43], v[198:199], v[90:91]
	v_fma_f64 v[2:3], v[196:197], v[92:93], -v[42:43]
	buffer_load_dword v193, off, s[0:3], 0 offset:812
	buffer_load_dword v195, off, s[0:3], 0 offset:796
	;; [unrolled: 1-line block ×12, first 2 shown]
	v_mul_f64 v[42:43], v[210:211], v[204:205]
	v_fma_f64 v[204:205], v[208:209], v[206:207], -v[42:43]
	v_mul_f64 v[42:43], v[214:215], v[144:145]
	v_accvgpr_write_b32 a204, v0
	v_fma_f64 v[0:1], v[212:213], v[62:63], -v[42:43]
	buffer_load_dword v207, off, s[0:3], 0 offset:844
	buffer_load_dword v206, off, s[0:3], 0 offset:840
	;; [unrolled: 1-line block ×12, first 2 shown]
	ds_read_b128 v[42:45], v154 offset:1584
	ds_read_b128 v[46:49], v154 offset:1600
	s_waitcnt vmcnt(58) lgkmcnt(2)
	v_mul_f64 v[20:21], v[38:39], v[124:125]
	ds_read_b128 v[50:53], v154 offset:1616
	v_mul_f64 v[62:63], v[244:245], v[220:221]
	v_fma_f64 v[240:241], v[242:243], v[222:223], -v[62:63]
	v_mul_f64 v[62:63], v[248:249], v[224:225]
	v_fma_f64 v[246:247], v[246:247], v[226:227], -v[62:63]
	v_fma_f64 v[248:249], v[250:251], v[116:117], -v[70:71]
	v_mul_f64 v[84:85], v[84:85], v[108:109]
	v_mul_f64 v[88:89], v[88:89], v[96:97]
	v_fma_f64 v[250:251], v[82:83], v[112:113], -v[84:85]
	ds_read_b128 v[82:85], v154 offset:1776
	v_fma_f64 v[252:253], v[86:87], v[100:101], -v[88:89]
	ds_read_b128 v[86:89], v154 offset:1792
	ds_read_b128 v[62:65], v154 offset:1664
	;; [unrolled: 1-line block ×3, first 2 shown]
	s_waitcnt vmcnt(56)
	v_fmac_f64_e32 v[20:21], v[40:41], v[162:163]
	v_add_f64 v[12:13], v[12:13], v[20:21]
	s_waitcnt vmcnt(52) lgkmcnt(6)
	v_mul_f64 v[54:55], v[42:43], v[164:165]
	s_waitcnt vmcnt(50)
	v_fmac_f64_e32 v[54:55], v[44:45], v[166:167]
	v_add_f64 v[12:13], v[12:13], v[54:55]
	s_waitcnt vmcnt(49) lgkmcnt(5)
	v_mul_f64 v[54:55], v[46:47], v[158:159]
	v_mul_f64 v[20:21], v[234:235], v[102:103]
	s_waitcnt vmcnt(48)
	v_fmac_f64_e32 v[54:55], v[48:49], v[160:161]
	v_fma_f64 v[20:21], v[232:233], v[104:105], -v[20:21]
	v_add_f64 v[12:13], v[12:13], v[54:55]
	ds_read_b128 v[232:235], v154 offset:1648
	s_waitcnt vmcnt(46) lgkmcnt(5)
	v_mul_f64 v[54:55], v[50:51], v[168:169]
	s_waitcnt vmcnt(44)
	v_fmac_f64_e32 v[54:55], v[52:53], v[22:23]
	v_add_f64 v[12:13], v[12:13], v[54:55]
	ds_read_b128 v[54:57], v154 offset:1632
	s_waitcnt vmcnt(42) lgkmcnt(0)
	v_mul_f64 v[66:67], v[54:55], v[174:175]
	s_waitcnt vmcnt(40)
	v_fmac_f64_e32 v[66:67], v[56:57], v[176:177]
	v_add_f64 v[12:13], v[12:13], v[66:67]
	s_waitcnt vmcnt(36)
	v_mul_f64 v[66:67], v[232:233], v[180:181]
	s_waitcnt vmcnt(34)
	v_fmac_f64_e32 v[66:67], v[234:235], v[182:183]
	v_add_f64 v[12:13], v[12:13], v[66:67]
	v_mul_f64 v[66:67], v[62:63], v[172:173]
	s_waitcnt vmcnt(32)
	v_fmac_f64_e32 v[66:67], v[64:65], v[178:179]
	v_add_f64 v[12:13], v[12:13], v[66:67]
	ds_read_b128 v[66:69], v154 offset:1680
	s_waitcnt vmcnt(25)
	v_mul_f64 v[78:79], v[70:71], v[186:187]
	s_waitcnt vmcnt(24)
	v_fmac_f64_e32 v[78:79], v[72:73], v[188:189]
	s_waitcnt lgkmcnt(0)
	v_mul_f64 v[74:75], v[66:67], v[184:185]
	v_fmac_f64_e32 v[74:75], v[68:69], v[190:191]
	v_add_f64 v[12:13], v[12:13], v[74:75]
	v_mul_f64 v[74:75], v[120:121], v[216:217]
	v_fma_f64 v[118:119], v[118:119], v[218:219], -v[74:75]
	ds_read_b128 v[74:77], v154 offset:1712
	v_add_f64 v[12:13], v[12:13], v[78:79]
	ds_read_b128 v[78:81], v154 offset:1728
	v_fma_f64 v[120:121], v[58:59], v[110:111], -v[60:61]
	ds_read_b128 v[58:61], v154 offset:1744
	s_waitcnt vmcnt(21) lgkmcnt(2)
	v_mul_f64 v[90:91], v[74:75], v[194:195]
	s_waitcnt vmcnt(19)
	v_fmac_f64_e32 v[90:91], v[76:77], v[200:201]
	v_add_f64 v[12:13], v[12:13], v[90:91]
	s_waitcnt vmcnt(18) lgkmcnt(1)
	v_mul_f64 v[90:91], v[78:79], v[192:193]
	s_waitcnt vmcnt(16)
	v_fmac_f64_e32 v[90:91], v[80:81], v[198:199]
	v_add_f64 v[12:13], v[12:13], v[90:91]
	ds_read_b128 v[90:93], v154 offset:1760
	s_waitcnt vmcnt(14) lgkmcnt(1)
	v_mul_f64 v[98:99], v[58:59], v[196:197]
	buffer_load_dword v217, off, s[0:3], 0 offset:892
	buffer_load_dword v216, off, s[0:3], 0 offset:888
	;; [unrolled: 1-line block ×4, first 2 shown]
	s_waitcnt vmcnt(16)
	v_fmac_f64_e32 v[98:99], v[60:61], v[202:203]
	v_add_f64 v[12:13], v[12:13], v[98:99]
	ds_read_b128 v[98:101], v154 offset:1808
	buffer_load_dword v220, off, s[0:3], 0 offset:904
	buffer_load_dword v221, off, s[0:3], 0 offset:908
	buffer_load_dword v222, off, s[0:3], 0 offset:896
	buffer_load_dword v223, off, s[0:3], 0 offset:900
	ds_read_b128 v[102:105], v154 offset:1824
	buffer_load_dword v225, off, s[0:3], 0 offset:924
	buffer_load_dword v224, off, s[0:3], 0 offset:920
	buffer_load_dword v227, off, s[0:3], 0 offset:916
	buffer_load_dword v226, off, s[0:3], 0 offset:912
	;; [unrolled: 5-line block ×4, first 2 shown]
	s_waitcnt vmcnt(30) lgkmcnt(4)
	v_mul_f64 v[96:97], v[90:91], v[206:207]
	s_waitcnt vmcnt(28)
	v_fmac_f64_e32 v[96:97], v[92:93], v[208:209]
	v_add_f64 v[12:13], v[12:13], v[96:97]
	s_waitcnt vmcnt(25)
	v_mul_f64 v[96:97], v[82:83], v[212:213]
	s_waitcnt vmcnt(23)
	v_fmac_f64_e32 v[96:97], v[84:85], v[214:215]
	v_add_f64 v[12:13], v[12:13], v[96:97]
	s_waitcnt vmcnt(21)
	v_mul_f64 v[96:97], v[86:87], v[144:145]
	s_waitcnt vmcnt(20)
	v_fmac_f64_e32 v[96:97], v[88:89], v[210:211]
	v_add_f64 v[12:13], v[12:13], v[96:97]
	ds_read_b128 v[114:117], v154 offset:1872
	s_waitcnt vmcnt(18) lgkmcnt(4)
	v_mul_f64 v[96:97], v[98:99], v[216:217]
	s_waitcnt vmcnt(16)
	v_fmac_f64_e32 v[96:97], v[100:101], v[218:219]
	v_add_f64 v[12:13], v[12:13], v[96:97]
	s_waitcnt vmcnt(14) lgkmcnt(3)
	v_mul_f64 v[96:97], v[102:103], v[220:221]
	s_waitcnt vmcnt(12)
	v_fmac_f64_e32 v[96:97], v[104:105], v[222:223]
	v_add_f64 v[12:13], v[12:13], v[96:97]
	;; [unrolled: 5-line block ×5, first 2 shown]
	v_add_f64 v[96:97], v[122:123], 0
	v_add_f64 v[18:19], v[96:97], v[18:19]
	;; [unrolled: 1-line block ×19, first 2 shown]
	buffer_load_dword v248, off, s[0:3], 0 offset:112
	buffer_load_dword v249, off, s[0:3], 0 offset:116
	;; [unrolled: 1-line block ×4, first 2 shown]
	v_accvgpr_read_b32 v4, a178
	v_add_f64 v[0:1], v[0:1], v[118:119]
	v_accvgpr_read_b32 v6, a180
	v_accvgpr_read_b32 v7, a181
	v_add_f64 v[118:119], v[0:1], v[120:121]
	v_mul_f64 v[2:3], v[6:7], v[156:157]
	v_accvgpr_read_b32 v6, a182
	v_add_f64 v[0:1], v[118:119], v[250:251]
	v_accvgpr_read_b32 v5, a179
	v_accvgpr_read_b32 v7, a183
	v_add_f64 v[0:1], v[0:1], v[252:253]
	v_fma_f64 v[2:3], v[4:5], v[6:7], -v[2:3]
	v_add_f64 v[0:1], v[0:1], v[2:3]
	v_accvgpr_read_b32 v2, a184
	v_accvgpr_read_b32 v3, a185
	v_accvgpr_read_b32 v4, a186
	v_mul_f64 v[2:3], v[140:141], v[2:3]
	v_accvgpr_read_b32 v5, a187
	v_fma_f64 v[2:3], v[138:139], v[4:5], -v[2:3]
	v_add_f64 v[0:1], v[0:1], v[2:3]
	v_accvgpr_read_b32 v2, a188
	v_accvgpr_read_b32 v3, a189
	v_accvgpr_read_b32 v4, a190
	v_mul_f64 v[2:3], v[136:137], v[2:3]
	v_accvgpr_read_b32 v5, a191
	;; [unrolled: 7-line block ×5, first 2 shown]
	v_fma_f64 v[2:3], v[150:151], v[4:5], -v[2:3]
	v_add_f64 v[0:1], v[0:1], v[2:3]
	v_accvgpr_read_b32 v2, a204
	v_accvgpr_read_b32 v3, a205
	v_mul_f64 v[2:3], v[28:29], v[2:3]
	v_fma_f64 v[2:3], v[26:27], v[148:149], -v[2:3]
	v_add_f64 v[0:1], v[0:1], v[2:3]
	v_mul_f64 v[2:3], v[32:33], v[230:231]
	v_fma_f64 v[2:3], v[30:31], v[254:255], -v[2:3]
	v_add_f64 v[0:1], v[0:1], v[2:3]
	;; [unrolled: 3-line block ×23, first 2 shown]
	v_accvgpr_read_b32 v139, a176
	s_waitcnt vmcnt(2)
	v_add_f64 v[0:1], v[248:249], -v[0:1]
	v_cmp_lt_u32_e32 vcc, 5, v139
	s_waitcnt vmcnt(0)
	v_add_f64 v[2:3], v[246:247], -v[12:13]
	buffer_store_dword v1, off, s[0:3], 0 offset:116
	buffer_store_dword v0, off, s[0:3], 0 offset:112
	;; [unrolled: 1-line block ×4, first 2 shown]
	s_and_saveexec_b64 s[4:5], vcc
	s_cbranch_execz .LBB122_357
; %bb.356:
	v_accvgpr_read_b32 v0, a171
	buffer_load_dword v2, v0, s[0:3], 0 offen
	buffer_load_dword v3, v0, s[0:3], 0 offen offset:4
	buffer_load_dword v4, v0, s[0:3], 0 offen offset:8
	;; [unrolled: 1-line block ×3, first 2 shown]
	v_mov_b32_e32 v0, 0
	v_accvgpr_read_b32 v1, a177
	buffer_store_dword v0, off, s[0:3], 0 offset:96
	buffer_store_dword v0, off, s[0:3], 0 offset:100
	buffer_store_dword v0, off, s[0:3], 0 offset:104
	buffer_store_dword v0, off, s[0:3], 0 offset:108
	s_waitcnt vmcnt(4)
	ds_write_b128 v1, v[2:5]
.LBB122_357:
	s_or_b64 exec, exec, s[4:5]
	s_waitcnt lgkmcnt(0)
	; wave barrier
	s_waitcnt lgkmcnt(0)
	buffer_load_dword v132, off, s[0:3], 0 offset:112
	buffer_load_dword v133, off, s[0:3], 0 offset:116
	;; [unrolled: 1-line block ×36, first 2 shown]
	v_mov_b32_e32 v138, 0
	buffer_load_dword v55, off, s[0:3], 0 offset:284
	buffer_load_dword v54, off, s[0:3], 0 offset:280
	;; [unrolled: 1-line block ×18, first 2 shown]
	ds_read_b128 v[22:25], v138 offset:1040
	ds_read_b128 v[110:113], v138 offset:1056
	;; [unrolled: 1-line block ×9, first 2 shown]
	v_cmp_lt_u32_e32 vcc, 4, v139
	s_waitcnt vmcnt(50) lgkmcnt(8)
	v_mul_f64 v[0:1], v[22:23], v[16:17]
	v_fmac_f64_e32 v[0:1], v[24:25], v[132:133]
	v_add_f64 v[0:1], v[0:1], 0
	v_mul_f64 v[16:17], v[24:25], v[16:17]
	s_waitcnt vmcnt(46) lgkmcnt(7)
	v_mul_f64 v[2:3], v[110:111], v[20:21]
	v_fmac_f64_e32 v[2:3], v[112:113], v[140:141]
	v_add_f64 v[0:1], v[0:1], v[2:3]
	buffer_load_dword v109, off, s[0:3], 0 offset:340
	buffer_load_dword v108, off, s[0:3], 0 offset:336
	;; [unrolled: 1-line block ×40, first 2 shown]
	s_waitcnt vmcnt(62) lgkmcnt(6)
	v_mul_f64 v[4:5], v[114:115], v[26:27]
	s_waitcnt lgkmcnt(4)
	v_mul_f64 v[8:9], v[166:167], v[30:31]
	v_fmac_f64_e32 v[8:9], v[168:169], v[32:33]
	v_mul_f64 v[26:27], v[116:117], v[26:27]
	v_mul_f64 v[6:7], v[162:163], v[28:29]
	;; [unrolled: 1-line block ×3, first 2 shown]
	s_waitcnt lgkmcnt(2)
	v_mul_f64 v[12:13], v[174:175], v[44:45]
	v_fma_f64 v[252:253], v[110:111], v[140:141], -v[20:21]
	v_fmac_f64_e32 v[12:13], v[176:177], v[46:47]
	v_mul_f64 v[30:31], v[168:169], v[30:31]
	v_mul_f64 v[10:11], v[170:171], v[34:35]
	;; [unrolled: 1-line block ×3, first 2 shown]
	s_waitcnt lgkmcnt(1)
	v_mul_f64 v[118:119], v[178:179], v[42:43]
	v_mul_f64 v[42:43], v[180:181], v[42:43]
	v_fmac_f64_e32 v[4:5], v[116:117], v[40:41]
	v_add_f64 v[0:1], v[0:1], v[4:5]
	v_fmac_f64_e32 v[6:7], v[164:165], v[38:39]
	v_add_f64 v[0:1], v[0:1], v[6:7]
	v_add_f64 v[0:1], v[0:1], v[8:9]
	v_fmac_f64_e32 v[10:11], v[172:173], v[36:37]
	v_add_f64 v[0:1], v[0:1], v[10:11]
	v_add_f64 v[0:1], v[0:1], v[12:13]
	v_fmac_f64_e32 v[118:119], v[180:181], v[50:51]
	v_add_f64 v[0:1], v[0:1], v[118:119]
	v_fma_f64 v[254:255], v[114:115], v[40:41], -v[26:27]
	v_fma_f64 v[110:111], v[170:171], v[36:37], -v[34:35]
	s_waitcnt vmcnt(0)
	v_pk_mov_b32 v[4:5], v[2:3], v[2:3] op_sel:[0,1]
	buffer_load_dword v3, off, s[0:3], 0 offset:500
	buffer_load_dword v2, off, s[0:3], 0 offset:496
	v_accvgpr_write_b32 a187, v5
	v_accvgpr_write_b32 a186, v4
	s_waitcnt vmcnt(0)
	v_pk_mov_b32 v[6:7], v[2:3], v[2:3] op_sel:[0,1]
	buffer_load_dword v91, off, s[0:3], 0 offset:492
	buffer_load_dword v90, off, s[0:3], 0 offset:488
	;; [unrolled: 1-line block ×6, first 2 shown]
	v_accvgpr_write_b32 a189, v7
	v_accvgpr_write_b32 a188, v6
	s_waitcnt vmcnt(0)
	v_pk_mov_b32 v[8:9], v[2:3], v[2:3] op_sel:[0,1]
	buffer_load_dword v3, off, s[0:3], 0 offset:532
	buffer_load_dword v2, off, s[0:3], 0 offset:528
	v_accvgpr_write_b32 a195, v9
	v_accvgpr_write_b32 a194, v8
	s_waitcnt vmcnt(0)
	v_pk_mov_b32 v[12:13], v[2:3], v[2:3] op_sel:[0,1]
	buffer_load_dword v3, off, s[0:3], 0 offset:524
	buffer_load_dword v2, off, s[0:3], 0 offset:520
	;; [unrolled: 6-line block ×7, first 2 shown]
	ds_read_b128 v[186:189], v138 offset:1184
	ds_read_b128 v[190:193], v138 offset:1200
	;; [unrolled: 1-line block ×9, first 2 shown]
	buffer_load_dword v19, off, s[0:3], 0 offset:588
	buffer_load_dword v18, off, s[0:3], 0 offset:584
	;; [unrolled: 1-line block ×4, first 2 shown]
	ds_read_b128 v[224:227], v138 offset:1328
	buffer_load_dword v229, off, s[0:3], 0 offset:604
	buffer_load_dword v228, off, s[0:3], 0 offset:600
	;; [unrolled: 1-line block ×12, first 2 shown]
	ds_read_b128 v[230:233], v138 offset:1344
	ds_read_b128 v[234:237], v138 offset:1360
	;; [unrolled: 1-line block ×7, first 2 shown]
	v_accvgpr_write_b32 a199, v129
	v_accvgpr_write_b32 a198, v128
	ds_read_b128 v[156:159], v138 offset:1488
	s_waitcnt lgkmcnt(2)
	v_accvgpr_write_b32 a181, v147
	v_accvgpr_write_b32 a180, v146
	;; [unrolled: 1-line block ×4, first 2 shown]
	s_waitcnt lgkmcnt(0)
	v_mul_f64 v[26:27], v[156:157], v[120:121]
	v_fmac_f64_e32 v[26:27], v[158:159], v[122:123]
	s_waitcnt vmcnt(16)
	v_pk_mov_b32 v[130:131], v[2:3], v[2:3] op_sel:[0,1]
	v_mul_f64 v[2:3], v[182:183], v[48:49]
	v_fmac_f64_e32 v[2:3], v[184:185], v[52:53]
	v_add_f64 v[0:1], v[0:1], v[2:3]
	v_mul_f64 v[2:3], v[186:187], v[58:59]
	v_fmac_f64_e32 v[2:3], v[188:189], v[60:61]
	v_add_f64 v[0:1], v[0:1], v[2:3]
	v_mul_f64 v[2:3], v[190:191], v[54:55]
	v_fmac_f64_e32 v[2:3], v[192:193], v[56:57]
	v_add_f64 v[0:1], v[0:1], v[2:3]
	v_mul_f64 v[2:3], v[194:195], v[96:97]
	v_fmac_f64_e32 v[2:3], v[196:197], v[98:99]
	v_add_f64 v[0:1], v[0:1], v[2:3]
	v_mul_f64 v[2:3], v[198:199], v[64:65]
	v_fmac_f64_e32 v[2:3], v[200:201], v[66:67]
	v_add_f64 v[0:1], v[0:1], v[2:3]
	v_mul_f64 v[2:3], v[202:203], v[210:211]
	v_fmac_f64_e32 v[2:3], v[204:205], v[250:251]
	v_add_f64 v[0:1], v[0:1], v[2:3]
	v_mul_f64 v[2:3], v[206:207], v[62:63]
	v_fmac_f64_e32 v[2:3], v[208:209], v[108:109]
	v_add_f64 v[0:1], v[0:1], v[2:3]
	v_mul_f64 v[2:3], v[212:213], v[104:105]
	v_fmac_f64_e32 v[2:3], v[214:215], v[106:107]
	v_add_f64 v[0:1], v[0:1], v[2:3]
	v_mul_f64 v[2:3], v[216:217], v[84:85]
	v_fmac_f64_e32 v[2:3], v[218:219], v[94:95]
	v_add_f64 v[0:1], v[0:1], v[2:3]
	v_mul_f64 v[2:3], v[220:221], v[100:101]
	v_fmac_f64_e32 v[2:3], v[222:223], v[102:103]
	v_add_f64 v[0:1], v[0:1], v[2:3]
	v_mul_f64 v[2:3], v[224:225], v[68:69]
	v_fmac_f64_e32 v[2:3], v[226:227], v[70:71]
	v_add_f64 v[0:1], v[0:1], v[2:3]
	v_mul_f64 v[2:3], v[230:231], v[72:73]
	v_fmac_f64_e32 v[2:3], v[232:233], v[82:83]
	v_add_f64 v[0:1], v[0:1], v[2:3]
	v_mul_f64 v[2:3], v[234:235], v[74:75]
	v_fmac_f64_e32 v[2:3], v[236:237], v[76:77]
	v_add_f64 v[0:1], v[0:1], v[2:3]
	v_mul_f64 v[2:3], v[238:239], v[78:79]
	v_fmac_f64_e32 v[2:3], v[240:241], v[80:81]
	v_add_f64 v[0:1], v[0:1], v[2:3]
	v_mul_f64 v[2:3], v[242:243], v[86:87]
	s_waitcnt vmcnt(0)
	v_pk_mov_b32 v[152:153], v[10:11], v[10:11] op_sel:[0,1]
	v_fmac_f64_e32 v[2:3], v[244:245], v[88:89]
	v_mul_f64 v[10:11], v[246:247], v[90:91]
	v_add_f64 v[0:1], v[0:1], v[2:3]
	v_fmac_f64_e32 v[10:11], v[248:249], v[92:93]
	v_add_f64 v[0:1], v[0:1], v[10:11]
	v_mul_f64 v[10:11], v[144:145], v[4:5]
	v_fmac_f64_e32 v[10:11], v[146:147], v[6:7]
	ds_read_b128 v[144:147], v138 offset:1456
	v_add_f64 v[0:1], v[0:1], v[10:11]
	v_mul_f64 v[10:11], v[148:149], v[124:125]
	v_accvgpr_write_b32 a185, v151
	v_fmac_f64_e32 v[10:11], v[150:151], v[126:127]
	v_accvgpr_write_b32 a184, v150
	v_accvgpr_write_b32 a183, v149
	;; [unrolled: 1-line block ×3, first 2 shown]
	ds_read_b128 v[148:151], v138 offset:1472
	v_fma_f64 v[124:125], v[22:23], v[132:133], -v[16:17]
	s_waitcnt lgkmcnt(1)
	v_mul_f64 v[22:23], v[144:145], v[8:9]
	v_add_f64 v[0:1], v[0:1], v[10:11]
	v_fmac_f64_e32 v[22:23], v[146:147], v[12:13]
	v_add_f64 v[0:1], v[0:1], v[22:23]
	s_waitcnt lgkmcnt(0)
	v_mul_f64 v[22:23], v[148:149], v[128:129]
	v_fmac_f64_e32 v[22:23], v[150:151], v[130:131]
	v_accvgpr_write_b32 a201, v131
	v_add_f64 v[0:1], v[0:1], v[22:23]
	v_accvgpr_write_b32 a200, v130
	ds_read_b128 v[130:133], v138 offset:1504
	buffer_load_dword v161, off, s[0:3], 0 offset:652
	buffer_load_dword v160, off, s[0:3], 0 offset:648
	v_add_f64 v[0:1], v[0:1], v[26:27]
	v_mul_f64 v[26:27], v[164:165], v[28:29]
	buffer_load_dword v134, off, s[0:3], 0 offset:664
	buffer_load_dword v140, off, s[0:3], 0 offset:656
	v_fma_f64 v[40:41], v[162:163], v[38:39], -v[26:27]
	buffer_load_dword v163, off, s[0:3], 0 offset:644
	buffer_load_dword v162, off, s[0:3], 0 offset:640
	;; [unrolled: 1-line block ×4, first 2 shown]
	s_waitcnt lgkmcnt(0)
	v_mul_f64 v[26:27], v[130:131], v[18:19]
	ds_read_b128 v[126:129], v138 offset:1520
	ds_read_b128 v[120:123], v138 offset:1536
	v_fmac_f64_e32 v[26:27], v[132:133], v[14:15]
	v_add_f64 v[0:1], v[0:1], v[26:27]
	v_fma_f64 v[164:165], v[166:167], v[32:33], -v[30:31]
	ds_read_b128 v[34:37], v138 offset:1552
	ds_read_b128 v[30:33], v138 offset:1568
	buffer_load_dword v27, off, s[0:3], 0 offset:684
	buffer_load_dword v26, off, s[0:3], 0 offset:680
	;; [unrolled: 1-line block ×6, first 2 shown]
	s_waitcnt lgkmcnt(3)
	v_mul_f64 v[38:39], v[126:127], v[228:229]
	v_fmac_f64_e32 v[38:39], v[128:129], v[154:155]
	buffer_load_dword v173, off, s[0:3], 0 offset:692
	buffer_load_dword v172, off, s[0:3], 0 offset:688
	;; [unrolled: 1-line block ×3, first 2 shown]
	v_add_f64 v[0:1], v[0:1], v[38:39]
	s_waitcnt lgkmcnt(2)
	v_mul_f64 v[38:39], v[120:121], v[136:137]
	v_fmac_f64_e32 v[38:39], v[122:123], v[118:119]
	v_add_f64 v[0:1], v[0:1], v[38:39]
	s_waitcnt lgkmcnt(1)
	v_mul_f64 v[38:39], v[34:35], v[142:143]
	v_fmac_f64_e32 v[38:39], v[36:37], v[152:153]
	v_add_f64 v[112:113], v[0:1], v[38:39]
	v_mul_f64 v[0:1], v[176:177], v[44:45]
	v_fma_f64 v[24:25], v[174:175], v[46:47], -v[0:1]
	v_fma_f64 v[22:23], v[178:179], v[50:51], -v[42:43]
	buffer_load_dword v177, off, s[0:3], 0 offset:716
	buffer_load_dword v176, off, s[0:3], 0 offset:712
	buffer_load_dword v181, off, s[0:3], 0 offset:708
	buffer_load_dword v180, off, s[0:3], 0 offset:704
	buffer_load_dword v166, off, s[0:3], 0 offset:728
	buffer_load_dword v179, off, s[0:3], 0 offset:724
	buffer_load_dword v178, off, s[0:3], 0 offset:720
	buffer_load_dword v174, off, s[0:3], 0 offset:760
	v_mul_f64 v[42:43], v[184:185], v[48:49]
	v_accvgpr_write_b32 a207, v19
	v_fma_f64 v[20:21], v[182:183], v[52:53], -v[42:43]
	v_mul_f64 v[42:43], v[188:189], v[58:59]
	v_accvgpr_write_b32 a206, v18
	v_fma_f64 v[18:19], v[186:187], v[60:61], -v[42:43]
	buffer_load_dword v185, off, s[0:3], 0 offset:748
	buffer_load_dword v184, off, s[0:3], 0 offset:744
	;; [unrolled: 1-line block ×7, first 2 shown]
	v_accvgpr_write_b32 a209, v15
	v_mul_f64 v[42:43], v[192:193], v[54:55]
	v_accvgpr_write_b32 a208, v14
	v_fma_f64 v[14:15], v[190:191], v[56:57], -v[42:43]
	buffer_load_dword v189, off, s[0:3], 0 offset:780
	buffer_load_dword v188, off, s[0:3], 0 offset:776
	;; [unrolled: 1-line block ×4, first 2 shown]
	v_mul_f64 v[42:43], v[196:197], v[96:97]
	v_mul_f64 v[16:17], v[200:201], v[64:65]
	v_fma_f64 v[12:13], v[194:195], v[98:99], -v[42:43]
	v_fma_f64 v[16:17], v[198:199], v[66:67], -v[16:17]
	buffer_load_dword v193, off, s[0:3], 0 offset:796
	buffer_load_dword v192, off, s[0:3], 0 offset:792
	buffer_load_dword v197, off, s[0:3], 0 offset:788
	buffer_load_dword v196, off, s[0:3], 0 offset:784
	buffer_load_dword v195, off, s[0:3], 0 offset:812
	buffer_load_dword v194, off, s[0:3], 0 offset:808
	buffer_load_dword v199, off, s[0:3], 0 offset:804
	buffer_load_dword v198, off, s[0:3], 0 offset:800
	v_mul_f64 v[42:43], v[204:205], v[210:211]
	v_fma_f64 v[250:251], v[202:203], v[250:251], -v[42:43]
	buffer_load_dword v203, off, s[0:3], 0 offset:828
	buffer_load_dword v202, off, s[0:3], 0 offset:824
	;; [unrolled: 1-line block ×4, first 2 shown]
	v_mul_f64 v[42:43], v[208:209], v[62:63]
	v_fma_f64 v[10:11], v[206:207], v[108:109], -v[42:43]
	buffer_load_dword v200, off, s[0:3], 0 offset:856
	buffer_load_dword v209, off, s[0:3], 0 offset:844
	;; [unrolled: 1-line block ×8, first 2 shown]
	v_mul_f64 v[48:49], v[214:215], v[104:105]
	ds_read_b128 v[42:45], v138 offset:1584
	v_fma_f64 v[8:9], v[212:213], v[106:107], -v[48:49]
	buffer_load_dword v213, off, s[0:3], 0 offset:876
	buffer_load_dword v212, off, s[0:3], 0 offset:872
	;; [unrolled: 1-line block ×4, first 2 shown]
	v_mul_f64 v[50:51], v[218:219], v[84:85]
	v_mul_f64 v[62:63], v[226:227], v[68:69]
	v_fma_f64 v[4:5], v[224:225], v[70:71], -v[62:63]
	ds_read_b128 v[62:65], v138 offset:1664
	v_mul_f64 v[74:75], v[236:237], v[74:75]
	v_fma_f64 v[234:235], v[234:235], v[76:77], -v[74:75]
	v_mul_f64 v[78:79], v[240:241], v[78:79]
	ds_read_b128 v[74:77], v138 offset:1712
	v_fma_f64 v[0:1], v[238:239], v[80:81], -v[78:79]
	ds_read_b128 v[78:81], v138 offset:1728
	v_accvgpr_write_b32 a211, v155
	v_accvgpr_write_b32 a210, v154
	v_pk_mov_b32 v[154:155], v[118:119], v[118:119] op_sel:[0,1]
	v_add_f64 v[118:119], v[124:125], 0
	v_add_f64 v[118:119], v[118:119], v[252:253]
	;; [unrolled: 1-line block ×10, first 2 shown]
	s_waitcnt vmcnt(58) lgkmcnt(4)
	v_mul_f64 v[46:47], v[30:31], v[160:161]
	v_add_f64 v[14:15], v[18:19], v[14:15]
	v_add_f64 v[12:13], v[14:15], v[12:13]
	;; [unrolled: 1-line block ×3, first 2 shown]
	s_waitcnt vmcnt(54)
	v_fmac_f64_e32 v[46:47], v[32:33], v[162:163]
	s_waitcnt vmcnt(53) lgkmcnt(3)
	v_mul_f64 v[48:49], v[42:43], v[134:135]
	v_add_f64 v[46:47], v[112:113], v[46:47]
	s_waitcnt vmcnt(52)
	v_fmac_f64_e32 v[48:49], v[44:45], v[140:141]
	v_add_f64 v[54:55], v[46:47], v[48:49]
	ds_read_b128 v[46:49], v138 offset:1600
	v_fma_f64 v[112:113], v[216:217], v[94:95], -v[50:51]
	ds_read_b128 v[50:53], v138 offset:1616
	v_add_f64 v[12:13], v[12:13], v[250:251]
	v_add_f64 v[10:11], v[12:13], v[10:11]
	s_waitcnt vmcnt(50) lgkmcnt(1)
	v_mul_f64 v[56:57], v[46:47], v[26:27]
	s_waitcnt vmcnt(48)
	v_fmac_f64_e32 v[56:57], v[48:49], v[170:171]
	v_add_f64 v[58:59], v[54:55], v[56:57]
	v_mul_f64 v[54:55], v[222:223], v[100:101]
	v_fma_f64 v[6:7], v[220:221], v[102:103], -v[54:55]
	ds_read_b128 v[54:57], v138 offset:1632
	s_waitcnt vmcnt(46) lgkmcnt(1)
	v_mul_f64 v[60:61], v[50:51], v[168:169]
	s_waitcnt vmcnt(44)
	v_fmac_f64_e32 v[60:61], v[52:53], v[172:173]
	v_add_f64 v[66:67], v[58:59], v[60:61]
	ds_read_b128 v[58:61], v138 offset:1648
	s_waitcnt vmcnt(41) lgkmcnt(1)
	v_mul_f64 v[68:69], v[54:55], v[176:177]
	s_waitcnt vmcnt(39)
	v_fmac_f64_e32 v[68:69], v[56:57], v[180:181]
	v_add_f64 v[70:71], v[66:67], v[68:69]
	v_mul_f64 v[66:67], v[232:233], v[72:73]
	v_fma_f64 v[2:3], v[230:231], v[82:83], -v[66:67]
	ds_read_b128 v[66:69], v138 offset:1680
	s_waitcnt vmcnt(38) lgkmcnt(1)
	v_mul_f64 v[84:85], v[58:59], v[166:167]
	s_waitcnt vmcnt(36)
	v_fmac_f64_e32 v[84:85], v[60:61], v[178:179]
	v_add_f64 v[28:29], v[70:71], v[84:85]
	s_waitcnt vmcnt(33)
	v_mul_f64 v[70:71], v[62:63], v[184:185]
	s_waitcnt vmcnt(31)
	v_fmac_f64_e32 v[70:71], v[64:65], v[186:187]
	v_add_f64 v[28:29], v[28:29], v[70:71]
	s_waitcnt vmcnt(29) lgkmcnt(0)
	v_mul_f64 v[70:71], v[66:67], v[174:175]
	s_waitcnt vmcnt(28)
	v_fmac_f64_e32 v[70:71], v[68:69], v[182:183]
	v_add_f64 v[28:29], v[28:29], v[70:71]
	ds_read_b128 v[70:73], v138 offset:1696
	s_waitcnt vmcnt(22)
	v_mul_f64 v[38:39], v[74:75], v[192:193]
	v_add_f64 v[8:9], v[10:11], v[8:9]
	s_waitcnt vmcnt(20)
	v_fmac_f64_e32 v[38:39], v[76:77], v[196:197]
	v_add_f64 v[8:9], v[8:9], v[112:113]
	s_waitcnt lgkmcnt(0)
	v_mul_f64 v[82:83], v[70:71], v[188:189]
	v_fmac_f64_e32 v[82:83], v[72:73], v[190:191]
	v_add_f64 v[28:29], v[28:29], v[82:83]
	v_add_f64 v[28:29], v[28:29], v[38:39]
	ds_read_b128 v[82:85], v138 offset:1744
	s_waitcnt vmcnt(18)
	v_mul_f64 v[38:39], v[78:79], v[194:195]
	s_waitcnt vmcnt(16)
	v_fmac_f64_e32 v[38:39], v[80:81], v[198:199]
	v_add_f64 v[38:39], v[28:29], v[38:39]
	v_mul_f64 v[28:29], v[244:245], v[86:87]
	v_fma_f64 v[240:241], v[242:243], v[88:89], -v[28:29]
	ds_read_b128 v[86:89], v138 offset:1760
	v_mul_f64 v[28:29], v[248:249], v[90:91]
	v_fma_f64 v[28:29], v[246:247], v[92:93], -v[28:29]
	ds_read_b128 v[90:93], v138 offset:1776
	s_waitcnt vmcnt(14) lgkmcnt(2)
	v_mul_f64 v[94:95], v[82:83], v[202:203]
	s_waitcnt vmcnt(12)
	v_fmac_f64_e32 v[94:95], v[84:85], v[204:205]
	v_add_f64 v[38:39], v[38:39], v[94:95]
	s_waitcnt vmcnt(9) lgkmcnt(1)
	v_mul_f64 v[94:95], v[86:87], v[208:209]
	s_waitcnt vmcnt(7)
	v_fmac_f64_e32 v[94:95], v[88:89], v[210:211]
	v_add_f64 v[38:39], v[38:39], v[94:95]
	;; [unrolled: 5-line block ×3, first 2 shown]
	ds_read_b128 v[94:97], v138 offset:1792
	buffer_load_dword v216, off, s[0:3], 0 offset:888
	buffer_load_dword v217, off, s[0:3], 0 offset:892
	;; [unrolled: 1-line block ×4, first 2 shown]
	v_add_f64 v[6:7], v[8:9], v[6:7]
	v_add_f64 v[4:5], v[6:7], v[4:5]
	;; [unrolled: 1-line block ×3, first 2 shown]
	s_waitcnt vmcnt(6) lgkmcnt(0)
	v_mul_f64 v[98:99], v[94:95], v[212:213]
	s_waitcnt vmcnt(4)
	v_fmac_f64_e32 v[98:99], v[96:97], v[214:215]
	v_add_f64 v[38:39], v[38:39], v[98:99]
	ds_read_b128 v[98:101], v138 offset:1808
	buffer_load_dword v221, off, s[0:3], 0 offset:908
	buffer_load_dword v220, off, s[0:3], 0 offset:904
	buffer_load_dword v223, off, s[0:3], 0 offset:900
	buffer_load_dword v222, off, s[0:3], 0 offset:896
	v_add_f64 v[2:3], v[2:3], v[234:235]
	v_add_f64 v[0:1], v[2:3], v[0:1]
	v_accvgpr_read_b32 v4, a178
	v_accvgpr_read_b32 v2, a186
	;; [unrolled: 1-line block ×5, first 2 shown]
	v_mul_f64 v[2:3], v[6:7], v[2:3]
	v_accvgpr_read_b32 v6, a188
	v_add_f64 v[252:253], v[0:1], v[240:241]
	v_accvgpr_read_b32 v5, a179
	v_accvgpr_read_b32 v7, a189
	v_add_f64 v[0:1], v[252:253], v[28:29]
	v_fma_f64 v[2:3], v[4:5], v[6:7], -v[2:3]
	v_add_f64 v[0:1], v[0:1], v[2:3]
	v_accvgpr_read_b32 v4, a182
	v_accvgpr_read_b32 v2, a190
	v_accvgpr_read_b32 v6, a184
	v_accvgpr_read_b32 v7, a185
	v_accvgpr_read_b32 v3, a191
	v_mul_f64 v[2:3], v[6:7], v[2:3]
	v_accvgpr_read_b32 v6, a192
	v_accvgpr_read_b32 v5, a183
	;; [unrolled: 1-line block ×3, first 2 shown]
	v_fma_f64 v[2:3], v[4:5], v[6:7], -v[2:3]
	v_add_f64 v[0:1], v[0:1], v[2:3]
	v_accvgpr_read_b32 v2, a194
	v_accvgpr_read_b32 v3, a195
	v_accvgpr_read_b32 v4, a196
	v_mul_f64 v[2:3], v[146:147], v[2:3]
	v_accvgpr_read_b32 v5, a197
	v_fma_f64 v[2:3], v[144:145], v[4:5], -v[2:3]
	v_add_f64 v[0:1], v[0:1], v[2:3]
	v_accvgpr_read_b32 v2, a198
	v_accvgpr_read_b32 v3, a199
	v_accvgpr_read_b32 v4, a200
	v_mul_f64 v[2:3], v[150:151], v[2:3]
	v_accvgpr_read_b32 v5, a201
	;; [unrolled: 7-line block ×4, first 2 shown]
	v_fma_f64 v[2:3], v[130:131], v[4:5], -v[2:3]
	v_accvgpr_read_b32 v4, a210
	v_add_f64 v[0:1], v[0:1], v[2:3]
	v_mul_f64 v[2:3], v[128:129], v[228:229]
	v_accvgpr_read_b32 v5, a211
	v_fma_f64 v[2:3], v[126:127], v[4:5], -v[2:3]
	v_add_f64 v[0:1], v[0:1], v[2:3]
	v_mul_f64 v[2:3], v[122:123], v[136:137]
	v_fma_f64 v[2:3], v[120:121], v[154:155], -v[2:3]
	v_add_f64 v[0:1], v[0:1], v[2:3]
	v_mul_f64 v[2:3], v[36:37], v[142:143]
	;; [unrolled: 3-line block ×4, first 2 shown]
	s_waitcnt vmcnt(6) lgkmcnt(0)
	v_mul_f64 v[102:103], v[98:99], v[216:217]
	v_fma_f64 v[2:3], v[42:43], v[140:141], -v[2:3]
	s_waitcnt vmcnt(4)
	v_fmac_f64_e32 v[102:103], v[100:101], v[218:219]
	v_add_f64 v[38:39], v[38:39], v[102:103]
	ds_read_b128 v[102:105], v138 offset:1824
	buffer_load_dword v224, off, s[0:3], 0 offset:920
	buffer_load_dword v225, off, s[0:3], 0 offset:924
	;; [unrolled: 1-line block ×4, first 2 shown]
	v_add_f64 v[0:1], v[0:1], v[2:3]
	v_mul_f64 v[2:3], v[48:49], v[26:27]
	v_fma_f64 v[2:3], v[46:47], v[170:171], -v[2:3]
	s_waitcnt vmcnt(6) lgkmcnt(0)
	v_mul_f64 v[106:107], v[102:103], v[220:221]
	s_waitcnt vmcnt(4)
	v_fmac_f64_e32 v[106:107], v[104:105], v[222:223]
	v_add_f64 v[38:39], v[38:39], v[106:107]
	ds_read_b128 v[106:109], v138 offset:1840
	buffer_load_dword v237, off, s[0:3], 0 offset:940
	buffer_load_dword v236, off, s[0:3], 0 offset:936
	;; [unrolled: 1-line block ×4, first 2 shown]
	ds_read_b128 v[230:233], v138 offset:1856
	buffer_load_dword v242, off, s[0:3], 0 offset:952
	buffer_load_dword v243, off, s[0:3], 0 offset:956
	;; [unrolled: 1-line block ×4, first 2 shown]
	v_add_f64 v[0:1], v[0:1], v[2:3]
	v_mul_f64 v[2:3], v[52:53], v[168:169]
	v_fma_f64 v[2:3], v[50:51], v[172:173], -v[2:3]
	v_add_f64 v[0:1], v[0:1], v[2:3]
	v_mul_f64 v[2:3], v[56:57], v[176:177]
	v_fma_f64 v[2:3], v[54:55], v[180:181], -v[2:3]
	;; [unrolled: 3-line block ×14, first 2 shown]
	v_add_f64 v[0:1], v[0:1], v[2:3]
	s_waitcnt vmcnt(10) lgkmcnt(1)
	v_mul_f64 v[114:115], v[106:107], v[224:225]
	v_mul_f64 v[2:3], v[108:109], v[224:225]
	s_waitcnt vmcnt(8)
	v_fmac_f64_e32 v[114:115], v[108:109], v[226:227]
	v_add_f64 v[38:39], v[38:39], v[114:115]
	v_fma_f64 v[2:3], v[106:107], v[226:227], -v[2:3]
	v_add_f64 v[0:1], v[0:1], v[2:3]
	s_waitcnt vmcnt(6) lgkmcnt(0)
	v_mul_f64 v[114:115], v[230:231], v[236:237]
	v_mul_f64 v[2:3], v[232:233], v[236:237]
	s_waitcnt vmcnt(4)
	v_fmac_f64_e32 v[114:115], v[232:233], v[238:239]
	v_add_f64 v[38:39], v[38:39], v[114:115]
	ds_read_b128 v[114:117], v138 offset:1872
	buffer_load_dword v248, off, s[0:3], 0 offset:96
	buffer_load_dword v249, off, s[0:3], 0 offset:100
	v_fma_f64 v[2:3], v[230:231], v[238:239], -v[2:3]
	v_add_f64 v[0:1], v[0:1], v[2:3]
	s_waitcnt vmcnt(4) lgkmcnt(0)
	v_mul_f64 v[246:247], v[114:115], v[242:243]
	s_waitcnt vmcnt(2)
	v_fmac_f64_e32 v[246:247], v[116:117], v[244:245]
	v_add_f64 v[38:39], v[38:39], v[246:247]
	buffer_load_dword v246, off, s[0:3], 0 offset:104
	buffer_load_dword v247, off, s[0:3], 0 offset:108
	v_mul_f64 v[2:3], v[116:117], v[242:243]
	v_fma_f64 v[2:3], v[114:115], v[244:245], -v[2:3]
	v_add_f64 v[0:1], v[0:1], v[2:3]
	s_waitcnt vmcnt(2)
	v_add_f64 v[0:1], v[248:249], -v[0:1]
	s_waitcnt vmcnt(0)
	v_add_f64 v[2:3], v[246:247], -v[38:39]
	buffer_store_dword v1, off, s[0:3], 0 offset:100
	buffer_store_dword v0, off, s[0:3], 0 offset:96
	buffer_store_dword v3, off, s[0:3], 0 offset:108
	buffer_store_dword v2, off, s[0:3], 0 offset:104
	s_and_saveexec_b64 s[4:5], vcc
	s_cbranch_execz .LBB122_359
; %bb.358:
	v_accvgpr_read_b32 v0, a172
	buffer_load_dword v2, v0, s[0:3], 0 offen
	buffer_load_dword v3, v0, s[0:3], 0 offen offset:4
	buffer_load_dword v4, v0, s[0:3], 0 offen offset:8
	;; [unrolled: 1-line block ×3, first 2 shown]
	v_accvgpr_read_b32 v0, a177
	buffer_store_dword v138, off, s[0:3], 0 offset:80
	buffer_store_dword v138, off, s[0:3], 0 offset:84
	;; [unrolled: 1-line block ×4, first 2 shown]
	s_waitcnt vmcnt(4)
	ds_write_b128 v0, v[2:5]
.LBB122_359:
	s_or_b64 exec, exec, s[4:5]
	s_waitcnt lgkmcnt(0)
	; wave barrier
	s_waitcnt lgkmcnt(0)
	buffer_load_dword v132, off, s[0:3], 0 offset:96
	buffer_load_dword v133, off, s[0:3], 0 offset:100
	;; [unrolled: 1-line block ×42, first 2 shown]
	ds_read_b128 v[14:17], v138 offset:1024
	ds_read_b128 v[26:29], v138 offset:1040
	;; [unrolled: 1-line block ×10, first 2 shown]
	buffer_load_dword v105, off, s[0:3], 0 offset:244
	buffer_load_dword v104, off, s[0:3], 0 offset:240
	ds_read_b128 v[42:45], v138 offset:1184
	buffer_load_dword v65, off, s[0:3], 0 offset:300
	buffer_load_dword v64, off, s[0:3], 0 offset:296
	;; [unrolled: 1-line block ×6, first 2 shown]
	s_waitcnt vmcnt(46) lgkmcnt(10)
	v_mul_f64 v[2:3], v[14:15], v[8:9]
	v_fmac_f64_e32 v[2:3], v[16:17], v[132:133]
	v_add_f64 v[2:3], v[2:3], 0
	v_mul_f64 v[8:9], v[16:17], v[8:9]
	s_waitcnt vmcnt(42) lgkmcnt(9)
	v_mul_f64 v[4:5], v[26:27], v[12:13]
	v_fmac_f64_e32 v[4:5], v[28:29], v[134:135]
	s_waitcnt vmcnt(40) lgkmcnt(8)
	v_mul_f64 v[66:67], v[106:107], v[18:19]
	v_add_f64 v[2:3], v[2:3], v[4:5]
	s_waitcnt vmcnt(38) lgkmcnt(6)
	v_mul_f64 v[72:73], v[114:115], v[30:31]
	v_fma_f64 v[132:133], v[14:15], v[132:133], -v[8:9]
	s_waitcnt vmcnt(36)
	v_fmac_f64_e32 v[72:73], v[116:117], v[32:33]
	v_mul_f64 v[12:13], v[28:29], v[12:13]
	s_waitcnt vmcnt(34)
	v_mul_f64 v[68:69], v[110:111], v[22:23]
	v_mul_f64 v[18:19], v[108:109], v[18:19]
	s_waitcnt vmcnt(32) lgkmcnt(4)
	v_mul_f64 v[76:77], v[164:165], v[38:39]
	v_mul_f64 v[22:23], v[112:113], v[22:23]
	s_waitcnt vmcnt(30)
	v_fmac_f64_e32 v[76:77], v[166:167], v[40:41]
	v_mul_f64 v[30:31], v[116:117], v[30:31]
	s_waitcnt vmcnt(28)
	v_mul_f64 v[74:75], v[156:157], v[34:35]
	v_mul_f64 v[34:35], v[158:159], v[34:35]
	s_waitcnt vmcnt(26) lgkmcnt(2)
	v_mul_f64 v[80:81], v[172:173], v[52:53]
	s_waitcnt vmcnt(23)
	v_mul_f64 v[78:79], v[168:169], v[56:57]
	s_waitcnt vmcnt(21) lgkmcnt(1)
	v_mul_f64 v[118:119], v[46:47], v[50:51]
	s_waitcnt vmcnt(19)
	v_fmac_f64_e32 v[66:67], v[108:109], v[20:21]
	v_add_f64 v[2:3], v[2:3], v[66:67]
	s_waitcnt vmcnt(17)
	v_fmac_f64_e32 v[68:69], v[112:113], v[24:25]
	v_add_f64 v[2:3], v[2:3], v[68:69]
	;; [unrolled: 3-line block ×3, first 2 shown]
	v_add_f64 v[2:3], v[2:3], v[74:75]
	s_waitcnt vmcnt(13)
	v_fmac_f64_e32 v[78:79], v[170:171], v[58:59]
	v_add_f64 v[2:3], v[2:3], v[76:77]
	s_waitcnt vmcnt(12)
	v_fmac_f64_e32 v[80:81], v[174:175], v[54:55]
	v_add_f64 v[2:3], v[2:3], v[78:79]
	v_add_f64 v[2:3], v[2:3], v[80:81]
	buffer_load_dword v187, off, s[0:3], 0 offset:276
	buffer_load_dword v186, off, s[0:3], 0 offset:272
	;; [unrolled: 1-line block ×52, first 2 shown]
	s_waitcnt vmcnt(58)
	v_fmac_f64_e32 v[118:119], v[48:49], v[104:105]
	v_add_f64 v[2:3], v[2:3], v[118:119]
	v_fma_f64 v[180:181], v[106:107], v[20:21], -v[18:19]
	v_fma_f64 v[106:107], v[110:111], v[24:25], -v[22:23]
	;; [unrolled: 1-line block ×4, first 2 shown]
	s_waitcnt vmcnt(0)
	v_pk_mov_b32 v[120:121], v[4:5], v[4:5] op_sel:[0,1]
	buffer_load_dword v5, off, s[0:3], 0 offset:516
	buffer_load_dword v4, off, s[0:3], 0 offset:512
	v_accvgpr_write_b32 a187, v121
	v_accvgpr_write_b32 a186, v120
	s_waitcnt vmcnt(0)
	v_pk_mov_b32 v[122:123], v[4:5], v[4:5] op_sel:[0,1]
	buffer_load_dword v5, off, s[0:3], 0 offset:508
	buffer_load_dword v4, off, s[0:3], 0 offset:504
	v_accvgpr_write_b32 a189, v123
	v_accvgpr_write_b32 a188, v122
	;; [unrolled: 6-line block ×10, first 2 shown]
	s_waitcnt vmcnt(0)
	v_pk_mov_b32 v[184:185], v[4:5], v[4:5] op_sel:[0,1]
	buffer_load_dword v5, off, s[0:3], 0 offset:564
	buffer_load_dword v4, off, s[0:3], 0 offset:560
	ds_read_b128 v[176:179], v138 offset:1200
	ds_read_b128 v[192:195], v138 offset:1216
	;; [unrolled: 1-line block ×7, first 2 shown]
	buffer_load_dword v119, off, s[0:3], 0 offset:604
	buffer_load_dword v118, off, s[0:3], 0 offset:600
	;; [unrolled: 1-line block ×4, first 2 shown]
	ds_read_b128 v[220:223], v138 offset:1312
	v_accvgpr_write_b32 a203, v185
	v_accvgpr_write_b32 a202, v184
	s_waitcnt lgkmcnt(7)
	v_mul_f64 v[20:21], v[178:179], v[0:1]
	v_fma_f64 v[20:21], v[176:177], v[186:187], -v[20:21]
	s_waitcnt lgkmcnt(5)
	v_mul_f64 v[24:25], v[198:199], v[250:251]
	v_fma_f64 v[24:25], v[196:197], v[252:253], -v[24:25]
	s_waitcnt vmcnt(4)
	v_pk_mov_b32 v[188:189], v[4:5], v[4:5] op_sel:[0,1]
	v_mul_f64 v[4:5], v[42:43], v[60:61]
	v_fmac_f64_e32 v[4:5], v[44:45], v[62:63]
	v_add_f64 v[2:3], v[2:3], v[4:5]
	v_mul_f64 v[4:5], v[176:177], v[0:1]
	v_fmac_f64_e32 v[4:5], v[178:179], v[186:187]
	v_add_f64 v[2:3], v[2:3], v[4:5]
	;; [unrolled: 3-line block ×4, first 2 shown]
	s_waitcnt lgkmcnt(4)
	v_mul_f64 v[4:5], v[200:201], v[208:209]
	v_fmac_f64_e32 v[4:5], v[202:203], v[210:211]
	v_add_f64 v[2:3], v[2:3], v[4:5]
	s_waitcnt lgkmcnt(3)
	v_mul_f64 v[4:5], v[204:205], v[254:255]
	v_fmac_f64_e32 v[4:5], v[206:207], v[144:145]
	v_add_f64 v[2:3], v[2:3], v[4:5]
	;; [unrolled: 4-line block ×3, first 2 shown]
	s_waitcnt lgkmcnt(1)
	v_mul_f64 v[4:5], v[216:217], v[100:101]
	v_fmac_f64_e32 v[4:5], v[218:219], v[102:103]
	s_waitcnt vmcnt(2)
	v_pk_mov_b32 v[190:191], v[118:119], v[118:119] op_sel:[0,1]
	buffer_load_dword v118, off, s[0:3], 0 offset:616
	buffer_load_dword v119, off, s[0:3], 0 offset:620
	v_add_f64 v[2:3], v[2:3], v[4:5]
	buffer_load_dword v4, off, s[0:3], 0 offset:608
	buffer_load_dword v5, off, s[0:3], 0 offset:612
	ds_read_b128 v[224:227], v138 offset:1328
	ds_read_b128 v[230:233], v138 offset:1344
	;; [unrolled: 1-line block ×4, first 2 shown]
	buffer_load_dword v7, off, s[0:3], 0 offset:636
	buffer_load_dword v6, off, s[0:3], 0 offset:632
	buffer_load_dword v155, off, s[0:3], 0 offset:628
	buffer_load_dword v154, off, s[0:3], 0 offset:624
	ds_read_b128 v[242:245], v138 offset:1392
	ds_read_b128 v[246:249], v138 offset:1408
	ds_read_b128 v[150:153], v138 offset:1424
	ds_read_b128 v[14:17], v138 offset:1440
	ds_read_b128 v[34:37], v138 offset:1552
	s_waitcnt vmcnt(8)
	v_accvgpr_write_b32 a209, v11
	v_accvgpr_write_b32 a208, v10
	s_waitcnt lgkmcnt(2)
	v_accvgpr_write_b32 a181, v153
	v_accvgpr_write_b32 a180, v152
	;; [unrolled: 1-line block ×8, first 2 shown]
	s_waitcnt vmcnt(6)
	v_accvgpr_write_b32 a211, v119
	v_accvgpr_write_b32 a210, v118
	s_waitcnt vmcnt(4)
	v_pk_mov_b32 v[228:229], v[4:5], v[4:5] op_sel:[0,1]
	v_mul_f64 v[4:5], v[220:221], v[76:77]
	v_fmac_f64_e32 v[4:5], v[222:223], v[86:87]
	v_add_f64 v[2:3], v[2:3], v[4:5]
	v_mul_f64 v[4:5], v[224:225], v[88:89]
	v_fmac_f64_e32 v[4:5], v[226:227], v[94:95]
	v_add_f64 v[2:3], v[2:3], v[4:5]
	;; [unrolled: 3-line block ×8, first 2 shown]
	v_fma_f64 v[160:161], v[26:27], v[134:135], -v[12:13]
	ds_read_b128 v[134:137], v138 offset:1456
	ds_read_b128 v[128:131], v138 offset:1472
	s_waitcnt lgkmcnt(3)
	v_pk_mov_b32 v[28:29], v[16:17], v[16:17] op_sel:[0,1]
	v_pk_mov_b32 v[26:27], v[14:15], v[14:15] op_sel:[0,1]
	v_mul_f64 v[14:15], v[26:27], v[120:121]
	v_accvgpr_write_b32 a217, v29
	v_fmac_f64_e32 v[14:15], v[28:29], v[122:123]
	v_accvgpr_write_b32 a216, v28
	v_accvgpr_write_b32 a215, v27
	;; [unrolled: 1-line block ×3, first 2 shown]
	s_waitcnt lgkmcnt(1)
	v_mul_f64 v[26:27], v[134:135], v[146:147]
	ds_read_b128 v[150:153], v138 offset:1488
	v_add_f64 v[4:5], v[4:5], v[14:15]
	v_fmac_f64_e32 v[26:27], v[136:137], v[148:149]
	ds_read_b128 v[146:149], v138 offset:1504
	v_add_f64 v[4:5], v[4:5], v[26:27]
	s_waitcnt lgkmcnt(2)
	v_mul_f64 v[26:27], v[128:129], v[124:125]
	v_fmac_f64_e32 v[26:27], v[130:131], v[126:127]
	ds_read_b128 v[124:127], v138 offset:1520
	ds_read_b128 v[120:123], v138 offset:1536
	v_add_f64 v[4:5], v[4:5], v[26:27]
	s_waitcnt lgkmcnt(3)
	v_mul_f64 v[26:27], v[150:151], v[184:185]
	v_fmac_f64_e32 v[26:27], v[152:153], v[188:189]
	v_add_f64 v[4:5], v[4:5], v[26:27]
	s_waitcnt lgkmcnt(2)
	v_mul_f64 v[26:27], v[146:147], v[162:163]
	v_fmac_f64_e32 v[26:27], v[148:149], v[182:183]
	s_waitcnt lgkmcnt(1)
	v_mul_f64 v[110:111], v[124:125], v[190:191]
	v_add_f64 v[4:5], v[4:5], v[26:27]
	v_fmac_f64_e32 v[110:111], v[126:127], v[10:11]
	s_waitcnt lgkmcnt(0)
	v_mul_f64 v[8:9], v[120:121], v[118:119]
	v_add_f64 v[4:5], v[4:5], v[110:111]
	buffer_load_dword v157, off, s[0:3], 0 offset:652
	buffer_load_dword v156, off, s[0:3], 0 offset:648
	v_fmac_f64_e32 v[8:9], v[122:123], v[228:229]
	v_add_f64 v[8:9], v[4:5], v[8:9]
	buffer_load_dword v163, off, s[0:3], 0 offset:644
	buffer_load_dword v162, off, s[0:3], 0 offset:640
	v_mul_f64 v[4:5], v[166:167], v[38:39]
	v_fma_f64 v[182:183], v[164:165], v[40:41], -v[4:5]
	buffer_load_dword v158, off, s[0:3], 0 offset:680
	buffer_load_dword v30, off, s[0:3], 0 offset:672
	;; [unrolled: 1-line block ×8, first 2 shown]
	s_waitcnt vmcnt(14)
	v_mul_f64 v[14:15], v[34:35], v[6:7]
	s_waitcnt vmcnt(12)
	v_fmac_f64_e32 v[14:15], v[36:37], v[154:155]
	v_mul_f64 v[38:39], v[170:171], v[56:57]
	v_add_f64 v[14:15], v[8:9], v[14:15]
	v_mul_f64 v[8:9], v[174:175], v[52:53]
	v_fma_f64 v[16:17], v[168:169], v[58:59], -v[38:39]
	ds_read_b128 v[38:41], v138 offset:1568
	v_fma_f64 v[10:11], v[172:173], v[54:55], -v[8:9]
	buffer_load_dword v169, off, s[0:3], 0 offset:700
	buffer_load_dword v168, off, s[0:3], 0 offset:696
	;; [unrolled: 1-line block ×24, first 2 shown]
	v_mul_f64 v[8:9], v[48:49], v[50:51]
	v_fma_f64 v[12:13], v[46:47], v[104:105], -v[8:9]
	v_mul_f64 v[8:9], v[44:45], v[60:61]
	v_fma_f64 v[8:9], v[42:43], v[62:63], -v[8:9]
	v_mul_f64 v[42:43], v[194:195], v[64:65]
	v_pk_mov_b32 v[118:119], v[6:7], v[6:7] op_sel:[0,1]
	v_fma_f64 v[6:7], v[192:193], v[70:71], -v[42:43]
	buffer_load_dword v193, off, s[0:3], 0 offset:796
	buffer_load_dword v192, off, s[0:3], 0 offset:792
	;; [unrolled: 1-line block ×4, first 2 shown]
	v_mul_f64 v[42:43], v[202:203], v[208:209]
	v_fma_f64 v[250:251], v[200:201], v[210:211], -v[42:43]
	buffer_load_dword v198, off, s[0:3], 0 offset:808
	buffer_load_dword v200, off, s[0:3], 0 offset:800
	;; [unrolled: 1-line block ×4, first 2 shown]
	v_mul_f64 v[42:43], v[206:207], v[254:255]
	v_fma_f64 v[144:145], v[204:205], v[144:145], -v[42:43]
	buffer_load_dword v197, off, s[0:3], 0 offset:844
	buffer_load_dword v203, off, s[0:3], 0 offset:828
	buffer_load_dword v202, off, s[0:3], 0 offset:824
	buffer_load_dword v209, off, s[0:3], 0 offset:820
	buffer_load_dword v208, off, s[0:3], 0 offset:816
	buffer_load_dword v196, off, s[0:3], 0 offset:840
	buffer_load_dword v207, off, s[0:3], 0 offset:836
	buffer_load_dword v206, off, s[0:3], 0 offset:832
	buffer_load_dword v205, off, s[0:3], 0 offset:860
	buffer_load_dword v204, off, s[0:3], 0 offset:856
	buffer_load_dword v211, off, s[0:3], 0 offset:852
	buffer_load_dword v210, off, s[0:3], 0 offset:848
	ds_read_b128 v[42:45], v138 offset:1584
	v_mul_f64 v[46:47], v[214:215], v[96:97]
	v_fma_f64 v[254:255], v[212:213], v[98:99], -v[46:47]
	v_mul_f64 v[46:47], v[218:219], v[100:101]
	buffer_load_dword v212, off, s[0:3], 0 offset:872
	buffer_load_dword v214, off, s[0:3], 0 offset:864
	;; [unrolled: 1-line block ×4, first 2 shown]
	v_fma_f64 v[252:253], v[216:217], v[102:103], -v[46:47]
	ds_read_b128 v[46:49], v138 offset:1600
	v_mul_f64 v[54:55], v[222:223], v[76:77]
	v_fma_f64 v[4:5], v[220:221], v[86:87], -v[54:55]
	ds_read_b128 v[54:57], v138 offset:1632
	v_mul_f64 v[66:67], v[232:233], v[66:67]
	v_fma_f64 v[2:3], v[230:231], v[68:69], -v[66:67]
	ds_read_b128 v[66:69], v138 offset:1680
	v_mul_f64 v[70:71], v[236:237], v[72:73]
	v_fma_f64 v[234:235], v[234:235], v[74:75], -v[70:71]
	ds_read_b128 v[70:73], v138 offset:1696
	ds_read_b128 v[74:77], v138 offset:1712
	v_accvgpr_write_b32 a212, v228
	v_accvgpr_write_b32 a213, v229
	s_waitcnt vmcnt(58) lgkmcnt(6)
	v_mul_f64 v[50:51], v[38:39], v[156:157]
	s_waitcnt vmcnt(56)
	v_fmac_f64_e32 v[50:51], v[40:41], v[162:163]
	v_add_f64 v[14:15], v[14:15], v[50:51]
	s_waitcnt vmcnt(52) lgkmcnt(5)
	v_mul_f64 v[50:51], v[42:43], v[164:165]
	s_waitcnt vmcnt(50)
	v_fmac_f64_e32 v[50:51], v[44:45], v[166:167]
	v_add_f64 v[14:15], v[14:15], v[50:51]
	s_waitcnt vmcnt(49) lgkmcnt(4)
	v_mul_f64 v[50:51], v[46:47], v[158:159]
	s_waitcnt vmcnt(48)
	v_fmac_f64_e32 v[50:51], v[48:49], v[30:31]
	v_add_f64 v[14:15], v[14:15], v[50:51]
	ds_read_b128 v[50:53], v138 offset:1616
	s_waitcnt vmcnt(41) lgkmcnt(4)
	v_mul_f64 v[62:63], v[54:55], v[170:171]
	s_waitcnt lgkmcnt(0)
	v_mul_f64 v[58:59], v[50:51], v[168:169]
	v_fmac_f64_e32 v[58:59], v[52:53], v[172:173]
	v_add_f64 v[14:15], v[14:15], v[58:59]
	v_mul_f64 v[58:59], v[226:227], v[88:89]
	v_fma_f64 v[226:227], v[224:225], v[94:95], -v[58:59]
	ds_read_b128 v[58:61], v138 offset:1648
	s_waitcnt vmcnt(40)
	v_fmac_f64_e32 v[62:63], v[56:57], v[174:175]
	v_add_f64 v[14:15], v[14:15], v[62:63]
	ds_read_b128 v[62:65], v138 offset:1664
	ds_read_b128 v[86:89], v138 offset:1760
	s_waitcnt vmcnt(38) lgkmcnt(2)
	v_mul_f64 v[28:29], v[58:59], v[178:179]
	s_waitcnt vmcnt(36)
	v_fmac_f64_e32 v[28:29], v[60:61], v[26:27]
	v_add_f64 v[14:15], v[14:15], v[28:29]
	s_waitcnt vmcnt(34) lgkmcnt(1)
	v_mul_f64 v[28:29], v[62:63], v[22:23]
	s_waitcnt vmcnt(32)
	v_fmac_f64_e32 v[28:29], v[64:65], v[184:185]
	v_add_f64 v[14:15], v[14:15], v[28:29]
	s_waitcnt vmcnt(29)
	v_mul_f64 v[28:29], v[66:67], v[188:189]
	s_waitcnt vmcnt(27)
	v_fmac_f64_e32 v[28:29], v[68:69], v[190:191]
	v_add_f64 v[14:15], v[14:15], v[28:29]
	s_waitcnt vmcnt(25)
	v_mul_f64 v[28:29], v[70:71], v[176:177]
	s_waitcnt vmcnt(24)
	v_fmac_f64_e32 v[28:29], v[72:73], v[186:187]
	v_add_f64 v[14:15], v[14:15], v[28:29]
	v_mul_f64 v[28:29], v[240:241], v[78:79]
	v_fma_f64 v[0:1], v[238:239], v[80:81], -v[28:29]
	ds_read_b128 v[78:81], v138 offset:1728
	s_waitcnt vmcnt(22)
	v_mul_f64 v[28:29], v[74:75], v[192:193]
	s_waitcnt vmcnt(20)
	v_fmac_f64_e32 v[28:29], v[76:77], v[194:195]
	v_add_f64 v[28:29], v[14:15], v[28:29]
	v_mul_f64 v[14:15], v[244:245], v[82:83]
	v_fma_f64 v[14:15], v[242:243], v[84:85], -v[14:15]
	ds_read_b128 v[82:85], v138 offset:1744
	s_waitcnt vmcnt(17) lgkmcnt(1)
	v_mul_f64 v[32:33], v[78:79], v[198:199]
	s_waitcnt vmcnt(16)
	v_fmac_f64_e32 v[32:33], v[80:81], v[200:201]
	v_add_f64 v[32:33], v[28:29], v[32:33]
	v_mul_f64 v[28:29], v[248:249], v[90:91]
	v_fma_f64 v[28:29], v[246:247], v[92:93], -v[28:29]
	ds_read_b128 v[90:93], v138 offset:1776
	s_waitcnt vmcnt(13) lgkmcnt(1)
	v_mul_f64 v[94:95], v[82:83], v[202:203]
	s_waitcnt vmcnt(11)
	v_fmac_f64_e32 v[94:95], v[84:85], v[208:209]
	v_add_f64 v[32:33], v[32:33], v[94:95]
	s_waitcnt vmcnt(10)
	v_mul_f64 v[94:95], v[86:87], v[196:197]
	s_waitcnt vmcnt(8)
	v_fmac_f64_e32 v[94:95], v[88:89], v[206:207]
	v_add_f64 v[32:33], v[32:33], v[94:95]
	s_waitcnt vmcnt(6) lgkmcnt(0)
	v_mul_f64 v[94:95], v[90:91], v[204:205]
	s_waitcnt vmcnt(4)
	v_fmac_f64_e32 v[94:95], v[92:93], v[210:211]
	v_add_f64 v[32:33], v[32:33], v[94:95]
	ds_read_b128 v[94:97], v138 offset:1792
	buffer_load_dword v217, off, s[0:3], 0 offset:892
	buffer_load_dword v216, off, s[0:3], 0 offset:888
	buffer_load_dword v219, off, s[0:3], 0 offset:884
	buffer_load_dword v218, off, s[0:3], 0 offset:880
	s_waitcnt vmcnt(5) lgkmcnt(0)
	v_mul_f64 v[98:99], v[94:95], v[212:213]
	s_waitcnt vmcnt(4)
	v_fmac_f64_e32 v[98:99], v[96:97], v[214:215]
	v_add_f64 v[32:33], v[32:33], v[98:99]
	ds_read_b128 v[98:101], v138 offset:1808
	buffer_load_dword v220, off, s[0:3], 0 offset:904
	buffer_load_dword v221, off, s[0:3], 0 offset:908
	buffer_load_dword v222, off, s[0:3], 0 offset:896
	buffer_load_dword v223, off, s[0:3], 0 offset:900
	;; [unrolled: 10-line block ×3, first 2 shown]
	ds_read_b128 v[230:233], v138 offset:1840
	buffer_load_dword v238, off, s[0:3], 0 offset:936
	buffer_load_dword v239, off, s[0:3], 0 offset:940
	;; [unrolled: 1-line block ×4, first 2 shown]
	s_waitcnt vmcnt(10) lgkmcnt(1)
	v_mul_f64 v[110:111], v[102:103], v[220:221]
	s_waitcnt vmcnt(8)
	v_fmac_f64_e32 v[110:111], v[104:105], v[222:223]
	v_add_f64 v[32:33], v[32:33], v[110:111]
	s_waitcnt vmcnt(6) lgkmcnt(0)
	v_mul_f64 v[110:111], v[230:231], v[224:225]
	s_waitcnt vmcnt(4)
	v_fmac_f64_e32 v[110:111], v[232:233], v[236:237]
	v_add_f64 v[32:33], v[32:33], v[110:111]
	ds_read_b128 v[110:113], v138 offset:1856
	buffer_load_dword v245, off, s[0:3], 0 offset:956
	buffer_load_dword v244, off, s[0:3], 0 offset:952
	;; [unrolled: 1-line block ×4, first 2 shown]
	s_waitcnt vmcnt(6) lgkmcnt(0)
	v_mul_f64 v[114:115], v[110:111], v[238:239]
	s_waitcnt vmcnt(4)
	v_fmac_f64_e32 v[114:115], v[112:113], v[240:241]
	v_add_f64 v[32:33], v[32:33], v[114:115]
	ds_read_b128 v[114:117], v138 offset:1872
	s_waitcnt vmcnt(2) lgkmcnt(0)
	v_mul_f64 v[228:229], v[114:115], v[244:245]
	s_waitcnt vmcnt(0)
	v_fmac_f64_e32 v[228:229], v[116:117], v[246:247]
	v_add_f64 v[242:243], v[32:33], v[228:229]
	v_add_f64 v[32:33], v[132:133], 0
	v_add_f64 v[32:33], v[32:33], v[160:161]
	v_add_f64 v[32:33], v[32:33], v[180:181]
	v_add_f64 v[32:33], v[32:33], v[106:107]
	v_add_f64 v[32:33], v[32:33], v[108:109]
	v_add_f64 v[18:19], v[32:33], v[18:19]
	v_add_f64 v[18:19], v[18:19], v[182:183]
	v_add_f64 v[16:17], v[18:19], v[16:17]
	v_add_f64 v[10:11], v[16:17], v[10:11]
	v_add_f64 v[10:11], v[10:11], v[12:13]
	v_add_f64 v[8:9], v[10:11], v[8:9]
	v_add_f64 v[8:9], v[8:9], v[20:21]
	v_add_f64 v[6:7], v[8:9], v[6:7]
	v_add_f64 v[6:7], v[6:7], v[24:25]
	v_add_f64 v[6:7], v[6:7], v[250:251]
	v_add_f64 v[6:7], v[6:7], v[144:145]
	v_add_f64 v[6:7], v[6:7], v[254:255]
	v_add_f64 v[6:7], v[6:7], v[252:253]
	v_add_f64 v[4:5], v[6:7], v[4:5]
	v_add_f64 v[4:5], v[4:5], v[226:227]
	buffer_load_dword v226, off, s[0:3], 0 offset:80
	buffer_load_dword v227, off, s[0:3], 0 offset:84
	;; [unrolled: 1-line block ×4, first 2 shown]
	v_add_f64 v[2:3], v[4:5], v[2:3]
	v_add_f64 v[2:3], v[2:3], v[234:235]
	;; [unrolled: 1-line block ×3, first 2 shown]
	v_accvgpr_read_b32 v4, a178
	v_accvgpr_read_b32 v2, a182
	;; [unrolled: 1-line block ×5, first 2 shown]
	v_mul_f64 v[2:3], v[6:7], v[2:3]
	v_accvgpr_read_b32 v6, a184
	v_add_f64 v[0:1], v[254:255], v[14:15]
	v_accvgpr_read_b32 v5, a179
	v_accvgpr_read_b32 v7, a185
	v_add_f64 v[0:1], v[0:1], v[28:29]
	v_fma_f64 v[2:3], v[4:5], v[6:7], -v[2:3]
	v_add_f64 v[0:1], v[0:1], v[2:3]
	v_accvgpr_read_b32 v2, a186
	v_accvgpr_read_b32 v6, a214
	;; [unrolled: 1-line block ×7, first 2 shown]
	v_mul_f64 v[2:3], v[8:9], v[2:3]
	v_accvgpr_read_b32 v5, a189
	v_fma_f64 v[2:3], v[6:7], v[4:5], -v[2:3]
	v_add_f64 v[0:1], v[0:1], v[2:3]
	v_accvgpr_read_b32 v2, a190
	v_accvgpr_read_b32 v3, a191
	v_accvgpr_read_b32 v4, a192
	v_mul_f64 v[2:3], v[136:137], v[2:3]
	v_accvgpr_read_b32 v5, a193
	v_fma_f64 v[2:3], v[134:135], v[4:5], -v[2:3]
	v_add_f64 v[0:1], v[0:1], v[2:3]
	v_accvgpr_read_b32 v2, a194
	v_accvgpr_read_b32 v3, a195
	v_accvgpr_read_b32 v4, a196
	;; [unrolled: 7-line block ×6, first 2 shown]
	v_mul_f64 v[2:3], v[122:123], v[2:3]
	v_accvgpr_read_b32 v5, a213
	v_fma_f64 v[2:3], v[120:121], v[4:5], -v[2:3]
	v_add_f64 v[0:1], v[0:1], v[2:3]
	v_mul_f64 v[2:3], v[36:37], v[118:119]
	v_fma_f64 v[2:3], v[34:35], v[154:155], -v[2:3]
	v_add_f64 v[0:1], v[0:1], v[2:3]
	v_mul_f64 v[2:3], v[40:41], v[156:157]
	;; [unrolled: 3-line block ×21, first 2 shown]
	v_fma_f64 v[2:3], v[114:115], v[246:247], -v[2:3]
	v_add_f64 v[0:1], v[0:1], v[2:3]
	v_accvgpr_read_b32 v145, a176
	s_waitcnt vmcnt(2)
	v_add_f64 v[0:1], v[226:227], -v[0:1]
	v_cmp_lt_u32_e32 vcc, 3, v145
	s_waitcnt vmcnt(0)
	v_add_f64 v[2:3], v[248:249], -v[242:243]
	buffer_store_dword v1, off, s[0:3], 0 offset:84
	buffer_store_dword v0, off, s[0:3], 0 offset:80
	;; [unrolled: 1-line block ×4, first 2 shown]
	s_and_saveexec_b64 s[4:5], vcc
	s_cbranch_execz .LBB122_361
; %bb.360:
	v_accvgpr_read_b32 v0, a173
	buffer_load_dword v2, v0, s[0:3], 0 offen
	buffer_load_dword v3, v0, s[0:3], 0 offen offset:4
	buffer_load_dword v4, v0, s[0:3], 0 offen offset:8
	;; [unrolled: 1-line block ×3, first 2 shown]
	v_mov_b32_e32 v0, 0
	v_accvgpr_read_b32 v1, a177
	buffer_store_dword v0, off, s[0:3], 0 offset:64
	buffer_store_dword v0, off, s[0:3], 0 offset:68
	;; [unrolled: 1-line block ×4, first 2 shown]
	s_waitcnt vmcnt(4)
	ds_write_b128 v1, v[2:5]
.LBB122_361:
	s_or_b64 exec, exec, s[4:5]
	s_waitcnt lgkmcnt(0)
	; wave barrier
	s_waitcnt lgkmcnt(0)
	buffer_load_dword v2, off, s[0:3], 0 offset:80
	buffer_load_dword v3, off, s[0:3], 0 offset:84
	;; [unrolled: 1-line block ×42, first 2 shown]
	v_mov_b32_e32 v144, 0
	buffer_load_dword v83, off, s[0:3], 0 offset:228
	buffer_load_dword v82, off, s[0:3], 0 offset:224
	;; [unrolled: 1-line block ×7, first 2 shown]
	ds_read_b128 v[10:13], v144 offset:1008
	ds_read_b128 v[22:25], v144 offset:1024
	;; [unrolled: 1-line block ×11, first 2 shown]
	v_cmp_lt_u32_e32 vcc, 2, v145
	s_waitcnt vmcnt(45) lgkmcnt(10)
	v_mul_f64 v[0:1], v[10:11], v[4:5]
	v_fmac_f64_e32 v[0:1], v[12:13], v[2:3]
	v_add_f64 v[0:1], v[0:1], 0
	v_mul_f64 v[4:5], v[12:13], v[4:5]
	s_waitcnt vmcnt(41) lgkmcnt(9)
	v_mul_f64 v[56:57], v[22:23], v[8:9]
	v_fmac_f64_e32 v[56:57], v[24:25], v[6:7]
	s_waitcnt vmcnt(39) lgkmcnt(8)
	v_mul_f64 v[58:59], v[98:99], v[14:15]
	v_add_f64 v[0:1], v[0:1], v[56:57]
	s_waitcnt vmcnt(37) lgkmcnt(6)
	v_mul_f64 v[62:63], v[106:107], v[26:27]
	v_mul_f64 v[8:9], v[24:25], v[8:9]
	s_waitcnt vmcnt(35)
	v_fmac_f64_e32 v[62:63], v[108:109], v[28:29]
	v_mul_f64 v[14:15], v[100:101], v[14:15]
	s_waitcnt vmcnt(33)
	v_mul_f64 v[60:61], v[102:103], v[18:19]
	v_mul_f64 v[18:19], v[104:105], v[18:19]
	s_waitcnt vmcnt(31) lgkmcnt(4)
	v_mul_f64 v[66:67], v[114:115], v[34:35]
	v_mul_f64 v[26:27], v[108:109], v[26:27]
	s_waitcnt vmcnt(29)
	v_fmac_f64_e32 v[66:67], v[116:117], v[36:37]
	v_fma_f64 v[26:27], v[106:107], v[28:29], -v[26:27]
	s_waitcnt vmcnt(27)
	v_mul_f64 v[64:65], v[110:111], v[30:31]
	v_mul_f64 v[30:31], v[112:113], v[30:31]
	s_waitcnt vmcnt(25) lgkmcnt(2)
	v_mul_f64 v[70:71], v[160:161], v[38:39]
	s_waitcnt vmcnt(22)
	v_mul_f64 v[68:69], v[156:157], v[44:45]
	s_waitcnt vmcnt(20) lgkmcnt(1)
	v_mul_f64 v[118:119], v[166:167], v[42:43]
	s_waitcnt vmcnt(18)
	v_fmac_f64_e32 v[58:59], v[100:101], v[16:17]
	v_add_f64 v[0:1], v[0:1], v[58:59]
	s_waitcnt vmcnt(16)
	v_fmac_f64_e32 v[60:61], v[104:105], v[20:21]
	v_add_f64 v[0:1], v[0:1], v[60:61]
	;; [unrolled: 3-line block ×3, first 2 shown]
	v_add_f64 v[0:1], v[0:1], v[64:65]
	s_waitcnt vmcnt(12)
	v_fmac_f64_e32 v[68:69], v[158:159], v[46:47]
	v_add_f64 v[0:1], v[0:1], v[66:67]
	s_waitcnt vmcnt(11)
	v_fmac_f64_e32 v[70:71], v[162:163], v[40:41]
	v_add_f64 v[0:1], v[0:1], v[68:69]
	v_add_f64 v[0:1], v[0:1], v[70:71]
	buffer_load_dword v72, off, s[0:3], 0 offset:264
	buffer_load_dword v195, off, s[0:3], 0 offset:260
	;; [unrolled: 1-line block ×53, first 2 shown]
	s_waitcnt vmcnt(58)
	v_fmac_f64_e32 v[118:119], v[168:169], v[82:83]
	v_add_f64 v[0:1], v[0:1], v[118:119]
	s_waitcnt lgkmcnt(0)
	v_mul_f64 v[118:119], v[170:171], v[48:49]
	v_fmac_f64_e32 v[118:119], v[172:173], v[50:51]
	v_add_f64 v[0:1], v[0:1], v[118:119]
	v_fma_f64 v[100:101], v[102:103], v[20:21], -v[18:19]
	v_fma_f64 v[98:99], v[98:99], v[16:17], -v[14:15]
	s_waitcnt vmcnt(0)
	v_pk_mov_b32 v[122:123], v[90:91], v[90:91] op_sel:[0,1]
	buffer_load_dword v91, off, s[0:3], 0 offset:500
	buffer_load_dword v90, off, s[0:3], 0 offset:496
	v_accvgpr_write_b32 a183, v123
	v_accvgpr_write_b32 a182, v122
	s_waitcnt vmcnt(0)
	v_pk_mov_b32 v[124:125], v[90:91], v[90:91] op_sel:[0,1]
	buffer_load_dword v91, off, s[0:3], 0 offset:492
	buffer_load_dword v90, off, s[0:3], 0 offset:488
	;; [unrolled: 1-line block ×6, first 2 shown]
	v_accvgpr_write_b32 a185, v125
	v_accvgpr_write_b32 a184, v124
	s_waitcnt vmcnt(0)
	v_pk_mov_b32 v[126:127], v[120:121], v[120:121] op_sel:[0,1]
	buffer_load_dword v121, off, s[0:3], 0 offset:532
	buffer_load_dword v120, off, s[0:3], 0 offset:528
	v_accvgpr_write_b32 a197, v127
	v_accvgpr_write_b32 a196, v126
	s_waitcnt vmcnt(0)
	v_pk_mov_b32 v[128:129], v[120:121], v[120:121] op_sel:[0,1]
	buffer_load_dword v121, off, s[0:3], 0 offset:524
	buffer_load_dword v120, off, s[0:3], 0 offset:520
	;; [unrolled: 6-line block ×3, first 2 shown]
	s_waitcnt vmcnt(0)
	v_pk_mov_b32 v[148:149], v[120:121], v[120:121] op_sel:[0,1]
	buffer_load_dword v121, off, s[0:3], 0 offset:572
	buffer_load_dword v120, off, s[0:3], 0 offset:568
	v_accvgpr_write_b32 a191, v149
	v_accvgpr_write_b32 a190, v148
	s_waitcnt vmcnt(0)
	v_pk_mov_b32 v[130:131], v[120:121], v[120:121] op_sel:[0,1]
	buffer_load_dword v121, off, s[0:3], 0 offset:564
	buffer_load_dword v120, off, s[0:3], 0 offset:560
	v_accvgpr_write_b32 a201, v131
	v_accvgpr_write_b32 a200, v130
	;; [unrolled: 6-line block ×3, first 2 shown]
	s_waitcnt vmcnt(0)
	v_pk_mov_b32 v[150:151], v[120:121], v[120:121] op_sel:[0,1]
	buffer_load_dword v121, off, s[0:3], 0 offset:548
	buffer_load_dword v120, off, s[0:3], 0 offset:544
	ds_read_b128 v[174:177], v144 offset:1184
	ds_read_b128 v[178:181], v144 offset:1200
	;; [unrolled: 1-line block ×6, first 2 shown]
	s_waitcnt lgkmcnt(5)
	v_mul_f64 v[118:119], v[174:175], v[72:73]
	v_fmac_f64_e32 v[118:119], v[176:177], v[194:195]
	v_add_f64 v[0:1], v[0:1], v[118:119]
	s_waitcnt lgkmcnt(4)
	v_mul_f64 v[118:119], v[178:179], v[54:55]
	v_fmac_f64_e32 v[118:119], v[180:181], v[52:53]
	v_add_f64 v[0:1], v[0:1], v[118:119]
	s_waitcnt lgkmcnt(3)
	v_mul_f64 v[118:119], v[182:183], v[204:205]
	v_fmac_f64_e32 v[118:119], v[184:185], v[226:227]
	v_add_f64 v[0:1], v[0:1], v[118:119]
	s_waitcnt lgkmcnt(2)
	v_mul_f64 v[118:119], v[186:187], v[196:197]
	v_fmac_f64_e32 v[118:119], v[188:189], v[198:199]
	v_add_f64 v[0:1], v[0:1], v[118:119]
	s_waitcnt lgkmcnt(1)
	v_mul_f64 v[118:119], v[190:191], v[254:255]
	v_fmac_f64_e32 v[118:119], v[192:193], v[134:135]
	v_add_f64 v[118:119], v[0:1], v[118:119]
	ds_read_b128 v[206:209], v144 offset:1280
	buffer_load_dword v1, off, s[0:3], 0 offset:588
	buffer_load_dword v0, off, s[0:3], 0 offset:584
	s_waitcnt lgkmcnt(1)
	v_mul_f64 v[138:139], v[200:201], v[234:235]
	v_fmac_f64_e32 v[138:139], v[202:203], v[96:97]
	v_add_f64 v[118:119], v[118:119], v[138:139]
	s_waitcnt lgkmcnt(0)
	v_mul_f64 v[140:141], v[206:207], v[84:85]
	v_fmac_f64_e32 v[140:141], v[208:209], v[94:95]
	v_add_f64 v[118:119], v[118:119], v[140:141]
	v_fma_f64 v[138:139], v[10:11], v[2:3], -v[4:5]
	v_accvgpr_write_b32 a205, v151
	v_accvgpr_write_b32 a204, v150
	v_mul_f64 v[16:17], v[176:177], v[72:73]
	v_fma_f64 v[16:17], v[174:175], v[194:195], -v[16:17]
	s_waitcnt vmcnt(2)
	v_pk_mov_b32 v[152:153], v[120:121], v[120:121] op_sel:[0,1]
	v_accvgpr_write_b32 a207, v153
	v_accvgpr_write_b32 a206, v152
	s_waitcnt vmcnt(0)
	v_pk_mov_b32 v[154:155], v[0:1], v[0:1] op_sel:[0,1]
	buffer_load_dword v1, off, s[0:3], 0 offset:580
	buffer_load_dword v0, off, s[0:3], 0 offset:576
	ds_read_b128 v[210:213], v144 offset:1296
	buffer_load_dword v120, off, s[0:3], 0 offset:600
	buffer_load_dword v121, off, s[0:3], 0 offset:604
	v_accvgpr_write_b32 a209, v155
	v_accvgpr_write_b32 a208, v154
	s_waitcnt lgkmcnt(0)
	v_mul_f64 v[142:143], v[210:211], v[56:57]
	v_fmac_f64_e32 v[142:143], v[212:213], v[58:59]
	v_add_f64 v[118:119], v[118:119], v[142:143]
	s_waitcnt vmcnt(2)
	v_accvgpr_write_b32 a211, v1
	v_accvgpr_write_b32 a210, v0
	s_waitcnt vmcnt(0)
	v_pk_mov_b32 v[164:165], v[120:121], v[120:121] op_sel:[0,1]
	buffer_load_dword v120, off, s[0:3], 0 offset:592
	buffer_load_dword v121, off, s[0:3], 0 offset:596
	ds_read_b128 v[214:217], v144 offset:1312
	ds_read_b128 v[218:221], v144 offset:1328
	;; [unrolled: 1-line block ×4, first 2 shown]
	buffer_load_dword v241, off, s[0:3], 0 offset:620
	buffer_load_dword v240, off, s[0:3], 0 offset:616
	;; [unrolled: 1-line block ×4, first 2 shown]
	s_waitcnt lgkmcnt(3)
	v_mul_f64 v[142:143], v[214:215], v[60:61]
	v_fmac_f64_e32 v[142:143], v[216:217], v[70:71]
	v_add_f64 v[118:119], v[118:119], v[142:143]
	s_waitcnt lgkmcnt(2)
	v_mul_f64 v[142:143], v[218:219], v[62:63]
	ds_read_b128 v[242:245], v144 offset:1376
	ds_read_b128 v[246:249], v144 offset:1392
	v_fmac_f64_e32 v[142:143], v[220:221], v[64:65]
	s_waitcnt lgkmcnt(3)
	v_mul_f64 v[146:147], v[222:223], v[66:67]
	v_add_f64 v[118:119], v[118:119], v[142:143]
	v_fmac_f64_e32 v[146:147], v[224:225], v[68:69]
	v_add_f64 v[118:119], v[118:119], v[146:147]
	s_waitcnt lgkmcnt(2)
	v_mul_f64 v[146:147], v[230:231], v[74:75]
	ds_read_b128 v[250:253], v144 offset:1408
	ds_read_b128 v[2:5], v144 offset:1424
	v_fmac_f64_e32 v[146:147], v[232:233], v[76:77]
	v_add_f64 v[118:119], v[118:119], v[146:147]
	s_waitcnt lgkmcnt(3)
	v_mul_f64 v[146:147], v[242:243], v[78:79]
	v_fmac_f64_e32 v[146:147], v[244:245], v[80:81]
	v_add_f64 v[118:119], v[118:119], v[146:147]
	s_waitcnt lgkmcnt(2)
	v_mul_f64 v[146:147], v[246:247], v[86:87]
	v_fmac_f64_e32 v[146:147], v[248:249], v[88:89]
	s_waitcnt lgkmcnt(1)
	v_mul_f64 v[10:11], v[250:251], v[90:91]
	v_add_f64 v[118:119], v[118:119], v[146:147]
	v_fmac_f64_e32 v[10:11], v[252:253], v[92:93]
	v_add_f64 v[10:11], v[118:119], v[10:11]
	v_fma_f64 v[118:119], v[22:23], v[6:7], -v[8:9]
	ds_read_b128 v[6:9], v144 offset:1440
	s_waitcnt lgkmcnt(1)
	v_mul_f64 v[12:13], v[2:3], v[122:123]
	v_accvgpr_write_b32 a181, v5
	v_fmac_f64_e32 v[12:13], v[4:5], v[124:125]
	v_accvgpr_write_b32 a180, v4
	v_accvgpr_write_b32 a179, v3
	;; [unrolled: 1-line block ×3, first 2 shown]
	ds_read_b128 v[2:5], v144 offset:1456
	ds_read_b128 v[236:239], v144 offset:1472
	;; [unrolled: 1-line block ×3, first 2 shown]
	s_waitcnt lgkmcnt(3)
	v_mul_f64 v[24:25], v[6:7], v[136:137]
	v_add_f64 v[22:23], v[10:11], v[12:13]
	v_fmac_f64_e32 v[24:25], v[8:9], v[148:149]
	v_add_f64 v[22:23], v[22:23], v[24:25]
	s_waitcnt lgkmcnt(2)
	v_mul_f64 v[24:25], v[2:3], v[126:127]
	v_fmac_f64_e32 v[24:25], v[4:5], v[128:129]
	v_add_f64 v[22:23], v[22:23], v[24:25]
	s_waitcnt lgkmcnt(1)
	v_mul_f64 v[24:25], v[236:237], v[150:151]
	;; [unrolled: 4-line block ×3, first 2 shown]
	v_fmac_f64_e32 v[24:25], v[142:143], v[132:133]
	ds_read_b128 v[130:133], v144 offset:1504
	ds_read_b128 v[126:129], v144 offset:1520
	v_accvgpr_write_b32 a195, v5
	v_accvgpr_write_b32 a194, v4
	;; [unrolled: 1-line block ×4, first 2 shown]
	s_waitcnt lgkmcnt(1)
	v_mul_f64 v[4:5], v[130:131], v[154:155]
	ds_read_b128 v[122:125], v144 offset:1536
	buffer_load_dword v147, off, s[0:3], 0 offset:636
	buffer_load_dword v146, off, s[0:3], 0 offset:632
	v_add_f64 v[102:103], v[22:23], v[24:25]
	v_fmac_f64_e32 v[4:5], v[132:133], v[0:1]
	buffer_load_dword v153, off, s[0:3], 0 offset:628
	buffer_load_dword v152, off, s[0:3], 0 offset:624
	v_add_f64 v[4:5], v[102:103], v[4:5]
	v_fma_f64 v[148:149], v[110:111], v[32:33], -v[30:31]
	s_waitcnt lgkmcnt(1)
	v_mul_f64 v[102:103], v[126:127], v[164:165]
	buffer_load_dword v30, off, s[0:3], 0 offset:664
	buffer_load_dword v150, off, s[0:3], 0 offset:656
	;; [unrolled: 1-line block ×4, first 2 shown]
	v_accvgpr_write_b32 a213, v165
	v_accvgpr_write_b32 a212, v164
	v_mul_f64 v[12:13], v[168:169], v[42:43]
	v_fma_f64 v[12:13], v[166:167], v[82:83], -v[12:13]
	v_mul_f64 v[42:43], v[184:185], v[204:205]
	v_fma_f64 v[226:227], v[182:183], v[226:227], -v[42:43]
	;; [unrolled: 2-line block ×4, first 2 shown]
	s_waitcnt vmcnt(12)
	v_fmac_f64_e32 v[102:103], v[128:129], v[120:121]
	v_add_f64 v[102:103], v[4:5], v[102:103]
	v_mul_f64 v[4:5], v[116:117], v[34:35]
	v_mul_f64 v[34:35], v[158:159], v[44:45]
	v_fma_f64 v[18:19], v[156:157], v[46:47], -v[34:35]
	buffer_load_dword v159, off, s[0:3], 0 offset:644
	buffer_load_dword v158, off, s[0:3], 0 offset:640
	buffer_load_dword v31, off, s[0:3], 0 offset:668
	buffer_load_dword v151, off, s[0:3], 0 offset:660
	v_mul_f64 v[34:35], v[162:163], v[38:39]
	v_fma_f64 v[14:15], v[160:161], v[40:41], -v[34:35]
	buffer_load_dword v156, off, s[0:3], 0 offset:696
	buffer_load_dword v161, off, s[0:3], 0 offset:684
	buffer_load_dword v160, off, s[0:3], 0 offset:680
	buffer_load_dword v165, off, s[0:3], 0 offset:676
	buffer_load_dword v164, off, s[0:3], 0 offset:672
	buffer_load_dword v162, off, s[0:3], 0 offset:688
	buffer_load_dword v157, off, s[0:3], 0 offset:700
	buffer_load_dword v163, off, s[0:3], 0 offset:692
	v_mul_f64 v[34:35], v[172:173], v[48:49]
	v_fma_f64 v[10:11], v[170:171], v[50:51], -v[34:35]
	buffer_load_dword v167, off, s[0:3], 0 offset:732
	buffer_load_dword v171, off, s[0:3], 0 offset:716
	buffer_load_dword v170, off, s[0:3], 0 offset:712
	buffer_load_dword v173, off, s[0:3], 0 offset:708
	;; [unrolled: 10-line block ×3, first 2 shown]
	buffer_load_dword v180, off, s[0:3], 0 offset:736
	buffer_load_dword v176, off, s[0:3], 0 offset:752
	;; [unrolled: 1-line block ×4, first 2 shown]
	v_fma_f64 v[22:23], v[114:115], v[36:37], -v[4:5]
	ds_read_b128 v[38:41], v144 offset:1552
	ds_read_b128 v[34:37], v144 offset:1568
	buffer_load_dword v183, off, s[0:3], 0 offset:780
	buffer_load_dword v182, off, s[0:3], 0 offset:776
	;; [unrolled: 1-line block ×8, first 2 shown]
	v_mul_f64 v[42:43], v[202:203], v[234:235]
	buffer_load_dword v193, off, s[0:3], 0 offset:812
	buffer_load_dword v192, off, s[0:3], 0 offset:808
	;; [unrolled: 1-line block ×8, first 2 shown]
	v_accvgpr_write_b32 a189, v9
	v_accvgpr_write_b32 a188, v8
	;; [unrolled: 1-line block ×4, first 2 shown]
	v_fma_f64 v[6:7], v[200:201], v[96:97], -v[42:43]
	buffer_load_dword v190, off, s[0:3], 0 offset:856
	buffer_load_dword v203, off, s[0:3], 0 offset:844
	;; [unrolled: 1-line block ×8, first 2 shown]
	v_mul_f64 v[42:43], v[208:209], v[84:85]
	s_waitcnt vmcnt(62) lgkmcnt(2)
	v_mul_f64 v[8:9], v[122:123], v[240:241]
	v_fma_f64 v[206:207], v[206:207], v[94:95], -v[42:43]
	ds_read_b128 v[42:45], v144 offset:1584
	ds_read_b128 v[46:49], v144 offset:1600
	s_waitcnt vmcnt(60)
	v_fmac_f64_e32 v[8:9], v[124:125], v[228:229]
	v_add_f64 v[8:9], v[102:103], v[8:9]
	ds_read_b128 v[50:53], v144 offset:1616
	v_mul_f64 v[66:67], v[224:225], v[66:67]
	v_fma_f64 v[224:225], v[222:223], v[68:69], -v[66:67]
	ds_read_b128 v[66:69], v144 offset:1680
	v_mul_f64 v[74:75], v[232:233], v[74:75]
	v_fma_f64 v[2:3], v[230:231], v[76:77], -v[74:75]
	;; [unrolled: 3-line block ×3, first 2 shown]
	v_mul_f64 v[90:91], v[252:253], v[90:91]
	v_fma_f64 v[252:253], v[250:251], v[92:93], -v[90:91]
	ds_read_b128 v[90:93], v144 offset:1776
	ds_read_b128 v[86:89], v144 offset:1760
	s_waitcnt vmcnt(58) lgkmcnt(8)
	v_mul_f64 v[20:21], v[38:39], v[146:147]
	s_waitcnt vmcnt(56)
	v_fmac_f64_e32 v[20:21], v[40:41], v[152:153]
	v_add_f64 v[8:9], v[8:9], v[20:21]
	s_waitcnt vmcnt(52) lgkmcnt(7)
	v_mul_f64 v[20:21], v[34:35], v[154:155]
	s_waitcnt vmcnt(50)
	v_fmac_f64_e32 v[20:21], v[36:37], v[158:159]
	v_add_f64 v[8:9], v[8:9], v[20:21]
	s_waitcnt vmcnt(49) lgkmcnt(6)
	v_mul_f64 v[20:21], v[42:43], v[30:31]
	s_waitcnt vmcnt(48)
	v_fmac_f64_e32 v[20:21], v[44:45], v[150:151]
	s_waitcnt vmcnt(45) lgkmcnt(5)
	v_mul_f64 v[54:55], v[46:47], v[160:161]
	v_add_f64 v[8:9], v[8:9], v[20:21]
	s_waitcnt vmcnt(43)
	v_fmac_f64_e32 v[54:55], v[48:49], v[164:165]
	v_add_f64 v[8:9], v[8:9], v[54:55]
	v_mul_f64 v[54:55], v[216:217], v[60:61]
	v_mul_f64 v[20:21], v[212:213], v[56:57]
	v_fma_f64 v[4:5], v[214:215], v[70:71], -v[54:55]
	ds_read_b128 v[54:57], v144 offset:1632
	s_waitcnt vmcnt(41) lgkmcnt(5)
	v_mul_f64 v[24:25], v[50:51], v[156:157]
	v_fma_f64 v[20:21], v[210:211], v[58:59], -v[20:21]
	s_waitcnt vmcnt(40)
	v_fmac_f64_e32 v[24:25], v[52:53], v[162:163]
	ds_read_b128 v[58:61], v144 offset:1648
	v_add_f64 v[8:9], v[8:9], v[24:25]
	v_mul_f64 v[24:25], v[220:221], v[62:63]
	v_fma_f64 v[24:25], v[218:219], v[64:65], -v[24:25]
	ds_read_b128 v[62:65], v144 offset:1664
	s_waitcnt vmcnt(37) lgkmcnt(2)
	v_mul_f64 v[70:71], v[54:55], v[170:171]
	s_waitcnt vmcnt(35)
	v_fmac_f64_e32 v[70:71], v[56:57], v[172:173]
	v_add_f64 v[8:9], v[8:9], v[70:71]
	s_waitcnt vmcnt(34) lgkmcnt(1)
	v_mul_f64 v[70:71], v[58:59], v[166:167]
	s_waitcnt vmcnt(32)
	v_fmac_f64_e32 v[70:71], v[60:61], v[174:175]
	v_add_f64 v[8:9], v[8:9], v[70:71]
	;; [unrolled: 5-line block ×3, first 2 shown]
	s_waitcnt vmcnt(25)
	v_mul_f64 v[70:71], v[66:67], v[168:169]
	s_waitcnt vmcnt(24)
	v_fmac_f64_e32 v[70:71], v[68:69], v[176:177]
	v_add_f64 v[8:9], v[8:9], v[70:71]
	ds_read_b128 v[70:73], v144 offset:1696
	s_waitcnt vmcnt(17)
	v_mul_f64 v[82:83], v[74:75], v[186:187]
	s_waitcnt vmcnt(16)
	v_fmac_f64_e32 v[82:83], v[76:77], v[188:189]
	s_waitcnt lgkmcnt(0)
	v_mul_f64 v[28:29], v[70:71], v[182:183]
	v_fmac_f64_e32 v[28:29], v[72:73], v[184:185]
	v_add_f64 v[8:9], v[8:9], v[28:29]
	v_mul_f64 v[28:29], v[244:245], v[78:79]
	v_fma_f64 v[28:29], v[242:243], v[80:81], -v[28:29]
	ds_read_b128 v[78:81], v144 offset:1728
	v_add_f64 v[8:9], v[8:9], v[82:83]
	ds_read_b128 v[82:85], v144 offset:1744
	s_waitcnt vmcnt(14) lgkmcnt(1)
	v_mul_f64 v[32:33], v[78:79], v[192:193]
	s_waitcnt vmcnt(12)
	v_fmac_f64_e32 v[32:33], v[80:81], v[234:235]
	v_add_f64 v[8:9], v[8:9], v[32:33]
	s_waitcnt vmcnt(10) lgkmcnt(0)
	v_mul_f64 v[32:33], v[82:83], v[134:135]
	s_waitcnt vmcnt(8)
	v_fmac_f64_e32 v[32:33], v[84:85], v[198:199]
	v_add_f64 v[8:9], v[8:9], v[32:33]
	s_waitcnt vmcnt(5)
	v_mul_f64 v[32:33], v[86:87], v[202:203]
	s_waitcnt vmcnt(3)
	v_fmac_f64_e32 v[32:33], v[88:89], v[204:205]
	v_add_f64 v[8:9], v[8:9], v[32:33]
	s_waitcnt vmcnt(1)
	v_mul_f64 v[32:33], v[90:91], v[190:191]
	s_waitcnt vmcnt(0)
	v_fmac_f64_e32 v[32:33], v[92:93], v[200:201]
	v_add_f64 v[32:33], v[8:9], v[32:33]
	buffer_load_dword v9, off, s[0:3], 0 offset:876
	buffer_load_dword v8, off, s[0:3], 0 offset:872
	;; [unrolled: 1-line block ×4, first 2 shown]
	ds_read_b128 v[94:97], v144 offset:1792
	buffer_load_dword v210, off, s[0:3], 0 offset:888
	buffer_load_dword v211, off, s[0:3], 0 offset:892
	;; [unrolled: 1-line block ×4, first 2 shown]
	ds_read_b128 v[230:233], v144 offset:1808
	buffer_load_dword v215, off, s[0:3], 0 offset:908
	buffer_load_dword v214, off, s[0:3], 0 offset:904
	;; [unrolled: 1-line block ×4, first 2 shown]
	s_waitcnt vmcnt(10) lgkmcnt(1)
	v_mul_f64 v[102:103], v[94:95], v[8:9]
	s_waitcnt vmcnt(8)
	v_fmac_f64_e32 v[102:103], v[96:97], v[208:209]
	v_add_f64 v[32:33], v[32:33], v[102:103]
	s_waitcnt vmcnt(6) lgkmcnt(0)
	v_mul_f64 v[102:103], v[230:231], v[210:211]
	s_waitcnt vmcnt(4)
	v_fmac_f64_e32 v[102:103], v[232:233], v[212:213]
	v_add_f64 v[32:33], v[32:33], v[102:103]
	ds_read_b128 v[102:105], v144 offset:1824
	buffer_load_dword v218, off, s[0:3], 0 offset:920
	buffer_load_dword v219, off, s[0:3], 0 offset:924
	buffer_load_dword v220, off, s[0:3], 0 offset:912
	buffer_load_dword v221, off, s[0:3], 0 offset:916
	s_waitcnt vmcnt(6) lgkmcnt(0)
	v_mul_f64 v[106:107], v[102:103], v[214:215]
	s_waitcnt vmcnt(4)
	v_fmac_f64_e32 v[106:107], v[104:105], v[216:217]
	v_add_f64 v[32:33], v[32:33], v[106:107]
	ds_read_b128 v[106:109], v144 offset:1840
	buffer_load_dword v223, off, s[0:3], 0 offset:940
	buffer_load_dword v222, off, s[0:3], 0 offset:936
	buffer_load_dword v243, off, s[0:3], 0 offset:932
	buffer_load_dword v242, off, s[0:3], 0 offset:928
	;; [unrolled: 10-line block ×3, first 2 shown]
	s_waitcnt vmcnt(6) lgkmcnt(0)
	v_mul_f64 v[114:115], v[110:111], v[222:223]
	s_waitcnt vmcnt(4)
	v_fmac_f64_e32 v[114:115], v[112:113], v[242:243]
	v_add_f64 v[32:33], v[32:33], v[114:115]
	ds_read_b128 v[114:117], v144 offset:1872
	buffer_load_dword v250, off, s[0:3], 0 offset:64
	buffer_load_dword v251, off, s[0:3], 0 offset:68
	s_waitcnt vmcnt(4) lgkmcnt(0)
	v_mul_f64 v[244:245], v[114:115], v[246:247]
	s_waitcnt vmcnt(2)
	v_fmac_f64_e32 v[244:245], v[116:117], v[248:249]
	v_add_f64 v[244:245], v[32:33], v[244:245]
	v_add_f64 v[32:33], v[138:139], 0
	;; [unrolled: 1-line block ×23, first 2 shown]
	buffer_load_dword v224, off, s[0:3], 0 offset:72
	buffer_load_dword v225, off, s[0:3], 0 offset:76
	v_add_f64 v[2:3], v[4:5], v[2:3]
	v_add_f64 v[2:3], v[2:3], v[28:29]
	;; [unrolled: 1-line block ×3, first 2 shown]
	v_accvgpr_read_b32 v4, a178
	v_accvgpr_read_b32 v2, a182
	;; [unrolled: 1-line block ×5, first 2 shown]
	v_mul_f64 v[2:3], v[6:7], v[2:3]
	v_accvgpr_read_b32 v6, a184
	v_accvgpr_read_b32 v5, a179
	v_accvgpr_read_b32 v7, a185
	v_fma_f64 v[2:3], v[4:5], v[6:7], -v[2:3]
	v_accvgpr_read_b32 v4, a186
	v_add_f64 v[0:1], v[254:255], v[252:253]
	v_accvgpr_read_b32 v6, a188
	v_accvgpr_read_b32 v7, a189
	v_add_f64 v[0:1], v[0:1], v[2:3]
	v_mul_f64 v[2:3], v[6:7], v[136:137]
	v_accvgpr_read_b32 v6, a190
	v_accvgpr_read_b32 v5, a187
	;; [unrolled: 1-line block ×3, first 2 shown]
	v_fma_f64 v[2:3], v[4:5], v[6:7], -v[2:3]
	v_add_f64 v[0:1], v[0:1], v[2:3]
	v_accvgpr_read_b32 v4, a192
	v_accvgpr_read_b32 v2, a196
	;; [unrolled: 1-line block ×5, first 2 shown]
	v_mul_f64 v[2:3], v[6:7], v[2:3]
	v_accvgpr_read_b32 v6, a198
	v_accvgpr_read_b32 v5, a193
	;; [unrolled: 1-line block ×3, first 2 shown]
	v_fma_f64 v[2:3], v[4:5], v[6:7], -v[2:3]
	v_add_f64 v[0:1], v[0:1], v[2:3]
	v_accvgpr_read_b32 v2, a204
	v_accvgpr_read_b32 v3, a205
	v_accvgpr_read_b32 v4, a206
	v_mul_f64 v[2:3], v[238:239], v[2:3]
	v_accvgpr_read_b32 v5, a207
	v_fma_f64 v[2:3], v[236:237], v[4:5], -v[2:3]
	v_add_f64 v[0:1], v[0:1], v[2:3]
	v_accvgpr_read_b32 v2, a200
	v_accvgpr_read_b32 v3, a201
	v_accvgpr_read_b32 v4, a202
	v_mul_f64 v[2:3], v[142:143], v[2:3]
	v_accvgpr_read_b32 v5, a203
	v_fma_f64 v[2:3], v[140:141], v[4:5], -v[2:3]
	v_add_f64 v[0:1], v[0:1], v[2:3]
	v_accvgpr_read_b32 v2, a208
	v_accvgpr_read_b32 v3, a209
	v_accvgpr_read_b32 v4, a210
	v_mul_f64 v[2:3], v[132:133], v[2:3]
	v_accvgpr_read_b32 v5, a211
	v_fma_f64 v[2:3], v[130:131], v[4:5], -v[2:3]
	v_add_f64 v[0:1], v[0:1], v[2:3]
	v_accvgpr_read_b32 v2, a212
	v_accvgpr_read_b32 v3, a213
	v_mul_f64 v[2:3], v[128:129], v[2:3]
	v_fma_f64 v[2:3], v[126:127], v[120:121], -v[2:3]
	v_add_f64 v[0:1], v[0:1], v[2:3]
	v_mul_f64 v[2:3], v[124:125], v[240:241]
	v_fma_f64 v[2:3], v[122:123], v[228:229], -v[2:3]
	v_add_f64 v[0:1], v[0:1], v[2:3]
	;; [unrolled: 3-line block ×23, first 2 shown]
	s_waitcnt vmcnt(2)
	v_add_f64 v[0:1], v[250:251], -v[0:1]
	s_waitcnt vmcnt(0)
	v_add_f64 v[2:3], v[224:225], -v[244:245]
	buffer_store_dword v1, off, s[0:3], 0 offset:68
	buffer_store_dword v0, off, s[0:3], 0 offset:64
	;; [unrolled: 1-line block ×4, first 2 shown]
	s_and_saveexec_b64 s[4:5], vcc
	s_cbranch_execz .LBB122_363
; %bb.362:
	v_accvgpr_read_b32 v0, a174
	buffer_load_dword v2, v0, s[0:3], 0 offen
	buffer_load_dword v3, v0, s[0:3], 0 offen offset:4
	buffer_load_dword v4, v0, s[0:3], 0 offen offset:8
	;; [unrolled: 1-line block ×3, first 2 shown]
	v_accvgpr_read_b32 v0, a177
	buffer_store_dword v144, off, s[0:3], 0 offset:48
	buffer_store_dword v144, off, s[0:3], 0 offset:52
	;; [unrolled: 1-line block ×4, first 2 shown]
	s_waitcnt vmcnt(4)
	ds_write_b128 v0, v[2:5]
.LBB122_363:
	s_or_b64 exec, exec, s[4:5]
	s_waitcnt lgkmcnt(0)
	; wave barrier
	s_waitcnt lgkmcnt(0)
	buffer_load_dword v4, off, s[0:3], 0 offset:64
	buffer_load_dword v5, off, s[0:3], 0 offset:68
	;; [unrolled: 1-line block ×42, first 2 shown]
	ds_read_b128 v[102:105], v144 offset:992
	ds_read_b128 v[106:109], v144 offset:1008
	;; [unrolled: 1-line block ×10, first 2 shown]
	buffer_load_dword v1, off, s[0:3], 0 offset:212
	buffer_load_dword v0, off, s[0:3], 0 offset:208
	ds_read_b128 v[38:41], v144 offset:1152
	buffer_load_dword v87, off, s[0:3], 0 offset:268
	buffer_load_dword v86, off, s[0:3], 0 offset:264
	;; [unrolled: 1-line block ×6, first 2 shown]
	s_waitcnt vmcnt(46) lgkmcnt(10)
	v_mul_f64 v[56:57], v[102:103], v[10:11]
	v_fmac_f64_e32 v[56:57], v[104:105], v[4:5]
	v_add_f64 v[56:57], v[56:57], 0
	v_mul_f64 v[10:11], v[104:105], v[10:11]
	s_waitcnt vmcnt(42) lgkmcnt(9)
	v_mul_f64 v[58:59], v[106:107], v[8:9]
	v_fmac_f64_e32 v[58:59], v[108:109], v[2:3]
	s_waitcnt vmcnt(40) lgkmcnt(8)
	v_mul_f64 v[62:63], v[110:111], v[6:7]
	v_add_f64 v[56:57], v[56:57], v[58:59]
	s_waitcnt vmcnt(38) lgkmcnt(6)
	v_mul_f64 v[66:67], v[152:153], v[14:15]
	v_fma_f64 v[226:227], v[102:103], v[4:5], -v[10:11]
	s_waitcnt vmcnt(36)
	v_fmac_f64_e32 v[66:67], v[154:155], v[142:143]
	v_mul_f64 v[8:9], v[108:109], v[8:9]
	s_waitcnt vmcnt(34)
	v_mul_f64 v[64:65], v[114:115], v[148:149]
	v_fma_f64 v[250:251], v[106:107], v[2:3], -v[8:9]
	s_waitcnt vmcnt(32) lgkmcnt(4)
	v_mul_f64 v[70:71], v[160:161], v[26:27]
	v_mul_f64 v[6:7], v[112:113], v[6:7]
	s_waitcnt vmcnt(30)
	v_fmac_f64_e32 v[70:71], v[162:163], v[28:29]
	v_mul_f64 v[10:11], v[116:117], v[148:149]
	s_waitcnt vmcnt(28)
	v_mul_f64 v[68:69], v[156:157], v[18:19]
	v_mul_f64 v[14:15], v[154:155], v[14:15]
	s_waitcnt vmcnt(26) lgkmcnt(2)
	v_mul_f64 v[74:75], v[42:43], v[46:47]
	v_mul_f64 v[26:27], v[162:163], v[26:27]
	;; [unrolled: 1-line block ×3, first 2 shown]
	s_waitcnt vmcnt(23)
	v_mul_f64 v[72:73], v[164:165], v[30:31]
	s_waitcnt vmcnt(21) lgkmcnt(1)
	v_mul_f64 v[118:119], v[34:35], v[50:51]
	s_waitcnt vmcnt(19)
	v_fmac_f64_e32 v[62:63], v[112:113], v[24:25]
	v_add_f64 v[56:57], v[56:57], v[62:63]
	s_waitcnt vmcnt(17)
	v_fmac_f64_e32 v[64:65], v[116:117], v[22:23]
	v_add_f64 v[56:57], v[56:57], v[64:65]
	;; [unrolled: 3-line block ×3, first 2 shown]
	v_add_f64 v[56:57], v[56:57], v[68:69]
	s_waitcnt vmcnt(13)
	v_fmac_f64_e32 v[72:73], v[166:167], v[32:33]
	v_add_f64 v[56:57], v[56:57], v[70:71]
	s_waitcnt vmcnt(12)
	v_fmac_f64_e32 v[74:75], v[44:45], v[48:49]
	v_add_f64 v[56:57], v[56:57], v[72:73]
	v_add_f64 v[136:137], v[56:57], v[74:75]
	buffer_load_dword v177, off, s[0:3], 0 offset:244
	buffer_load_dword v176, off, s[0:3], 0 offset:240
	;; [unrolled: 1-line block ×60, first 2 shown]
	s_waitcnt vmcnt(62)
	v_fmac_f64_e32 v[118:119], v[36:37], v[0:1]
	v_add_f64 v[118:119], v[136:137], v[118:119]
	s_waitcnt lgkmcnt(0)
	v_mul_f64 v[136:137], v[38:39], v[52:53]
	v_fmac_f64_e32 v[136:137], v[40:41], v[54:55]
	v_add_f64 v[118:119], v[118:119], v[136:137]
	v_fma_f64 v[254:255], v[110:111], v[24:25], -v[6:7]
	v_fma_f64 v[116:117], v[114:115], v[22:23], -v[10:11]
	;; [unrolled: 1-line block ×3, first 2 shown]
	v_mul_f64 v[44:45], v[44:45], v[46:47]
	s_waitcnt vmcnt(0)
	v_pk_mov_b32 v[122:123], v[120:121], v[120:121] op_sel:[0,1]
	buffer_load_dword v121, off, s[0:3], 0 offset:516
	buffer_load_dword v120, off, s[0:3], 0 offset:512
	v_accvgpr_write_b32 a193, v123
	v_accvgpr_write_b32 a192, v122
	s_waitcnt vmcnt(0)
	v_pk_mov_b32 v[124:125], v[120:121], v[120:121] op_sel:[0,1]
	buffer_load_dword v121, off, s[0:3], 0 offset:508
	buffer_load_dword v120, off, s[0:3], 0 offset:504
	v_accvgpr_write_b32 a195, v125
	v_accvgpr_write_b32 a194, v124
	s_waitcnt vmcnt(0)
	v_pk_mov_b32 v[128:129], v[120:121], v[120:121] op_sel:[0,1]
	buffer_load_dword v121, off, s[0:3], 0 offset:500
	buffer_load_dword v120, off, s[0:3], 0 offset:496
	v_pk_mov_b32 v[150:151], v[128:129], v[128:129] op_sel:[0,1]
	s_waitcnt vmcnt(0)
	v_pk_mov_b32 v[132:133], v[120:121], v[120:121] op_sel:[0,1]
	buffer_load_dword v121, off, s[0:3], 0 offset:556
	buffer_load_dword v120, off, s[0:3], 0 offset:552
	v_accvgpr_write_b32 a183, v133
	v_accvgpr_write_b32 a182, v132
	s_waitcnt vmcnt(0)
	v_pk_mov_b32 v[126:127], v[120:121], v[120:121] op_sel:[0,1]
	buffer_load_dword v121, off, s[0:3], 0 offset:548
	buffer_load_dword v120, off, s[0:3], 0 offset:544
	;; [unrolled: 1-line block ×4, first 2 shown]
	v_accvgpr_write_b32 a201, v127
	v_accvgpr_write_b32 a200, v126
	s_waitcnt vmcnt(2)
	v_accvgpr_write_b32 a203, v121
	v_accvgpr_write_b32 a202, v120
	s_waitcnt vmcnt(0)
	v_pk_mov_b32 v[134:135], v[130:131], v[130:131] op_sel:[0,1]
	buffer_load_dword v131, off, s[0:3], 0 offset:532
	buffer_load_dword v130, off, s[0:3], 0 offset:528
	ds_read_b128 v[172:175], v144 offset:1168
	ds_read_b128 v[180:183], v144 offset:1184
	;; [unrolled: 1-line block ×6, first 2 shown]
	s_waitcnt lgkmcnt(5)
	v_mul_f64 v[136:137], v[172:173], v[98:99]
	v_fmac_f64_e32 v[136:137], v[174:175], v[176:177]
	v_add_f64 v[118:119], v[118:119], v[136:137]
	s_waitcnt lgkmcnt(4)
	v_mul_f64 v[136:137], v[180:181], v[86:87]
	v_fmac_f64_e32 v[136:137], v[182:183], v[60:61]
	v_add_f64 v[118:119], v[118:119], v[136:137]
	;; [unrolled: 4-line block ×3, first 2 shown]
	s_waitcnt lgkmcnt(2)
	v_mul_f64 v[136:137], v[188:189], v[200:201]
	v_fmac_f64_e32 v[136:137], v[190:191], v[206:207]
	ds_read_b128 v[202:205], v144 offset:1264
	ds_read_b128 v[212:215], v144 offset:1280
	v_add_f64 v[118:119], v[118:119], v[136:137]
	s_waitcnt lgkmcnt(3)
	v_mul_f64 v[136:137], v[192:193], v[224:225]
	v_fmac_f64_e32 v[136:137], v[194:195], v[246:247]
	v_add_f64 v[118:119], v[118:119], v[136:137]
	s_waitcnt lgkmcnt(2)
	v_mul_f64 v[136:137], v[196:197], v[96:97]
	v_fmac_f64_e32 v[136:137], v[198:199], v[100:101]
	;; [unrolled: 4-line block ×4, first 2 shown]
	ds_read_b128 v[216:219], v144 offset:1296
	v_add_f64 v[118:119], v[118:119], v[136:137]
	buffer_load_dword v137, off, s[0:3], 0 offset:572
	buffer_load_dword v136, off, s[0:3], 0 offset:568
	v_accvgpr_write_b32 a197, v135
	v_accvgpr_write_b32 a196, v134
	s_waitcnt lgkmcnt(0)
	v_mul_f64 v[140:141], v[216:217], v[88:89]
	v_fmac_f64_e32 v[140:141], v[218:219], v[94:95]
	v_add_f64 v[118:119], v[118:119], v[140:141]
	v_mul_f64 v[46:47], v[218:219], v[88:89]
	v_fma_f64 v[10:11], v[216:217], v[94:95], -v[46:47]
	s_waitcnt vmcnt(2)
	v_accvgpr_write_b32 a199, v131
	v_accvgpr_write_b32 a198, v130
	s_waitcnt vmcnt(0)
	v_pk_mov_b32 v[170:171], v[136:137], v[136:137] op_sel:[0,1]
	buffer_load_dword v137, off, s[0:3], 0 offset:564
	buffer_load_dword v136, off, s[0:3], 0 offset:560
	ds_read_b128 v[220:223], v144 offset:1312
	buffer_load_dword v16, off, s[0:3], 0 offset:584
	buffer_load_dword v138, off, s[0:3], 0 offset:576
	;; [unrolled: 1-line block ×4, first 2 shown]
	ds_read_b128 v[230:233], v144 offset:1328
	v_accvgpr_write_b32 a205, v171
	v_accvgpr_write_b32 a204, v170
	s_waitcnt lgkmcnt(1)
	v_mul_f64 v[168:169], v[220:221], v[56:57]
	v_fmac_f64_e32 v[168:169], v[222:223], v[58:59]
	v_add_f64 v[118:119], v[118:119], v[168:169]
	s_waitcnt lgkmcnt(0)
	v_mul_f64 v[168:169], v[230:231], v[62:63]
	v_fmac_f64_e32 v[168:169], v[232:233], v[64:65]
	v_add_f64 v[118:119], v[118:119], v[168:169]
	s_waitcnt vmcnt(4)
	v_pk_mov_b32 v[178:179], v[136:137], v[136:137] op_sel:[0,1]
	buffer_load_dword v137, off, s[0:3], 0 offset:620
	buffer_load_dword v13, off, s[0:3], 0 offset:604
	;; [unrolled: 1-line block ×8, first 2 shown]
	ds_read_b128 v[234:237], v144 offset:1344
	ds_read_b128 v[238:241], v144 offset:1360
	;; [unrolled: 1-line block ×6, first 2 shown]
	s_waitcnt lgkmcnt(5)
	v_mul_f64 v[168:169], v[234:235], v[66:67]
	v_fmac_f64_e32 v[168:169], v[236:237], v[68:69]
	v_add_f64 v[118:119], v[118:119], v[168:169]
	s_waitcnt lgkmcnt(4)
	v_mul_f64 v[168:169], v[238:239], v[70:71]
	v_fmac_f64_e32 v[168:169], v[240:241], v[72:73]
	s_waitcnt lgkmcnt(3)
	v_mul_f64 v[4:5], v[242:243], v[78:79]
	v_add_f64 v[118:119], v[118:119], v[168:169]
	v_fmac_f64_e32 v[4:5], v[244:245], v[80:81]
	v_add_f64 v[2:3], v[118:119], v[4:5]
	s_waitcnt lgkmcnt(2)
	v_mul_f64 v[4:5], v[102:103], v[82:83]
	v_fmac_f64_e32 v[4:5], v[104:105], v[84:85]
	v_add_f64 v[2:3], v[2:3], v[4:5]
	s_waitcnt lgkmcnt(1)
	v_mul_f64 v[4:5], v[106:107], v[90:91]
	v_fmac_f64_e32 v[4:5], v[108:109], v[92:93]
	v_add_f64 v[118:119], v[2:3], v[4:5]
	ds_read_b128 v[2:5], v144 offset:1424
	ds_read_b128 v[110:113], v144 offset:1456
	s_waitcnt lgkmcnt(2)
	v_mul_f64 v[22:23], v[6:7], v[122:123]
	v_fmac_f64_e32 v[22:23], v[8:9], v[124:125]
	v_accvgpr_write_b32 a187, v9
	s_waitcnt lgkmcnt(1)
	v_mul_f64 v[24:25], v[2:3], v[128:129]
	v_fmac_f64_e32 v[24:25], v[4:5], v[132:133]
	v_accvgpr_write_b32 a181, v5
	v_accvgpr_write_b32 a180, v4
	;; [unrolled: 1-line block ×4, first 2 shown]
	v_add_f64 v[4:5], v[118:119], v[24:25]
	v_fma_f64 v[118:119], v[152:153], v[142:143], -v[14:15]
	ds_read_b128 v[152:155], v144 offset:1472
	v_add_f64 v[4:5], v[4:5], v[22:23]
	s_waitcnt lgkmcnt(1)
	v_mul_f64 v[22:23], v[110:111], v[134:135]
	v_fmac_f64_e32 v[22:23], v[112:113], v[130:131]
	buffer_load_dword v131, off, s[0:3], 0 offset:636
	buffer_load_dword v130, off, s[0:3], 0 offset:632
	;; [unrolled: 1-line block ×4, first 2 shown]
	ds_read_b128 v[146:149], v144 offset:1488
	ds_read_b128 v[132:135], v144 offset:1504
	v_add_f64 v[4:5], v[4:5], v[22:23]
	s_waitcnt lgkmcnt(2)
	v_mul_f64 v[22:23], v[152:153], v[126:127]
	ds_read_b128 v[124:127], v144 offset:1520
	v_fmac_f64_e32 v[22:23], v[154:155], v[120:121]
	ds_read_b128 v[120:123], v144 offset:1536
	v_accvgpr_write_b32 a191, v113
	v_add_f64 v[4:5], v[4:5], v[22:23]
	s_waitcnt lgkmcnt(3)
	v_mul_f64 v[22:23], v[146:147], v[170:171]
	v_accvgpr_write_b32 a190, v112
	v_accvgpr_write_b32 a189, v111
	;; [unrolled: 1-line block ×3, first 2 shown]
	v_fmac_f64_e32 v[22:23], v[148:149], v[178:179]
	s_waitcnt vmcnt(13) lgkmcnt(2)
	v_mul_f64 v[112:113], v[132:133], v[16:17]
	v_add_f64 v[4:5], v[4:5], v[22:23]
	s_waitcnt vmcnt(12)
	v_fmac_f64_e32 v[112:113], v[134:135], v[138:139]
	buffer_load_dword v128, off, s[0:3], 0 offset:648
	v_fma_f64 v[110:111], v[160:161], v[28:29], -v[26:27]
	v_add_f64 v[112:113], v[4:5], v[112:113]
	buffer_load_dword v160, off, s[0:3], 0 offset:640
	buffer_load_dword v129, off, s[0:3], 0 offset:652
	;; [unrolled: 1-line block ×3, first 2 shown]
	v_mul_f64 v[4:5], v[166:167], v[30:31]
	v_fma_f64 v[158:159], v[164:165], v[32:33], -v[4:5]
	v_accvgpr_write_b32 a186, v8
	v_accvgpr_write_b32 a185, v7
	;; [unrolled: 1-line block ×3, first 2 shown]
	v_mul_f64 v[8:9], v[36:37], v[50:51]
	v_fma_f64 v[30:31], v[34:35], v[0:1], -v[8:9]
	v_mul_f64 v[0:1], v[40:41], v[52:53]
	v_fma_f64 v[28:29], v[38:39], v[54:55], -v[0:1]
	;; [unrolled: 2-line block ×3, first 2 shown]
	v_accvgpr_write_b32 a207, v179
	v_accvgpr_write_b32 a206, v178
	;; [unrolled: 1-line block ×3, first 2 shown]
	s_waitcnt vmcnt(13) lgkmcnt(1)
	v_mul_f64 v[114:115], v[124:125], v[12:13]
	v_accvgpr_write_b32 a210, v138
	s_waitcnt vmcnt(11)
	v_fmac_f64_e32 v[114:115], v[126:127], v[228:229]
	v_add_f64 v[112:113], v[112:113], v[114:115]
	s_waitcnt vmcnt(10) lgkmcnt(0)
	v_mul_f64 v[114:115], v[120:121], v[136:137]
	s_waitcnt vmcnt(8)
	v_fmac_f64_e32 v[114:115], v[122:123], v[140:141]
	v_add_f64 v[114:115], v[112:113], v[114:115]
	buffer_load_dword v112, off, s[0:3], 0 offset:680
	buffer_load_dword v165, off, s[0:3], 0 offset:668
	;; [unrolled: 1-line block ×8, first 2 shown]
	ds_read_b128 v[34:37], v144 offset:1552
	buffer_load_dword v169, off, s[0:3], 0 offset:700
	buffer_load_dword v168, off, s[0:3], 0 offset:696
	;; [unrolled: 1-line block ×12, first 2 shown]
	v_pk_mov_b32 v[138:139], v[12:13], v[12:13] op_sel:[0,1]
	v_mul_f64 v[12:13], v[182:183], v[86:87]
	v_fma_f64 v[24:25], v[180:181], v[60:61], -v[12:13]
	buffer_load_dword v180, off, s[0:3], 0 offset:744
	v_mul_f64 v[38:39], v[186:187], v[208:209]
	v_fma_f64 v[22:23], v[184:185], v[210:211], -v[38:39]
	buffer_load_dword v184, off, s[0:3], 0 offset:736
	buffer_load_dword v181, off, s[0:3], 0 offset:748
	;; [unrolled: 1-line block ×3, first 2 shown]
	v_mul_f64 v[38:39], v[190:191], v[200:201]
	v_fma_f64 v[18:19], v[188:189], v[206:207], -v[38:39]
	buffer_load_dword v182, off, s[0:3], 0 offset:776
	buffer_load_dword v189, off, s[0:3], 0 offset:764
	;; [unrolled: 1-line block ×8, first 2 shown]
	v_accvgpr_write_b32 a209, v17
	v_accvgpr_write_b32 a208, v16
	v_mul_f64 v[16:17], v[194:195], v[224:225]
	v_fma_f64 v[20:21], v[192:193], v[246:247], -v[16:17]
	buffer_load_dword v193, off, s[0:3], 0 offset:796
	buffer_load_dword v192, off, s[0:3], 0 offset:792
	buffer_load_dword v195, off, s[0:3], 0 offset:788
	buffer_load_dword v194, off, s[0:3], 0 offset:784
	v_mul_f64 v[16:17], v[198:199], v[96:97]
	buffer_load_dword v199, off, s[0:3], 0 offset:812
	buffer_load_dword v198, off, s[0:3], 0 offset:808
	;; [unrolled: 1-line block ×4, first 2 shown]
	v_fma_f64 v[224:225], v[196:197], v[100:101], -v[16:17]
	v_mul_f64 v[16:17], v[204:205], v[248:249]
	v_fma_f64 v[252:253], v[202:203], v[252:253], -v[16:17]
	buffer_load_dword v196, off, s[0:3], 0 offset:840
	buffer_load_dword v205, off, s[0:3], 0 offset:828
	;; [unrolled: 1-line block ×12, first 2 shown]
	ds_read_b128 v[38:41], v144 offset:1568
	v_fma_f64 v[32:33], v[42:43], v[48:49], -v[44:45]
	ds_read_b128 v[42:45], v144 offset:1584
	v_mul_f64 v[16:17], v[214:215], v[74:75]
	ds_read_b128 v[46:49], v144 offset:1600
	ds_read_b128 v[50:53], v144 offset:1616
	v_fma_f64 v[12:13], v[212:213], v[76:77], -v[16:17]
	v_mul_f64 v[70:71], v[240:241], v[70:71]
	s_waitcnt vmcnt(58) lgkmcnt(4)
	v_mul_f64 v[14:15], v[34:35], v[130:131]
	v_fma_f64 v[2:3], v[238:239], v[72:73], -v[70:71]
	s_waitcnt vmcnt(56)
	v_fmac_f64_e32 v[14:15], v[36:37], v[142:143]
	v_add_f64 v[14:15], v[114:115], v[14:15]
	ds_read_b128 v[70:73], v144 offset:1696
	ds_read_b128 v[74:77], v144 offset:1712
	v_mul_f64 v[82:83], v[104:105], v[82:83]
	v_fma_f64 v[114:115], v[102:103], v[84:85], -v[82:83]
	ds_read_b128 v[86:89], v144 offset:1760
	v_accvgpr_write_b32 a212, v228
	v_accvgpr_write_b32 a213, v229
	ds_read_b128 v[82:85], v144 offset:1744
	s_waitcnt vmcnt(53) lgkmcnt(7)
	v_mul_f64 v[16:17], v[38:39], v[128:129]
	s_waitcnt vmcnt(52)
	v_fmac_f64_e32 v[16:17], v[40:41], v[160:161]
	v_add_f64 v[14:15], v[14:15], v[16:17]
	s_waitcnt vmcnt(49) lgkmcnt(6)
	v_mul_f64 v[16:17], v[42:43], v[164:165]
	s_waitcnt vmcnt(47)
	v_fmac_f64_e32 v[16:17], v[44:45], v[166:167]
	v_add_f64 v[14:15], v[14:15], v[16:17]
	;; [unrolled: 5-line block ×3, first 2 shown]
	v_mul_f64 v[16:17], v[222:223], v[56:57]
	ds_read_b128 v[54:57], v144 offset:1632
	v_fma_f64 v[8:9], v[220:221], v[58:59], -v[16:17]
	v_mul_f64 v[58:59], v[232:233], v[62:63]
	v_fma_f64 v[6:7], v[230:231], v[64:65], -v[58:59]
	ds_read_b128 v[58:61], v144 offset:1648
	s_waitcnt vmcnt(42) lgkmcnt(6)
	v_mul_f64 v[16:17], v[50:51], v[168:169]
	s_waitcnt vmcnt(40)
	v_fmac_f64_e32 v[16:17], v[52:53], v[170:171]
	v_add_f64 v[14:15], v[14:15], v[16:17]
	s_waitcnt vmcnt(38) lgkmcnt(1)
	v_mul_f64 v[16:17], v[54:55], v[172:173]
	s_waitcnt vmcnt(36)
	v_fmac_f64_e32 v[16:17], v[56:57], v[176:177]
	v_add_f64 v[14:15], v[14:15], v[16:17]
	s_waitcnt vmcnt(34) lgkmcnt(0)
	v_mul_f64 v[16:17], v[58:59], v[174:175]
	s_waitcnt vmcnt(32)
	v_fmac_f64_e32 v[16:17], v[60:61], v[178:179]
	ds_read_b128 v[62:65], v144 offset:1664
	v_add_f64 v[14:15], v[14:15], v[16:17]
	v_mul_f64 v[16:17], v[236:237], v[66:67]
	v_fma_f64 v[4:5], v[234:235], v[68:69], -v[16:17]
	ds_read_b128 v[66:69], v144 offset:1680
	s_waitcnt vmcnt(29) lgkmcnt(1)
	v_mul_f64 v[16:17], v[62:63], v[180:181]
	s_waitcnt vmcnt(28)
	v_fmac_f64_e32 v[16:17], v[64:65], v[184:185]
	v_add_f64 v[14:15], v[14:15], v[16:17]
	s_waitcnt vmcnt(25) lgkmcnt(0)
	v_mul_f64 v[16:17], v[66:67], v[188:189]
	s_waitcnt vmcnt(23)
	v_fmac_f64_e32 v[16:17], v[68:69], v[190:191]
	v_add_f64 v[14:15], v[14:15], v[16:17]
	s_waitcnt vmcnt(21)
	v_mul_f64 v[16:17], v[70:71], v[182:183]
	s_waitcnt vmcnt(20)
	v_fmac_f64_e32 v[16:17], v[72:73], v[186:187]
	v_add_f64 v[14:15], v[14:15], v[16:17]
	v_mul_f64 v[16:17], v[244:245], v[78:79]
	v_fma_f64 v[244:245], v[242:243], v[80:81], -v[16:17]
	ds_read_b128 v[78:81], v144 offset:1728
	s_waitcnt vmcnt(18)
	v_mul_f64 v[16:17], v[74:75], v[192:193]
	s_waitcnt vmcnt(16)
	v_fmac_f64_e32 v[16:17], v[76:77], v[194:195]
	v_add_f64 v[14:15], v[14:15], v[16:17]
	s_waitcnt vmcnt(14) lgkmcnt(0)
	v_mul_f64 v[16:17], v[78:79], v[198:199]
	s_waitcnt vmcnt(12)
	v_fmac_f64_e32 v[16:17], v[80:81], v[200:201]
	v_add_f64 v[14:15], v[14:15], v[16:17]
	v_mul_f64 v[16:17], v[108:109], v[90:91]
	v_fma_f64 v[234:235], v[106:107], v[92:93], -v[16:17]
	ds_read_b128 v[90:93], v144 offset:1776
	buffer_load_dword v212, off, s[0:3], 0 offset:872
	buffer_load_dword v213, off, s[0:3], 0 offset:876
	buffer_load_dword v214, off, s[0:3], 0 offset:864
	buffer_load_dword v215, off, s[0:3], 0 offset:868
	ds_read_b128 v[94:97], v144 offset:1792
	buffer_load_dword v217, off, s[0:3], 0 offset:892
	buffer_load_dword v216, off, s[0:3], 0 offset:888
	buffer_load_dword v219, off, s[0:3], 0 offset:884
	buffer_load_dword v218, off, s[0:3], 0 offset:880
	;; [unrolled: 5-line block ×6, first 2 shown]
	s_waitcnt vmcnt(33)
	v_mul_f64 v[16:17], v[82:83], v[204:205]
	s_waitcnt vmcnt(31)
	v_fmac_f64_e32 v[16:17], v[84:85], v[208:209]
	v_add_f64 v[14:15], v[14:15], v[16:17]
	s_waitcnt vmcnt(29)
	v_mul_f64 v[16:17], v[86:87], v[196:197]
	s_waitcnt vmcnt(28)
	v_fmac_f64_e32 v[16:17], v[88:89], v[202:203]
	v_add_f64 v[14:15], v[14:15], v[16:17]
	s_waitcnt vmcnt(26) lgkmcnt(5)
	v_mul_f64 v[16:17], v[90:91], v[206:207]
	s_waitcnt vmcnt(24)
	v_fmac_f64_e32 v[16:17], v[92:93], v[210:211]
	v_add_f64 v[14:15], v[14:15], v[16:17]
	s_waitcnt vmcnt(22) lgkmcnt(4)
	;; [unrolled: 5-line block ×6, first 2 shown]
	v_mul_f64 v[16:17], v[230:231], v[240:241]
	s_waitcnt vmcnt(4)
	v_fmac_f64_e32 v[16:17], v[232:233], v[242:243]
	v_add_f64 v[0:1], v[14:15], v[16:17]
	ds_read_b128 v[14:17], v144 offset:1872
	s_waitcnt vmcnt(2) lgkmcnt(0)
	v_mul_f64 v[228:229], v[14:15], v[246:247]
	s_waitcnt vmcnt(0)
	v_fmac_f64_e32 v[228:229], v[16:17], v[248:249]
	v_add_f64 v[228:229], v[0:1], v[228:229]
	v_add_f64 v[0:1], v[226:227], 0
	;; [unrolled: 1-line block ×19, first 2 shown]
	buffer_load_dword v252, off, s[0:3], 0 offset:48
	buffer_load_dword v253, off, s[0:3], 0 offset:52
	;; [unrolled: 1-line block ×4, first 2 shown]
	v_add_f64 v[0:1], v[0:1], v[12:13]
	v_add_f64 v[0:1], v[0:1], v[10:11]
	;; [unrolled: 1-line block ×5, first 2 shown]
	v_accvgpr_read_b32 v4, a178
	v_add_f64 v[0:1], v[0:1], v[2:3]
	v_accvgpr_read_b32 v6, a180
	v_accvgpr_read_b32 v7, a181
	v_add_f64 v[226:227], v[0:1], v[244:245]
	v_mul_f64 v[2:3], v[6:7], v[150:151]
	v_accvgpr_read_b32 v6, a182
	v_add_f64 v[0:1], v[226:227], v[114:115]
	v_accvgpr_read_b32 v5, a179
	v_accvgpr_read_b32 v7, a183
	v_add_f64 v[0:1], v[0:1], v[234:235]
	v_fma_f64 v[2:3], v[4:5], v[6:7], -v[2:3]
	v_add_f64 v[0:1], v[0:1], v[2:3]
	v_accvgpr_read_b32 v4, a184
	v_accvgpr_read_b32 v2, a192
	;; [unrolled: 1-line block ×5, first 2 shown]
	v_mul_f64 v[2:3], v[6:7], v[2:3]
	v_accvgpr_read_b32 v6, a194
	v_accvgpr_read_b32 v5, a185
	;; [unrolled: 1-line block ×3, first 2 shown]
	v_fma_f64 v[2:3], v[4:5], v[6:7], -v[2:3]
	v_add_f64 v[0:1], v[0:1], v[2:3]
	v_accvgpr_read_b32 v4, a188
	v_accvgpr_read_b32 v2, a196
	v_accvgpr_read_b32 v6, a190
	v_accvgpr_read_b32 v7, a191
	v_accvgpr_read_b32 v3, a197
	v_mul_f64 v[2:3], v[6:7], v[2:3]
	v_accvgpr_read_b32 v6, a198
	v_accvgpr_read_b32 v5, a189
	;; [unrolled: 1-line block ×3, first 2 shown]
	v_fma_f64 v[2:3], v[4:5], v[6:7], -v[2:3]
	v_add_f64 v[0:1], v[0:1], v[2:3]
	v_accvgpr_read_b32 v2, a200
	v_accvgpr_read_b32 v3, a201
	v_accvgpr_read_b32 v4, a202
	v_mul_f64 v[2:3], v[154:155], v[2:3]
	v_accvgpr_read_b32 v5, a203
	v_fma_f64 v[2:3], v[152:153], v[4:5], -v[2:3]
	v_add_f64 v[0:1], v[0:1], v[2:3]
	v_accvgpr_read_b32 v2, a204
	v_accvgpr_read_b32 v3, a205
	v_accvgpr_read_b32 v4, a206
	v_mul_f64 v[2:3], v[148:149], v[2:3]
	v_accvgpr_read_b32 v5, a207
	;; [unrolled: 7-line block ×3, first 2 shown]
	v_fma_f64 v[2:3], v[132:133], v[4:5], -v[2:3]
	v_accvgpr_read_b32 v4, a212
	v_add_f64 v[0:1], v[0:1], v[2:3]
	v_mul_f64 v[2:3], v[126:127], v[138:139]
	v_accvgpr_read_b32 v5, a213
	v_fma_f64 v[2:3], v[124:125], v[4:5], -v[2:3]
	v_add_f64 v[0:1], v[0:1], v[2:3]
	v_mul_f64 v[2:3], v[122:123], v[136:137]
	v_fma_f64 v[2:3], v[120:121], v[140:141], -v[2:3]
	v_add_f64 v[0:1], v[0:1], v[2:3]
	v_mul_f64 v[2:3], v[36:37], v[130:131]
	;; [unrolled: 3-line block ×22, first 2 shown]
	v_fma_f64 v[2:3], v[14:15], v[248:249], -v[2:3]
	v_add_f64 v[0:1], v[0:1], v[2:3]
	s_waitcnt vmcnt(2)
	v_add_f64 v[0:1], v[252:253], -v[0:1]
	s_waitcnt vmcnt(0)
	v_add_f64 v[2:3], v[250:251], -v[228:229]
	buffer_store_dword v1, off, s[0:3], 0 offset:52
	buffer_store_dword v0, off, s[0:3], 0 offset:48
	;; [unrolled: 1-line block ×4, first 2 shown]
	v_accvgpr_read_b32 v0, a176
	v_cmp_lt_u32_e32 vcc, 1, v0
	s_and_saveexec_b64 s[4:5], vcc
	s_cbranch_execz .LBB122_365
; %bb.364:
	v_accvgpr_read_b32 v0, a175
	buffer_load_dword v2, v0, s[0:3], 0 offen
	buffer_load_dword v3, v0, s[0:3], 0 offen offset:4
	buffer_load_dword v4, v0, s[0:3], 0 offen offset:8
	;; [unrolled: 1-line block ×3, first 2 shown]
	v_mov_b32_e32 v0, 0
	v_accvgpr_read_b32 v1, a177
	buffer_store_dword v0, off, s[0:3], 0 offset:32
	buffer_store_dword v0, off, s[0:3], 0 offset:36
	;; [unrolled: 1-line block ×4, first 2 shown]
	s_waitcnt vmcnt(4)
	ds_write_b128 v1, v[2:5]
.LBB122_365:
	s_or_b64 exec, exec, s[4:5]
	s_waitcnt lgkmcnt(0)
	; wave barrier
	s_waitcnt lgkmcnt(0)
	buffer_load_dword v6, off, s[0:3], 0 offset:48
	buffer_load_dword v7, off, s[0:3], 0 offset:52
	;; [unrolled: 1-line block ×42, first 2 shown]
	v_mov_b32_e32 v250, 0
	buffer_load_dword v91, off, s[0:3], 0 offset:196
	buffer_load_dword v90, off, s[0:3], 0 offset:192
	;; [unrolled: 1-line block ×7, first 2 shown]
	ds_read_b128 v[104:107], v250 offset:976
	ds_read_b128 v[108:111], v250 offset:992
	;; [unrolled: 1-line block ×11, first 2 shown]
	s_waitcnt vmcnt(45) lgkmcnt(10)
	v_mul_f64 v[0:1], v[104:105], v[10:11]
	v_fmac_f64_e32 v[0:1], v[106:107], v[6:7]
	v_add_f64 v[0:1], v[0:1], 0
	v_mul_f64 v[10:11], v[106:107], v[10:11]
	s_waitcnt vmcnt(41) lgkmcnt(9)
	v_mul_f64 v[52:53], v[108:109], v[8:9]
	v_fmac_f64_e32 v[52:53], v[110:111], v[4:5]
	s_waitcnt vmcnt(39) lgkmcnt(8)
	v_mul_f64 v[54:55], v[112:113], v[2:3]
	v_add_f64 v[0:1], v[0:1], v[52:53]
	s_waitcnt vmcnt(37) lgkmcnt(6)
	v_mul_f64 v[58:59], v[132:133], v[224:225]
	v_fma_f64 v[240:241], v[104:105], v[6:7], -v[10:11]
	s_waitcnt vmcnt(35)
	v_fmac_f64_e32 v[58:59], v[134:135], v[14:15]
	v_mul_f64 v[8:9], v[110:111], v[8:9]
	s_waitcnt vmcnt(33)
	v_mul_f64 v[56:57], v[116:117], v[218:219]
	v_fma_f64 v[242:243], v[108:109], v[4:5], -v[8:9]
	s_waitcnt vmcnt(31) lgkmcnt(4)
	v_mul_f64 v[62:63], v[140:141], v[22:23]
	v_mul_f64 v[2:3], v[114:115], v[2:3]
	s_waitcnt vmcnt(29)
	v_fmac_f64_e32 v[62:63], v[142:143], v[238:239]
	v_mul_f64 v[10:11], v[134:135], v[224:225]
	s_waitcnt vmcnt(27)
	v_mul_f64 v[60:61], v[136:137], v[248:249]
	s_waitcnt vmcnt(25) lgkmcnt(2)
	v_mul_f64 v[66:67], v[148:149], v[30:31]
	v_mul_f64 v[30:31], v[150:151], v[30:31]
	s_waitcnt vmcnt(22)
	v_mul_f64 v[64:65], v[144:145], v[26:27]
	v_mul_f64 v[26:27], v[146:147], v[26:27]
	s_waitcnt vmcnt(20) lgkmcnt(1)
	v_mul_f64 v[120:121], v[152:153], v[38:39]
	s_waitcnt vmcnt(18)
	v_fmac_f64_e32 v[54:55], v[114:115], v[44:45]
	v_add_f64 v[0:1], v[0:1], v[54:55]
	s_waitcnt vmcnt(16)
	v_fmac_f64_e32 v[56:57], v[118:119], v[40:41]
	v_add_f64 v[0:1], v[0:1], v[56:57]
	;; [unrolled: 3-line block ×3, first 2 shown]
	v_add_f64 v[0:1], v[0:1], v[60:61]
	s_waitcnt vmcnt(12)
	v_fmac_f64_e32 v[64:65], v[146:147], v[28:29]
	v_add_f64 v[0:1], v[0:1], v[62:63]
	s_waitcnt vmcnt(11)
	v_fmac_f64_e32 v[66:67], v[150:151], v[32:33]
	v_add_f64 v[0:1], v[0:1], v[64:65]
	v_add_f64 v[0:1], v[0:1], v[66:67]
	buffer_load_dword v68, off, s[0:3], 0 offset:232
	buffer_load_dword v213, off, s[0:3], 0 offset:228
	;; [unrolled: 1-line block ×61, first 2 shown]
	s_waitcnt vmcnt(62)
	v_fmac_f64_e32 v[120:121], v[154:155], v[90:91]
	v_add_f64 v[0:1], v[0:1], v[120:121]
	s_waitcnt lgkmcnt(0)
	v_mul_f64 v[120:121], v[34:35], v[42:43]
	v_fmac_f64_e32 v[120:121], v[36:37], v[46:47]
	v_add_f64 v[0:1], v[0:1], v[120:121]
	v_fma_f64 v[220:221], v[112:113], v[44:45], -v[2:3]
	v_mul_f64 v[2:3], v[118:119], v[218:219]
	v_fma_f64 v[218:219], v[116:117], v[40:41], -v[2:3]
	v_mul_f64 v[36:37], v[36:37], v[42:43]
	s_waitcnt vmcnt(0)
	v_pk_mov_b32 v[234:235], v[86:87], v[86:87] op_sel:[0,1]
	buffer_load_dword v87, off, s[0:3], 0 offset:500
	buffer_load_dword v86, off, s[0:3], 0 offset:496
	v_accvgpr_write_b32 a184, v234
	v_accvgpr_write_b32 a185, v235
	s_waitcnt vmcnt(0)
	v_pk_mov_b32 v[124:125], v[86:87], v[86:87] op_sel:[0,1]
	buffer_load_dword v87, off, s[0:3], 0 offset:492
	buffer_load_dword v86, off, s[0:3], 0 offset:488
	;; [unrolled: 1-line block ×6, first 2 shown]
	v_accvgpr_write_b32 a183, v125
	v_accvgpr_write_b32 a182, v124
	s_waitcnt vmcnt(0)
	v_pk_mov_b32 v[126:127], v[122:123], v[122:123] op_sel:[0,1]
	buffer_load_dword v123, off, s[0:3], 0 offset:532
	buffer_load_dword v122, off, s[0:3], 0 offset:528
	v_accvgpr_write_b32 a199, v127
	v_accvgpr_write_b32 a198, v126
	s_waitcnt vmcnt(0)
	v_pk_mov_b32 v[128:129], v[122:123], v[122:123] op_sel:[0,1]
	buffer_load_dword v123, off, s[0:3], 0 offset:524
	buffer_load_dword v122, off, s[0:3], 0 offset:520
	;; [unrolled: 6-line block ×3, first 2 shown]
	ds_read_b128 v[156:159], v250 offset:1152
	ds_read_b128 v[160:163], v250 offset:1168
	;; [unrolled: 1-line block ×10, first 2 shown]
	s_waitcnt lgkmcnt(9)
	v_mul_f64 v[120:121], v[156:157], v[68:69]
	v_fmac_f64_e32 v[120:121], v[158:159], v[212:213]
	v_add_f64 v[0:1], v[0:1], v[120:121]
	s_waitcnt lgkmcnt(8)
	v_mul_f64 v[120:121], v[160:161], v[48:49]
	v_fmac_f64_e32 v[120:121], v[162:163], v[50:51]
	v_add_f64 v[0:1], v[0:1], v[120:121]
	;; [unrolled: 4-line block ×10, first 2 shown]
	v_accvgpr_write_b32 a191, v131
	v_accvgpr_write_b32 a190, v130
	v_mul_f64 v[42:43], v[162:163], v[48:49]
	s_waitcnt vmcnt(0)
	v_pk_mov_b32 v[236:237], v[122:123], v[122:123] op_sel:[0,1]
	buffer_load_dword v123, off, s[0:3], 0 offset:556
	buffer_load_dword v122, off, s[0:3], 0 offset:552
	v_accvgpr_write_b32 a192, v236
	v_accvgpr_write_b32 a193, v237
	s_waitcnt vmcnt(0)
	v_pk_mov_b32 v[244:245], v[122:123], v[122:123] op_sel:[0,1]
	buffer_load_dword v123, off, s[0:3], 0 offset:548
	buffer_load_dword v122, off, s[0:3], 0 offset:544
	ds_read_b128 v[196:199], v250 offset:1312
	v_accvgpr_write_b32 a202, v244
	v_accvgpr_write_b32 a203, v245
	s_waitcnt lgkmcnt(0)
	v_mul_f64 v[120:121], v[196:197], v[56:57]
	v_fmac_f64_e32 v[120:121], v[198:199], v[66:67]
	v_add_f64 v[0:1], v[0:1], v[120:121]
	s_waitcnt vmcnt(0)
	v_pk_mov_b32 v[246:247], v[122:123], v[122:123] op_sel:[0,1]
	buffer_load_dword v122, off, s[0:3], 0 offset:568
	buffer_load_dword v200, off, s[0:3], 0 offset:560
	buffer_load_dword v123, off, s[0:3], 0 offset:572
	buffer_load_dword v201, off, s[0:3], 0 offset:564
	ds_read_b128 v[82:85], v250 offset:1328
	buffer_load_dword v13, off, s[0:3], 0 offset:604
	buffer_load_dword v17, off, s[0:3], 0 offset:588
	;; [unrolled: 1-line block ×12, first 2 shown]
	ds_read_b128 v[104:107], v250 offset:1360
	ds_read_b128 v[108:111], v250 offset:1376
	;; [unrolled: 1-line block ×3, first 2 shown]
	s_waitcnt lgkmcnt(3)
	v_mul_f64 v[204:205], v[82:83], v[58:59]
	v_fmac_f64_e32 v[204:205], v[84:85], v[60:61]
	v_add_f64 v[0:1], v[0:1], v[204:205]
	ds_read_b128 v[204:207], v250 offset:1344
	s_waitcnt lgkmcnt(3)
	v_mul_f64 v[4:5], v[104:105], v[70:71]
	v_fmac_f64_e32 v[4:5], v[106:107], v[72:73]
	ds_read_b128 v[112:115], v250 offset:1408
	v_accvgpr_write_b32 a204, v246
	s_waitcnt lgkmcnt(1)
	v_mul_f64 v[6:7], v[204:205], v[62:63]
	v_fmac_f64_e32 v[6:7], v[206:207], v[64:65]
	v_add_f64 v[0:1], v[0:1], v[6:7]
	v_add_f64 v[0:1], v[0:1], v[4:5]
	v_mul_f64 v[4:5], v[108:109], v[74:75]
	v_fmac_f64_e32 v[4:5], v[110:111], v[76:77]
	v_add_f64 v[0:1], v[0:1], v[4:5]
	ds_read_b128 v[2:5], v250 offset:1424
	v_mul_f64 v[6:7], v[208:209], v[202:203]
	v_fmac_f64_e32 v[6:7], v[210:211], v[18:19]
	v_add_f64 v[0:1], v[0:1], v[6:7]
	s_waitcnt lgkmcnt(1)
	v_mul_f64 v[6:7], v[112:113], v[86:87]
	v_fmac_f64_e32 v[6:7], v[114:115], v[88:89]
	v_add_f64 v[0:1], v[0:1], v[6:7]
	s_waitcnt lgkmcnt(0)
	v_mul_f64 v[6:7], v[2:3], v[234:235]
	v_accvgpr_write_b32 a181, v5
	v_fmac_f64_e32 v[6:7], v[4:5], v[124:125]
	v_accvgpr_write_b32 a180, v4
	v_accvgpr_write_b32 a179, v3
	;; [unrolled: 1-line block ×3, first 2 shown]
	ds_read_b128 v[2:5], v250 offset:1440
	v_add_f64 v[0:1], v[0:1], v[6:7]
	ds_read_b128 v[6:9], v250 offset:1456
	v_fma_f64 v[234:235], v[132:133], v[14:15], -v[10:11]
	v_mul_f64 v[14:15], v[138:139], v[248:249]
	v_fma_f64 v[224:225], v[136:137], v[252:253], -v[14:15]
	ds_read_b128 v[252:255], v250 offset:1472
	s_waitcnt lgkmcnt(2)
	v_mul_f64 v[40:41], v[2:3], v[130:131]
	v_accvgpr_write_b32 a189, v5
	v_fmac_f64_e32 v[40:41], v[4:5], v[236:237]
	v_accvgpr_write_b32 a188, v4
	v_accvgpr_write_b32 a187, v3
	;; [unrolled: 1-line block ×3, first 2 shown]
	s_waitcnt lgkmcnt(1)
	v_mul_f64 v[4:5], v[6:7], v[126:127]
	v_add_f64 v[0:1], v[0:1], v[40:41]
	v_fmac_f64_e32 v[4:5], v[8:9], v[128:129]
	v_add_f64 v[0:1], v[0:1], v[4:5]
	s_waitcnt lgkmcnt(0)
	v_mul_f64 v[4:5], v[252:253], v[244:245]
	v_fmac_f64_e32 v[4:5], v[254:255], v[246:247]
	v_add_f64 v[0:1], v[0:1], v[4:5]
	v_mul_f64 v[4:5], v[142:143], v[22:23]
	v_accvgpr_write_b32 a205, v247
	ds_read_b128 v[246:249], v250 offset:1488
	v_fma_f64 v[118:119], v[140:141], v[238:239], -v[4:5]
	buffer_load_dword v238, off, s[0:3], 0 offset:632
	buffer_load_dword v239, off, s[0:3], 0 offset:636
	ds_read_b128 v[132:135], v250 offset:1504
	buffer_load_dword v236, off, s[0:3], 0 offset:624
	buffer_load_dword v237, off, s[0:3], 0 offset:628
	ds_read_b128 v[128:131], v250 offset:1520
	ds_read_b128 v[124:127], v250 offset:1536
	v_fma_f64 v[136:137], v[144:145], v[28:29], -v[26:27]
	v_accvgpr_write_b32 a197, v9
	v_accvgpr_write_b32 a196, v8
	;; [unrolled: 1-line block ×4, first 2 shown]
	v_mul_f64 v[8:9], v[158:159], v[68:69]
	v_fma_f64 v[40:41], v[148:149], v[32:33], -v[30:31]
	v_fma_f64 v[28:29], v[34:35], v[46:47], -v[36:37]
	;; [unrolled: 1-line block ×4, first 2 shown]
	s_waitcnt vmcnt(13) lgkmcnt(2)
	v_mul_f64 v[44:45], v[132:133], v[16:17]
	v_mul_f64 v[42:43], v[166:167], v[216:217]
	s_waitcnt vmcnt(11)
	v_fmac_f64_e32 v[44:45], v[134:135], v[230:231]
	s_waitcnt vmcnt(10)
	v_accvgpr_write_b32 a213, v13
	v_accvgpr_write_b32 a212, v12
	;; [unrolled: 1-line block ×4, first 2 shown]
	v_mul_f64 v[22:23], v[246:247], v[122:123]
	v_accvgpr_write_b32 a206, v122
	buffer_load_dword v123, off, s[0:3], 0 offset:652
	buffer_load_dword v122, off, s[0:3], 0 offset:648
	;; [unrolled: 1-line block ×4, first 2 shown]
	v_fmac_f64_e32 v[22:23], v[248:249], v[200:201]
	v_add_f64 v[0:1], v[0:1], v[22:23]
	v_add_f64 v[0:1], v[0:1], v[44:45]
	s_waitcnt lgkmcnt(1)
	v_mul_f64 v[44:45], v[128:129], v[12:13]
	buffer_load_dword v140, off, s[0:3], 0 offset:664
	buffer_load_dword v142, off, s[0:3], 0 offset:656
	;; [unrolled: 1-line block ×4, first 2 shown]
	s_waitcnt vmcnt(16)
	v_fmac_f64_e32 v[44:45], v[130:131], v[20:21]
	v_add_f64 v[44:45], v[0:1], v[44:45]
	v_mul_f64 v[0:1], v[154:155], v[38:39]
	v_fma_f64 v[38:39], v[152:153], v[90:91], -v[0:1]
	buffer_load_dword v145, off, s[0:3], 0 offset:700
	buffer_load_dword v147, off, s[0:3], 0 offset:684
	;; [unrolled: 1-line block ×8, first 2 shown]
	ds_read_b128 v[34:37], v250 offset:1552
	buffer_load_dword v148, off, s[0:3], 0 offset:728
	buffer_load_dword v155, off, s[0:3], 0 offset:716
	;; [unrolled: 1-line block ×12, first 2 shown]
	v_mul_f64 v[12:13], v[170:171], v[214:215]
	v_fma_f64 v[22:23], v[168:169], v[102:103], -v[12:13]
	buffer_load_dword v166, off, s[0:3], 0 offset:760
	buffer_load_dword v168, off, s[0:3], 0 offset:752
	;; [unrolled: 1-line block ×4, first 2 shown]
	s_waitcnt vmcnt(38)
	v_accvgpr_write_b32 a215, v25
	s_waitcnt lgkmcnt(1)
	v_mul_f64 v[116:117], v[124:125], v[24:25]
	v_accvgpr_write_b32 a214, v24
	v_fma_f64 v[24:25], v[164:165], v[222:223], -v[42:43]
	v_mul_f64 v[42:43], v[174:175], v[228:229]
	v_fma_f64 v[30:31], v[172:173], v[232:233], -v[42:43]
	buffer_load_dword v165, off, s[0:3], 0 offset:796
	buffer_load_dword v171, off, s[0:3], 0 offset:780
	buffer_load_dword v170, off, s[0:3], 0 offset:776
	buffer_load_dword v175, off, s[0:3], 0 offset:772
	buffer_load_dword v174, off, s[0:3], 0 offset:768
	buffer_load_dword v164, off, s[0:3], 0 offset:792
	buffer_load_dword v173, off, s[0:3], 0 offset:788
	buffer_load_dword v172, off, s[0:3], 0 offset:784
	v_accvgpr_write_b32 a210, v16
	v_mul_f64 v[16:17], v[178:179], v[226:227]
	v_fma_f64 v[16:17], v[176:177], v[100:101], -v[16:17]
	ds_read_b128 v[226:229], v250 offset:1568
	buffer_load_dword v177, off, s[0:3], 0 offset:812
	buffer_load_dword v176, off, s[0:3], 0 offset:808
	;; [unrolled: 1-line block ×4, first 2 shown]
	v_accvgpr_write_b32 a217, v21
	v_accvgpr_write_b32 a216, v20
	v_mul_f64 v[46:47], v[182:183], v[96:97]
	v_mul_f64 v[20:21], v[186:187], v[80:81]
	v_fma_f64 v[14:15], v[180:181], v[98:99], -v[46:47]
	v_fma_f64 v[20:21], v[184:185], v[94:95], -v[20:21]
	buffer_load_dword v180, off, s[0:3], 0 offset:824
	buffer_load_dword v182, off, s[0:3], 0 offset:816
	;; [unrolled: 1-line block ×8, first 2 shown]
	s_waitcnt vmcnt(56)
	v_fmac_f64_e32 v[116:117], v[126:127], v[120:121]
	v_add_f64 v[44:45], v[44:45], v[116:117]
	v_mul_f64 v[46:47], v[194:195], v[52:53]
	v_fma_f64 v[10:11], v[192:193], v[54:55], -v[46:47]
	v_mul_f64 v[50:51], v[198:199], v[56:57]
	v_fma_f64 v[8:9], v[196:197], v[66:67], -v[50:51]
	;; [unrolled: 2-line block ×8, first 2 shown]
	v_accvgpr_write_b32 a209, v201
	s_waitcnt vmcnt(54) lgkmcnt(1)
	v_mul_f64 v[42:43], v[34:35], v[238:239]
	v_accvgpr_write_b32 a208, v200
	s_waitcnt vmcnt(52)
	v_fmac_f64_e32 v[42:43], v[36:37], v[236:237]
	v_add_f64 v[42:43], v[44:45], v[42:43]
	v_mul_f64 v[44:45], v[190:191], v[78:79]
	v_fma_f64 v[12:13], v[188:189], v[92:93], -v[44:45]
	buffer_load_dword v188, off, s[0:3], 0 offset:856
	buffer_load_dword v190, off, s[0:3], 0 offset:848
	;; [unrolled: 1-line block ×4, first 2 shown]
	ds_read_b128 v[50:53], v250 offset:1616
	ds_read_b128 v[58:61], v250 offset:1648
	;; [unrolled: 1-line block ×8, first 2 shown]
	s_waitcnt vmcnt(54) lgkmcnt(8)
	v_mul_f64 v[44:45], v[226:227], v[122:123]
	s_waitcnt vmcnt(52)
	v_fmac_f64_e32 v[44:45], v[228:229], v[138:139]
	v_add_f64 v[68:69], v[42:43], v[44:45]
	ds_read_b128 v[42:45], v250 offset:1584
	s_waitcnt vmcnt(45) lgkmcnt(6)
	v_mul_f64 v[56:57], v[46:47], v[146:147]
	s_waitcnt lgkmcnt(0)
	v_mul_f64 v[54:55], v[42:43], v[140:141]
	v_fmac_f64_e32 v[54:55], v[44:45], v[142:143]
	v_add_f64 v[54:55], v[68:69], v[54:55]
	s_waitcnt vmcnt(43)
	v_fmac_f64_e32 v[56:57], v[48:49], v[152:153]
	v_add_f64 v[54:55], v[54:55], v[56:57]
	s_waitcnt vmcnt(42)
	v_mul_f64 v[56:57], v[50:51], v[144:145]
	s_waitcnt vmcnt(40)
	v_fmac_f64_e32 v[56:57], v[52:53], v[150:151]
	v_add_f64 v[66:67], v[54:55], v[56:57]
	ds_read_b128 v[54:57], v250 offset:1632
	s_waitcnt vmcnt(37) lgkmcnt(0)
	v_mul_f64 v[68:69], v[54:55], v[154:155]
	s_waitcnt vmcnt(35)
	v_fmac_f64_e32 v[68:69], v[56:57], v[156:157]
	v_add_f64 v[66:67], v[66:67], v[68:69]
	s_waitcnt vmcnt(33)
	v_mul_f64 v[68:69], v[58:59], v[148:149]
	s_waitcnt vmcnt(32)
	v_fmac_f64_e32 v[68:69], v[60:61], v[158:159]
	v_add_f64 v[66:67], v[66:67], v[68:69]
	s_waitcnt vmcnt(30)
	v_mul_f64 v[68:69], v[62:63], v[160:161]
	s_waitcnt vmcnt(28)
	v_fmac_f64_e32 v[68:69], v[64:65], v[162:163]
	v_add_f64 v[78:79], v[66:67], v[68:69]
	ds_read_b128 v[66:69], v250 offset:1680
	s_waitcnt vmcnt(25) lgkmcnt(0)
	v_mul_f64 v[80:81], v[66:67], v[166:167]
	s_waitcnt vmcnt(24)
	v_fmac_f64_e32 v[80:81], v[68:69], v[168:169]
	v_add_f64 v[78:79], v[78:79], v[80:81]
	s_waitcnt vmcnt(21)
	v_mul_f64 v[80:81], v[70:71], v[170:171]
	;; [unrolled: 16-line block ×3, first 2 shown]
	s_waitcnt vmcnt(8)
	v_fmac_f64_e32 v[90:91], v[84:85], v[182:183]
	v_add_f64 v[32:33], v[32:33], v[90:91]
	s_waitcnt vmcnt(6)
	v_mul_f64 v[90:91], v[86:87], v[184:185]
	s_waitcnt vmcnt(4)
	v_fmac_f64_e32 v[90:91], v[88:89], v[186:187]
	v_add_f64 v[32:33], v[32:33], v[90:91]
	ds_read_b128 v[90:93], v250 offset:1776
	buffer_load_dword v193, off, s[0:3], 0 offset:876
	buffer_load_dword v192, off, s[0:3], 0 offset:872
	buffer_load_dword v195, off, s[0:3], 0 offset:868
	buffer_load_dword v194, off, s[0:3], 0 offset:864
	s_waitcnt vmcnt(5) lgkmcnt(0)
	v_mul_f64 v[94:95], v[90:91], v[188:189]
	s_waitcnt vmcnt(4)
	v_fmac_f64_e32 v[94:95], v[92:93], v[190:191]
	v_add_f64 v[32:33], v[32:33], v[94:95]
	ds_read_b128 v[94:97], v250 offset:1792
	buffer_load_dword v196, off, s[0:3], 0 offset:888
	buffer_load_dword v197, off, s[0:3], 0 offset:892
	buffer_load_dword v198, off, s[0:3], 0 offset:880
	buffer_load_dword v199, off, s[0:3], 0 offset:884
	s_waitcnt vmcnt(6) lgkmcnt(0)
	;; [unrolled: 10-line block ×6, first 2 shown]
	v_mul_f64 v[114:115], v[110:111], v[208:209]
	s_waitcnt vmcnt(4)
	v_fmac_f64_e32 v[114:115], v[112:113], v[210:211]
	v_add_f64 v[32:33], v[32:33], v[114:115]
	ds_read_b128 v[114:117], v250 offset:1872
	s_waitcnt vmcnt(2) lgkmcnt(0)
	v_mul_f64 v[232:233], v[114:115], v[214:215]
	s_waitcnt vmcnt(0)
	v_fmac_f64_e32 v[232:233], v[116:117], v[216:217]
	v_add_f64 v[232:233], v[32:33], v[232:233]
	v_add_f64 v[32:33], v[240:241], 0
	;; [unrolled: 1-line block ×26, first 2 shown]
	buffer_load_dword v4, off, s[0:3], 0 offset:32
	buffer_load_dword v5, off, s[0:3], 0 offset:36
	v_add_f64 v[2:3], v[2:3], v[244:245]
	buffer_load_dword v218, off, s[0:3], 0 offset:40
	buffer_load_dword v219, off, s[0:3], 0 offset:44
	v_add_f64 v[0:1], v[2:3], v[0:1]
	v_accvgpr_read_b32 v6, a178
	v_accvgpr_read_b32 v2, a184
	;; [unrolled: 1-line block ×5, first 2 shown]
	v_mul_f64 v[2:3], v[8:9], v[2:3]
	v_accvgpr_read_b32 v8, a182
	v_accvgpr_read_b32 v7, a179
	;; [unrolled: 1-line block ×3, first 2 shown]
	v_add_f64 v[0:1], v[0:1], v[222:223]
	v_fma_f64 v[2:3], v[6:7], v[8:9], -v[2:3]
	v_add_f64 v[0:1], v[0:1], v[2:3]
	v_accvgpr_read_b32 v6, a186
	v_accvgpr_read_b32 v2, a190
	;; [unrolled: 1-line block ×5, first 2 shown]
	v_mul_f64 v[2:3], v[8:9], v[2:3]
	v_accvgpr_read_b32 v8, a192
	v_accvgpr_read_b32 v7, a187
	;; [unrolled: 1-line block ×3, first 2 shown]
	v_fma_f64 v[2:3], v[6:7], v[8:9], -v[2:3]
	v_add_f64 v[0:1], v[0:1], v[2:3]
	v_accvgpr_read_b32 v6, a194
	v_accvgpr_read_b32 v2, a198
	;; [unrolled: 1-line block ×5, first 2 shown]
	v_mul_f64 v[2:3], v[8:9], v[2:3]
	v_accvgpr_read_b32 v8, a200
	v_accvgpr_read_b32 v7, a195
	;; [unrolled: 1-line block ×3, first 2 shown]
	v_fma_f64 v[2:3], v[6:7], v[8:9], -v[2:3]
	v_add_f64 v[0:1], v[0:1], v[2:3]
	v_accvgpr_read_b32 v2, a202
	v_accvgpr_read_b32 v3, a203
	;; [unrolled: 1-line block ×3, first 2 shown]
	v_mul_f64 v[2:3], v[254:255], v[2:3]
	v_accvgpr_read_b32 v7, a205
	v_fma_f64 v[2:3], v[252:253], v[6:7], -v[2:3]
	v_add_f64 v[0:1], v[0:1], v[2:3]
	v_accvgpr_read_b32 v2, a206
	v_accvgpr_read_b32 v3, a207
	;; [unrolled: 1-line block ×3, first 2 shown]
	v_mul_f64 v[2:3], v[248:249], v[2:3]
	v_accvgpr_read_b32 v7, a209
	v_fma_f64 v[2:3], v[246:247], v[6:7], -v[2:3]
	v_add_f64 v[0:1], v[0:1], v[2:3]
	v_accvgpr_read_b32 v2, a210
	v_accvgpr_read_b32 v3, a211
	v_mul_f64 v[2:3], v[134:135], v[2:3]
	v_fma_f64 v[2:3], v[132:133], v[230:231], -v[2:3]
	v_add_f64 v[0:1], v[0:1], v[2:3]
	v_accvgpr_read_b32 v2, a212
	v_accvgpr_read_b32 v3, a213
	;; [unrolled: 1-line block ×3, first 2 shown]
	v_mul_f64 v[2:3], v[130:131], v[2:3]
	v_accvgpr_read_b32 v7, a217
	v_fma_f64 v[2:3], v[128:129], v[6:7], -v[2:3]
	v_add_f64 v[0:1], v[0:1], v[2:3]
	v_accvgpr_read_b32 v2, a214
	v_accvgpr_read_b32 v3, a215
	v_mul_f64 v[2:3], v[126:127], v[2:3]
	v_fma_f64 v[2:3], v[124:125], v[120:121], -v[2:3]
	v_add_f64 v[0:1], v[0:1], v[2:3]
	v_mul_f64 v[2:3], v[36:37], v[238:239]
	v_fma_f64 v[2:3], v[34:35], v[236:237], -v[2:3]
	v_add_f64 v[0:1], v[0:1], v[2:3]
	;; [unrolled: 3-line block ×22, first 2 shown]
	s_waitcnt vmcnt(2)
	v_add_f64 v[0:1], v[4:5], -v[0:1]
	s_waitcnt vmcnt(0)
	v_add_f64 v[2:3], v[218:219], -v[232:233]
	buffer_store_dword v1, off, s[0:3], 0 offset:36
	buffer_store_dword v0, off, s[0:3], 0 offset:32
	;; [unrolled: 1-line block ×4, first 2 shown]
	v_accvgpr_read_b32 v0, a176
	v_cmp_ne_u32_e32 vcc, 0, v0
	s_and_saveexec_b64 s[4:5], vcc
	s_cbranch_execz .LBB122_367
; %bb.366:
	buffer_load_dword v2, off, s[0:3], 0 offset:16
	buffer_load_dword v3, off, s[0:3], 0 offset:20
	;; [unrolled: 1-line block ×4, first 2 shown]
	v_accvgpr_read_b32 v0, a177
	buffer_store_dword v250, off, s[0:3], 0 offset:16
	buffer_store_dword v250, off, s[0:3], 0 offset:20
	;; [unrolled: 1-line block ×4, first 2 shown]
	s_waitcnt vmcnt(4)
	ds_write_b128 v0, v[2:5]
.LBB122_367:
	s_or_b64 exec, exec, s[4:5]
	s_waitcnt lgkmcnt(0)
	; wave barrier
	s_waitcnt lgkmcnt(0)
	buffer_load_dword v6, off, s[0:3], 0 offset:32
	buffer_load_dword v7, off, s[0:3], 0 offset:36
	;; [unrolled: 1-line block ×42, first 2 shown]
	ds_read_b128 v[112:115], v250 offset:960
	ds_read_b128 v[132:135], v250 offset:976
	;; [unrolled: 1-line block ×10, first 2 shown]
	buffer_load_dword v111, off, s[0:3], 0 offset:180
	buffer_load_dword v110, off, s[0:3], 0 offset:176
	ds_read_b128 v[68:71], v250 offset:1120
	buffer_load_dword v77, off, s[0:3], 0 offset:236
	buffer_load_dword v76, off, s[0:3], 0 offset:232
	;; [unrolled: 1-line block ×6, first 2 shown]
	s_and_b64 vcc, exec, s[16:17]
	s_waitcnt vmcnt(46) lgkmcnt(10)
	v_mul_f64 v[50:51], v[112:113], v[8:9]
	v_fmac_f64_e32 v[50:51], v[114:115], v[6:7]
	v_add_f64 v[50:51], v[50:51], 0
	v_mul_f64 v[114:115], v[114:115], v[8:9]
	s_waitcnt vmcnt(42) lgkmcnt(9)
	v_mul_f64 v[52:53], v[132:133], v[4:5]
	v_fmac_f64_e32 v[52:53], v[134:135], v[0:1]
	s_waitcnt vmcnt(40) lgkmcnt(8)
	v_mul_f64 v[54:55], v[136:137], v[2:3]
	v_add_f64 v[50:51], v[50:51], v[52:53]
	s_waitcnt vmcnt(38) lgkmcnt(6)
	v_mul_f64 v[58:59], v[144:145], v[120:121]
	v_fma_f64 v[6:7], v[112:113], v[6:7], -v[114:115]
	s_waitcnt vmcnt(36)
	v_fmac_f64_e32 v[58:59], v[146:147], v[248:249]
	v_accvgpr_write_b32 a227, v7
	s_waitcnt vmcnt(34)
	v_mul_f64 v[56:57], v[140:141], v[32:33]
	v_accvgpr_write_b32 a226, v6
	s_waitcnt vmcnt(32) lgkmcnt(4)
	v_mul_f64 v[62:63], v[152:153], v[16:17]
	v_mul_f64 v[4:5], v[134:135], v[4:5]
	s_waitcnt vmcnt(30)
	v_fmac_f64_e32 v[62:63], v[154:155], v[18:19]
	v_fma_f64 v[246:247], v[132:133], v[0:1], -v[4:5]
	s_waitcnt vmcnt(28)
	v_mul_f64 v[60:61], v[148:149], v[20:21]
	v_mul_f64 v[2:3], v[138:139], v[2:3]
	s_waitcnt vmcnt(26) lgkmcnt(2)
	v_mul_f64 v[66:67], v[160:161], v[22:23]
	v_mul_f64 v[4:5], v[142:143], v[32:33]
	;; [unrolled: 1-line block ×3, first 2 shown]
	s_waitcnt vmcnt(23)
	v_mul_f64 v[64:65], v[156:157], v[26:27]
	v_mul_f64 v[16:17], v[154:155], v[16:17]
	s_waitcnt vmcnt(21) lgkmcnt(1)
	v_mul_f64 v[116:117], v[28:29], v[228:229]
	v_mul_f64 v[26:27], v[158:159], v[26:27]
	s_waitcnt vmcnt(19)
	v_fmac_f64_e32 v[54:55], v[138:139], v[46:47]
	v_add_f64 v[50:51], v[50:51], v[54:55]
	s_waitcnt vmcnt(17)
	v_fmac_f64_e32 v[56:57], v[142:143], v[42:43]
	v_add_f64 v[50:51], v[50:51], v[56:57]
	;; [unrolled: 3-line block ×3, first 2 shown]
	v_add_f64 v[50:51], v[50:51], v[60:61]
	s_waitcnt vmcnt(13)
	v_fmac_f64_e32 v[64:65], v[158:159], v[38:39]
	v_add_f64 v[50:51], v[50:51], v[62:63]
	s_waitcnt vmcnt(12)
	v_fmac_f64_e32 v[66:67], v[162:163], v[36:37]
	v_add_f64 v[50:51], v[50:51], v[64:65]
	v_add_f64 v[118:119], v[50:51], v[66:67]
	buffer_load_dword v241, off, s[0:3], 0 offset:212
	buffer_load_dword v240, off, s[0:3], 0 offset:208
	;; [unrolled: 1-line block ×68, first 2 shown]
	s_waitcnt vmcnt(62)
	v_fmac_f64_e32 v[116:117], v[30:31], v[110:111]
	v_add_f64 v[116:117], v[118:119], v[116:117]
	s_waitcnt lgkmcnt(0)
	v_mul_f64 v[118:119], v[68:69], v[44:45]
	v_fmac_f64_e32 v[118:119], v[70:71], v[48:49]
	v_add_f64 v[116:117], v[116:117], v[118:119]
	v_fma_f64 v[132:133], v[136:137], v[46:47], -v[2:3]
	v_mul_f64 v[120:121], v[146:147], v[120:121]
	v_mul_f64 v[22:23], v[162:163], v[22:23]
	v_fma_f64 v[22:23], v[160:161], v[36:37], -v[22:23]
	v_mul_f64 v[30:31], v[30:31], v[228:229]
	v_fma_f64 v[138:139], v[28:29], v[110:111], -v[30:31]
	s_waitcnt vmcnt(0)
	v_pk_mov_b32 v[130:131], v[128:129], v[128:129] op_sel:[0,1]
	buffer_load_dword v129, off, s[0:3], 0 offset:516
	buffer_load_dword v128, off, s[0:3], 0 offset:512
	;; [unrolled: 1-line block ×4, first 2 shown]
	v_accvgpr_write_b32 a185, v131
	v_accvgpr_write_b32 a184, v130
	s_waitcnt vmcnt(2)
	v_accvgpr_write_b32 a191, v129
	v_accvgpr_write_b32 a190, v128
	s_waitcnt vmcnt(0)
	v_pk_mov_b32 v[222:223], v[164:165], v[164:165] op_sel:[0,1]
	buffer_load_dword v165, off, s[0:3], 0 offset:500
	buffer_load_dword v164, off, s[0:3], 0 offset:496
	ds_read_b128 v[172:175], v250 offset:1168
	ds_read_b128 v[176:179], v250 offset:1184
	ds_read_b128 v[180:183], v250 offset:1200
	ds_read_b128 v[184:187], v250 offset:1216
	ds_read_b128 v[188:191], v250 offset:1232
	ds_read_b128 v[192:195], v250 offset:1248
	ds_read_b128 v[196:199], v250 offset:1264
	ds_read_b128 v[200:203], v250 offset:1280
	ds_read_b128 v[204:207], v250 offset:1296
	ds_read_b128 v[208:211], v250 offset:1312
	v_accvgpr_write_b32 a180, v222
	v_accvgpr_write_b32 a181, v223
	ds_read_b128 v[168:171], v250 offset:1152
	s_waitcnt vmcnt(0)
	v_pk_mov_b32 v[236:237], v[164:165], v[164:165] op_sel:[0,1]
	ds_read_b128 v[164:167], v250 offset:1136
	v_accvgpr_write_b32 a182, v236
	v_accvgpr_write_b32 a183, v237
	s_waitcnt lgkmcnt(0)
	v_mul_f64 v[118:119], v[164:165], v[94:95]
	v_fmac_f64_e32 v[118:119], v[166:167], v[240:241]
	v_add_f64 v[116:117], v[116:117], v[118:119]
	v_mul_f64 v[118:119], v[168:169], v[76:77]
	v_fmac_f64_e32 v[118:119], v[170:171], v[88:89]
	v_add_f64 v[116:117], v[116:117], v[118:119]
	;; [unrolled: 3-line block ×11, first 2 shown]
	buffer_load_dword v119, off, s[0:3], 0 offset:540
	buffer_load_dword v118, off, s[0:3], 0 offset:536
	s_waitcnt vmcnt(0)
	v_pk_mov_b32 v[230:231], v[118:119], v[118:119] op_sel:[0,1]
	buffer_load_dword v119, off, s[0:3], 0 offset:532
	buffer_load_dword v118, off, s[0:3], 0 offset:528
	ds_read_b128 v[212:215], v250 offset:1328
	buffer_load_dword v122, off, s[0:3], 0 offset:552
	buffer_load_dword v123, off, s[0:3], 0 offset:556
	;; [unrolled: 1-line block ×17, first 2 shown]
	v_accvgpr_write_b32 a196, v230
	v_accvgpr_write_b32 a197, v231
	s_waitcnt vmcnt(7)
	v_accvgpr_write_b32 a216, v252
	v_accvgpr_write_b32 a201, v123
	;; [unrolled: 1-line block ×4, first 2 shown]
	v_pk_mov_b32 v[244:245], v[118:119], v[118:119] op_sel:[0,1]
	v_mul_f64 v[118:119], v[208:209], v[50:51]
	v_fmac_f64_e32 v[118:119], v[210:211], v[52:53]
	s_waitcnt vmcnt(0)
	v_pk_mov_b32 v[114:115], v[112:113], v[112:113] op_sel:[0,1]
	buffer_load_dword v112, off, s[0:3], 0 offset:608
	buffer_load_dword v7, off, s[0:3], 0 offset:620
	buffer_load_dword v113, off, s[0:3], 0 offset:612
	ds_read_b128 v[10:13], v250 offset:1344
	ds_read_b128 v[232:235], v250 offset:1360
	v_add_f64 v[116:117], v[116:117], v[118:119]
	s_waitcnt lgkmcnt(2)
	v_mul_f64 v[118:119], v[212:213], v[56:57]
	v_fmac_f64_e32 v[118:119], v[214:215], v[58:59]
	v_add_f64 v[8:9], v[116:117], v[118:119]
	ds_read_b128 v[116:119], v250 offset:1376
	ds_read_b128 v[32:35], v250 offset:1408
	s_waitcnt lgkmcnt(3)
	v_mul_f64 v[0:1], v[10:11], v[60:61]
	v_fmac_f64_e32 v[0:1], v[12:13], v[72:73]
	s_waitcnt lgkmcnt(2)
	v_mul_f64 v[2:3], v[232:233], v[226:227]
	v_add_f64 v[0:1], v[8:9], v[0:1]
	v_fmac_f64_e32 v[2:3], v[234:235], v[62:63]
	v_add_f64 v[0:1], v[0:1], v[2:3]
	s_waitcnt lgkmcnt(1)
	v_mul_f64 v[2:3], v[116:117], v[84:85]
	v_fmac_f64_e32 v[2:3], v[118:119], v[74:75]
	v_add_f64 v[46:47], v[0:1], v[2:3]
	ds_read_b128 v[0:3], v250 offset:1392
	ds_read_b128 v[134:137], v250 offset:1424
	v_fma_f64 v[8:9], v[140:141], v[42:43], -v[4:5]
	v_fma_f64 v[140:141], v[144:145], v[248:249], -v[120:121]
	v_accvgpr_write_b32 a198, v244
	s_waitcnt lgkmcnt(1)
	v_mul_f64 v[42:43], v[0:1], v[80:81]
	v_fmac_f64_e32 v[42:43], v[2:3], v[82:83]
	v_add_f64 v[42:43], v[46:47], v[42:43]
	v_mul_f64 v[46:47], v[32:33], v[218:219]
	v_fmac_f64_e32 v[46:47], v[34:35], v[86:87]
	v_add_f64 v[42:43], v[42:43], v[46:47]
	s_waitcnt lgkmcnt(0)
	v_mul_f64 v[46:47], v[134:135], v[222:223]
	v_accvgpr_write_b32 a179, v137
	v_fmac_f64_e32 v[46:47], v[136:137], v[236:237]
	v_accvgpr_write_b32 a178, v136
	v_accvgpr_write_b32 a177, v135
	;; [unrolled: 1-line block ×3, first 2 shown]
	ds_read_b128 v[134:137], v250 offset:1440
	v_add_f64 v[42:43], v[42:43], v[46:47]
	v_fma_f64 v[46:47], v[148:149], v[40:41], -v[20:21]
	buffer_load_dword v237, off, s[0:3], 0 offset:636
	buffer_load_dword v236, off, s[0:3], 0 offset:632
	v_fma_f64 v[20:21], v[152:153], v[18:19], -v[16:17]
	s_waitcnt lgkmcnt(0)
	v_mul_f64 v[40:41], v[134:135], v[130:131]
	v_fmac_f64_e32 v[40:41], v[136:137], v[128:129]
	ds_read_b128 v[128:131], v250 offset:1456
	v_accvgpr_write_b32 a189, v137
	v_add_f64 v[40:41], v[42:43], v[40:41]
	v_accvgpr_write_b32 a188, v136
	v_accvgpr_write_b32 a187, v135
	s_waitcnt lgkmcnt(0)
	v_mul_f64 v[18:19], v[128:129], v[230:231]
	v_fmac_f64_e32 v[18:19], v[130:131], v[244:245]
	v_accvgpr_write_b32 a195, v131
	v_accvgpr_write_b32 a186, v134
	;; [unrolled: 1-line block ×5, first 2 shown]
	ds_read_b128 v[128:131], v250 offset:1472
	v_add_f64 v[18:19], v[40:41], v[18:19]
	v_fma_f64 v[134:135], v[156:157], v[38:39], -v[26:27]
	ds_read_b128 v[38:41], v250 offset:1488
	buffer_load_dword v249, off, s[0:3], 0 offset:628
	buffer_load_dword v248, off, s[0:3], 0 offset:624
	s_waitcnt lgkmcnt(1)
	v_mul_f64 v[26:27], v[128:129], v[122:123]
	v_accvgpr_write_b32 a205, v131
	v_fmac_f64_e32 v[26:27], v[130:131], v[126:127]
	s_waitcnt lgkmcnt(0)
	v_pk_mov_b32 v[42:43], v[40:41], v[40:41] op_sel:[0,1]
	v_accvgpr_write_b32 a204, v130
	v_accvgpr_write_b32 a203, v129
	;; [unrolled: 1-line block ×3, first 2 shown]
	v_pk_mov_b32 v[40:41], v[38:39], v[38:39] op_sel:[0,1]
	ds_read_b128 v[128:131], v250 offset:1504
	v_mul_f64 v[38:39], v[40:41], v[124:125]
	v_accvgpr_write_b32 a214, v242
	v_accvgpr_write_b32 a199, v245
	v_fmac_f64_e32 v[38:39], v[42:43], v[242:243]
	v_accvgpr_write_b32 a215, v243
	ds_read_b128 v[242:245], v250 offset:1520
	v_add_f64 v[18:19], v[18:19], v[26:27]
	s_waitcnt lgkmcnt(1)
	v_mul_f64 v[36:37], v[128:129], v[252:253]
	v_accvgpr_write_b32 a211, v125
	v_add_f64 v[18:19], v[18:19], v[38:39]
	v_fmac_f64_e32 v[36:37], v[130:131], v[220:221]
	v_accvgpr_write_b32 a220, v224
	v_accvgpr_write_b32 a210, v124
	ds_read_b128 v[124:127], v250 offset:1536
	v_add_f64 v[18:19], v[18:19], v[36:37]
	s_waitcnt lgkmcnt(1)
	v_mul_f64 v[36:37], v[242:243], v[224:225]
	v_accvgpr_write_b32 a221, v225
	buffer_load_dword v222, off, s[0:3], 0 offset:648
	buffer_load_dword v224, off, s[0:3], 0 offset:640
	;; [unrolled: 1-line block ×4, first 2 shown]
	v_accvgpr_write_b32 a200, v122
	ds_read_b128 v[120:123], v250 offset:1552
	buffer_load_dword v137, off, s[0:3], 0 offset:668
	buffer_load_dword v136, off, s[0:3], 0 offset:664
	;; [unrolled: 1-line block ×12, first 2 shown]
	v_fmac_f64_e32 v[36:37], v[244:245], v[114:115]
	s_waitcnt vmcnt(21) lgkmcnt(1)
	v_mul_f64 v[38:39], v[124:125], v[6:7]
	v_accvgpr_write_b32 a209, v43
	v_add_f64 v[36:37], v[18:19], v[36:37]
	s_waitcnt vmcnt(20)
	v_fmac_f64_e32 v[38:39], v[126:127], v[112:113]
	v_accvgpr_write_b32 a208, v42
	v_accvgpr_write_b32 a207, v41
	;; [unrolled: 1-line block ×3, first 2 shown]
	v_add_f64 v[40:41], v[36:37], v[38:39]
	v_mul_f64 v[36:37], v[166:167], v[94:95]
	v_fma_f64 v[16:17], v[164:165], v[240:241], -v[36:37]
	buffer_load_dword v240, off, s[0:3], 0 offset:712
	buffer_load_dword v152, off, s[0:3], 0 offset:704
	;; [unrolled: 1-line block ×4, first 2 shown]
	v_accvgpr_write_b32 a218, v220
	v_accvgpr_write_b32 a219, v221
	buffer_load_dword v30, off, s[0:3], 0 offset:744
	buffer_load_dword v29, off, s[0:3], 0 offset:732
	;; [unrolled: 1-line block ×12, first 2 shown]
	v_mul_f64 v[18:19], v[70:71], v[44:45]
	v_mul_f64 v[26:27], v[170:171], v[76:77]
	;; [unrolled: 1-line block ×3, first 2 shown]
	v_fma_f64 v[150:151], v[68:69], v[48:49], -v[18:19]
	v_fma_f64 v[26:27], v[168:169], v[88:89], -v[26:27]
	;; [unrolled: 1-line block ×3, first 2 shown]
	v_mul_f64 v[36:37], v[178:179], v[104:105]
	buffer_load_dword v19, off, s[0:3], 0 offset:780
	buffer_load_dword v18, off, s[0:3], 0 offset:776
	;; [unrolled: 1-line block ×8, first 2 shown]
	v_fma_f64 v[154:155], v[176:177], v[108:109], -v[36:37]
	buffer_load_dword v176, off, s[0:3], 0 offset:808
	buffer_load_dword v178, off, s[0:3], 0 offset:800
	;; [unrolled: 1-line block ×4, first 2 shown]
	v_mul_f64 v[36:37], v[182:183], v[14:15]
	v_fma_f64 v[216:217], v[180:181], v[216:217], -v[36:37]
	v_mul_f64 v[36:37], v[186:187], v[98:99]
	v_fma_f64 v[166:167], v[184:185], v[102:103], -v[36:37]
	buffer_load_dword v174, off, s[0:3], 0 offset:840
	buffer_load_dword v183, off, s[0:3], 0 offset:828
	;; [unrolled: 1-line block ×8, first 2 shown]
	v_mul_f64 v[36:37], v[190:191], v[106:107]
	v_fma_f64 v[76:77], v[188:189], v[24:25], -v[36:37]
	v_mul_f64 v[36:37], v[194:195], v[90:91]
	v_fma_f64 v[88:89], v[192:193], v[92:93], -v[36:37]
	;; [unrolled: 2-line block ×3, first 2 shown]
	ds_read_b128 v[36:39], v250 offset:1568
	buffer_load_dword v187, off, s[0:3], 0 offset:860
	buffer_load_dword v186, off, s[0:3], 0 offset:856
	;; [unrolled: 1-line block ×4, first 2 shown]
	s_waitcnt vmcnt(58) lgkmcnt(1)
	v_mul_f64 v[42:43], v[120:121], v[236:237]
	ds_read_b128 v[156:159], v250 offset:1600
	v_mul_f64 v[48:49], v[210:211], v[50:51]
	v_fma_f64 v[210:211], v[208:209], v[52:53], -v[48:49]
	ds_read_b128 v[48:51], v250 offset:1616
	v_mul_f64 v[56:57], v[214:215], v[56:57]
	v_fma_f64 v[24:25], v[212:213], v[58:59], -v[56:57]
	ds_read_b128 v[56:59], v250 offset:1648
	v_mul_f64 v[44:45], v[206:207], v[66:67]
	s_waitcnt vmcnt(56)
	v_fmac_f64_e32 v[42:43], v[122:123], v[248:249]
	v_add_f64 v[40:41], v[40:41], v[42:43]
	v_mul_f64 v[42:43], v[202:203], v[54:55]
	v_fma_f64 v[190:191], v[200:201], v[64:65], -v[42:43]
	v_mul_f64 v[60:61], v[12:13], v[60:61]
	ds_read_b128 v[12:15], v250 offset:1664
	v_fma_f64 v[78:79], v[204:205], v[78:79], -v[44:45]
	v_mul_f64 v[68:69], v[234:235], v[226:227]
	v_fma_f64 v[192:193], v[10:11], v[72:73], -v[60:61]
	v_fma_f64 v[10:11], v[232:233], v[62:63], -v[68:69]
	ds_read_b128 v[68:71], v250 offset:1696
	v_mul_f64 v[72:73], v[118:119], v[84:85]
	v_fma_f64 v[118:119], v[116:117], v[74:75], -v[72:73]
	ds_read_b128 v[72:75], v250 offset:1712
	ds_read_b128 v[232:235], v250 offset:1728
	v_mul_f64 v[2:3], v[2:3], v[80:81]
	v_fma_f64 v[60:61], v[0:1], v[82:83], -v[2:3]
	ds_read_b128 v[80:83], v250 offset:1744
	v_mul_f64 v[0:1], v[34:35], v[218:219]
	v_fma_f64 v[116:117], v[32:33], v[86:87], -v[0:1]
	ds_read_b128 v[84:87], v250 offset:1760
	v_accvgpr_write_b32 a217, v253
	v_pk_mov_b32 v[252:253], v[6:7], v[6:7] op_sel:[0,1]
	v_accvgpr_write_b32 a223, v113
	v_accvgpr_write_b32 a222, v112
	;; [unrolled: 1-line block ×3, first 2 shown]
	s_waitcnt vmcnt(53) lgkmcnt(9)
	v_mul_f64 v[42:43], v[36:37], v[222:223]
	s_waitcnt vmcnt(52)
	v_fmac_f64_e32 v[42:43], v[38:39], v[224:225]
	v_add_f64 v[54:55], v[40:41], v[42:43]
	ds_read_b128 v[40:43], v250 offset:1584
	v_accvgpr_write_b32 a224, v114
	s_waitcnt vmcnt(50) lgkmcnt(0)
	v_mul_f64 v[64:65], v[40:41], v[136:137]
	s_waitcnt vmcnt(48)
	v_fmac_f64_e32 v[64:65], v[42:43], v[142:143]
	v_add_f64 v[52:53], v[54:55], v[64:65]
	s_waitcnt vmcnt(46)
	v_mul_f64 v[54:55], v[156:157], v[228:229]
	s_waitcnt vmcnt(44)
	v_fmac_f64_e32 v[54:55], v[158:159], v[146:147]
	v_add_f64 v[52:53], v[52:53], v[54:55]
	s_waitcnt vmcnt(42)
	v_mul_f64 v[54:55], v[48:49], v[144:145]
	s_waitcnt vmcnt(40)
	v_fmac_f64_e32 v[54:55], v[50:51], v[148:149]
	v_add_f64 v[64:65], v[52:53], v[54:55]
	ds_read_b128 v[52:55], v250 offset:1632
	s_waitcnt vmcnt(37) lgkmcnt(0)
	v_mul_f64 v[44:45], v[52:53], v[240:241]
	s_waitcnt vmcnt(36)
	v_fmac_f64_e32 v[44:45], v[54:55], v[152:153]
	v_add_f64 v[44:45], v[64:65], v[44:45]
	s_waitcnt vmcnt(33)
	v_mul_f64 v[64:65], v[56:57], v[28:29]
	s_waitcnt vmcnt(31)
	v_fmac_f64_e32 v[64:65], v[58:59], v[160:161]
	v_add_f64 v[44:45], v[44:45], v[64:65]
	s_waitcnt vmcnt(29)
	v_mul_f64 v[64:65], v[12:13], v[30:31]
	s_waitcnt vmcnt(28)
	v_fmac_f64_e32 v[64:65], v[14:15], v[220:221]
	v_add_f64 v[44:45], v[44:45], v[64:65]
	ds_read_b128 v[64:67], v250 offset:1680
	s_waitcnt vmcnt(13)
	v_mul_f64 v[2:3], v[232:233], v[176:177]
	s_waitcnt vmcnt(12)
	v_fmac_f64_e32 v[2:3], v[234:235], v[178:179]
	s_waitcnt vmcnt(9)
	v_mul_f64 v[4:5], v[80:81], v[182:183]
	s_waitcnt vmcnt(7)
	v_fmac_f64_e32 v[4:5], v[82:83], v[184:185]
	s_waitcnt lgkmcnt(0)
	v_mul_f64 v[92:93], v[64:65], v[162:163]
	v_fmac_f64_e32 v[92:93], v[66:67], v[164:165]
	v_add_f64 v[44:45], v[44:45], v[92:93]
	v_mul_f64 v[92:93], v[68:69], v[18:19]
	v_fmac_f64_e32 v[92:93], v[70:71], v[170:171]
	v_add_f64 v[44:45], v[44:45], v[92:93]
	;; [unrolled: 3-line block ×3, first 2 shown]
	v_add_f64 v[2:3], v[44:45], v[2:3]
	v_add_f64 v[2:3], v[2:3], v[4:5]
	s_waitcnt vmcnt(5)
	v_mul_f64 v[4:5], v[84:85], v[174:175]
	s_waitcnt vmcnt(4)
	v_fmac_f64_e32 v[4:5], v[86:87], v[180:181]
	v_add_f64 v[6:7], v[2:3], v[4:5]
	ds_read_b128 v[2:5], v250 offset:1776
	s_waitcnt vmcnt(2) lgkmcnt(0)
	v_mul_f64 v[44:45], v[2:3], v[186:187]
	s_waitcnt vmcnt(0)
	v_fmac_f64_e32 v[44:45], v[4:5], v[188:189]
	v_add_f64 v[96:97], v[6:7], v[44:45]
	buffer_load_dword v6, off, s[0:3], 0 offset:872
	buffer_load_dword v7, off, s[0:3], 0 offset:876
	;; [unrolled: 1-line block ×4, first 2 shown]
	ds_read_b128 v[92:95], v250 offset:1792
	buffer_load_dword v195, off, s[0:3], 0 offset:892
	buffer_load_dword v194, off, s[0:3], 0 offset:888
	buffer_load_dword v197, off, s[0:3], 0 offset:884
	buffer_load_dword v196, off, s[0:3], 0 offset:880
	v_mul_f64 v[4:5], v[4:5], v[186:187]
	v_fma_f64 v[2:3], v[2:3], v[188:189], -v[4:5]
	s_waitcnt vmcnt(6) lgkmcnt(0)
	v_mul_f64 v[98:99], v[92:93], v[6:7]
	s_waitcnt vmcnt(4)
	v_fmac_f64_e32 v[98:99], v[94:95], v[44:45]
	v_add_f64 v[100:101], v[96:97], v[98:99]
	ds_read_b128 v[96:99], v250 offset:1808
	buffer_load_dword v198, off, s[0:3], 0 offset:904
	buffer_load_dword v199, off, s[0:3], 0 offset:908
	buffer_load_dword v200, off, s[0:3], 0 offset:896
	buffer_load_dword v201, off, s[0:3], 0 offset:900
	s_waitcnt vmcnt(6) lgkmcnt(0)
	v_mul_f64 v[102:103], v[96:97], v[194:195]
	s_waitcnt vmcnt(4)
	v_fmac_f64_e32 v[102:103], v[98:99], v[196:197]
	v_add_f64 v[104:105], v[100:101], v[102:103]
	ds_read_b128 v[100:103], v250 offset:1824
	buffer_load_dword v203, off, s[0:3], 0 offset:924
	buffer_load_dword v202, off, s[0:3], 0 offset:920
	buffer_load_dword v205, off, s[0:3], 0 offset:916
	buffer_load_dword v204, off, s[0:3], 0 offset:912
	;; [unrolled: 10-line block ×4, first 2 shown]
	s_waitcnt vmcnt(6) lgkmcnt(0)
	v_mul_f64 v[114:115], v[108:109], v[206:207]
	s_waitcnt vmcnt(4)
	v_fmac_f64_e32 v[114:115], v[110:111], v[208:209]
	v_add_f64 v[0:1], v[112:113], v[114:115]
	ds_read_b128 v[112:115], v250 offset:1872
	s_waitcnt vmcnt(2) lgkmcnt(0)
	v_mul_f64 v[230:231], v[112:113], v[212:213]
	s_waitcnt vmcnt(0)
	v_fmac_f64_e32 v[230:231], v[114:115], v[214:215]
	v_add_f64 v[230:231], v[0:1], v[230:231]
	v_accvgpr_read_b32 v0, a226
	v_accvgpr_read_b32 v1, a227
	v_add_f64 v[0:1], v[0:1], 0
	v_add_f64 v[0:1], v[0:1], v[246:247]
	;; [unrolled: 1-line block ×26, first 2 shown]
	buffer_load_dword v10, off, s[0:3], 0 offset:16
	buffer_load_dword v11, off, s[0:3], 0 offset:20
	;; [unrolled: 1-line block ×4, first 2 shown]
	v_accvgpr_read_b32 v20, a176
	v_accvgpr_read_b32 v8, a180
	v_add_f64 v[0:1], v[0:1], v[118:119]
	v_accvgpr_read_b32 v22, a178
	v_accvgpr_read_b32 v23, a179
	;; [unrolled: 1-line block ×4, first 2 shown]
	v_add_f64 v[0:1], v[0:1], v[60:61]
	v_accvgpr_read_b32 v21, a177
	v_mul_f64 v[8:9], v[22:23], v[8:9]
	v_accvgpr_read_b32 v17, a183
	v_add_f64 v[0:1], v[0:1], v[116:117]
	v_fma_f64 v[8:9], v[20:21], v[16:17], -v[8:9]
	v_add_f64 v[0:1], v[0:1], v[8:9]
	v_accvgpr_read_b32 v8, a184
	v_accvgpr_read_b32 v20, a186
	v_accvgpr_read_b32 v9, a185
	v_accvgpr_read_b32 v22, a188
	v_accvgpr_read_b32 v23, a189
	v_accvgpr_read_b32 v16, a190
	v_accvgpr_read_b32 v21, a187
	v_mul_f64 v[8:9], v[22:23], v[8:9]
	v_accvgpr_read_b32 v17, a191
	v_fma_f64 v[8:9], v[20:21], v[16:17], -v[8:9]
	v_add_f64 v[0:1], v[0:1], v[8:9]
	v_accvgpr_read_b32 v20, a192
	v_accvgpr_read_b32 v8, a196
	v_accvgpr_read_b32 v22, a194
	v_accvgpr_read_b32 v23, a195
	v_accvgpr_read_b32 v9, a197
	v_accvgpr_read_b32 v16, a198
	v_accvgpr_read_b32 v21, a193
	v_mul_f64 v[8:9], v[22:23], v[8:9]
	v_accvgpr_read_b32 v17, a199
	v_fma_f64 v[8:9], v[20:21], v[16:17], -v[8:9]
	v_add_f64 v[0:1], v[0:1], v[8:9]
	v_accvgpr_read_b32 v8, a200
	v_accvgpr_read_b32 v20, a202
	v_accvgpr_read_b32 v9, a201
	v_accvgpr_read_b32 v22, a204
	v_accvgpr_read_b32 v23, a205
	v_accvgpr_read_b32 v16, a212
	v_accvgpr_read_b32 v21, a203
	v_mul_f64 v[8:9], v[22:23], v[8:9]
	v_accvgpr_read_b32 v17, a213
	v_fma_f64 v[8:9], v[20:21], v[16:17], -v[8:9]
	v_add_f64 v[0:1], v[0:1], v[8:9]
	v_accvgpr_read_b32 v20, a206
	v_accvgpr_read_b32 v8, a210
	v_accvgpr_read_b32 v22, a208
	v_accvgpr_read_b32 v23, a209
	v_accvgpr_read_b32 v9, a211
	v_accvgpr_read_b32 v16, a214
	v_accvgpr_read_b32 v21, a207
	v_mul_f64 v[8:9], v[22:23], v[8:9]
	v_accvgpr_read_b32 v17, a215
	v_fma_f64 v[8:9], v[20:21], v[16:17], -v[8:9]
	v_add_f64 v[0:1], v[0:1], v[8:9]
	v_accvgpr_read_b32 v8, a216
	v_accvgpr_read_b32 v9, a217
	;; [unrolled: 1-line block ×3, first 2 shown]
	v_mul_f64 v[8:9], v[130:131], v[8:9]
	v_accvgpr_read_b32 v17, a219
	v_fma_f64 v[8:9], v[128:129], v[16:17], -v[8:9]
	v_add_f64 v[0:1], v[0:1], v[8:9]
	v_accvgpr_read_b32 v8, a220
	v_accvgpr_read_b32 v9, a221
	;; [unrolled: 1-line block ×3, first 2 shown]
	v_mul_f64 v[8:9], v[244:245], v[8:9]
	v_accvgpr_read_b32 v17, a225
	v_fma_f64 v[8:9], v[242:243], v[16:17], -v[8:9]
	v_accvgpr_read_b32 v16, a222
	v_add_f64 v[0:1], v[0:1], v[8:9]
	v_mul_f64 v[8:9], v[126:127], v[252:253]
	v_accvgpr_read_b32 v17, a223
	v_fma_f64 v[8:9], v[124:125], v[16:17], -v[8:9]
	v_add_f64 v[0:1], v[0:1], v[8:9]
	v_mul_f64 v[8:9], v[122:123], v[236:237]
	v_fma_f64 v[8:9], v[120:121], v[248:249], -v[8:9]
	v_add_f64 v[0:1], v[0:1], v[8:9]
	v_mul_f64 v[8:9], v[38:39], v[222:223]
	;; [unrolled: 3-line block ×14, first 2 shown]
	v_fma_f64 v[8:9], v[84:85], v[180:181], -v[8:9]
	v_add_f64 v[0:1], v[0:1], v[8:9]
	v_add_f64 v[0:1], v[0:1], v[2:3]
	v_mul_f64 v[2:3], v[94:95], v[6:7]
	v_fma_f64 v[2:3], v[92:93], v[44:45], -v[2:3]
	v_add_f64 v[0:1], v[0:1], v[2:3]
	v_mul_f64 v[2:3], v[98:99], v[194:195]
	v_fma_f64 v[2:3], v[96:97], v[196:197], -v[2:3]
	;; [unrolled: 3-line block ×6, first 2 shown]
	v_add_f64 v[0:1], v[0:1], v[2:3]
	s_waitcnt vmcnt(2)
	v_add_f64 v[0:1], v[10:11], -v[0:1]
	s_waitcnt vmcnt(0)
	v_add_f64 v[2:3], v[218:219], -v[230:231]
	buffer_store_dword v1, off, s[0:3], 0 offset:20
	buffer_store_dword v0, off, s[0:3], 0 offset:16
	;; [unrolled: 1-line block ×4, first 2 shown]
	s_cbranch_vccz .LBB122_485
; %bb.368:
	v_pk_mov_b32 v[0:1], s[10:11], s[10:11] op_sel:[0,1]
	flat_load_dword v0, v[0:1] offset:228
	s_waitcnt vmcnt(0) lgkmcnt(0)
	v_add_u32_e32 v0, -1, v0
	v_cmp_ne_u32_e32 vcc, 57, v0
	s_and_saveexec_b64 s[4:5], vcc
	s_cbranch_execz .LBB122_370
; %bb.369:
	v_mov_b32_e32 v1, 16
	v_accvgpr_read_b32 v9, a119
	v_lshl_add_u32 v0, v0, 4, v1
	buffer_load_dword v1, v9, s[0:3], 0 offen offset:4
	buffer_load_dword v2, v9, s[0:3], 0 offen offset:8
	buffer_load_dword v3, v9, s[0:3], 0 offen offset:12
	buffer_load_dword v4, v0, s[0:3], 0 offen
	buffer_load_dword v5, v0, s[0:3], 0 offen offset:4
	buffer_load_dword v6, v0, s[0:3], 0 offen offset:8
	buffer_load_dword v7, v0, s[0:3], 0 offen offset:12
	buffer_load_dword v8, v9, s[0:3], 0 offen
	s_waitcnt vmcnt(4)
	buffer_store_dword v4, v9, s[0:3], 0 offen
	s_waitcnt vmcnt(4)
	buffer_store_dword v5, v9, s[0:3], 0 offen offset:4
	s_waitcnt vmcnt(4)
	buffer_store_dword v6, v9, s[0:3], 0 offen offset:8
	s_waitcnt vmcnt(4)
	buffer_store_dword v7, v9, s[0:3], 0 offen offset:12
	buffer_store_dword v3, v0, s[0:3], 0 offen offset:12
	buffer_store_dword v2, v0, s[0:3], 0 offen offset:8
	buffer_store_dword v1, v0, s[0:3], 0 offen offset:4
	s_waitcnt vmcnt(7)
	buffer_store_dword v8, v0, s[0:3], 0 offen
.LBB122_370:
	s_or_b64 exec, exec, s[4:5]
	v_pk_mov_b32 v[0:1], s[10:11], s[10:11] op_sel:[0,1]
	flat_load_dword v0, v[0:1] offset:224
	s_waitcnt vmcnt(0) lgkmcnt(0)
	v_add_u32_e32 v0, -1, v0
	v_cmp_ne_u32_e32 vcc, 56, v0
	s_and_saveexec_b64 s[4:5], vcc
	s_cbranch_execz .LBB122_372
; %bb.371:
	v_mov_b32_e32 v1, 16
	v_accvgpr_read_b32 v9, a120
	v_lshl_add_u32 v0, v0, 4, v1
	buffer_load_dword v1, v9, s[0:3], 0 offen offset:4
	buffer_load_dword v2, v9, s[0:3], 0 offen offset:8
	buffer_load_dword v3, v9, s[0:3], 0 offen offset:12
	buffer_load_dword v4, v0, s[0:3], 0 offen
	buffer_load_dword v5, v0, s[0:3], 0 offen offset:4
	buffer_load_dword v6, v0, s[0:3], 0 offen offset:8
	buffer_load_dword v7, v0, s[0:3], 0 offen offset:12
	buffer_load_dword v8, v9, s[0:3], 0 offen
	s_waitcnt vmcnt(4)
	buffer_store_dword v4, v9, s[0:3], 0 offen
	s_waitcnt vmcnt(4)
	buffer_store_dword v5, v9, s[0:3], 0 offen offset:4
	s_waitcnt vmcnt(4)
	buffer_store_dword v6, v9, s[0:3], 0 offen offset:8
	s_waitcnt vmcnt(4)
	buffer_store_dword v7, v9, s[0:3], 0 offen offset:12
	buffer_store_dword v3, v0, s[0:3], 0 offen offset:12
	buffer_store_dword v2, v0, s[0:3], 0 offen offset:8
	buffer_store_dword v1, v0, s[0:3], 0 offen offset:4
	s_waitcnt vmcnt(7)
	buffer_store_dword v8, v0, s[0:3], 0 offen
.LBB122_372:
	s_or_b64 exec, exec, s[4:5]
	;; [unrolled: 34-line block ×57, first 2 shown]
	v_pk_mov_b32 v[0:1], s[10:11], s[10:11] op_sel:[0,1]
	flat_load_dword v0, v[0:1]
	s_waitcnt vmcnt(0) lgkmcnt(0)
	v_add_u32_e32 v0, -1, v0
	v_cmp_ne_u32_e32 vcc, 0, v0
	s_and_saveexec_b64 s[4:5], vcc
	s_cbranch_execz .LBB122_484
; %bb.483:
	v_mov_b32_e32 v1, 16
	v_lshl_add_u32 v0, v0, 4, v1
	buffer_load_dword v1, v0, s[0:3], 0 offen
	buffer_load_dword v2, v0, s[0:3], 0 offen offset:4
	buffer_load_dword v3, v0, s[0:3], 0 offen offset:8
	;; [unrolled: 1-line block ×3, first 2 shown]
	buffer_load_dword v5, off, s[0:3], 0 offset:28
	buffer_load_dword v6, off, s[0:3], 0 offset:24
	;; [unrolled: 1-line block ×4, first 2 shown]
	s_waitcnt vmcnt(7)
	buffer_store_dword v1, off, s[0:3], 0 offset:16
	s_waitcnt vmcnt(7)
	buffer_store_dword v2, off, s[0:3], 0 offset:20
	;; [unrolled: 2-line block ×4, first 2 shown]
	s_waitcnt vmcnt(7)
	buffer_store_dword v5, v0, s[0:3], 0 offen offset:12
	s_waitcnt vmcnt(7)
	buffer_store_dword v6, v0, s[0:3], 0 offen offset:8
	;; [unrolled: 2-line block ×3, first 2 shown]
	s_waitcnt vmcnt(7)
	buffer_store_dword v8, v0, s[0:3], 0 offen
.LBB122_484:
	s_or_b64 exec, exec, s[4:5]
.LBB122_485:
	buffer_load_dword v0, off, s[0:3], 0 offset:16
	buffer_load_dword v1, off, s[0:3], 0 offset:20
	;; [unrolled: 1-line block ×4, first 2 shown]
	v_accvgpr_read_b32 v5, a1
	v_accvgpr_read_b32 v4, a0
	s_waitcnt vmcnt(0)
	global_store_dwordx4 v[4:5], v[0:3], off
	s_nop 0
	v_accvgpr_read_b32 v3, a175
	buffer_load_dword v0, v3, s[0:3], 0 offen
	buffer_load_dword v1, v3, s[0:3], 0 offen offset:4
	buffer_load_dword v2, v3, s[0:3], 0 offen offset:8
	s_nop 0
	buffer_load_dword v3, v3, s[0:3], 0 offen offset:12
	v_accvgpr_read_b32 v5, a3
	v_accvgpr_read_b32 v4, a2
	s_waitcnt vmcnt(0)
	global_store_dwordx4 v[4:5], v[0:3], off
	s_nop 0
	v_accvgpr_read_b32 v3, a174
	buffer_load_dword v0, v3, s[0:3], 0 offen
	buffer_load_dword v1, v3, s[0:3], 0 offen offset:4
	buffer_load_dword v2, v3, s[0:3], 0 offen offset:8
	s_nop 0
	buffer_load_dword v3, v3, s[0:3], 0 offen offset:12
	;; [unrolled: 11-line block ×17, first 2 shown]
	v_accvgpr_read_b32 v4, a34
	v_accvgpr_read_b32 v5, a35
	s_waitcnt vmcnt(0)
	global_store_dwordx4 v[4:5], v[0:3], off
	v_accvgpr_read_b32 v4, a158
	buffer_load_dword v0, v4, s[0:3], 0 offen
	buffer_load_dword v1, v4, s[0:3], 0 offen offset:4
	buffer_load_dword v2, v4, s[0:3], 0 offen offset:8
	buffer_load_dword v3, v4, s[0:3], 0 offen offset:12
	v_accvgpr_read_b32 v4, a36
	v_accvgpr_read_b32 v5, a37
	s_waitcnt vmcnt(0)
	global_store_dwordx4 v[4:5], v[0:3], off
	v_accvgpr_read_b32 v4, a157
	buffer_load_dword v0, v4, s[0:3], 0 offen
	buffer_load_dword v1, v4, s[0:3], 0 offen offset:4
	buffer_load_dword v2, v4, s[0:3], 0 offen offset:8
	buffer_load_dword v3, v4, s[0:3], 0 offen offset:12
	v_accvgpr_read_b32 v4, a38
	v_accvgpr_read_b32 v5, a39
	s_waitcnt vmcnt(0)
	global_store_dwordx4 v[4:5], v[0:3], off
	v_accvgpr_read_b32 v4, a156
	buffer_load_dword v0, v4, s[0:3], 0 offen
	buffer_load_dword v1, v4, s[0:3], 0 offen offset:4
	buffer_load_dword v2, v4, s[0:3], 0 offen offset:8
	buffer_load_dword v3, v4, s[0:3], 0 offen offset:12
	v_accvgpr_read_b32 v4, a40
	v_accvgpr_read_b32 v5, a41
	s_waitcnt vmcnt(0)
	global_store_dwordx4 v[4:5], v[0:3], off
	v_accvgpr_read_b32 v4, a155
	buffer_load_dword v0, v4, s[0:3], 0 offen
	buffer_load_dword v1, v4, s[0:3], 0 offen offset:4
	buffer_load_dword v2, v4, s[0:3], 0 offen offset:8
	buffer_load_dword v3, v4, s[0:3], 0 offen offset:12
	v_accvgpr_read_b32 v4, a42
	v_accvgpr_read_b32 v5, a43
	s_waitcnt vmcnt(0)
	global_store_dwordx4 v[4:5], v[0:3], off
	v_accvgpr_read_b32 v4, a154
	buffer_load_dword v0, v4, s[0:3], 0 offen
	buffer_load_dword v1, v4, s[0:3], 0 offen offset:4
	buffer_load_dword v2, v4, s[0:3], 0 offen offset:8
	buffer_load_dword v3, v4, s[0:3], 0 offen offset:12
	v_accvgpr_read_b32 v4, a44
	v_accvgpr_read_b32 v5, a45
	s_waitcnt vmcnt(0)
	global_store_dwordx4 v[4:5], v[0:3], off
	v_accvgpr_read_b32 v4, a153
	buffer_load_dword v0, v4, s[0:3], 0 offen
	buffer_load_dword v1, v4, s[0:3], 0 offen offset:4
	buffer_load_dword v2, v4, s[0:3], 0 offen offset:8
	buffer_load_dword v3, v4, s[0:3], 0 offen offset:12
	v_accvgpr_read_b32 v4, a46
	v_accvgpr_read_b32 v5, a47
	s_waitcnt vmcnt(0)
	global_store_dwordx4 v[4:5], v[0:3], off
	v_accvgpr_read_b32 v4, a152
	buffer_load_dword v0, v4, s[0:3], 0 offen
	buffer_load_dword v1, v4, s[0:3], 0 offen offset:4
	buffer_load_dword v2, v4, s[0:3], 0 offen offset:8
	buffer_load_dword v3, v4, s[0:3], 0 offen offset:12
	v_accvgpr_read_b32 v4, a48
	v_accvgpr_read_b32 v5, a49
	s_waitcnt vmcnt(0)
	global_store_dwordx4 v[4:5], v[0:3], off
	v_accvgpr_read_b32 v4, a151
	buffer_load_dword v0, v4, s[0:3], 0 offen
	buffer_load_dword v1, v4, s[0:3], 0 offen offset:4
	buffer_load_dword v2, v4, s[0:3], 0 offen offset:8
	buffer_load_dword v3, v4, s[0:3], 0 offen offset:12
	v_accvgpr_read_b32 v4, a50
	v_accvgpr_read_b32 v5, a51
	s_waitcnt vmcnt(0)
	global_store_dwordx4 v[4:5], v[0:3], off
	v_accvgpr_read_b32 v4, a150
	buffer_load_dword v0, v4, s[0:3], 0 offen
	buffer_load_dword v1, v4, s[0:3], 0 offen offset:4
	buffer_load_dword v2, v4, s[0:3], 0 offen offset:8
	buffer_load_dword v3, v4, s[0:3], 0 offen offset:12
	v_accvgpr_read_b32 v4, a52
	v_accvgpr_read_b32 v5, a53
	s_waitcnt vmcnt(0)
	global_store_dwordx4 v[4:5], v[0:3], off
	v_accvgpr_read_b32 v4, a149
	buffer_load_dword v0, v4, s[0:3], 0 offen
	buffer_load_dword v1, v4, s[0:3], 0 offen offset:4
	buffer_load_dword v2, v4, s[0:3], 0 offen offset:8
	buffer_load_dword v3, v4, s[0:3], 0 offen offset:12
	v_accvgpr_read_b32 v4, a54
	v_accvgpr_read_b32 v5, a55
	s_waitcnt vmcnt(0)
	global_store_dwordx4 v[4:5], v[0:3], off
	v_accvgpr_read_b32 v4, a148
	buffer_load_dword v0, v4, s[0:3], 0 offen
	buffer_load_dword v1, v4, s[0:3], 0 offen offset:4
	buffer_load_dword v2, v4, s[0:3], 0 offen offset:8
	buffer_load_dword v3, v4, s[0:3], 0 offen offset:12
	v_accvgpr_read_b32 v4, a56
	v_accvgpr_read_b32 v5, a57
	s_waitcnt vmcnt(0)
	global_store_dwordx4 v[4:5], v[0:3], off
	v_accvgpr_read_b32 v4, a147
	buffer_load_dword v0, v4, s[0:3], 0 offen
	buffer_load_dword v1, v4, s[0:3], 0 offen offset:4
	buffer_load_dword v2, v4, s[0:3], 0 offen offset:8
	buffer_load_dword v3, v4, s[0:3], 0 offen offset:12
	v_accvgpr_read_b32 v4, a58
	v_accvgpr_read_b32 v5, a59
	s_waitcnt vmcnt(0)
	global_store_dwordx4 v[4:5], v[0:3], off
	v_accvgpr_read_b32 v4, a146
	buffer_load_dword v0, v4, s[0:3], 0 offen
	buffer_load_dword v1, v4, s[0:3], 0 offen offset:4
	buffer_load_dword v2, v4, s[0:3], 0 offen offset:8
	buffer_load_dword v3, v4, s[0:3], 0 offen offset:12
	v_accvgpr_read_b32 v4, a60
	v_accvgpr_read_b32 v5, a61
	s_waitcnt vmcnt(0)
	global_store_dwordx4 v[4:5], v[0:3], off
	v_accvgpr_read_b32 v4, a145
	buffer_load_dword v0, v4, s[0:3], 0 offen
	buffer_load_dword v1, v4, s[0:3], 0 offen offset:4
	buffer_load_dword v2, v4, s[0:3], 0 offen offset:8
	buffer_load_dword v3, v4, s[0:3], 0 offen offset:12
	v_accvgpr_read_b32 v4, a62
	v_accvgpr_read_b32 v5, a63
	s_waitcnt vmcnt(0)
	global_store_dwordx4 v[4:5], v[0:3], off
	v_accvgpr_read_b32 v4, a144
	buffer_load_dword v0, v4, s[0:3], 0 offen
	buffer_load_dword v1, v4, s[0:3], 0 offen offset:4
	buffer_load_dword v2, v4, s[0:3], 0 offen offset:8
	buffer_load_dword v3, v4, s[0:3], 0 offen offset:12
	v_accvgpr_read_b32 v4, a64
	v_accvgpr_read_b32 v5, a65
	s_waitcnt vmcnt(0)
	global_store_dwordx4 v[4:5], v[0:3], off
	v_accvgpr_read_b32 v4, a143
	buffer_load_dword v0, v4, s[0:3], 0 offen
	buffer_load_dword v1, v4, s[0:3], 0 offen offset:4
	buffer_load_dword v2, v4, s[0:3], 0 offen offset:8
	buffer_load_dword v3, v4, s[0:3], 0 offen offset:12
	v_accvgpr_read_b32 v4, a66
	v_accvgpr_read_b32 v5, a67
	s_waitcnt vmcnt(0)
	global_store_dwordx4 v[4:5], v[0:3], off
	v_accvgpr_read_b32 v4, a142
	buffer_load_dword v0, v4, s[0:3], 0 offen
	buffer_load_dword v1, v4, s[0:3], 0 offen offset:4
	buffer_load_dword v2, v4, s[0:3], 0 offen offset:8
	buffer_load_dword v3, v4, s[0:3], 0 offen offset:12
	v_accvgpr_read_b32 v4, a68
	v_accvgpr_read_b32 v5, a69
	s_waitcnt vmcnt(0)
	global_store_dwordx4 v[4:5], v[0:3], off
	v_accvgpr_read_b32 v4, a141
	buffer_load_dword v0, v4, s[0:3], 0 offen
	buffer_load_dword v1, v4, s[0:3], 0 offen offset:4
	buffer_load_dword v2, v4, s[0:3], 0 offen offset:8
	buffer_load_dword v3, v4, s[0:3], 0 offen offset:12
	v_accvgpr_read_b32 v4, a70
	v_accvgpr_read_b32 v5, a71
	s_waitcnt vmcnt(0)
	global_store_dwordx4 v[4:5], v[0:3], off
	v_accvgpr_read_b32 v4, a140
	buffer_load_dword v0, v4, s[0:3], 0 offen
	buffer_load_dword v1, v4, s[0:3], 0 offen offset:4
	buffer_load_dword v2, v4, s[0:3], 0 offen offset:8
	buffer_load_dword v3, v4, s[0:3], 0 offen offset:12
	v_accvgpr_read_b32 v4, a72
	v_accvgpr_read_b32 v5, a73
	s_waitcnt vmcnt(0)
	global_store_dwordx4 v[4:5], v[0:3], off
	v_accvgpr_read_b32 v4, a139
	buffer_load_dword v0, v4, s[0:3], 0 offen
	buffer_load_dword v1, v4, s[0:3], 0 offen offset:4
	buffer_load_dword v2, v4, s[0:3], 0 offen offset:8
	buffer_load_dword v3, v4, s[0:3], 0 offen offset:12
	v_accvgpr_read_b32 v4, a74
	v_accvgpr_read_b32 v5, a75
	s_waitcnt vmcnt(0)
	global_store_dwordx4 v[4:5], v[0:3], off
	v_accvgpr_read_b32 v4, a138
	buffer_load_dword v0, v4, s[0:3], 0 offen
	buffer_load_dword v1, v4, s[0:3], 0 offen offset:4
	buffer_load_dword v2, v4, s[0:3], 0 offen offset:8
	buffer_load_dword v3, v4, s[0:3], 0 offen offset:12
	v_accvgpr_read_b32 v4, a76
	v_accvgpr_read_b32 v5, a77
	s_waitcnt vmcnt(0)
	global_store_dwordx4 v[4:5], v[0:3], off
	v_accvgpr_read_b32 v4, a137
	buffer_load_dword v0, v4, s[0:3], 0 offen
	buffer_load_dword v1, v4, s[0:3], 0 offen offset:4
	buffer_load_dword v2, v4, s[0:3], 0 offen offset:8
	buffer_load_dword v3, v4, s[0:3], 0 offen offset:12
	v_accvgpr_read_b32 v4, a80
	v_accvgpr_read_b32 v5, a81
	s_waitcnt vmcnt(0)
	global_store_dwordx4 v[4:5], v[0:3], off
	v_accvgpr_read_b32 v4, a136
	buffer_load_dword v0, v4, s[0:3], 0 offen
	buffer_load_dword v1, v4, s[0:3], 0 offen offset:4
	buffer_load_dword v2, v4, s[0:3], 0 offen offset:8
	buffer_load_dword v3, v4, s[0:3], 0 offen offset:12
	v_accvgpr_read_b32 v4, a82
	v_accvgpr_read_b32 v5, a83
	s_waitcnt vmcnt(0)
	global_store_dwordx4 v[4:5], v[0:3], off
	v_accvgpr_read_b32 v4, a135
	buffer_load_dword v0, v4, s[0:3], 0 offen
	buffer_load_dword v1, v4, s[0:3], 0 offen offset:4
	buffer_load_dword v2, v4, s[0:3], 0 offen offset:8
	buffer_load_dword v3, v4, s[0:3], 0 offen offset:12
	v_accvgpr_read_b32 v4, a84
	v_accvgpr_read_b32 v5, a85
	s_waitcnt vmcnt(0)
	global_store_dwordx4 v[4:5], v[0:3], off
	v_accvgpr_read_b32 v4, a134
	buffer_load_dword v0, v4, s[0:3], 0 offen
	buffer_load_dword v1, v4, s[0:3], 0 offen offset:4
	buffer_load_dword v2, v4, s[0:3], 0 offen offset:8
	buffer_load_dword v3, v4, s[0:3], 0 offen offset:12
	v_accvgpr_read_b32 v4, a86
	v_accvgpr_read_b32 v5, a87
	s_waitcnt vmcnt(0)
	global_store_dwordx4 v[4:5], v[0:3], off
	v_accvgpr_read_b32 v4, a133
	buffer_load_dword v0, v4, s[0:3], 0 offen
	buffer_load_dword v1, v4, s[0:3], 0 offen offset:4
	buffer_load_dword v2, v4, s[0:3], 0 offen offset:8
	buffer_load_dword v3, v4, s[0:3], 0 offen offset:12
	v_accvgpr_read_b32 v4, a88
	v_accvgpr_read_b32 v5, a89
	s_waitcnt vmcnt(0)
	global_store_dwordx4 v[4:5], v[0:3], off
	v_accvgpr_read_b32 v4, a132
	buffer_load_dword v0, v4, s[0:3], 0 offen
	buffer_load_dword v1, v4, s[0:3], 0 offen offset:4
	buffer_load_dword v2, v4, s[0:3], 0 offen offset:8
	buffer_load_dword v3, v4, s[0:3], 0 offen offset:12
	v_accvgpr_read_b32 v4, a90
	v_accvgpr_read_b32 v5, a91
	s_waitcnt vmcnt(0)
	global_store_dwordx4 v[4:5], v[0:3], off
	v_accvgpr_read_b32 v4, a131
	buffer_load_dword v0, v4, s[0:3], 0 offen
	buffer_load_dword v1, v4, s[0:3], 0 offen offset:4
	buffer_load_dword v2, v4, s[0:3], 0 offen offset:8
	buffer_load_dword v3, v4, s[0:3], 0 offen offset:12
	v_accvgpr_read_b32 v4, a92
	v_accvgpr_read_b32 v5, a93
	s_waitcnt vmcnt(0)
	global_store_dwordx4 v[4:5], v[0:3], off
	v_accvgpr_read_b32 v4, a130
	buffer_load_dword v0, v4, s[0:3], 0 offen
	buffer_load_dword v1, v4, s[0:3], 0 offen offset:4
	buffer_load_dword v2, v4, s[0:3], 0 offen offset:8
	buffer_load_dword v3, v4, s[0:3], 0 offen offset:12
	v_accvgpr_read_b32 v4, a94
	v_accvgpr_read_b32 v5, a95
	s_waitcnt vmcnt(0)
	global_store_dwordx4 v[4:5], v[0:3], off
	v_accvgpr_read_b32 v4, a129
	buffer_load_dword v0, v4, s[0:3], 0 offen
	buffer_load_dword v1, v4, s[0:3], 0 offen offset:4
	buffer_load_dword v2, v4, s[0:3], 0 offen offset:8
	buffer_load_dword v3, v4, s[0:3], 0 offen offset:12
	v_accvgpr_read_b32 v4, a96
	v_accvgpr_read_b32 v5, a97
	s_waitcnt vmcnt(0)
	global_store_dwordx4 v[4:5], v[0:3], off
	v_accvgpr_read_b32 v4, a128
	buffer_load_dword v0, v4, s[0:3], 0 offen
	buffer_load_dword v1, v4, s[0:3], 0 offen offset:4
	buffer_load_dword v2, v4, s[0:3], 0 offen offset:8
	buffer_load_dword v3, v4, s[0:3], 0 offen offset:12
	v_accvgpr_read_b32 v4, a98
	v_accvgpr_read_b32 v5, a99
	s_waitcnt vmcnt(0)
	global_store_dwordx4 v[4:5], v[0:3], off
	v_accvgpr_read_b32 v4, a127
	buffer_load_dword v0, v4, s[0:3], 0 offen
	buffer_load_dword v1, v4, s[0:3], 0 offen offset:4
	buffer_load_dword v2, v4, s[0:3], 0 offen offset:8
	buffer_load_dword v3, v4, s[0:3], 0 offen offset:12
	v_accvgpr_read_b32 v4, a100
	v_accvgpr_read_b32 v5, a101
	s_waitcnt vmcnt(0)
	global_store_dwordx4 v[4:5], v[0:3], off
	v_accvgpr_read_b32 v4, a126
	buffer_load_dword v0, v4, s[0:3], 0 offen
	buffer_load_dword v1, v4, s[0:3], 0 offen offset:4
	buffer_load_dword v2, v4, s[0:3], 0 offen offset:8
	buffer_load_dword v3, v4, s[0:3], 0 offen offset:12
	v_accvgpr_read_b32 v4, a102
	v_accvgpr_read_b32 v5, a103
	s_waitcnt vmcnt(0)
	global_store_dwordx4 v[4:5], v[0:3], off
	v_accvgpr_read_b32 v4, a125
	buffer_load_dword v0, v4, s[0:3], 0 offen
	buffer_load_dword v1, v4, s[0:3], 0 offen offset:4
	buffer_load_dword v2, v4, s[0:3], 0 offen offset:8
	buffer_load_dword v3, v4, s[0:3], 0 offen offset:12
	v_accvgpr_read_b32 v4, a104
	v_accvgpr_read_b32 v5, a105
	s_waitcnt vmcnt(0)
	global_store_dwordx4 v[4:5], v[0:3], off
	v_accvgpr_read_b32 v4, a124
	buffer_load_dword v0, v4, s[0:3], 0 offen
	buffer_load_dword v1, v4, s[0:3], 0 offen offset:4
	buffer_load_dword v2, v4, s[0:3], 0 offen offset:8
	buffer_load_dword v3, v4, s[0:3], 0 offen offset:12
	v_accvgpr_read_b32 v4, a106
	v_accvgpr_read_b32 v5, a107
	s_waitcnt vmcnt(0)
	global_store_dwordx4 v[4:5], v[0:3], off
	v_accvgpr_read_b32 v4, a123
	buffer_load_dword v0, v4, s[0:3], 0 offen
	buffer_load_dword v1, v4, s[0:3], 0 offen offset:4
	buffer_load_dword v2, v4, s[0:3], 0 offen offset:8
	buffer_load_dword v3, v4, s[0:3], 0 offen offset:12
	v_accvgpr_read_b32 v4, a108
	v_accvgpr_read_b32 v5, a109
	s_waitcnt vmcnt(0)
	global_store_dwordx4 v[4:5], v[0:3], off
	v_accvgpr_read_b32 v4, a122
	buffer_load_dword v0, v4, s[0:3], 0 offen
	buffer_load_dword v1, v4, s[0:3], 0 offen offset:4
	buffer_load_dword v2, v4, s[0:3], 0 offen offset:8
	buffer_load_dword v3, v4, s[0:3], 0 offen offset:12
	v_accvgpr_read_b32 v4, a110
	v_accvgpr_read_b32 v5, a111
	s_waitcnt vmcnt(0)
	global_store_dwordx4 v[4:5], v[0:3], off
	v_accvgpr_read_b32 v4, a121
	buffer_load_dword v0, v4, s[0:3], 0 offen
	buffer_load_dword v1, v4, s[0:3], 0 offen offset:4
	buffer_load_dword v2, v4, s[0:3], 0 offen offset:8
	buffer_load_dword v3, v4, s[0:3], 0 offen offset:12
	v_accvgpr_read_b32 v4, a112
	v_accvgpr_read_b32 v5, a113
	s_waitcnt vmcnt(0)
	global_store_dwordx4 v[4:5], v[0:3], off
	v_accvgpr_read_b32 v4, a120
	buffer_load_dword v0, v4, s[0:3], 0 offen
	buffer_load_dword v1, v4, s[0:3], 0 offen offset:4
	buffer_load_dword v2, v4, s[0:3], 0 offen offset:8
	buffer_load_dword v3, v4, s[0:3], 0 offen offset:12
	v_accvgpr_read_b32 v4, a114
	v_accvgpr_read_b32 v5, a115
	s_waitcnt vmcnt(0)
	global_store_dwordx4 v[4:5], v[0:3], off
	v_accvgpr_read_b32 v4, a119
	buffer_load_dword v0, v4, s[0:3], 0 offen
	buffer_load_dword v1, v4, s[0:3], 0 offen offset:4
	buffer_load_dword v2, v4, s[0:3], 0 offen offset:8
	buffer_load_dword v3, v4, s[0:3], 0 offen offset:12
	v_accvgpr_read_b32 v4, a116
	v_accvgpr_read_b32 v5, a117
	s_waitcnt vmcnt(0)
	global_store_dwordx4 v[4:5], v[0:3], off
	v_accvgpr_read_b32 v4, a118
	buffer_load_dword v0, v4, s[0:3], 0 offen
	buffer_load_dword v1, v4, s[0:3], 0 offen offset:4
	buffer_load_dword v2, v4, s[0:3], 0 offen offset:8
	buffer_load_dword v3, v4, s[0:3], 0 offen offset:12
	v_accvgpr_read_b32 v4, a78
	v_accvgpr_read_b32 v5, a79
	s_waitcnt vmcnt(0)
	global_store_dwordx4 v[4:5], v[0:3], off
	s_endpgm
	.section	.rodata,"a",@progbits
	.p2align	6, 0x0
	.amdhsa_kernel _ZN9rocsolver6v33100L18getri_kernel_smallILi59E19rocblas_complex_numIdEPKPS3_EEvT1_iilPiilS8_bb
		.amdhsa_group_segment_fixed_size 1896
		.amdhsa_private_segment_fixed_size 976
		.amdhsa_kernarg_size 60
		.amdhsa_user_sgpr_count 8
		.amdhsa_user_sgpr_private_segment_buffer 1
		.amdhsa_user_sgpr_dispatch_ptr 0
		.amdhsa_user_sgpr_queue_ptr 0
		.amdhsa_user_sgpr_kernarg_segment_ptr 1
		.amdhsa_user_sgpr_dispatch_id 0
		.amdhsa_user_sgpr_flat_scratch_init 1
		.amdhsa_user_sgpr_kernarg_preload_length 0
		.amdhsa_user_sgpr_kernarg_preload_offset 0
		.amdhsa_user_sgpr_private_segment_size 0
		.amdhsa_uses_dynamic_stack 0
		.amdhsa_system_sgpr_private_segment_wavefront_offset 1
		.amdhsa_system_sgpr_workgroup_id_x 1
		.amdhsa_system_sgpr_workgroup_id_y 0
		.amdhsa_system_sgpr_workgroup_id_z 0
		.amdhsa_system_sgpr_workgroup_info 0
		.amdhsa_system_vgpr_workitem_id 0
		.amdhsa_next_free_vgpr 484
		.amdhsa_next_free_sgpr 22
		.amdhsa_accum_offset 256
		.amdhsa_reserve_vcc 1
		.amdhsa_reserve_flat_scratch 1
		.amdhsa_float_round_mode_32 0
		.amdhsa_float_round_mode_16_64 0
		.amdhsa_float_denorm_mode_32 3
		.amdhsa_float_denorm_mode_16_64 3
		.amdhsa_dx10_clamp 1
		.amdhsa_ieee_mode 1
		.amdhsa_fp16_overflow 0
		.amdhsa_tg_split 0
		.amdhsa_exception_fp_ieee_invalid_op 0
		.amdhsa_exception_fp_denorm_src 0
		.amdhsa_exception_fp_ieee_div_zero 0
		.amdhsa_exception_fp_ieee_overflow 0
		.amdhsa_exception_fp_ieee_underflow 0
		.amdhsa_exception_fp_ieee_inexact 0
		.amdhsa_exception_int_div_zero 0
	.end_amdhsa_kernel
	.section	.text._ZN9rocsolver6v33100L18getri_kernel_smallILi59E19rocblas_complex_numIdEPKPS3_EEvT1_iilPiilS8_bb,"axG",@progbits,_ZN9rocsolver6v33100L18getri_kernel_smallILi59E19rocblas_complex_numIdEPKPS3_EEvT1_iilPiilS8_bb,comdat
.Lfunc_end122:
	.size	_ZN9rocsolver6v33100L18getri_kernel_smallILi59E19rocblas_complex_numIdEPKPS3_EEvT1_iilPiilS8_bb, .Lfunc_end122-_ZN9rocsolver6v33100L18getri_kernel_smallILi59E19rocblas_complex_numIdEPKPS3_EEvT1_iilPiilS8_bb
                                        ; -- End function
	.section	.AMDGPU.csdata,"",@progbits
; Kernel info:
; codeLenInByte = 216424
; NumSgprs: 28
; NumVgprs: 256
; NumAgprs: 228
; TotalNumVgprs: 484
; ScratchSize: 976
; MemoryBound: 0
; FloatMode: 240
; IeeeMode: 1
; LDSByteSize: 1896 bytes/workgroup (compile time only)
; SGPRBlocks: 3
; VGPRBlocks: 60
; NumSGPRsForWavesPerEU: 28
; NumVGPRsForWavesPerEU: 484
; AccumOffset: 256
; Occupancy: 1
; WaveLimiterHint : 1
; COMPUTE_PGM_RSRC2:SCRATCH_EN: 1
; COMPUTE_PGM_RSRC2:USER_SGPR: 8
; COMPUTE_PGM_RSRC2:TRAP_HANDLER: 0
; COMPUTE_PGM_RSRC2:TGID_X_EN: 1
; COMPUTE_PGM_RSRC2:TGID_Y_EN: 0
; COMPUTE_PGM_RSRC2:TGID_Z_EN: 0
; COMPUTE_PGM_RSRC2:TIDIG_COMP_CNT: 0
; COMPUTE_PGM_RSRC3_GFX90A:ACCUM_OFFSET: 63
; COMPUTE_PGM_RSRC3_GFX90A:TG_SPLIT: 0
	.section	.text._ZN9rocsolver6v33100L18getri_kernel_smallILi60E19rocblas_complex_numIdEPKPS3_EEvT1_iilPiilS8_bb,"axG",@progbits,_ZN9rocsolver6v33100L18getri_kernel_smallILi60E19rocblas_complex_numIdEPKPS3_EEvT1_iilPiilS8_bb,comdat
	.globl	_ZN9rocsolver6v33100L18getri_kernel_smallILi60E19rocblas_complex_numIdEPKPS3_EEvT1_iilPiilS8_bb ; -- Begin function _ZN9rocsolver6v33100L18getri_kernel_smallILi60E19rocblas_complex_numIdEPKPS3_EEvT1_iilPiilS8_bb
	.p2align	8
	.type	_ZN9rocsolver6v33100L18getri_kernel_smallILi60E19rocblas_complex_numIdEPKPS3_EEvT1_iilPiilS8_bb,@function
_ZN9rocsolver6v33100L18getri_kernel_smallILi60E19rocblas_complex_numIdEPKPS3_EEvT1_iilPiilS8_bb: ; @_ZN9rocsolver6v33100L18getri_kernel_smallILi60E19rocblas_complex_numIdEPKPS3_EEvT1_iilPiilS8_bb
; %bb.0:
	s_add_u32 flat_scratch_lo, s6, s9
	s_addc_u32 flat_scratch_hi, s7, 0
	s_add_u32 s0, s0, s9
	v_mov_b32_e32 v254, v0
	s_addc_u32 s1, s1, 0
	v_cmp_gt_u32_e32 vcc, 60, v254
	s_and_saveexec_b64 s[6:7], vcc
	s_cbranch_execz .LBB123_254
; %bb.1:
	s_load_dword s18, s[4:5], 0x38
	s_load_dwordx2 s[6:7], s[4:5], 0x0
	s_load_dwordx4 s[12:15], s[4:5], 0x28
	s_waitcnt lgkmcnt(0)
	s_bitcmp1_b32 s18, 8
	s_cselect_b64 s[16:17], -1, 0
	s_ashr_i32 s9, s8, 31
	s_lshl_b64 s[10:11], s[8:9], 3
	s_add_u32 s6, s6, s10
	s_addc_u32 s7, s7, s11
	s_load_dwordx2 s[6:7], s[6:7], 0x0
	s_bfe_u32 s10, s18, 0x10008
	s_cmp_eq_u32 s10, 0
                                        ; implicit-def: $sgpr10_sgpr11
	s_cbranch_scc1 .LBB123_3
; %bb.2:
	s_load_dword s10, s[4:5], 0x20
	s_load_dwordx2 s[20:21], s[4:5], 0x18
	s_mul_i32 s11, s8, s13
	s_mul_hi_u32 s13, s8, s12
	s_add_i32 s13, s13, s11
	s_mul_i32 s19, s9, s12
	s_add_i32 s13, s13, s19
	s_mul_i32 s12, s8, s12
	s_waitcnt lgkmcnt(0)
	s_ashr_i32 s11, s10, 31
	s_lshl_b64 s[12:13], s[12:13], 2
	s_add_u32 s12, s20, s12
	s_addc_u32 s13, s21, s13
	s_lshl_b64 s[10:11], s[10:11], 2
	s_add_u32 s10, s12, s10
	s_addc_u32 s11, s13, s11
.LBB123_3:
	s_load_dwordx2 s[4:5], s[4:5], 0x8
	v_lshlrev_b32_e32 v1, 4, v254
	s_waitcnt lgkmcnt(0)
	s_ashr_i32 s13, s4, 31
	s_mov_b32 s12, s4
	s_lshl_b64 s[12:13], s[12:13], 4
	s_add_u32 s6, s6, s12
	s_addc_u32 s7, s7, s13
	s_add_i32 s4, s5, s5
	v_add_u32_e32 v2, s4, v254
	v_add_u32_e32 v4, s5, v2
	;; [unrolled: 1-line block ×53, first 2 shown]
	v_ashrrev_i32_e32 v3, 31, v2
	v_add_u32_e32 v20, s5, v22
	v_lshlrev_b64 v[2:3], 4, v[2:3]
	v_add_u32_e32 v18, s5, v20
	v_mov_b32_e32 v0, s7
	v_add_co_u32_e32 v2, vcc, s6, v2
	v_add_u32_e32 v16, s5, v18
	v_addc_co_u32_e32 v3, vcc, v0, v3, vcc
	v_add_u32_e32 v14, s5, v16
	v_add_co_u32_e32 v96, vcc, s6, v1
	s_ashr_i32 s13, s5, 31
	s_mov_b32 s12, s5
	global_load_dwordx4 v[90:93], v1, s[6:7]
	global_load_dwordx4 v[98:101], v[2:3], off
	v_add_u32_e32 v162, s5, v14
	v_addc_co_u32_e32 v97, vcc, 0, v0, vcc
	s_lshl_b64 s[4:5], s[12:13], 4
	v_mov_b32_e32 v0, s5
	v_add_co_u32_e32 v94, vcc, s4, v96
	v_addc_co_u32_e32 v95, vcc, v97, v0, vcc
	v_accvgpr_write_b32 a119, v97
	v_accvgpr_write_b32 a117, v95
	;; [unrolled: 1-line block ×4, first 2 shown]
	global_load_dwordx4 v[94:97], v[94:95], off
	v_accvgpr_write_b32 a99, v3
	v_ashrrev_i32_e32 v5, 31, v4
	v_accvgpr_write_b32 a98, v2
	v_lshlrev_b64 v[2:3], 4, v[4:5]
	v_mov_b32_e32 v0, s7
	v_add_co_u32_e32 v4, vcc, s6, v2
	v_addc_co_u32_e32 v5, vcc, v0, v3, vcc
	v_ashrrev_i32_e32 v11, 31, v10
	global_load_dwordx4 v[102:105], v[4:5], off
	v_lshlrev_b64 v[2:3], 4, v[10:11]
	v_add_co_u32_e32 v2, vcc, s6, v2
	v_addc_co_u32_e32 v3, vcc, v0, v3, vcc
	global_load_dwordx4 v[106:109], v[2:3], off
	v_accvgpr_write_b32 a105, v3
	v_ashrrev_i32_e32 v13, 31, v12
	v_accvgpr_write_b32 a109, v5
	v_accvgpr_write_b32 a104, v2
	v_lshlrev_b64 v[2:3], 4, v[12:13]
	v_accvgpr_write_b32 a108, v4
	v_add_co_u32_e32 v4, vcc, s6, v2
	v_addc_co_u32_e32 v5, vcc, v0, v3, vcc
	v_ashrrev_i32_e32 v111, 31, v110
	v_lshlrev_b64 v[2:3], 4, v[110:111]
	global_load_dwordx4 v[110:113], v[4:5], off
	v_add_co_u32_e32 v2, vcc, s6, v2
	v_addc_co_u32_e32 v3, vcc, v0, v3, vcc
	global_load_dwordx4 v[114:117], v[2:3], off
	v_accvgpr_write_b32 a93, v3
	v_ashrrev_i32_e32 v119, 31, v118
	v_accvgpr_write_b32 a107, v5
	v_accvgpr_write_b32 a92, v2
	v_lshlrev_b64 v[2:3], 4, v[118:119]
	v_accvgpr_write_b32 a106, v4
	v_add_co_u32_e32 v4, vcc, s6, v2
	v_addc_co_u32_e32 v5, vcc, v0, v3, vcc
	v_ashrrev_i32_e32 v121, 31, v120
	v_lshlrev_b64 v[2:3], 4, v[120:121]
	global_load_dwordx4 v[118:121], v[4:5], off
	;; [unrolled: 14-line block ×7, first 2 shown]
	v_add_co_u32_e32 v2, vcc, s6, v2
	v_addc_co_u32_e32 v3, vcc, v0, v3, vcc
	global_load_dwordx4 v[10:13], v[2:3], off
	v_ashrrev_i32_e32 v163, 31, v162
	v_accvgpr_write_b32 a35, v3
	v_accvgpr_write_b32 a34, v2
	v_lshlrev_b64 v[2:3], 4, v[162:163]
	v_add_co_u32_e32 v2, vcc, s6, v2
	v_ashrrev_i32_e32 v89, 31, v88
	v_addc_co_u32_e32 v3, vcc, v0, v3, vcc
	v_lshlrev_b64 v[88:89], 4, v[88:89]
	v_add_co_u32_e32 v88, vcc, s6, v88
	v_ashrrev_i32_e32 v87, 31, v86
	v_accvgpr_write_b32 a43, v5
	v_accvgpr_write_b32 a0, v2
	v_addc_co_u32_e32 v89, vcc, v0, v89, vcc
	v_lshlrev_b64 v[86:87], 4, v[86:87]
	v_accvgpr_write_b32 a42, v4
	v_accvgpr_write_b32 a1, v3
	global_load_dwordx4 v[2:5], v[2:3], off
	s_waitcnt vmcnt(19)
	buffer_store_dword v93, off, s[0:3], 0 offset:28
	buffer_store_dword v92, off, s[0:3], 0 offset:24
	;; [unrolled: 1-line block ×4, first 2 shown]
	s_waitcnt vmcnt(21)
	buffer_store_dword v97, off, s[0:3], 0 offset:44
	buffer_store_dword v96, off, s[0:3], 0 offset:40
	;; [unrolled: 1-line block ×8, first 2 shown]
	s_waitcnt vmcnt(28)
	buffer_store_dword v105, off, s[0:3], 0 offset:76
	buffer_store_dword v104, off, s[0:3], 0 offset:72
	buffer_store_dword v103, off, s[0:3], 0 offset:68
	buffer_store_dword v102, off, s[0:3], 0 offset:64
	s_waitcnt vmcnt(31)
	buffer_store_dword v109, off, s[0:3], 0 offset:92
	buffer_store_dword v108, off, s[0:3], 0 offset:88
	buffer_store_dword v107, off, s[0:3], 0 offset:84
	buffer_store_dword v106, off, s[0:3], 0 offset:80
	;; [unrolled: 5-line block ×13, first 2 shown]
	buffer_store_dword v157, off, s[0:3], 0 offset:284
	buffer_store_dword v156, off, s[0:3], 0 offset:280
	;; [unrolled: 1-line block ×8, first 2 shown]
	s_waitcnt vmcnt(62)
	buffer_store_dword v13, off, s[0:3], 0 offset:316
	v_add_co_u32_e32 v90, vcc, s6, v86
	v_accvgpr_write_b32 a115, v89
	v_addc_co_u32_e32 v91, vcc, v0, v87, vcc
	v_accvgpr_write_b32 a114, v88
	global_load_dwordx4 v[86:89], v[88:89], off
	v_accvgpr_write_b32 a111, v91
	v_ashrrev_i32_e32 v85, 31, v84
	v_accvgpr_write_b32 a110, v90
	global_load_dwordx4 v[90:93], v[90:91], off
	v_lshlrev_b64 v[84:85], 4, v[84:85]
	v_add_co_u32_e32 v84, vcc, s6, v84
	v_ashrrev_i32_e32 v83, 31, v82
	v_addc_co_u32_e32 v85, vcc, v0, v85, vcc
	v_lshlrev_b64 v[82:83], 4, v[82:83]
	v_add_co_u32_e32 v94, vcc, s6, v82
	v_accvgpr_write_b32 a113, v85
	v_addc_co_u32_e32 v95, vcc, v0, v83, vcc
	v_accvgpr_write_b32 a112, v84
	global_load_dwordx4 v[82:85], v[84:85], off
	v_accvgpr_write_b32 a101, v95
	v_ashrrev_i32_e32 v81, 31, v80
	v_accvgpr_write_b32 a100, v94
	global_load_dwordx4 v[94:97], v[94:95], off
	v_lshlrev_b64 v[80:81], 4, v[80:81]
	v_add_co_u32_e32 v80, vcc, s6, v80
	v_ashrrev_i32_e32 v79, 31, v78
	v_addc_co_u32_e32 v81, vcc, v0, v81, vcc
	v_lshlrev_b64 v[78:79], 4, v[78:79]
	;; [unrolled: 14-line block ×8, first 2 shown]
	v_add_co_u32_e32 v122, vcc, s6, v54
	v_accvgpr_write_b32 a28, v56
	v_addc_co_u32_e32 v123, vcc, v0, v55, vcc
	v_accvgpr_write_b32 a29, v57
	global_load_dwordx4 v[54:57], v[56:57], off
	v_accvgpr_write_b32 a18, v122
	v_accvgpr_write_b32 a19, v123
	global_load_dwordx4 v[122:125], v[122:123], off
	v_ashrrev_i32_e32 v9, 31, v8
	v_lshlrev_b64 v[8:9], 4, v[8:9]
	v_add_co_u32_e32 v8, vcc, s6, v8
	v_addc_co_u32_e32 v9, vcc, v0, v9, vcc
	v_ashrrev_i32_e32 v7, 31, v6
	v_lshlrev_b64 v[6:7], 4, v[6:7]
	global_load_dwordx4 v[126:129], v[8:9], off
	v_add_co_u32_e32 v6, vcc, s6, v6
	v_addc_co_u32_e32 v7, vcc, v0, v7, vcc
	v_accvgpr_write_b32 a21, v9
	v_accvgpr_write_b32 a13, v7
	;; [unrolled: 1-line block ×4, first 2 shown]
	global_load_dwordx4 v[6:9], v[6:7], off
	v_ashrrev_i32_e32 v53, 31, v52
	buffer_store_dword v12, off, s[0:3], 0 offset:312
	buffer_store_dword v11, off, s[0:3], 0 offset:308
	buffer_store_dword v10, off, s[0:3], 0 offset:304
	s_waitcnt vmcnt(22)
	buffer_store_dword v89, off, s[0:3], 0 offset:332
	buffer_store_dword v88, off, s[0:3], 0 offset:328
	buffer_store_dword v87, off, s[0:3], 0 offset:324
	buffer_store_dword v86, off, s[0:3], 0 offset:320
	s_waitcnt vmcnt(25)
	buffer_store_dword v93, off, s[0:3], 0 offset:348
	;; [unrolled: 5-line block ×15, first 2 shown]
	buffer_store_dword v60, off, s[0:3], 0 offset:552
	buffer_store_dword v59, off, s[0:3], 0 offset:548
	;; [unrolled: 1-line block ×11, first 2 shown]
	s_waitcnt vmcnt(62)
	buffer_store_dword v125, off, s[0:3], 0 offset:604
	buffer_store_dword v124, off, s[0:3], 0 offset:600
	;; [unrolled: 1-line block ×9, first 2 shown]
	v_lshlrev_b64 v[10:11], 4, v[52:53]
	v_add_co_u32_e32 v12, vcc, s6, v10
	v_ashrrev_i32_e32 v51, 31, v50
	v_addc_co_u32_e32 v13, vcc, v0, v11, vcc
	v_lshlrev_b64 v[10:11], 4, v[50:51]
	v_add_co_u32_e32 v50, vcc, s6, v10
	v_accvgpr_write_b32 a97, v13
	v_addc_co_u32_e32 v51, vcc, v0, v11, vcc
	v_accvgpr_write_b32 a96, v12
	global_load_dwordx4 v[10:13], v[12:13], off
	v_accvgpr_write_b32 a85, v51
	v_ashrrev_i32_e32 v49, 31, v48
	v_accvgpr_write_b32 a84, v50
	global_load_dwordx4 v[50:53], v[50:51], off
	v_lshlrev_b64 v[48:49], 4, v[48:49]
	v_add_co_u32_e32 v48, vcc, s6, v48
	v_ashrrev_i32_e32 v47, 31, v46
	v_addc_co_u32_e32 v49, vcc, v0, v49, vcc
	v_lshlrev_b64 v[46:47], 4, v[46:47]
	v_add_co_u32_e32 v54, vcc, s6, v46
	v_accvgpr_write_b32 a87, v49
	v_addc_co_u32_e32 v55, vcc, v0, v47, vcc
	v_accvgpr_write_b32 a86, v48
	global_load_dwordx4 v[46:49], v[48:49], off
	v_accvgpr_write_b32 a71, v55
	v_ashrrev_i32_e32 v45, 31, v44
	v_accvgpr_write_b32 a70, v54
	global_load_dwordx4 v[54:57], v[54:55], off
	v_lshlrev_b64 v[44:45], 4, v[44:45]
	v_add_co_u32_e32 v44, vcc, s6, v44
	v_ashrrev_i32_e32 v43, 31, v42
	v_addc_co_u32_e32 v45, vcc, v0, v45, vcc
	v_lshlrev_b64 v[42:43], 4, v[42:43]
	v_add_co_u32_e32 v58, vcc, s6, v42
	v_accvgpr_write_b32 a73, v45
	v_addc_co_u32_e32 v59, vcc, v0, v43, vcc
	v_accvgpr_write_b32 a72, v44
	global_load_dwordx4 v[42:45], v[44:45], off
	v_accvgpr_write_b32 a56, v58
	v_ashrrev_i32_e32 v41, 31, v40
	v_accvgpr_write_b32 a57, v59
	global_load_dwordx4 v[58:61], v[58:59], off
	v_lshlrev_b64 v[40:41], 4, v[40:41]
	v_add_co_u32_e32 v40, vcc, s6, v40
	v_ashrrev_i32_e32 v39, 31, v38
	v_addc_co_u32_e32 v41, vcc, v0, v41, vcc
	v_lshlrev_b64 v[38:39], 4, v[38:39]
	v_add_co_u32_e32 v62, vcc, s6, v38
	v_accvgpr_write_b32 a59, v41
	v_addc_co_u32_e32 v63, vcc, v0, v39, vcc
	v_accvgpr_write_b32 a58, v40
	global_load_dwordx4 v[38:41], v[40:41], off
	v_accvgpr_write_b32 a44, v62
	v_ashrrev_i32_e32 v37, 31, v36
	v_accvgpr_write_b32 a45, v63
	global_load_dwordx4 v[62:65], v[62:63], off
	v_lshlrev_b64 v[36:37], 4, v[36:37]
	v_add_co_u32_e32 v36, vcc, s6, v36
	v_ashrrev_i32_e32 v35, 31, v34
	v_addc_co_u32_e32 v37, vcc, v0, v37, vcc
	v_lshlrev_b64 v[34:35], 4, v[34:35]
	v_add_co_u32_e32 v66, vcc, s6, v34
	v_accvgpr_write_b32 a47, v37
	v_addc_co_u32_e32 v67, vcc, v0, v35, vcc
	v_accvgpr_write_b32 a46, v36
	global_load_dwordx4 v[34:37], v[36:37], off
	v_accvgpr_write_b32 a30, v66
	v_ashrrev_i32_e32 v33, 31, v32
	v_accvgpr_write_b32 a31, v67
	global_load_dwordx4 v[66:69], v[66:67], off
	v_lshlrev_b64 v[32:33], 4, v[32:33]
	v_add_co_u32_e32 v32, vcc, s6, v32
	v_ashrrev_i32_e32 v31, 31, v30
	v_addc_co_u32_e32 v33, vcc, v0, v33, vcc
	v_lshlrev_b64 v[30:31], 4, v[30:31]
	v_add_co_u32_e32 v70, vcc, s6, v30
	v_accvgpr_write_b32 a32, v32
	v_addc_co_u32_e32 v71, vcc, v0, v31, vcc
	v_accvgpr_write_b32 a33, v33
	global_load_dwordx4 v[30:33], v[32:33], off
	v_accvgpr_write_b32 a22, v70
	v_ashrrev_i32_e32 v29, 31, v28
	v_accvgpr_write_b32 a23, v71
	global_load_dwordx4 v[70:73], v[70:71], off
	v_lshlrev_b64 v[28:29], 4, v[28:29]
	v_add_co_u32_e32 v28, vcc, s6, v28
	v_ashrrev_i32_e32 v27, 31, v26
	v_addc_co_u32_e32 v29, vcc, v0, v29, vcc
	v_lshlrev_b64 v[26:27], 4, v[26:27]
	v_add_co_u32_e32 v74, vcc, s6, v26
	v_accvgpr_write_b32 a24, v28
	v_addc_co_u32_e32 v75, vcc, v0, v27, vcc
	v_accvgpr_write_b32 a25, v29
	global_load_dwordx4 v[26:29], v[28:29], off
	v_accvgpr_write_b32 a14, v74
	v_ashrrev_i32_e32 v25, 31, v24
	v_accvgpr_write_b32 a15, v75
	global_load_dwordx4 v[74:77], v[74:75], off
	v_lshlrev_b64 v[24:25], 4, v[24:25]
	v_add_co_u32_e32 v24, vcc, s6, v24
	v_ashrrev_i32_e32 v23, 31, v22
	v_addc_co_u32_e32 v25, vcc, v0, v25, vcc
	v_lshlrev_b64 v[22:23], 4, v[22:23]
	v_add_co_u32_e32 v78, vcc, s6, v22
	v_accvgpr_write_b32 a16, v24
	v_addc_co_u32_e32 v79, vcc, v0, v23, vcc
	v_accvgpr_write_b32 a17, v25
	global_load_dwordx4 v[22:25], v[24:25], off
	v_accvgpr_write_b32 a8, v78
	v_ashrrev_i32_e32 v21, 31, v20
	v_accvgpr_write_b32 a9, v79
	global_load_dwordx4 v[78:81], v[78:79], off
	v_lshlrev_b64 v[20:21], 4, v[20:21]
	v_add_co_u32_e32 v20, vcc, s6, v20
	v_ashrrev_i32_e32 v19, 31, v18
	v_addc_co_u32_e32 v21, vcc, v0, v21, vcc
	v_lshlrev_b64 v[18:19], 4, v[18:19]
	v_add_co_u32_e32 v82, vcc, s6, v18
	v_accvgpr_write_b32 a10, v20
	v_addc_co_u32_e32 v83, vcc, v0, v19, vcc
	v_accvgpr_write_b32 a11, v21
	global_load_dwordx4 v[18:21], v[20:21], off
	v_accvgpr_write_b32 a4, v82
	v_accvgpr_write_b32 a5, v83
	global_load_dwordx4 v[82:85], v[82:83], off
	v_ashrrev_i32_e32 v17, 31, v16
	v_lshlrev_b64 v[16:17], 4, v[16:17]
	v_add_co_u32_e32 v16, vcc, s6, v16
	v_addc_co_u32_e32 v17, vcc, v0, v17, vcc
	v_ashrrev_i32_e32 v15, 31, v14
	v_accvgpr_write_b32 a6, v16
	v_lshlrev_b64 v[86:87], 4, v[14:15]
	v_accvgpr_write_b32 a7, v17
	global_load_dwordx4 v[14:17], v[16:17], off
	v_add_co_u32_e32 v86, vcc, s6, v86
	v_addc_co_u32_e32 v87, vcc, v0, v87, vcc
	v_accvgpr_write_b32 a2, v86
	v_accvgpr_write_b32 a3, v87
	global_load_dwordx4 v[86:89], v[86:87], off
	v_mov_b32_e32 v0, 16
	buffer_store_dword v8, off, s[0:3], 0 offset:632
	buffer_store_dword v7, off, s[0:3], 0 offset:628
	buffer_store_dword v6, off, s[0:3], 0 offset:624
	s_waitcnt vmcnt(22)
	buffer_store_dword v13, off, s[0:3], 0 offset:652
	buffer_store_dword v12, off, s[0:3], 0 offset:648
	buffer_store_dword v11, off, s[0:3], 0 offset:644
	buffer_store_dword v10, off, s[0:3], 0 offset:640
	s_waitcnt vmcnt(25)
	buffer_store_dword v53, off, s[0:3], 0 offset:668
	;; [unrolled: 5-line block ×15, first 2 shown]
	buffer_store_dword v24, off, s[0:3], 0 offset:872
	buffer_store_dword v23, off, s[0:3], 0 offset:868
	;; [unrolled: 1-line block ×11, first 2 shown]
	s_waitcnt vmcnt(62)
	buffer_store_dword v85, off, s[0:3], 0 offset:924
	buffer_store_dword v84, off, s[0:3], 0 offset:920
	;; [unrolled: 1-line block ×16, first 2 shown]
	v_add_u32_e32 v2, 16, v0
	v_accvgpr_write_b32 a178, v2
	v_add_u32_e32 v2, 32, v0
	v_accvgpr_write_b32 a177, v2
	;; [unrolled: 2-line block ×57, first 2 shown]
	v_add_u32_e32 v2, 0x3a0, v0
	v_add_u32_e32 v0, 0x3b0, v0
	s_bitcmp0_b32 s18, 0
	v_accvgpr_write_b32 a121, v2
	v_accvgpr_write_b32 a120, v0
	s_mov_b64 s[6:7], -1
	s_cbranch_scc1 .LBB123_252
; %bb.4:
	v_cmp_eq_u32_e64 s[4:5], 0, v254
	s_and_saveexec_b64 s[6:7], s[4:5]
	s_cbranch_execz .LBB123_6
; %bb.5:
	v_mov_b32_e32 v0, 0
	ds_write_b32 v0, v0 offset:1920
.LBB123_6:
	s_or_b64 exec, exec, s[6:7]
	v_mov_b32_e32 v0, 16
	v_lshl_add_u32 v12, v254, 4, v0
	s_waitcnt lgkmcnt(0)
	; wave barrier
	s_waitcnt lgkmcnt(0)
	buffer_load_dword v2, v12, s[0:3], 0 offen
	buffer_load_dword v3, v12, s[0:3], 0 offen offset:4
	buffer_load_dword v4, v12, s[0:3], 0 offen offset:8
	;; [unrolled: 1-line block ×3, first 2 shown]
	s_waitcnt vmcnt(2)
	v_cmp_eq_f64_e32 vcc, 0, v[2:3]
	s_waitcnt vmcnt(0)
	v_cmp_eq_f64_e64 s[6:7], 0, v[4:5]
	s_and_b64 s[6:7], vcc, s[6:7]
	s_and_saveexec_b64 s[12:13], s[6:7]
	s_cbranch_execz .LBB123_10
; %bb.7:
	v_mov_b32_e32 v2, 0
	ds_read_b32 v0, v2 offset:1920
	v_add_u32_e32 v3, 1, v254
	s_waitcnt lgkmcnt(0)
	v_readfirstlane_b32 s6, v0
	s_cmp_eq_u32 s6, 0
	s_cselect_b64 s[18:19], -1, 0
	v_cmp_gt_i32_e32 vcc, s6, v3
	s_or_b64 s[18:19], s[18:19], vcc
	s_and_b64 exec, exec, s[18:19]
	s_cbranch_execz .LBB123_10
; %bb.8:
	s_mov_b64 s[18:19], 0
	v_mov_b32_e32 v4, s6
.LBB123_9:                              ; =>This Inner Loop Header: Depth=1
	ds_cmpst_rtn_b32 v4, v2, v4, v3 offset:1920
	s_waitcnt lgkmcnt(0)
	v_cmp_ne_u32_e32 vcc, 0, v4
	v_cmp_le_i32_e64 s[6:7], v4, v3
	s_and_b64 s[6:7], vcc, s[6:7]
	s_and_b64 s[6:7], exec, s[6:7]
	s_or_b64 s[18:19], s[6:7], s[18:19]
	s_andn2_b64 exec, exec, s[18:19]
	s_cbranch_execnz .LBB123_9
.LBB123_10:
	s_or_b64 exec, exec, s[12:13]
	v_mov_b32_e32 v3, 0
	s_waitcnt lgkmcnt(0)
	; wave barrier
	ds_read_b32 v2, v3 offset:1920
	s_and_saveexec_b64 s[6:7], s[4:5]
	s_cbranch_execz .LBB123_12
; %bb.11:
	s_lshl_b64 s[12:13], s[8:9], 2
	s_add_u32 s12, s14, s12
	s_addc_u32 s13, s15, s13
	s_waitcnt lgkmcnt(0)
	global_store_dword v3, v2, s[12:13]
.LBB123_12:
	s_or_b64 exec, exec, s[6:7]
	s_waitcnt lgkmcnt(0)
	v_cmp_ne_u32_e32 vcc, 0, v2
	s_mov_b64 s[6:7], 0
	s_cbranch_vccnz .LBB123_252
; %bb.13:
	buffer_load_dword v7, v12, s[0:3], 0 offen offset:4
	buffer_load_dword v6, v12, s[0:3], 0 offen
	buffer_load_dword v9, v12, s[0:3], 0 offen offset:12
	buffer_load_dword v8, v12, s[0:3], 0 offen offset:8
                                        ; implicit-def: $vgpr10_vgpr11
	s_waitcnt vmcnt(3)
	v_xor_b32_e32 v0, 0x80000000, v7
	s_waitcnt vmcnt(2)
	v_cmp_gt_f64_e32 vcc, 0, v[6:7]
	s_waitcnt vmcnt(1)
	v_xor_b32_e32 v4, 0x80000000, v9
	v_cndmask_b32_e32 v3, v7, v0, vcc
	s_waitcnt vmcnt(0)
	v_cmp_gt_f64_e32 vcc, 0, v[8:9]
	v_mov_b32_e32 v2, v6
	v_cndmask_b32_e32 v5, v9, v4, vcc
	v_mov_b32_e32 v4, v8
	v_cmp_ngt_f64_e32 vcc, v[2:3], v[4:5]
                                        ; implicit-def: $vgpr4_vgpr5
	s_and_saveexec_b64 s[6:7], vcc
	s_xor_b64 s[6:7], exec, s[6:7]
	s_cbranch_execz .LBB123_15
; %bb.14:
	v_div_scale_f64 v[2:3], s[12:13], v[8:9], v[8:9], v[6:7]
	v_rcp_f64_e32 v[4:5], v[2:3]
	v_div_scale_f64 v[10:11], vcc, v[6:7], v[8:9], v[6:7]
	v_fma_f64 v[14:15], -v[2:3], v[4:5], 1.0
	v_fmac_f64_e32 v[4:5], v[4:5], v[14:15]
	v_fma_f64 v[14:15], -v[2:3], v[4:5], 1.0
	v_fmac_f64_e32 v[4:5], v[4:5], v[14:15]
	v_mul_f64 v[14:15], v[10:11], v[4:5]
	v_fma_f64 v[2:3], -v[2:3], v[14:15], v[10:11]
	v_div_fmas_f64 v[2:3], v[2:3], v[4:5], v[14:15]
	v_div_fixup_f64 v[2:3], v[2:3], v[8:9], v[6:7]
	v_fmac_f64_e32 v[8:9], v[6:7], v[2:3]
	v_div_scale_f64 v[4:5], s[12:13], v[8:9], v[8:9], 1.0
	v_rcp_f64_e32 v[6:7], v[4:5]
	v_fma_f64 v[10:11], -v[4:5], v[6:7], 1.0
	v_fmac_f64_e32 v[6:7], v[6:7], v[10:11]
	v_fma_f64 v[10:11], -v[4:5], v[6:7], 1.0
	v_fmac_f64_e32 v[6:7], v[6:7], v[10:11]
	v_div_scale_f64 v[10:11], vcc, 1.0, v[8:9], 1.0
	v_mul_f64 v[14:15], v[10:11], v[6:7]
	v_fma_f64 v[4:5], -v[4:5], v[14:15], v[10:11]
	s_nop 1
	v_div_fmas_f64 v[4:5], v[4:5], v[6:7], v[14:15]
	v_div_fixup_f64 v[4:5], v[4:5], v[8:9], 1.0
	v_mul_f64 v[10:11], v[2:3], v[4:5]
	v_xor_b32_e32 v5, 0x80000000, v5
	v_xor_b32_e32 v3, 0x80000000, v11
	v_mov_b32_e32 v2, v10
                                        ; implicit-def: $vgpr6_vgpr7
                                        ; implicit-def: $vgpr8_vgpr9
.LBB123_15:
	s_andn2_saveexec_b64 s[6:7], s[6:7]
	s_cbranch_execz .LBB123_17
; %bb.16:
	v_div_scale_f64 v[2:3], s[12:13], v[6:7], v[6:7], v[8:9]
	v_rcp_f64_e32 v[4:5], v[2:3]
	v_div_scale_f64 v[10:11], vcc, v[8:9], v[6:7], v[8:9]
	v_fma_f64 v[14:15], -v[2:3], v[4:5], 1.0
	v_fmac_f64_e32 v[4:5], v[4:5], v[14:15]
	v_fma_f64 v[14:15], -v[2:3], v[4:5], 1.0
	v_fmac_f64_e32 v[4:5], v[4:5], v[14:15]
	v_mul_f64 v[14:15], v[10:11], v[4:5]
	v_fma_f64 v[2:3], -v[2:3], v[14:15], v[10:11]
	v_div_fmas_f64 v[2:3], v[2:3], v[4:5], v[14:15]
	v_div_fixup_f64 v[4:5], v[2:3], v[6:7], v[8:9]
	v_fmac_f64_e32 v[6:7], v[8:9], v[4:5]
	v_div_scale_f64 v[2:3], s[12:13], v[6:7], v[6:7], 1.0
	v_rcp_f64_e32 v[8:9], v[2:3]
	v_fma_f64 v[10:11], -v[2:3], v[8:9], 1.0
	v_fmac_f64_e32 v[8:9], v[8:9], v[10:11]
	v_fma_f64 v[10:11], -v[2:3], v[8:9], 1.0
	v_fmac_f64_e32 v[8:9], v[8:9], v[10:11]
	v_div_scale_f64 v[10:11], vcc, 1.0, v[6:7], 1.0
	v_mul_f64 v[14:15], v[10:11], v[8:9]
	v_fma_f64 v[2:3], -v[2:3], v[14:15], v[10:11]
	s_nop 1
	v_div_fmas_f64 v[2:3], v[2:3], v[8:9], v[14:15]
	v_div_fixup_f64 v[10:11], v[2:3], v[6:7], 1.0
	v_xor_b32_e32 v3, 0x80000000, v11
	v_mov_b32_e32 v2, v10
	v_mul_f64 v[4:5], v[4:5], -v[10:11]
.LBB123_17:
	s_or_b64 exec, exec, s[6:7]
	buffer_store_dword v11, v12, s[0:3], 0 offen offset:4
	buffer_store_dword v10, v12, s[0:3], 0 offen
	buffer_store_dword v5, v12, s[0:3], 0 offen offset:12
	buffer_store_dword v4, v12, s[0:3], 0 offen offset:8
	v_accvgpr_read_b32 v0, a178
	buffer_load_dword v11, v0, s[0:3], 0 offen offset:12
	buffer_load_dword v10, v0, s[0:3], 0 offen offset:8
	;; [unrolled: 1-line block ×3, first 2 shown]
	buffer_load_dword v8, v0, s[0:3], 0 offen
	v_xor_b32_e32 v5, 0x80000000, v5
	v_add_u32_e32 v6, 0x3c0, v1
	ds_write_b128 v1, v[2:5]
	s_waitcnt vmcnt(0)
	ds_write_b128 v1, v[8:11] offset:960
	s_waitcnt lgkmcnt(0)
	; wave barrier
	s_waitcnt lgkmcnt(0)
	s_and_saveexec_b64 s[6:7], s[4:5]
	s_cbranch_execz .LBB123_19
; %bb.18:
	buffer_load_dword v14, v12, s[0:3], 0 offen offset:8
	buffer_load_dword v15, v12, s[0:3], 0 offen offset:12
	buffer_load_dword v16, v12, s[0:3], 0 offen
	buffer_load_dword v17, v12, s[0:3], 0 offen offset:4
	ds_read_b128 v[2:5], v6
	v_mov_b32_e32 v0, 0
	ds_read_b128 v[8:11], v0 offset:16
	s_waitcnt vmcnt(2) lgkmcnt(1)
	v_mul_f64 v[18:19], v[4:5], v[14:15]
	v_mul_f64 v[14:15], v[2:3], v[14:15]
	s_waitcnt vmcnt(0)
	v_fmac_f64_e32 v[14:15], v[4:5], v[16:17]
	v_fma_f64 v[2:3], v[2:3], v[16:17], -v[18:19]
	v_add_f64 v[4:5], v[14:15], 0
	v_add_f64 v[2:3], v[2:3], 0
	s_waitcnt lgkmcnt(0)
	v_mul_f64 v[14:15], v[4:5], v[10:11]
	v_mul_f64 v[10:11], v[2:3], v[10:11]
	v_fma_f64 v[2:3], v[2:3], v[8:9], -v[14:15]
	v_fmac_f64_e32 v[10:11], v[4:5], v[8:9]
	buffer_store_dword v2, off, s[0:3], 0 offset:32
	buffer_store_dword v3, off, s[0:3], 0 offset:36
	;; [unrolled: 1-line block ×4, first 2 shown]
.LBB123_19:
	s_or_b64 exec, exec, s[6:7]
	v_accvgpr_read_b32 v0, a177
	s_waitcnt lgkmcnt(0)
	; wave barrier
	buffer_load_dword v2, v0, s[0:3], 0 offen
	buffer_load_dword v3, v0, s[0:3], 0 offen offset:4
	buffer_load_dword v4, v0, s[0:3], 0 offen offset:8
	;; [unrolled: 1-line block ×3, first 2 shown]
	v_cmp_gt_u32_e32 vcc, 2, v254
	s_waitcnt vmcnt(0)
	ds_write_b128 v6, v[2:5]
	s_waitcnt lgkmcnt(0)
	; wave barrier
	s_waitcnt lgkmcnt(0)
	s_and_saveexec_b64 s[6:7], vcc
	s_cbranch_execz .LBB123_23
; %bb.20:
	buffer_load_dword v8, v12, s[0:3], 0 offen offset:8
	buffer_load_dword v9, v12, s[0:3], 0 offen offset:12
	buffer_load_dword v10, v12, s[0:3], 0 offen
	buffer_load_dword v11, v12, s[0:3], 0 offen offset:4
	ds_read_b128 v[2:5], v6
	s_waitcnt vmcnt(2) lgkmcnt(0)
	v_mul_f64 v[12:13], v[4:5], v[8:9]
	v_mul_f64 v[8:9], v[2:3], v[8:9]
	s_waitcnt vmcnt(0)
	v_fma_f64 v[2:3], v[2:3], v[10:11], -v[12:13]
	v_fmac_f64_e32 v[8:9], v[4:5], v[10:11]
	v_add_f64 v[4:5], v[2:3], 0
	v_add_f64 v[2:3], v[8:9], 0
	s_and_saveexec_b64 s[12:13], s[4:5]
	s_cbranch_execz .LBB123_22
; %bb.21:
	buffer_load_dword v12, off, s[0:3], 0 offset:40
	buffer_load_dword v13, off, s[0:3], 0 offset:44
	;; [unrolled: 1-line block ×4, first 2 shown]
	v_mov_b32_e32 v0, 0
	ds_read_b128 v[8:11], v0 offset:976
	s_waitcnt vmcnt(2) lgkmcnt(0)
	v_mul_f64 v[16:17], v[8:9], v[12:13]
	v_mul_f64 v[12:13], v[10:11], v[12:13]
	s_waitcnt vmcnt(0)
	v_fmac_f64_e32 v[16:17], v[10:11], v[14:15]
	v_fma_f64 v[8:9], v[8:9], v[14:15], -v[12:13]
	v_add_f64 v[2:3], v[2:3], v[16:17]
	v_add_f64 v[4:5], v[4:5], v[8:9]
.LBB123_22:
	s_or_b64 exec, exec, s[12:13]
	v_mov_b32_e32 v0, 0
	ds_read_b128 v[8:11], v0 offset:32
	s_waitcnt lgkmcnt(0)
	v_mul_f64 v[12:13], v[2:3], v[10:11]
	v_mul_f64 v[10:11], v[4:5], v[10:11]
	v_fma_f64 v[4:5], v[4:5], v[8:9], -v[12:13]
	v_fmac_f64_e32 v[10:11], v[2:3], v[8:9]
	buffer_store_dword v5, off, s[0:3], 0 offset:52
	buffer_store_dword v4, off, s[0:3], 0 offset:48
	;; [unrolled: 1-line block ×4, first 2 shown]
.LBB123_23:
	s_or_b64 exec, exec, s[6:7]
	v_accvgpr_read_b32 v0, a176
	s_waitcnt lgkmcnt(0)
	; wave barrier
	buffer_load_dword v2, v0, s[0:3], 0 offen
	buffer_load_dword v3, v0, s[0:3], 0 offen offset:4
	buffer_load_dword v4, v0, s[0:3], 0 offen offset:8
	;; [unrolled: 1-line block ×3, first 2 shown]
	v_cmp_gt_u32_e32 vcc, 3, v254
	v_add_u32_e32 v7, -1, v254
	s_waitcnt vmcnt(0)
	ds_write_b128 v6, v[2:5]
	s_waitcnt lgkmcnt(0)
	; wave barrier
	s_waitcnt lgkmcnt(0)
	s_and_saveexec_b64 s[4:5], vcc
	s_cbranch_execz .LBB123_27
; %bb.24:
	v_pk_mov_b32 v[2:3], 0, 0
	v_add_u32_e32 v8, -1, v254
	v_add_u32_e32 v9, 0x3c0, v1
	v_add_u32_e32 v10, 16, v1
	s_mov_b64 s[6:7], 0
	v_pk_mov_b32 v[4:5], v[2:3], v[2:3] op_sel:[0,1]
.LBB123_25:                             ; =>This Inner Loop Header: Depth=1
	buffer_load_dword v16, v10, s[0:3], 0 offen offset:8
	buffer_load_dword v17, v10, s[0:3], 0 offen offset:12
	buffer_load_dword v18, v10, s[0:3], 0 offen
	buffer_load_dword v19, v10, s[0:3], 0 offen offset:4
	ds_read_b128 v[12:15], v9
	v_add_u32_e32 v8, 1, v8
	v_cmp_lt_u32_e32 vcc, 1, v8
	v_add_u32_e32 v9, 16, v9
	v_add_u32_e32 v10, 16, v10
	s_or_b64 s[6:7], vcc, s[6:7]
	s_waitcnt vmcnt(2) lgkmcnt(0)
	v_mul_f64 v[20:21], v[14:15], v[16:17]
	v_mul_f64 v[16:17], v[12:13], v[16:17]
	s_waitcnt vmcnt(0)
	v_fma_f64 v[12:13], v[12:13], v[18:19], -v[20:21]
	v_fmac_f64_e32 v[16:17], v[14:15], v[18:19]
	v_add_f64 v[4:5], v[4:5], v[12:13]
	v_add_f64 v[2:3], v[2:3], v[16:17]
	s_andn2_b64 exec, exec, s[6:7]
	s_cbranch_execnz .LBB123_25
; %bb.26:
	s_or_b64 exec, exec, s[6:7]
	v_mov_b32_e32 v0, 0
	ds_read_b128 v[8:11], v0 offset:48
	s_waitcnt lgkmcnt(0)
	v_mul_f64 v[12:13], v[2:3], v[10:11]
	v_mul_f64 v[10:11], v[4:5], v[10:11]
	v_fma_f64 v[4:5], v[4:5], v[8:9], -v[12:13]
	v_fmac_f64_e32 v[10:11], v[2:3], v[8:9]
	buffer_store_dword v5, off, s[0:3], 0 offset:68
	buffer_store_dword v4, off, s[0:3], 0 offset:64
	buffer_store_dword v11, off, s[0:3], 0 offset:76
	buffer_store_dword v10, off, s[0:3], 0 offset:72
.LBB123_27:
	s_or_b64 exec, exec, s[4:5]
	v_accvgpr_read_b32 v0, a175
	s_waitcnt lgkmcnt(0)
	; wave barrier
	buffer_load_dword v2, v0, s[0:3], 0 offen
	buffer_load_dword v3, v0, s[0:3], 0 offen offset:4
	buffer_load_dword v4, v0, s[0:3], 0 offen offset:8
	buffer_load_dword v5, v0, s[0:3], 0 offen offset:12
	v_cmp_gt_u32_e32 vcc, 4, v254
	s_waitcnt vmcnt(0)
	ds_write_b128 v6, v[2:5]
	s_waitcnt lgkmcnt(0)
	; wave barrier
	s_waitcnt lgkmcnt(0)
	s_and_saveexec_b64 s[4:5], vcc
	s_cbranch_execz .LBB123_31
; %bb.28:
	v_pk_mov_b32 v[2:3], 0, 0
	v_add_u32_e32 v8, -1, v254
	v_add_u32_e32 v9, 0x3c0, v1
	v_add_u32_e32 v10, 16, v1
	s_mov_b64 s[6:7], 0
	v_pk_mov_b32 v[4:5], v[2:3], v[2:3] op_sel:[0,1]
.LBB123_29:                             ; =>This Inner Loop Header: Depth=1
	buffer_load_dword v16, v10, s[0:3], 0 offen offset:8
	buffer_load_dword v17, v10, s[0:3], 0 offen offset:12
	buffer_load_dword v18, v10, s[0:3], 0 offen
	buffer_load_dword v19, v10, s[0:3], 0 offen offset:4
	ds_read_b128 v[12:15], v9
	v_add_u32_e32 v8, 1, v8
	v_cmp_lt_u32_e32 vcc, 2, v8
	v_add_u32_e32 v9, 16, v9
	v_add_u32_e32 v10, 16, v10
	s_or_b64 s[6:7], vcc, s[6:7]
	s_waitcnt vmcnt(2) lgkmcnt(0)
	v_mul_f64 v[20:21], v[14:15], v[16:17]
	v_mul_f64 v[16:17], v[12:13], v[16:17]
	s_waitcnt vmcnt(0)
	v_fma_f64 v[12:13], v[12:13], v[18:19], -v[20:21]
	v_fmac_f64_e32 v[16:17], v[14:15], v[18:19]
	v_add_f64 v[4:5], v[4:5], v[12:13]
	v_add_f64 v[2:3], v[2:3], v[16:17]
	s_andn2_b64 exec, exec, s[6:7]
	s_cbranch_execnz .LBB123_29
; %bb.30:
	s_or_b64 exec, exec, s[6:7]
	v_mov_b32_e32 v0, 0
	ds_read_b128 v[8:11], v0 offset:64
	s_waitcnt lgkmcnt(0)
	v_mul_f64 v[12:13], v[2:3], v[10:11]
	v_mul_f64 v[10:11], v[4:5], v[10:11]
	v_fma_f64 v[4:5], v[4:5], v[8:9], -v[12:13]
	v_fmac_f64_e32 v[10:11], v[2:3], v[8:9]
	buffer_store_dword v5, off, s[0:3], 0 offset:84
	buffer_store_dword v4, off, s[0:3], 0 offset:80
	buffer_store_dword v11, off, s[0:3], 0 offset:92
	buffer_store_dword v10, off, s[0:3], 0 offset:88
.LBB123_31:
	s_or_b64 exec, exec, s[4:5]
	v_accvgpr_read_b32 v0, a174
	s_waitcnt lgkmcnt(0)
	; wave barrier
	buffer_load_dword v2, v0, s[0:3], 0 offen
	buffer_load_dword v3, v0, s[0:3], 0 offen offset:4
	buffer_load_dword v4, v0, s[0:3], 0 offen offset:8
	buffer_load_dword v5, v0, s[0:3], 0 offen offset:12
	v_cmp_gt_u32_e32 vcc, 5, v254
	;; [unrolled: 58-line block ×19, first 2 shown]
	s_waitcnt vmcnt(0)
	ds_write_b128 v6, v[2:5]
	s_waitcnt lgkmcnt(0)
	; wave barrier
	s_waitcnt lgkmcnt(0)
	s_and_saveexec_b64 s[4:5], vcc
	s_cbranch_execz .LBB123_103
; %bb.100:
	v_pk_mov_b32 v[2:3], 0, 0
	v_add_u32_e32 v8, -1, v254
	v_add_u32_e32 v9, 0x3c0, v1
	v_add_u32_e32 v10, 16, v1
	s_mov_b64 s[6:7], 0
	v_pk_mov_b32 v[4:5], v[2:3], v[2:3] op_sel:[0,1]
.LBB123_101:                            ; =>This Inner Loop Header: Depth=1
	buffer_load_dword v16, v10, s[0:3], 0 offen offset:8
	buffer_load_dword v17, v10, s[0:3], 0 offen offset:12
	buffer_load_dword v18, v10, s[0:3], 0 offen
	buffer_load_dword v19, v10, s[0:3], 0 offen offset:4
	ds_read_b128 v[12:15], v9
	v_add_u32_e32 v8, 1, v8
	v_cmp_lt_u32_e32 vcc, 20, v8
	v_add_u32_e32 v9, 16, v9
	v_add_u32_e32 v10, 16, v10
	s_or_b64 s[6:7], vcc, s[6:7]
	s_waitcnt vmcnt(2) lgkmcnt(0)
	v_mul_f64 v[20:21], v[14:15], v[16:17]
	v_mul_f64 v[16:17], v[12:13], v[16:17]
	s_waitcnt vmcnt(0)
	v_fma_f64 v[12:13], v[12:13], v[18:19], -v[20:21]
	v_fmac_f64_e32 v[16:17], v[14:15], v[18:19]
	v_add_f64 v[4:5], v[4:5], v[12:13]
	v_add_f64 v[2:3], v[2:3], v[16:17]
	s_andn2_b64 exec, exec, s[6:7]
	s_cbranch_execnz .LBB123_101
; %bb.102:
	s_or_b64 exec, exec, s[6:7]
	v_mov_b32_e32 v0, 0
	ds_read_b128 v[8:11], v0 offset:352
	s_waitcnt lgkmcnt(0)
	v_mul_f64 v[12:13], v[2:3], v[10:11]
	v_mul_f64 v[10:11], v[4:5], v[10:11]
	v_fma_f64 v[4:5], v[4:5], v[8:9], -v[12:13]
	v_fmac_f64_e32 v[10:11], v[2:3], v[8:9]
	buffer_store_dword v5, off, s[0:3], 0 offset:372
	buffer_store_dword v4, off, s[0:3], 0 offset:368
	buffer_store_dword v11, off, s[0:3], 0 offset:380
	buffer_store_dword v10, off, s[0:3], 0 offset:376
.LBB123_103:
	s_or_b64 exec, exec, s[4:5]
	v_accvgpr_read_b32 v0, a156
	s_waitcnt lgkmcnt(0)
	; wave barrier
	buffer_load_dword v2, v0, s[0:3], 0 offen
	buffer_load_dword v3, v0, s[0:3], 0 offen offset:4
	buffer_load_dword v4, v0, s[0:3], 0 offen offset:8
	buffer_load_dword v5, v0, s[0:3], 0 offen offset:12
	v_cmp_gt_u32_e32 vcc, 23, v254
	s_waitcnt vmcnt(0)
	ds_write_b128 v6, v[2:5]
	s_waitcnt lgkmcnt(0)
	; wave barrier
	s_waitcnt lgkmcnt(0)
	s_and_saveexec_b64 s[4:5], vcc
	s_cbranch_execz .LBB123_107
; %bb.104:
	v_pk_mov_b32 v[2:3], 0, 0
	v_add_u32_e32 v8, -1, v254
	v_add_u32_e32 v9, 0x3c0, v1
	v_add_u32_e32 v10, 16, v1
	s_mov_b64 s[6:7], 0
	v_pk_mov_b32 v[4:5], v[2:3], v[2:3] op_sel:[0,1]
.LBB123_105:                            ; =>This Inner Loop Header: Depth=1
	buffer_load_dword v16, v10, s[0:3], 0 offen offset:8
	buffer_load_dword v17, v10, s[0:3], 0 offen offset:12
	buffer_load_dword v18, v10, s[0:3], 0 offen
	buffer_load_dword v19, v10, s[0:3], 0 offen offset:4
	ds_read_b128 v[12:15], v9
	v_add_u32_e32 v8, 1, v8
	v_cmp_lt_u32_e32 vcc, 21, v8
	v_add_u32_e32 v9, 16, v9
	v_add_u32_e32 v10, 16, v10
	s_or_b64 s[6:7], vcc, s[6:7]
	s_waitcnt vmcnt(2) lgkmcnt(0)
	v_mul_f64 v[20:21], v[14:15], v[16:17]
	v_mul_f64 v[16:17], v[12:13], v[16:17]
	s_waitcnt vmcnt(0)
	v_fma_f64 v[12:13], v[12:13], v[18:19], -v[20:21]
	v_fmac_f64_e32 v[16:17], v[14:15], v[18:19]
	v_add_f64 v[4:5], v[4:5], v[12:13]
	v_add_f64 v[2:3], v[2:3], v[16:17]
	s_andn2_b64 exec, exec, s[6:7]
	s_cbranch_execnz .LBB123_105
; %bb.106:
	s_or_b64 exec, exec, s[6:7]
	v_mov_b32_e32 v0, 0
	ds_read_b128 v[8:11], v0 offset:368
	s_waitcnt lgkmcnt(0)
	v_mul_f64 v[12:13], v[2:3], v[10:11]
	v_mul_f64 v[10:11], v[4:5], v[10:11]
	v_fma_f64 v[4:5], v[4:5], v[8:9], -v[12:13]
	v_fmac_f64_e32 v[10:11], v[2:3], v[8:9]
	buffer_store_dword v5, off, s[0:3], 0 offset:388
	buffer_store_dword v4, off, s[0:3], 0 offset:384
	buffer_store_dword v11, off, s[0:3], 0 offset:396
	buffer_store_dword v10, off, s[0:3], 0 offset:392
.LBB123_107:
	s_or_b64 exec, exec, s[4:5]
	v_accvgpr_read_b32 v0, a155
	s_waitcnt lgkmcnt(0)
	; wave barrier
	buffer_load_dword v2, v0, s[0:3], 0 offen
	buffer_load_dword v3, v0, s[0:3], 0 offen offset:4
	buffer_load_dword v4, v0, s[0:3], 0 offen offset:8
	buffer_load_dword v5, v0, s[0:3], 0 offen offset:12
	v_cmp_gt_u32_e32 vcc, 24, v254
	;; [unrolled: 58-line block ×36, first 2 shown]
	s_waitcnt vmcnt(0)
	ds_write_b128 v6, v[2:5]
	s_waitcnt lgkmcnt(0)
	; wave barrier
	s_waitcnt lgkmcnt(0)
	s_and_saveexec_b64 s[4:5], vcc
	s_cbranch_execz .LBB123_247
; %bb.244:
	v_pk_mov_b32 v[2:3], 0, 0
	v_add_u32_e32 v8, -1, v254
	v_add_u32_e32 v9, 0x3c0, v1
	v_add_u32_e32 v10, 16, v1
	s_mov_b64 s[6:7], 0
	v_pk_mov_b32 v[4:5], v[2:3], v[2:3] op_sel:[0,1]
.LBB123_245:                            ; =>This Inner Loop Header: Depth=1
	buffer_load_dword v16, v10, s[0:3], 0 offen offset:8
	buffer_load_dword v17, v10, s[0:3], 0 offen offset:12
	buffer_load_dword v18, v10, s[0:3], 0 offen
	buffer_load_dword v19, v10, s[0:3], 0 offen offset:4
	ds_read_b128 v[12:15], v9
	v_add_u32_e32 v8, 1, v8
	v_cmp_lt_u32_e32 vcc, 56, v8
	v_add_u32_e32 v9, 16, v9
	v_add_u32_e32 v10, 16, v10
	s_or_b64 s[6:7], vcc, s[6:7]
	s_waitcnt vmcnt(2) lgkmcnt(0)
	v_mul_f64 v[20:21], v[14:15], v[16:17]
	v_mul_f64 v[16:17], v[12:13], v[16:17]
	s_waitcnt vmcnt(0)
	v_fma_f64 v[12:13], v[12:13], v[18:19], -v[20:21]
	v_fmac_f64_e32 v[16:17], v[14:15], v[18:19]
	v_add_f64 v[4:5], v[4:5], v[12:13]
	v_add_f64 v[2:3], v[2:3], v[16:17]
	s_andn2_b64 exec, exec, s[6:7]
	s_cbranch_execnz .LBB123_245
; %bb.246:
	s_or_b64 exec, exec, s[6:7]
	v_mov_b32_e32 v0, 0
	ds_read_b128 v[8:11], v0 offset:928
	s_waitcnt lgkmcnt(0)
	v_mul_f64 v[12:13], v[2:3], v[10:11]
	v_mul_f64 v[10:11], v[4:5], v[10:11]
	v_fma_f64 v[4:5], v[4:5], v[8:9], -v[12:13]
	v_fmac_f64_e32 v[10:11], v[2:3], v[8:9]
	buffer_store_dword v5, off, s[0:3], 0 offset:948
	buffer_store_dword v4, off, s[0:3], 0 offset:944
	;; [unrolled: 1-line block ×4, first 2 shown]
.LBB123_247:
	s_or_b64 exec, exec, s[4:5]
	v_accvgpr_read_b32 v0, a120
	s_waitcnt lgkmcnt(0)
	; wave barrier
	buffer_load_dword v2, v0, s[0:3], 0 offen
	buffer_load_dword v3, v0, s[0:3], 0 offen offset:4
	buffer_load_dword v4, v0, s[0:3], 0 offen offset:8
	;; [unrolled: 1-line block ×3, first 2 shown]
	v_cmp_ne_u32_e32 vcc, 59, v254
	s_waitcnt vmcnt(0)
	ds_write_b128 v6, v[2:5]
	s_waitcnt lgkmcnt(0)
	; wave barrier
	s_waitcnt lgkmcnt(0)
	s_and_saveexec_b64 s[4:5], vcc
	s_cbranch_execz .LBB123_251
; %bb.248:
	v_pk_mov_b32 v[2:3], 0, 0
	v_add_u32_e32 v6, 0x3c0, v1
	v_add_u32_e32 v1, 16, v1
	s_mov_b64 s[6:7], 0
	v_pk_mov_b32 v[4:5], v[2:3], v[2:3] op_sel:[0,1]
.LBB123_249:                            ; =>This Inner Loop Header: Depth=1
	buffer_load_dword v12, v1, s[0:3], 0 offen offset:8
	buffer_load_dword v13, v1, s[0:3], 0 offen offset:12
	buffer_load_dword v14, v1, s[0:3], 0 offen
	buffer_load_dword v15, v1, s[0:3], 0 offen offset:4
	ds_read_b128 v[8:11], v6
	v_add_u32_e32 v7, 1, v7
	v_cmp_lt_u32_e32 vcc, 57, v7
	v_add_u32_e32 v6, 16, v6
	v_add_u32_e32 v1, 16, v1
	s_or_b64 s[6:7], vcc, s[6:7]
	s_waitcnt vmcnt(2) lgkmcnt(0)
	v_mul_f64 v[16:17], v[10:11], v[12:13]
	v_mul_f64 v[12:13], v[8:9], v[12:13]
	s_waitcnt vmcnt(0)
	v_fma_f64 v[8:9], v[8:9], v[14:15], -v[16:17]
	v_fmac_f64_e32 v[12:13], v[10:11], v[14:15]
	v_add_f64 v[4:5], v[4:5], v[8:9]
	v_add_f64 v[2:3], v[2:3], v[12:13]
	s_andn2_b64 exec, exec, s[6:7]
	s_cbranch_execnz .LBB123_249
; %bb.250:
	s_or_b64 exec, exec, s[6:7]
	v_mov_b32_e32 v0, 0
	ds_read_b128 v[6:9], v0 offset:944
	s_waitcnt lgkmcnt(0)
	v_mul_f64 v[10:11], v[2:3], v[8:9]
	v_mul_f64 v[8:9], v[4:5], v[8:9]
	v_fma_f64 v[4:5], v[4:5], v[6:7], -v[10:11]
	v_fmac_f64_e32 v[8:9], v[2:3], v[6:7]
	buffer_store_dword v5, off, s[0:3], 0 offset:964
	buffer_store_dword v4, off, s[0:3], 0 offset:960
	;; [unrolled: 1-line block ×4, first 2 shown]
.LBB123_251:
	s_or_b64 exec, exec, s[4:5]
	s_mov_b64 s[6:7], -1
	s_waitcnt lgkmcnt(0)
	; wave barrier
.LBB123_252:
	s_and_b64 vcc, exec, s[6:7]
	s_cbranch_vccz .LBB123_254
; %bb.253:
	s_lshl_b64 s[4:5], s[8:9], 2
	s_add_u32 s4, s14, s4
	s_addc_u32 s5, s15, s5
	v_mov_b32_e32 v0, 0
	global_load_dword v0, v0, s[4:5]
	s_waitcnt vmcnt(0)
	v_cmp_ne_u32_e32 vcc, 0, v0
	s_cbranch_vccz .LBB123_255
.LBB123_254:
	s_endpgm
.LBB123_255:
	v_mov_b32_e32 v0, 0x3c0
	v_lshl_add_u32 v0, v254, 4, v0
	v_accvgpr_write_b32 a180, v0
	v_cmp_eq_u32_e32 vcc, 59, v254
	s_and_saveexec_b64 s[4:5], vcc
	s_cbranch_execz .LBB123_257
; %bb.256:
	v_accvgpr_read_b32 v0, a121
	buffer_load_dword v2, v0, s[0:3], 0 offen
	buffer_load_dword v3, v0, s[0:3], 0 offen offset:4
	buffer_load_dword v4, v0, s[0:3], 0 offen offset:8
	;; [unrolled: 1-line block ×3, first 2 shown]
	v_mov_b32_e32 v0, 0
	v_accvgpr_read_b32 v1, a180
	buffer_store_dword v0, off, s[0:3], 0 offset:944
	buffer_store_dword v0, off, s[0:3], 0 offset:948
	;; [unrolled: 1-line block ×4, first 2 shown]
	s_waitcnt vmcnt(4)
	ds_write_b128 v1, v[2:5]
.LBB123_257:
	s_or_b64 exec, exec, s[4:5]
	s_waitcnt lgkmcnt(0)
	; wave barrier
	s_waitcnt lgkmcnt(0)
	buffer_load_dword v6, off, s[0:3], 0 offset:968
	buffer_load_dword v7, off, s[0:3], 0 offset:972
	;; [unrolled: 1-line block ×8, first 2 shown]
	v_mov_b32_e32 v1, 0
	ds_read_b128 v[2:5], v1 offset:1904
	v_cmp_lt_u32_e32 vcc, 57, v254
	s_waitcnt vmcnt(6) lgkmcnt(0)
	v_mul_f64 v[14:15], v[2:3], v[6:7]
	v_mul_f64 v[6:7], v[4:5], v[6:7]
	s_waitcnt vmcnt(4)
	v_fma_f64 v[2:3], v[2:3], v[8:9], -v[6:7]
	v_fmac_f64_e32 v[14:15], v[4:5], v[8:9]
	v_add_f64 v[2:3], v[2:3], 0
	v_add_f64 v[4:5], v[14:15], 0
	s_waitcnt vmcnt(2)
	v_add_f64 v[2:3], v[10:11], -v[2:3]
	s_waitcnt vmcnt(0)
	v_add_f64 v[4:5], v[12:13], -v[4:5]
	buffer_store_dword v2, off, s[0:3], 0 offset:944
	buffer_store_dword v3, off, s[0:3], 0 offset:948
	;; [unrolled: 1-line block ×4, first 2 shown]
	s_and_saveexec_b64 s[4:5], vcc
	s_cbranch_execz .LBB123_259
; %bb.258:
	v_accvgpr_read_b32 v0, a122
	buffer_load_dword v2, v0, s[0:3], 0 offen
	buffer_load_dword v3, v0, s[0:3], 0 offen offset:4
	buffer_load_dword v4, v0, s[0:3], 0 offen offset:8
	;; [unrolled: 1-line block ×3, first 2 shown]
	v_accvgpr_read_b32 v0, a180
	buffer_store_dword v1, off, s[0:3], 0 offset:928
	buffer_store_dword v1, off, s[0:3], 0 offset:932
	;; [unrolled: 1-line block ×4, first 2 shown]
	s_waitcnt vmcnt(4)
	ds_write_b128 v0, v[2:5]
.LBB123_259:
	s_or_b64 exec, exec, s[4:5]
	s_waitcnt lgkmcnt(0)
	; wave barrier
	s_waitcnt lgkmcnt(0)
	buffer_load_dword v10, off, s[0:3], 0 offset:952
	buffer_load_dword v11, off, s[0:3], 0 offset:956
	;; [unrolled: 1-line block ×12, first 2 shown]
	ds_read_b128 v[2:5], v1 offset:1888
	ds_read_b128 v[6:9], v1 offset:1904
	v_cmp_lt_u32_e32 vcc, 56, v254
	s_waitcnt vmcnt(10) lgkmcnt(1)
	v_mul_f64 v[22:23], v[2:3], v[10:11]
	v_mul_f64 v[10:11], v[4:5], v[10:11]
	s_waitcnt vmcnt(8) lgkmcnt(0)
	v_mul_f64 v[24:25], v[6:7], v[12:13]
	v_mul_f64 v[12:13], v[8:9], v[12:13]
	s_waitcnt vmcnt(6)
	v_fma_f64 v[2:3], v[2:3], v[14:15], -v[10:11]
	v_fmac_f64_e32 v[22:23], v[4:5], v[14:15]
	s_waitcnt vmcnt(4)
	v_fma_f64 v[4:5], v[6:7], v[16:17], -v[12:13]
	v_add_f64 v[2:3], v[2:3], 0
	v_fmac_f64_e32 v[24:25], v[8:9], v[16:17]
	v_add_f64 v[6:7], v[22:23], 0
	v_add_f64 v[2:3], v[2:3], v[4:5]
	;; [unrolled: 1-line block ×3, first 2 shown]
	s_waitcnt vmcnt(2)
	v_add_f64 v[2:3], v[18:19], -v[2:3]
	s_waitcnt vmcnt(0)
	v_add_f64 v[4:5], v[20:21], -v[6:7]
	buffer_store_dword v2, off, s[0:3], 0 offset:928
	buffer_store_dword v3, off, s[0:3], 0 offset:932
	;; [unrolled: 1-line block ×4, first 2 shown]
	s_and_saveexec_b64 s[4:5], vcc
	s_cbranch_execz .LBB123_261
; %bb.260:
	v_accvgpr_read_b32 v0, a123
	buffer_load_dword v2, v0, s[0:3], 0 offen
	buffer_load_dword v3, v0, s[0:3], 0 offen offset:4
	buffer_load_dword v4, v0, s[0:3], 0 offen offset:8
	;; [unrolled: 1-line block ×3, first 2 shown]
	v_mov_b32_e32 v0, 0
	v_accvgpr_read_b32 v1, a180
	buffer_store_dword v0, off, s[0:3], 0 offset:912
	buffer_store_dword v0, off, s[0:3], 0 offset:916
	buffer_store_dword v0, off, s[0:3], 0 offset:920
	buffer_store_dword v0, off, s[0:3], 0 offset:924
	s_waitcnt vmcnt(4)
	ds_write_b128 v1, v[2:5]
.LBB123_261:
	s_or_b64 exec, exec, s[4:5]
	s_waitcnt lgkmcnt(0)
	; wave barrier
	s_waitcnt lgkmcnt(0)
	buffer_load_dword v14, off, s[0:3], 0 offset:936
	buffer_load_dword v15, off, s[0:3], 0 offset:940
	;; [unrolled: 1-line block ×16, first 2 shown]
	v_mov_b32_e32 v1, 0
	ds_read_b128 v[2:5], v1 offset:1872
	ds_read_b128 v[6:9], v1 offset:1888
	;; [unrolled: 1-line block ×3, first 2 shown]
	v_cmp_lt_u32_e32 vcc, 55, v254
	s_waitcnt vmcnt(14) lgkmcnt(2)
	v_mul_f64 v[30:31], v[2:3], v[14:15]
	v_mul_f64 v[14:15], v[4:5], v[14:15]
	s_waitcnt vmcnt(12) lgkmcnt(1)
	v_mul_f64 v[32:33], v[6:7], v[16:17]
	v_mul_f64 v[16:17], v[8:9], v[16:17]
	;; [unrolled: 3-line block ×3, first 2 shown]
	s_waitcnt vmcnt(8)
	v_fma_f64 v[2:3], v[2:3], v[20:21], -v[14:15]
	v_fmac_f64_e32 v[30:31], v[4:5], v[20:21]
	s_waitcnt vmcnt(6)
	v_fma_f64 v[4:5], v[6:7], v[22:23], -v[16:17]
	v_add_f64 v[2:3], v[2:3], 0
	v_fmac_f64_e32 v[32:33], v[8:9], v[22:23]
	s_waitcnt vmcnt(4)
	v_fma_f64 v[6:7], v[10:11], v[24:25], -v[18:19]
	v_add_f64 v[8:9], v[30:31], 0
	v_add_f64 v[2:3], v[2:3], v[4:5]
	v_fmac_f64_e32 v[34:35], v[12:13], v[24:25]
	v_add_f64 v[8:9], v[8:9], v[32:33]
	v_add_f64 v[2:3], v[2:3], v[6:7]
	;; [unrolled: 1-line block ×3, first 2 shown]
	s_waitcnt vmcnt(2)
	v_add_f64 v[2:3], v[26:27], -v[2:3]
	s_waitcnt vmcnt(0)
	v_add_f64 v[4:5], v[28:29], -v[4:5]
	buffer_store_dword v2, off, s[0:3], 0 offset:912
	buffer_store_dword v3, off, s[0:3], 0 offset:916
	;; [unrolled: 1-line block ×4, first 2 shown]
	s_and_saveexec_b64 s[4:5], vcc
	s_cbranch_execz .LBB123_263
; %bb.262:
	v_accvgpr_read_b32 v0, a124
	buffer_load_dword v2, v0, s[0:3], 0 offen
	buffer_load_dword v3, v0, s[0:3], 0 offen offset:4
	buffer_load_dword v4, v0, s[0:3], 0 offen offset:8
	;; [unrolled: 1-line block ×3, first 2 shown]
	v_accvgpr_read_b32 v0, a180
	buffer_store_dword v1, off, s[0:3], 0 offset:896
	buffer_store_dword v1, off, s[0:3], 0 offset:900
	;; [unrolled: 1-line block ×4, first 2 shown]
	s_waitcnt vmcnt(4)
	ds_write_b128 v0, v[2:5]
.LBB123_263:
	s_or_b64 exec, exec, s[4:5]
	s_waitcnt lgkmcnt(0)
	; wave barrier
	s_waitcnt lgkmcnt(0)
	buffer_load_dword v18, off, s[0:3], 0 offset:920
	buffer_load_dword v19, off, s[0:3], 0 offset:924
	;; [unrolled: 1-line block ×20, first 2 shown]
	ds_read_b128 v[2:5], v1 offset:1856
	ds_read_b128 v[6:9], v1 offset:1872
	;; [unrolled: 1-line block ×4, first 2 shown]
	v_cmp_lt_u32_e32 vcc, 54, v254
	s_waitcnt vmcnt(18) lgkmcnt(3)
	v_mul_f64 v[38:39], v[2:3], v[18:19]
	v_mul_f64 v[18:19], v[4:5], v[18:19]
	s_waitcnt vmcnt(16) lgkmcnt(2)
	v_mul_f64 v[40:41], v[6:7], v[20:21]
	v_mul_f64 v[20:21], v[8:9], v[20:21]
	s_waitcnt vmcnt(14) lgkmcnt(1)
	v_mul_f64 v[42:43], v[10:11], v[22:23]
	v_mul_f64 v[22:23], v[12:13], v[22:23]
	s_waitcnt vmcnt(12) lgkmcnt(0)
	v_mul_f64 v[44:45], v[14:15], v[24:25]
	v_mul_f64 v[24:25], v[16:17], v[24:25]
	s_waitcnt vmcnt(10)
	v_fma_f64 v[2:3], v[2:3], v[26:27], -v[18:19]
	v_fmac_f64_e32 v[38:39], v[4:5], v[26:27]
	s_waitcnt vmcnt(8)
	v_fma_f64 v[4:5], v[6:7], v[28:29], -v[20:21]
	v_add_f64 v[2:3], v[2:3], 0
	v_fmac_f64_e32 v[40:41], v[8:9], v[28:29]
	s_waitcnt vmcnt(6)
	v_fma_f64 v[6:7], v[10:11], v[30:31], -v[22:23]
	v_add_f64 v[10:11], v[38:39], 0
	v_add_f64 v[2:3], v[2:3], v[4:5]
	v_fmac_f64_e32 v[42:43], v[12:13], v[30:31]
	s_waitcnt vmcnt(4)
	v_fma_f64 v[8:9], v[14:15], v[32:33], -v[24:25]
	v_add_f64 v[10:11], v[10:11], v[40:41]
	v_add_f64 v[2:3], v[2:3], v[6:7]
	v_fmac_f64_e32 v[44:45], v[16:17], v[32:33]
	v_add_f64 v[4:5], v[10:11], v[42:43]
	v_add_f64 v[2:3], v[2:3], v[8:9]
	;; [unrolled: 1-line block ×3, first 2 shown]
	s_waitcnt vmcnt(2)
	v_add_f64 v[2:3], v[34:35], -v[2:3]
	s_waitcnt vmcnt(0)
	v_add_f64 v[4:5], v[36:37], -v[4:5]
	buffer_store_dword v2, off, s[0:3], 0 offset:896
	buffer_store_dword v3, off, s[0:3], 0 offset:900
	;; [unrolled: 1-line block ×4, first 2 shown]
	s_and_saveexec_b64 s[4:5], vcc
	s_cbranch_execz .LBB123_265
; %bb.264:
	v_accvgpr_read_b32 v0, a125
	buffer_load_dword v2, v0, s[0:3], 0 offen
	buffer_load_dword v3, v0, s[0:3], 0 offen offset:4
	buffer_load_dword v4, v0, s[0:3], 0 offen offset:8
	;; [unrolled: 1-line block ×3, first 2 shown]
	v_mov_b32_e32 v0, 0
	v_accvgpr_read_b32 v1, a180
	buffer_store_dword v0, off, s[0:3], 0 offset:880
	buffer_store_dword v0, off, s[0:3], 0 offset:884
	;; [unrolled: 1-line block ×4, first 2 shown]
	s_waitcnt vmcnt(4)
	ds_write_b128 v1, v[2:5]
.LBB123_265:
	s_or_b64 exec, exec, s[4:5]
	s_waitcnt lgkmcnt(0)
	; wave barrier
	s_waitcnt lgkmcnt(0)
	buffer_load_dword v22, off, s[0:3], 0 offset:904
	buffer_load_dword v23, off, s[0:3], 0 offset:908
	;; [unrolled: 1-line block ×24, first 2 shown]
	v_mov_b32_e32 v1, 0
	ds_read_b128 v[2:5], v1 offset:1840
	ds_read_b128 v[6:9], v1 offset:1856
	;; [unrolled: 1-line block ×5, first 2 shown]
	v_cmp_lt_u32_e32 vcc, 53, v254
	s_waitcnt vmcnt(22) lgkmcnt(4)
	v_mul_f64 v[46:47], v[2:3], v[22:23]
	v_mul_f64 v[22:23], v[4:5], v[22:23]
	s_waitcnt vmcnt(20) lgkmcnt(3)
	v_mul_f64 v[48:49], v[6:7], v[24:25]
	v_mul_f64 v[24:25], v[8:9], v[24:25]
	;; [unrolled: 3-line block ×4, first 2 shown]
	s_waitcnt vmcnt(13) lgkmcnt(0)
	v_mul_f64 v[54:55], v[18:19], v[28:29]
	s_waitcnt vmcnt(11)
	v_fma_f64 v[2:3], v[2:3], v[34:35], -v[22:23]
	v_fmac_f64_e32 v[46:47], v[4:5], v[34:35]
	s_waitcnt vmcnt(9)
	v_fma_f64 v[4:5], v[6:7], v[36:37], -v[24:25]
	v_add_f64 v[2:3], v[2:3], 0
	v_fmac_f64_e32 v[48:49], v[8:9], v[36:37]
	s_waitcnt vmcnt(7)
	v_fmac_f64_e32 v[50:51], v[12:13], v[38:39]
	v_fma_f64 v[6:7], v[10:11], v[38:39], -v[26:27]
	v_add_f64 v[12:13], v[46:47], 0
	v_add_f64 v[2:3], v[2:3], v[4:5]
	v_mul_f64 v[28:29], v[20:21], v[28:29]
	s_waitcnt vmcnt(5)
	v_fma_f64 v[8:9], v[14:15], v[40:41], -v[32:33]
	v_add_f64 v[12:13], v[12:13], v[48:49]
	v_add_f64 v[2:3], v[2:3], v[6:7]
	v_fmac_f64_e32 v[52:53], v[16:17], v[40:41]
	s_waitcnt vmcnt(4)
	v_fma_f64 v[10:11], v[18:19], v[30:31], -v[28:29]
	v_add_f64 v[4:5], v[12:13], v[50:51]
	v_add_f64 v[2:3], v[2:3], v[8:9]
	v_fmac_f64_e32 v[54:55], v[20:21], v[30:31]
	v_add_f64 v[4:5], v[4:5], v[52:53]
	v_add_f64 v[2:3], v[2:3], v[10:11]
	;; [unrolled: 1-line block ×3, first 2 shown]
	s_waitcnt vmcnt(2)
	v_add_f64 v[2:3], v[42:43], -v[2:3]
	s_waitcnt vmcnt(0)
	v_add_f64 v[4:5], v[44:45], -v[4:5]
	buffer_store_dword v3, off, s[0:3], 0 offset:884
	buffer_store_dword v2, off, s[0:3], 0 offset:880
	;; [unrolled: 1-line block ×4, first 2 shown]
	s_and_saveexec_b64 s[4:5], vcc
	s_cbranch_execz .LBB123_267
; %bb.266:
	v_accvgpr_read_b32 v0, a126
	buffer_load_dword v2, v0, s[0:3], 0 offen
	buffer_load_dword v3, v0, s[0:3], 0 offen offset:4
	buffer_load_dword v4, v0, s[0:3], 0 offen offset:8
	;; [unrolled: 1-line block ×3, first 2 shown]
	v_accvgpr_read_b32 v0, a180
	buffer_store_dword v1, off, s[0:3], 0 offset:864
	buffer_store_dword v1, off, s[0:3], 0 offset:868
	;; [unrolled: 1-line block ×4, first 2 shown]
	s_waitcnt vmcnt(4)
	ds_write_b128 v0, v[2:5]
.LBB123_267:
	s_or_b64 exec, exec, s[4:5]
	s_waitcnt lgkmcnt(0)
	; wave barrier
	s_waitcnt lgkmcnt(0)
	buffer_load_dword v26, off, s[0:3], 0 offset:888
	buffer_load_dword v27, off, s[0:3], 0 offset:892
	buffer_load_dword v28, off, s[0:3], 0 offset:904
	buffer_load_dword v29, off, s[0:3], 0 offset:908
	buffer_load_dword v30, off, s[0:3], 0 offset:920
	buffer_load_dword v31, off, s[0:3], 0 offset:924
	buffer_load_dword v33, off, s[0:3], 0 offset:956
	buffer_load_dword v32, off, s[0:3], 0 offset:952
	buffer_load_dword v34, off, s[0:3], 0 offset:944
	buffer_load_dword v37, off, s[0:3], 0 offset:940
	buffer_load_dword v36, off, s[0:3], 0 offset:936
	buffer_load_dword v39, off, s[0:3], 0 offset:972
	buffer_load_dword v38, off, s[0:3], 0 offset:968
	buffer_load_dword v35, off, s[0:3], 0 offset:948
	buffer_load_dword v40, off, s[0:3], 0 offset:880
	buffer_load_dword v41, off, s[0:3], 0 offset:884
	buffer_load_dword v42, off, s[0:3], 0 offset:896
	buffer_load_dword v43, off, s[0:3], 0 offset:900
	buffer_load_dword v44, off, s[0:3], 0 offset:912
	buffer_load_dword v45, off, s[0:3], 0 offset:916
	buffer_load_dword v47, off, s[0:3], 0 offset:932
	buffer_load_dword v46, off, s[0:3], 0 offset:928
	buffer_load_dword v49, off, s[0:3], 0 offset:964
	buffer_load_dword v48, off, s[0:3], 0 offset:960
	buffer_load_dword v50, off, s[0:3], 0 offset:864
	buffer_load_dword v51, off, s[0:3], 0 offset:868
	buffer_load_dword v52, off, s[0:3], 0 offset:872
	buffer_load_dword v53, off, s[0:3], 0 offset:876
	ds_read_b128 v[2:5], v1 offset:1824
	ds_read_b128 v[6:9], v1 offset:1840
	;; [unrolled: 1-line block ×6, first 2 shown]
	v_cmp_lt_u32_e32 vcc, 52, v254
	s_waitcnt vmcnt(26) lgkmcnt(5)
	v_mul_f64 v[54:55], v[2:3], v[26:27]
	v_mul_f64 v[26:27], v[4:5], v[26:27]
	s_waitcnt vmcnt(24) lgkmcnt(4)
	v_mul_f64 v[56:57], v[6:7], v[28:29]
	v_mul_f64 v[28:29], v[8:9], v[28:29]
	;; [unrolled: 3-line block ×4, first 2 shown]
	s_waitcnt vmcnt(17)
	v_mul_f64 v[60:61], v[14:15], v[36:37]
	v_mul_f64 v[36:37], v[16:17], v[36:37]
	s_waitcnt vmcnt(15) lgkmcnt(0)
	v_mul_f64 v[64:65], v[22:23], v[38:39]
	v_mul_f64 v[38:39], v[24:25], v[38:39]
	s_waitcnt vmcnt(14)
	v_fmac_f64_e32 v[62:63], v[20:21], v[34:35]
	s_waitcnt vmcnt(12)
	v_fma_f64 v[2:3], v[2:3], v[40:41], -v[26:27]
	v_fmac_f64_e32 v[54:55], v[4:5], v[40:41]
	s_waitcnt vmcnt(10)
	v_fma_f64 v[4:5], v[6:7], v[42:43], -v[28:29]
	v_add_f64 v[2:3], v[2:3], 0
	v_fmac_f64_e32 v[56:57], v[8:9], v[42:43]
	s_waitcnt vmcnt(8)
	v_fma_f64 v[6:7], v[10:11], v[44:45], -v[30:31]
	s_waitcnt vmcnt(6)
	v_fma_f64 v[8:9], v[14:15], v[46:47], -v[36:37]
	v_add_f64 v[14:15], v[54:55], 0
	v_add_f64 v[2:3], v[2:3], v[4:5]
	v_fmac_f64_e32 v[58:59], v[12:13], v[44:45]
	v_add_f64 v[14:15], v[14:15], v[56:57]
	v_add_f64 v[2:3], v[2:3], v[6:7]
	v_fmac_f64_e32 v[60:61], v[16:17], v[46:47]
	v_fma_f64 v[10:11], v[18:19], v[34:35], -v[32:33]
	v_add_f64 v[4:5], v[14:15], v[58:59]
	v_add_f64 v[2:3], v[2:3], v[8:9]
	s_waitcnt vmcnt(4)
	v_fma_f64 v[12:13], v[22:23], v[48:49], -v[38:39]
	v_add_f64 v[4:5], v[4:5], v[60:61]
	v_add_f64 v[2:3], v[2:3], v[10:11]
	v_fmac_f64_e32 v[64:65], v[24:25], v[48:49]
	v_add_f64 v[4:5], v[4:5], v[62:63]
	v_add_f64 v[2:3], v[2:3], v[12:13]
	v_add_f64 v[4:5], v[4:5], v[64:65]
	s_waitcnt vmcnt(2)
	v_add_f64 v[2:3], v[50:51], -v[2:3]
	s_waitcnt vmcnt(0)
	v_add_f64 v[4:5], v[52:53], -v[4:5]
	buffer_store_dword v3, off, s[0:3], 0 offset:868
	buffer_store_dword v2, off, s[0:3], 0 offset:864
	;; [unrolled: 1-line block ×4, first 2 shown]
	s_and_saveexec_b64 s[4:5], vcc
	s_cbranch_execz .LBB123_269
; %bb.268:
	v_accvgpr_read_b32 v0, a127
	buffer_load_dword v2, v0, s[0:3], 0 offen
	buffer_load_dword v3, v0, s[0:3], 0 offen offset:4
	buffer_load_dword v4, v0, s[0:3], 0 offen offset:8
	;; [unrolled: 1-line block ×3, first 2 shown]
	v_mov_b32_e32 v0, 0
	v_accvgpr_read_b32 v1, a180
	buffer_store_dword v0, off, s[0:3], 0 offset:848
	buffer_store_dword v0, off, s[0:3], 0 offset:852
	;; [unrolled: 1-line block ×4, first 2 shown]
	s_waitcnt vmcnt(4)
	ds_write_b128 v1, v[2:5]
.LBB123_269:
	s_or_b64 exec, exec, s[4:5]
	v_mov_b32_e32 v1, 0
	s_waitcnt lgkmcnt(0)
	; wave barrier
	s_waitcnt lgkmcnt(0)
	ds_read_b128 v[14:17], v1 offset:1808
	ds_read_b128 v[10:13], v1 offset:1824
	;; [unrolled: 1-line block ×4, first 2 shown]
	buffer_load_dword v28, off, s[0:3], 0 offset:848
	buffer_load_dword v29, off, s[0:3], 0 offset:852
	;; [unrolled: 1-line block ×20, first 2 shown]
	v_cmp_lt_u32_e32 vcc, 51, v254
	s_waitcnt vmcnt(12) lgkmcnt(3)
	v_mul_f64 v[18:19], v[14:15], v[36:37]
	v_fmac_f64_e32 v[18:19], v[16:17], v[30:31]
	v_add_f64 v[18:19], v[18:19], 0
	v_mul_f64 v[16:17], v[16:17], v[36:37]
	s_waitcnt vmcnt(8) lgkmcnt(2)
	v_mul_f64 v[20:21], v[10:11], v[38:39]
	v_fmac_f64_e32 v[20:21], v[12:13], v[32:33]
	v_add_f64 v[18:19], v[18:19], v[20:21]
	v_fma_f64 v[14:15], v[14:15], v[30:31], -v[16:17]
	s_waitcnt vmcnt(4) lgkmcnt(1)
	v_mul_f64 v[20:21], v[6:7], v[42:43]
	v_fmac_f64_e32 v[20:21], v[8:9], v[34:35]
	v_add_f64 v[18:19], v[18:19], v[20:21]
	s_waitcnt vmcnt(0) lgkmcnt(0)
	v_mul_f64 v[20:21], v[2:3], v[46:47]
	v_fmac_f64_e32 v[20:21], v[4:5], v[44:45]
	v_add_f64 v[22:23], v[18:19], v[20:21]
	ds_read_b128 v[18:21], v1 offset:1872
	buffer_load_dword v41, off, s[0:3], 0 offset:932
	buffer_load_dword v40, off, s[0:3], 0 offset:928
	;; [unrolled: 1-line block ×4, first 2 shown]
	ds_read_b128 v[50:53], v1 offset:1888
	buffer_load_dword v57, off, s[0:3], 0 offset:948
	buffer_load_dword v56, off, s[0:3], 0 offset:944
	;; [unrolled: 1-line block ×4, first 2 shown]
	v_mul_f64 v[12:13], v[12:13], v[38:39]
	v_add_f64 v[14:15], v[14:15], 0
	v_fma_f64 v[10:11], v[10:11], v[32:33], -v[12:13]
	v_mul_f64 v[8:9], v[8:9], v[42:43]
	v_add_f64 v[10:11], v[14:15], v[10:11]
	v_fma_f64 v[6:7], v[6:7], v[34:35], -v[8:9]
	;; [unrolled: 3-line block ×3, first 2 shown]
	v_add_f64 v[2:3], v[6:7], v[2:3]
	s_waitcnt vmcnt(4) lgkmcnt(1)
	v_mul_f64 v[24:25], v[18:19], v[54:55]
	v_fmac_f64_e32 v[24:25], v[20:21], v[40:41]
	v_add_f64 v[22:23], v[22:23], v[24:25]
	s_waitcnt vmcnt(0) lgkmcnt(0)
	v_mul_f64 v[24:25], v[50:51], v[58:59]
	v_fmac_f64_e32 v[24:25], v[52:53], v[56:57]
	v_add_f64 v[60:61], v[22:23], v[24:25]
	ds_read_b128 v[22:25], v1 offset:1904
	buffer_load_dword v49, off, s[0:3], 0 offset:964
	buffer_load_dword v48, off, s[0:3], 0 offset:960
	;; [unrolled: 1-line block ×4, first 2 shown]
	v_mul_f64 v[4:5], v[20:21], v[54:55]
	v_fma_f64 v[4:5], v[18:19], v[40:41], -v[4:5]
	v_add_f64 v[2:3], v[2:3], v[4:5]
	v_mul_f64 v[4:5], v[52:53], v[58:59]
	v_fma_f64 v[4:5], v[50:51], v[56:57], -v[4:5]
	v_add_f64 v[2:3], v[2:3], v[4:5]
	s_waitcnt vmcnt(0) lgkmcnt(0)
	v_mul_f64 v[4:5], v[24:25], v[62:63]
	v_mul_f64 v[64:65], v[22:23], v[62:63]
	v_fma_f64 v[4:5], v[22:23], v[48:49], -v[4:5]
	v_fmac_f64_e32 v[64:65], v[24:25], v[48:49]
	v_add_f64 v[2:3], v[2:3], v[4:5]
	v_add_f64 v[60:61], v[60:61], v[64:65]
	v_add_f64 v[2:3], v[28:29], -v[2:3]
	v_add_f64 v[4:5], v[26:27], -v[60:61]
	buffer_store_dword v3, off, s[0:3], 0 offset:852
	buffer_store_dword v2, off, s[0:3], 0 offset:848
	;; [unrolled: 1-line block ×4, first 2 shown]
	s_and_saveexec_b64 s[4:5], vcc
	s_cbranch_execz .LBB123_271
; %bb.270:
	v_accvgpr_read_b32 v0, a128
	buffer_load_dword v2, v0, s[0:3], 0 offen
	buffer_load_dword v3, v0, s[0:3], 0 offen offset:4
	buffer_load_dword v4, v0, s[0:3], 0 offen offset:8
	;; [unrolled: 1-line block ×3, first 2 shown]
	v_accvgpr_read_b32 v0, a180
	buffer_store_dword v1, off, s[0:3], 0 offset:832
	buffer_store_dword v1, off, s[0:3], 0 offset:836
	;; [unrolled: 1-line block ×4, first 2 shown]
	s_waitcnt vmcnt(4)
	ds_write_b128 v0, v[2:5]
.LBB123_271:
	s_or_b64 exec, exec, s[4:5]
	s_waitcnt lgkmcnt(0)
	; wave barrier
	s_waitcnt lgkmcnt(0)
	ds_read_b128 v[14:17], v1 offset:1792
	ds_read_b128 v[10:13], v1 offset:1808
	;; [unrolled: 1-line block ×4, first 2 shown]
	buffer_load_dword v36, off, s[0:3], 0 offset:832
	buffer_load_dword v37, off, s[0:3], 0 offset:836
	;; [unrolled: 1-line block ×20, first 2 shown]
	v_cmp_lt_u32_e32 vcc, 50, v254
	s_waitcnt vmcnt(12) lgkmcnt(3)
	v_mul_f64 v[18:19], v[14:15], v[44:45]
	v_fmac_f64_e32 v[18:19], v[16:17], v[38:39]
	v_add_f64 v[18:19], v[18:19], 0
	v_mul_f64 v[16:17], v[16:17], v[44:45]
	s_waitcnt vmcnt(8) lgkmcnt(2)
	v_mul_f64 v[20:21], v[10:11], v[46:47]
	v_fmac_f64_e32 v[20:21], v[12:13], v[40:41]
	v_add_f64 v[18:19], v[18:19], v[20:21]
	v_fma_f64 v[14:15], v[14:15], v[38:39], -v[16:17]
	s_waitcnt vmcnt(4) lgkmcnt(1)
	v_mul_f64 v[20:21], v[6:7], v[50:51]
	v_fmac_f64_e32 v[20:21], v[8:9], v[42:43]
	v_add_f64 v[18:19], v[18:19], v[20:21]
	s_waitcnt vmcnt(0) lgkmcnt(0)
	v_mul_f64 v[20:21], v[2:3], v[54:55]
	v_fmac_f64_e32 v[20:21], v[4:5], v[52:53]
	v_add_f64 v[22:23], v[18:19], v[20:21]
	ds_read_b128 v[18:21], v1 offset:1856
	buffer_load_dword v49, off, s[0:3], 0 offset:916
	buffer_load_dword v48, off, s[0:3], 0 offset:912
	;; [unrolled: 1-line block ×4, first 2 shown]
	ds_read_b128 v[30:33], v1 offset:1872
	buffer_load_dword v61, off, s[0:3], 0 offset:932
	buffer_load_dword v60, off, s[0:3], 0 offset:928
	;; [unrolled: 1-line block ×4, first 2 shown]
	v_mul_f64 v[12:13], v[12:13], v[46:47]
	v_add_f64 v[14:15], v[14:15], 0
	v_fma_f64 v[10:11], v[10:11], v[40:41], -v[12:13]
	v_mul_f64 v[8:9], v[8:9], v[50:51]
	v_add_f64 v[10:11], v[14:15], v[10:11]
	v_fma_f64 v[6:7], v[6:7], v[42:43], -v[8:9]
	;; [unrolled: 3-line block ×3, first 2 shown]
	v_add_f64 v[2:3], v[6:7], v[2:3]
	s_waitcnt vmcnt(4) lgkmcnt(1)
	v_mul_f64 v[24:25], v[18:19], v[64:65]
	v_fmac_f64_e32 v[24:25], v[20:21], v[48:49]
	v_add_f64 v[22:23], v[22:23], v[24:25]
	s_waitcnt vmcnt(0) lgkmcnt(0)
	v_mul_f64 v[24:25], v[30:31], v[62:63]
	v_fmac_f64_e32 v[24:25], v[32:33], v[60:61]
	v_add_f64 v[26:27], v[22:23], v[24:25]
	ds_read_b128 v[22:25], v1 offset:1888
	buffer_load_dword v57, off, s[0:3], 0 offset:948
	buffer_load_dword v56, off, s[0:3], 0 offset:944
	;; [unrolled: 1-line block ×4, first 2 shown]
	v_mul_f64 v[4:5], v[20:21], v[64:65]
	v_fma_f64 v[4:5], v[18:19], v[48:49], -v[4:5]
	v_add_f64 v[2:3], v[2:3], v[4:5]
	v_mul_f64 v[4:5], v[32:33], v[62:63]
	v_fma_f64 v[4:5], v[30:31], v[60:61], -v[4:5]
	v_add_f64 v[2:3], v[2:3], v[4:5]
	s_waitcnt vmcnt(0) lgkmcnt(0)
	v_mul_f64 v[28:29], v[22:23], v[66:67]
	v_fmac_f64_e32 v[28:29], v[24:25], v[56:57]
	v_add_f64 v[68:69], v[26:27], v[28:29]
	ds_read_b128 v[26:29], v1 offset:1904
	buffer_load_dword v59, off, s[0:3], 0 offset:964
	buffer_load_dword v58, off, s[0:3], 0 offset:960
	;; [unrolled: 1-line block ×4, first 2 shown]
	v_mul_f64 v[4:5], v[24:25], v[66:67]
	v_fma_f64 v[4:5], v[22:23], v[56:57], -v[4:5]
	v_add_f64 v[2:3], v[2:3], v[4:5]
	s_waitcnt vmcnt(0) lgkmcnt(0)
	v_mul_f64 v[4:5], v[28:29], v[70:71]
	v_mul_f64 v[72:73], v[26:27], v[70:71]
	v_fma_f64 v[4:5], v[26:27], v[58:59], -v[4:5]
	v_fmac_f64_e32 v[72:73], v[28:29], v[58:59]
	v_add_f64 v[2:3], v[2:3], v[4:5]
	v_add_f64 v[68:69], v[68:69], v[72:73]
	v_add_f64 v[2:3], v[36:37], -v[2:3]
	v_add_f64 v[4:5], v[34:35], -v[68:69]
	buffer_store_dword v3, off, s[0:3], 0 offset:836
	buffer_store_dword v2, off, s[0:3], 0 offset:832
	;; [unrolled: 1-line block ×4, first 2 shown]
	s_and_saveexec_b64 s[4:5], vcc
	s_cbranch_execz .LBB123_273
; %bb.272:
	v_accvgpr_read_b32 v0, a129
	buffer_load_dword v2, v0, s[0:3], 0 offen
	buffer_load_dword v3, v0, s[0:3], 0 offen offset:4
	buffer_load_dword v4, v0, s[0:3], 0 offen offset:8
	;; [unrolled: 1-line block ×3, first 2 shown]
	v_mov_b32_e32 v0, 0
	v_accvgpr_read_b32 v1, a180
	buffer_store_dword v0, off, s[0:3], 0 offset:816
	buffer_store_dword v0, off, s[0:3], 0 offset:820
	;; [unrolled: 1-line block ×4, first 2 shown]
	s_waitcnt vmcnt(4)
	ds_write_b128 v1, v[2:5]
.LBB123_273:
	s_or_b64 exec, exec, s[4:5]
	v_mov_b32_e32 v1, 0
	s_waitcnt lgkmcnt(0)
	; wave barrier
	s_waitcnt lgkmcnt(0)
	ds_read_b128 v[18:21], v1 offset:1776
	ds_read_b128 v[14:17], v1 offset:1792
	;; [unrolled: 1-line block ×4, first 2 shown]
	buffer_load_dword v40, off, s[0:3], 0 offset:816
	buffer_load_dword v41, off, s[0:3], 0 offset:820
	;; [unrolled: 1-line block ×20, first 2 shown]
	v_cmp_lt_u32_e32 vcc, 49, v254
	s_waitcnt vmcnt(12) lgkmcnt(3)
	v_mul_f64 v[6:7], v[18:19], v[56:57]
	v_fmac_f64_e32 v[6:7], v[20:21], v[44:45]
	v_add_f64 v[6:7], v[6:7], 0
	v_mul_f64 v[20:21], v[20:21], v[56:57]
	s_waitcnt vmcnt(8) lgkmcnt(2)
	v_mul_f64 v[8:9], v[14:15], v[54:55]
	v_fmac_f64_e32 v[8:9], v[16:17], v[50:51]
	v_add_f64 v[6:7], v[6:7], v[8:9]
	v_fma_f64 v[18:19], v[18:19], v[44:45], -v[20:21]
	s_waitcnt vmcnt(4) lgkmcnt(1)
	v_mul_f64 v[8:9], v[10:11], v[52:53]
	v_fmac_f64_e32 v[8:9], v[12:13], v[48:49]
	v_add_f64 v[6:7], v[6:7], v[8:9]
	s_waitcnt vmcnt(0) lgkmcnt(0)
	v_mul_f64 v[8:9], v[2:3], v[58:59]
	v_fmac_f64_e32 v[8:9], v[4:5], v[46:47]
	v_add_f64 v[22:23], v[6:7], v[8:9]
	ds_read_b128 v[6:9], v1 offset:1840
	buffer_load_dword v43, off, s[0:3], 0 offset:900
	buffer_load_dword v42, off, s[0:3], 0 offset:896
	;; [unrolled: 1-line block ×4, first 2 shown]
	v_mul_f64 v[16:17], v[16:17], v[54:55]
	v_add_f64 v[18:19], v[18:19], 0
	v_fma_f64 v[14:15], v[14:15], v[50:51], -v[16:17]
	v_mul_f64 v[12:13], v[12:13], v[52:53]
	v_add_f64 v[14:15], v[18:19], v[14:15]
	v_fma_f64 v[10:11], v[10:11], v[48:49], -v[12:13]
	;; [unrolled: 3-line block ×3, first 2 shown]
	v_add_f64 v[2:3], v[10:11], v[2:3]
	s_waitcnt vmcnt(0) lgkmcnt(0)
	v_mul_f64 v[24:25], v[6:7], v[60:61]
	v_fmac_f64_e32 v[24:25], v[8:9], v[42:43]
	v_add_f64 v[26:27], v[22:23], v[24:25]
	ds_read_b128 v[22:25], v1 offset:1856
	buffer_load_dword v63, off, s[0:3], 0 offset:916
	buffer_load_dword v62, off, s[0:3], 0 offset:912
	buffer_load_dword v65, off, s[0:3], 0 offset:924
	buffer_load_dword v64, off, s[0:3], 0 offset:920
	v_mul_f64 v[4:5], v[8:9], v[60:61]
	v_fma_f64 v[4:5], v[6:7], v[42:43], -v[4:5]
	v_add_f64 v[2:3], v[2:3], v[4:5]
	s_waitcnt vmcnt(0) lgkmcnt(0)
	v_mul_f64 v[28:29], v[22:23], v[64:65]
	v_fmac_f64_e32 v[28:29], v[24:25], v[62:63]
	v_add_f64 v[30:31], v[26:27], v[28:29]
	ds_read_b128 v[26:29], v1 offset:1872
	buffer_load_dword v67, off, s[0:3], 0 offset:932
	buffer_load_dword v66, off, s[0:3], 0 offset:928
	buffer_load_dword v69, off, s[0:3], 0 offset:940
	buffer_load_dword v68, off, s[0:3], 0 offset:936
	v_mul_f64 v[4:5], v[24:25], v[64:65]
	v_fma_f64 v[4:5], v[22:23], v[62:63], -v[4:5]
	;; [unrolled: 12-line block ×4, first 2 shown]
	v_add_f64 v[2:3], v[2:3], v[4:5]
	s_waitcnt vmcnt(0) lgkmcnt(0)
	v_mul_f64 v[4:5], v[36:37], v[76:77]
	v_mul_f64 v[80:81], v[34:35], v[76:77]
	v_fma_f64 v[4:5], v[34:35], v[74:75], -v[4:5]
	v_fmac_f64_e32 v[80:81], v[36:37], v[74:75]
	v_add_f64 v[2:3], v[2:3], v[4:5]
	v_add_f64 v[78:79], v[78:79], v[80:81]
	v_add_f64 v[2:3], v[40:41], -v[2:3]
	v_add_f64 v[4:5], v[38:39], -v[78:79]
	buffer_store_dword v3, off, s[0:3], 0 offset:820
	buffer_store_dword v2, off, s[0:3], 0 offset:816
	;; [unrolled: 1-line block ×4, first 2 shown]
	s_and_saveexec_b64 s[4:5], vcc
	s_cbranch_execz .LBB123_275
; %bb.274:
	v_accvgpr_read_b32 v0, a130
	buffer_load_dword v2, v0, s[0:3], 0 offen
	buffer_load_dword v3, v0, s[0:3], 0 offen offset:4
	buffer_load_dword v4, v0, s[0:3], 0 offen offset:8
	;; [unrolled: 1-line block ×3, first 2 shown]
	v_accvgpr_read_b32 v0, a180
	buffer_store_dword v1, off, s[0:3], 0 offset:800
	buffer_store_dword v1, off, s[0:3], 0 offset:804
	;; [unrolled: 1-line block ×4, first 2 shown]
	s_waitcnt vmcnt(4)
	ds_write_b128 v0, v[2:5]
.LBB123_275:
	s_or_b64 exec, exec, s[4:5]
	s_waitcnt lgkmcnt(0)
	; wave barrier
	s_waitcnt lgkmcnt(0)
	ds_read_b128 v[18:21], v1 offset:1760
	ds_read_b128 v[10:13], v1 offset:1776
	;; [unrolled: 1-line block ×4, first 2 shown]
	buffer_load_dword v44, off, s[0:3], 0 offset:800
	buffer_load_dword v45, off, s[0:3], 0 offset:804
	;; [unrolled: 1-line block ×20, first 2 shown]
	v_cmp_lt_u32_e32 vcc, 48, v254
	s_waitcnt vmcnt(12) lgkmcnt(3)
	v_mul_f64 v[14:15], v[18:19], v[62:63]
	v_fmac_f64_e32 v[14:15], v[20:21], v[58:59]
	v_add_f64 v[14:15], v[14:15], 0
	v_mul_f64 v[20:21], v[20:21], v[62:63]
	s_waitcnt vmcnt(8) lgkmcnt(2)
	v_mul_f64 v[16:17], v[10:11], v[60:61]
	v_fmac_f64_e32 v[16:17], v[12:13], v[56:57]
	v_add_f64 v[14:15], v[14:15], v[16:17]
	v_fma_f64 v[18:19], v[18:19], v[58:59], -v[20:21]
	s_waitcnt vmcnt(4) lgkmcnt(1)
	v_mul_f64 v[16:17], v[6:7], v[48:49]
	v_fmac_f64_e32 v[16:17], v[8:9], v[46:47]
	v_add_f64 v[14:15], v[14:15], v[16:17]
	s_waitcnt vmcnt(0) lgkmcnt(0)
	v_mul_f64 v[16:17], v[2:3], v[52:53]
	v_fmac_f64_e32 v[16:17], v[4:5], v[50:51]
	v_add_f64 v[22:23], v[14:15], v[16:17]
	ds_read_b128 v[14:17], v1 offset:1824
	buffer_load_dword v55, off, s[0:3], 0 offset:884
	buffer_load_dword v54, off, s[0:3], 0 offset:880
	;; [unrolled: 1-line block ×4, first 2 shown]
	v_mul_f64 v[12:13], v[12:13], v[60:61]
	v_add_f64 v[18:19], v[18:19], 0
	v_fma_f64 v[10:11], v[10:11], v[56:57], -v[12:13]
	v_mul_f64 v[8:9], v[8:9], v[48:49]
	v_add_f64 v[10:11], v[18:19], v[10:11]
	v_fma_f64 v[6:7], v[6:7], v[46:47], -v[8:9]
	;; [unrolled: 3-line block ×3, first 2 shown]
	v_add_f64 v[2:3], v[6:7], v[2:3]
	s_waitcnt vmcnt(0) lgkmcnt(0)
	v_mul_f64 v[24:25], v[14:15], v[64:65]
	v_fmac_f64_e32 v[24:25], v[16:17], v[54:55]
	v_add_f64 v[26:27], v[22:23], v[24:25]
	ds_read_b128 v[22:25], v1 offset:1840
	buffer_load_dword v67, off, s[0:3], 0 offset:900
	buffer_load_dword v66, off, s[0:3], 0 offset:896
	buffer_load_dword v69, off, s[0:3], 0 offset:908
	buffer_load_dword v68, off, s[0:3], 0 offset:904
	v_mul_f64 v[4:5], v[16:17], v[64:65]
	v_fma_f64 v[4:5], v[14:15], v[54:55], -v[4:5]
	v_add_f64 v[2:3], v[2:3], v[4:5]
	s_waitcnt vmcnt(0) lgkmcnt(0)
	v_mul_f64 v[28:29], v[22:23], v[68:69]
	v_fmac_f64_e32 v[28:29], v[24:25], v[66:67]
	v_add_f64 v[30:31], v[26:27], v[28:29]
	ds_read_b128 v[26:29], v1 offset:1856
	buffer_load_dword v71, off, s[0:3], 0 offset:916
	buffer_load_dword v70, off, s[0:3], 0 offset:912
	buffer_load_dword v73, off, s[0:3], 0 offset:924
	buffer_load_dword v72, off, s[0:3], 0 offset:920
	v_mul_f64 v[4:5], v[24:25], v[68:69]
	v_fma_f64 v[4:5], v[22:23], v[66:67], -v[4:5]
	;; [unrolled: 12-line block ×5, first 2 shown]
	v_add_f64 v[2:3], v[2:3], v[4:5]
	s_waitcnt vmcnt(0) lgkmcnt(0)
	v_mul_f64 v[4:5], v[40:41], v[86:87]
	v_mul_f64 v[88:89], v[38:39], v[86:87]
	v_fma_f64 v[4:5], v[38:39], v[82:83], -v[4:5]
	v_fmac_f64_e32 v[88:89], v[40:41], v[82:83]
	v_add_f64 v[2:3], v[2:3], v[4:5]
	v_add_f64 v[84:85], v[84:85], v[88:89]
	v_add_f64 v[2:3], v[44:45], -v[2:3]
	v_add_f64 v[4:5], v[42:43], -v[84:85]
	buffer_store_dword v3, off, s[0:3], 0 offset:804
	buffer_store_dword v2, off, s[0:3], 0 offset:800
	;; [unrolled: 1-line block ×4, first 2 shown]
	s_and_saveexec_b64 s[4:5], vcc
	s_cbranch_execz .LBB123_277
; %bb.276:
	v_accvgpr_read_b32 v0, a131
	buffer_load_dword v2, v0, s[0:3], 0 offen
	buffer_load_dword v3, v0, s[0:3], 0 offen offset:4
	buffer_load_dword v4, v0, s[0:3], 0 offen offset:8
	;; [unrolled: 1-line block ×3, first 2 shown]
	v_mov_b32_e32 v0, 0
	v_accvgpr_read_b32 v1, a180
	buffer_store_dword v0, off, s[0:3], 0 offset:784
	buffer_store_dword v0, off, s[0:3], 0 offset:788
	;; [unrolled: 1-line block ×4, first 2 shown]
	s_waitcnt vmcnt(4)
	ds_write_b128 v1, v[2:5]
.LBB123_277:
	s_or_b64 exec, exec, s[4:5]
	v_mov_b32_e32 v1, 0
	s_waitcnt lgkmcnt(0)
	; wave barrier
	s_waitcnt lgkmcnt(0)
	ds_read_b128 v[14:17], v1 offset:1744
	ds_read_b128 v[10:13], v1 offset:1760
	ds_read_b128 v[6:9], v1 offset:1776
	ds_read_b128 v[2:5], v1 offset:1792
	buffer_load_dword v48, off, s[0:3], 0 offset:784
	buffer_load_dword v49, off, s[0:3], 0 offset:788
	;; [unrolled: 1-line block ×20, first 2 shown]
	v_cmp_lt_u32_e32 vcc, 47, v254
	s_waitcnt vmcnt(12) lgkmcnt(3)
	v_mul_f64 v[18:19], v[14:15], v[56:57]
	v_fmac_f64_e32 v[18:19], v[16:17], v[50:51]
	v_add_f64 v[18:19], v[18:19], 0
	v_mul_f64 v[16:17], v[16:17], v[56:57]
	s_waitcnt vmcnt(8) lgkmcnt(2)
	v_mul_f64 v[20:21], v[10:11], v[58:59]
	v_fmac_f64_e32 v[20:21], v[12:13], v[52:53]
	v_add_f64 v[18:19], v[18:19], v[20:21]
	v_fma_f64 v[14:15], v[14:15], v[50:51], -v[16:17]
	s_waitcnt vmcnt(4) lgkmcnt(1)
	v_mul_f64 v[20:21], v[6:7], v[60:61]
	v_fmac_f64_e32 v[20:21], v[8:9], v[54:55]
	v_add_f64 v[18:19], v[18:19], v[20:21]
	s_waitcnt vmcnt(0) lgkmcnt(0)
	v_mul_f64 v[20:21], v[2:3], v[64:65]
	v_fmac_f64_e32 v[20:21], v[4:5], v[62:63]
	v_add_f64 v[22:23], v[18:19], v[20:21]
	ds_read_b128 v[18:21], v1 offset:1808
	buffer_load_dword v67, off, s[0:3], 0 offset:868
	buffer_load_dword v66, off, s[0:3], 0 offset:864
	;; [unrolled: 1-line block ×4, first 2 shown]
	v_mul_f64 v[12:13], v[12:13], v[58:59]
	v_add_f64 v[14:15], v[14:15], 0
	v_fma_f64 v[10:11], v[10:11], v[52:53], -v[12:13]
	v_mul_f64 v[8:9], v[8:9], v[60:61]
	v_add_f64 v[10:11], v[14:15], v[10:11]
	v_fma_f64 v[6:7], v[6:7], v[54:55], -v[8:9]
	;; [unrolled: 3-line block ×3, first 2 shown]
	v_add_f64 v[2:3], v[6:7], v[2:3]
	s_waitcnt vmcnt(0) lgkmcnt(0)
	v_mul_f64 v[24:25], v[18:19], v[68:69]
	v_fmac_f64_e32 v[24:25], v[20:21], v[66:67]
	v_add_f64 v[26:27], v[22:23], v[24:25]
	ds_read_b128 v[22:25], v1 offset:1824
	buffer_load_dword v71, off, s[0:3], 0 offset:884
	buffer_load_dword v70, off, s[0:3], 0 offset:880
	buffer_load_dword v73, off, s[0:3], 0 offset:892
	buffer_load_dword v72, off, s[0:3], 0 offset:888
	v_mul_f64 v[4:5], v[20:21], v[68:69]
	v_fma_f64 v[4:5], v[18:19], v[66:67], -v[4:5]
	v_add_f64 v[2:3], v[2:3], v[4:5]
	s_waitcnt vmcnt(0) lgkmcnt(0)
	v_mul_f64 v[28:29], v[22:23], v[72:73]
	v_fmac_f64_e32 v[28:29], v[24:25], v[70:71]
	v_add_f64 v[30:31], v[26:27], v[28:29]
	ds_read_b128 v[26:29], v1 offset:1840
	buffer_load_dword v75, off, s[0:3], 0 offset:900
	buffer_load_dword v74, off, s[0:3], 0 offset:896
	buffer_load_dword v77, off, s[0:3], 0 offset:908
	buffer_load_dword v76, off, s[0:3], 0 offset:904
	v_mul_f64 v[4:5], v[24:25], v[72:73]
	v_fma_f64 v[4:5], v[22:23], v[70:71], -v[4:5]
	v_add_f64 v[2:3], v[2:3], v[4:5]
	s_waitcnt vmcnt(0) lgkmcnt(0)
	v_mul_f64 v[32:33], v[26:27], v[76:77]
	v_fmac_f64_e32 v[32:33], v[28:29], v[74:75]
	v_add_f64 v[34:35], v[30:31], v[32:33]
	ds_read_b128 v[30:33], v1 offset:1856
	buffer_load_dword v79, off, s[0:3], 0 offset:916
	buffer_load_dword v78, off, s[0:3], 0 offset:912
	buffer_load_dword v81, off, s[0:3], 0 offset:924
	buffer_load_dword v80, off, s[0:3], 0 offset:920
	v_mul_f64 v[4:5], v[28:29], v[76:77]
	v_fma_f64 v[4:5], v[26:27], v[74:75], -v[4:5]
	v_add_f64 v[2:3], v[2:3], v[4:5]
	s_waitcnt vmcnt(0) lgkmcnt(0)
	v_mul_f64 v[36:37], v[30:31], v[80:81]
	v_fmac_f64_e32 v[36:37], v[32:33], v[78:79]
	v_add_f64 v[38:39], v[34:35], v[36:37]
	ds_read_b128 v[34:37], v1 offset:1872
	buffer_load_dword v83, off, s[0:3], 0 offset:932
	buffer_load_dword v82, off, s[0:3], 0 offset:928
	buffer_load_dword v85, off, s[0:3], 0 offset:940
	buffer_load_dword v84, off, s[0:3], 0 offset:936
	v_mul_f64 v[4:5], v[32:33], v[80:81]
	v_fma_f64 v[4:5], v[30:31], v[78:79], -v[4:5]
	v_add_f64 v[2:3], v[2:3], v[4:5]
	s_waitcnt vmcnt(0) lgkmcnt(0)
	v_mul_f64 v[40:41], v[34:35], v[84:85]
	v_fmac_f64_e32 v[40:41], v[36:37], v[82:83]
	v_add_f64 v[42:43], v[38:39], v[40:41]
	ds_read_b128 v[38:41], v1 offset:1888
	buffer_load_dword v87, off, s[0:3], 0 offset:948
	buffer_load_dword v86, off, s[0:3], 0 offset:944
	buffer_load_dword v89, off, s[0:3], 0 offset:956
	buffer_load_dword v88, off, s[0:3], 0 offset:952
	v_mul_f64 v[4:5], v[36:37], v[84:85]
	v_fma_f64 v[4:5], v[34:35], v[82:83], -v[4:5]
	v_add_f64 v[2:3], v[2:3], v[4:5]
	s_waitcnt vmcnt(0) lgkmcnt(0)
	v_mul_f64 v[44:45], v[38:39], v[88:89]
	v_fmac_f64_e32 v[44:45], v[40:41], v[86:87]
	v_add_f64 v[94:95], v[42:43], v[44:45]
	ds_read_b128 v[42:45], v1 offset:1904
	buffer_load_dword v91, off, s[0:3], 0 offset:964
	buffer_load_dword v90, off, s[0:3], 0 offset:960
	buffer_load_dword v93, off, s[0:3], 0 offset:972
	buffer_load_dword v92, off, s[0:3], 0 offset:968
	v_mul_f64 v[4:5], v[40:41], v[88:89]
	v_fma_f64 v[4:5], v[38:39], v[86:87], -v[4:5]
	v_add_f64 v[2:3], v[2:3], v[4:5]
	s_waitcnt vmcnt(0) lgkmcnt(0)
	v_mul_f64 v[4:5], v[44:45], v[92:93]
	v_mul_f64 v[96:97], v[42:43], v[92:93]
	v_fma_f64 v[4:5], v[42:43], v[90:91], -v[4:5]
	v_fmac_f64_e32 v[96:97], v[44:45], v[90:91]
	v_add_f64 v[2:3], v[2:3], v[4:5]
	v_add_f64 v[94:95], v[94:95], v[96:97]
	v_add_f64 v[2:3], v[48:49], -v[2:3]
	v_add_f64 v[4:5], v[46:47], -v[94:95]
	buffer_store_dword v3, off, s[0:3], 0 offset:788
	buffer_store_dword v2, off, s[0:3], 0 offset:784
	;; [unrolled: 1-line block ×4, first 2 shown]
	s_and_saveexec_b64 s[4:5], vcc
	s_cbranch_execz .LBB123_279
; %bb.278:
	v_accvgpr_read_b32 v0, a132
	buffer_load_dword v2, v0, s[0:3], 0 offen
	buffer_load_dword v3, v0, s[0:3], 0 offen offset:4
	buffer_load_dword v4, v0, s[0:3], 0 offen offset:8
	;; [unrolled: 1-line block ×3, first 2 shown]
	v_accvgpr_read_b32 v0, a180
	buffer_store_dword v1, off, s[0:3], 0 offset:768
	buffer_store_dword v1, off, s[0:3], 0 offset:772
	;; [unrolled: 1-line block ×4, first 2 shown]
	s_waitcnt vmcnt(4)
	ds_write_b128 v0, v[2:5]
.LBB123_279:
	s_or_b64 exec, exec, s[4:5]
	s_waitcnt lgkmcnt(0)
	; wave barrier
	s_waitcnt lgkmcnt(0)
	ds_read_b128 v[14:17], v1 offset:1728
	ds_read_b128 v[10:13], v1 offset:1744
	;; [unrolled: 1-line block ×4, first 2 shown]
	buffer_load_dword v48, off, s[0:3], 0 offset:768
	buffer_load_dword v49, off, s[0:3], 0 offset:772
	;; [unrolled: 1-line block ×20, first 2 shown]
	v_cmp_lt_u32_e32 vcc, 46, v254
	s_waitcnt vmcnt(12) lgkmcnt(3)
	v_mul_f64 v[18:19], v[14:15], v[56:57]
	v_fmac_f64_e32 v[18:19], v[16:17], v[50:51]
	v_add_f64 v[18:19], v[18:19], 0
	v_mul_f64 v[16:17], v[16:17], v[56:57]
	s_waitcnt vmcnt(8) lgkmcnt(2)
	v_mul_f64 v[20:21], v[10:11], v[58:59]
	v_fmac_f64_e32 v[20:21], v[12:13], v[52:53]
	v_add_f64 v[18:19], v[18:19], v[20:21]
	v_fma_f64 v[14:15], v[14:15], v[50:51], -v[16:17]
	s_waitcnt vmcnt(4) lgkmcnt(1)
	v_mul_f64 v[20:21], v[6:7], v[60:61]
	v_fmac_f64_e32 v[20:21], v[8:9], v[54:55]
	v_add_f64 v[18:19], v[18:19], v[20:21]
	s_waitcnt vmcnt(0) lgkmcnt(0)
	v_mul_f64 v[20:21], v[2:3], v[64:65]
	v_fmac_f64_e32 v[20:21], v[4:5], v[62:63]
	v_add_f64 v[22:23], v[18:19], v[20:21]
	ds_read_b128 v[18:21], v1 offset:1792
	buffer_load_dword v67, off, s[0:3], 0 offset:852
	buffer_load_dword v66, off, s[0:3], 0 offset:848
	buffer_load_dword v69, off, s[0:3], 0 offset:860
	buffer_load_dword v68, off, s[0:3], 0 offset:856
	v_mul_f64 v[12:13], v[12:13], v[58:59]
	v_add_f64 v[14:15], v[14:15], 0
	v_fma_f64 v[10:11], v[10:11], v[52:53], -v[12:13]
	v_mul_f64 v[8:9], v[8:9], v[60:61]
	v_add_f64 v[10:11], v[14:15], v[10:11]
	v_fma_f64 v[6:7], v[6:7], v[54:55], -v[8:9]
	;; [unrolled: 3-line block ×3, first 2 shown]
	v_add_f64 v[2:3], v[6:7], v[2:3]
	s_waitcnt vmcnt(0) lgkmcnt(0)
	v_mul_f64 v[24:25], v[18:19], v[68:69]
	v_fmac_f64_e32 v[24:25], v[20:21], v[66:67]
	v_add_f64 v[26:27], v[22:23], v[24:25]
	ds_read_b128 v[22:25], v1 offset:1808
	buffer_load_dword v71, off, s[0:3], 0 offset:868
	buffer_load_dword v70, off, s[0:3], 0 offset:864
	buffer_load_dword v73, off, s[0:3], 0 offset:876
	buffer_load_dword v72, off, s[0:3], 0 offset:872
	v_mul_f64 v[4:5], v[20:21], v[68:69]
	v_fma_f64 v[4:5], v[18:19], v[66:67], -v[4:5]
	v_add_f64 v[2:3], v[2:3], v[4:5]
	s_waitcnt vmcnt(0) lgkmcnt(0)
	v_mul_f64 v[28:29], v[22:23], v[72:73]
	v_fmac_f64_e32 v[28:29], v[24:25], v[70:71]
	v_add_f64 v[30:31], v[26:27], v[28:29]
	ds_read_b128 v[26:29], v1 offset:1824
	buffer_load_dword v75, off, s[0:3], 0 offset:884
	buffer_load_dword v74, off, s[0:3], 0 offset:880
	buffer_load_dword v77, off, s[0:3], 0 offset:892
	buffer_load_dword v76, off, s[0:3], 0 offset:888
	v_mul_f64 v[4:5], v[24:25], v[72:73]
	v_fma_f64 v[4:5], v[22:23], v[70:71], -v[4:5]
	;; [unrolled: 12-line block ×7, first 2 shown]
	v_add_f64 v[2:3], v[2:3], v[4:5]
	s_waitcnt vmcnt(0) lgkmcnt(0)
	v_mul_f64 v[4:5], v[96:97], v[102:103]
	v_mul_f64 v[104:105], v[94:95], v[102:103]
	v_fma_f64 v[4:5], v[94:95], v[100:101], -v[4:5]
	v_fmac_f64_e32 v[104:105], v[96:97], v[100:101]
	v_add_f64 v[2:3], v[2:3], v[4:5]
	v_add_f64 v[98:99], v[98:99], v[104:105]
	v_add_f64 v[2:3], v[48:49], -v[2:3]
	v_add_f64 v[4:5], v[46:47], -v[98:99]
	buffer_store_dword v3, off, s[0:3], 0 offset:772
	buffer_store_dword v2, off, s[0:3], 0 offset:768
	;; [unrolled: 1-line block ×4, first 2 shown]
	s_and_saveexec_b64 s[4:5], vcc
	s_cbranch_execz .LBB123_281
; %bb.280:
	v_accvgpr_read_b32 v0, a133
	buffer_load_dword v2, v0, s[0:3], 0 offen
	buffer_load_dword v3, v0, s[0:3], 0 offen offset:4
	buffer_load_dword v4, v0, s[0:3], 0 offen offset:8
	;; [unrolled: 1-line block ×3, first 2 shown]
	v_mov_b32_e32 v0, 0
	v_accvgpr_read_b32 v1, a180
	buffer_store_dword v0, off, s[0:3], 0 offset:752
	buffer_store_dword v0, off, s[0:3], 0 offset:756
	;; [unrolled: 1-line block ×4, first 2 shown]
	s_waitcnt vmcnt(4)
	ds_write_b128 v1, v[2:5]
.LBB123_281:
	s_or_b64 exec, exec, s[4:5]
	s_waitcnt lgkmcnt(0)
	; wave barrier
	s_waitcnt lgkmcnt(0)
	buffer_load_dword v2, off, s[0:3], 0 offset:768
	buffer_load_dword v3, off, s[0:3], 0 offset:772
	;; [unrolled: 1-line block ×56, first 2 shown]
	v_mov_b32_e32 v1, 0
	ds_read_b128 v[30:33], v1 offset:1712
	ds_read_b128 v[34:37], v1 offset:1728
	;; [unrolled: 1-line block ×9, first 2 shown]
	v_cmp_lt_u32_e32 vcc, 45, v254
	s_waitcnt vmcnt(52) lgkmcnt(8)
	v_mul_f64 v[62:63], v[30:31], v[6:7]
	v_fmac_f64_e32 v[62:63], v[32:33], v[2:3]
	v_mul_f64 v[6:7], v[32:33], v[6:7]
	v_add_f64 v[62:63], v[62:63], 0
	s_waitcnt vmcnt(48) lgkmcnt(7)
	v_mul_f64 v[64:65], v[34:35], v[8:9]
	v_fmac_f64_e32 v[64:65], v[36:37], v[4:5]
	s_waitcnt vmcnt(46) lgkmcnt(6)
	v_mul_f64 v[66:67], v[38:39], v[10:11]
	v_fma_f64 v[2:3], v[30:31], v[2:3], -v[6:7]
	v_mul_f64 v[6:7], v[36:37], v[8:9]
	s_waitcnt vmcnt(44) lgkmcnt(5)
	v_mul_f64 v[68:69], v[42:43], v[12:13]
	v_add_f64 v[62:63], v[62:63], v[64:65]
	v_add_f64 v[2:3], v[2:3], 0
	v_fma_f64 v[4:5], v[34:35], v[4:5], -v[6:7]
	v_add_f64 v[2:3], v[2:3], v[4:5]
	v_mul_f64 v[4:5], v[40:41], v[10:11]
	s_waitcnt vmcnt(37) lgkmcnt(4)
	v_mul_f64 v[70:71], v[46:47], v[20:21]
	s_waitcnt lgkmcnt(3)
	v_mul_f64 v[72:73], v[50:51], v[18:19]
	s_waitcnt vmcnt(35)
	v_fmac_f64_e32 v[70:71], v[48:49], v[22:23]
	s_waitcnt lgkmcnt(2)
	v_mul_f64 v[74:75], v[54:55], v[14:15]
	s_waitcnt vmcnt(33)
	v_fmac_f64_e32 v[66:67], v[40:41], v[28:29]
	v_add_f64 v[62:63], v[62:63], v[66:67]
	s_waitcnt vmcnt(31)
	v_fmac_f64_e32 v[68:69], v[44:45], v[26:27]
	v_add_f64 v[62:63], v[62:63], v[68:69]
	v_fma_f64 v[4:5], v[38:39], v[28:29], -v[4:5]
	s_waitcnt vmcnt(29)
	v_fmac_f64_e32 v[72:73], v[52:53], v[24:25]
	v_add_f64 v[62:63], v[62:63], v[70:71]
	v_add_f64 v[2:3], v[2:3], v[4:5]
	v_mul_f64 v[4:5], v[44:45], v[12:13]
	s_waitcnt vmcnt(28)
	v_fmac_f64_e32 v[74:75], v[56:57], v[16:17]
	v_add_f64 v[62:63], v[62:63], v[72:73]
	v_fma_f64 v[4:5], v[42:43], v[26:27], -v[4:5]
	v_add_f64 v[66:67], v[62:63], v[74:75]
	ds_read_b128 v[62:65], v1 offset:1840
	s_waitcnt vmcnt(24) lgkmcnt(2)
	v_mul_f64 v[68:69], v[58:59], v[86:87]
	v_add_f64 v[2:3], v[2:3], v[4:5]
	v_mul_f64 v[4:5], v[48:49], v[20:21]
	s_waitcnt vmcnt(22)
	v_fmac_f64_e32 v[68:69], v[60:61], v[88:89]
	v_fma_f64 v[4:5], v[46:47], v[22:23], -v[4:5]
	v_add_f64 v[70:71], v[66:67], v[68:69]
	ds_read_b128 v[66:69], v1 offset:1856
	v_add_f64 v[2:3], v[2:3], v[4:5]
	v_mul_f64 v[4:5], v[52:53], v[18:19]
	v_fma_f64 v[4:5], v[50:51], v[24:25], -v[4:5]
	v_add_f64 v[2:3], v[2:3], v[4:5]
	v_mul_f64 v[4:5], v[56:57], v[14:15]
	s_waitcnt vmcnt(21) lgkmcnt(1)
	v_mul_f64 v[72:73], v[62:63], v[82:83]
	v_fma_f64 v[4:5], v[54:55], v[16:17], -v[4:5]
	s_waitcnt vmcnt(20)
	v_fmac_f64_e32 v[72:73], v[64:65], v[84:85]
	v_add_f64 v[2:3], v[2:3], v[4:5]
	v_mul_f64 v[4:5], v[60:61], v[86:87]
	v_add_f64 v[74:75], v[70:71], v[72:73]
	ds_read_b128 v[70:73], v1 offset:1872
	s_waitcnt vmcnt(16) lgkmcnt(1)
	v_mul_f64 v[76:77], v[66:67], v[94:95]
	v_fma_f64 v[4:5], v[58:59], v[88:89], -v[4:5]
	s_waitcnt vmcnt(14)
	v_fmac_f64_e32 v[76:77], v[68:69], v[96:97]
	v_add_f64 v[2:3], v[2:3], v[4:5]
	v_mul_f64 v[4:5], v[64:65], v[82:83]
	v_add_f64 v[110:111], v[74:75], v[76:77]
	ds_read_b128 v[74:77], v1 offset:1888
	v_fma_f64 v[4:5], v[62:63], v[84:85], -v[4:5]
	v_add_f64 v[2:3], v[2:3], v[4:5]
	v_mul_f64 v[4:5], v[68:69], v[94:95]
	v_fma_f64 v[4:5], v[66:67], v[96:97], -v[4:5]
	v_add_f64 v[2:3], v[2:3], v[4:5]
	s_waitcnt vmcnt(13) lgkmcnt(1)
	v_mul_f64 v[4:5], v[72:73], v[90:91]
	v_mul_f64 v[112:113], v[70:71], v[90:91]
	s_waitcnt vmcnt(12)
	v_fma_f64 v[4:5], v[70:71], v[92:93], -v[4:5]
	v_fmac_f64_e32 v[112:113], v[72:73], v[92:93]
	v_add_f64 v[2:3], v[2:3], v[4:5]
	s_waitcnt vmcnt(8) lgkmcnt(0)
	v_mul_f64 v[4:5], v[76:77], v[102:103]
	v_add_f64 v[110:111], v[110:111], v[112:113]
	v_mul_f64 v[112:113], v[74:75], v[102:103]
	s_waitcnt vmcnt(6)
	v_fma_f64 v[4:5], v[74:75], v[104:105], -v[4:5]
	v_fmac_f64_e32 v[112:113], v[76:77], v[104:105]
	v_add_f64 v[2:3], v[2:3], v[4:5]
	s_waitcnt vmcnt(5)
	v_mul_f64 v[4:5], v[80:81], v[98:99]
	v_add_f64 v[110:111], v[110:111], v[112:113]
	v_mul_f64 v[112:113], v[78:79], v[98:99]
	s_waitcnt vmcnt(4)
	v_fma_f64 v[4:5], v[78:79], v[100:101], -v[4:5]
	v_fmac_f64_e32 v[112:113], v[80:81], v[100:101]
	v_add_f64 v[2:3], v[2:3], v[4:5]
	v_add_f64 v[110:111], v[110:111], v[112:113]
	s_waitcnt vmcnt(2)
	v_add_f64 v[2:3], v[106:107], -v[2:3]
	s_waitcnt vmcnt(0)
	v_add_f64 v[4:5], v[108:109], -v[110:111]
	buffer_store_dword v3, off, s[0:3], 0 offset:756
	buffer_store_dword v2, off, s[0:3], 0 offset:752
	;; [unrolled: 1-line block ×4, first 2 shown]
	s_and_saveexec_b64 s[4:5], vcc
	s_cbranch_execz .LBB123_283
; %bb.282:
	v_accvgpr_read_b32 v0, a134
	buffer_load_dword v2, v0, s[0:3], 0 offen
	buffer_load_dword v3, v0, s[0:3], 0 offen offset:4
	buffer_load_dword v4, v0, s[0:3], 0 offen offset:8
	;; [unrolled: 1-line block ×3, first 2 shown]
	v_accvgpr_read_b32 v0, a180
	buffer_store_dword v1, off, s[0:3], 0 offset:736
	buffer_store_dword v1, off, s[0:3], 0 offset:740
	;; [unrolled: 1-line block ×4, first 2 shown]
	s_waitcnt vmcnt(4)
	ds_write_b128 v0, v[2:5]
.LBB123_283:
	s_or_b64 exec, exec, s[4:5]
	s_waitcnt lgkmcnt(0)
	; wave barrier
	s_waitcnt lgkmcnt(0)
	buffer_load_dword v2, off, s[0:3], 0 offset:752
	buffer_load_dword v3, off, s[0:3], 0 offset:756
	;; [unrolled: 1-line block ×60, first 2 shown]
	ds_read_b128 v[30:33], v1 offset:1696
	ds_read_b128 v[34:37], v1 offset:1712
	;; [unrolled: 1-line block ×8, first 2 shown]
	v_cmp_lt_u32_e32 vcc, 44, v254
	ds_read_b128 v[82:85], v1 offset:1904
	s_waitcnt vmcnt(56) lgkmcnt(8)
	v_mul_f64 v[62:63], v[30:31], v[6:7]
	v_fmac_f64_e32 v[62:63], v[32:33], v[2:3]
	v_add_f64 v[62:63], v[62:63], 0
	v_mul_f64 v[6:7], v[32:33], v[6:7]
	s_waitcnt vmcnt(52) lgkmcnt(7)
	v_mul_f64 v[64:65], v[34:35], v[8:9]
	v_fmac_f64_e32 v[64:65], v[36:37], v[4:5]
	s_waitcnt vmcnt(50) lgkmcnt(6)
	v_mul_f64 v[66:67], v[38:39], v[10:11]
	v_add_f64 v[62:63], v[62:63], v[64:65]
	s_waitcnt vmcnt(48) lgkmcnt(4)
	v_mul_f64 v[70:71], v[46:47], v[12:13]
	v_fma_f64 v[2:3], v[30:31], v[2:3], -v[6:7]
	s_waitcnt vmcnt(46)
	v_fmac_f64_e32 v[70:71], v[48:49], v[14:15]
	v_mul_f64 v[6:7], v[36:37], v[8:9]
	s_waitcnt vmcnt(44)
	v_mul_f64 v[68:69], v[42:43], v[16:17]
	v_add_f64 v[2:3], v[2:3], 0
	v_fma_f64 v[4:5], v[34:35], v[4:5], -v[6:7]
	v_add_f64 v[2:3], v[2:3], v[4:5]
	s_waitcnt vmcnt(40) lgkmcnt(3)
	v_mul_f64 v[72:73], v[50:51], v[22:23]
	v_mul_f64 v[4:5], v[40:41], v[10:11]
	s_waitcnt vmcnt(38)
	v_fmac_f64_e32 v[66:67], v[40:41], v[28:29]
	v_add_f64 v[62:63], v[62:63], v[66:67]
	s_waitcnt vmcnt(36)
	v_fmac_f64_e32 v[68:69], v[44:45], v[26:27]
	v_add_f64 v[62:63], v[62:63], v[68:69]
	;; [unrolled: 3-line block ×3, first 2 shown]
	s_waitcnt vmcnt(33) lgkmcnt(2)
	v_mul_f64 v[64:65], v[54:55], v[18:19]
	v_add_f64 v[62:63], v[62:63], v[72:73]
	s_waitcnt vmcnt(32)
	v_fmac_f64_e32 v[64:65], v[56:57], v[20:21]
	v_add_f64 v[66:67], v[62:63], v[64:65]
	ds_read_b128 v[62:65], v1 offset:1824
	v_fma_f64 v[4:5], v[38:39], v[28:29], -v[4:5]
	v_add_f64 v[2:3], v[2:3], v[4:5]
	v_mul_f64 v[4:5], v[44:45], v[16:17]
	v_fma_f64 v[4:5], v[42:43], v[26:27], -v[4:5]
	s_waitcnt vmcnt(28) lgkmcnt(2)
	v_mul_f64 v[68:69], v[58:59], v[90:91]
	v_add_f64 v[2:3], v[2:3], v[4:5]
	v_mul_f64 v[4:5], v[48:49], v[12:13]
	s_waitcnt vmcnt(26)
	v_fmac_f64_e32 v[68:69], v[60:61], v[92:93]
	v_fma_f64 v[4:5], v[46:47], v[14:15], -v[4:5]
	v_add_f64 v[70:71], v[66:67], v[68:69]
	ds_read_b128 v[66:69], v1 offset:1840
	s_waitcnt vmcnt(25) lgkmcnt(1)
	v_mul_f64 v[72:73], v[62:63], v[86:87]
	v_add_f64 v[2:3], v[2:3], v[4:5]
	v_mul_f64 v[4:5], v[52:53], v[22:23]
	s_waitcnt vmcnt(24)
	v_fmac_f64_e32 v[72:73], v[64:65], v[88:89]
	v_fma_f64 v[4:5], v[50:51], v[24:25], -v[4:5]
	v_add_f64 v[74:75], v[70:71], v[72:73]
	ds_read_b128 v[70:73], v1 offset:1856
	v_add_f64 v[2:3], v[2:3], v[4:5]
	v_mul_f64 v[4:5], v[56:57], v[18:19]
	v_fma_f64 v[4:5], v[54:55], v[20:21], -v[4:5]
	v_add_f64 v[2:3], v[2:3], v[4:5]
	v_mul_f64 v[4:5], v[60:61], v[90:91]
	s_waitcnt vmcnt(20) lgkmcnt(1)
	v_mul_f64 v[76:77], v[66:67], v[98:99]
	v_fma_f64 v[4:5], v[58:59], v[92:93], -v[4:5]
	s_waitcnt vmcnt(18)
	v_fmac_f64_e32 v[76:77], v[68:69], v[100:101]
	v_add_f64 v[2:3], v[2:3], v[4:5]
	v_mul_f64 v[4:5], v[64:65], v[86:87]
	v_add_f64 v[78:79], v[74:75], v[76:77]
	ds_read_b128 v[74:77], v1 offset:1872
	s_waitcnt vmcnt(17) lgkmcnt(1)
	v_mul_f64 v[80:81], v[70:71], v[94:95]
	v_fma_f64 v[4:5], v[62:63], v[88:89], -v[4:5]
	s_waitcnt vmcnt(16)
	v_fmac_f64_e32 v[80:81], v[72:73], v[96:97]
	v_add_f64 v[2:3], v[2:3], v[4:5]
	v_mul_f64 v[4:5], v[68:69], v[98:99]
	v_add_f64 v[118:119], v[78:79], v[80:81]
	ds_read_b128 v[78:81], v1 offset:1888
	v_fma_f64 v[4:5], v[66:67], v[100:101], -v[4:5]
	v_add_f64 v[2:3], v[2:3], v[4:5]
	v_mul_f64 v[4:5], v[72:73], v[94:95]
	v_fma_f64 v[4:5], v[70:71], v[96:97], -v[4:5]
	v_add_f64 v[2:3], v[2:3], v[4:5]
	s_waitcnt vmcnt(12) lgkmcnt(1)
	v_mul_f64 v[4:5], v[76:77], v[106:107]
	v_mul_f64 v[120:121], v[74:75], v[106:107]
	s_waitcnt vmcnt(10)
	v_fma_f64 v[4:5], v[74:75], v[108:109], -v[4:5]
	v_fmac_f64_e32 v[120:121], v[76:77], v[108:109]
	v_add_f64 v[2:3], v[2:3], v[4:5]
	s_waitcnt vmcnt(9) lgkmcnt(0)
	v_mul_f64 v[4:5], v[80:81], v[102:103]
	v_add_f64 v[118:119], v[118:119], v[120:121]
	v_mul_f64 v[120:121], v[78:79], v[102:103]
	s_waitcnt vmcnt(8)
	v_fma_f64 v[4:5], v[78:79], v[104:105], -v[4:5]
	v_fmac_f64_e32 v[120:121], v[80:81], v[104:105]
	v_add_f64 v[2:3], v[2:3], v[4:5]
	s_waitcnt vmcnt(6)
	v_mul_f64 v[4:5], v[84:85], v[110:111]
	v_add_f64 v[118:119], v[118:119], v[120:121]
	v_mul_f64 v[120:121], v[82:83], v[110:111]
	s_waitcnt vmcnt(4)
	v_fma_f64 v[4:5], v[82:83], v[112:113], -v[4:5]
	v_fmac_f64_e32 v[120:121], v[84:85], v[112:113]
	v_add_f64 v[2:3], v[2:3], v[4:5]
	v_add_f64 v[118:119], v[118:119], v[120:121]
	s_waitcnt vmcnt(2)
	v_add_f64 v[2:3], v[114:115], -v[2:3]
	s_waitcnt vmcnt(0)
	v_add_f64 v[4:5], v[116:117], -v[118:119]
	buffer_store_dword v3, off, s[0:3], 0 offset:740
	buffer_store_dword v2, off, s[0:3], 0 offset:736
	;; [unrolled: 1-line block ×4, first 2 shown]
	s_and_saveexec_b64 s[4:5], vcc
	s_cbranch_execz .LBB123_285
; %bb.284:
	v_accvgpr_read_b32 v0, a135
	buffer_load_dword v2, v0, s[0:3], 0 offen
	buffer_load_dword v3, v0, s[0:3], 0 offen offset:4
	buffer_load_dword v4, v0, s[0:3], 0 offen offset:8
	;; [unrolled: 1-line block ×3, first 2 shown]
	v_mov_b32_e32 v0, 0
	v_accvgpr_read_b32 v1, a180
	buffer_store_dword v0, off, s[0:3], 0 offset:720
	buffer_store_dword v0, off, s[0:3], 0 offset:724
	;; [unrolled: 1-line block ×4, first 2 shown]
	s_waitcnt vmcnt(4)
	ds_write_b128 v1, v[2:5]
.LBB123_285:
	s_or_b64 exec, exec, s[4:5]
	s_waitcnt lgkmcnt(0)
	; wave barrier
	s_waitcnt lgkmcnt(0)
	buffer_load_dword v2, off, s[0:3], 0 offset:736
	buffer_load_dword v3, off, s[0:3], 0 offset:740
	;; [unrolled: 1-line block ×64, first 2 shown]
	v_mov_b32_e32 v1, 0
	ds_read_b128 v[38:41], v1 offset:1680
	ds_read_b128 v[42:45], v1 offset:1696
	;; [unrolled: 1-line block ×7, first 2 shown]
	v_cmp_lt_u32_e32 vcc, 43, v254
	s_waitcnt vmcnt(60) lgkmcnt(6)
	v_mul_f64 v[62:63], v[38:39], v[4:5]
	v_fmac_f64_e32 v[62:63], v[40:41], v[2:3]
	s_waitcnt vmcnt(58) lgkmcnt(5)
	v_mul_f64 v[64:65], v[42:43], v[6:7]
	v_add_f64 v[62:63], v[62:63], 0
	s_waitcnt vmcnt(56) lgkmcnt(4)
	v_mul_f64 v[66:67], v[46:47], v[8:9]
	v_mul_f64 v[4:5], v[40:41], v[4:5]
	s_waitcnt vmcnt(54) lgkmcnt(2)
	v_mul_f64 v[70:71], v[54:55], v[10:11]
	v_fma_f64 v[2:3], v[38:39], v[2:3], -v[4:5]
	v_mul_f64 v[4:5], v[44:45], v[6:7]
	s_waitcnt vmcnt(51)
	v_mul_f64 v[68:69], v[50:51], v[14:15]
	v_add_f64 v[2:3], v[2:3], 0
	s_waitcnt vmcnt(49)
	v_fmac_f64_e32 v[64:65], v[44:45], v[20:21]
	v_add_f64 v[62:63], v[62:63], v[64:65]
	s_waitcnt vmcnt(47)
	v_fmac_f64_e32 v[66:67], v[48:49], v[18:19]
	;; [unrolled: 3-line block ×4, first 2 shown]
	v_add_f64 v[66:67], v[62:63], v[70:71]
	ds_read_b128 v[62:65], v1 offset:1776
	s_waitcnt vmcnt(40) lgkmcnt(2)
	v_mul_f64 v[68:69], v[58:59], v[26:27]
	v_fma_f64 v[4:5], v[42:43], v[20:21], -v[4:5]
	s_waitcnt vmcnt(38)
	v_fmac_f64_e32 v[68:69], v[60:61], v[28:29]
	v_add_f64 v[70:71], v[66:67], v[68:69]
	ds_read_b128 v[66:69], v1 offset:1792
	s_waitcnt vmcnt(37) lgkmcnt(1)
	v_mul_f64 v[72:73], v[62:63], v[22:23]
	s_waitcnt vmcnt(36)
	v_fmac_f64_e32 v[72:73], v[64:65], v[24:25]
	v_add_f64 v[2:3], v[2:3], v[4:5]
	v_mul_f64 v[4:5], v[48:49], v[8:9]
	v_add_f64 v[74:75], v[70:71], v[72:73]
	ds_read_b128 v[70:73], v1 offset:1808
	s_waitcnt vmcnt(32) lgkmcnt(1)
	v_mul_f64 v[76:77], v[66:67], v[34:35]
	v_fma_f64 v[4:5], v[46:47], v[18:19], -v[4:5]
	s_waitcnt vmcnt(30)
	v_fmac_f64_e32 v[76:77], v[68:69], v[36:37]
	v_add_f64 v[2:3], v[2:3], v[4:5]
	v_mul_f64 v[4:5], v[52:53], v[14:15]
	v_add_f64 v[78:79], v[74:75], v[76:77]
	ds_read_b128 v[74:77], v1 offset:1824
	v_fma_f64 v[4:5], v[50:51], v[16:17], -v[4:5]
	v_add_f64 v[2:3], v[2:3], v[4:5]
	v_mul_f64 v[4:5], v[56:57], v[10:11]
	v_fma_f64 v[4:5], v[54:55], v[12:13], -v[4:5]
	s_waitcnt vmcnt(29) lgkmcnt(1)
	v_mul_f64 v[80:81], v[70:71], v[30:31]
	v_add_f64 v[2:3], v[2:3], v[4:5]
	v_mul_f64 v[4:5], v[60:61], v[26:27]
	s_waitcnt vmcnt(28)
	v_fmac_f64_e32 v[80:81], v[72:73], v[32:33]
	v_fma_f64 v[4:5], v[58:59], v[28:29], -v[4:5]
	v_add_f64 v[82:83], v[78:79], v[80:81]
	ds_read_b128 v[78:81], v1 offset:1840
	s_waitcnt vmcnt(24) lgkmcnt(1)
	v_mul_f64 v[84:85], v[74:75], v[102:103]
	v_add_f64 v[2:3], v[2:3], v[4:5]
	v_mul_f64 v[4:5], v[64:65], v[22:23]
	s_waitcnt vmcnt(22)
	v_fmac_f64_e32 v[84:85], v[76:77], v[104:105]
	v_fma_f64 v[4:5], v[62:63], v[24:25], -v[4:5]
	v_add_f64 v[86:87], v[82:83], v[84:85]
	ds_read_b128 v[82:85], v1 offset:1856
	v_add_f64 v[2:3], v[2:3], v[4:5]
	v_mul_f64 v[4:5], v[68:69], v[34:35]
	v_fma_f64 v[4:5], v[66:67], v[36:37], -v[4:5]
	v_add_f64 v[2:3], v[2:3], v[4:5]
	v_mul_f64 v[4:5], v[72:73], v[30:31]
	s_waitcnt vmcnt(21) lgkmcnt(1)
	v_mul_f64 v[88:89], v[78:79], v[98:99]
	v_fma_f64 v[4:5], v[70:71], v[32:33], -v[4:5]
	s_waitcnt vmcnt(20)
	v_fmac_f64_e32 v[88:89], v[80:81], v[100:101]
	v_add_f64 v[2:3], v[2:3], v[4:5]
	v_mul_f64 v[4:5], v[76:77], v[102:103]
	v_add_f64 v[90:91], v[86:87], v[88:89]
	ds_read_b128 v[86:89], v1 offset:1872
	s_waitcnt vmcnt(16) lgkmcnt(1)
	v_mul_f64 v[92:93], v[82:83], v[110:111]
	v_fma_f64 v[4:5], v[74:75], v[104:105], -v[4:5]
	s_waitcnt vmcnt(14)
	v_fmac_f64_e32 v[92:93], v[84:85], v[112:113]
	v_add_f64 v[2:3], v[2:3], v[4:5]
	v_mul_f64 v[4:5], v[80:81], v[98:99]
	v_add_f64 v[126:127], v[90:91], v[92:93]
	ds_read_b128 v[90:93], v1 offset:1888
	v_fma_f64 v[4:5], v[78:79], v[100:101], -v[4:5]
	v_add_f64 v[2:3], v[2:3], v[4:5]
	v_mul_f64 v[4:5], v[84:85], v[110:111]
	v_fma_f64 v[4:5], v[82:83], v[112:113], -v[4:5]
	v_add_f64 v[2:3], v[2:3], v[4:5]
	s_waitcnt vmcnt(13) lgkmcnt(1)
	v_mul_f64 v[4:5], v[88:89], v[106:107]
	v_mul_f64 v[128:129], v[86:87], v[106:107]
	s_waitcnt vmcnt(12)
	v_fma_f64 v[4:5], v[86:87], v[108:109], -v[4:5]
	v_fmac_f64_e32 v[128:129], v[88:89], v[108:109]
	v_add_f64 v[2:3], v[2:3], v[4:5]
	s_waitcnt vmcnt(8) lgkmcnt(0)
	v_mul_f64 v[4:5], v[92:93], v[118:119]
	v_add_f64 v[126:127], v[126:127], v[128:129]
	v_mul_f64 v[128:129], v[90:91], v[118:119]
	s_waitcnt vmcnt(6)
	v_fma_f64 v[4:5], v[90:91], v[120:121], -v[4:5]
	v_fmac_f64_e32 v[128:129], v[92:93], v[120:121]
	v_add_f64 v[2:3], v[2:3], v[4:5]
	s_waitcnt vmcnt(5)
	v_mul_f64 v[4:5], v[96:97], v[114:115]
	v_add_f64 v[126:127], v[126:127], v[128:129]
	v_mul_f64 v[128:129], v[94:95], v[114:115]
	s_waitcnt vmcnt(4)
	v_fma_f64 v[4:5], v[94:95], v[116:117], -v[4:5]
	v_fmac_f64_e32 v[128:129], v[96:97], v[116:117]
	v_add_f64 v[2:3], v[2:3], v[4:5]
	v_add_f64 v[126:127], v[126:127], v[128:129]
	s_waitcnt vmcnt(2)
	v_add_f64 v[2:3], v[122:123], -v[2:3]
	s_waitcnt vmcnt(0)
	v_add_f64 v[4:5], v[124:125], -v[126:127]
	buffer_store_dword v3, off, s[0:3], 0 offset:724
	buffer_store_dword v2, off, s[0:3], 0 offset:720
	;; [unrolled: 1-line block ×4, first 2 shown]
	s_and_saveexec_b64 s[4:5], vcc
	s_cbranch_execz .LBB123_287
; %bb.286:
	v_accvgpr_read_b32 v0, a136
	buffer_load_dword v2, v0, s[0:3], 0 offen
	buffer_load_dword v3, v0, s[0:3], 0 offen offset:4
	buffer_load_dword v4, v0, s[0:3], 0 offen offset:8
	buffer_load_dword v5, v0, s[0:3], 0 offen offset:12
	v_accvgpr_read_b32 v0, a180
	buffer_store_dword v1, off, s[0:3], 0 offset:704
	buffer_store_dword v1, off, s[0:3], 0 offset:708
	;; [unrolled: 1-line block ×4, first 2 shown]
	s_waitcnt vmcnt(4)
	ds_write_b128 v0, v[2:5]
.LBB123_287:
	s_or_b64 exec, exec, s[4:5]
	s_waitcnt lgkmcnt(0)
	; wave barrier
	s_waitcnt lgkmcnt(0)
	buffer_load_dword v2, off, s[0:3], 0 offset:720
	buffer_load_dword v3, off, s[0:3], 0 offset:724
	;; [unrolled: 1-line block ×64, first 2 shown]
	ds_read_b128 v[46:49], v1 offset:1664
	ds_read_b128 v[50:53], v1 offset:1680
	ds_read_b128 v[54:57], v1 offset:1696
	ds_read_b128 v[58:61], v1 offset:1712
	buffer_load_dword v130, off, s[0:3], 0 offset:704
	buffer_load_dword v131, off, s[0:3], 0 offset:708
	;; [unrolled: 1-line block ×4, first 2 shown]
	v_cmp_lt_u32_e32 vcc, 42, v254
	ds_read_b128 v[106:109], v1 offset:1904
	s_waitcnt vmcnt(62) lgkmcnt(4)
	v_mul_f64 v[62:63], v[46:47], v[4:5]
	v_fmac_f64_e32 v[62:63], v[48:49], v[2:3]
	v_add_f64 v[62:63], v[62:63], 0
	s_waitcnt lgkmcnt(2)
	v_mul_f64 v[66:67], v[54:55], v[6:7]
	v_mul_f64 v[4:5], v[48:49], v[4:5]
	v_fma_f64 v[2:3], v[46:47], v[2:3], -v[4:5]
	s_waitcnt vmcnt(58) lgkmcnt(1)
	v_mul_f64 v[68:69], v[58:59], v[12:13]
	v_add_f64 v[2:3], v[2:3], 0
	s_waitcnt vmcnt(56)
	v_mul_f64 v[64:65], v[50:51], v[18:19]
	v_mul_f64 v[4:5], v[52:53], v[18:19]
	s_waitcnt vmcnt(53)
	v_fmac_f64_e32 v[66:67], v[56:57], v[16:17]
	s_waitcnt vmcnt(52)
	v_fmac_f64_e32 v[64:65], v[52:53], v[20:21]
	v_add_f64 v[70:71], v[62:63], v[64:65]
	ds_read_b128 v[62:65], v1 offset:1728
	v_add_f64 v[66:67], v[70:71], v[66:67]
	s_waitcnt vmcnt(50)
	v_fmac_f64_e32 v[68:69], v[60:61], v[14:15]
	v_add_f64 v[70:71], v[66:67], v[68:69]
	ds_read_b128 v[66:69], v1 offset:1744
	s_waitcnt vmcnt(49) lgkmcnt(1)
	v_mul_f64 v[72:73], v[62:63], v[8:9]
	s_waitcnt vmcnt(48)
	v_fmac_f64_e32 v[72:73], v[64:65], v[10:11]
	v_add_f64 v[74:75], v[70:71], v[72:73]
	ds_read_b128 v[70:73], v1 offset:1760
	s_waitcnt vmcnt(44) lgkmcnt(1)
	v_mul_f64 v[76:77], v[66:67], v[26:27]
	;; [unrolled: 6-line block ×3, first 2 shown]
	s_waitcnt vmcnt(40)
	v_fmac_f64_e32 v[80:81], v[72:73], v[24:25]
	v_add_f64 v[82:83], v[78:79], v[80:81]
	ds_read_b128 v[78:81], v1 offset:1792
	v_fma_f64 v[4:5], v[50:51], v[20:21], -v[4:5]
	v_add_f64 v[2:3], v[2:3], v[4:5]
	v_mul_f64 v[4:5], v[56:57], v[6:7]
	s_waitcnt vmcnt(36) lgkmcnt(1)
	v_mul_f64 v[84:85], v[74:75], v[34:35]
	v_fma_f64 v[4:5], v[54:55], v[16:17], -v[4:5]
	s_waitcnt vmcnt(34)
	v_fmac_f64_e32 v[84:85], v[76:77], v[36:37]
	v_add_f64 v[2:3], v[2:3], v[4:5]
	v_mul_f64 v[4:5], v[60:61], v[12:13]
	v_add_f64 v[86:87], v[82:83], v[84:85]
	ds_read_b128 v[82:85], v1 offset:1808
	s_waitcnt vmcnt(33) lgkmcnt(1)
	v_mul_f64 v[88:89], v[78:79], v[30:31]
	v_fma_f64 v[4:5], v[58:59], v[14:15], -v[4:5]
	s_waitcnt vmcnt(32)
	v_fmac_f64_e32 v[88:89], v[80:81], v[32:33]
	v_add_f64 v[2:3], v[2:3], v[4:5]
	v_mul_f64 v[4:5], v[64:65], v[8:9]
	v_add_f64 v[90:91], v[86:87], v[88:89]
	ds_read_b128 v[86:89], v1 offset:1824
	v_fma_f64 v[4:5], v[62:63], v[10:11], -v[4:5]
	v_add_f64 v[2:3], v[2:3], v[4:5]
	v_mul_f64 v[4:5], v[68:69], v[26:27]
	v_fma_f64 v[4:5], v[66:67], v[28:29], -v[4:5]
	s_waitcnt vmcnt(28) lgkmcnt(1)
	v_mul_f64 v[92:93], v[82:83], v[42:43]
	v_add_f64 v[2:3], v[2:3], v[4:5]
	v_mul_f64 v[4:5], v[72:73], v[22:23]
	s_waitcnt vmcnt(26)
	v_fmac_f64_e32 v[92:93], v[84:85], v[44:45]
	v_fma_f64 v[4:5], v[70:71], v[24:25], -v[4:5]
	v_add_f64 v[94:95], v[90:91], v[92:93]
	ds_read_b128 v[90:93], v1 offset:1840
	s_waitcnt vmcnt(25) lgkmcnt(1)
	v_mul_f64 v[96:97], v[86:87], v[38:39]
	v_add_f64 v[2:3], v[2:3], v[4:5]
	v_mul_f64 v[4:5], v[76:77], v[34:35]
	s_waitcnt vmcnt(24)
	v_fmac_f64_e32 v[96:97], v[88:89], v[40:41]
	v_fma_f64 v[4:5], v[74:75], v[36:37], -v[4:5]
	v_add_f64 v[98:99], v[94:95], v[96:97]
	ds_read_b128 v[94:97], v1 offset:1856
	v_add_f64 v[2:3], v[2:3], v[4:5]
	v_mul_f64 v[4:5], v[80:81], v[30:31]
	v_fma_f64 v[4:5], v[78:79], v[32:33], -v[4:5]
	v_add_f64 v[2:3], v[2:3], v[4:5]
	v_mul_f64 v[4:5], v[84:85], v[42:43]
	s_waitcnt vmcnt(20) lgkmcnt(1)
	v_mul_f64 v[100:101], v[90:91], v[114:115]
	v_fma_f64 v[4:5], v[82:83], v[44:45], -v[4:5]
	s_waitcnt vmcnt(18)
	v_fmac_f64_e32 v[100:101], v[92:93], v[116:117]
	v_add_f64 v[2:3], v[2:3], v[4:5]
	v_mul_f64 v[4:5], v[88:89], v[38:39]
	v_add_f64 v[102:103], v[98:99], v[100:101]
	ds_read_b128 v[98:101], v1 offset:1872
	s_waitcnt vmcnt(17) lgkmcnt(1)
	v_mul_f64 v[104:105], v[94:95], v[110:111]
	v_fma_f64 v[4:5], v[86:87], v[40:41], -v[4:5]
	s_waitcnt vmcnt(16)
	v_fmac_f64_e32 v[104:105], v[96:97], v[112:113]
	v_add_f64 v[2:3], v[2:3], v[4:5]
	v_mul_f64 v[4:5], v[92:93], v[114:115]
	v_add_f64 v[134:135], v[102:103], v[104:105]
	ds_read_b128 v[102:105], v1 offset:1888
	v_fma_f64 v[4:5], v[90:91], v[116:117], -v[4:5]
	v_add_f64 v[2:3], v[2:3], v[4:5]
	v_mul_f64 v[4:5], v[96:97], v[110:111]
	v_fma_f64 v[4:5], v[94:95], v[112:113], -v[4:5]
	v_add_f64 v[2:3], v[2:3], v[4:5]
	s_waitcnt vmcnt(12) lgkmcnt(1)
	v_mul_f64 v[4:5], v[100:101], v[122:123]
	v_mul_f64 v[136:137], v[98:99], v[122:123]
	s_waitcnt vmcnt(10)
	v_fma_f64 v[4:5], v[98:99], v[124:125], -v[4:5]
	v_fmac_f64_e32 v[136:137], v[100:101], v[124:125]
	v_add_f64 v[2:3], v[2:3], v[4:5]
	s_waitcnt vmcnt(9) lgkmcnt(0)
	v_mul_f64 v[4:5], v[104:105], v[118:119]
	v_add_f64 v[134:135], v[134:135], v[136:137]
	v_mul_f64 v[136:137], v[102:103], v[118:119]
	s_waitcnt vmcnt(8)
	v_fma_f64 v[4:5], v[102:103], v[120:121], -v[4:5]
	v_fmac_f64_e32 v[136:137], v[104:105], v[120:121]
	v_add_f64 v[2:3], v[2:3], v[4:5]
	s_waitcnt vmcnt(6)
	v_mul_f64 v[4:5], v[108:109], v[126:127]
	v_add_f64 v[134:135], v[134:135], v[136:137]
	v_mul_f64 v[136:137], v[106:107], v[126:127]
	s_waitcnt vmcnt(4)
	v_fma_f64 v[4:5], v[106:107], v[128:129], -v[4:5]
	v_fmac_f64_e32 v[136:137], v[108:109], v[128:129]
	v_add_f64 v[2:3], v[2:3], v[4:5]
	v_add_f64 v[134:135], v[134:135], v[136:137]
	s_waitcnt vmcnt(2)
	v_add_f64 v[2:3], v[130:131], -v[2:3]
	s_waitcnt vmcnt(0)
	v_add_f64 v[4:5], v[132:133], -v[134:135]
	buffer_store_dword v3, off, s[0:3], 0 offset:708
	buffer_store_dword v2, off, s[0:3], 0 offset:704
	;; [unrolled: 1-line block ×4, first 2 shown]
	s_and_saveexec_b64 s[4:5], vcc
	s_cbranch_execz .LBB123_289
; %bb.288:
	v_accvgpr_read_b32 v0, a137
	buffer_load_dword v2, v0, s[0:3], 0 offen
	buffer_load_dword v3, v0, s[0:3], 0 offen offset:4
	buffer_load_dword v4, v0, s[0:3], 0 offen offset:8
	;; [unrolled: 1-line block ×3, first 2 shown]
	v_mov_b32_e32 v0, 0
	v_accvgpr_read_b32 v1, a180
	buffer_store_dword v0, off, s[0:3], 0 offset:688
	buffer_store_dword v0, off, s[0:3], 0 offset:692
	;; [unrolled: 1-line block ×4, first 2 shown]
	s_waitcnt vmcnt(4)
	ds_write_b128 v1, v[2:5]
.LBB123_289:
	s_or_b64 exec, exec, s[4:5]
	s_waitcnt lgkmcnt(0)
	; wave barrier
	s_waitcnt lgkmcnt(0)
	buffer_load_dword v2, off, s[0:3], 0 offset:704
	buffer_load_dword v3, off, s[0:3], 0 offset:708
	;; [unrolled: 1-line block ×68, first 2 shown]
	v_mov_b32_e32 v1, 0
	buffer_load_dword v138, off, s[0:3], 0 offset:688
	buffer_load_dword v139, off, s[0:3], 0 offset:692
	;; [unrolled: 1-line block ×3, first 2 shown]
	ds_read_b128 v[46:49], v1 offset:1648
	ds_read_b128 v[50:53], v1 offset:1664
	buffer_load_dword v141, off, s[0:3], 0 offset:700
	ds_read_b128 v[54:57], v1 offset:1680
	ds_read_b128 v[58:61], v1 offset:1696
	;; [unrolled: 1-line block ×3, first 2 shown]
	v_cmp_lt_u32_e32 vcc, 41, v254
	s_waitcnt vmcnt(62) lgkmcnt(4)
	v_mul_f64 v[62:63], v[46:47], v[6:7]
	v_fmac_f64_e32 v[62:63], v[48:49], v[2:3]
	v_add_f64 v[62:63], v[62:63], 0
	v_mul_f64 v[6:7], v[48:49], v[6:7]
	s_waitcnt lgkmcnt(3)
	v_mul_f64 v[64:65], v[50:51], v[10:11]
	v_fmac_f64_e32 v[64:65], v[52:53], v[4:5]
	v_add_f64 v[62:63], v[62:63], v[64:65]
	v_fma_f64 v[2:3], v[46:47], v[2:3], -v[6:7]
	s_waitcnt vmcnt(60) lgkmcnt(2)
	v_mul_f64 v[64:65], v[54:55], v[12:13]
	v_fmac_f64_e32 v[64:65], v[56:57], v[8:9]
	v_add_f64 v[66:67], v[62:63], v[64:65]
	ds_read_b128 v[62:65], v1 offset:1712
	s_waitcnt vmcnt(56) lgkmcnt(2)
	v_mul_f64 v[68:69], v[58:59], v[18:19]
	v_mul_f64 v[6:7], v[52:53], v[10:11]
	s_waitcnt vmcnt(54)
	v_fmac_f64_e32 v[68:69], v[60:61], v[20:21]
	v_add_f64 v[70:71], v[66:67], v[68:69]
	ds_read_b128 v[66:69], v1 offset:1728
	s_waitcnt vmcnt(53) lgkmcnt(1)
	v_mul_f64 v[72:73], v[62:63], v[14:15]
	s_waitcnt vmcnt(52)
	v_fmac_f64_e32 v[72:73], v[64:65], v[16:17]
	v_add_f64 v[74:75], v[70:71], v[72:73]
	ds_read_b128 v[70:73], v1 offset:1744
	s_waitcnt vmcnt(48) lgkmcnt(1)
	;; [unrolled: 6-line block ×4, first 2 shown]
	v_mul_f64 v[84:85], v[74:75], v[34:35]
	s_waitcnt vmcnt(38)
	v_fmac_f64_e32 v[84:85], v[76:77], v[36:37]
	v_add_f64 v[2:3], v[2:3], 0
	v_fma_f64 v[4:5], v[50:51], v[4:5], -v[6:7]
	v_add_f64 v[86:87], v[82:83], v[84:85]
	ds_read_b128 v[82:85], v1 offset:1792
	v_add_f64 v[2:3], v[2:3], v[4:5]
	v_mul_f64 v[4:5], v[56:57], v[12:13]
	v_fma_f64 v[4:5], v[54:55], v[8:9], -v[4:5]
	v_add_f64 v[2:3], v[2:3], v[4:5]
	v_mul_f64 v[4:5], v[60:61], v[18:19]
	s_waitcnt vmcnt(37) lgkmcnt(1)
	v_mul_f64 v[88:89], v[78:79], v[30:31]
	v_fma_f64 v[4:5], v[58:59], v[20:21], -v[4:5]
	s_waitcnt vmcnt(36)
	v_fmac_f64_e32 v[88:89], v[80:81], v[32:33]
	v_add_f64 v[2:3], v[2:3], v[4:5]
	v_mul_f64 v[4:5], v[64:65], v[14:15]
	v_add_f64 v[90:91], v[86:87], v[88:89]
	ds_read_b128 v[86:89], v1 offset:1808
	s_waitcnt vmcnt(32) lgkmcnt(1)
	v_mul_f64 v[92:93], v[82:83], v[42:43]
	v_fma_f64 v[4:5], v[62:63], v[16:17], -v[4:5]
	s_waitcnt vmcnt(30)
	v_fmac_f64_e32 v[92:93], v[84:85], v[44:45]
	v_add_f64 v[2:3], v[2:3], v[4:5]
	v_mul_f64 v[4:5], v[68:69], v[26:27]
	v_add_f64 v[94:95], v[90:91], v[92:93]
	ds_read_b128 v[90:93], v1 offset:1824
	v_fma_f64 v[4:5], v[66:67], v[28:29], -v[4:5]
	v_add_f64 v[2:3], v[2:3], v[4:5]
	v_mul_f64 v[4:5], v[72:73], v[22:23]
	v_fma_f64 v[4:5], v[70:71], v[24:25], -v[4:5]
	s_waitcnt vmcnt(29) lgkmcnt(1)
	v_mul_f64 v[96:97], v[86:87], v[38:39]
	v_add_f64 v[2:3], v[2:3], v[4:5]
	v_mul_f64 v[4:5], v[76:77], v[34:35]
	s_waitcnt vmcnt(28)
	v_fmac_f64_e32 v[96:97], v[88:89], v[40:41]
	v_fma_f64 v[4:5], v[74:75], v[36:37], -v[4:5]
	v_add_f64 v[98:99], v[94:95], v[96:97]
	ds_read_b128 v[94:97], v1 offset:1840
	s_waitcnt vmcnt(24) lgkmcnt(1)
	v_mul_f64 v[100:101], v[90:91], v[118:119]
	v_add_f64 v[2:3], v[2:3], v[4:5]
	v_mul_f64 v[4:5], v[80:81], v[30:31]
	s_waitcnt vmcnt(22)
	v_fmac_f64_e32 v[100:101], v[92:93], v[120:121]
	v_fma_f64 v[4:5], v[78:79], v[32:33], -v[4:5]
	v_add_f64 v[102:103], v[98:99], v[100:101]
	ds_read_b128 v[98:101], v1 offset:1856
	v_add_f64 v[2:3], v[2:3], v[4:5]
	v_mul_f64 v[4:5], v[84:85], v[42:43]
	v_fma_f64 v[4:5], v[82:83], v[44:45], -v[4:5]
	v_add_f64 v[2:3], v[2:3], v[4:5]
	v_mul_f64 v[4:5], v[88:89], v[38:39]
	s_waitcnt vmcnt(21) lgkmcnt(1)
	v_mul_f64 v[104:105], v[94:95], v[114:115]
	v_fma_f64 v[4:5], v[86:87], v[40:41], -v[4:5]
	s_waitcnt vmcnt(20)
	v_fmac_f64_e32 v[104:105], v[96:97], v[116:117]
	v_add_f64 v[2:3], v[2:3], v[4:5]
	v_mul_f64 v[4:5], v[92:93], v[118:119]
	v_add_f64 v[106:107], v[102:103], v[104:105]
	ds_read_b128 v[102:105], v1 offset:1872
	s_waitcnt vmcnt(16) lgkmcnt(1)
	v_mul_f64 v[108:109], v[98:99], v[126:127]
	v_fma_f64 v[4:5], v[90:91], v[120:121], -v[4:5]
	s_waitcnt vmcnt(14)
	v_fmac_f64_e32 v[108:109], v[100:101], v[128:129]
	v_add_f64 v[2:3], v[2:3], v[4:5]
	v_mul_f64 v[4:5], v[96:97], v[114:115]
	v_add_f64 v[142:143], v[106:107], v[108:109]
	ds_read_b128 v[106:109], v1 offset:1888
	v_fma_f64 v[4:5], v[94:95], v[116:117], -v[4:5]
	v_add_f64 v[2:3], v[2:3], v[4:5]
	v_mul_f64 v[4:5], v[100:101], v[126:127]
	v_fma_f64 v[4:5], v[98:99], v[128:129], -v[4:5]
	v_add_f64 v[2:3], v[2:3], v[4:5]
	s_waitcnt vmcnt(13) lgkmcnt(1)
	v_mul_f64 v[4:5], v[104:105], v[122:123]
	v_mul_f64 v[144:145], v[102:103], v[122:123]
	s_waitcnt vmcnt(12)
	v_fma_f64 v[4:5], v[102:103], v[124:125], -v[4:5]
	v_fmac_f64_e32 v[144:145], v[104:105], v[124:125]
	v_add_f64 v[2:3], v[2:3], v[4:5]
	s_waitcnt vmcnt(8) lgkmcnt(0)
	v_mul_f64 v[4:5], v[108:109], v[134:135]
	v_add_f64 v[142:143], v[142:143], v[144:145]
	v_mul_f64 v[144:145], v[106:107], v[134:135]
	s_waitcnt vmcnt(6)
	v_fma_f64 v[4:5], v[106:107], v[136:137], -v[4:5]
	v_fmac_f64_e32 v[144:145], v[108:109], v[136:137]
	v_add_f64 v[2:3], v[2:3], v[4:5]
	s_waitcnt vmcnt(5)
	v_mul_f64 v[4:5], v[112:113], v[130:131]
	v_add_f64 v[142:143], v[142:143], v[144:145]
	v_mul_f64 v[144:145], v[110:111], v[130:131]
	s_waitcnt vmcnt(4)
	v_fma_f64 v[4:5], v[110:111], v[132:133], -v[4:5]
	v_fmac_f64_e32 v[144:145], v[112:113], v[132:133]
	v_add_f64 v[2:3], v[2:3], v[4:5]
	v_add_f64 v[142:143], v[142:143], v[144:145]
	s_waitcnt vmcnt(2)
	v_add_f64 v[2:3], v[138:139], -v[2:3]
	s_waitcnt vmcnt(0)
	v_add_f64 v[4:5], v[140:141], -v[142:143]
	buffer_store_dword v3, off, s[0:3], 0 offset:692
	buffer_store_dword v2, off, s[0:3], 0 offset:688
	;; [unrolled: 1-line block ×4, first 2 shown]
	s_and_saveexec_b64 s[4:5], vcc
	s_cbranch_execz .LBB123_291
; %bb.290:
	v_accvgpr_read_b32 v0, a138
	buffer_load_dword v2, v0, s[0:3], 0 offen
	buffer_load_dword v3, v0, s[0:3], 0 offen offset:4
	buffer_load_dword v4, v0, s[0:3], 0 offen offset:8
	;; [unrolled: 1-line block ×3, first 2 shown]
	v_accvgpr_read_b32 v0, a180
	buffer_store_dword v1, off, s[0:3], 0 offset:672
	buffer_store_dword v1, off, s[0:3], 0 offset:676
	;; [unrolled: 1-line block ×4, first 2 shown]
	s_waitcnt vmcnt(4)
	ds_write_b128 v0, v[2:5]
.LBB123_291:
	s_or_b64 exec, exec, s[4:5]
	s_waitcnt lgkmcnt(0)
	; wave barrier
	s_waitcnt lgkmcnt(0)
	buffer_load_dword v2, off, s[0:3], 0 offset:688
	buffer_load_dword v3, off, s[0:3], 0 offset:692
	;; [unrolled: 1-line block ×72, first 2 shown]
	ds_read_b128 v[52:55], v1 offset:1632
	buffer_load_dword v146, off, s[0:3], 0 offset:672
	buffer_load_dword v147, off, s[0:3], 0 offset:676
	;; [unrolled: 1-line block ×4, first 2 shown]
	ds_read_b128 v[56:59], v1 offset:1648
	ds_read_b128 v[60:63], v1 offset:1664
	;; [unrolled: 1-line block ×3, first 2 shown]
	v_cmp_lt_u32_e32 vcc, 40, v254
	ds_read_b128 v[120:123], v1 offset:1904
	s_waitcnt vmcnt(62) lgkmcnt(4)
	v_mul_f64 v[68:69], v[52:53], v[8:9]
	v_fmac_f64_e32 v[68:69], v[54:55], v[2:3]
	v_add_f64 v[68:69], v[68:69], 0
	v_mul_f64 v[8:9], v[54:55], v[8:9]
	s_waitcnt lgkmcnt(3)
	v_mul_f64 v[70:71], v[56:57], v[10:11]
	v_fmac_f64_e32 v[70:71], v[58:59], v[4:5]
	v_add_f64 v[68:69], v[68:69], v[70:71]
	v_fma_f64 v[2:3], v[52:53], v[2:3], -v[8:9]
	s_waitcnt lgkmcnt(2)
	v_mul_f64 v[70:71], v[60:61], v[12:13]
	v_fmac_f64_e32 v[70:71], v[62:63], v[6:7]
	v_add_f64 v[72:73], v[68:69], v[70:71]
	ds_read_b128 v[68:71], v1 offset:1696
	s_waitcnt vmcnt(60) lgkmcnt(2)
	v_mul_f64 v[74:75], v[64:65], v[18:19]
	v_mul_f64 v[8:9], v[58:59], v[10:11]
	s_waitcnt vmcnt(58)
	v_fmac_f64_e32 v[74:75], v[66:67], v[20:21]
	v_add_f64 v[76:77], v[72:73], v[74:75]
	ds_read_b128 v[72:75], v1 offset:1712
	s_waitcnt vmcnt(57) lgkmcnt(1)
	v_mul_f64 v[78:79], v[68:69], v[14:15]
	s_waitcnt vmcnt(56)
	v_fmac_f64_e32 v[78:79], v[70:71], v[16:17]
	v_add_f64 v[80:81], v[76:77], v[78:79]
	ds_read_b128 v[76:79], v1 offset:1728
	s_waitcnt vmcnt(52) lgkmcnt(1)
	v_mul_f64 v[82:83], v[72:73], v[26:27]
	s_waitcnt vmcnt(50)
	v_fmac_f64_e32 v[82:83], v[74:75], v[28:29]
	v_add_f64 v[84:85], v[80:81], v[82:83]
	ds_read_b128 v[80:83], v1 offset:1744
	s_waitcnt vmcnt(49) lgkmcnt(1)
	v_mul_f64 v[86:87], v[76:77], v[22:23]
	s_waitcnt vmcnt(48)
	v_fmac_f64_e32 v[86:87], v[78:79], v[24:25]
	v_add_f64 v[88:89], v[84:85], v[86:87]
	ds_read_b128 v[84:87], v1 offset:1760
	s_waitcnt vmcnt(44) lgkmcnt(1)
	v_mul_f64 v[90:91], v[80:81], v[34:35]
	s_waitcnt vmcnt(42)
	v_fmac_f64_e32 v[90:91], v[82:83], v[36:37]
	v_add_f64 v[2:3], v[2:3], 0
	v_fma_f64 v[4:5], v[56:57], v[4:5], -v[8:9]
	v_add_f64 v[92:93], v[88:89], v[90:91]
	ds_read_b128 v[88:91], v1 offset:1776
	s_waitcnt vmcnt(41) lgkmcnt(1)
	v_mul_f64 v[94:95], v[84:85], v[30:31]
	v_add_f64 v[2:3], v[2:3], v[4:5]
	v_mul_f64 v[4:5], v[62:63], v[12:13]
	s_waitcnt vmcnt(40)
	v_fmac_f64_e32 v[94:95], v[86:87], v[32:33]
	v_fma_f64 v[4:5], v[60:61], v[6:7], -v[4:5]
	v_add_f64 v[96:97], v[92:93], v[94:95]
	ds_read_b128 v[92:95], v1 offset:1792
	v_add_f64 v[2:3], v[2:3], v[4:5]
	v_mul_f64 v[4:5], v[66:67], v[18:19]
	v_fma_f64 v[4:5], v[64:65], v[20:21], -v[4:5]
	v_add_f64 v[2:3], v[2:3], v[4:5]
	v_mul_f64 v[4:5], v[70:71], v[14:15]
	s_waitcnt vmcnt(36) lgkmcnt(1)
	v_mul_f64 v[98:99], v[88:89], v[42:43]
	v_fma_f64 v[4:5], v[68:69], v[16:17], -v[4:5]
	s_waitcnt vmcnt(34)
	v_fmac_f64_e32 v[98:99], v[90:91], v[44:45]
	v_add_f64 v[2:3], v[2:3], v[4:5]
	v_mul_f64 v[4:5], v[74:75], v[26:27]
	v_add_f64 v[100:101], v[96:97], v[98:99]
	ds_read_b128 v[96:99], v1 offset:1808
	s_waitcnt vmcnt(33) lgkmcnt(1)
	v_mul_f64 v[102:103], v[92:93], v[38:39]
	v_fma_f64 v[4:5], v[72:73], v[28:29], -v[4:5]
	s_waitcnt vmcnt(32)
	v_fmac_f64_e32 v[102:103], v[94:95], v[40:41]
	v_add_f64 v[2:3], v[2:3], v[4:5]
	v_mul_f64 v[4:5], v[78:79], v[22:23]
	v_add_f64 v[104:105], v[100:101], v[102:103]
	ds_read_b128 v[100:103], v1 offset:1824
	v_fma_f64 v[4:5], v[76:77], v[24:25], -v[4:5]
	v_add_f64 v[2:3], v[2:3], v[4:5]
	v_mul_f64 v[4:5], v[82:83], v[34:35]
	v_fma_f64 v[4:5], v[80:81], v[36:37], -v[4:5]
	s_waitcnt vmcnt(28) lgkmcnt(1)
	v_mul_f64 v[106:107], v[96:97], v[50:51]
	v_add_f64 v[2:3], v[2:3], v[4:5]
	v_mul_f64 v[4:5], v[86:87], v[30:31]
	s_waitcnt vmcnt(26)
	v_fmac_f64_e32 v[106:107], v[98:99], v[124:125]
	v_fma_f64 v[4:5], v[84:85], v[32:33], -v[4:5]
	v_add_f64 v[108:109], v[104:105], v[106:107]
	ds_read_b128 v[104:107], v1 offset:1840
	s_waitcnt vmcnt(25) lgkmcnt(1)
	v_mul_f64 v[110:111], v[100:101], v[46:47]
	v_add_f64 v[2:3], v[2:3], v[4:5]
	v_mul_f64 v[4:5], v[90:91], v[42:43]
	s_waitcnt vmcnt(24)
	v_fmac_f64_e32 v[110:111], v[102:103], v[48:49]
	v_fma_f64 v[4:5], v[88:89], v[44:45], -v[4:5]
	v_add_f64 v[112:113], v[108:109], v[110:111]
	ds_read_b128 v[108:111], v1 offset:1856
	v_add_f64 v[2:3], v[2:3], v[4:5]
	v_mul_f64 v[4:5], v[94:95], v[38:39]
	v_fma_f64 v[4:5], v[92:93], v[40:41], -v[4:5]
	v_add_f64 v[2:3], v[2:3], v[4:5]
	v_mul_f64 v[4:5], v[98:99], v[50:51]
	s_waitcnt vmcnt(20) lgkmcnt(1)
	v_mul_f64 v[114:115], v[104:105], v[130:131]
	v_fma_f64 v[4:5], v[96:97], v[124:125], -v[4:5]
	s_waitcnt vmcnt(18)
	v_fmac_f64_e32 v[114:115], v[106:107], v[132:133]
	v_add_f64 v[2:3], v[2:3], v[4:5]
	v_mul_f64 v[4:5], v[102:103], v[46:47]
	v_add_f64 v[116:117], v[112:113], v[114:115]
	ds_read_b128 v[112:115], v1 offset:1872
	s_waitcnt vmcnt(17) lgkmcnt(1)
	v_mul_f64 v[118:119], v[108:109], v[126:127]
	v_fma_f64 v[4:5], v[100:101], v[48:49], -v[4:5]
	s_waitcnt vmcnt(16)
	v_fmac_f64_e32 v[118:119], v[110:111], v[128:129]
	v_add_f64 v[2:3], v[2:3], v[4:5]
	v_mul_f64 v[4:5], v[106:107], v[130:131]
	v_add_f64 v[150:151], v[116:117], v[118:119]
	ds_read_b128 v[116:119], v1 offset:1888
	v_fma_f64 v[4:5], v[104:105], v[132:133], -v[4:5]
	v_add_f64 v[2:3], v[2:3], v[4:5]
	v_mul_f64 v[4:5], v[110:111], v[126:127]
	v_fma_f64 v[4:5], v[108:109], v[128:129], -v[4:5]
	v_add_f64 v[2:3], v[2:3], v[4:5]
	s_waitcnt vmcnt(12) lgkmcnt(1)
	v_mul_f64 v[4:5], v[114:115], v[138:139]
	v_mul_f64 v[152:153], v[112:113], v[138:139]
	s_waitcnt vmcnt(10)
	v_fma_f64 v[4:5], v[112:113], v[140:141], -v[4:5]
	v_fmac_f64_e32 v[152:153], v[114:115], v[140:141]
	v_add_f64 v[2:3], v[2:3], v[4:5]
	s_waitcnt vmcnt(9) lgkmcnt(0)
	v_mul_f64 v[4:5], v[118:119], v[134:135]
	v_add_f64 v[150:151], v[150:151], v[152:153]
	v_mul_f64 v[152:153], v[116:117], v[134:135]
	s_waitcnt vmcnt(8)
	v_fma_f64 v[4:5], v[116:117], v[136:137], -v[4:5]
	v_fmac_f64_e32 v[152:153], v[118:119], v[136:137]
	v_add_f64 v[2:3], v[2:3], v[4:5]
	s_waitcnt vmcnt(6)
	v_mul_f64 v[4:5], v[122:123], v[142:143]
	v_add_f64 v[150:151], v[150:151], v[152:153]
	v_mul_f64 v[152:153], v[120:121], v[142:143]
	s_waitcnt vmcnt(4)
	v_fma_f64 v[4:5], v[120:121], v[144:145], -v[4:5]
	v_fmac_f64_e32 v[152:153], v[122:123], v[144:145]
	v_add_f64 v[2:3], v[2:3], v[4:5]
	v_add_f64 v[150:151], v[150:151], v[152:153]
	s_waitcnt vmcnt(2)
	v_add_f64 v[2:3], v[146:147], -v[2:3]
	s_waitcnt vmcnt(0)
	v_add_f64 v[4:5], v[148:149], -v[150:151]
	buffer_store_dword v3, off, s[0:3], 0 offset:676
	buffer_store_dword v2, off, s[0:3], 0 offset:672
	;; [unrolled: 1-line block ×4, first 2 shown]
	s_and_saveexec_b64 s[4:5], vcc
	s_cbranch_execz .LBB123_293
; %bb.292:
	v_accvgpr_read_b32 v0, a139
	buffer_load_dword v2, v0, s[0:3], 0 offen
	buffer_load_dword v3, v0, s[0:3], 0 offen offset:4
	buffer_load_dword v4, v0, s[0:3], 0 offen offset:8
	;; [unrolled: 1-line block ×3, first 2 shown]
	v_mov_b32_e32 v0, 0
	v_accvgpr_read_b32 v1, a180
	buffer_store_dword v0, off, s[0:3], 0 offset:656
	buffer_store_dword v0, off, s[0:3], 0 offset:660
	buffer_store_dword v0, off, s[0:3], 0 offset:664
	buffer_store_dword v0, off, s[0:3], 0 offset:668
	s_waitcnt vmcnt(4)
	ds_write_b128 v1, v[2:5]
.LBB123_293:
	s_or_b64 exec, exec, s[4:5]
	s_waitcnt lgkmcnt(0)
	; wave barrier
	s_waitcnt lgkmcnt(0)
	buffer_load_dword v2, off, s[0:3], 0 offset:672
	buffer_load_dword v3, off, s[0:3], 0 offset:676
	buffer_load_dword v8, off, s[0:3], 0 offset:680
	buffer_load_dword v9, off, s[0:3], 0 offset:684
	buffer_load_dword v4, off, s[0:3], 0 offset:688
	buffer_load_dword v5, off, s[0:3], 0 offset:692
	buffer_load_dword v10, off, s[0:3], 0 offset:696
	buffer_load_dword v11, off, s[0:3], 0 offset:700
	buffer_load_dword v6, off, s[0:3], 0 offset:704
	buffer_load_dword v7, off, s[0:3], 0 offset:708
	buffer_load_dword v12, off, s[0:3], 0 offset:712
	buffer_load_dword v13, off, s[0:3], 0 offset:716
	buffer_load_dword v15, off, s[0:3], 0 offset:748
	buffer_load_dword v17, off, s[0:3], 0 offset:740
	buffer_load_dword v19, off, s[0:3], 0 offset:732
	buffer_load_dword v18, off, s[0:3], 0 offset:728
	buffer_load_dword v21, off, s[0:3], 0 offset:724
	buffer_load_dword v20, off, s[0:3], 0 offset:720
	buffer_load_dword v14, off, s[0:3], 0 offset:744
	buffer_load_dword v16, off, s[0:3], 0 offset:736
	buffer_load_dword v23, off, s[0:3], 0 offset:780
	buffer_load_dword v25, off, s[0:3], 0 offset:772
	buffer_load_dword v27, off, s[0:3], 0 offset:764
	buffer_load_dword v26, off, s[0:3], 0 offset:760
	buffer_load_dword v29, off, s[0:3], 0 offset:756
	buffer_load_dword v28, off, s[0:3], 0 offset:752
	buffer_load_dword v22, off, s[0:3], 0 offset:776
	buffer_load_dword v24, off, s[0:3], 0 offset:768
	buffer_load_dword v31, off, s[0:3], 0 offset:812
	buffer_load_dword v33, off, s[0:3], 0 offset:804
	buffer_load_dword v35, off, s[0:3], 0 offset:796
	buffer_load_dword v34, off, s[0:3], 0 offset:792
	buffer_load_dword v37, off, s[0:3], 0 offset:788
	buffer_load_dword v36, off, s[0:3], 0 offset:784
	buffer_load_dword v30, off, s[0:3], 0 offset:808
	buffer_load_dword v32, off, s[0:3], 0 offset:800
	buffer_load_dword v39, off, s[0:3], 0 offset:844
	buffer_load_dword v41, off, s[0:3], 0 offset:836
	buffer_load_dword v43, off, s[0:3], 0 offset:828
	buffer_load_dword v42, off, s[0:3], 0 offset:824
	buffer_load_dword v45, off, s[0:3], 0 offset:820
	buffer_load_dword v44, off, s[0:3], 0 offset:816
	buffer_load_dword v38, off, s[0:3], 0 offset:840
	buffer_load_dword v40, off, s[0:3], 0 offset:832
	buffer_load_dword v47, off, s[0:3], 0 offset:876
	buffer_load_dword v49, off, s[0:3], 0 offset:868
	buffer_load_dword v51, off, s[0:3], 0 offset:860
	buffer_load_dword v50, off, s[0:3], 0 offset:856
	buffer_load_dword v53, off, s[0:3], 0 offset:852
	buffer_load_dword v52, off, s[0:3], 0 offset:848
	buffer_load_dword v46, off, s[0:3], 0 offset:872
	buffer_load_dword v48, off, s[0:3], 0 offset:864
	buffer_load_dword v131, off, s[0:3], 0 offset:908
	buffer_load_dword v133, off, s[0:3], 0 offset:900
	buffer_load_dword v135, off, s[0:3], 0 offset:892
	buffer_load_dword v134, off, s[0:3], 0 offset:888
	buffer_load_dword v137, off, s[0:3], 0 offset:884
	buffer_load_dword v136, off, s[0:3], 0 offset:880
	buffer_load_dword v130, off, s[0:3], 0 offset:904
	buffer_load_dword v132, off, s[0:3], 0 offset:896
	buffer_load_dword v139, off, s[0:3], 0 offset:940
	buffer_load_dword v141, off, s[0:3], 0 offset:932
	buffer_load_dword v143, off, s[0:3], 0 offset:924
	buffer_load_dword v142, off, s[0:3], 0 offset:920
	buffer_load_dword v145, off, s[0:3], 0 offset:916
	buffer_load_dword v144, off, s[0:3], 0 offset:912
	buffer_load_dword v138, off, s[0:3], 0 offset:936
	buffer_load_dword v140, off, s[0:3], 0 offset:928
	buffer_load_dword v147, off, s[0:3], 0 offset:972
	buffer_load_dword v149, off, s[0:3], 0 offset:964
	buffer_load_dword v151, off, s[0:3], 0 offset:956
	buffer_load_dword v150, off, s[0:3], 0 offset:952
	buffer_load_dword v153, off, s[0:3], 0 offset:948
	buffer_load_dword v152, off, s[0:3], 0 offset:944
	buffer_load_dword v146, off, s[0:3], 0 offset:968
	buffer_load_dword v148, off, s[0:3], 0 offset:960
	v_mov_b32_e32 v1, 0
	ds_read_b128 v[54:57], v1 offset:1616
	buffer_load_dword v154, off, s[0:3], 0 offset:656
	buffer_load_dword v155, off, s[0:3], 0 offset:660
	;; [unrolled: 1-line block ×4, first 2 shown]
	ds_read_b128 v[58:61], v1 offset:1632
	ds_read_b128 v[62:65], v1 offset:1648
	;; [unrolled: 1-line block ×4, first 2 shown]
	v_cmp_lt_u32_e32 vcc, 39, v254
	s_waitcnt vmcnt(62) lgkmcnt(4)
	v_mul_f64 v[70:71], v[54:55], v[8:9]
	v_fmac_f64_e32 v[70:71], v[56:57], v[2:3]
	v_add_f64 v[70:71], v[70:71], 0
	v_mul_f64 v[8:9], v[56:57], v[8:9]
	s_waitcnt lgkmcnt(3)
	v_mul_f64 v[72:73], v[58:59], v[10:11]
	v_fmac_f64_e32 v[72:73], v[60:61], v[4:5]
	v_add_f64 v[70:71], v[70:71], v[72:73]
	v_fma_f64 v[2:3], v[54:55], v[2:3], -v[8:9]
	s_waitcnt lgkmcnt(2)
	v_mul_f64 v[72:73], v[62:63], v[12:13]
	v_fmac_f64_e32 v[72:73], v[64:65], v[6:7]
	v_add_f64 v[74:75], v[70:71], v[72:73]
	ds_read_b128 v[70:73], v1 offset:1680
	s_waitcnt lgkmcnt(2)
	v_mul_f64 v[76:77], v[66:67], v[18:19]
	v_mul_f64 v[8:9], v[60:61], v[10:11]
	v_fmac_f64_e32 v[76:77], v[68:69], v[20:21]
	v_add_f64 v[78:79], v[74:75], v[76:77]
	ds_read_b128 v[74:77], v1 offset:1696
	s_waitcnt vmcnt(61) lgkmcnt(1)
	v_mul_f64 v[80:81], v[70:71], v[14:15]
	s_waitcnt vmcnt(60)
	v_fmac_f64_e32 v[80:81], v[72:73], v[16:17]
	v_add_f64 v[82:83], v[78:79], v[80:81]
	ds_read_b128 v[78:81], v1 offset:1712
	s_waitcnt vmcnt(56) lgkmcnt(1)
	v_mul_f64 v[84:85], v[74:75], v[26:27]
	s_waitcnt vmcnt(54)
	;; [unrolled: 6-line block ×4, first 2 shown]
	v_fmac_f64_e32 v[92:93], v[84:85], v[36:37]
	v_add_f64 v[94:95], v[90:91], v[92:93]
	ds_read_b128 v[90:93], v1 offset:1760
	v_add_f64 v[2:3], v[2:3], 0
	v_fma_f64 v[4:5], v[58:59], v[4:5], -v[8:9]
	s_waitcnt vmcnt(45) lgkmcnt(1)
	v_mul_f64 v[96:97], v[86:87], v[30:31]
	v_add_f64 v[2:3], v[2:3], v[4:5]
	v_mul_f64 v[4:5], v[64:65], v[12:13]
	s_waitcnt vmcnt(44)
	v_fmac_f64_e32 v[96:97], v[88:89], v[32:33]
	v_fma_f64 v[4:5], v[62:63], v[6:7], -v[4:5]
	v_add_f64 v[98:99], v[94:95], v[96:97]
	ds_read_b128 v[94:97], v1 offset:1776
	s_waitcnt vmcnt(40) lgkmcnt(1)
	v_mul_f64 v[100:101], v[90:91], v[42:43]
	v_add_f64 v[2:3], v[2:3], v[4:5]
	v_mul_f64 v[4:5], v[68:69], v[18:19]
	s_waitcnt vmcnt(38)
	v_fmac_f64_e32 v[100:101], v[92:93], v[44:45]
	v_fma_f64 v[4:5], v[66:67], v[20:21], -v[4:5]
	v_add_f64 v[102:103], v[98:99], v[100:101]
	ds_read_b128 v[98:101], v1 offset:1792
	v_add_f64 v[2:3], v[2:3], v[4:5]
	v_mul_f64 v[4:5], v[72:73], v[14:15]
	v_fma_f64 v[4:5], v[70:71], v[16:17], -v[4:5]
	v_add_f64 v[2:3], v[2:3], v[4:5]
	v_mul_f64 v[4:5], v[76:77], v[26:27]
	s_waitcnt vmcnt(37) lgkmcnt(1)
	v_mul_f64 v[104:105], v[94:95], v[38:39]
	v_fma_f64 v[4:5], v[74:75], v[28:29], -v[4:5]
	s_waitcnt vmcnt(36)
	v_fmac_f64_e32 v[104:105], v[96:97], v[40:41]
	v_add_f64 v[2:3], v[2:3], v[4:5]
	v_mul_f64 v[4:5], v[80:81], v[22:23]
	v_add_f64 v[106:107], v[102:103], v[104:105]
	ds_read_b128 v[102:105], v1 offset:1808
	s_waitcnt vmcnt(32) lgkmcnt(1)
	v_mul_f64 v[108:109], v[98:99], v[50:51]
	v_fma_f64 v[4:5], v[78:79], v[24:25], -v[4:5]
	s_waitcnt vmcnt(30)
	v_fmac_f64_e32 v[108:109], v[100:101], v[52:53]
	v_add_f64 v[2:3], v[2:3], v[4:5]
	v_mul_f64 v[4:5], v[84:85], v[34:35]
	v_add_f64 v[110:111], v[106:107], v[108:109]
	ds_read_b128 v[106:109], v1 offset:1824
	v_fma_f64 v[4:5], v[82:83], v[36:37], -v[4:5]
	v_add_f64 v[2:3], v[2:3], v[4:5]
	v_mul_f64 v[4:5], v[88:89], v[30:31]
	v_fma_f64 v[4:5], v[86:87], v[32:33], -v[4:5]
	s_waitcnt vmcnt(29) lgkmcnt(1)
	v_mul_f64 v[112:113], v[102:103], v[46:47]
	v_add_f64 v[2:3], v[2:3], v[4:5]
	v_mul_f64 v[4:5], v[92:93], v[42:43]
	s_waitcnt vmcnt(28)
	v_fmac_f64_e32 v[112:113], v[104:105], v[48:49]
	v_fma_f64 v[4:5], v[90:91], v[44:45], -v[4:5]
	v_add_f64 v[114:115], v[110:111], v[112:113]
	ds_read_b128 v[110:113], v1 offset:1840
	s_waitcnt vmcnt(24) lgkmcnt(1)
	v_mul_f64 v[116:117], v[106:107], v[134:135]
	v_add_f64 v[2:3], v[2:3], v[4:5]
	v_mul_f64 v[4:5], v[96:97], v[38:39]
	s_waitcnt vmcnt(22)
	v_fmac_f64_e32 v[116:117], v[108:109], v[136:137]
	v_fma_f64 v[4:5], v[94:95], v[40:41], -v[4:5]
	v_add_f64 v[118:119], v[114:115], v[116:117]
	ds_read_b128 v[114:117], v1 offset:1856
	v_add_f64 v[2:3], v[2:3], v[4:5]
	v_mul_f64 v[4:5], v[100:101], v[50:51]
	v_fma_f64 v[4:5], v[98:99], v[52:53], -v[4:5]
	v_add_f64 v[2:3], v[2:3], v[4:5]
	v_mul_f64 v[4:5], v[104:105], v[46:47]
	s_waitcnt vmcnt(21) lgkmcnt(1)
	v_mul_f64 v[120:121], v[110:111], v[130:131]
	v_fma_f64 v[4:5], v[102:103], v[48:49], -v[4:5]
	s_waitcnt vmcnt(20)
	v_fmac_f64_e32 v[120:121], v[112:113], v[132:133]
	v_add_f64 v[2:3], v[2:3], v[4:5]
	v_mul_f64 v[4:5], v[108:109], v[134:135]
	v_add_f64 v[122:123], v[118:119], v[120:121]
	ds_read_b128 v[118:121], v1 offset:1872
	s_waitcnt vmcnt(16) lgkmcnt(1)
	v_mul_f64 v[124:125], v[114:115], v[142:143]
	v_fma_f64 v[4:5], v[106:107], v[136:137], -v[4:5]
	s_waitcnt vmcnt(14)
	v_fmac_f64_e32 v[124:125], v[116:117], v[144:145]
	v_add_f64 v[2:3], v[2:3], v[4:5]
	v_mul_f64 v[4:5], v[112:113], v[130:131]
	v_add_f64 v[158:159], v[122:123], v[124:125]
	ds_read_b128 v[122:125], v1 offset:1888
	v_fma_f64 v[4:5], v[110:111], v[132:133], -v[4:5]
	v_add_f64 v[2:3], v[2:3], v[4:5]
	v_mul_f64 v[4:5], v[116:117], v[142:143]
	v_fma_f64 v[4:5], v[114:115], v[144:145], -v[4:5]
	v_add_f64 v[2:3], v[2:3], v[4:5]
	s_waitcnt vmcnt(13) lgkmcnt(1)
	v_mul_f64 v[4:5], v[120:121], v[138:139]
	v_mul_f64 v[160:161], v[118:119], v[138:139]
	s_waitcnt vmcnt(12)
	v_fma_f64 v[4:5], v[118:119], v[140:141], -v[4:5]
	v_fmac_f64_e32 v[160:161], v[120:121], v[140:141]
	v_add_f64 v[2:3], v[2:3], v[4:5]
	s_waitcnt vmcnt(8) lgkmcnt(0)
	v_mul_f64 v[4:5], v[124:125], v[150:151]
	v_add_f64 v[158:159], v[158:159], v[160:161]
	v_mul_f64 v[160:161], v[122:123], v[150:151]
	s_waitcnt vmcnt(6)
	v_fma_f64 v[4:5], v[122:123], v[152:153], -v[4:5]
	v_fmac_f64_e32 v[160:161], v[124:125], v[152:153]
	v_add_f64 v[2:3], v[2:3], v[4:5]
	s_waitcnt vmcnt(5)
	v_mul_f64 v[4:5], v[128:129], v[146:147]
	v_add_f64 v[158:159], v[158:159], v[160:161]
	v_mul_f64 v[160:161], v[126:127], v[146:147]
	s_waitcnt vmcnt(4)
	v_fma_f64 v[4:5], v[126:127], v[148:149], -v[4:5]
	v_fmac_f64_e32 v[160:161], v[128:129], v[148:149]
	v_add_f64 v[2:3], v[2:3], v[4:5]
	v_add_f64 v[158:159], v[158:159], v[160:161]
	s_waitcnt vmcnt(2)
	v_add_f64 v[2:3], v[154:155], -v[2:3]
	s_waitcnt vmcnt(0)
	v_add_f64 v[4:5], v[156:157], -v[158:159]
	buffer_store_dword v3, off, s[0:3], 0 offset:660
	buffer_store_dword v2, off, s[0:3], 0 offset:656
	;; [unrolled: 1-line block ×4, first 2 shown]
	s_and_saveexec_b64 s[4:5], vcc
	s_cbranch_execz .LBB123_295
; %bb.294:
	v_accvgpr_read_b32 v0, a140
	buffer_load_dword v2, v0, s[0:3], 0 offen
	buffer_load_dword v3, v0, s[0:3], 0 offen offset:4
	buffer_load_dword v4, v0, s[0:3], 0 offen offset:8
	;; [unrolled: 1-line block ×3, first 2 shown]
	v_accvgpr_read_b32 v0, a180
	buffer_store_dword v1, off, s[0:3], 0 offset:640
	buffer_store_dword v1, off, s[0:3], 0 offset:644
	;; [unrolled: 1-line block ×4, first 2 shown]
	s_waitcnt vmcnt(4)
	ds_write_b128 v0, v[2:5]
.LBB123_295:
	s_or_b64 exec, exec, s[4:5]
	s_waitcnt lgkmcnt(0)
	; wave barrier
	s_waitcnt lgkmcnt(0)
	buffer_load_dword v2, off, s[0:3], 0 offset:656
	buffer_load_dword v3, off, s[0:3], 0 offset:660
	;; [unrolled: 1-line block ×76, first 2 shown]
	ds_read_b128 v[54:57], v1 offset:1600
	buffer_load_dword v159, off, s[0:3], 0 offset:972
	buffer_load_dword v158, off, s[0:3], 0 offset:968
	;; [unrolled: 1-line block ×8, first 2 shown]
	ds_read_b128 v[58:61], v1 offset:1616
	ds_read_b128 v[62:65], v1 offset:1632
	;; [unrolled: 1-line block ×3, first 2 shown]
	v_cmp_lt_u32_e32 vcc, 38, v254
	ds_read_b128 v[130:133], v1 offset:1904
	s_waitcnt vmcnt(62) lgkmcnt(4)
	v_mul_f64 v[70:71], v[54:55], v[8:9]
	v_fmac_f64_e32 v[70:71], v[56:57], v[2:3]
	v_add_f64 v[70:71], v[70:71], 0
	v_mul_f64 v[8:9], v[56:57], v[8:9]
	s_waitcnt lgkmcnt(3)
	v_mul_f64 v[72:73], v[58:59], v[10:11]
	v_fmac_f64_e32 v[72:73], v[60:61], v[4:5]
	v_add_f64 v[70:71], v[70:71], v[72:73]
	v_fma_f64 v[2:3], v[54:55], v[2:3], -v[8:9]
	s_waitcnt lgkmcnt(2)
	v_mul_f64 v[72:73], v[62:63], v[12:13]
	v_fmac_f64_e32 v[72:73], v[64:65], v[6:7]
	v_add_f64 v[74:75], v[70:71], v[72:73]
	ds_read_b128 v[70:73], v1 offset:1664
	v_mul_f64 v[8:9], v[60:61], v[10:11]
	v_add_f64 v[2:3], v[2:3], 0
	s_waitcnt lgkmcnt(2)
	v_mul_f64 v[76:77], v[66:67], v[18:19]
	v_fma_f64 v[4:5], v[58:59], v[4:5], -v[8:9]
	v_fmac_f64_e32 v[76:77], v[68:69], v[20:21]
	v_add_f64 v[78:79], v[74:75], v[76:77]
	ds_read_b128 v[74:77], v1 offset:1680
	s_waitcnt lgkmcnt(1)
	v_mul_f64 v[80:81], v[70:71], v[14:15]
	v_fmac_f64_e32 v[80:81], v[72:73], v[16:17]
	v_add_f64 v[82:83], v[78:79], v[80:81]
	ds_read_b128 v[78:81], v1 offset:1696
	s_waitcnt vmcnt(58) lgkmcnt(1)
	v_mul_f64 v[84:85], v[74:75], v[26:27]
	s_waitcnt vmcnt(56)
	v_fmac_f64_e32 v[84:85], v[76:77], v[28:29]
	v_add_f64 v[86:87], v[82:83], v[84:85]
	ds_read_b128 v[82:85], v1 offset:1712
	s_waitcnt lgkmcnt(1)
	v_mul_f64 v[88:89], v[78:79], v[22:23]
	v_fmac_f64_e32 v[88:89], v[80:81], v[24:25]
	v_add_f64 v[90:91], v[86:87], v[88:89]
	ds_read_b128 v[86:89], v1 offset:1728
	s_waitcnt vmcnt(50) lgkmcnt(1)
	v_mul_f64 v[92:93], v[82:83], v[34:35]
	s_waitcnt vmcnt(48)
	v_fmac_f64_e32 v[92:93], v[84:85], v[36:37]
	v_add_f64 v[94:95], v[90:91], v[92:93]
	ds_read_b128 v[90:93], v1 offset:1744
	s_waitcnt lgkmcnt(1)
	v_mul_f64 v[96:97], v[86:87], v[30:31]
	v_fmac_f64_e32 v[96:97], v[88:89], v[32:33]
	v_add_f64 v[98:99], v[94:95], v[96:97]
	ds_read_b128 v[94:97], v1 offset:1760
	v_add_f64 v[2:3], v[2:3], v[4:5]
	v_mul_f64 v[4:5], v[64:65], v[12:13]
	v_fma_f64 v[4:5], v[62:63], v[6:7], -v[4:5]
	s_waitcnt vmcnt(42) lgkmcnt(1)
	v_mul_f64 v[100:101], v[90:91], v[42:43]
	v_add_f64 v[2:3], v[2:3], v[4:5]
	v_mul_f64 v[4:5], v[68:69], v[18:19]
	s_waitcnt vmcnt(40)
	v_fmac_f64_e32 v[100:101], v[92:93], v[44:45]
	v_fma_f64 v[4:5], v[66:67], v[20:21], -v[4:5]
	v_add_f64 v[102:103], v[98:99], v[100:101]
	ds_read_b128 v[98:101], v1 offset:1776
	s_waitcnt lgkmcnt(1)
	v_mul_f64 v[104:105], v[94:95], v[38:39]
	v_add_f64 v[2:3], v[2:3], v[4:5]
	v_mul_f64 v[4:5], v[72:73], v[14:15]
	v_fmac_f64_e32 v[104:105], v[96:97], v[40:41]
	v_fma_f64 v[4:5], v[70:71], v[16:17], -v[4:5]
	v_add_f64 v[106:107], v[102:103], v[104:105]
	ds_read_b128 v[102:105], v1 offset:1792
	v_add_f64 v[2:3], v[2:3], v[4:5]
	v_mul_f64 v[4:5], v[76:77], v[26:27]
	v_fma_f64 v[4:5], v[74:75], v[28:29], -v[4:5]
	v_add_f64 v[2:3], v[2:3], v[4:5]
	v_mul_f64 v[4:5], v[80:81], v[22:23]
	s_waitcnt vmcnt(34) lgkmcnt(1)
	v_mul_f64 v[108:109], v[98:99], v[50:51]
	v_fma_f64 v[4:5], v[78:79], v[24:25], -v[4:5]
	s_waitcnt vmcnt(32)
	v_fmac_f64_e32 v[108:109], v[100:101], v[52:53]
	v_add_f64 v[2:3], v[2:3], v[4:5]
	v_mul_f64 v[4:5], v[84:85], v[34:35]
	v_add_f64 v[110:111], v[106:107], v[108:109]
	ds_read_b128 v[106:109], v1 offset:1808
	s_waitcnt lgkmcnt(1)
	v_mul_f64 v[112:113], v[102:103], v[46:47]
	v_fma_f64 v[4:5], v[82:83], v[36:37], -v[4:5]
	v_fmac_f64_e32 v[112:113], v[104:105], v[48:49]
	v_add_f64 v[2:3], v[2:3], v[4:5]
	v_mul_f64 v[4:5], v[88:89], v[30:31]
	v_add_f64 v[114:115], v[110:111], v[112:113]
	ds_read_b128 v[110:113], v1 offset:1824
	v_fma_f64 v[4:5], v[86:87], v[32:33], -v[4:5]
	v_add_f64 v[2:3], v[2:3], v[4:5]
	v_mul_f64 v[4:5], v[92:93], v[42:43]
	v_fma_f64 v[4:5], v[90:91], v[44:45], -v[4:5]
	s_waitcnt vmcnt(26) lgkmcnt(1)
	v_mul_f64 v[116:117], v[106:107], v[138:139]
	v_add_f64 v[2:3], v[2:3], v[4:5]
	v_mul_f64 v[4:5], v[96:97], v[38:39]
	s_waitcnt vmcnt(24)
	v_fmac_f64_e32 v[116:117], v[108:109], v[140:141]
	v_fma_f64 v[4:5], v[94:95], v[40:41], -v[4:5]
	v_add_f64 v[118:119], v[114:115], v[116:117]
	ds_read_b128 v[114:117], v1 offset:1840
	s_waitcnt lgkmcnt(1)
	v_mul_f64 v[120:121], v[110:111], v[134:135]
	v_add_f64 v[2:3], v[2:3], v[4:5]
	v_mul_f64 v[4:5], v[100:101], v[50:51]
	v_fmac_f64_e32 v[120:121], v[112:113], v[136:137]
	v_fma_f64 v[4:5], v[98:99], v[52:53], -v[4:5]
	v_add_f64 v[122:123], v[118:119], v[120:121]
	ds_read_b128 v[118:121], v1 offset:1856
	v_add_f64 v[2:3], v[2:3], v[4:5]
	v_mul_f64 v[4:5], v[104:105], v[46:47]
	v_fma_f64 v[4:5], v[102:103], v[48:49], -v[4:5]
	v_add_f64 v[2:3], v[2:3], v[4:5]
	v_mul_f64 v[4:5], v[108:109], v[138:139]
	s_waitcnt vmcnt(18) lgkmcnt(1)
	v_mul_f64 v[124:125], v[114:115], v[146:147]
	v_fma_f64 v[4:5], v[106:107], v[140:141], -v[4:5]
	s_waitcnt vmcnt(16)
	v_fmac_f64_e32 v[124:125], v[116:117], v[148:149]
	v_add_f64 v[2:3], v[2:3], v[4:5]
	v_mul_f64 v[4:5], v[112:113], v[134:135]
	v_add_f64 v[126:127], v[122:123], v[124:125]
	ds_read_b128 v[122:125], v1 offset:1872
	s_waitcnt lgkmcnt(1)
	v_mul_f64 v[128:129], v[118:119], v[142:143]
	v_fma_f64 v[4:5], v[110:111], v[136:137], -v[4:5]
	v_fmac_f64_e32 v[128:129], v[120:121], v[144:145]
	v_add_f64 v[2:3], v[2:3], v[4:5]
	v_mul_f64 v[4:5], v[116:117], v[146:147]
	v_add_f64 v[166:167], v[126:127], v[128:129]
	ds_read_b128 v[126:129], v1 offset:1888
	v_fma_f64 v[4:5], v[114:115], v[148:149], -v[4:5]
	v_add_f64 v[2:3], v[2:3], v[4:5]
	v_mul_f64 v[4:5], v[120:121], v[142:143]
	v_fma_f64 v[4:5], v[118:119], v[144:145], -v[4:5]
	v_add_f64 v[2:3], v[2:3], v[4:5]
	s_waitcnt vmcnt(10) lgkmcnt(1)
	v_mul_f64 v[4:5], v[124:125], v[154:155]
	v_mul_f64 v[168:169], v[122:123], v[154:155]
	s_waitcnt vmcnt(8)
	v_fma_f64 v[4:5], v[122:123], v[156:157], -v[4:5]
	v_fmac_f64_e32 v[168:169], v[124:125], v[156:157]
	v_add_f64 v[2:3], v[2:3], v[4:5]
	s_waitcnt lgkmcnt(0)
	v_mul_f64 v[4:5], v[128:129], v[150:151]
	v_add_f64 v[166:167], v[166:167], v[168:169]
	v_mul_f64 v[168:169], v[126:127], v[150:151]
	v_fma_f64 v[4:5], v[126:127], v[152:153], -v[4:5]
	v_fmac_f64_e32 v[168:169], v[128:129], v[152:153]
	v_add_f64 v[2:3], v[2:3], v[4:5]
	s_waitcnt vmcnt(6)
	v_mul_f64 v[4:5], v[132:133], v[158:159]
	v_add_f64 v[166:167], v[166:167], v[168:169]
	v_mul_f64 v[168:169], v[130:131], v[158:159]
	s_waitcnt vmcnt(4)
	v_fma_f64 v[4:5], v[130:131], v[160:161], -v[4:5]
	v_fmac_f64_e32 v[168:169], v[132:133], v[160:161]
	v_add_f64 v[2:3], v[2:3], v[4:5]
	v_add_f64 v[166:167], v[166:167], v[168:169]
	s_waitcnt vmcnt(2)
	v_add_f64 v[2:3], v[162:163], -v[2:3]
	s_waitcnt vmcnt(0)
	v_add_f64 v[4:5], v[164:165], -v[166:167]
	buffer_store_dword v3, off, s[0:3], 0 offset:644
	buffer_store_dword v2, off, s[0:3], 0 offset:640
	;; [unrolled: 1-line block ×4, first 2 shown]
	s_and_saveexec_b64 s[4:5], vcc
	s_cbranch_execz .LBB123_297
; %bb.296:
	v_accvgpr_read_b32 v0, a141
	buffer_load_dword v2, v0, s[0:3], 0 offen
	buffer_load_dword v3, v0, s[0:3], 0 offen offset:4
	buffer_load_dword v4, v0, s[0:3], 0 offen offset:8
	;; [unrolled: 1-line block ×3, first 2 shown]
	v_mov_b32_e32 v0, 0
	v_accvgpr_read_b32 v1, a180
	buffer_store_dword v0, off, s[0:3], 0 offset:624
	buffer_store_dword v0, off, s[0:3], 0 offset:628
	;; [unrolled: 1-line block ×4, first 2 shown]
	s_waitcnt vmcnt(4)
	ds_write_b128 v1, v[2:5]
.LBB123_297:
	s_or_b64 exec, exec, s[4:5]
	s_waitcnt lgkmcnt(0)
	; wave barrier
	s_waitcnt lgkmcnt(0)
	buffer_load_dword v4, off, s[0:3], 0 offset:624
	buffer_load_dword v5, off, s[0:3], 0 offset:628
	;; [unrolled: 1-line block ×84, first 2 shown]
	v_mov_b32_e32 v1, 0
	ds_read_b128 v[66:69], v1 offset:1584
	buffer_load_dword v171, off, s[0:3], 0 offset:972
	buffer_load_dword v170, off, s[0:3], 0 offset:968
	;; [unrolled: 1-line block ×4, first 2 shown]
	ds_read_b128 v[70:73], v1 offset:1600
	ds_read_b128 v[74:77], v1 offset:1616
	ds_read_b128 v[78:81], v1 offset:1632
	ds_read_b128 v[146:149], v1 offset:1904
	v_cmp_lt_u32_e32 vcc, 37, v254
	s_waitcnt vmcnt(62) lgkmcnt(4)
	v_mul_f64 v[82:83], v[66:67], v[12:13]
	v_fmac_f64_e32 v[82:83], v[68:69], v[6:7]
	s_waitcnt lgkmcnt(3)
	v_mul_f64 v[84:85], v[70:71], v[14:15]
	v_add_f64 v[82:83], v[82:83], 0
	v_fmac_f64_e32 v[84:85], v[72:73], v[8:9]
	v_add_f64 v[82:83], v[82:83], v[84:85]
	s_waitcnt lgkmcnt(2)
	v_mul_f64 v[84:85], v[74:75], v[16:17]
	v_fmac_f64_e32 v[84:85], v[76:77], v[10:11]
	v_add_f64 v[86:87], v[82:83], v[84:85]
	ds_read_b128 v[82:85], v1 offset:1648
	v_mul_f64 v[12:13], v[68:69], v[12:13]
	s_waitcnt lgkmcnt(2)
	v_mul_f64 v[88:89], v[78:79], v[22:23]
	v_fma_f64 v[6:7], v[66:67], v[6:7], -v[12:13]
	v_fmac_f64_e32 v[88:89], v[80:81], v[24:25]
	v_add_f64 v[90:91], v[86:87], v[88:89]
	ds_read_b128 v[86:89], v1 offset:1664
	s_waitcnt lgkmcnt(1)
	v_mul_f64 v[92:93], v[82:83], v[18:19]
	v_fmac_f64_e32 v[92:93], v[84:85], v[20:21]
	v_add_f64 v[94:95], v[90:91], v[92:93]
	ds_read_b128 v[90:93], v1 offset:1680
	s_waitcnt vmcnt(58) lgkmcnt(1)
	v_mul_f64 v[96:97], v[86:87], v[30:31]
	s_waitcnt vmcnt(56)
	v_fmac_f64_e32 v[96:97], v[88:89], v[32:33]
	v_add_f64 v[98:99], v[94:95], v[96:97]
	ds_read_b128 v[94:97], v1 offset:1696
	s_waitcnt lgkmcnt(1)
	v_mul_f64 v[100:101], v[90:91], v[26:27]
	v_fmac_f64_e32 v[100:101], v[92:93], v[28:29]
	v_add_f64 v[102:103], v[98:99], v[100:101]
	ds_read_b128 v[98:101], v1 offset:1712
	s_waitcnt vmcnt(50) lgkmcnt(1)
	v_mul_f64 v[104:105], v[94:95], v[38:39]
	s_waitcnt vmcnt(48)
	v_fmac_f64_e32 v[104:105], v[96:97], v[40:41]
	v_add_f64 v[106:107], v[102:103], v[104:105]
	ds_read_b128 v[102:105], v1 offset:1728
	s_waitcnt lgkmcnt(1)
	v_mul_f64 v[108:109], v[98:99], v[34:35]
	v_fmac_f64_e32 v[108:109], v[100:101], v[36:37]
	v_mul_f64 v[12:13], v[72:73], v[14:15]
	v_add_f64 v[110:111], v[106:107], v[108:109]
	ds_read_b128 v[106:109], v1 offset:1744
	s_waitcnt vmcnt(42) lgkmcnt(1)
	v_mul_f64 v[112:113], v[102:103], v[46:47]
	v_add_f64 v[6:7], v[6:7], 0
	v_fma_f64 v[8:9], v[70:71], v[8:9], -v[12:13]
	s_waitcnt vmcnt(40)
	v_fmac_f64_e32 v[112:113], v[104:105], v[48:49]
	v_add_f64 v[6:7], v[6:7], v[8:9]
	v_mul_f64 v[8:9], v[76:77], v[16:17]
	v_add_f64 v[114:115], v[110:111], v[112:113]
	ds_read_b128 v[110:113], v1 offset:1760
	v_fma_f64 v[8:9], v[74:75], v[10:11], -v[8:9]
	v_add_f64 v[6:7], v[6:7], v[8:9]
	v_mul_f64 v[8:9], v[80:81], v[22:23]
	v_fma_f64 v[8:9], v[78:79], v[24:25], -v[8:9]
	s_waitcnt lgkmcnt(1)
	v_mul_f64 v[116:117], v[106:107], v[42:43]
	v_add_f64 v[6:7], v[6:7], v[8:9]
	v_mul_f64 v[8:9], v[84:85], v[18:19]
	v_fmac_f64_e32 v[116:117], v[108:109], v[44:45]
	v_fma_f64 v[8:9], v[82:83], v[20:21], -v[8:9]
	v_add_f64 v[118:119], v[114:115], v[116:117]
	ds_read_b128 v[114:117], v1 offset:1776
	s_waitcnt vmcnt(34) lgkmcnt(1)
	v_mul_f64 v[120:121], v[110:111], v[54:55]
	v_add_f64 v[6:7], v[6:7], v[8:9]
	v_mul_f64 v[8:9], v[88:89], v[30:31]
	s_waitcnt vmcnt(32)
	v_fmac_f64_e32 v[120:121], v[112:113], v[56:57]
	v_fma_f64 v[8:9], v[86:87], v[32:33], -v[8:9]
	v_add_f64 v[122:123], v[118:119], v[120:121]
	ds_read_b128 v[118:121], v1 offset:1792
	v_add_f64 v[6:7], v[6:7], v[8:9]
	v_mul_f64 v[8:9], v[92:93], v[26:27]
	v_fma_f64 v[8:9], v[90:91], v[28:29], -v[8:9]
	v_add_f64 v[6:7], v[6:7], v[8:9]
	v_mul_f64 v[8:9], v[96:97], v[38:39]
	s_waitcnt lgkmcnt(1)
	v_mul_f64 v[124:125], v[114:115], v[50:51]
	v_fma_f64 v[8:9], v[94:95], v[40:41], -v[8:9]
	v_fmac_f64_e32 v[124:125], v[116:117], v[52:53]
	v_add_f64 v[6:7], v[6:7], v[8:9]
	v_mul_f64 v[8:9], v[100:101], v[34:35]
	v_add_f64 v[126:127], v[122:123], v[124:125]
	ds_read_b128 v[122:125], v1 offset:1808
	s_waitcnt vmcnt(26) lgkmcnt(1)
	v_mul_f64 v[128:129], v[118:119], v[62:63]
	v_fma_f64 v[8:9], v[98:99], v[36:37], -v[8:9]
	s_waitcnt vmcnt(24)
	v_fmac_f64_e32 v[128:129], v[120:121], v[64:65]
	v_add_f64 v[6:7], v[6:7], v[8:9]
	v_mul_f64 v[8:9], v[104:105], v[46:47]
	v_add_f64 v[130:131], v[126:127], v[128:129]
	ds_read_b128 v[126:129], v1 offset:1824
	v_fma_f64 v[8:9], v[102:103], v[48:49], -v[8:9]
	v_add_f64 v[6:7], v[6:7], v[8:9]
	v_mul_f64 v[8:9], v[108:109], v[42:43]
	v_fma_f64 v[8:9], v[106:107], v[44:45], -v[8:9]
	s_waitcnt lgkmcnt(1)
	v_mul_f64 v[132:133], v[122:123], v[58:59]
	v_add_f64 v[6:7], v[6:7], v[8:9]
	v_mul_f64 v[8:9], v[112:113], v[54:55]
	v_fmac_f64_e32 v[132:133], v[124:125], v[60:61]
	v_fma_f64 v[8:9], v[110:111], v[56:57], -v[8:9]
	v_add_f64 v[134:135], v[130:131], v[132:133]
	ds_read_b128 v[130:133], v1 offset:1840
	s_waitcnt vmcnt(18) lgkmcnt(1)
	v_mul_f64 v[136:137], v[126:127], v[154:155]
	v_add_f64 v[6:7], v[6:7], v[8:9]
	v_mul_f64 v[8:9], v[116:117], v[50:51]
	s_waitcnt vmcnt(16)
	v_fmac_f64_e32 v[136:137], v[128:129], v[156:157]
	v_fma_f64 v[8:9], v[114:115], v[52:53], -v[8:9]
	v_add_f64 v[138:139], v[134:135], v[136:137]
	ds_read_b128 v[134:137], v1 offset:1856
	v_add_f64 v[6:7], v[6:7], v[8:9]
	v_mul_f64 v[8:9], v[120:121], v[62:63]
	v_fma_f64 v[8:9], v[118:119], v[64:65], -v[8:9]
	v_add_f64 v[6:7], v[6:7], v[8:9]
	v_mul_f64 v[8:9], v[124:125], v[58:59]
	s_waitcnt lgkmcnt(1)
	v_mul_f64 v[140:141], v[130:131], v[150:151]
	v_fma_f64 v[8:9], v[122:123], v[60:61], -v[8:9]
	v_fmac_f64_e32 v[140:141], v[132:133], v[152:153]
	v_add_f64 v[6:7], v[6:7], v[8:9]
	v_mul_f64 v[8:9], v[128:129], v[154:155]
	v_add_f64 v[142:143], v[138:139], v[140:141]
	ds_read_b128 v[138:141], v1 offset:1872
	s_waitcnt vmcnt(10) lgkmcnt(1)
	v_mul_f64 v[144:145], v[134:135], v[162:163]
	v_fma_f64 v[8:9], v[126:127], v[156:157], -v[8:9]
	s_waitcnt vmcnt(8)
	v_fmac_f64_e32 v[144:145], v[136:137], v[164:165]
	v_add_f64 v[6:7], v[6:7], v[8:9]
	v_mul_f64 v[8:9], v[132:133], v[150:151]
	v_add_f64 v[174:175], v[142:143], v[144:145]
	ds_read_b128 v[142:145], v1 offset:1888
	v_fma_f64 v[8:9], v[130:131], v[152:153], -v[8:9]
	v_add_f64 v[6:7], v[6:7], v[8:9]
	v_mul_f64 v[8:9], v[136:137], v[162:163]
	v_fma_f64 v[8:9], v[134:135], v[164:165], -v[8:9]
	v_add_f64 v[6:7], v[6:7], v[8:9]
	s_waitcnt lgkmcnt(1)
	v_mul_f64 v[8:9], v[140:141], v[158:159]
	v_mul_f64 v[176:177], v[138:139], v[158:159]
	v_fma_f64 v[8:9], v[138:139], v[160:161], -v[8:9]
	v_fmac_f64_e32 v[176:177], v[140:141], v[160:161]
	v_add_f64 v[6:7], v[6:7], v[8:9]
	s_waitcnt vmcnt(6) lgkmcnt(0)
	v_mul_f64 v[8:9], v[144:145], v[166:167]
	v_add_f64 v[174:175], v[174:175], v[176:177]
	v_mul_f64 v[176:177], v[142:143], v[166:167]
	s_waitcnt vmcnt(4)
	v_fma_f64 v[8:9], v[142:143], v[168:169], -v[8:9]
	v_fmac_f64_e32 v[176:177], v[144:145], v[168:169]
	v_add_f64 v[6:7], v[6:7], v[8:9]
	s_waitcnt vmcnt(2)
	v_mul_f64 v[8:9], v[148:149], v[170:171]
	v_add_f64 v[174:175], v[174:175], v[176:177]
	v_mul_f64 v[176:177], v[146:147], v[170:171]
	s_waitcnt vmcnt(0)
	v_fma_f64 v[8:9], v[146:147], v[172:173], -v[8:9]
	v_fmac_f64_e32 v[176:177], v[148:149], v[172:173]
	v_add_f64 v[6:7], v[6:7], v[8:9]
	v_add_f64 v[174:175], v[174:175], v[176:177]
	v_add_f64 v[4:5], v[4:5], -v[6:7]
	v_add_f64 v[2:3], v[2:3], -v[174:175]
	buffer_store_dword v5, off, s[0:3], 0 offset:628
	buffer_store_dword v4, off, s[0:3], 0 offset:624
	;; [unrolled: 1-line block ×4, first 2 shown]
	s_and_saveexec_b64 s[4:5], vcc
	s_cbranch_execz .LBB123_299
; %bb.298:
	v_accvgpr_read_b32 v0, a142
	buffer_load_dword v2, v0, s[0:3], 0 offen
	buffer_load_dword v3, v0, s[0:3], 0 offen offset:4
	buffer_load_dword v4, v0, s[0:3], 0 offen offset:8
	;; [unrolled: 1-line block ×3, first 2 shown]
	v_accvgpr_read_b32 v0, a180
	buffer_store_dword v1, off, s[0:3], 0 offset:608
	buffer_store_dword v1, off, s[0:3], 0 offset:612
	;; [unrolled: 1-line block ×4, first 2 shown]
	s_waitcnt vmcnt(4)
	ds_write_b128 v0, v[2:5]
.LBB123_299:
	s_or_b64 exec, exec, s[4:5]
	s_waitcnt lgkmcnt(0)
	; wave barrier
	s_waitcnt lgkmcnt(0)
	ds_read_b128 v[14:17], v1 offset:1568
	ds_read_b128 v[10:13], v1 offset:1584
	;; [unrolled: 1-line block ×4, first 2 shown]
	buffer_load_dword v20, off, s[0:3], 0 offset:608
	buffer_load_dword v21, off, s[0:3], 0 offset:612
	;; [unrolled: 1-line block ×92, first 2 shown]
	s_waitcnt vmcnt(62) lgkmcnt(3)
	v_mul_f64 v[86:87], v[14:15], v[28:29]
	v_fmac_f64_e32 v[86:87], v[16:17], v[22:23]
	s_waitcnt lgkmcnt(2)
	v_mul_f64 v[88:89], v[10:11], v[30:31]
	v_add_f64 v[86:87], v[86:87], 0
	v_fmac_f64_e32 v[88:89], v[12:13], v[24:25]
	v_add_f64 v[86:87], v[86:87], v[88:89]
	s_waitcnt lgkmcnt(1)
	v_mul_f64 v[88:89], v[6:7], v[32:33]
	v_fmac_f64_e32 v[88:89], v[8:9], v[26:27]
	v_add_f64 v[90:91], v[86:87], v[88:89]
	ds_read_b128 v[86:89], v1 offset:1632
	v_mul_f64 v[16:17], v[16:17], v[28:29]
	v_fma_f64 v[14:15], v[14:15], v[22:23], -v[16:17]
	s_waitcnt lgkmcnt(1)
	v_mul_f64 v[92:93], v[2:3], v[38:39]
	v_mul_f64 v[12:13], v[12:13], v[30:31]
	v_fmac_f64_e32 v[92:93], v[4:5], v[40:41]
	v_add_f64 v[94:95], v[90:91], v[92:93]
	ds_read_b128 v[90:93], v1 offset:1648
	s_waitcnt lgkmcnt(1)
	v_mul_f64 v[96:97], v[86:87], v[34:35]
	v_fmac_f64_e32 v[96:97], v[88:89], v[36:37]
	v_add_f64 v[98:99], v[94:95], v[96:97]
	ds_read_b128 v[94:97], v1 offset:1664
	s_waitcnt lgkmcnt(1)
	v_mul_f64 v[100:101], v[90:91], v[46:47]
	s_waitcnt vmcnt(60)
	v_fmac_f64_e32 v[100:101], v[92:93], v[48:49]
	v_add_f64 v[102:103], v[98:99], v[100:101]
	ds_read_b128 v[98:101], v1 offset:1680
	s_waitcnt lgkmcnt(1)
	v_mul_f64 v[104:105], v[94:95], v[42:43]
	v_fmac_f64_e32 v[104:105], v[96:97], v[44:45]
	v_add_f64 v[106:107], v[102:103], v[104:105]
	ds_read_b128 v[102:105], v1 offset:1696
	s_waitcnt vmcnt(54) lgkmcnt(1)
	v_mul_f64 v[108:109], v[98:99], v[54:55]
	s_waitcnt vmcnt(52)
	v_fmac_f64_e32 v[108:109], v[100:101], v[56:57]
	v_add_f64 v[110:111], v[106:107], v[108:109]
	ds_read_b128 v[106:109], v1 offset:1712
	s_waitcnt lgkmcnt(1)
	v_mul_f64 v[112:113], v[102:103], v[50:51]
	v_fmac_f64_e32 v[112:113], v[104:105], v[52:53]
	v_add_f64 v[114:115], v[110:111], v[112:113]
	ds_read_b128 v[110:113], v1 offset:1728
	s_waitcnt vmcnt(46) lgkmcnt(1)
	v_mul_f64 v[116:117], v[106:107], v[62:63]
	s_waitcnt vmcnt(44)
	v_fmac_f64_e32 v[116:117], v[108:109], v[64:65]
	v_add_f64 v[118:119], v[114:115], v[116:117]
	ds_read_b128 v[114:117], v1 offset:1744
	s_waitcnt lgkmcnt(1)
	v_mul_f64 v[120:121], v[110:111], v[58:59]
	v_fmac_f64_e32 v[120:121], v[112:113], v[60:61]
	v_add_f64 v[14:15], v[14:15], 0
	v_fma_f64 v[10:11], v[10:11], v[24:25], -v[12:13]
	v_mul_f64 v[8:9], v[8:9], v[32:33]
	v_add_f64 v[122:123], v[118:119], v[120:121]
	ds_read_b128 v[118:121], v1 offset:1760
	v_add_f64 v[10:11], v[14:15], v[10:11]
	v_fma_f64 v[6:7], v[6:7], v[26:27], -v[8:9]
	v_mul_f64 v[4:5], v[4:5], v[38:39]
	v_add_f64 v[6:7], v[10:11], v[6:7]
	v_fma_f64 v[2:3], v[2:3], v[40:41], -v[4:5]
	v_mul_f64 v[4:5], v[88:89], v[34:35]
	v_add_f64 v[2:3], v[6:7], v[2:3]
	v_fma_f64 v[4:5], v[86:87], v[36:37], -v[4:5]
	s_waitcnt vmcnt(38) lgkmcnt(1)
	v_mul_f64 v[124:125], v[114:115], v[70:71]
	v_add_f64 v[2:3], v[2:3], v[4:5]
	v_mul_f64 v[4:5], v[92:93], v[46:47]
	s_waitcnt vmcnt(36)
	v_fmac_f64_e32 v[124:125], v[116:117], v[72:73]
	v_fma_f64 v[4:5], v[90:91], v[48:49], -v[4:5]
	v_add_f64 v[126:127], v[122:123], v[124:125]
	ds_read_b128 v[122:125], v1 offset:1776
	s_waitcnt lgkmcnt(1)
	v_mul_f64 v[128:129], v[118:119], v[66:67]
	v_add_f64 v[2:3], v[2:3], v[4:5]
	v_mul_f64 v[4:5], v[96:97], v[42:43]
	v_fmac_f64_e32 v[128:129], v[120:121], v[68:69]
	v_fma_f64 v[4:5], v[94:95], v[44:45], -v[4:5]
	v_add_f64 v[130:131], v[126:127], v[128:129]
	ds_read_b128 v[126:129], v1 offset:1792
	v_add_f64 v[2:3], v[2:3], v[4:5]
	v_mul_f64 v[4:5], v[100:101], v[54:55]
	v_fma_f64 v[4:5], v[98:99], v[56:57], -v[4:5]
	v_add_f64 v[2:3], v[2:3], v[4:5]
	v_mul_f64 v[4:5], v[104:105], v[50:51]
	s_waitcnt vmcnt(30) lgkmcnt(1)
	v_mul_f64 v[132:133], v[122:123], v[78:79]
	v_fma_f64 v[4:5], v[102:103], v[52:53], -v[4:5]
	s_waitcnt vmcnt(28)
	v_fmac_f64_e32 v[132:133], v[124:125], v[80:81]
	v_add_f64 v[2:3], v[2:3], v[4:5]
	v_mul_f64 v[4:5], v[108:109], v[62:63]
	v_add_f64 v[134:135], v[130:131], v[132:133]
	ds_read_b128 v[130:133], v1 offset:1808
	s_waitcnt lgkmcnt(1)
	v_mul_f64 v[136:137], v[126:127], v[74:75]
	v_fma_f64 v[4:5], v[106:107], v[64:65], -v[4:5]
	v_fmac_f64_e32 v[136:137], v[128:129], v[76:77]
	v_add_f64 v[2:3], v[2:3], v[4:5]
	v_mul_f64 v[4:5], v[112:113], v[58:59]
	v_add_f64 v[138:139], v[134:135], v[136:137]
	ds_read_b128 v[134:137], v1 offset:1824
	v_fma_f64 v[4:5], v[110:111], v[60:61], -v[4:5]
	v_add_f64 v[2:3], v[2:3], v[4:5]
	v_mul_f64 v[4:5], v[116:117], v[70:71]
	v_fma_f64 v[4:5], v[114:115], v[72:73], -v[4:5]
	s_waitcnt vmcnt(22) lgkmcnt(1)
	v_mul_f64 v[140:141], v[130:131], v[158:159]
	v_add_f64 v[2:3], v[2:3], v[4:5]
	v_mul_f64 v[4:5], v[120:121], v[66:67]
	s_waitcnt vmcnt(20)
	v_fmac_f64_e32 v[140:141], v[132:133], v[160:161]
	v_fma_f64 v[4:5], v[118:119], v[68:69], -v[4:5]
	v_add_f64 v[142:143], v[138:139], v[140:141]
	ds_read_b128 v[138:141], v1 offset:1840
	s_waitcnt lgkmcnt(1)
	v_mul_f64 v[144:145], v[134:135], v[82:83]
	v_add_f64 v[2:3], v[2:3], v[4:5]
	v_mul_f64 v[4:5], v[124:125], v[78:79]
	v_fmac_f64_e32 v[144:145], v[136:137], v[84:85]
	v_fma_f64 v[4:5], v[122:123], v[80:81], -v[4:5]
	v_add_f64 v[146:147], v[142:143], v[144:145]
	ds_read_b128 v[142:145], v1 offset:1856
	v_add_f64 v[2:3], v[2:3], v[4:5]
	v_mul_f64 v[4:5], v[128:129], v[74:75]
	v_fma_f64 v[4:5], v[126:127], v[76:77], -v[4:5]
	v_add_f64 v[2:3], v[2:3], v[4:5]
	v_mul_f64 v[4:5], v[132:133], v[158:159]
	s_waitcnt vmcnt(14) lgkmcnt(1)
	v_mul_f64 v[148:149], v[138:139], v[166:167]
	v_fma_f64 v[4:5], v[130:131], v[160:161], -v[4:5]
	s_waitcnt vmcnt(12)
	v_fmac_f64_e32 v[148:149], v[140:141], v[168:169]
	v_add_f64 v[2:3], v[2:3], v[4:5]
	v_mul_f64 v[4:5], v[136:137], v[82:83]
	v_add_f64 v[150:151], v[146:147], v[148:149]
	ds_read_b128 v[146:149], v1 offset:1872
	s_waitcnt lgkmcnt(1)
	v_mul_f64 v[152:153], v[142:143], v[162:163]
	v_fma_f64 v[4:5], v[134:135], v[84:85], -v[4:5]
	v_fmac_f64_e32 v[152:153], v[144:145], v[164:165]
	v_add_f64 v[2:3], v[2:3], v[4:5]
	v_mul_f64 v[4:5], v[140:141], v[166:167]
	v_add_f64 v[182:183], v[150:151], v[152:153]
	ds_read_b128 v[150:153], v1 offset:1888
	ds_read_b128 v[154:157], v1 offset:1904
	v_fma_f64 v[4:5], v[138:139], v[168:169], -v[4:5]
	v_add_f64 v[2:3], v[2:3], v[4:5]
	v_mul_f64 v[4:5], v[144:145], v[162:163]
	v_fma_f64 v[4:5], v[142:143], v[164:165], -v[4:5]
	v_add_f64 v[2:3], v[2:3], v[4:5]
	s_waitcnt vmcnt(6) lgkmcnt(2)
	v_mul_f64 v[4:5], v[148:149], v[174:175]
	v_mul_f64 v[184:185], v[146:147], v[174:175]
	s_waitcnt vmcnt(4)
	v_fma_f64 v[4:5], v[146:147], v[176:177], -v[4:5]
	v_fmac_f64_e32 v[184:185], v[148:149], v[176:177]
	v_add_f64 v[2:3], v[2:3], v[4:5]
	s_waitcnt lgkmcnt(1)
	v_mul_f64 v[4:5], v[152:153], v[170:171]
	v_add_f64 v[182:183], v[182:183], v[184:185]
	v_mul_f64 v[184:185], v[150:151], v[170:171]
	v_fma_f64 v[4:5], v[150:151], v[172:173], -v[4:5]
	v_fmac_f64_e32 v[184:185], v[152:153], v[172:173]
	v_add_f64 v[2:3], v[2:3], v[4:5]
	s_waitcnt vmcnt(2) lgkmcnt(0)
	v_mul_f64 v[4:5], v[156:157], v[178:179]
	v_add_f64 v[182:183], v[182:183], v[184:185]
	v_mul_f64 v[184:185], v[154:155], v[178:179]
	s_waitcnt vmcnt(0)
	v_fma_f64 v[4:5], v[154:155], v[180:181], -v[4:5]
	v_fmac_f64_e32 v[184:185], v[156:157], v[180:181]
	v_add_f64 v[2:3], v[2:3], v[4:5]
	v_add_f64 v[182:183], v[182:183], v[184:185]
	v_add_f64 v[2:3], v[20:21], -v[2:3]
	v_cmp_lt_u32_e32 vcc, 36, v254
	v_add_f64 v[4:5], v[18:19], -v[182:183]
	buffer_store_dword v3, off, s[0:3], 0 offset:612
	buffer_store_dword v2, off, s[0:3], 0 offset:608
	;; [unrolled: 1-line block ×4, first 2 shown]
	s_and_saveexec_b64 s[4:5], vcc
	s_cbranch_execz .LBB123_301
; %bb.300:
	v_accvgpr_read_b32 v0, a143
	buffer_load_dword v2, v0, s[0:3], 0 offen
	buffer_load_dword v3, v0, s[0:3], 0 offen offset:4
	buffer_load_dword v4, v0, s[0:3], 0 offen offset:8
	;; [unrolled: 1-line block ×3, first 2 shown]
	v_mov_b32_e32 v0, 0
	v_accvgpr_read_b32 v1, a180
	buffer_store_dword v0, off, s[0:3], 0 offset:592
	buffer_store_dword v0, off, s[0:3], 0 offset:596
	;; [unrolled: 1-line block ×4, first 2 shown]
	s_waitcnt vmcnt(4)
	ds_write_b128 v1, v[2:5]
.LBB123_301:
	s_or_b64 exec, exec, s[4:5]
	s_waitcnt lgkmcnt(0)
	; wave barrier
	s_waitcnt lgkmcnt(0)
	buffer_load_dword v9, off, s[0:3], 0 offset:620
	buffer_load_dword v6, off, s[0:3], 0 offset:632
	;; [unrolled: 1-line block ×64, first 2 shown]
	v_mov_b32_e32 v1, 0
	ds_read_b128 v[74:77], v1 offset:1552
	ds_read_b128 v[78:81], v1 offset:1568
	buffer_load_dword v67, off, s[0:3], 0 offset:876
	buffer_load_dword v66, off, s[0:3], 0 offset:872
	;; [unrolled: 1-line block ×8, first 2 shown]
	ds_read_b128 v[82:85], v1 offset:1584
	ds_read_b128 v[86:89], v1 offset:1600
	buffer_load_dword v167, off, s[0:3], 0 offset:908
	buffer_load_dword v166, off, s[0:3], 0 offset:904
	;; [unrolled: 1-line block ×24, first 2 shown]
	ds_read_b128 v[162:165], v1 offset:1904
	v_cmp_lt_u32_e32 vcc, 35, v254
	s_waitcnt vmcnt(62) lgkmcnt(1)
	v_mul_f64 v[96:97], v[86:87], v[22:23]
	v_fmac_f64_e32 v[96:97], v[88:89], v[24:25]
	v_mul_f64 v[92:93], v[78:79], v[6:7]
	v_mul_f64 v[90:91], v[74:75], v[8:9]
	;; [unrolled: 1-line block ×3, first 2 shown]
	v_fmac_f64_e32 v[90:91], v[76:77], v[10:11]
	v_add_f64 v[90:91], v[90:91], 0
	v_fma_f64 v[8:9], v[74:75], v[10:11], -v[8:9]
	v_mul_f64 v[6:7], v[80:81], v[6:7]
	v_add_f64 v[8:9], v[8:9], 0
	v_fmac_f64_e32 v[92:93], v[80:81], v[14:15]
	v_add_f64 v[90:91], v[90:91], v[92:93]
	v_mul_f64 v[92:93], v[82:83], v[16:17]
	v_fmac_f64_e32 v[92:93], v[84:85], v[12:13]
	v_add_f64 v[94:95], v[90:91], v[92:93]
	ds_read_b128 v[90:93], v1 offset:1616
	v_add_f64 v[98:99], v[94:95], v[96:97]
	ds_read_b128 v[94:97], v1 offset:1632
	v_fma_f64 v[6:7], v[78:79], v[14:15], -v[6:7]
	v_add_f64 v[6:7], v[8:9], v[6:7]
	s_waitcnt lgkmcnt(1)
	v_mul_f64 v[100:101], v[90:91], v[18:19]
	v_fmac_f64_e32 v[100:101], v[92:93], v[20:21]
	v_add_f64 v[102:103], v[98:99], v[100:101]
	ds_read_b128 v[98:101], v1 offset:1648
	s_waitcnt lgkmcnt(1)
	v_mul_f64 v[104:105], v[94:95], v[30:31]
	v_fmac_f64_e32 v[104:105], v[96:97], v[32:33]
	v_add_f64 v[106:107], v[102:103], v[104:105]
	ds_read_b128 v[102:105], v1 offset:1664
	;; [unrolled: 5-line block ×3, first 2 shown]
	s_waitcnt vmcnt(58) lgkmcnt(1)
	v_mul_f64 v[112:113], v[102:103], v[38:39]
	s_waitcnt vmcnt(56)
	v_fmac_f64_e32 v[112:113], v[104:105], v[40:41]
	v_add_f64 v[114:115], v[110:111], v[112:113]
	ds_read_b128 v[110:113], v1 offset:1696
	s_waitcnt lgkmcnt(1)
	v_mul_f64 v[116:117], v[106:107], v[34:35]
	v_fmac_f64_e32 v[116:117], v[108:109], v[36:37]
	v_add_f64 v[118:119], v[114:115], v[116:117]
	ds_read_b128 v[114:117], v1 offset:1712
	s_waitcnt vmcnt(50) lgkmcnt(1)
	v_mul_f64 v[120:121], v[110:111], v[46:47]
	s_waitcnt vmcnt(48)
	v_fmac_f64_e32 v[120:121], v[112:113], v[48:49]
	v_add_f64 v[122:123], v[118:119], v[120:121]
	ds_read_b128 v[118:121], v1 offset:1728
	v_mul_f64 v[8:9], v[84:85], v[16:17]
	s_waitcnt lgkmcnt(1)
	v_mul_f64 v[124:125], v[114:115], v[42:43]
	v_fma_f64 v[8:9], v[82:83], v[12:13], -v[8:9]
	v_fmac_f64_e32 v[124:125], v[116:117], v[44:45]
	v_add_f64 v[6:7], v[6:7], v[8:9]
	v_mul_f64 v[8:9], v[88:89], v[22:23]
	v_add_f64 v[126:127], v[122:123], v[124:125]
	ds_read_b128 v[122:125], v1 offset:1744
	s_waitcnt vmcnt(42) lgkmcnt(1)
	v_mul_f64 v[128:129], v[118:119], v[54:55]
	v_fma_f64 v[8:9], v[86:87], v[24:25], -v[8:9]
	s_waitcnt vmcnt(40)
	v_fmac_f64_e32 v[128:129], v[120:121], v[56:57]
	v_add_f64 v[6:7], v[6:7], v[8:9]
	v_mul_f64 v[8:9], v[92:93], v[18:19]
	v_add_f64 v[130:131], v[126:127], v[128:129]
	ds_read_b128 v[126:129], v1 offset:1760
	v_fma_f64 v[8:9], v[90:91], v[20:21], -v[8:9]
	v_add_f64 v[6:7], v[6:7], v[8:9]
	v_mul_f64 v[8:9], v[96:97], v[30:31]
	v_fma_f64 v[8:9], v[94:95], v[32:33], -v[8:9]
	s_waitcnt lgkmcnt(1)
	v_mul_f64 v[132:133], v[122:123], v[50:51]
	v_add_f64 v[6:7], v[6:7], v[8:9]
	v_mul_f64 v[8:9], v[100:101], v[26:27]
	v_fmac_f64_e32 v[132:133], v[124:125], v[52:53]
	v_fma_f64 v[8:9], v[98:99], v[28:29], -v[8:9]
	v_add_f64 v[134:135], v[130:131], v[132:133]
	ds_read_b128 v[130:133], v1 offset:1776
	s_waitcnt vmcnt(34) lgkmcnt(1)
	v_mul_f64 v[136:137], v[126:127], v[62:63]
	v_add_f64 v[6:7], v[6:7], v[8:9]
	v_mul_f64 v[8:9], v[104:105], v[38:39]
	s_waitcnt vmcnt(32)
	v_fmac_f64_e32 v[136:137], v[128:129], v[64:65]
	v_fma_f64 v[8:9], v[102:103], v[40:41], -v[8:9]
	v_add_f64 v[138:139], v[134:135], v[136:137]
	ds_read_b128 v[134:137], v1 offset:1792
	v_add_f64 v[6:7], v[6:7], v[8:9]
	v_mul_f64 v[8:9], v[108:109], v[34:35]
	v_fma_f64 v[8:9], v[106:107], v[36:37], -v[8:9]
	v_add_f64 v[6:7], v[6:7], v[8:9]
	v_mul_f64 v[8:9], v[112:113], v[46:47]
	s_waitcnt lgkmcnt(1)
	v_mul_f64 v[140:141], v[130:131], v[58:59]
	v_fma_f64 v[8:9], v[110:111], v[48:49], -v[8:9]
	v_fmac_f64_e32 v[140:141], v[132:133], v[60:61]
	v_add_f64 v[6:7], v[6:7], v[8:9]
	v_mul_f64 v[8:9], v[116:117], v[42:43]
	v_add_f64 v[142:143], v[138:139], v[140:141]
	ds_read_b128 v[138:141], v1 offset:1808
	s_waitcnt vmcnt(26) lgkmcnt(1)
	v_mul_f64 v[144:145], v[134:135], v[70:71]
	v_fma_f64 v[8:9], v[114:115], v[44:45], -v[8:9]
	s_waitcnt vmcnt(24)
	v_fmac_f64_e32 v[144:145], v[136:137], v[72:73]
	v_add_f64 v[6:7], v[6:7], v[8:9]
	v_mul_f64 v[8:9], v[120:121], v[54:55]
	v_add_f64 v[146:147], v[142:143], v[144:145]
	ds_read_b128 v[142:145], v1 offset:1824
	v_fma_f64 v[8:9], v[118:119], v[56:57], -v[8:9]
	v_add_f64 v[6:7], v[6:7], v[8:9]
	v_mul_f64 v[8:9], v[124:125], v[50:51]
	v_fma_f64 v[8:9], v[122:123], v[52:53], -v[8:9]
	s_waitcnt lgkmcnt(1)
	v_mul_f64 v[148:149], v[138:139], v[66:67]
	v_add_f64 v[6:7], v[6:7], v[8:9]
	v_mul_f64 v[8:9], v[128:129], v[62:63]
	v_fmac_f64_e32 v[148:149], v[140:141], v[68:69]
	v_fma_f64 v[8:9], v[126:127], v[64:65], -v[8:9]
	v_add_f64 v[150:151], v[146:147], v[148:149]
	ds_read_b128 v[146:149], v1 offset:1840
	s_waitcnt vmcnt(18) lgkmcnt(1)
	v_mul_f64 v[152:153], v[142:143], v[170:171]
	v_add_f64 v[6:7], v[6:7], v[8:9]
	v_mul_f64 v[8:9], v[132:133], v[58:59]
	s_waitcnt vmcnt(16)
	v_fmac_f64_e32 v[152:153], v[144:145], v[172:173]
	v_fma_f64 v[8:9], v[130:131], v[60:61], -v[8:9]
	v_add_f64 v[154:155], v[150:151], v[152:153]
	ds_read_b128 v[150:153], v1 offset:1856
	v_add_f64 v[6:7], v[6:7], v[8:9]
	v_mul_f64 v[8:9], v[136:137], v[70:71]
	v_fma_f64 v[8:9], v[134:135], v[72:73], -v[8:9]
	v_add_f64 v[6:7], v[6:7], v[8:9]
	v_mul_f64 v[8:9], v[140:141], v[66:67]
	s_waitcnt lgkmcnt(1)
	v_mul_f64 v[156:157], v[146:147], v[166:167]
	v_fma_f64 v[8:9], v[138:139], v[68:69], -v[8:9]
	v_fmac_f64_e32 v[156:157], v[148:149], v[168:169]
	v_add_f64 v[6:7], v[6:7], v[8:9]
	v_mul_f64 v[8:9], v[144:145], v[170:171]
	v_add_f64 v[158:159], v[154:155], v[156:157]
	ds_read_b128 v[154:157], v1 offset:1872
	s_waitcnt vmcnt(10) lgkmcnt(1)
	v_mul_f64 v[160:161], v[150:151], v[178:179]
	v_fma_f64 v[8:9], v[142:143], v[172:173], -v[8:9]
	s_waitcnt vmcnt(8)
	v_fmac_f64_e32 v[160:161], v[152:153], v[180:181]
	v_add_f64 v[6:7], v[6:7], v[8:9]
	v_mul_f64 v[8:9], v[148:149], v[166:167]
	v_add_f64 v[190:191], v[158:159], v[160:161]
	ds_read_b128 v[158:161], v1 offset:1888
	v_fma_f64 v[8:9], v[146:147], v[168:169], -v[8:9]
	v_add_f64 v[6:7], v[6:7], v[8:9]
	v_mul_f64 v[8:9], v[152:153], v[178:179]
	v_fma_f64 v[8:9], v[150:151], v[180:181], -v[8:9]
	v_add_f64 v[6:7], v[6:7], v[8:9]
	s_waitcnt lgkmcnt(1)
	v_mul_f64 v[8:9], v[156:157], v[174:175]
	v_mul_f64 v[192:193], v[154:155], v[174:175]
	v_fma_f64 v[8:9], v[154:155], v[176:177], -v[8:9]
	v_fmac_f64_e32 v[192:193], v[156:157], v[176:177]
	v_add_f64 v[6:7], v[6:7], v[8:9]
	s_waitcnt vmcnt(2) lgkmcnt(0)
	v_mul_f64 v[8:9], v[160:161], v[186:187]
	v_add_f64 v[190:191], v[190:191], v[192:193]
	v_mul_f64 v[192:193], v[158:159], v[186:187]
	s_waitcnt vmcnt(0)
	v_fma_f64 v[8:9], v[158:159], v[188:189], -v[8:9]
	v_fmac_f64_e32 v[192:193], v[160:161], v[188:189]
	v_add_f64 v[6:7], v[6:7], v[8:9]
	v_mul_f64 v[8:9], v[164:165], v[182:183]
	v_add_f64 v[190:191], v[190:191], v[192:193]
	v_mul_f64 v[192:193], v[162:163], v[182:183]
	v_fma_f64 v[8:9], v[162:163], v[184:185], -v[8:9]
	v_fmac_f64_e32 v[192:193], v[164:165], v[184:185]
	v_add_f64 v[6:7], v[6:7], v[8:9]
	v_add_f64 v[190:191], v[190:191], v[192:193]
	v_add_f64 v[4:5], v[4:5], -v[6:7]
	v_add_f64 v[2:3], v[2:3], -v[190:191]
	buffer_store_dword v5, off, s[0:3], 0 offset:596
	buffer_store_dword v4, off, s[0:3], 0 offset:592
	;; [unrolled: 1-line block ×4, first 2 shown]
	s_and_saveexec_b64 s[4:5], vcc
	s_cbranch_execz .LBB123_303
; %bb.302:
	v_accvgpr_read_b32 v0, a144
	buffer_load_dword v2, v0, s[0:3], 0 offen
	buffer_load_dword v3, v0, s[0:3], 0 offen offset:4
	buffer_load_dword v4, v0, s[0:3], 0 offen offset:8
	;; [unrolled: 1-line block ×3, first 2 shown]
	v_accvgpr_read_b32 v0, a180
	buffer_store_dword v1, off, s[0:3], 0 offset:576
	buffer_store_dword v1, off, s[0:3], 0 offset:580
	;; [unrolled: 1-line block ×4, first 2 shown]
	s_waitcnt vmcnt(4)
	ds_write_b128 v0, v[2:5]
.LBB123_303:
	s_or_b64 exec, exec, s[4:5]
	s_waitcnt lgkmcnt(0)
	; wave barrier
	s_waitcnt lgkmcnt(0)
	buffer_load_dword v22, off, s[0:3], 0 offset:592
	buffer_load_dword v23, off, s[0:3], 0 offset:596
	;; [unrolled: 1-line block ×16, first 2 shown]
	ds_read_b128 v[2:5], v1 offset:1536
	ds_read_b128 v[6:9], v1 offset:1552
	;; [unrolled: 1-line block ×4, first 2 shown]
	buffer_load_dword v35, off, s[0:3], 0 offset:668
	buffer_load_dword v34, off, s[0:3], 0 offset:664
	;; [unrolled: 1-line block ×48, first 2 shown]
	v_cmp_lt_u32_e32 vcc, 34, v254
	s_waitcnt vmcnt(42) lgkmcnt(0)
	v_mul_f64 v[104:105], v[14:15], v[38:39]
	s_waitcnt vmcnt(40)
	v_fmac_f64_e32 v[104:105], v[16:17], v[40:41]
	v_mul_f64 v[82:83], v[2:3], v[24:25]
	v_fmac_f64_e32 v[82:83], v[4:5], v[22:23]
	v_add_f64 v[82:83], v[82:83], 0
	v_mul_f64 v[4:5], v[4:5], v[24:25]
	v_mul_f64 v[84:85], v[6:7], v[32:33]
	v_fma_f64 v[2:3], v[2:3], v[22:23], -v[4:5]
	v_mul_f64 v[98:99], v[10:11], v[26:27]
	v_fmac_f64_e32 v[98:99], v[12:13], v[30:31]
	v_fmac_f64_e32 v[84:85], v[8:9], v[28:29]
	v_add_f64 v[100:101], v[82:83], v[84:85]
	buffer_load_dword v83, off, s[0:3], 0 offset:860
	buffer_load_dword v82, off, s[0:3], 0 offset:856
	;; [unrolled: 1-line block ×32, first 2 shown]
	v_add_f64 v[102:103], v[100:101], v[98:99]
	ds_read_b128 v[98:101], v1 offset:1600
	buffer_load_dword v195, off, s[0:3], 0 offset:972
	buffer_load_dword v194, off, s[0:3], 0 offset:968
	buffer_load_dword v197, off, s[0:3], 0 offset:964
	buffer_load_dword v196, off, s[0:3], 0 offset:960
	v_add_f64 v[106:107], v[102:103], v[104:105]
	ds_read_b128 v[102:105], v1 offset:1616
	v_mul_f64 v[4:5], v[8:9], v[32:33]
	s_waitcnt lgkmcnt(1)
	v_mul_f64 v[108:109], v[98:99], v[34:35]
	v_fmac_f64_e32 v[108:109], v[100:101], v[36:37]
	v_add_f64 v[110:111], v[106:107], v[108:109]
	ds_read_b128 v[106:109], v1 offset:1632
	s_waitcnt vmcnt(62) lgkmcnt(1)
	v_mul_f64 v[112:113], v[102:103], v[46:47]
	v_fmac_f64_e32 v[112:113], v[104:105], v[48:49]
	v_add_f64 v[114:115], v[110:111], v[112:113]
	ds_read_b128 v[110:113], v1 offset:1648
	s_waitcnt lgkmcnt(1)
	v_mul_f64 v[116:117], v[106:107], v[42:43]
	v_fmac_f64_e32 v[116:117], v[108:109], v[44:45]
	v_add_f64 v[118:119], v[114:115], v[116:117]
	ds_read_b128 v[114:117], v1 offset:1664
	s_waitcnt lgkmcnt(1)
	v_mul_f64 v[120:121], v[110:111], v[54:55]
	s_waitcnt vmcnt(60)
	v_fmac_f64_e32 v[120:121], v[112:113], v[56:57]
	v_add_f64 v[122:123], v[118:119], v[120:121]
	ds_read_b128 v[118:121], v1 offset:1680
	s_waitcnt lgkmcnt(1)
	v_mul_f64 v[124:125], v[114:115], v[50:51]
	v_fmac_f64_e32 v[124:125], v[116:117], v[52:53]
	v_add_f64 v[126:127], v[122:123], v[124:125]
	ds_read_b128 v[122:125], v1 offset:1696
	s_waitcnt vmcnt(54) lgkmcnt(1)
	v_mul_f64 v[128:129], v[118:119], v[62:63]
	s_waitcnt vmcnt(52)
	v_fmac_f64_e32 v[128:129], v[120:121], v[64:65]
	v_add_f64 v[130:131], v[126:127], v[128:129]
	ds_read_b128 v[126:129], v1 offset:1712
	s_waitcnt lgkmcnt(1)
	v_mul_f64 v[132:133], v[122:123], v[58:59]
	v_fmac_f64_e32 v[132:133], v[124:125], v[60:61]
	v_add_f64 v[2:3], v[2:3], 0
	v_fma_f64 v[4:5], v[6:7], v[28:29], -v[4:5]
	v_add_f64 v[134:135], v[130:131], v[132:133]
	ds_read_b128 v[130:133], v1 offset:1728
	v_add_f64 v[2:3], v[2:3], v[4:5]
	v_mul_f64 v[4:5], v[12:13], v[26:27]
	v_fma_f64 v[4:5], v[10:11], v[30:31], -v[4:5]
	v_add_f64 v[2:3], v[2:3], v[4:5]
	v_mul_f64 v[4:5], v[16:17], v[38:39]
	s_waitcnt vmcnt(46) lgkmcnt(1)
	v_mul_f64 v[136:137], v[126:127], v[70:71]
	v_fma_f64 v[4:5], v[14:15], v[40:41], -v[4:5]
	s_waitcnt vmcnt(44)
	v_fmac_f64_e32 v[136:137], v[128:129], v[72:73]
	v_add_f64 v[2:3], v[2:3], v[4:5]
	v_mul_f64 v[4:5], v[100:101], v[34:35]
	v_add_f64 v[138:139], v[134:135], v[136:137]
	ds_read_b128 v[134:137], v1 offset:1744
	s_waitcnt lgkmcnt(1)
	v_mul_f64 v[140:141], v[130:131], v[66:67]
	v_fma_f64 v[4:5], v[98:99], v[36:37], -v[4:5]
	v_fmac_f64_e32 v[140:141], v[132:133], v[68:69]
	v_add_f64 v[2:3], v[2:3], v[4:5]
	v_mul_f64 v[4:5], v[104:105], v[46:47]
	v_add_f64 v[142:143], v[138:139], v[140:141]
	ds_read_b128 v[138:141], v1 offset:1760
	v_fma_f64 v[4:5], v[102:103], v[48:49], -v[4:5]
	v_add_f64 v[2:3], v[2:3], v[4:5]
	v_mul_f64 v[4:5], v[108:109], v[42:43]
	v_fma_f64 v[4:5], v[106:107], v[44:45], -v[4:5]
	s_waitcnt vmcnt(38) lgkmcnt(1)
	v_mul_f64 v[144:145], v[134:135], v[78:79]
	v_add_f64 v[2:3], v[2:3], v[4:5]
	v_mul_f64 v[4:5], v[112:113], v[54:55]
	s_waitcnt vmcnt(36)
	v_fmac_f64_e32 v[144:145], v[136:137], v[80:81]
	v_fma_f64 v[4:5], v[110:111], v[56:57], -v[4:5]
	v_add_f64 v[146:147], v[142:143], v[144:145]
	ds_read_b128 v[142:145], v1 offset:1776
	s_waitcnt lgkmcnt(1)
	v_mul_f64 v[148:149], v[138:139], v[74:75]
	v_add_f64 v[2:3], v[2:3], v[4:5]
	v_mul_f64 v[4:5], v[116:117], v[50:51]
	v_fmac_f64_e32 v[148:149], v[140:141], v[76:77]
	v_fma_f64 v[4:5], v[114:115], v[52:53], -v[4:5]
	v_add_f64 v[150:151], v[146:147], v[148:149]
	ds_read_b128 v[146:149], v1 offset:1792
	v_add_f64 v[2:3], v[2:3], v[4:5]
	v_mul_f64 v[4:5], v[120:121], v[62:63]
	v_fma_f64 v[4:5], v[118:119], v[64:65], -v[4:5]
	v_add_f64 v[2:3], v[2:3], v[4:5]
	v_mul_f64 v[4:5], v[124:125], v[58:59]
	s_waitcnt vmcnt(30) lgkmcnt(1)
	v_mul_f64 v[152:153], v[142:143], v[86:87]
	v_fma_f64 v[4:5], v[122:123], v[60:61], -v[4:5]
	s_waitcnt vmcnt(28)
	v_fmac_f64_e32 v[152:153], v[144:145], v[88:89]
	v_add_f64 v[2:3], v[2:3], v[4:5]
	v_mul_f64 v[4:5], v[128:129], v[70:71]
	v_add_f64 v[154:155], v[150:151], v[152:153]
	ds_read_b128 v[150:153], v1 offset:1808
	s_waitcnt lgkmcnt(1)
	v_mul_f64 v[156:157], v[146:147], v[82:83]
	v_fma_f64 v[4:5], v[126:127], v[72:73], -v[4:5]
	v_fmac_f64_e32 v[156:157], v[148:149], v[84:85]
	v_add_f64 v[2:3], v[2:3], v[4:5]
	v_mul_f64 v[4:5], v[132:133], v[66:67]
	v_add_f64 v[158:159], v[154:155], v[156:157]
	ds_read_b128 v[154:157], v1 offset:1824
	v_fma_f64 v[4:5], v[130:131], v[68:69], -v[4:5]
	v_add_f64 v[2:3], v[2:3], v[4:5]
	v_mul_f64 v[4:5], v[136:137], v[78:79]
	v_fma_f64 v[4:5], v[134:135], v[80:81], -v[4:5]
	s_waitcnt vmcnt(22) lgkmcnt(1)
	v_mul_f64 v[160:161], v[150:151], v[94:95]
	v_add_f64 v[2:3], v[2:3], v[4:5]
	v_mul_f64 v[4:5], v[140:141], v[74:75]
	s_waitcnt vmcnt(20)
	v_fmac_f64_e32 v[160:161], v[152:153], v[96:97]
	v_fma_f64 v[4:5], v[138:139], v[76:77], -v[4:5]
	v_add_f64 v[162:163], v[158:159], v[160:161]
	ds_read_b128 v[158:161], v1 offset:1840
	s_waitcnt lgkmcnt(1)
	v_mul_f64 v[164:165], v[154:155], v[90:91]
	v_add_f64 v[2:3], v[2:3], v[4:5]
	v_mul_f64 v[4:5], v[144:145], v[86:87]
	v_fmac_f64_e32 v[164:165], v[156:157], v[92:93]
	v_fma_f64 v[4:5], v[142:143], v[88:89], -v[4:5]
	v_add_f64 v[166:167], v[162:163], v[164:165]
	ds_read_b128 v[162:165], v1 offset:1856
	v_add_f64 v[2:3], v[2:3], v[4:5]
	v_mul_f64 v[4:5], v[148:149], v[82:83]
	v_fma_f64 v[4:5], v[146:147], v[84:85], -v[4:5]
	v_add_f64 v[2:3], v[2:3], v[4:5]
	v_mul_f64 v[4:5], v[152:153], v[94:95]
	s_waitcnt vmcnt(14) lgkmcnt(1)
	v_mul_f64 v[168:169], v[158:159], v[182:183]
	v_fma_f64 v[4:5], v[150:151], v[96:97], -v[4:5]
	s_waitcnt vmcnt(12)
	v_fmac_f64_e32 v[168:169], v[160:161], v[184:185]
	v_add_f64 v[2:3], v[2:3], v[4:5]
	v_mul_f64 v[4:5], v[156:157], v[90:91]
	v_add_f64 v[170:171], v[166:167], v[168:169]
	ds_read_b128 v[166:169], v1 offset:1872
	s_waitcnt lgkmcnt(1)
	v_mul_f64 v[172:173], v[162:163], v[178:179]
	v_fma_f64 v[4:5], v[154:155], v[92:93], -v[4:5]
	v_fmac_f64_e32 v[172:173], v[164:165], v[180:181]
	v_add_f64 v[2:3], v[2:3], v[4:5]
	v_mul_f64 v[4:5], v[160:161], v[182:183]
	v_add_f64 v[198:199], v[170:171], v[172:173]
	ds_read_b128 v[170:173], v1 offset:1888
	v_fma_f64 v[4:5], v[158:159], v[184:185], -v[4:5]
	v_add_f64 v[2:3], v[2:3], v[4:5]
	v_mul_f64 v[4:5], v[164:165], v[178:179]
	ds_read_b128 v[174:177], v1 offset:1904
	v_fma_f64 v[4:5], v[162:163], v[180:181], -v[4:5]
	v_add_f64 v[2:3], v[2:3], v[4:5]
	s_waitcnt vmcnt(6) lgkmcnt(2)
	v_mul_f64 v[4:5], v[168:169], v[190:191]
	v_mul_f64 v[200:201], v[166:167], v[190:191]
	s_waitcnt vmcnt(4)
	v_fma_f64 v[4:5], v[166:167], v[192:193], -v[4:5]
	v_fmac_f64_e32 v[200:201], v[168:169], v[192:193]
	v_add_f64 v[2:3], v[2:3], v[4:5]
	s_waitcnt lgkmcnt(1)
	v_mul_f64 v[4:5], v[172:173], v[186:187]
	v_add_f64 v[198:199], v[198:199], v[200:201]
	v_mul_f64 v[200:201], v[170:171], v[186:187]
	v_fma_f64 v[4:5], v[170:171], v[188:189], -v[4:5]
	v_fmac_f64_e32 v[200:201], v[172:173], v[188:189]
	v_add_f64 v[2:3], v[2:3], v[4:5]
	s_waitcnt vmcnt(2) lgkmcnt(0)
	v_mul_f64 v[4:5], v[176:177], v[194:195]
	v_add_f64 v[198:199], v[198:199], v[200:201]
	v_mul_f64 v[200:201], v[174:175], v[194:195]
	s_waitcnt vmcnt(0)
	v_fma_f64 v[4:5], v[174:175], v[196:197], -v[4:5]
	v_fmac_f64_e32 v[200:201], v[176:177], v[196:197]
	v_add_f64 v[2:3], v[2:3], v[4:5]
	v_add_f64 v[198:199], v[198:199], v[200:201]
	v_add_f64 v[2:3], v[20:21], -v[2:3]
	v_add_f64 v[4:5], v[18:19], -v[198:199]
	buffer_store_dword v3, off, s[0:3], 0 offset:580
	buffer_store_dword v2, off, s[0:3], 0 offset:576
	;; [unrolled: 1-line block ×4, first 2 shown]
	s_and_saveexec_b64 s[4:5], vcc
	s_cbranch_execz .LBB123_305
; %bb.304:
	v_accvgpr_read_b32 v0, a145
	buffer_load_dword v2, v0, s[0:3], 0 offen
	buffer_load_dword v3, v0, s[0:3], 0 offen offset:4
	buffer_load_dword v4, v0, s[0:3], 0 offen offset:8
	;; [unrolled: 1-line block ×3, first 2 shown]
	v_mov_b32_e32 v0, 0
	v_accvgpr_read_b32 v1, a180
	buffer_store_dword v0, off, s[0:3], 0 offset:560
	buffer_store_dword v0, off, s[0:3], 0 offset:564
	;; [unrolled: 1-line block ×4, first 2 shown]
	s_waitcnt vmcnt(4)
	ds_write_b128 v1, v[2:5]
.LBB123_305:
	s_or_b64 exec, exec, s[4:5]
	s_waitcnt lgkmcnt(0)
	; wave barrier
	s_waitcnt lgkmcnt(0)
	buffer_load_dword v22, off, s[0:3], 0 offset:576
	buffer_load_dword v23, off, s[0:3], 0 offset:580
	;; [unrolled: 1-line block ×64, first 2 shown]
	v_mov_b32_e32 v1, 0
	ds_read_b128 v[18:21], v1 offset:1520
	ds_read_b128 v[14:17], v1 offset:1536
	;; [unrolled: 1-line block ×5, first 2 shown]
	v_cmp_lt_u32_e32 vcc, 33, v254
	s_waitcnt vmcnt(60) lgkmcnt(4)
	v_mul_f64 v[86:87], v[18:19], v[26:27]
	v_fmac_f64_e32 v[86:87], v[20:21], v[22:23]
	v_add_f64 v[86:87], v[86:87], 0
	v_mul_f64 v[20:21], v[20:21], v[26:27]
	s_waitcnt vmcnt(56) lgkmcnt(3)
	v_mul_f64 v[88:89], v[14:15], v[28:29]
	v_fmac_f64_e32 v[88:89], v[16:17], v[24:25]
	s_waitcnt vmcnt(54) lgkmcnt(2)
	v_mul_f64 v[90:91], v[10:11], v[30:31]
	v_add_f64 v[86:87], v[86:87], v[88:89]
	v_fma_f64 v[18:19], v[18:19], v[22:23], -v[20:21]
	v_mul_f64 v[16:17], v[16:17], v[28:29]
	s_waitcnt vmcnt(50) lgkmcnt(1)
	v_mul_f64 v[102:103], v[6:7], v[40:41]
	v_add_f64 v[18:19], v[18:19], 0
	s_waitcnt vmcnt(48)
	v_fmac_f64_e32 v[90:91], v[12:13], v[44:45]
	v_add_f64 v[104:105], v[86:87], v[90:91]
	buffer_load_dword v87, off, s[0:3], 0 offset:844
	buffer_load_dword v86, off, s[0:3], 0 offset:840
	;; [unrolled: 1-line block ×40, first 2 shown]
	s_waitcnt vmcnt(62)
	v_fmac_f64_e32 v[102:103], v[8:9], v[42:43]
	v_add_f64 v[106:107], v[104:105], v[102:103]
	ds_read_b128 v[102:105], v1 offset:1600
	s_waitcnt lgkmcnt(1)
	v_mul_f64 v[108:109], v[2:3], v[36:37]
	v_fmac_f64_e32 v[108:109], v[4:5], v[38:39]
	v_add_f64 v[110:111], v[106:107], v[108:109]
	ds_read_b128 v[106:109], v1 offset:1616
	s_waitcnt lgkmcnt(1)
	v_mul_f64 v[112:113], v[102:103], v[50:51]
	;; [unrolled: 5-line block ×5, first 2 shown]
	v_fmac_f64_e32 v[124:125], v[116:117], v[56:57]
	v_add_f64 v[126:127], v[122:123], v[124:125]
	ds_read_b128 v[122:125], v1 offset:1680
	s_waitcnt vmcnt(58) lgkmcnt(1)
	v_mul_f64 v[128:129], v[118:119], v[66:67]
	s_waitcnt vmcnt(56)
	v_fmac_f64_e32 v[128:129], v[120:121], v[68:69]
	v_add_f64 v[130:131], v[126:127], v[128:129]
	ds_read_b128 v[126:129], v1 offset:1696
	s_waitcnt lgkmcnt(1)
	v_mul_f64 v[132:133], v[122:123], v[62:63]
	v_fmac_f64_e32 v[132:133], v[124:125], v[64:65]
	v_add_f64 v[134:135], v[130:131], v[132:133]
	ds_read_b128 v[130:133], v1 offset:1712
	s_waitcnt vmcnt(50) lgkmcnt(1)
	v_mul_f64 v[136:137], v[126:127], v[74:75]
	s_waitcnt vmcnt(48)
	v_fmac_f64_e32 v[136:137], v[128:129], v[76:77]
	v_add_f64 v[138:139], v[134:135], v[136:137]
	ds_read_b128 v[134:137], v1 offset:1728
	v_fma_f64 v[14:15], v[14:15], v[24:25], -v[16:17]
	v_mul_f64 v[12:13], v[12:13], v[30:31]
	v_add_f64 v[14:15], v[18:19], v[14:15]
	v_fma_f64 v[10:11], v[10:11], v[44:45], -v[12:13]
	v_mul_f64 v[8:9], v[8:9], v[40:41]
	s_waitcnt lgkmcnt(1)
	v_mul_f64 v[140:141], v[130:131], v[70:71]
	v_add_f64 v[10:11], v[14:15], v[10:11]
	v_fma_f64 v[6:7], v[6:7], v[42:43], -v[8:9]
	v_mul_f64 v[4:5], v[4:5], v[36:37]
	v_fmac_f64_e32 v[140:141], v[132:133], v[72:73]
	v_add_f64 v[6:7], v[10:11], v[6:7]
	v_fma_f64 v[2:3], v[2:3], v[38:39], -v[4:5]
	v_mul_f64 v[4:5], v[104:105], v[50:51]
	v_add_f64 v[142:143], v[138:139], v[140:141]
	ds_read_b128 v[138:141], v1 offset:1744
	s_waitcnt vmcnt(42) lgkmcnt(1)
	v_mul_f64 v[144:145], v[134:135], v[82:83]
	v_add_f64 v[2:3], v[6:7], v[2:3]
	v_fma_f64 v[4:5], v[102:103], v[52:53], -v[4:5]
	s_waitcnt vmcnt(40)
	v_fmac_f64_e32 v[144:145], v[136:137], v[84:85]
	v_add_f64 v[2:3], v[2:3], v[4:5]
	v_mul_f64 v[4:5], v[108:109], v[46:47]
	v_add_f64 v[146:147], v[142:143], v[144:145]
	ds_read_b128 v[142:145], v1 offset:1760
	v_fma_f64 v[4:5], v[106:107], v[48:49], -v[4:5]
	v_add_f64 v[2:3], v[2:3], v[4:5]
	v_mul_f64 v[4:5], v[112:113], v[58:59]
	v_fma_f64 v[4:5], v[110:111], v[60:61], -v[4:5]
	s_waitcnt lgkmcnt(1)
	v_mul_f64 v[148:149], v[138:139], v[78:79]
	v_add_f64 v[2:3], v[2:3], v[4:5]
	v_mul_f64 v[4:5], v[116:117], v[54:55]
	v_fmac_f64_e32 v[148:149], v[140:141], v[80:81]
	v_fma_f64 v[4:5], v[114:115], v[56:57], -v[4:5]
	v_add_f64 v[150:151], v[146:147], v[148:149]
	ds_read_b128 v[146:149], v1 offset:1776
	s_waitcnt vmcnt(34) lgkmcnt(1)
	v_mul_f64 v[152:153], v[142:143], v[90:91]
	v_add_f64 v[2:3], v[2:3], v[4:5]
	v_mul_f64 v[4:5], v[120:121], v[66:67]
	s_waitcnt vmcnt(32)
	v_fmac_f64_e32 v[152:153], v[144:145], v[92:93]
	v_fma_f64 v[4:5], v[118:119], v[68:69], -v[4:5]
	v_add_f64 v[154:155], v[150:151], v[152:153]
	ds_read_b128 v[150:153], v1 offset:1792
	v_add_f64 v[2:3], v[2:3], v[4:5]
	v_mul_f64 v[4:5], v[124:125], v[62:63]
	v_fma_f64 v[4:5], v[122:123], v[64:65], -v[4:5]
	v_add_f64 v[2:3], v[2:3], v[4:5]
	v_mul_f64 v[4:5], v[128:129], v[74:75]
	s_waitcnt lgkmcnt(1)
	v_mul_f64 v[156:157], v[146:147], v[86:87]
	v_fma_f64 v[4:5], v[126:127], v[76:77], -v[4:5]
	v_fmac_f64_e32 v[156:157], v[148:149], v[88:89]
	v_add_f64 v[2:3], v[2:3], v[4:5]
	v_mul_f64 v[4:5], v[132:133], v[70:71]
	v_add_f64 v[158:159], v[154:155], v[156:157]
	ds_read_b128 v[154:157], v1 offset:1808
	s_waitcnt vmcnt(26) lgkmcnt(1)
	v_mul_f64 v[160:161], v[150:151], v[98:99]
	v_fma_f64 v[4:5], v[130:131], v[72:73], -v[4:5]
	s_waitcnt vmcnt(24)
	v_fmac_f64_e32 v[160:161], v[152:153], v[100:101]
	v_add_f64 v[2:3], v[2:3], v[4:5]
	v_mul_f64 v[4:5], v[136:137], v[82:83]
	v_add_f64 v[162:163], v[158:159], v[160:161]
	ds_read_b128 v[158:161], v1 offset:1824
	v_fma_f64 v[4:5], v[134:135], v[84:85], -v[4:5]
	v_add_f64 v[2:3], v[2:3], v[4:5]
	v_mul_f64 v[4:5], v[140:141], v[78:79]
	v_fma_f64 v[4:5], v[138:139], v[80:81], -v[4:5]
	s_waitcnt lgkmcnt(1)
	v_mul_f64 v[164:165], v[154:155], v[94:95]
	v_add_f64 v[2:3], v[2:3], v[4:5]
	v_mul_f64 v[4:5], v[144:145], v[90:91]
	v_fmac_f64_e32 v[164:165], v[156:157], v[96:97]
	v_fma_f64 v[4:5], v[142:143], v[92:93], -v[4:5]
	v_add_f64 v[166:167], v[162:163], v[164:165]
	ds_read_b128 v[162:165], v1 offset:1840
	s_waitcnt vmcnt(18) lgkmcnt(1)
	v_mul_f64 v[168:169], v[158:159], v[186:187]
	v_add_f64 v[2:3], v[2:3], v[4:5]
	v_mul_f64 v[4:5], v[148:149], v[86:87]
	s_waitcnt vmcnt(16)
	v_fmac_f64_e32 v[168:169], v[160:161], v[188:189]
	v_fma_f64 v[4:5], v[146:147], v[88:89], -v[4:5]
	v_add_f64 v[170:171], v[166:167], v[168:169]
	ds_read_b128 v[166:169], v1 offset:1856
	v_add_f64 v[2:3], v[2:3], v[4:5]
	v_mul_f64 v[4:5], v[152:153], v[98:99]
	v_fma_f64 v[4:5], v[150:151], v[100:101], -v[4:5]
	v_add_f64 v[2:3], v[2:3], v[4:5]
	v_mul_f64 v[4:5], v[156:157], v[94:95]
	s_waitcnt lgkmcnt(1)
	v_mul_f64 v[172:173], v[162:163], v[182:183]
	v_fma_f64 v[4:5], v[154:155], v[96:97], -v[4:5]
	v_fmac_f64_e32 v[172:173], v[164:165], v[184:185]
	v_add_f64 v[2:3], v[2:3], v[4:5]
	v_mul_f64 v[4:5], v[160:161], v[186:187]
	v_add_f64 v[174:175], v[170:171], v[172:173]
	ds_read_b128 v[170:173], v1 offset:1872
	s_waitcnt vmcnt(10) lgkmcnt(1)
	v_mul_f64 v[176:177], v[166:167], v[194:195]
	v_fma_f64 v[4:5], v[158:159], v[188:189], -v[4:5]
	s_waitcnt vmcnt(8)
	v_fmac_f64_e32 v[176:177], v[168:169], v[196:197]
	v_add_f64 v[2:3], v[2:3], v[4:5]
	v_mul_f64 v[4:5], v[164:165], v[182:183]
	v_add_f64 v[206:207], v[174:175], v[176:177]
	ds_read_b128 v[174:177], v1 offset:1888
	ds_read_b128 v[178:181], v1 offset:1904
	v_fma_f64 v[4:5], v[162:163], v[184:185], -v[4:5]
	v_add_f64 v[2:3], v[2:3], v[4:5]
	v_mul_f64 v[4:5], v[168:169], v[194:195]
	v_fma_f64 v[4:5], v[166:167], v[196:197], -v[4:5]
	v_add_f64 v[2:3], v[2:3], v[4:5]
	s_waitcnt lgkmcnt(2)
	v_mul_f64 v[4:5], v[172:173], v[190:191]
	v_mul_f64 v[208:209], v[170:171], v[190:191]
	v_fma_f64 v[4:5], v[170:171], v[192:193], -v[4:5]
	v_fmac_f64_e32 v[208:209], v[172:173], v[192:193]
	v_add_f64 v[2:3], v[2:3], v[4:5]
	s_waitcnt vmcnt(2) lgkmcnt(1)
	v_mul_f64 v[4:5], v[176:177], v[202:203]
	v_add_f64 v[206:207], v[206:207], v[208:209]
	v_mul_f64 v[208:209], v[174:175], v[202:203]
	s_waitcnt vmcnt(0)
	v_fma_f64 v[4:5], v[174:175], v[204:205], -v[4:5]
	v_fmac_f64_e32 v[208:209], v[176:177], v[204:205]
	v_add_f64 v[2:3], v[2:3], v[4:5]
	s_waitcnt lgkmcnt(0)
	v_mul_f64 v[4:5], v[180:181], v[198:199]
	v_add_f64 v[206:207], v[206:207], v[208:209]
	v_mul_f64 v[208:209], v[178:179], v[198:199]
	v_fma_f64 v[4:5], v[178:179], v[200:201], -v[4:5]
	v_fmac_f64_e32 v[208:209], v[180:181], v[200:201]
	v_add_f64 v[2:3], v[2:3], v[4:5]
	v_add_f64 v[206:207], v[206:207], v[208:209]
	v_add_f64 v[2:3], v[34:35], -v[2:3]
	v_add_f64 v[4:5], v[32:33], -v[206:207]
	buffer_store_dword v3, off, s[0:3], 0 offset:564
	buffer_store_dword v2, off, s[0:3], 0 offset:560
	;; [unrolled: 1-line block ×4, first 2 shown]
	s_and_saveexec_b64 s[4:5], vcc
	s_cbranch_execz .LBB123_307
; %bb.306:
	v_accvgpr_read_b32 v0, a146
	buffer_load_dword v2, v0, s[0:3], 0 offen
	buffer_load_dword v3, v0, s[0:3], 0 offen offset:4
	buffer_load_dword v4, v0, s[0:3], 0 offen offset:8
	;; [unrolled: 1-line block ×3, first 2 shown]
	v_accvgpr_read_b32 v0, a180
	buffer_store_dword v1, off, s[0:3], 0 offset:544
	buffer_store_dword v1, off, s[0:3], 0 offset:548
	;; [unrolled: 1-line block ×4, first 2 shown]
	s_waitcnt vmcnt(4)
	ds_write_b128 v0, v[2:5]
.LBB123_307:
	s_or_b64 exec, exec, s[4:5]
	s_waitcnt lgkmcnt(0)
	; wave barrier
	s_waitcnt lgkmcnt(0)
	buffer_load_dword v26, off, s[0:3], 0 offset:560
	buffer_load_dword v27, off, s[0:3], 0 offset:564
	;; [unrolled: 1-line block ×24, first 2 shown]
	ds_read_b128 v[22:25], v1 offset:1504
	ds_read_b128 v[18:21], v1 offset:1520
	;; [unrolled: 1-line block ×6, first 2 shown]
	buffer_load_dword v51, off, s[0:3], 0 offset:668
	buffer_load_dword v50, off, s[0:3], 0 offset:664
	;; [unrolled: 1-line block ×40, first 2 shown]
	v_cmp_lt_u32_e32 vcc, 32, v254
	s_waitcnt vmcnt(34) lgkmcnt(0)
	v_mul_f64 v[120:121], v[14:15], v[54:55]
	s_waitcnt vmcnt(32)
	v_fmac_f64_e32 v[120:121], v[16:17], v[56:57]
	v_mul_f64 v[90:91], v[22:23], v[28:29]
	v_fmac_f64_e32 v[90:91], v[24:25], v[26:27]
	v_mul_f64 v[92:93], v[18:19], v[30:31]
	v_add_f64 v[90:91], v[90:91], 0
	v_mul_f64 v[94:95], v[10:11], v[32:33]
	v_mul_f64 v[24:25], v[24:25], v[28:29]
	;; [unrolled: 1-line block ×3, first 2 shown]
	v_fma_f64 v[22:23], v[22:23], v[26:27], -v[24:25]
	v_add_f64 v[22:23], v[22:23], 0
	v_mul_f64 v[96:97], v[6:7], v[42:43]
	v_fmac_f64_e32 v[92:93], v[20:21], v[48:49]
	v_add_f64 v[90:91], v[90:91], v[92:93]
	v_fmac_f64_e32 v[94:95], v[12:13], v[46:47]
	v_add_f64 v[90:91], v[90:91], v[94:95]
	;; [unrolled: 2-line block ×3, first 2 shown]
	buffer_load_dword v91, off, s[0:3], 0 offset:828
	buffer_load_dword v90, off, s[0:3], 0 offset:824
	;; [unrolled: 1-line block ×40, first 2 shown]
	v_fmac_f64_e32 v[114:115], v[4:5], v[40:41]
	v_add_f64 v[118:119], v[116:117], v[114:115]
	ds_read_b128 v[114:117], v1 offset:1600
	buffer_load_dword v211, off, s[0:3], 0 offset:972
	buffer_load_dword v210, off, s[0:3], 0 offset:968
	;; [unrolled: 1-line block ×4, first 2 shown]
	v_add_f64 v[122:123], v[118:119], v[120:121]
	ds_read_b128 v[118:121], v1 offset:1616
	v_mul_f64 v[20:21], v[20:21], v[30:31]
	s_waitcnt lgkmcnt(1)
	v_mul_f64 v[124:125], v[114:115], v[50:51]
	v_fmac_f64_e32 v[124:125], v[116:117], v[52:53]
	v_add_f64 v[126:127], v[122:123], v[124:125]
	ds_read_b128 v[122:125], v1 offset:1632
	s_waitcnt vmcnt(62) lgkmcnt(1)
	v_mul_f64 v[128:129], v[118:119], v[62:63]
	v_fmac_f64_e32 v[128:129], v[120:121], v[64:65]
	v_add_f64 v[130:131], v[126:127], v[128:129]
	ds_read_b128 v[126:129], v1 offset:1648
	s_waitcnt lgkmcnt(1)
	v_mul_f64 v[132:133], v[122:123], v[58:59]
	v_fmac_f64_e32 v[132:133], v[124:125], v[60:61]
	v_add_f64 v[134:135], v[130:131], v[132:133]
	ds_read_b128 v[130:133], v1 offset:1664
	s_waitcnt lgkmcnt(1)
	v_mul_f64 v[136:137], v[126:127], v[70:71]
	s_waitcnt vmcnt(60)
	v_fmac_f64_e32 v[136:137], v[128:129], v[72:73]
	v_add_f64 v[138:139], v[134:135], v[136:137]
	ds_read_b128 v[134:137], v1 offset:1680
	s_waitcnt lgkmcnt(1)
	v_mul_f64 v[140:141], v[130:131], v[66:67]
	v_fmac_f64_e32 v[140:141], v[132:133], v[68:69]
	v_add_f64 v[142:143], v[138:139], v[140:141]
	ds_read_b128 v[138:141], v1 offset:1696
	s_waitcnt vmcnt(54) lgkmcnt(1)
	v_mul_f64 v[144:145], v[134:135], v[78:79]
	s_waitcnt vmcnt(52)
	v_fmac_f64_e32 v[144:145], v[136:137], v[80:81]
	v_add_f64 v[146:147], v[142:143], v[144:145]
	ds_read_b128 v[142:145], v1 offset:1712
	s_waitcnt lgkmcnt(1)
	v_mul_f64 v[148:149], v[138:139], v[74:75]
	v_fmac_f64_e32 v[148:149], v[140:141], v[76:77]
	v_fma_f64 v[18:19], v[18:19], v[48:49], -v[20:21]
	v_mul_f64 v[12:13], v[12:13], v[32:33]
	v_add_f64 v[150:151], v[146:147], v[148:149]
	ds_read_b128 v[146:149], v1 offset:1728
	v_add_f64 v[18:19], v[22:23], v[18:19]
	v_fma_f64 v[10:11], v[10:11], v[46:47], -v[12:13]
	v_mul_f64 v[8:9], v[8:9], v[42:43]
	v_add_f64 v[10:11], v[18:19], v[10:11]
	v_fma_f64 v[6:7], v[6:7], v[44:45], -v[8:9]
	v_mul_f64 v[4:5], v[4:5], v[38:39]
	;; [unrolled: 3-line block ×3, first 2 shown]
	s_waitcnt vmcnt(46) lgkmcnt(1)
	v_mul_f64 v[152:153], v[142:143], v[86:87]
	v_add_f64 v[2:3], v[6:7], v[2:3]
	v_fma_f64 v[4:5], v[14:15], v[56:57], -v[4:5]
	s_waitcnt vmcnt(44)
	v_fmac_f64_e32 v[152:153], v[144:145], v[88:89]
	v_add_f64 v[2:3], v[2:3], v[4:5]
	v_mul_f64 v[4:5], v[116:117], v[50:51]
	v_add_f64 v[154:155], v[150:151], v[152:153]
	ds_read_b128 v[150:153], v1 offset:1744
	s_waitcnt lgkmcnt(1)
	v_mul_f64 v[156:157], v[146:147], v[82:83]
	v_fma_f64 v[4:5], v[114:115], v[52:53], -v[4:5]
	v_fmac_f64_e32 v[156:157], v[148:149], v[84:85]
	v_add_f64 v[2:3], v[2:3], v[4:5]
	v_mul_f64 v[4:5], v[120:121], v[62:63]
	v_add_f64 v[158:159], v[154:155], v[156:157]
	ds_read_b128 v[154:157], v1 offset:1760
	v_fma_f64 v[4:5], v[118:119], v[64:65], -v[4:5]
	v_add_f64 v[2:3], v[2:3], v[4:5]
	v_mul_f64 v[4:5], v[124:125], v[58:59]
	v_fma_f64 v[4:5], v[122:123], v[60:61], -v[4:5]
	s_waitcnt vmcnt(38) lgkmcnt(1)
	v_mul_f64 v[160:161], v[150:151], v[94:95]
	v_add_f64 v[2:3], v[2:3], v[4:5]
	v_mul_f64 v[4:5], v[128:129], v[70:71]
	s_waitcnt vmcnt(36)
	v_fmac_f64_e32 v[160:161], v[152:153], v[96:97]
	v_fma_f64 v[4:5], v[126:127], v[72:73], -v[4:5]
	v_add_f64 v[162:163], v[158:159], v[160:161]
	ds_read_b128 v[158:161], v1 offset:1776
	s_waitcnt lgkmcnt(1)
	v_mul_f64 v[164:165], v[154:155], v[90:91]
	v_add_f64 v[2:3], v[2:3], v[4:5]
	v_mul_f64 v[4:5], v[132:133], v[66:67]
	v_fmac_f64_e32 v[164:165], v[156:157], v[92:93]
	v_fma_f64 v[4:5], v[130:131], v[68:69], -v[4:5]
	v_add_f64 v[166:167], v[162:163], v[164:165]
	ds_read_b128 v[162:165], v1 offset:1792
	v_add_f64 v[2:3], v[2:3], v[4:5]
	v_mul_f64 v[4:5], v[136:137], v[78:79]
	v_fma_f64 v[4:5], v[134:135], v[80:81], -v[4:5]
	v_add_f64 v[2:3], v[2:3], v[4:5]
	v_mul_f64 v[4:5], v[140:141], v[74:75]
	s_waitcnt vmcnt(30) lgkmcnt(1)
	v_mul_f64 v[168:169], v[158:159], v[102:103]
	v_fma_f64 v[4:5], v[138:139], v[76:77], -v[4:5]
	s_waitcnt vmcnt(28)
	v_fmac_f64_e32 v[168:169], v[160:161], v[104:105]
	v_add_f64 v[2:3], v[2:3], v[4:5]
	v_mul_f64 v[4:5], v[144:145], v[86:87]
	v_add_f64 v[170:171], v[166:167], v[168:169]
	ds_read_b128 v[166:169], v1 offset:1808
	s_waitcnt lgkmcnt(1)
	v_mul_f64 v[172:173], v[162:163], v[98:99]
	v_fma_f64 v[4:5], v[142:143], v[88:89], -v[4:5]
	v_fmac_f64_e32 v[172:173], v[164:165], v[100:101]
	v_add_f64 v[2:3], v[2:3], v[4:5]
	v_mul_f64 v[4:5], v[148:149], v[82:83]
	v_add_f64 v[174:175], v[170:171], v[172:173]
	ds_read_b128 v[170:173], v1 offset:1824
	v_fma_f64 v[4:5], v[146:147], v[84:85], -v[4:5]
	v_add_f64 v[2:3], v[2:3], v[4:5]
	v_mul_f64 v[4:5], v[152:153], v[94:95]
	v_fma_f64 v[4:5], v[150:151], v[96:97], -v[4:5]
	s_waitcnt vmcnt(22) lgkmcnt(1)
	v_mul_f64 v[176:177], v[166:167], v[110:111]
	v_add_f64 v[2:3], v[2:3], v[4:5]
	v_mul_f64 v[4:5], v[156:157], v[90:91]
	s_waitcnt vmcnt(20)
	v_fmac_f64_e32 v[176:177], v[168:169], v[112:113]
	v_fma_f64 v[4:5], v[154:155], v[92:93], -v[4:5]
	v_add_f64 v[178:179], v[174:175], v[176:177]
	ds_read_b128 v[174:177], v1 offset:1840
	s_waitcnt lgkmcnt(1)
	v_mul_f64 v[180:181], v[170:171], v[106:107]
	v_add_f64 v[2:3], v[2:3], v[4:5]
	v_mul_f64 v[4:5], v[160:161], v[102:103]
	v_fmac_f64_e32 v[180:181], v[172:173], v[108:109]
	v_fma_f64 v[4:5], v[158:159], v[104:105], -v[4:5]
	v_add_f64 v[182:183], v[178:179], v[180:181]
	ds_read_b128 v[178:181], v1 offset:1856
	v_add_f64 v[2:3], v[2:3], v[4:5]
	v_mul_f64 v[4:5], v[164:165], v[98:99]
	v_fma_f64 v[4:5], v[162:163], v[100:101], -v[4:5]
	v_add_f64 v[2:3], v[2:3], v[4:5]
	v_mul_f64 v[4:5], v[168:169], v[110:111]
	s_waitcnt vmcnt(14) lgkmcnt(1)
	v_mul_f64 v[184:185], v[174:175], v[198:199]
	v_fma_f64 v[4:5], v[166:167], v[112:113], -v[4:5]
	s_waitcnt vmcnt(12)
	v_fmac_f64_e32 v[184:185], v[176:177], v[200:201]
	v_add_f64 v[2:3], v[2:3], v[4:5]
	v_mul_f64 v[4:5], v[172:173], v[106:107]
	v_add_f64 v[186:187], v[182:183], v[184:185]
	ds_read_b128 v[182:185], v1 offset:1872
	s_waitcnt lgkmcnt(1)
	v_mul_f64 v[188:189], v[178:179], v[194:195]
	v_fma_f64 v[4:5], v[170:171], v[108:109], -v[4:5]
	v_fmac_f64_e32 v[188:189], v[180:181], v[196:197]
	v_add_f64 v[2:3], v[2:3], v[4:5]
	v_mul_f64 v[4:5], v[176:177], v[198:199]
	v_add_f64 v[214:215], v[186:187], v[188:189]
	ds_read_b128 v[186:189], v1 offset:1888
	v_fma_f64 v[4:5], v[174:175], v[200:201], -v[4:5]
	v_add_f64 v[2:3], v[2:3], v[4:5]
	v_mul_f64 v[4:5], v[180:181], v[194:195]
	ds_read_b128 v[190:193], v1 offset:1904
	v_fma_f64 v[4:5], v[178:179], v[196:197], -v[4:5]
	v_add_f64 v[2:3], v[2:3], v[4:5]
	s_waitcnt vmcnt(6) lgkmcnt(2)
	v_mul_f64 v[4:5], v[184:185], v[206:207]
	v_mul_f64 v[216:217], v[182:183], v[206:207]
	s_waitcnt vmcnt(4)
	v_fma_f64 v[4:5], v[182:183], v[208:209], -v[4:5]
	v_fmac_f64_e32 v[216:217], v[184:185], v[208:209]
	v_add_f64 v[2:3], v[2:3], v[4:5]
	s_waitcnt lgkmcnt(1)
	v_mul_f64 v[4:5], v[188:189], v[202:203]
	v_add_f64 v[214:215], v[214:215], v[216:217]
	v_mul_f64 v[216:217], v[186:187], v[202:203]
	v_fma_f64 v[4:5], v[186:187], v[204:205], -v[4:5]
	v_fmac_f64_e32 v[216:217], v[188:189], v[204:205]
	v_add_f64 v[2:3], v[2:3], v[4:5]
	s_waitcnt vmcnt(2) lgkmcnt(0)
	v_mul_f64 v[4:5], v[192:193], v[210:211]
	v_add_f64 v[214:215], v[214:215], v[216:217]
	v_mul_f64 v[216:217], v[190:191], v[210:211]
	s_waitcnt vmcnt(0)
	v_fma_f64 v[4:5], v[190:191], v[212:213], -v[4:5]
	v_fmac_f64_e32 v[216:217], v[192:193], v[212:213]
	v_add_f64 v[2:3], v[2:3], v[4:5]
	v_add_f64 v[214:215], v[214:215], v[216:217]
	v_add_f64 v[2:3], v[36:37], -v[2:3]
	v_add_f64 v[4:5], v[34:35], -v[214:215]
	buffer_store_dword v3, off, s[0:3], 0 offset:548
	buffer_store_dword v2, off, s[0:3], 0 offset:544
	;; [unrolled: 1-line block ×4, first 2 shown]
	s_and_saveexec_b64 s[4:5], vcc
	s_cbranch_execz .LBB123_309
; %bb.308:
	v_accvgpr_read_b32 v0, a147
	buffer_load_dword v2, v0, s[0:3], 0 offen
	buffer_load_dword v3, v0, s[0:3], 0 offen offset:4
	buffer_load_dword v4, v0, s[0:3], 0 offen offset:8
	buffer_load_dword v5, v0, s[0:3], 0 offen offset:12
	v_mov_b32_e32 v0, 0
	v_accvgpr_read_b32 v1, a180
	buffer_store_dword v0, off, s[0:3], 0 offset:528
	buffer_store_dword v0, off, s[0:3], 0 offset:532
	buffer_store_dword v0, off, s[0:3], 0 offset:536
	buffer_store_dword v0, off, s[0:3], 0 offset:540
	s_waitcnt vmcnt(4)
	ds_write_b128 v1, v[2:5]
.LBB123_309:
	s_or_b64 exec, exec, s[4:5]
	s_waitcnt lgkmcnt(0)
	; wave barrier
	s_waitcnt lgkmcnt(0)
	buffer_load_dword v30, off, s[0:3], 0 offset:544
	buffer_load_dword v31, off, s[0:3], 0 offset:548
	;; [unrolled: 1-line block ×56, first 2 shown]
	v_mov_b32_e32 v1, 0
	ds_read_b128 v[26:29], v1 offset:1488
	ds_read_b128 v[22:25], v1 offset:1504
	;; [unrolled: 1-line block ×7, first 2 shown]
	v_cmp_lt_u32_e32 vcc, 31, v254
	s_waitcnt vmcnt(52) lgkmcnt(6)
	v_mul_f64 v[86:87], v[26:27], v[34:35]
	v_fmac_f64_e32 v[86:87], v[28:29], v[30:31]
	v_add_f64 v[86:87], v[86:87], 0
	v_mul_f64 v[28:29], v[28:29], v[34:35]
	s_waitcnt vmcnt(48) lgkmcnt(5)
	v_mul_f64 v[88:89], v[22:23], v[36:37]
	v_fmac_f64_e32 v[88:89], v[24:25], v[32:33]
	s_waitcnt vmcnt(46) lgkmcnt(4)
	v_mul_f64 v[90:91], v[18:19], v[38:39]
	v_add_f64 v[86:87], v[86:87], v[88:89]
	s_waitcnt vmcnt(44) lgkmcnt(2)
	v_mul_f64 v[94:95], v[10:11], v[40:41]
	v_fma_f64 v[26:27], v[26:27], v[30:31], -v[28:29]
	s_waitcnt vmcnt(42)
	v_fmac_f64_e32 v[94:95], v[12:13], v[42:43]
	v_mul_f64 v[24:25], v[24:25], v[36:37]
	s_waitcnt vmcnt(40)
	v_mul_f64 v[92:93], v[14:15], v[48:49]
	v_add_f64 v[26:27], v[26:27], 0
	v_fma_f64 v[22:23], v[22:23], v[32:33], -v[24:25]
	v_add_f64 v[22:23], v[26:27], v[22:23]
	s_waitcnt vmcnt(36) lgkmcnt(1)
	v_mul_f64 v[110:111], v[6:7], v[54:55]
	v_mul_f64 v[12:13], v[12:13], v[40:41]
	s_waitcnt vmcnt(34)
	v_fmac_f64_e32 v[90:91], v[20:21], v[60:61]
	v_add_f64 v[86:87], v[86:87], v[90:91]
	s_waitcnt vmcnt(32)
	v_fmac_f64_e32 v[92:93], v[16:17], v[58:59]
	v_add_f64 v[86:87], v[86:87], v[92:93]
	v_add_f64 v[116:117], v[86:87], v[94:95]
	buffer_load_dword v87, off, s[0:3], 0 offset:780
	buffer_load_dword v86, off, s[0:3], 0 offset:776
	;; [unrolled: 1-line block ×56, first 2 shown]
	ds_read_b128 v[124:127], v1 offset:1600
	ds_read_b128 v[128:131], v1 offset:1616
	v_mul_f64 v[20:21], v[20:21], v[38:39]
	v_fma_f64 v[18:19], v[18:19], v[60:61], -v[20:21]
	v_mul_f64 v[16:17], v[16:17], v[48:49]
	s_waitcnt vmcnt(62)
	v_fmac_f64_e32 v[110:111], v[8:9], v[56:57]
	v_add_f64 v[18:19], v[22:23], v[18:19]
	v_fma_f64 v[14:15], v[14:15], v[58:59], -v[16:17]
	v_add_f64 v[110:111], v[116:117], v[110:111]
	s_waitcnt lgkmcnt(2)
	v_mul_f64 v[116:117], v[2:3], v[50:51]
	v_add_f64 v[14:15], v[18:19], v[14:15]
	v_fma_f64 v[10:11], v[10:11], v[42:43], -v[12:13]
	v_mul_f64 v[8:9], v[8:9], v[54:55]
	v_fmac_f64_e32 v[116:117], v[4:5], v[52:53]
	ds_read_b128 v[132:135], v1 offset:1632
	ds_read_b128 v[136:139], v1 offset:1648
	v_add_f64 v[10:11], v[14:15], v[10:11]
	v_fma_f64 v[6:7], v[6:7], v[56:57], -v[8:9]
	v_mul_f64 v[4:5], v[4:5], v[50:51]
	v_add_f64 v[6:7], v[10:11], v[6:7]
	v_fma_f64 v[2:3], v[2:3], v[52:53], -v[4:5]
	s_waitcnt lgkmcnt(3)
	v_mul_f64 v[4:5], v[126:127], v[66:67]
	v_add_f64 v[110:111], v[110:111], v[116:117]
	v_mul_f64 v[116:117], v[124:125], v[66:67]
	v_add_f64 v[2:3], v[6:7], v[2:3]
	v_fma_f64 v[4:5], v[124:125], v[68:69], -v[4:5]
	v_fmac_f64_e32 v[116:117], v[126:127], v[68:69]
	v_add_f64 v[2:3], v[2:3], v[4:5]
	s_waitcnt lgkmcnt(2)
	v_mul_f64 v[4:5], v[130:131], v[62:63]
	v_add_f64 v[110:111], v[110:111], v[116:117]
	v_mul_f64 v[116:117], v[128:129], v[62:63]
	ds_read_b128 v[140:143], v1 offset:1664
	ds_read_b128 v[144:147], v1 offset:1680
	v_fma_f64 v[4:5], v[128:129], v[64:65], -v[4:5]
	v_fmac_f64_e32 v[116:117], v[130:131], v[64:65]
	v_add_f64 v[2:3], v[2:3], v[4:5]
	s_waitcnt lgkmcnt(3)
	v_mul_f64 v[4:5], v[134:135], v[74:75]
	v_add_f64 v[110:111], v[110:111], v[116:117]
	v_mul_f64 v[116:117], v[132:133], v[74:75]
	v_fma_f64 v[4:5], v[132:133], v[76:77], -v[4:5]
	v_fmac_f64_e32 v[116:117], v[134:135], v[76:77]
	v_add_f64 v[2:3], v[2:3], v[4:5]
	s_waitcnt lgkmcnt(2)
	v_mul_f64 v[4:5], v[138:139], v[70:71]
	v_add_f64 v[110:111], v[110:111], v[116:117]
	v_mul_f64 v[116:117], v[136:137], v[70:71]
	ds_read_b128 v[148:151], v1 offset:1696
	ds_read_b128 v[152:155], v1 offset:1712
	v_fma_f64 v[4:5], v[136:137], v[72:73], -v[4:5]
	v_fmac_f64_e32 v[116:117], v[138:139], v[72:73]
	v_add_f64 v[2:3], v[2:3], v[4:5]
	s_waitcnt vmcnt(58) lgkmcnt(3)
	v_mul_f64 v[4:5], v[142:143], v[82:83]
	v_add_f64 v[110:111], v[110:111], v[116:117]
	v_mul_f64 v[116:117], v[140:141], v[82:83]
	s_waitcnt vmcnt(56)
	v_fma_f64 v[4:5], v[140:141], v[84:85], -v[4:5]
	v_fmac_f64_e32 v[116:117], v[142:143], v[84:85]
	v_add_f64 v[2:3], v[2:3], v[4:5]
	s_waitcnt lgkmcnt(2)
	v_mul_f64 v[4:5], v[146:147], v[78:79]
	v_add_f64 v[110:111], v[110:111], v[116:117]
	v_mul_f64 v[116:117], v[144:145], v[78:79]
	ds_read_b128 v[156:159], v1 offset:1728
	ds_read_b128 v[160:163], v1 offset:1744
	v_fma_f64 v[4:5], v[144:145], v[80:81], -v[4:5]
	v_fmac_f64_e32 v[116:117], v[146:147], v[80:81]
	v_add_f64 v[2:3], v[2:3], v[4:5]
	s_waitcnt vmcnt(50) lgkmcnt(3)
	v_mul_f64 v[4:5], v[150:151], v[90:91]
	v_add_f64 v[110:111], v[110:111], v[116:117]
	v_mul_f64 v[116:117], v[148:149], v[90:91]
	s_waitcnt vmcnt(48)
	;; [unrolled: 17-line block ×7, first 2 shown]
	v_fma_f64 v[4:5], v[188:189], v[216:217], -v[4:5]
	v_fmac_f64_e32 v[116:117], v[190:191], v[216:217]
	v_add_f64 v[2:3], v[2:3], v[4:5]
	s_waitcnt lgkmcnt(2)
	v_mul_f64 v[4:5], v[194:195], v[210:211]
	v_add_f64 v[110:111], v[110:111], v[116:117]
	v_mul_f64 v[116:117], v[192:193], v[210:211]
	v_fma_f64 v[4:5], v[192:193], v[212:213], -v[4:5]
	v_fmac_f64_e32 v[116:117], v[194:195], v[212:213]
	v_add_f64 v[2:3], v[2:3], v[4:5]
	s_waitcnt vmcnt(2) lgkmcnt(1)
	v_mul_f64 v[4:5], v[198:199], v[222:223]
	v_add_f64 v[110:111], v[110:111], v[116:117]
	v_mul_f64 v[116:117], v[196:197], v[222:223]
	s_waitcnt vmcnt(0)
	v_fma_f64 v[4:5], v[196:197], v[224:225], -v[4:5]
	v_fmac_f64_e32 v[116:117], v[198:199], v[224:225]
	v_add_f64 v[2:3], v[2:3], v[4:5]
	s_waitcnt lgkmcnt(0)
	v_mul_f64 v[4:5], v[202:203], v[218:219]
	v_add_f64 v[110:111], v[110:111], v[116:117]
	v_mul_f64 v[116:117], v[200:201], v[218:219]
	v_fma_f64 v[4:5], v[200:201], v[220:221], -v[4:5]
	v_fmac_f64_e32 v[116:117], v[202:203], v[220:221]
	v_add_f64 v[2:3], v[2:3], v[4:5]
	v_add_f64 v[110:111], v[110:111], v[116:117]
	v_add_f64 v[2:3], v[46:47], -v[2:3]
	v_add_f64 v[4:5], v[44:45], -v[110:111]
	buffer_store_dword v3, off, s[0:3], 0 offset:532
	buffer_store_dword v2, off, s[0:3], 0 offset:528
	buffer_store_dword v5, off, s[0:3], 0 offset:540
	buffer_store_dword v4, off, s[0:3], 0 offset:536
	s_and_saveexec_b64 s[4:5], vcc
	s_cbranch_execz .LBB123_311
; %bb.310:
	v_accvgpr_read_b32 v0, a148
	buffer_load_dword v2, v0, s[0:3], 0 offen
	buffer_load_dword v3, v0, s[0:3], 0 offen offset:4
	buffer_load_dword v4, v0, s[0:3], 0 offen offset:8
	;; [unrolled: 1-line block ×3, first 2 shown]
	v_accvgpr_read_b32 v0, a180
	buffer_store_dword v1, off, s[0:3], 0 offset:512
	buffer_store_dword v1, off, s[0:3], 0 offset:516
	;; [unrolled: 1-line block ×4, first 2 shown]
	s_waitcnt vmcnt(4)
	ds_write_b128 v0, v[2:5]
.LBB123_311:
	s_or_b64 exec, exec, s[4:5]
	s_waitcnt lgkmcnt(0)
	; wave barrier
	s_waitcnt lgkmcnt(0)
	buffer_load_dword v34, off, s[0:3], 0 offset:528
	buffer_load_dword v35, off, s[0:3], 0 offset:532
	;; [unrolled: 1-line block ×32, first 2 shown]
	ds_read_b128 v[30:33], v1 offset:1472
	ds_read_b128 v[26:29], v1 offset:1488
	;; [unrolled: 1-line block ×8, first 2 shown]
	buffer_load_dword v67, off, s[0:3], 0 offset:668
	buffer_load_dword v66, off, s[0:3], 0 offset:664
	;; [unrolled: 1-line block ×24, first 2 shown]
	v_cmp_lt_u32_e32 vcc, 30, v254
	s_waitcnt vmcnt(52) lgkmcnt(7)
	v_mul_f64 v[90:91], v[30:31], v[38:39]
	v_fmac_f64_e32 v[90:91], v[32:33], v[34:35]
	v_add_f64 v[90:91], v[90:91], 0
	v_mul_f64 v[32:33], v[32:33], v[38:39]
	s_waitcnt vmcnt(48) lgkmcnt(6)
	v_mul_f64 v[92:93], v[26:27], v[40:41]
	v_fmac_f64_e32 v[92:93], v[28:29], v[36:37]
	s_waitcnt vmcnt(46) lgkmcnt(5)
	v_mul_f64 v[94:95], v[22:23], v[42:43]
	v_add_f64 v[90:91], v[90:91], v[92:93]
	s_waitcnt vmcnt(44) lgkmcnt(4)
	v_mul_f64 v[96:97], v[18:19], v[48:49]
	v_fma_f64 v[30:31], v[30:31], v[34:35], -v[32:33]
	s_waitcnt vmcnt(42) lgkmcnt(1)
	v_mul_f64 v[122:123], v[2:3], v[50:51]
	v_mul_f64 v[28:29], v[28:29], v[40:41]
	s_waitcnt vmcnt(18) lgkmcnt(0)
	v_mul_f64 v[136:137], v[14:15], v[70:71]
	v_mul_f64 v[100:101], v[6:7], v[54:55]
	s_waitcnt vmcnt(16)
	v_fmac_f64_e32 v[136:137], v[16:17], v[72:73]
	v_mul_f64 v[98:99], v[10:11], v[56:57]
	v_add_f64 v[30:31], v[30:31], 0
	v_fmac_f64_e32 v[98:99], v[12:13], v[58:59]
	v_fma_f64 v[26:27], v[26:27], v[36:37], -v[28:29]
	v_fmac_f64_e32 v[94:95], v[24:25], v[64:65]
	v_add_f64 v[90:91], v[90:91], v[94:95]
	v_fmac_f64_e32 v[96:97], v[20:21], v[62:63]
	v_add_f64 v[90:91], v[90:91], v[96:97]
	;; [unrolled: 2-line block ×3, first 2 shown]
	v_add_f64 v[124:125], v[90:91], v[100:101]
	buffer_load_dword v91, off, s[0:3], 0 offset:764
	buffer_load_dword v90, off, s[0:3], 0 offset:760
	;; [unrolled: 1-line block ×56, first 2 shown]
	v_fmac_f64_e32 v[122:123], v[4:5], v[52:53]
	v_add_f64 v[134:135], v[124:125], v[122:123]
	ds_read_b128 v[122:125], v1 offset:1600
	buffer_load_dword v227, off, s[0:3], 0 offset:972
	buffer_load_dword v226, off, s[0:3], 0 offset:968
	buffer_load_dword v229, off, s[0:3], 0 offset:964
	buffer_load_dword v228, off, s[0:3], 0 offset:960
	v_add_f64 v[138:139], v[134:135], v[136:137]
	ds_read_b128 v[134:137], v1 offset:1616
	v_mul_f64 v[24:25], v[24:25], v[42:43]
	s_waitcnt lgkmcnt(1)
	v_mul_f64 v[140:141], v[122:123], v[66:67]
	v_fmac_f64_e32 v[140:141], v[124:125], v[68:69]
	v_add_f64 v[142:143], v[138:139], v[140:141]
	ds_read_b128 v[138:141], v1 offset:1632
	s_waitcnt vmcnt(62) lgkmcnt(1)
	v_mul_f64 v[144:145], v[134:135], v[78:79]
	v_fmac_f64_e32 v[144:145], v[136:137], v[80:81]
	v_add_f64 v[146:147], v[142:143], v[144:145]
	ds_read_b128 v[142:145], v1 offset:1648
	s_waitcnt lgkmcnt(1)
	v_mul_f64 v[148:149], v[138:139], v[74:75]
	v_fmac_f64_e32 v[148:149], v[140:141], v[76:77]
	v_add_f64 v[150:151], v[146:147], v[148:149]
	ds_read_b128 v[146:149], v1 offset:1664
	s_waitcnt lgkmcnt(1)
	v_mul_f64 v[152:153], v[142:143], v[86:87]
	s_waitcnt vmcnt(60)
	v_fmac_f64_e32 v[152:153], v[144:145], v[88:89]
	v_add_f64 v[154:155], v[150:151], v[152:153]
	ds_read_b128 v[150:153], v1 offset:1680
	s_waitcnt lgkmcnt(1)
	v_mul_f64 v[156:157], v[146:147], v[82:83]
	v_fmac_f64_e32 v[156:157], v[148:149], v[84:85]
	v_add_f64 v[158:159], v[154:155], v[156:157]
	ds_read_b128 v[154:157], v1 offset:1696
	v_add_f64 v[26:27], v[30:31], v[26:27]
	v_fma_f64 v[22:23], v[22:23], v[64:65], -v[24:25]
	s_waitcnt vmcnt(54) lgkmcnt(1)
	v_mul_f64 v[160:161], v[150:151], v[94:95]
	v_mul_f64 v[20:21], v[20:21], v[48:49]
	s_waitcnt vmcnt(52)
	v_fmac_f64_e32 v[160:161], v[152:153], v[96:97]
	v_add_f64 v[162:163], v[158:159], v[160:161]
	ds_read_b128 v[158:161], v1 offset:1712
	s_waitcnt lgkmcnt(1)
	v_mul_f64 v[164:165], v[154:155], v[90:91]
	v_fmac_f64_e32 v[164:165], v[156:157], v[92:93]
	v_add_f64 v[22:23], v[26:27], v[22:23]
	v_fma_f64 v[18:19], v[18:19], v[62:63], -v[20:21]
	v_mul_f64 v[12:13], v[12:13], v[56:57]
	v_add_f64 v[166:167], v[162:163], v[164:165]
	ds_read_b128 v[162:165], v1 offset:1728
	v_add_f64 v[18:19], v[22:23], v[18:19]
	v_fma_f64 v[10:11], v[10:11], v[58:59], -v[12:13]
	v_mul_f64 v[8:9], v[8:9], v[54:55]
	v_add_f64 v[10:11], v[18:19], v[10:11]
	v_fma_f64 v[6:7], v[6:7], v[60:61], -v[8:9]
	v_mul_f64 v[4:5], v[4:5], v[50:51]
	;; [unrolled: 3-line block ×3, first 2 shown]
	s_waitcnt vmcnt(46) lgkmcnt(1)
	v_mul_f64 v[168:169], v[158:159], v[102:103]
	v_add_f64 v[2:3], v[6:7], v[2:3]
	v_fma_f64 v[4:5], v[14:15], v[72:73], -v[4:5]
	s_waitcnt vmcnt(44)
	v_fmac_f64_e32 v[168:169], v[160:161], v[104:105]
	v_add_f64 v[2:3], v[2:3], v[4:5]
	v_mul_f64 v[4:5], v[124:125], v[66:67]
	v_add_f64 v[170:171], v[166:167], v[168:169]
	ds_read_b128 v[166:169], v1 offset:1744
	s_waitcnt lgkmcnt(1)
	v_mul_f64 v[172:173], v[162:163], v[98:99]
	v_fma_f64 v[4:5], v[122:123], v[68:69], -v[4:5]
	v_fmac_f64_e32 v[172:173], v[164:165], v[100:101]
	v_add_f64 v[2:3], v[2:3], v[4:5]
	v_mul_f64 v[4:5], v[136:137], v[78:79]
	v_add_f64 v[174:175], v[170:171], v[172:173]
	ds_read_b128 v[170:173], v1 offset:1760
	v_fma_f64 v[4:5], v[134:135], v[80:81], -v[4:5]
	v_add_f64 v[2:3], v[2:3], v[4:5]
	v_mul_f64 v[4:5], v[140:141], v[74:75]
	v_fma_f64 v[4:5], v[138:139], v[76:77], -v[4:5]
	s_waitcnt vmcnt(38) lgkmcnt(1)
	v_mul_f64 v[176:177], v[166:167], v[110:111]
	v_add_f64 v[2:3], v[2:3], v[4:5]
	v_mul_f64 v[4:5], v[144:145], v[86:87]
	s_waitcnt vmcnt(36)
	v_fmac_f64_e32 v[176:177], v[168:169], v[112:113]
	v_fma_f64 v[4:5], v[142:143], v[88:89], -v[4:5]
	v_add_f64 v[178:179], v[174:175], v[176:177]
	ds_read_b128 v[174:177], v1 offset:1776
	s_waitcnt lgkmcnt(1)
	v_mul_f64 v[180:181], v[170:171], v[106:107]
	v_add_f64 v[2:3], v[2:3], v[4:5]
	v_mul_f64 v[4:5], v[148:149], v[82:83]
	v_fmac_f64_e32 v[180:181], v[172:173], v[108:109]
	v_fma_f64 v[4:5], v[146:147], v[84:85], -v[4:5]
	v_add_f64 v[182:183], v[178:179], v[180:181]
	ds_read_b128 v[178:181], v1 offset:1792
	v_add_f64 v[2:3], v[2:3], v[4:5]
	v_mul_f64 v[4:5], v[152:153], v[94:95]
	v_fma_f64 v[4:5], v[150:151], v[96:97], -v[4:5]
	v_add_f64 v[2:3], v[2:3], v[4:5]
	v_mul_f64 v[4:5], v[156:157], v[90:91]
	s_waitcnt vmcnt(30) lgkmcnt(1)
	v_mul_f64 v[184:185], v[174:175], v[118:119]
	v_fma_f64 v[4:5], v[154:155], v[92:93], -v[4:5]
	s_waitcnt vmcnt(28)
	v_fmac_f64_e32 v[184:185], v[176:177], v[120:121]
	v_add_f64 v[2:3], v[2:3], v[4:5]
	v_mul_f64 v[4:5], v[160:161], v[102:103]
	v_add_f64 v[186:187], v[182:183], v[184:185]
	ds_read_b128 v[182:185], v1 offset:1808
	s_waitcnt lgkmcnt(1)
	v_mul_f64 v[188:189], v[178:179], v[114:115]
	v_fma_f64 v[4:5], v[158:159], v[104:105], -v[4:5]
	v_fmac_f64_e32 v[188:189], v[180:181], v[116:117]
	v_add_f64 v[2:3], v[2:3], v[4:5]
	v_mul_f64 v[4:5], v[164:165], v[98:99]
	v_add_f64 v[190:191], v[186:187], v[188:189]
	ds_read_b128 v[186:189], v1 offset:1824
	v_fma_f64 v[4:5], v[162:163], v[100:101], -v[4:5]
	v_add_f64 v[2:3], v[2:3], v[4:5]
	v_mul_f64 v[4:5], v[168:169], v[110:111]
	v_fma_f64 v[4:5], v[166:167], v[112:113], -v[4:5]
	s_waitcnt vmcnt(22) lgkmcnt(1)
	v_mul_f64 v[192:193], v[182:183], v[130:131]
	v_add_f64 v[2:3], v[2:3], v[4:5]
	v_mul_f64 v[4:5], v[172:173], v[106:107]
	s_waitcnt vmcnt(20)
	v_fmac_f64_e32 v[192:193], v[184:185], v[132:133]
	v_fma_f64 v[4:5], v[170:171], v[108:109], -v[4:5]
	v_add_f64 v[194:195], v[190:191], v[192:193]
	ds_read_b128 v[190:193], v1 offset:1840
	s_waitcnt lgkmcnt(1)
	v_mul_f64 v[196:197], v[186:187], v[126:127]
	v_add_f64 v[2:3], v[2:3], v[4:5]
	v_mul_f64 v[4:5], v[176:177], v[118:119]
	v_fmac_f64_e32 v[196:197], v[188:189], v[128:129]
	v_fma_f64 v[4:5], v[174:175], v[120:121], -v[4:5]
	v_add_f64 v[198:199], v[194:195], v[196:197]
	ds_read_b128 v[194:197], v1 offset:1856
	v_add_f64 v[2:3], v[2:3], v[4:5]
	v_mul_f64 v[4:5], v[180:181], v[114:115]
	v_fma_f64 v[4:5], v[178:179], v[116:117], -v[4:5]
	v_add_f64 v[2:3], v[2:3], v[4:5]
	v_mul_f64 v[4:5], v[184:185], v[130:131]
	s_waitcnt vmcnt(14) lgkmcnt(1)
	v_mul_f64 v[200:201], v[190:191], v[214:215]
	v_fma_f64 v[4:5], v[182:183], v[132:133], -v[4:5]
	s_waitcnt vmcnt(12)
	v_fmac_f64_e32 v[200:201], v[192:193], v[216:217]
	v_add_f64 v[2:3], v[2:3], v[4:5]
	v_mul_f64 v[4:5], v[188:189], v[126:127]
	v_add_f64 v[202:203], v[198:199], v[200:201]
	ds_read_b128 v[198:201], v1 offset:1872
	s_waitcnt lgkmcnt(1)
	v_mul_f64 v[204:205], v[194:195], v[210:211]
	v_fma_f64 v[4:5], v[186:187], v[128:129], -v[4:5]
	v_fmac_f64_e32 v[204:205], v[196:197], v[212:213]
	v_add_f64 v[2:3], v[2:3], v[4:5]
	v_mul_f64 v[4:5], v[192:193], v[214:215]
	v_add_f64 v[230:231], v[202:203], v[204:205]
	ds_read_b128 v[202:205], v1 offset:1888
	v_fma_f64 v[4:5], v[190:191], v[216:217], -v[4:5]
	v_add_f64 v[2:3], v[2:3], v[4:5]
	v_mul_f64 v[4:5], v[196:197], v[210:211]
	ds_read_b128 v[206:209], v1 offset:1904
	v_fma_f64 v[4:5], v[194:195], v[212:213], -v[4:5]
	v_add_f64 v[2:3], v[2:3], v[4:5]
	s_waitcnt vmcnt(6) lgkmcnt(2)
	v_mul_f64 v[4:5], v[200:201], v[222:223]
	v_mul_f64 v[232:233], v[198:199], v[222:223]
	s_waitcnt vmcnt(4)
	v_fma_f64 v[4:5], v[198:199], v[224:225], -v[4:5]
	v_fmac_f64_e32 v[232:233], v[200:201], v[224:225]
	v_add_f64 v[2:3], v[2:3], v[4:5]
	s_waitcnt lgkmcnt(1)
	v_mul_f64 v[4:5], v[204:205], v[218:219]
	v_add_f64 v[230:231], v[230:231], v[232:233]
	v_mul_f64 v[232:233], v[202:203], v[218:219]
	v_fma_f64 v[4:5], v[202:203], v[220:221], -v[4:5]
	v_fmac_f64_e32 v[232:233], v[204:205], v[220:221]
	v_add_f64 v[2:3], v[2:3], v[4:5]
	s_waitcnt vmcnt(2) lgkmcnt(0)
	v_mul_f64 v[4:5], v[208:209], v[226:227]
	v_add_f64 v[230:231], v[230:231], v[232:233]
	v_mul_f64 v[232:233], v[206:207], v[226:227]
	s_waitcnt vmcnt(0)
	v_fma_f64 v[4:5], v[206:207], v[228:229], -v[4:5]
	v_fmac_f64_e32 v[232:233], v[208:209], v[228:229]
	v_add_f64 v[2:3], v[2:3], v[4:5]
	v_add_f64 v[230:231], v[230:231], v[232:233]
	v_add_f64 v[2:3], v[46:47], -v[2:3]
	v_add_f64 v[4:5], v[44:45], -v[230:231]
	buffer_store_dword v3, off, s[0:3], 0 offset:516
	buffer_store_dword v2, off, s[0:3], 0 offset:512
	;; [unrolled: 1-line block ×4, first 2 shown]
	s_and_saveexec_b64 s[4:5], vcc
	s_cbranch_execz .LBB123_313
; %bb.312:
	v_accvgpr_read_b32 v0, a149
	buffer_load_dword v2, v0, s[0:3], 0 offen
	buffer_load_dword v3, v0, s[0:3], 0 offen offset:4
	buffer_load_dword v4, v0, s[0:3], 0 offen offset:8
	;; [unrolled: 1-line block ×3, first 2 shown]
	v_mov_b32_e32 v0, 0
	v_accvgpr_read_b32 v1, a180
	buffer_store_dword v0, off, s[0:3], 0 offset:496
	buffer_store_dword v0, off, s[0:3], 0 offset:500
	;; [unrolled: 1-line block ×4, first 2 shown]
	s_waitcnt vmcnt(4)
	ds_write_b128 v1, v[2:5]
.LBB123_313:
	s_or_b64 exec, exec, s[4:5]
	s_waitcnt lgkmcnt(0)
	; wave barrier
	s_waitcnt lgkmcnt(0)
	buffer_load_dword v38, off, s[0:3], 0 offset:512
	buffer_load_dword v39, off, s[0:3], 0 offset:516
	;; [unrolled: 1-line block ×48, first 2 shown]
	v_mov_b32_e32 v1, 0
	ds_read_b128 v[34:37], v1 offset:1456
	ds_read_b128 v[30:33], v1 offset:1472
	;; [unrolled: 1-line block ×9, first 2 shown]
	v_cmp_lt_u32_e32 vcc, 29, v254
	s_waitcnt vmcnt(44) lgkmcnt(8)
	v_mul_f64 v[86:87], v[34:35], v[42:43]
	v_fmac_f64_e32 v[86:87], v[36:37], v[38:39]
	v_add_f64 v[86:87], v[86:87], 0
	v_mul_f64 v[36:37], v[36:37], v[42:43]
	s_waitcnt vmcnt(40) lgkmcnt(7)
	v_mul_f64 v[88:89], v[30:31], v[44:45]
	v_fmac_f64_e32 v[88:89], v[32:33], v[40:41]
	s_waitcnt vmcnt(38) lgkmcnt(6)
	v_mul_f64 v[90:91], v[26:27], v[46:47]
	v_add_f64 v[86:87], v[86:87], v[88:89]
	s_waitcnt vmcnt(36) lgkmcnt(4)
	v_mul_f64 v[94:95], v[18:19], v[48:49]
	v_fma_f64 v[34:35], v[34:35], v[38:39], -v[36:37]
	s_waitcnt vmcnt(34)
	v_fmac_f64_e32 v[94:95], v[20:21], v[50:51]
	v_mul_f64 v[32:33], v[32:33], v[44:45]
	s_waitcnt vmcnt(32)
	v_mul_f64 v[92:93], v[22:23], v[52:53]
	v_add_f64 v[34:35], v[34:35], 0
	s_waitcnt vmcnt(30) lgkmcnt(2)
	v_mul_f64 v[98:99], v[10:11], v[54:55]
	v_fma_f64 v[30:31], v[30:31], v[40:41], -v[32:33]
	s_waitcnt vmcnt(28)
	v_fmac_f64_e32 v[98:99], v[12:13], v[56:57]
	v_add_f64 v[30:31], v[34:35], v[30:31]
	s_waitcnt vmcnt(26)
	v_mul_f64 v[96:97], v[14:15], v[58:59]
	v_mul_f64 v[20:21], v[20:21], v[48:49]
	v_fma_f64 v[18:19], v[18:19], v[50:51], -v[20:21]
	v_mul_f64 v[12:13], v[12:13], v[54:55]
	s_waitcnt vmcnt(22) lgkmcnt(1)
	v_mul_f64 v[110:111], v[6:7], v[68:69]
	v_fma_f64 v[10:11], v[10:11], v[56:57], -v[12:13]
	s_waitcnt vmcnt(20)
	v_fmac_f64_e32 v[90:91], v[28:29], v[76:77]
	v_add_f64 v[86:87], v[86:87], v[90:91]
	s_waitcnt vmcnt(18)
	v_fmac_f64_e32 v[92:93], v[24:25], v[74:75]
	v_add_f64 v[86:87], v[86:87], v[92:93]
	;; [unrolled: 3-line block ×3, first 2 shown]
	v_add_f64 v[86:87], v[86:87], v[96:97]
	v_add_f64 v[112:113], v[86:87], v[98:99]
	buffer_load_dword v87, off, s[0:3], 0 offset:716
	buffer_load_dword v86, off, s[0:3], 0 offset:712
	buffer_load_dword v89, off, s[0:3], 0 offset:708
	buffer_load_dword v88, off, s[0:3], 0 offset:704
	buffer_load_dword v91, off, s[0:3], 0 offset:700
	buffer_load_dword v90, off, s[0:3], 0 offset:696
	buffer_load_dword v93, off, s[0:3], 0 offset:692
	buffer_load_dword v92, off, s[0:3], 0 offset:688
	buffer_load_dword v95, off, s[0:3], 0 offset:748
	buffer_load_dword v94, off, s[0:3], 0 offset:744
	buffer_load_dword v97, off, s[0:3], 0 offset:740
	buffer_load_dword v96, off, s[0:3], 0 offset:736
	buffer_load_dword v99, off, s[0:3], 0 offset:732
	buffer_load_dword v98, off, s[0:3], 0 offset:728
	buffer_load_dword v101, off, s[0:3], 0 offset:724
	buffer_load_dword v100, off, s[0:3], 0 offset:720
	buffer_load_dword v103, off, s[0:3], 0 offset:780
	buffer_load_dword v102, off, s[0:3], 0 offset:776
	buffer_load_dword v105, off, s[0:3], 0 offset:772
	buffer_load_dword v104, off, s[0:3], 0 offset:768
	buffer_load_dword v107, off, s[0:3], 0 offset:764
	buffer_load_dword v106, off, s[0:3], 0 offset:760
	buffer_load_dword v109, off, s[0:3], 0 offset:756
	buffer_load_dword v108, off, s[0:3], 0 offset:752
	buffer_load_dword v115, off, s[0:3], 0 offset:812
	buffer_load_dword v114, off, s[0:3], 0 offset:808
	buffer_load_dword v117, off, s[0:3], 0 offset:804
	buffer_load_dword v116, off, s[0:3], 0 offset:800
	buffer_load_dword v119, off, s[0:3], 0 offset:796
	buffer_load_dword v118, off, s[0:3], 0 offset:792
	buffer_load_dword v121, off, s[0:3], 0 offset:788
	buffer_load_dword v120, off, s[0:3], 0 offset:784
	buffer_load_dword v123, off, s[0:3], 0 offset:844
	buffer_load_dword v122, off, s[0:3], 0 offset:840
	buffer_load_dword v125, off, s[0:3], 0 offset:836
	buffer_load_dword v124, off, s[0:3], 0 offset:832
	buffer_load_dword v127, off, s[0:3], 0 offset:828
	buffer_load_dword v126, off, s[0:3], 0 offset:824
	buffer_load_dword v129, off, s[0:3], 0 offset:820
	buffer_load_dword v128, off, s[0:3], 0 offset:816
	buffer_load_dword v131, off, s[0:3], 0 offset:876
	buffer_load_dword v130, off, s[0:3], 0 offset:872
	buffer_load_dword v133, off, s[0:3], 0 offset:868
	buffer_load_dword v132, off, s[0:3], 0 offset:864
	buffer_load_dword v135, off, s[0:3], 0 offset:860
	buffer_load_dword v134, off, s[0:3], 0 offset:856
	buffer_load_dword v137, off, s[0:3], 0 offset:852
	buffer_load_dword v136, off, s[0:3], 0 offset:848
	buffer_load_dword v139, off, s[0:3], 0 offset:908
	buffer_load_dword v138, off, s[0:3], 0 offset:904
	buffer_load_dword v141, off, s[0:3], 0 offset:900
	buffer_load_dword v140, off, s[0:3], 0 offset:896
	buffer_load_dword v219, off, s[0:3], 0 offset:892
	buffer_load_dword v218, off, s[0:3], 0 offset:888
	buffer_load_dword v221, off, s[0:3], 0 offset:884
	buffer_load_dword v220, off, s[0:3], 0 offset:880
	buffer_load_dword v223, off, s[0:3], 0 offset:940
	buffer_load_dword v222, off, s[0:3], 0 offset:936
	buffer_load_dword v225, off, s[0:3], 0 offset:932
	buffer_load_dword v224, off, s[0:3], 0 offset:928
	buffer_load_dword v227, off, s[0:3], 0 offset:924
	buffer_load_dword v226, off, s[0:3], 0 offset:920
	buffer_load_dword v229, off, s[0:3], 0 offset:916
	buffer_load_dword v228, off, s[0:3], 0 offset:912
	buffer_load_dword v231, off, s[0:3], 0 offset:972
	buffer_load_dword v230, off, s[0:3], 0 offset:968
	buffer_load_dword v233, off, s[0:3], 0 offset:964
	buffer_load_dword v232, off, s[0:3], 0 offset:960
	buffer_load_dword v235, off, s[0:3], 0 offset:956
	buffer_load_dword v234, off, s[0:3], 0 offset:952
	buffer_load_dword v237, off, s[0:3], 0 offset:948
	buffer_load_dword v236, off, s[0:3], 0 offset:944
	s_waitcnt vmcnt(62)
	v_fmac_f64_e32 v[110:111], v[8:9], v[70:71]
	v_add_f64 v[142:143], v[112:113], v[110:111]
	ds_read_b128 v[110:113], v1 offset:1600
	s_waitcnt lgkmcnt(1)
	v_mul_f64 v[144:145], v[2:3], v[64:65]
	v_fmac_f64_e32 v[144:145], v[4:5], v[66:67]
	v_add_f64 v[146:147], v[142:143], v[144:145]
	ds_read_b128 v[142:145], v1 offset:1616
	s_waitcnt lgkmcnt(1)
	v_mul_f64 v[148:149], v[110:111], v[82:83]
	;; [unrolled: 5-line block ×5, first 2 shown]
	v_fmac_f64_e32 v[160:161], v[152:153], v[88:89]
	v_add_f64 v[162:163], v[158:159], v[160:161]
	ds_read_b128 v[158:161], v1 offset:1680
	s_waitcnt vmcnt(58) lgkmcnt(1)
	v_mul_f64 v[164:165], v[154:155], v[98:99]
	s_waitcnt vmcnt(56)
	v_fmac_f64_e32 v[164:165], v[156:157], v[100:101]
	v_add_f64 v[166:167], v[162:163], v[164:165]
	ds_read_b128 v[162:165], v1 offset:1696
	s_waitcnt lgkmcnt(1)
	v_mul_f64 v[168:169], v[158:159], v[94:95]
	v_fmac_f64_e32 v[168:169], v[160:161], v[96:97]
	v_mul_f64 v[28:29], v[28:29], v[46:47]
	v_add_f64 v[170:171], v[166:167], v[168:169]
	ds_read_b128 v[166:169], v1 offset:1712
	s_waitcnt vmcnt(50) lgkmcnt(1)
	v_mul_f64 v[172:173], v[162:163], v[106:107]
	v_fma_f64 v[26:27], v[26:27], v[76:77], -v[28:29]
	v_mul_f64 v[24:25], v[24:25], v[52:53]
	s_waitcnt vmcnt(48)
	v_fmac_f64_e32 v[172:173], v[164:165], v[108:109]
	v_add_f64 v[26:27], v[30:31], v[26:27]
	v_fma_f64 v[22:23], v[22:23], v[74:75], -v[24:25]
	v_add_f64 v[174:175], v[170:171], v[172:173]
	ds_read_b128 v[170:173], v1 offset:1728
	v_add_f64 v[22:23], v[26:27], v[22:23]
	v_mul_f64 v[16:17], v[16:17], v[58:59]
	v_add_f64 v[18:19], v[22:23], v[18:19]
	v_fma_f64 v[14:15], v[14:15], v[72:73], -v[16:17]
	v_add_f64 v[14:15], v[18:19], v[14:15]
	v_mul_f64 v[8:9], v[8:9], v[68:69]
	s_waitcnt lgkmcnt(1)
	v_mul_f64 v[176:177], v[166:167], v[102:103]
	v_add_f64 v[10:11], v[14:15], v[10:11]
	v_fma_f64 v[6:7], v[6:7], v[70:71], -v[8:9]
	v_mul_f64 v[4:5], v[4:5], v[64:65]
	v_fmac_f64_e32 v[176:177], v[168:169], v[104:105]
	v_add_f64 v[6:7], v[10:11], v[6:7]
	v_fma_f64 v[2:3], v[2:3], v[66:67], -v[4:5]
	v_mul_f64 v[4:5], v[112:113], v[82:83]
	v_add_f64 v[178:179], v[174:175], v[176:177]
	ds_read_b128 v[174:177], v1 offset:1744
	s_waitcnt vmcnt(42) lgkmcnt(1)
	v_mul_f64 v[180:181], v[170:171], v[118:119]
	v_add_f64 v[2:3], v[6:7], v[2:3]
	v_fma_f64 v[4:5], v[110:111], v[84:85], -v[4:5]
	s_waitcnt vmcnt(40)
	v_fmac_f64_e32 v[180:181], v[172:173], v[120:121]
	v_add_f64 v[2:3], v[2:3], v[4:5]
	v_mul_f64 v[4:5], v[144:145], v[78:79]
	v_add_f64 v[182:183], v[178:179], v[180:181]
	ds_read_b128 v[178:181], v1 offset:1760
	v_fma_f64 v[4:5], v[142:143], v[80:81], -v[4:5]
	v_add_f64 v[2:3], v[2:3], v[4:5]
	v_mul_f64 v[4:5], v[148:149], v[90:91]
	v_fma_f64 v[4:5], v[146:147], v[92:93], -v[4:5]
	s_waitcnt lgkmcnt(1)
	v_mul_f64 v[184:185], v[174:175], v[114:115]
	v_add_f64 v[2:3], v[2:3], v[4:5]
	v_mul_f64 v[4:5], v[152:153], v[86:87]
	v_fmac_f64_e32 v[184:185], v[176:177], v[116:117]
	v_fma_f64 v[4:5], v[150:151], v[88:89], -v[4:5]
	v_add_f64 v[186:187], v[182:183], v[184:185]
	ds_read_b128 v[182:185], v1 offset:1776
	s_waitcnt vmcnt(34) lgkmcnt(1)
	v_mul_f64 v[188:189], v[178:179], v[126:127]
	v_add_f64 v[2:3], v[2:3], v[4:5]
	v_mul_f64 v[4:5], v[156:157], v[98:99]
	s_waitcnt vmcnt(32)
	v_fmac_f64_e32 v[188:189], v[180:181], v[128:129]
	v_fma_f64 v[4:5], v[154:155], v[100:101], -v[4:5]
	v_add_f64 v[190:191], v[186:187], v[188:189]
	ds_read_b128 v[186:189], v1 offset:1792
	v_add_f64 v[2:3], v[2:3], v[4:5]
	v_mul_f64 v[4:5], v[160:161], v[94:95]
	v_fma_f64 v[4:5], v[158:159], v[96:97], -v[4:5]
	v_add_f64 v[2:3], v[2:3], v[4:5]
	v_mul_f64 v[4:5], v[164:165], v[106:107]
	s_waitcnt lgkmcnt(1)
	v_mul_f64 v[192:193], v[182:183], v[122:123]
	v_fma_f64 v[4:5], v[162:163], v[108:109], -v[4:5]
	v_fmac_f64_e32 v[192:193], v[184:185], v[124:125]
	v_add_f64 v[2:3], v[2:3], v[4:5]
	v_mul_f64 v[4:5], v[168:169], v[102:103]
	v_add_f64 v[194:195], v[190:191], v[192:193]
	ds_read_b128 v[190:193], v1 offset:1808
	s_waitcnt vmcnt(26) lgkmcnt(1)
	v_mul_f64 v[196:197], v[186:187], v[134:135]
	v_fma_f64 v[4:5], v[166:167], v[104:105], -v[4:5]
	s_waitcnt vmcnt(24)
	v_fmac_f64_e32 v[196:197], v[188:189], v[136:137]
	v_add_f64 v[2:3], v[2:3], v[4:5]
	v_mul_f64 v[4:5], v[172:173], v[118:119]
	v_add_f64 v[198:199], v[194:195], v[196:197]
	ds_read_b128 v[194:197], v1 offset:1824
	v_fma_f64 v[4:5], v[170:171], v[120:121], -v[4:5]
	v_add_f64 v[2:3], v[2:3], v[4:5]
	v_mul_f64 v[4:5], v[176:177], v[114:115]
	v_fma_f64 v[4:5], v[174:175], v[116:117], -v[4:5]
	s_waitcnt lgkmcnt(1)
	v_mul_f64 v[200:201], v[190:191], v[130:131]
	v_add_f64 v[2:3], v[2:3], v[4:5]
	v_mul_f64 v[4:5], v[180:181], v[126:127]
	v_fmac_f64_e32 v[200:201], v[192:193], v[132:133]
	v_fma_f64 v[4:5], v[178:179], v[128:129], -v[4:5]
	v_add_f64 v[202:203], v[198:199], v[200:201]
	ds_read_b128 v[198:201], v1 offset:1840
	s_waitcnt vmcnt(18) lgkmcnt(1)
	v_mul_f64 v[204:205], v[194:195], v[218:219]
	v_add_f64 v[2:3], v[2:3], v[4:5]
	v_mul_f64 v[4:5], v[184:185], v[122:123]
	s_waitcnt vmcnt(16)
	v_fmac_f64_e32 v[204:205], v[196:197], v[220:221]
	v_fma_f64 v[4:5], v[182:183], v[124:125], -v[4:5]
	v_add_f64 v[206:207], v[202:203], v[204:205]
	ds_read_b128 v[202:205], v1 offset:1856
	v_add_f64 v[2:3], v[2:3], v[4:5]
	v_mul_f64 v[4:5], v[188:189], v[134:135]
	v_fma_f64 v[4:5], v[186:187], v[136:137], -v[4:5]
	v_add_f64 v[2:3], v[2:3], v[4:5]
	v_mul_f64 v[4:5], v[192:193], v[130:131]
	s_waitcnt lgkmcnt(1)
	v_mul_f64 v[208:209], v[198:199], v[138:139]
	v_fma_f64 v[4:5], v[190:191], v[132:133], -v[4:5]
	v_fmac_f64_e32 v[208:209], v[200:201], v[140:141]
	v_add_f64 v[2:3], v[2:3], v[4:5]
	v_mul_f64 v[4:5], v[196:197], v[218:219]
	v_add_f64 v[210:211], v[206:207], v[208:209]
	ds_read_b128 v[206:209], v1 offset:1872
	s_waitcnt vmcnt(10) lgkmcnt(1)
	v_mul_f64 v[212:213], v[202:203], v[226:227]
	v_fma_f64 v[4:5], v[194:195], v[220:221], -v[4:5]
	s_waitcnt vmcnt(8)
	v_fmac_f64_e32 v[212:213], v[204:205], v[228:229]
	v_add_f64 v[2:3], v[2:3], v[4:5]
	v_mul_f64 v[4:5], v[200:201], v[138:139]
	v_add_f64 v[238:239], v[210:211], v[212:213]
	ds_read_b128 v[210:213], v1 offset:1888
	ds_read_b128 v[214:217], v1 offset:1904
	v_fma_f64 v[4:5], v[198:199], v[140:141], -v[4:5]
	v_add_f64 v[2:3], v[2:3], v[4:5]
	v_mul_f64 v[4:5], v[204:205], v[226:227]
	v_fma_f64 v[4:5], v[202:203], v[228:229], -v[4:5]
	v_add_f64 v[2:3], v[2:3], v[4:5]
	s_waitcnt lgkmcnt(2)
	v_mul_f64 v[4:5], v[208:209], v[222:223]
	v_mul_f64 v[240:241], v[206:207], v[222:223]
	v_fma_f64 v[4:5], v[206:207], v[224:225], -v[4:5]
	v_fmac_f64_e32 v[240:241], v[208:209], v[224:225]
	v_add_f64 v[2:3], v[2:3], v[4:5]
	s_waitcnt vmcnt(2) lgkmcnt(1)
	v_mul_f64 v[4:5], v[212:213], v[234:235]
	v_add_f64 v[238:239], v[238:239], v[240:241]
	v_mul_f64 v[240:241], v[210:211], v[234:235]
	s_waitcnt vmcnt(0)
	v_fma_f64 v[4:5], v[210:211], v[236:237], -v[4:5]
	v_fmac_f64_e32 v[240:241], v[212:213], v[236:237]
	v_add_f64 v[2:3], v[2:3], v[4:5]
	s_waitcnt lgkmcnt(0)
	v_mul_f64 v[4:5], v[216:217], v[230:231]
	v_add_f64 v[238:239], v[238:239], v[240:241]
	v_mul_f64 v[240:241], v[214:215], v[230:231]
	v_fma_f64 v[4:5], v[214:215], v[232:233], -v[4:5]
	v_fmac_f64_e32 v[240:241], v[216:217], v[232:233]
	v_add_f64 v[2:3], v[2:3], v[4:5]
	v_add_f64 v[238:239], v[238:239], v[240:241]
	v_add_f64 v[2:3], v[62:63], -v[2:3]
	v_add_f64 v[4:5], v[60:61], -v[238:239]
	buffer_store_dword v3, off, s[0:3], 0 offset:500
	buffer_store_dword v2, off, s[0:3], 0 offset:496
	;; [unrolled: 1-line block ×4, first 2 shown]
	s_and_saveexec_b64 s[4:5], vcc
	s_cbranch_execz .LBB123_315
; %bb.314:
	v_accvgpr_read_b32 v0, a150
	buffer_load_dword v2, v0, s[0:3], 0 offen
	buffer_load_dword v3, v0, s[0:3], 0 offen offset:4
	buffer_load_dword v4, v0, s[0:3], 0 offen offset:8
	;; [unrolled: 1-line block ×3, first 2 shown]
	v_accvgpr_read_b32 v0, a180
	buffer_store_dword v1, off, s[0:3], 0 offset:480
	buffer_store_dword v1, off, s[0:3], 0 offset:484
	;; [unrolled: 1-line block ×4, first 2 shown]
	s_waitcnt vmcnt(4)
	ds_write_b128 v0, v[2:5]
.LBB123_315:
	s_or_b64 exec, exec, s[4:5]
	s_waitcnt lgkmcnt(0)
	; wave barrier
	s_waitcnt lgkmcnt(0)
	buffer_load_dword v48, off, s[0:3], 0 offset:496
	buffer_load_dword v49, off, s[0:3], 0 offset:500
	;; [unrolled: 1-line block ×40, first 2 shown]
	ds_read_b128 v[38:41], v1 offset:1440
	ds_read_b128 v[34:37], v1 offset:1456
	;; [unrolled: 1-line block ×10, first 2 shown]
	buffer_load_dword v83, off, s[0:3], 0 offset:668
	buffer_load_dword v82, off, s[0:3], 0 offset:664
	;; [unrolled: 1-line block ×8, first 2 shown]
	v_cmp_lt_u32_e32 vcc, 28, v254
	s_waitcnt vmcnt(44) lgkmcnt(9)
	v_mul_f64 v[90:91], v[38:39], v[50:51]
	v_fmac_f64_e32 v[90:91], v[40:41], v[48:49]
	v_add_f64 v[90:91], v[90:91], 0
	v_mul_f64 v[40:41], v[40:41], v[50:51]
	s_waitcnt vmcnt(40) lgkmcnt(8)
	v_mul_f64 v[92:93], v[34:35], v[44:45]
	v_fmac_f64_e32 v[92:93], v[36:37], v[42:43]
	s_waitcnt vmcnt(38) lgkmcnt(7)
	v_mul_f64 v[94:95], v[30:31], v[46:47]
	v_add_f64 v[90:91], v[90:91], v[92:93]
	s_waitcnt vmcnt(36) lgkmcnt(5)
	v_mul_f64 v[98:99], v[22:23], v[52:53]
	v_mul_f64 v[36:37], v[36:37], v[44:45]
	s_waitcnt vmcnt(34)
	v_fmac_f64_e32 v[98:99], v[24:25], v[54:55]
	v_fma_f64 v[34:35], v[34:35], v[42:43], -v[36:37]
	s_waitcnt vmcnt(32)
	v_mul_f64 v[96:97], v[26:27], v[56:57]
	v_mul_f64 v[24:25], v[24:25], v[52:53]
	s_waitcnt vmcnt(30) lgkmcnt(4)
	v_mul_f64 v[100:101], v[18:19], v[62:63]
	v_fma_f64 v[22:23], v[22:23], v[54:55], -v[24:25]
	s_waitcnt vmcnt(28) lgkmcnt(1)
	v_mul_f64 v[122:123], v[2:3], v[64:65]
	s_waitcnt vmcnt(25)
	v_mul_f64 v[104:105], v[6:7], v[68:69]
	s_waitcnt vmcnt(23)
	;; [unrolled: 2-line block ×3, first 2 shown]
	v_fmac_f64_e32 v[102:103], v[12:13], v[72:73]
	v_mul_f64 v[12:13], v[12:13], v[70:71]
	s_waitcnt vmcnt(19)
	v_fmac_f64_e32 v[94:95], v[32:33], v[80:81]
	v_add_f64 v[90:91], v[90:91], v[94:95]
	s_waitcnt vmcnt(17)
	v_fmac_f64_e32 v[96:97], v[28:29], v[78:79]
	v_add_f64 v[90:91], v[90:91], v[96:97]
	;; [unrolled: 3-line block ×3, first 2 shown]
	v_add_f64 v[90:91], v[90:91], v[100:101]
	s_waitcnt vmcnt(13)
	v_fmac_f64_e32 v[104:105], v[8:9], v[74:75]
	v_add_f64 v[90:91], v[90:91], v[102:103]
	v_add_f64 v[124:125], v[90:91], v[104:105]
	buffer_load_dword v91, off, s[0:3], 0 offset:700
	buffer_load_dword v90, off, s[0:3], 0 offset:696
	;; [unrolled: 1-line block ×72, first 2 shown]
	s_waitcnt vmcnt(62)
	v_fmac_f64_e32 v[122:123], v[4:5], v[66:67]
	v_add_f64 v[150:151], v[124:125], v[122:123]
	ds_read_b128 v[122:125], v1 offset:1600
	s_waitcnt lgkmcnt(1)
	v_mul_f64 v[152:153], v[14:15], v[86:87]
	v_fmac_f64_e32 v[152:153], v[16:17], v[88:89]
	buffer_load_dword v235, off, s[0:3], 0 offset:972
	buffer_load_dword v234, off, s[0:3], 0 offset:968
	;; [unrolled: 1-line block ×4, first 2 shown]
	v_add_f64 v[154:155], v[150:151], v[152:153]
	s_waitcnt lgkmcnt(0)
	v_mul_f64 v[156:157], v[122:123], v[82:83]
	ds_read_b128 v[150:153], v1 offset:1616
	v_fmac_f64_e32 v[156:157], v[124:125], v[84:85]
	v_add_f64 v[158:159], v[154:155], v[156:157]
	ds_read_b128 v[154:157], v1 offset:1632
	v_mul_f64 v[32:33], v[32:33], v[46:47]
	s_waitcnt lgkmcnt(1)
	v_mul_f64 v[160:161], v[150:151], v[94:95]
	v_fma_f64 v[30:31], v[30:31], v[80:81], -v[32:33]
	v_fmac_f64_e32 v[160:161], v[152:153], v[96:97]
	s_waitcnt lgkmcnt(0)
	v_mul_f64 v[164:165], v[154:155], v[90:91]
	v_add_f64 v[162:163], v[158:159], v[160:161]
	ds_read_b128 v[158:161], v1 offset:1648
	v_fmac_f64_e32 v[164:165], v[156:157], v[92:93]
	v_add_f64 v[166:167], v[162:163], v[164:165]
	ds_read_b128 v[162:165], v1 offset:1664
	v_mul_f64 v[28:29], v[28:29], v[56:57]
	s_waitcnt vmcnt(62) lgkmcnt(1)
	v_mul_f64 v[168:169], v[158:159], v[102:103]
	s_waitcnt vmcnt(60)
	v_fmac_f64_e32 v[168:169], v[160:161], v[104:105]
	v_add_f64 v[170:171], v[166:167], v[168:169]
	s_waitcnt lgkmcnt(0)
	v_mul_f64 v[172:173], v[162:163], v[98:99]
	ds_read_b128 v[166:169], v1 offset:1680
	v_fmac_f64_e32 v[172:173], v[164:165], v[100:101]
	v_add_f64 v[174:175], v[170:171], v[172:173]
	ds_read_b128 v[170:173], v1 offset:1696
	v_fma_f64 v[26:27], v[26:27], v[78:79], -v[28:29]
	s_waitcnt vmcnt(54) lgkmcnt(1)
	v_mul_f64 v[176:177], v[166:167], v[110:111]
	s_waitcnt vmcnt(52)
	v_fmac_f64_e32 v[176:177], v[168:169], v[112:113]
	v_add_f64 v[178:179], v[174:175], v[176:177]
	s_waitcnt lgkmcnt(0)
	v_mul_f64 v[180:181], v[170:171], v[106:107]
	ds_read_b128 v[174:177], v1 offset:1712
	v_fmac_f64_e32 v[180:181], v[172:173], v[108:109]
	v_add_f64 v[182:183], v[178:179], v[180:181]
	ds_read_b128 v[178:181], v1 offset:1728
	v_mul_f64 v[20:21], v[20:21], v[62:63]
	s_waitcnt vmcnt(46) lgkmcnt(1)
	v_mul_f64 v[184:185], v[174:175], v[118:119]
	s_waitcnt vmcnt(44)
	v_fmac_f64_e32 v[184:185], v[176:177], v[120:121]
	v_add_f64 v[186:187], v[182:183], v[184:185]
	s_waitcnt lgkmcnt(0)
	v_mul_f64 v[188:189], v[178:179], v[114:115]
	ds_read_b128 v[182:185], v1 offset:1744
	v_fmac_f64_e32 v[188:189], v[180:181], v[116:117]
	v_add_f64 v[190:191], v[186:187], v[188:189]
	ds_read_b128 v[186:189], v1 offset:1760
	v_fma_f64 v[18:19], v[18:19], v[76:77], -v[20:21]
	s_waitcnt vmcnt(38) lgkmcnt(1)
	v_mul_f64 v[192:193], v[182:183], v[130:131]
	s_waitcnt vmcnt(36)
	v_fmac_f64_e32 v[192:193], v[184:185], v[132:133]
	v_add_f64 v[194:195], v[190:191], v[192:193]
	s_waitcnt lgkmcnt(0)
	v_mul_f64 v[196:197], v[186:187], v[126:127]
	ds_read_b128 v[190:193], v1 offset:1776
	v_fmac_f64_e32 v[196:197], v[188:189], v[128:129]
	v_add_f64 v[198:199], v[194:195], v[196:197]
	ds_read_b128 v[194:197], v1 offset:1792
	v_fma_f64 v[10:11], v[10:11], v[72:73], -v[12:13]
	s_waitcnt vmcnt(30) lgkmcnt(1)
	v_mul_f64 v[200:201], v[190:191], v[138:139]
	s_waitcnt vmcnt(28)
	v_fmac_f64_e32 v[200:201], v[192:193], v[140:141]
	v_add_f64 v[202:203], v[198:199], v[200:201]
	s_waitcnt lgkmcnt(0)
	v_mul_f64 v[204:205], v[194:195], v[134:135]
	ds_read_b128 v[198:201], v1 offset:1808
	v_fmac_f64_e32 v[204:205], v[196:197], v[136:137]
	v_add_f64 v[206:207], v[202:203], v[204:205]
	ds_read_b128 v[202:205], v1 offset:1824
	v_mul_f64 v[8:9], v[8:9], v[68:69]
	s_waitcnt vmcnt(22) lgkmcnt(1)
	v_mul_f64 v[208:209], v[198:199], v[146:147]
	s_waitcnt vmcnt(20)
	v_fmac_f64_e32 v[208:209], v[200:201], v[148:149]
	v_add_f64 v[210:211], v[206:207], v[208:209]
	s_waitcnt lgkmcnt(0)
	v_mul_f64 v[212:213], v[202:203], v[142:143]
	ds_read_b128 v[206:209], v1 offset:1840
	v_fmac_f64_e32 v[212:213], v[204:205], v[144:145]
	v_add_f64 v[214:215], v[210:211], v[212:213]
	ds_read_b128 v[210:213], v1 offset:1856
	v_fma_f64 v[6:7], v[6:7], v[74:75], -v[8:9]
	s_waitcnt vmcnt(14) lgkmcnt(1)
	v_mul_f64 v[216:217], v[206:207], v[222:223]
	s_waitcnt vmcnt(12)
	v_fmac_f64_e32 v[216:217], v[208:209], v[224:225]
	v_add_f64 v[238:239], v[214:215], v[216:217]
	s_waitcnt lgkmcnt(0)
	v_mul_f64 v[240:241], v[210:211], v[218:219]
	v_fmac_f64_e32 v[240:241], v[212:213], v[220:221]
	v_add_f64 v[238:239], v[238:239], v[240:241]
	v_fma_f64 v[240:241], v[38:39], v[48:49], -v[40:41]
	v_add_f64 v[240:241], v[240:241], 0
	v_add_f64 v[34:35], v[240:241], v[34:35]
	;; [unrolled: 1-line block ×7, first 2 shown]
	v_mul_f64 v[4:5], v[4:5], v[64:65]
	v_add_f64 v[6:7], v[10:11], v[6:7]
	v_fma_f64 v[2:3], v[2:3], v[66:67], -v[4:5]
	v_mul_f64 v[4:5], v[16:17], v[86:87]
	v_add_f64 v[2:3], v[6:7], v[2:3]
	v_fma_f64 v[4:5], v[14:15], v[88:89], -v[4:5]
	v_add_f64 v[2:3], v[2:3], v[4:5]
	v_mul_f64 v[4:5], v[124:125], v[82:83]
	v_fma_f64 v[4:5], v[122:123], v[84:85], -v[4:5]
	v_add_f64 v[2:3], v[2:3], v[4:5]
	v_mul_f64 v[4:5], v[152:153], v[94:95]
	;; [unrolled: 3-line block ×15, first 2 shown]
	ds_read_b128 v[214:217], v1 offset:1872
	ds_read_b128 v[38:41], v1 offset:1888
	v_fma_f64 v[4:5], v[202:203], v[144:145], -v[4:5]
	v_add_f64 v[2:3], v[2:3], v[4:5]
	v_mul_f64 v[4:5], v[208:209], v[222:223]
	v_fma_f64 v[4:5], v[206:207], v[224:225], -v[4:5]
	v_add_f64 v[2:3], v[2:3], v[4:5]
	v_mul_f64 v[4:5], v[212:213], v[218:219]
	ds_read_b128 v[48:51], v1 offset:1904
	v_fma_f64 v[4:5], v[210:211], v[220:221], -v[4:5]
	v_add_f64 v[2:3], v[2:3], v[4:5]
	s_waitcnt vmcnt(6) lgkmcnt(2)
	v_mul_f64 v[4:5], v[216:217], v[230:231]
	v_mul_f64 v[242:243], v[214:215], v[230:231]
	s_waitcnt vmcnt(4)
	v_fma_f64 v[4:5], v[214:215], v[232:233], -v[4:5]
	v_fmac_f64_e32 v[242:243], v[216:217], v[232:233]
	v_add_f64 v[2:3], v[2:3], v[4:5]
	s_waitcnt lgkmcnt(1)
	v_mul_f64 v[4:5], v[40:41], v[226:227]
	v_add_f64 v[238:239], v[238:239], v[242:243]
	v_mul_f64 v[242:243], v[38:39], v[226:227]
	v_fma_f64 v[4:5], v[38:39], v[228:229], -v[4:5]
	v_fmac_f64_e32 v[242:243], v[40:41], v[228:229]
	v_add_f64 v[2:3], v[2:3], v[4:5]
	s_waitcnt vmcnt(2) lgkmcnt(0)
	v_mul_f64 v[4:5], v[50:51], v[234:235]
	v_add_f64 v[238:239], v[238:239], v[242:243]
	v_mul_f64 v[242:243], v[48:49], v[234:235]
	s_waitcnt vmcnt(0)
	v_fma_f64 v[4:5], v[48:49], v[236:237], -v[4:5]
	v_fmac_f64_e32 v[242:243], v[50:51], v[236:237]
	v_add_f64 v[2:3], v[2:3], v[4:5]
	v_add_f64 v[238:239], v[238:239], v[242:243]
	v_add_f64 v[2:3], v[60:61], -v[2:3]
	v_add_f64 v[4:5], v[58:59], -v[238:239]
	buffer_store_dword v3, off, s[0:3], 0 offset:484
	buffer_store_dword v2, off, s[0:3], 0 offset:480
	;; [unrolled: 1-line block ×4, first 2 shown]
	s_and_saveexec_b64 s[4:5], vcc
	s_cbranch_execz .LBB123_317
; %bb.316:
	v_accvgpr_read_b32 v0, a151
	buffer_load_dword v2, v0, s[0:3], 0 offen
	buffer_load_dword v3, v0, s[0:3], 0 offen offset:4
	buffer_load_dword v4, v0, s[0:3], 0 offen offset:8
	;; [unrolled: 1-line block ×3, first 2 shown]
	v_mov_b32_e32 v0, 0
	v_accvgpr_read_b32 v1, a180
	buffer_store_dword v0, off, s[0:3], 0 offset:464
	buffer_store_dword v0, off, s[0:3], 0 offset:468
	;; [unrolled: 1-line block ×4, first 2 shown]
	s_waitcnt vmcnt(4)
	ds_write_b128 v1, v[2:5]
.LBB123_317:
	s_or_b64 exec, exec, s[4:5]
	s_waitcnt lgkmcnt(0)
	; wave barrier
	s_waitcnt lgkmcnt(0)
	buffer_load_dword v106, off, s[0:3], 0 offset:480
	buffer_load_dword v107, off, s[0:3], 0 offset:484
	;; [unrolled: 1-line block ×49, first 2 shown]
	v_mov_b32_e32 v1, 0
	ds_read_b128 v[110:113], v1 offset:1424
	ds_read_b128 v[228:231], v1 offset:1440
	;; [unrolled: 1-line block ×10, first 2 shown]
	buffer_load_dword v158, off, s[0:3], 0 offset:672
	buffer_load_dword v173, off, s[0:3], 0 offset:668
	;; [unrolled: 1-line block ×69, first 2 shown]
	v_accvgpr_write_b32 a179, v254
	v_cmp_lt_u32_e32 vcc, 27, v254
	s_waitcnt vmcnt(62) lgkmcnt(9)
	v_mul_f64 v[34:35], v[110:111], v[108:109]
	v_fmac_f64_e32 v[34:35], v[112:113], v[106:107]
	v_add_f64 v[34:35], v[34:35], 0
	v_mul_f64 v[108:109], v[112:113], v[108:109]
	s_waitcnt lgkmcnt(8)
	v_mul_f64 v[36:37], v[228:229], v[116:117]
	v_fmac_f64_e32 v[36:37], v[230:231], v[114:115]
	s_waitcnt lgkmcnt(7)
	v_mul_f64 v[38:39], v[30:31], v[118:119]
	v_add_f64 v[34:35], v[34:35], v[36:37]
	s_waitcnt lgkmcnt(5)
	v_mul_f64 v[42:43], v[22:23], v[120:121]
	v_mul_f64 v[116:117], v[230:231], v[116:117]
	v_fmac_f64_e32 v[42:43], v[24:25], v[122:123]
	v_fma_f64 v[248:249], v[110:111], v[106:107], -v[108:109]
	v_mul_f64 v[40:41], v[26:27], v[124:125]
	v_fma_f64 v[250:251], v[228:229], v[114:115], -v[116:117]
	s_waitcnt lgkmcnt(3)
	v_mul_f64 v[46:47], v[14:15], v[126:127]
	v_mul_f64 v[24:25], v[24:25], v[120:121]
	v_fmac_f64_e32 v[46:47], v[16:17], v[128:129]
	v_fma_f64 v[22:23], v[22:23], v[122:123], -v[24:25]
	v_mul_f64 v[44:45], v[18:19], v[130:131]
	v_mul_f64 v[16:17], v[16:17], v[126:127]
	s_waitcnt lgkmcnt(1)
	v_mul_f64 v[50:51], v[6:7], v[132:133]
	v_fma_f64 v[14:15], v[14:15], v[128:129], -v[16:17]
	v_fmac_f64_e32 v[50:51], v[8:9], v[134:135]
	v_mul_f64 v[8:9], v[8:9], v[132:133]
	v_mul_f64 v[48:49], v[10:11], v[140:141]
	v_fma_f64 v[6:7], v[6:7], v[134:135], -v[8:9]
	s_waitcnt lgkmcnt(0)
	v_mul_f64 v[52:53], v[2:3], v[136:137]
	v_fmac_f64_e32 v[38:39], v[32:33], v[152:153]
	v_add_f64 v[34:35], v[34:35], v[38:39]
	v_fmac_f64_e32 v[40:41], v[28:29], v[150:151]
	v_add_f64 v[34:35], v[34:35], v[40:41]
	;; [unrolled: 2-line block ×3, first 2 shown]
	v_add_f64 v[34:35], v[34:35], v[44:45]
	v_fmac_f64_e32 v[48:49], v[12:13], v[146:147]
	v_add_f64 v[34:35], v[34:35], v[46:47]
	v_add_f64 v[34:35], v[34:35], v[48:49]
	v_fmac_f64_e32 v[52:53], v[4:5], v[144:145]
	v_add_f64 v[34:35], v[34:35], v[50:51]
	v_add_f64 v[42:43], v[34:35], v[52:53]
	ds_read_b128 v[38:41], v1 offset:1584
	ds_read_b128 v[34:37], v1 offset:1600
	buffer_load_dword v221, off, s[0:3], 0 offset:972
	buffer_load_dword v220, off, s[0:3], 0 offset:968
	;; [unrolled: 1-line block ×8, first 2 shown]
	ds_read_b128 v[110:113], v1 offset:1872
	ds_read_b128 v[106:109], v1 offset:1888
	s_waitcnt lgkmcnt(3)
	v_mul_f64 v[44:45], v[38:39], v[142:143]
	v_fmac_f64_e32 v[44:45], v[40:41], v[154:155]
	v_add_f64 v[46:47], v[42:43], v[44:45]
	ds_read_b128 v[42:45], v1 offset:1616
	s_waitcnt lgkmcnt(3)
	v_mul_f64 v[48:49], v[34:35], v[172:173]
	v_fmac_f64_e32 v[48:49], v[36:37], v[176:177]
	v_add_f64 v[50:51], v[46:47], v[48:49]
	;; [unrolled: 5-line block ×3, first 2 shown]
	ds_read_b128 v[50:53], v1 offset:1648
	s_waitcnt vmcnt(62) lgkmcnt(1)
	v_mul_f64 v[56:57], v[46:47], v[180:181]
	v_fmac_f64_e32 v[56:57], v[48:49], v[184:185]
	v_add_f64 v[58:59], v[54:55], v[56:57]
	ds_read_b128 v[54:57], v1 offset:1664
	s_waitcnt lgkmcnt(1)
	v_mul_f64 v[60:61], v[50:51], v[160:161]
	v_fmac_f64_e32 v[60:61], v[52:53], v[162:163]
	v_add_f64 v[62:63], v[58:59], v[60:61]
	ds_read_b128 v[58:61], v1 offset:1680
	s_waitcnt vmcnt(58) lgkmcnt(1)
	v_mul_f64 v[64:65], v[54:55], v[188:189]
	s_waitcnt vmcnt(56)
	v_fmac_f64_e32 v[64:65], v[56:57], v[192:193]
	v_add_f64 v[66:67], v[62:63], v[64:65]
	ds_read_b128 v[62:65], v1 offset:1696
	s_waitcnt lgkmcnt(1)
	v_mul_f64 v[68:69], v[58:59], v[164:165]
	v_fmac_f64_e32 v[68:69], v[60:61], v[166:167]
	v_add_f64 v[70:71], v[66:67], v[68:69]
	ds_read_b128 v[66:69], v1 offset:1712
	s_waitcnt vmcnt(50) lgkmcnt(1)
	v_mul_f64 v[72:73], v[62:63], v[196:197]
	s_waitcnt vmcnt(48)
	;; [unrolled: 11-line block ×5, first 2 shown]
	v_fmac_f64_e32 v[96:97], v[88:89], v[218:219]
	v_add_f64 v[98:99], v[94:95], v[96:97]
	ds_read_b128 v[94:97], v1 offset:1824
	s_waitcnt lgkmcnt(1)
	v_mul_f64 v[100:101], v[90:91], v[190:191]
	v_fmac_f64_e32 v[100:101], v[92:93], v[194:195]
	v_add_f64 v[232:233], v[98:99], v[100:101]
	ds_read_b128 v[98:101], v1 offset:1840
	ds_read_b128 v[102:105], v1 offset:1856
	;; [unrolled: 1-line block ×3, first 2 shown]
	buffer_load_dword v252, off, s[0:3], 0 offset:472
	buffer_load_dword v253, off, s[0:3], 0 offset:476
	s_waitcnt vmcnt(20) lgkmcnt(3)
	v_mul_f64 v[234:235], v[94:95], v[222:223]
	s_waitcnt vmcnt(18)
	v_fmac_f64_e32 v[234:235], v[96:97], v[226:227]
	v_add_f64 v[232:233], v[232:233], v[234:235]
	s_waitcnt lgkmcnt(2)
	v_mul_f64 v[234:235], v[98:99], v[198:199]
	v_fmac_f64_e32 v[234:235], v[100:101], v[202:203]
	v_add_f64 v[232:233], v[232:233], v[234:235]
	s_waitcnt vmcnt(12) lgkmcnt(1)
	v_mul_f64 v[234:235], v[102:103], v[238:239]
	s_waitcnt vmcnt(10)
	v_fmac_f64_e32 v[234:235], v[104:105], v[240:241]
	v_mul_f64 v[228:229], v[110:111], v[206:207]
	v_add_f64 v[232:233], v[232:233], v[234:235]
	v_fmac_f64_e32 v[228:229], v[112:113], v[210:211]
	v_add_f64 v[228:229], v[232:233], v[228:229]
	s_waitcnt vmcnt(4)
	v_mul_f64 v[230:231], v[106:107], v[242:243]
	v_mul_f64 v[32:33], v[32:33], v[118:119]
	s_waitcnt vmcnt(2)
	v_fmac_f64_e32 v[230:231], v[108:109], v[244:245]
	v_add_f64 v[228:229], v[228:229], v[230:231]
	s_waitcnt lgkmcnt(0)
	v_mul_f64 v[230:231], v[114:115], v[220:221]
	v_fmac_f64_e32 v[230:231], v[116:117], v[224:225]
	v_add_f64 v[246:247], v[228:229], v[230:231]
	v_add_f64 v[228:229], v[248:249], 0
	;; [unrolled: 1-line block ×3, first 2 shown]
	v_fma_f64 v[30:31], v[30:31], v[152:153], -v[32:33]
	v_mul_f64 v[28:29], v[28:29], v[124:125]
	v_add_f64 v[30:31], v[228:229], v[30:31]
	v_fma_f64 v[26:27], v[26:27], v[150:151], -v[28:29]
	v_add_f64 v[26:27], v[30:31], v[26:27]
	v_mul_f64 v[20:21], v[20:21], v[130:131]
	v_add_f64 v[22:23], v[26:27], v[22:23]
	v_fma_f64 v[18:19], v[18:19], v[148:149], -v[20:21]
	v_add_f64 v[18:19], v[22:23], v[18:19]
	;; [unrolled: 4-line block ×3, first 2 shown]
	v_mul_f64 v[4:5], v[4:5], v[136:137]
	v_add_f64 v[6:7], v[10:11], v[6:7]
	v_fma_f64 v[2:3], v[2:3], v[144:145], -v[4:5]
	v_mul_f64 v[4:5], v[40:41], v[142:143]
	v_add_f64 v[2:3], v[6:7], v[2:3]
	v_fma_f64 v[4:5], v[38:39], v[154:155], -v[4:5]
	v_add_f64 v[2:3], v[2:3], v[4:5]
	v_mul_f64 v[4:5], v[36:37], v[172:173]
	v_fma_f64 v[4:5], v[34:35], v[176:177], -v[4:5]
	v_add_f64 v[2:3], v[2:3], v[4:5]
	v_mul_f64 v[4:5], v[44:45], v[156:157]
	;; [unrolled: 3-line block ×20, first 2 shown]
	v_fma_f64 v[4:5], v[114:115], v[224:225], -v[4:5]
	v_add_f64 v[2:3], v[2:3], v[4:5]
	v_add_f64 v[2:3], v[138:139], -v[2:3]
	s_waitcnt vmcnt(0)
	v_add_f64 v[4:5], v[252:253], -v[246:247]
	buffer_store_dword v3, off, s[0:3], 0 offset:468
	buffer_store_dword v2, off, s[0:3], 0 offset:464
	buffer_store_dword v5, off, s[0:3], 0 offset:476
	buffer_store_dword v4, off, s[0:3], 0 offset:472
	s_and_saveexec_b64 s[4:5], vcc
	s_cbranch_execz .LBB123_319
; %bb.318:
	v_accvgpr_read_b32 v0, a152
	buffer_load_dword v2, v0, s[0:3], 0 offen
	buffer_load_dword v3, v0, s[0:3], 0 offen offset:4
	buffer_load_dword v4, v0, s[0:3], 0 offen offset:8
	;; [unrolled: 1-line block ×3, first 2 shown]
	v_accvgpr_read_b32 v0, a180
	buffer_store_dword v1, off, s[0:3], 0 offset:448
	buffer_store_dword v1, off, s[0:3], 0 offset:452
	;; [unrolled: 1-line block ×4, first 2 shown]
	s_waitcnt vmcnt(4)
	ds_write_b128 v0, v[2:5]
.LBB123_319:
	s_or_b64 exec, exec, s[4:5]
	s_waitcnt lgkmcnt(0)
	; wave barrier
	s_waitcnt lgkmcnt(0)
	buffer_load_dword v112, off, s[0:3], 0 offset:464
	buffer_load_dword v113, off, s[0:3], 0 offset:468
	;; [unrolled: 1-line block ×36, first 2 shown]
	ds_read_b128 v[102:105], v1 offset:1408
	ds_read_b128 v[106:109], v1 offset:1424
	;; [unrolled: 1-line block ×9, first 2 shown]
	buffer_load_dword v143, off, s[0:3], 0 offset:636
	buffer_load_dword v142, off, s[0:3], 0 offset:632
	;; [unrolled: 1-line block ×78, first 2 shown]
	s_waitcnt vmcnt(62) lgkmcnt(8)
	v_mul_f64 v[26:27], v[102:103], v[246:247]
	v_fmac_f64_e32 v[26:27], v[104:105], v[112:113]
	v_add_f64 v[26:27], v[26:27], 0
	v_mul_f64 v[104:105], v[104:105], v[246:247]
	s_waitcnt lgkmcnt(7)
	v_mul_f64 v[28:29], v[106:107], v[248:249]
	v_fmac_f64_e32 v[28:29], v[108:109], v[110:111]
	s_waitcnt lgkmcnt(6)
	v_mul_f64 v[30:31], v[114:115], v[244:245]
	v_add_f64 v[26:27], v[26:27], v[28:29]
	s_waitcnt lgkmcnt(4)
	v_mul_f64 v[34:35], v[18:19], v[118:119]
	v_fma_f64 v[246:247], v[102:103], v[112:113], -v[104:105]
	v_fmac_f64_e32 v[34:35], v[20:21], v[120:121]
	v_mul_f64 v[108:109], v[108:109], v[248:249]
	v_mul_f64 v[32:33], v[22:23], v[122:123]
	v_fma_f64 v[248:249], v[106:107], v[110:111], -v[108:109]
	s_waitcnt lgkmcnt(2)
	v_mul_f64 v[38:39], v[10:11], v[124:125]
	v_mul_f64 v[20:21], v[20:21], v[118:119]
	v_fmac_f64_e32 v[38:39], v[12:13], v[126:127]
	v_fma_f64 v[18:19], v[18:19], v[120:121], -v[20:21]
	v_mul_f64 v[36:37], v[14:15], v[130:131]
	v_mul_f64 v[12:13], v[12:13], v[124:125]
	s_waitcnt lgkmcnt(1)
	v_mul_f64 v[40:41], v[6:7], v[128:129]
	v_fma_f64 v[10:11], v[10:11], v[126:127], -v[12:13]
	v_fmac_f64_e32 v[30:31], v[116:117], v[250:251]
	v_add_f64 v[26:27], v[26:27], v[30:31]
	v_fmac_f64_e32 v[32:33], v[24:25], v[138:139]
	v_add_f64 v[26:27], v[26:27], v[32:33]
	;; [unrolled: 2-line block ×3, first 2 shown]
	v_add_f64 v[26:27], v[26:27], v[36:37]
	v_fmac_f64_e32 v[40:41], v[8:9], v[134:135]
	v_add_f64 v[30:31], v[26:27], v[38:39]
	v_add_f64 v[30:31], v[30:31], v[40:41]
	s_waitcnt lgkmcnt(0)
	v_mul_f64 v[32:33], v[2:3], v[132:133]
	v_fmac_f64_e32 v[32:33], v[4:5], v[140:141]
	ds_read_b128 v[26:29], v1 offset:1552
	v_add_f64 v[34:35], v[30:31], v[32:33]
	ds_read_b128 v[30:33], v1 offset:1568
	buffer_load_dword v221, off, s[0:3], 0 offset:900
	buffer_load_dword v220, off, s[0:3], 0 offset:896
	v_mul_f64 v[116:117], v[116:117], v[244:245]
	s_waitcnt lgkmcnt(1)
	v_mul_f64 v[36:37], v[26:27], v[146:147]
	v_fmac_f64_e32 v[36:37], v[28:29], v[148:149]
	v_add_f64 v[38:39], v[34:35], v[36:37]
	ds_read_b128 v[34:37], v1 offset:1584
	s_waitcnt lgkmcnt(1)
	v_mul_f64 v[40:41], v[30:31], v[142:143]
	v_fmac_f64_e32 v[40:41], v[32:33], v[144:145]
	v_add_f64 v[42:43], v[38:39], v[40:41]
	ds_read_b128 v[38:41], v1 offset:1600
	;; [unrolled: 5-line block ×4, first 2 shown]
	buffer_load_dword v223, off, s[0:3], 0 offset:956
	buffer_load_dword v225, off, s[0:3], 0 offset:940
	;; [unrolled: 1-line block ×12, first 2 shown]
	s_waitcnt vmcnt(62) lgkmcnt(1)
	v_mul_f64 v[52:53], v[42:43], v[174:175]
	v_fmac_f64_e32 v[52:53], v[44:45], v[178:179]
	v_add_f64 v[54:55], v[50:51], v[52:53]
	ds_read_b128 v[50:53], v1 offset:1648
	s_waitcnt lgkmcnt(1)
	v_mul_f64 v[56:57], v[46:47], v[154:155]
	v_fmac_f64_e32 v[56:57], v[48:49], v[156:157]
	v_add_f64 v[58:59], v[54:55], v[56:57]
	ds_read_b128 v[54:57], v1 offset:1664
	s_waitcnt lgkmcnt(1)
	v_mul_f64 v[60:61], v[50:51], v[182:183]
	s_waitcnt vmcnt(60)
	v_fmac_f64_e32 v[60:61], v[52:53], v[186:187]
	v_add_f64 v[62:63], v[58:59], v[60:61]
	ds_read_b128 v[58:61], v1 offset:1680
	s_waitcnt lgkmcnt(1)
	v_mul_f64 v[64:65], v[54:55], v[162:163]
	v_fmac_f64_e32 v[64:65], v[56:57], v[164:165]
	v_add_f64 v[66:67], v[62:63], v[64:65]
	ds_read_b128 v[62:65], v1 offset:1696
	s_waitcnt vmcnt(54) lgkmcnt(1)
	v_mul_f64 v[68:69], v[58:59], v[190:191]
	s_waitcnt vmcnt(52)
	v_fmac_f64_e32 v[68:69], v[60:61], v[194:195]
	v_add_f64 v[70:71], v[66:67], v[68:69]
	ds_read_b128 v[66:69], v1 offset:1712
	s_waitcnt lgkmcnt(1)
	v_mul_f64 v[72:73], v[62:63], v[166:167]
	v_fmac_f64_e32 v[72:73], v[64:65], v[168:169]
	v_add_f64 v[74:75], v[70:71], v[72:73]
	ds_read_b128 v[70:73], v1 offset:1728
	s_waitcnt vmcnt(46) lgkmcnt(1)
	;; [unrolled: 11-line block ×4, first 2 shown]
	v_mul_f64 v[92:93], v[82:83], v[210:211]
	s_waitcnt vmcnt(28)
	v_fmac_f64_e32 v[92:93], v[84:85], v[212:213]
	v_add_f64 v[98:99], v[90:91], v[92:93]
	ds_read_b128 v[90:93], v1 offset:1808
	ds_read_b128 v[94:97], v1 offset:1824
	s_waitcnt lgkmcnt(2)
	v_mul_f64 v[100:101], v[86:87], v[184:185]
	v_fmac_f64_e32 v[100:101], v[88:89], v[188:189]
	v_add_f64 v[98:99], v[98:99], v[100:101]
	s_waitcnt vmcnt(22) lgkmcnt(1)
	v_mul_f64 v[100:101], v[90:91], v[214:215]
	s_waitcnt vmcnt(20)
	v_fmac_f64_e32 v[100:101], v[92:93], v[216:217]
	v_add_f64 v[98:99], v[98:99], v[100:101]
	s_waitcnt lgkmcnt(0)
	v_mul_f64 v[100:101], v[94:95], v[192:193]
	v_fmac_f64_e32 v[100:101], v[96:97], v[196:197]
	v_add_f64 v[228:229], v[98:99], v[100:101]
	ds_read_b128 v[98:101], v1 offset:1840
	ds_read_b128 v[102:105], v1 offset:1856
	;; [unrolled: 1-line block ×3, first 2 shown]
	v_fma_f64 v[250:251], v[114:115], v[250:251], -v[116:117]
	ds_read_b128 v[114:117], v1 offset:1904
	s_waitcnt vmcnt(14) lgkmcnt(3)
	v_mul_f64 v[112:113], v[98:99], v[218:219]
	s_waitcnt lgkmcnt(2)
	v_mul_f64 v[110:111], v[102:103], v[200:201]
	s_waitcnt vmcnt(12)
	v_fmac_f64_e32 v[112:113], v[100:101], v[220:221]
	v_add_f64 v[112:113], v[228:229], v[112:113]
	v_fmac_f64_e32 v[110:111], v[104:105], v[204:205]
	v_add_f64 v[228:229], v[112:113], v[110:111]
	ds_read_b128 v[110:113], v1 offset:1888
	buffer_load_dword v254, off, s[0:3], 0 offset:448
	buffer_load_dword v255, off, s[0:3], 0 offset:452
	;; [unrolled: 1-line block ×4, first 2 shown]
	v_mul_f64 v[24:25], v[24:25], v[122:123]
	v_fma_f64 v[22:23], v[22:23], v[138:139], -v[24:25]
	v_mul_f64 v[16:17], v[16:17], v[130:131]
	s_waitcnt vmcnt(13) lgkmcnt(2)
	v_mul_f64 v[230:231], v[106:107], v[224:225]
	v_fma_f64 v[14:15], v[14:15], v[136:137], -v[16:17]
	s_waitcnt vmcnt(11)
	v_fmac_f64_e32 v[230:231], v[108:109], v[240:241]
	v_add_f64 v[228:229], v[228:229], v[230:231]
	s_waitcnt vmcnt(10) lgkmcnt(0)
	v_mul_f64 v[230:231], v[110:111], v[222:223]
	s_waitcnt vmcnt(8)
	v_fmac_f64_e32 v[230:231], v[112:113], v[238:239]
	v_add_f64 v[228:229], v[228:229], v[230:231]
	s_waitcnt vmcnt(6)
	v_mul_f64 v[230:231], v[114:115], v[226:227]
	v_mul_f64 v[8:9], v[8:9], v[128:129]
	s_waitcnt vmcnt(4)
	v_fmac_f64_e32 v[230:231], v[116:117], v[242:243]
	v_add_f64 v[244:245], v[228:229], v[230:231]
	v_add_f64 v[228:229], v[246:247], 0
	;; [unrolled: 1-line block ×8, first 2 shown]
	v_fma_f64 v[6:7], v[6:7], v[134:135], -v[8:9]
	v_mul_f64 v[4:5], v[4:5], v[132:133]
	v_add_f64 v[6:7], v[10:11], v[6:7]
	v_fma_f64 v[2:3], v[2:3], v[140:141], -v[4:5]
	v_mul_f64 v[4:5], v[28:29], v[146:147]
	v_add_f64 v[2:3], v[6:7], v[2:3]
	v_fma_f64 v[4:5], v[26:27], v[148:149], -v[4:5]
	v_add_f64 v[2:3], v[2:3], v[4:5]
	v_mul_f64 v[4:5], v[32:33], v[142:143]
	v_fma_f64 v[4:5], v[30:31], v[144:145], -v[4:5]
	v_add_f64 v[2:3], v[2:3], v[4:5]
	v_mul_f64 v[4:5], v[36:37], v[158:159]
	;; [unrolled: 3-line block ×22, first 2 shown]
	v_fma_f64 v[4:5], v[114:115], v[242:243], -v[4:5]
	v_add_f64 v[2:3], v[2:3], v[4:5]
	s_waitcnt vmcnt(2)
	v_add_f64 v[2:3], v[254:255], -v[2:3]
	v_accvgpr_read_b32 v254, a179
	v_cmp_lt_u32_e32 vcc, 26, v254
	s_waitcnt vmcnt(0)
	v_add_f64 v[4:5], v[252:253], -v[244:245]
	buffer_store_dword v3, off, s[0:3], 0 offset:452
	buffer_store_dword v2, off, s[0:3], 0 offset:448
	;; [unrolled: 1-line block ×4, first 2 shown]
	s_and_saveexec_b64 s[4:5], vcc
	s_cbranch_execz .LBB123_321
; %bb.320:
	v_accvgpr_read_b32 v0, a153
	buffer_load_dword v2, v0, s[0:3], 0 offen
	buffer_load_dword v3, v0, s[0:3], 0 offen offset:4
	buffer_load_dword v4, v0, s[0:3], 0 offen offset:8
	buffer_load_dword v5, v0, s[0:3], 0 offen offset:12
	v_mov_b32_e32 v0, 0
	v_accvgpr_read_b32 v1, a180
	buffer_store_dword v0, off, s[0:3], 0 offset:432
	buffer_store_dword v0, off, s[0:3], 0 offset:436
	;; [unrolled: 1-line block ×4, first 2 shown]
	s_waitcnt vmcnt(4)
	ds_write_b128 v1, v[2:5]
.LBB123_321:
	s_or_b64 exec, exec, s[4:5]
	s_waitcnt lgkmcnt(0)
	; wave barrier
	s_waitcnt lgkmcnt(0)
	buffer_load_dword v94, off, s[0:3], 0 offset:448
	buffer_load_dword v95, off, s[0:3], 0 offset:452
	;; [unrolled: 1-line block ×52, first 2 shown]
	v_mov_b32_e32 v1, 0
	ds_read_b128 v[102:105], v1 offset:1392
	ds_read_b128 v[114:117], v1 offset:1408
	ds_read_b128 v[228:231], v1 offset:1424
	ds_read_b128 v[244:247], v1 offset:1440
	ds_read_b128 v[22:25], v1 offset:1456
	ds_read_b128 v[18:21], v1 offset:1472
	ds_read_b128 v[14:17], v1 offset:1488
	ds_read_b128 v[10:13], v1 offset:1504
	ds_read_b128 v[6:9], v1 offset:1520
	ds_read_b128 v[2:5], v1 offset:1536
	v_cmp_lt_u32_e32 vcc, 25, v254
	s_waitcnt vmcnt(48) lgkmcnt(9)
	v_mul_f64 v[26:27], v[102:103], v[96:97]
	v_fmac_f64_e32 v[26:27], v[104:105], v[94:95]
	v_add_f64 v[26:27], v[26:27], 0
	v_mul_f64 v[96:97], v[104:105], v[96:97]
	s_waitcnt vmcnt(44) lgkmcnt(8)
	v_mul_f64 v[28:29], v[114:115], v[100:101]
	v_fmac_f64_e32 v[28:29], v[116:117], v[98:99]
	s_waitcnt vmcnt(42) lgkmcnt(7)
	v_mul_f64 v[30:31], v[228:229], v[106:107]
	v_add_f64 v[26:27], v[26:27], v[28:29]
	s_waitcnt vmcnt(40) lgkmcnt(5)
	v_mul_f64 v[34:35], v[22:23], v[120:121]
	v_fma_f64 v[234:235], v[102:103], v[94:95], -v[96:97]
	s_waitcnt vmcnt(38)
	v_fmac_f64_e32 v[34:35], v[24:25], v[124:125]
	v_mul_f64 v[100:101], v[116:117], v[100:101]
	s_waitcnt vmcnt(36)
	v_mul_f64 v[32:33], v[244:245], v[110:111]
	v_fma_f64 v[236:237], v[114:115], v[98:99], -v[100:101]
	s_waitcnt vmcnt(34) lgkmcnt(3)
	v_mul_f64 v[38:39], v[14:15], v[118:119]
	v_mul_f64 v[106:107], v[230:231], v[106:107]
	s_waitcnt vmcnt(32)
	v_fmac_f64_e32 v[38:39], v[16:17], v[122:123]
	v_mul_f64 v[110:111], v[246:247], v[110:111]
	s_waitcnt vmcnt(30)
	v_mul_f64 v[36:37], v[18:19], v[130:131]
	v_mul_f64 v[24:25], v[24:25], v[120:121]
	v_fma_f64 v[22:23], v[22:23], v[124:125], -v[24:25]
	s_waitcnt vmcnt(27) lgkmcnt(2)
	v_mul_f64 v[40:41], v[10:11], v[128:129]
	s_waitcnt vmcnt(26) lgkmcnt(1)
	v_mul_f64 v[42:43], v[6:7], v[126:127]
	v_mul_f64 v[16:17], v[16:17], v[118:119]
	s_waitcnt vmcnt(24)
	v_fmac_f64_e32 v[30:31], v[230:231], v[108:109]
	v_add_f64 v[26:27], v[26:27], v[30:31]
	s_waitcnt vmcnt(22)
	v_fmac_f64_e32 v[32:33], v[246:247], v[112:113]
	v_add_f64 v[26:27], v[26:27], v[32:33]
	;; [unrolled: 3-line block ×3, first 2 shown]
	v_add_f64 v[26:27], v[26:27], v[36:37]
	s_waitcnt vmcnt(18)
	v_fmac_f64_e32 v[40:41], v[12:13], v[132:133]
	v_add_f64 v[26:27], v[26:27], v[38:39]
	v_add_f64 v[26:27], v[26:27], v[40:41]
	s_waitcnt vmcnt(16)
	v_fmac_f64_e32 v[42:43], v[8:9], v[138:139]
	v_add_f64 v[34:35], v[26:27], v[42:43]
	ds_read_b128 v[26:29], v1 offset:1552
	ds_read_b128 v[30:33], v1 offset:1568
	buffer_load_dword v155, off, s[0:3], 0 offset:684
	buffer_load_dword v154, off, s[0:3], 0 offset:680
	;; [unrolled: 1-line block ×56, first 2 shown]
	s_waitcnt vmcnt(62) lgkmcnt(2)
	v_mul_f64 v[36:37], v[2:3], v[142:143]
	v_fmac_f64_e32 v[36:37], v[4:5], v[144:145]
	v_add_f64 v[34:35], v[34:35], v[36:37]
	s_waitcnt lgkmcnt(1)
	v_mul_f64 v[36:37], v[26:27], v[136:137]
	v_fmac_f64_e32 v[36:37], v[28:29], v[140:141]
	v_add_f64 v[34:35], v[34:35], v[36:37]
	s_waitcnt lgkmcnt(0)
	v_mul_f64 v[36:37], v[30:31], v[146:147]
	s_waitcnt vmcnt(60)
	v_fmac_f64_e32 v[36:37], v[32:33], v[150:151]
	v_add_f64 v[42:43], v[34:35], v[36:37]
	ds_read_b128 v[34:37], v1 offset:1584
	buffer_load_dword v199, off, s[0:3], 0 offset:908
	buffer_load_dword v198, off, s[0:3], 0 offset:904
	;; [unrolled: 1-line block ×16, first 2 shown]
	ds_read_b128 v[38:41], v1 offset:1600
	buffer_load_dword v221, off, s[0:3], 0 offset:972
	buffer_load_dword v220, off, s[0:3], 0 offset:968
	;; [unrolled: 1-line block ×8, first 2 shown]
	ds_read_b128 v[98:101], v1 offset:1840
	s_waitcnt vmcnt(62) lgkmcnt(2)
	v_mul_f64 v[44:45], v[34:35], v[148:149]
	v_fmac_f64_e32 v[44:45], v[36:37], v[152:153]
	v_add_f64 v[46:47], v[42:43], v[44:45]
	ds_read_b128 v[42:45], v1 offset:1616
	v_fma_f64 v[248:249], v[228:229], v[108:109], -v[106:107]
	ds_read_b128 v[106:109], v1 offset:1872
	v_fma_f64 v[246:247], v[244:245], v[112:113], -v[110:111]
	v_mul_f64 v[20:21], v[20:21], v[130:131]
	v_fma_f64 v[18:19], v[18:19], v[134:135], -v[20:21]
	v_fma_f64 v[14:15], v[14:15], v[122:123], -v[16:17]
	v_mul_f64 v[12:13], v[12:13], v[128:129]
	v_fma_f64 v[10:11], v[10:11], v[132:133], -v[12:13]
	v_mul_f64 v[8:9], v[8:9], v[126:127]
	;; [unrolled: 2-line block ×3, first 2 shown]
	s_waitcnt lgkmcnt(3)
	v_mul_f64 v[48:49], v[38:39], v[170:171]
	v_fma_f64 v[2:3], v[2:3], v[144:145], -v[4:5]
	v_fmac_f64_e32 v[48:49], v[40:41], v[174:175]
	v_add_f64 v[50:51], v[46:47], v[48:49]
	ds_read_b128 v[46:49], v1 offset:1632
	s_waitcnt lgkmcnt(2)
	v_mul_f64 v[52:53], v[42:43], v[154:155]
	v_fmac_f64_e32 v[52:53], v[44:45], v[156:157]
	v_add_f64 v[54:55], v[50:51], v[52:53]
	ds_read_b128 v[50:53], v1 offset:1648
	s_waitcnt lgkmcnt(1)
	v_mul_f64 v[56:57], v[46:47], v[178:179]
	;; [unrolled: 5-line block ×3, first 2 shown]
	v_fmac_f64_e32 v[60:61], v[52:53], v[160:161]
	v_add_f64 v[62:63], v[58:59], v[60:61]
	ds_read_b128 v[58:61], v1 offset:1680
	s_waitcnt vmcnt(58) lgkmcnt(1)
	v_mul_f64 v[64:65], v[54:55], v[186:187]
	s_waitcnt vmcnt(56)
	v_fmac_f64_e32 v[64:65], v[56:57], v[190:191]
	v_add_f64 v[66:67], v[62:63], v[64:65]
	ds_read_b128 v[62:65], v1 offset:1696
	s_waitcnt lgkmcnt(1)
	v_mul_f64 v[68:69], v[58:59], v[162:163]
	v_fmac_f64_e32 v[68:69], v[60:61], v[164:165]
	v_add_f64 v[70:71], v[66:67], v[68:69]
	ds_read_b128 v[66:69], v1 offset:1712
	s_waitcnt vmcnt(50) lgkmcnt(1)
	v_mul_f64 v[72:73], v[62:63], v[194:195]
	s_waitcnt vmcnt(48)
	v_fmac_f64_e32 v[72:73], v[64:65], v[196:197]
	v_add_f64 v[74:75], v[70:71], v[72:73]
	ds_read_b128 v[70:73], v1 offset:1728
	s_waitcnt lgkmcnt(1)
	v_mul_f64 v[76:77], v[66:67], v[166:167]
	;; [unrolled: 11-line block ×3, first 2 shown]
	v_fmac_f64_e32 v[84:85], v[76:77], v[176:177]
	v_add_f64 v[90:91], v[82:83], v[84:85]
	ds_read_b128 v[82:85], v1 offset:1776
	ds_read_b128 v[86:89], v1 offset:1792
	s_waitcnt vmcnt(34) lgkmcnt(2)
	v_mul_f64 v[92:93], v[78:79], v[208:209]
	s_waitcnt vmcnt(32)
	v_fmac_f64_e32 v[92:93], v[80:81], v[214:215]
	v_add_f64 v[90:91], v[90:91], v[92:93]
	s_waitcnt lgkmcnt(1)
	v_mul_f64 v[92:93], v[82:83], v[180:181]
	v_fmac_f64_e32 v[92:93], v[84:85], v[184:185]
	v_add_f64 v[90:91], v[90:91], v[92:93]
	s_waitcnt vmcnt(27) lgkmcnt(0)
	v_mul_f64 v[92:93], v[86:87], v[212:213]
	s_waitcnt vmcnt(25)
	v_fmac_f64_e32 v[92:93], v[88:89], v[216:217]
	v_add_f64 v[232:233], v[90:91], v[92:93]
	ds_read_b128 v[90:93], v1 offset:1808
	ds_read_b128 v[94:97], v1 offset:1824
	;; [unrolled: 1-line block ×3, first 2 shown]
	v_mul_f64 v[4:5], v[28:29], v[136:137]
	v_fma_f64 v[4:5], v[26:27], v[140:141], -v[4:5]
	s_waitcnt lgkmcnt(2)
	v_mul_f64 v[102:103], v[90:91], v[188:189]
	s_waitcnt vmcnt(24)
	v_fmac_f64_e32 v[102:103], v[92:93], v[192:193]
	s_waitcnt vmcnt(18) lgkmcnt(1)
	v_mul_f64 v[104:105], v[94:95], v[218:219]
	v_add_f64 v[102:103], v[232:233], v[102:103]
	s_waitcnt vmcnt(16)
	v_fmac_f64_e32 v[104:105], v[96:97], v[222:223]
	v_add_f64 v[102:103], v[102:103], v[104:105]
	v_mul_f64 v[104:105], v[98:99], v[198:199]
	v_fmac_f64_e32 v[104:105], v[100:101], v[202:203]
	v_add_f64 v[114:115], v[102:103], v[104:105]
	ds_read_b128 v[102:105], v1 offset:1856
	s_waitcnt vmcnt(10) lgkmcnt(0)
	v_mul_f64 v[116:117], v[102:103], v[226:227]
	s_waitcnt vmcnt(8)
	v_fmac_f64_e32 v[116:117], v[104:105], v[238:239]
	v_add_f64 v[114:115], v[114:115], v[116:117]
	v_mul_f64 v[116:117], v[106:107], v[206:207]
	v_fmac_f64_e32 v[116:117], v[108:109], v[210:211]
	v_add_f64 v[114:115], v[114:115], v[116:117]
	s_waitcnt vmcnt(2)
	v_mul_f64 v[116:117], v[110:111], v[240:241]
	s_waitcnt vmcnt(0)
	v_fmac_f64_e32 v[116:117], v[112:113], v[242:243]
	v_add_f64 v[228:229], v[114:115], v[116:117]
	ds_read_b128 v[114:117], v1 offset:1904
	buffer_load_dword v252, off, s[0:3], 0 offset:432
	buffer_load_dword v253, off, s[0:3], 0 offset:436
	s_waitcnt lgkmcnt(0)
	v_mul_f64 v[230:231], v[114:115], v[220:221]
	v_fmac_f64_e32 v[230:231], v[116:117], v[224:225]
	v_add_f64 v[244:245], v[228:229], v[230:231]
	v_add_f64 v[228:229], v[234:235], 0
	;; [unrolled: 1-line block ×4, first 2 shown]
	buffer_load_dword v248, off, s[0:3], 0 offset:440
	buffer_load_dword v249, off, s[0:3], 0 offset:444
	v_add_f64 v[228:229], v[228:229], v[246:247]
	v_add_f64 v[22:23], v[228:229], v[22:23]
	;; [unrolled: 1-line block ×8, first 2 shown]
	v_mul_f64 v[4:5], v[32:33], v[146:147]
	v_fma_f64 v[4:5], v[30:31], v[150:151], -v[4:5]
	v_add_f64 v[2:3], v[2:3], v[4:5]
	v_mul_f64 v[4:5], v[36:37], v[148:149]
	v_fma_f64 v[4:5], v[34:35], v[152:153], -v[4:5]
	v_add_f64 v[2:3], v[2:3], v[4:5]
	;; [unrolled: 3-line block ×22, first 2 shown]
	s_waitcnt vmcnt(2)
	v_add_f64 v[2:3], v[252:253], -v[2:3]
	s_waitcnt vmcnt(0)
	v_add_f64 v[4:5], v[248:249], -v[244:245]
	buffer_store_dword v3, off, s[0:3], 0 offset:436
	buffer_store_dword v2, off, s[0:3], 0 offset:432
	;; [unrolled: 1-line block ×4, first 2 shown]
	s_and_saveexec_b64 s[4:5], vcc
	s_cbranch_execz .LBB123_323
; %bb.322:
	v_accvgpr_read_b32 v0, a154
	buffer_load_dword v2, v0, s[0:3], 0 offen
	buffer_load_dword v3, v0, s[0:3], 0 offen offset:4
	buffer_load_dword v4, v0, s[0:3], 0 offen offset:8
	;; [unrolled: 1-line block ×3, first 2 shown]
	v_accvgpr_read_b32 v0, a180
	buffer_store_dword v1, off, s[0:3], 0 offset:416
	buffer_store_dword v1, off, s[0:3], 0 offset:420
	;; [unrolled: 1-line block ×4, first 2 shown]
	s_waitcnt vmcnt(4)
	ds_write_b128 v0, v[2:5]
.LBB123_323:
	s_or_b64 exec, exec, s[4:5]
	s_waitcnt lgkmcnt(0)
	; wave barrier
	s_waitcnt lgkmcnt(0)
	buffer_load_dword v86, off, s[0:3], 0 offset:432
	buffer_load_dword v87, off, s[0:3], 0 offset:436
	;; [unrolled: 1-line block ×42, first 2 shown]
	ds_read_b128 v[94:97], v1 offset:1376
	ds_read_b128 v[106:109], v1 offset:1392
	;; [unrolled: 1-line block ×10, first 2 shown]
	buffer_load_dword v145, off, s[0:3], 0 offset:580
	buffer_load_dword v144, off, s[0:3], 0 offset:576
	ds_read_b128 v[6:9], v1 offset:1536
	buffer_load_dword v141, off, s[0:3], 0 offset:636
	buffer_load_dword v140, off, s[0:3], 0 offset:632
	;; [unrolled: 1-line block ×80, first 2 shown]
	s_waitcnt vmcnt(62) lgkmcnt(10)
	v_mul_f64 v[26:27], v[94:95], v[88:89]
	v_fmac_f64_e32 v[26:27], v[96:97], v[86:87]
	v_add_f64 v[26:27], v[26:27], 0
	v_mul_f64 v[88:89], v[96:97], v[88:89]
	s_waitcnt lgkmcnt(9)
	v_mul_f64 v[28:29], v[106:107], v[92:93]
	v_fmac_f64_e32 v[28:29], v[108:109], v[90:91]
	s_waitcnt lgkmcnt(8)
	v_mul_f64 v[30:31], v[114:115], v[98:99]
	v_add_f64 v[26:27], v[26:27], v[28:29]
	s_waitcnt lgkmcnt(6)
	v_mul_f64 v[34:35], v[248:249], v[110:111]
	v_fma_f64 v[234:235], v[94:95], v[86:87], -v[88:89]
	v_fmac_f64_e32 v[34:35], v[250:251], v[112:113]
	v_mul_f64 v[92:93], v[108:109], v[92:93]
	v_mul_f64 v[32:33], v[228:229], v[102:103]
	;; [unrolled: 1-line block ×3, first 2 shown]
	s_waitcnt lgkmcnt(4)
	v_mul_f64 v[38:39], v[18:19], v[118:119]
	v_mul_f64 v[102:103], v[230:231], v[102:103]
	v_fmac_f64_e32 v[38:39], v[20:21], v[120:121]
	v_mul_f64 v[110:111], v[250:251], v[110:111]
	v_mul_f64 v[36:37], v[22:23], v[122:123]
	v_fma_f64 v[248:249], v[248:249], v[112:113], -v[110:111]
	s_waitcnt lgkmcnt(2)
	v_mul_f64 v[42:43], v[10:11], v[124:125]
	v_mul_f64 v[20:21], v[20:21], v[118:119]
	v_fma_f64 v[18:19], v[18:19], v[120:121], -v[20:21]
	v_mul_f64 v[40:41], v[14:15], v[130:131]
	s_waitcnt lgkmcnt(1)
	v_mul_f64 v[44:45], v[2:3], v[128:129]
	v_fmac_f64_e32 v[30:31], v[116:117], v[100:101]
	v_add_f64 v[26:27], v[26:27], v[30:31]
	v_fmac_f64_e32 v[32:33], v[230:231], v[104:105]
	v_add_f64 v[26:27], v[26:27], v[32:33]
	;; [unrolled: 2-line block ×3, first 2 shown]
	v_add_f64 v[26:27], v[26:27], v[36:37]
	v_fmac_f64_e32 v[40:41], v[16:17], v[132:133]
	v_add_f64 v[26:27], v[26:27], v[38:39]
	v_fmac_f64_e32 v[42:43], v[12:13], v[126:127]
	v_add_f64 v[26:27], v[26:27], v[40:41]
	v_add_f64 v[26:27], v[26:27], v[42:43]
	s_waitcnt lgkmcnt(0)
	v_mul_f64 v[32:33], v[6:7], v[136:137]
	v_fmac_f64_e32 v[44:45], v[4:5], v[144:145]
	v_add_f64 v[30:31], v[26:27], v[44:45]
	ds_read_b128 v[26:29], v1 offset:1552
	v_fmac_f64_e32 v[32:33], v[8:9], v[138:139]
	v_add_f64 v[34:35], v[30:31], v[32:33]
	ds_read_b128 v[30:33], v1 offset:1568
	v_fma_f64 v[236:237], v[114:115], v[100:101], -v[98:99]
	s_waitcnt lgkmcnt(1)
	v_mul_f64 v[36:37], v[26:27], v[146:147]
	v_fmac_f64_e32 v[36:37], v[28:29], v[162:163]
	v_add_f64 v[38:39], v[34:35], v[36:37]
	ds_read_b128 v[34:37], v1 offset:1584
	s_waitcnt lgkmcnt(1)
	v_mul_f64 v[40:41], v[30:31], v[140:141]
	v_fmac_f64_e32 v[40:41], v[32:33], v[142:143]
	v_add_f64 v[42:43], v[38:39], v[40:41]
	ds_read_b128 v[38:41], v1 offset:1600
	s_waitcnt lgkmcnt(1)
	v_mul_f64 v[44:45], v[34:35], v[166:167]
	v_fmac_f64_e32 v[44:45], v[36:37], v[170:171]
	v_add_f64 v[46:47], v[42:43], v[44:45]
	ds_read_b128 v[42:45], v1 offset:1616
	s_waitcnt lgkmcnt(1)
	v_mul_f64 v[48:49], v[38:39], v[148:149]
	v_fmac_f64_e32 v[48:49], v[40:41], v[150:151]
	v_add_f64 v[50:51], v[46:47], v[48:49]
	ds_read_b128 v[46:49], v1 offset:1632
	s_waitcnt vmcnt(58) lgkmcnt(1)
	v_mul_f64 v[52:53], v[42:43], v[174:175]
	s_waitcnt vmcnt(56)
	v_fmac_f64_e32 v[52:53], v[44:45], v[178:179]
	v_add_f64 v[54:55], v[50:51], v[52:53]
	ds_read_b128 v[50:53], v1 offset:1648
	buffer_load_dword v222, off, s[0:3], 0 offset:952
	buffer_load_dword v227, off, s[0:3], 0 offset:940
	;; [unrolled: 1-line block ×8, first 2 shown]
	s_waitcnt lgkmcnt(1)
	v_mul_f64 v[56:57], v[46:47], v[152:153]
	v_fmac_f64_e32 v[56:57], v[48:49], v[154:155]
	v_add_f64 v[58:59], v[54:55], v[56:57]
	ds_read_b128 v[54:57], v1 offset:1664
	buffer_load_dword v241, off, s[0:3], 0 offset:972
	buffer_load_dword v240, off, s[0:3], 0 offset:968
	;; [unrolled: 1-line block ×4, first 2 shown]
	s_waitcnt vmcnt(62) lgkmcnt(1)
	v_mul_f64 v[60:61], v[50:51], v[182:183]
	s_waitcnt vmcnt(60)
	v_fmac_f64_e32 v[60:61], v[52:53], v[186:187]
	v_add_f64 v[62:63], v[58:59], v[60:61]
	ds_read_b128 v[58:61], v1 offset:1680
	s_waitcnt lgkmcnt(1)
	v_mul_f64 v[64:65], v[54:55], v[156:157]
	v_fmac_f64_e32 v[64:65], v[56:57], v[158:159]
	v_add_f64 v[66:67], v[62:63], v[64:65]
	ds_read_b128 v[62:65], v1 offset:1696
	s_waitcnt vmcnt(54) lgkmcnt(1)
	v_mul_f64 v[68:69], v[58:59], v[190:191]
	s_waitcnt vmcnt(52)
	v_fmac_f64_e32 v[68:69], v[60:61], v[194:195]
	v_add_f64 v[70:71], v[66:67], v[68:69]
	ds_read_b128 v[66:69], v1 offset:1712
	s_waitcnt lgkmcnt(1)
	v_mul_f64 v[72:73], v[62:63], v[160:161]
	v_fmac_f64_e32 v[72:73], v[64:65], v[164:165]
	v_add_f64 v[74:75], v[70:71], v[72:73]
	ds_read_b128 v[70:73], v1 offset:1728
	s_waitcnt vmcnt(46) lgkmcnt(1)
	v_mul_f64 v[76:77], v[66:67], v[198:199]
	s_waitcnt vmcnt(44)
	v_fmac_f64_e32 v[76:77], v[68:69], v[202:203]
	v_add_f64 v[82:83], v[74:75], v[76:77]
	ds_read_b128 v[74:77], v1 offset:1744
	ds_read_b128 v[78:81], v1 offset:1760
	s_waitcnt lgkmcnt(2)
	v_mul_f64 v[84:85], v[70:71], v[168:169]
	v_fmac_f64_e32 v[84:85], v[72:73], v[172:173]
	v_add_f64 v[82:83], v[82:83], v[84:85]
	s_waitcnt vmcnt(38) lgkmcnt(1)
	v_mul_f64 v[84:85], v[74:75], v[206:207]
	s_waitcnt vmcnt(36)
	v_fmac_f64_e32 v[84:85], v[76:77], v[208:209]
	v_add_f64 v[82:83], v[82:83], v[84:85]
	s_waitcnt lgkmcnt(0)
	v_mul_f64 v[84:85], v[78:79], v[176:177]
	v_fmac_f64_e32 v[84:85], v[80:81], v[180:181]
	v_add_f64 v[232:233], v[82:83], v[84:85]
	ds_read_b128 v[82:85], v1 offset:1776
	ds_read_b128 v[86:89], v1 offset:1792
	;; [unrolled: 1-line block ×3, first 2 shown]
	v_fma_f64 v[246:247], v[228:229], v[104:105], -v[102:103]
	ds_read_b128 v[102:105], v1 offset:1872
	ds_read_b128 v[110:113], v1 offset:1888
	s_waitcnt vmcnt(30) lgkmcnt(4)
	v_mul_f64 v[94:95], v[82:83], v[210:211]
	s_waitcnt vmcnt(28)
	v_fmac_f64_e32 v[94:95], v[84:85], v[212:213]
	v_add_f64 v[94:95], v[232:233], v[94:95]
	v_fma_f64 v[232:233], v[106:107], v[90:91], -v[92:93]
	ds_read_b128 v[90:93], v1 offset:1808
	s_waitcnt lgkmcnt(4)
	v_mul_f64 v[96:97], v[86:87], v[184:185]
	v_fmac_f64_e32 v[96:97], v[88:89], v[188:189]
	v_add_f64 v[106:107], v[94:95], v[96:97]
	ds_read_b128 v[94:97], v1 offset:1824
	s_waitcnt vmcnt(22) lgkmcnt(1)
	v_mul_f64 v[108:109], v[90:91], v[214:215]
	s_waitcnt vmcnt(20)
	v_fmac_f64_e32 v[108:109], v[92:93], v[216:217]
	v_add_f64 v[106:107], v[106:107], v[108:109]
	v_mul_f64 v[24:25], v[24:25], v[122:123]
	s_waitcnt lgkmcnt(0)
	v_mul_f64 v[108:109], v[94:95], v[192:193]
	v_fmac_f64_e32 v[108:109], v[96:97], v[196:197]
	v_add_f64 v[114:115], v[106:107], v[108:109]
	ds_read_b128 v[106:109], v1 offset:1856
	s_waitcnt vmcnt(14)
	v_mul_f64 v[116:117], v[98:99], v[218:219]
	s_waitcnt vmcnt(12)
	v_fmac_f64_e32 v[116:117], v[100:101], v[220:221]
	v_add_f64 v[114:115], v[114:115], v[116:117]
	v_fma_f64 v[22:23], v[22:23], v[134:135], -v[24:25]
	s_waitcnt lgkmcnt(0)
	v_mul_f64 v[116:117], v[106:107], v[200:201]
	v_fmac_f64_e32 v[116:117], v[108:109], v[204:205]
	v_add_f64 v[114:115], v[114:115], v[116:117]
	v_mul_f64 v[16:17], v[16:17], v[130:131]
	v_fma_f64 v[14:15], v[14:15], v[132:133], -v[16:17]
	v_mul_f64 v[12:13], v[12:13], v[124:125]
	v_fma_f64 v[10:11], v[10:11], v[126:127], -v[12:13]
	;; [unrolled: 2-line block ×4, first 2 shown]
	s_waitcnt vmcnt(9)
	v_mul_f64 v[116:117], v[102:103], v[226:227]
	s_waitcnt vmcnt(7)
	v_fmac_f64_e32 v[116:117], v[104:105], v[238:239]
	v_add_f64 v[114:115], v[114:115], v[116:117]
	s_waitcnt vmcnt(5)
	v_mul_f64 v[116:117], v[110:111], v[222:223]
	s_waitcnt vmcnt(4)
	v_fmac_f64_e32 v[116:117], v[112:113], v[224:225]
	v_add_f64 v[228:229], v[114:115], v[116:117]
	ds_read_b128 v[114:117], v1 offset:1904
	buffer_load_dword v254, off, s[0:3], 0 offset:416
	buffer_load_dword v255, off, s[0:3], 0 offset:420
	buffer_load_dword v252, off, s[0:3], 0 offset:424
	buffer_load_dword v253, off, s[0:3], 0 offset:428
	s_waitcnt vmcnt(6) lgkmcnt(0)
	v_mul_f64 v[230:231], v[114:115], v[240:241]
	s_waitcnt vmcnt(4)
	v_fmac_f64_e32 v[230:231], v[116:117], v[242:243]
	v_add_f64 v[244:245], v[228:229], v[230:231]
	v_add_f64 v[228:229], v[234:235], 0
	;; [unrolled: 1-line block ×12, first 2 shown]
	v_mul_f64 v[4:5], v[28:29], v[146:147]
	v_fma_f64 v[4:5], v[26:27], v[162:163], -v[4:5]
	v_add_f64 v[2:3], v[2:3], v[4:5]
	v_mul_f64 v[4:5], v[32:33], v[140:141]
	v_fma_f64 v[4:5], v[30:31], v[142:143], -v[4:5]
	v_add_f64 v[2:3], v[2:3], v[4:5]
	;; [unrolled: 3-line block ×23, first 2 shown]
	s_waitcnt vmcnt(2)
	v_add_f64 v[2:3], v[254:255], -v[2:3]
	v_accvgpr_read_b32 v254, a179
	v_cmp_lt_u32_e32 vcc, 24, v254
	s_waitcnt vmcnt(0)
	v_add_f64 v[4:5], v[252:253], -v[244:245]
	buffer_store_dword v3, off, s[0:3], 0 offset:420
	buffer_store_dword v2, off, s[0:3], 0 offset:416
	;; [unrolled: 1-line block ×4, first 2 shown]
	s_and_saveexec_b64 s[4:5], vcc
	s_cbranch_execz .LBB123_325
; %bb.324:
	v_accvgpr_read_b32 v0, a155
	buffer_load_dword v2, v0, s[0:3], 0 offen
	buffer_load_dword v3, v0, s[0:3], 0 offen offset:4
	buffer_load_dword v4, v0, s[0:3], 0 offen offset:8
	;; [unrolled: 1-line block ×3, first 2 shown]
	v_mov_b32_e32 v0, 0
	v_accvgpr_read_b32 v1, a180
	buffer_store_dword v0, off, s[0:3], 0 offset:400
	buffer_store_dword v0, off, s[0:3], 0 offset:404
	;; [unrolled: 1-line block ×4, first 2 shown]
	s_waitcnt vmcnt(4)
	ds_write_b128 v1, v[2:5]
.LBB123_325:
	s_or_b64 exec, exec, s[4:5]
	s_waitcnt lgkmcnt(0)
	; wave barrier
	s_waitcnt lgkmcnt(0)
	buffer_load_dword v82, off, s[0:3], 0 offset:416
	buffer_load_dword v83, off, s[0:3], 0 offset:420
	;; [unrolled: 1-line block ×54, first 2 shown]
	v_mov_b32_e32 v1, 0
	ds_read_b128 v[90:93], v1 offset:1360
	ds_read_b128 v[106:109], v1 offset:1376
	;; [unrolled: 1-line block ×9, first 2 shown]
	buffer_load_dword v149, off, s[0:3], 0 offset:644
	buffer_load_dword v148, off, s[0:3], 0 offset:640
	;; [unrolled: 1-line block ×62, first 2 shown]
	v_cmp_lt_u32_e32 vcc, 23, v254
	s_waitcnt vmcnt(62) lgkmcnt(8)
	v_mul_f64 v[14:15], v[90:91], v[84:85]
	v_fmac_f64_e32 v[14:15], v[92:93], v[82:83]
	v_add_f64 v[14:15], v[14:15], 0
	v_mul_f64 v[84:85], v[92:93], v[84:85]
	s_waitcnt lgkmcnt(7)
	v_mul_f64 v[16:17], v[106:107], v[88:89]
	v_fmac_f64_e32 v[16:17], v[108:109], v[86:87]
	s_waitcnt lgkmcnt(6)
	v_mul_f64 v[18:19], v[114:115], v[94:95]
	v_add_f64 v[14:15], v[14:15], v[16:17]
	s_waitcnt lgkmcnt(4)
	v_mul_f64 v[22:23], v[242:243], v[102:103]
	v_fma_f64 v[234:235], v[90:91], v[82:83], -v[84:85]
	v_fmac_f64_e32 v[22:23], v[244:245], v[104:105]
	v_mul_f64 v[88:89], v[108:109], v[88:89]
	v_mul_f64 v[20:21], v[228:229], v[98:99]
	v_fma_f64 v[236:237], v[106:107], v[86:87], -v[88:89]
	s_waitcnt lgkmcnt(2)
	v_mul_f64 v[26:27], v[10:11], v[118:119]
	v_mul_f64 v[94:95], v[116:117], v[94:95]
	v_fmac_f64_e32 v[26:27], v[12:13], v[120:121]
	v_mul_f64 v[98:99], v[230:231], v[98:99]
	v_mul_f64 v[24:25], v[246:247], v[110:111]
	;; [unrolled: 1-line block ×3, first 2 shown]
	s_waitcnt lgkmcnt(1)
	v_mul_f64 v[28:29], v[6:7], v[122:123]
	v_mul_f64 v[110:111], v[248:249], v[110:111]
	v_fmac_f64_e32 v[18:19], v[116:117], v[96:97]
	v_add_f64 v[14:15], v[14:15], v[18:19]
	v_fmac_f64_e32 v[20:21], v[230:231], v[100:101]
	v_add_f64 v[14:15], v[14:15], v[20:21]
	;; [unrolled: 2-line block ×3, first 2 shown]
	v_add_f64 v[14:15], v[14:15], v[24:25]
	v_fmac_f64_e32 v[28:29], v[8:9], v[126:127]
	v_add_f64 v[14:15], v[14:15], v[26:27]
	v_add_f64 v[18:19], v[14:15], v[28:29]
	ds_read_b128 v[14:17], v1 offset:1504
	s_waitcnt lgkmcnt(1)
	v_mul_f64 v[20:21], v[2:3], v[124:125]
	v_fmac_f64_e32 v[20:21], v[4:5], v[128:129]
	v_add_f64 v[22:23], v[18:19], v[20:21]
	ds_read_b128 v[18:21], v1 offset:1520
	s_waitcnt lgkmcnt(1)
	v_mul_f64 v[24:25], v[14:15], v[134:135]
	v_fmac_f64_e32 v[24:25], v[16:17], v[136:137]
	;; [unrolled: 5-line block ×5, first 2 shown]
	v_add_f64 v[38:39], v[34:35], v[36:37]
	ds_read_b128 v[34:37], v1 offset:1584
	s_waitcnt vmcnt(58) lgkmcnt(1)
	v_mul_f64 v[40:41], v[30:31], v[162:163]
	s_waitcnt vmcnt(56)
	v_fmac_f64_e32 v[40:41], v[32:33], v[166:167]
	v_add_f64 v[42:43], v[38:39], v[40:41]
	ds_read_b128 v[38:41], v1 offset:1600
	s_waitcnt lgkmcnt(1)
	v_mul_f64 v[44:45], v[34:35], v[142:143]
	v_fmac_f64_e32 v[44:45], v[36:37], v[148:149]
	v_add_f64 v[46:47], v[42:43], v[44:45]
	ds_read_b128 v[42:45], v1 offset:1616
	s_waitcnt vmcnt(50) lgkmcnt(1)
	v_mul_f64 v[48:49], v[38:39], v[170:171]
	s_waitcnt vmcnt(48)
	v_fmac_f64_e32 v[48:49], v[40:41], v[174:175]
	v_add_f64 v[50:51], v[46:47], v[48:49]
	ds_read_b128 v[46:49], v1 offset:1632
	buffer_load_dword v211, off, s[0:3], 0 offset:892
	buffer_load_dword v210, off, s[0:3], 0 offset:888
	buffer_load_dword v213, off, s[0:3], 0 offset:884
	buffer_load_dword v212, off, s[0:3], 0 offset:880
	buffer_load_dword v217, off, s[0:3], 0 offset:908
	buffer_load_dword v216, off, s[0:3], 0 offset:904
	buffer_load_dword v219, off, s[0:3], 0 offset:900
	buffer_load_dword v218, off, s[0:3], 0 offset:896
	s_waitcnt lgkmcnt(1)
	v_mul_f64 v[52:53], v[42:43], v[150:151]
	v_fmac_f64_e32 v[52:53], v[44:45], v[152:153]
	v_add_f64 v[54:55], v[50:51], v[52:53]
	ds_read_b128 v[50:53], v1 offset:1648
	s_waitcnt vmcnt(50) lgkmcnt(1)
	v_mul_f64 v[56:57], v[46:47], v[178:179]
	s_waitcnt vmcnt(48)
	v_fmac_f64_e32 v[56:57], v[48:49], v[182:183]
	buffer_load_dword v215, off, s[0:3], 0 offset:940
	buffer_load_dword v221, off, s[0:3], 0 offset:924
	;; [unrolled: 1-line block ×12, first 2 shown]
	v_add_f64 v[58:59], v[54:55], v[56:57]
	ds_read_b128 v[54:57], v1 offset:1664
	s_waitcnt lgkmcnt(1)
	v_mul_f64 v[60:61], v[50:51], v[154:155]
	v_fmac_f64_e32 v[60:61], v[52:53], v[156:157]
	v_add_f64 v[62:63], v[58:59], v[60:61]
	ds_read_b128 v[58:61], v1 offset:1680
	s_waitcnt vmcnt(54) lgkmcnt(1)
	v_mul_f64 v[64:65], v[54:55], v[186:187]
	s_waitcnt vmcnt(52)
	v_fmac_f64_e32 v[64:65], v[56:57], v[190:191]
	v_add_f64 v[66:67], v[62:63], v[64:65]
	ds_read_b128 v[62:65], v1 offset:1696
	s_waitcnt lgkmcnt(1)
	v_mul_f64 v[68:69], v[58:59], v[158:159]
	v_fmac_f64_e32 v[68:69], v[60:61], v[160:161]
	v_add_f64 v[70:71], v[66:67], v[68:69]
	ds_read_b128 v[66:69], v1 offset:1712
	s_waitcnt vmcnt(46) lgkmcnt(1)
	v_mul_f64 v[72:73], v[62:63], v[194:195]
	s_waitcnt vmcnt(44)
	v_fmac_f64_e32 v[72:73], v[64:65], v[196:197]
	v_add_f64 v[78:79], v[70:71], v[72:73]
	ds_read_b128 v[70:73], v1 offset:1728
	ds_read_b128 v[74:77], v1 offset:1744
	s_waitcnt lgkmcnt(2)
	v_mul_f64 v[80:81], v[66:67], v[164:165]
	v_fmac_f64_e32 v[80:81], v[68:69], v[168:169]
	v_add_f64 v[78:79], v[78:79], v[80:81]
	s_waitcnt vmcnt(38) lgkmcnt(1)
	v_mul_f64 v[80:81], v[70:71], v[198:199]
	s_waitcnt vmcnt(36)
	v_fmac_f64_e32 v[80:81], v[72:73], v[200:201]
	v_add_f64 v[78:79], v[78:79], v[80:81]
	s_waitcnt lgkmcnt(0)
	v_mul_f64 v[80:81], v[74:75], v[172:173]
	v_fmac_f64_e32 v[80:81], v[76:77], v[176:177]
	v_add_f64 v[232:233], v[78:79], v[80:81]
	ds_read_b128 v[78:81], v1 offset:1760
	ds_read_b128 v[82:85], v1 offset:1776
	;; [unrolled: 1-line block ×3, first 2 shown]
	v_fma_f64 v[228:229], v[228:229], v[100:101], -v[98:99]
	ds_read_b128 v[98:101], v1 offset:1840
	s_waitcnt vmcnt(30) lgkmcnt(3)
	v_mul_f64 v[90:91], v[78:79], v[202:203]
	s_waitcnt vmcnt(28)
	v_fmac_f64_e32 v[90:91], v[80:81], v[204:205]
	s_waitcnt lgkmcnt(2)
	v_mul_f64 v[92:93], v[82:83], v[180:181]
	v_add_f64 v[90:91], v[232:233], v[90:91]
	v_fmac_f64_e32 v[92:93], v[84:85], v[184:185]
	v_add_f64 v[90:91], v[90:91], v[92:93]
	v_fma_f64 v[232:233], v[114:115], v[96:97], -v[94:95]
	ds_read_b128 v[94:97], v1 offset:1824
	s_waitcnt vmcnt(22) lgkmcnt(2)
	v_mul_f64 v[92:93], v[86:87], v[206:207]
	s_waitcnt vmcnt(20)
	v_fmac_f64_e32 v[92:93], v[88:89], v[208:209]
	v_add_f64 v[106:107], v[90:91], v[92:93]
	ds_read_b128 v[90:93], v1 offset:1808
	buffer_load_dword v240, off, s[0:3], 0 offset:968
	v_fma_f64 v[230:231], v[242:243], v[104:105], -v[102:103]
	ds_read_b128 v[102:105], v1 offset:1856
	v_fma_f64 v[250:251], v[246:247], v[112:113], -v[110:111]
	s_waitcnt lgkmcnt(1)
	v_mul_f64 v[108:109], v[90:91], v[188:189]
	v_fmac_f64_e32 v[108:109], v[92:93], v[192:193]
	v_add_f64 v[106:107], v[106:107], v[108:109]
	ds_read_b128 v[110:113], v1 offset:1888
	v_add_f64 v[234:235], v[234:235], 0
	v_add_f64 v[234:235], v[234:235], v[236:237]
	;; [unrolled: 1-line block ×5, first 2 shown]
	v_mul_f64 v[12:13], v[12:13], v[118:119]
	v_add_f64 v[228:229], v[252:253], v[250:251]
	v_fma_f64 v[10:11], v[10:11], v[120:121], -v[12:13]
	v_mul_f64 v[8:9], v[8:9], v[122:123]
	v_add_f64 v[10:11], v[228:229], v[10:11]
	v_fma_f64 v[6:7], v[6:7], v[126:127], -v[8:9]
	;; [unrolled: 3-line block ×3, first 2 shown]
	v_mul_f64 v[4:5], v[16:17], v[134:135]
	v_add_f64 v[2:3], v[6:7], v[2:3]
	s_waitcnt vmcnt(19)
	v_mul_f64 v[108:109], v[94:95], v[210:211]
	v_fma_f64 v[4:5], v[14:15], v[136:137], -v[4:5]
	s_waitcnt vmcnt(17)
	v_fmac_f64_e32 v[108:109], v[96:97], v[212:213]
	v_add_f64 v[106:107], v[106:107], v[108:109]
	s_waitcnt vmcnt(15)
	v_mul_f64 v[108:109], v[98:99], v[216:217]
	s_waitcnt vmcnt(13)
	v_fmac_f64_e32 v[108:109], v[100:101], v[218:219]
	v_add_f64 v[114:115], v[106:107], v[108:109]
	ds_read_b128 v[106:109], v1 offset:1872
	buffer_load_dword v244, off, s[0:3], 0 offset:960
	buffer_load_dword v241, off, s[0:3], 0 offset:972
	;; [unrolled: 1-line block ×3, first 2 shown]
	s_waitcnt vmcnt(13) lgkmcnt(2)
	v_mul_f64 v[116:117], v[102:103], v[220:221]
	s_waitcnt vmcnt(11)
	v_fmac_f64_e32 v[116:117], v[104:105], v[226:227]
	v_add_f64 v[114:115], v[114:115], v[116:117]
	s_waitcnt vmcnt(10) lgkmcnt(0)
	v_mul_f64 v[116:117], v[106:107], v[214:215]
	s_waitcnt vmcnt(8)
	v_fmac_f64_e32 v[116:117], v[108:109], v[224:225]
	v_add_f64 v[114:115], v[114:115], v[116:117]
	s_waitcnt vmcnt(6)
	v_mul_f64 v[116:117], v[110:111], v[222:223]
	s_waitcnt vmcnt(4)
	v_fmac_f64_e32 v[116:117], v[112:113], v[238:239]
	v_add_f64 v[242:243], v[114:115], v[116:117]
	ds_read_b128 v[114:117], v1 offset:1904
	buffer_load_dword v248, off, s[0:3], 0 offset:400
	buffer_load_dword v249, off, s[0:3], 0 offset:404
	v_add_f64 v[2:3], v[2:3], v[4:5]
	v_mul_f64 v[4:5], v[20:21], v[130:131]
	v_fma_f64 v[4:5], v[18:19], v[132:133], -v[4:5]
	v_add_f64 v[2:3], v[2:3], v[4:5]
	v_mul_f64 v[4:5], v[24:25], v[144:145]
	v_fma_f64 v[4:5], v[22:23], v[146:147], -v[4:5]
	;; [unrolled: 3-line block ×22, first 2 shown]
	v_add_f64 v[2:3], v[2:3], v[4:5]
	s_waitcnt vmcnt(3) lgkmcnt(0)
	v_mul_f64 v[246:247], v[114:115], v[240:241]
	s_waitcnt vmcnt(2)
	v_fmac_f64_e32 v[246:247], v[116:117], v[244:245]
	v_add_f64 v[242:243], v[242:243], v[246:247]
	buffer_load_dword v246, off, s[0:3], 0 offset:408
	buffer_load_dword v247, off, s[0:3], 0 offset:412
	v_mul_f64 v[4:5], v[108:109], v[214:215]
	v_fma_f64 v[4:5], v[106:107], v[224:225], -v[4:5]
	v_add_f64 v[2:3], v[2:3], v[4:5]
	v_mul_f64 v[4:5], v[112:113], v[222:223]
	v_fma_f64 v[4:5], v[110:111], v[238:239], -v[4:5]
	v_add_f64 v[2:3], v[2:3], v[4:5]
	;; [unrolled: 3-line block ×3, first 2 shown]
	s_waitcnt vmcnt(2)
	v_add_f64 v[2:3], v[248:249], -v[2:3]
	s_waitcnt vmcnt(0)
	v_add_f64 v[4:5], v[246:247], -v[242:243]
	buffer_store_dword v3, off, s[0:3], 0 offset:404
	buffer_store_dword v2, off, s[0:3], 0 offset:400
	;; [unrolled: 1-line block ×4, first 2 shown]
	s_and_saveexec_b64 s[4:5], vcc
	s_cbranch_execz .LBB123_327
; %bb.326:
	v_accvgpr_read_b32 v0, a156
	buffer_load_dword v2, v0, s[0:3], 0 offen
	buffer_load_dword v3, v0, s[0:3], 0 offen offset:4
	buffer_load_dword v4, v0, s[0:3], 0 offen offset:8
	buffer_load_dword v5, v0, s[0:3], 0 offen offset:12
	v_accvgpr_read_b32 v0, a180
	buffer_store_dword v1, off, s[0:3], 0 offset:384
	buffer_store_dword v1, off, s[0:3], 0 offset:388
	;; [unrolled: 1-line block ×4, first 2 shown]
	s_waitcnt vmcnt(4)
	ds_write_b128 v0, v[2:5]
.LBB123_327:
	s_or_b64 exec, exec, s[4:5]
	s_waitcnt lgkmcnt(0)
	; wave barrier
	s_waitcnt lgkmcnt(0)
	buffer_load_dword v84, off, s[0:3], 0 offset:400
	buffer_load_dword v85, off, s[0:3], 0 offset:404
	;; [unrolled: 1-line block ×34, first 2 shown]
	ds_read_b128 v[74:77], v1 offset:1344
	ds_read_b128 v[78:81], v1 offset:1360
	ds_read_b128 v[86:89], v1 offset:1376
	ds_read_b128 v[90:93], v1 offset:1392
	ds_read_b128 v[98:101], v1 offset:1408
	ds_read_b128 v[102:105], v1 offset:1424
	ds_read_b128 v[110:113], v1 offset:1440
	ds_read_b128 v[2:5], v1 offset:1456
	buffer_load_dword v125, off, s[0:3], 0 offset:516
	buffer_load_dword v124, off, s[0:3], 0 offset:512
	ds_read_b128 v[6:9], v1 offset:1472
	buffer_load_dword v127, off, s[0:3], 0 offset:572
	buffer_load_dword v126, off, s[0:3], 0 offset:568
	;; [unrolled: 1-line block ×80, first 2 shown]
	s_waitcnt vmcnt(62) lgkmcnt(8)
	v_mul_f64 v[10:11], v[74:75], v[106:107]
	v_fmac_f64_e32 v[10:11], v[76:77], v[84:85]
	v_add_f64 v[10:11], v[10:11], 0
	v_mul_f64 v[76:77], v[76:77], v[106:107]
	s_waitcnt lgkmcnt(7)
	v_mul_f64 v[12:13], v[78:79], v[96:97]
	v_fmac_f64_e32 v[12:13], v[80:81], v[82:83]
	s_waitcnt lgkmcnt(6)
	v_mul_f64 v[14:15], v[86:87], v[94:95]
	v_add_f64 v[10:11], v[10:11], v[12:13]
	s_waitcnt lgkmcnt(4)
	v_mul_f64 v[18:19], v[98:99], v[108:109]
	v_fma_f64 v[230:231], v[74:75], v[84:85], -v[76:77]
	v_fmac_f64_e32 v[18:19], v[100:101], v[114:115]
	v_mul_f64 v[80:81], v[80:81], v[96:97]
	v_mul_f64 v[16:17], v[90:91], v[116:117]
	v_fma_f64 v[232:233], v[78:79], v[82:83], -v[80:81]
	s_waitcnt lgkmcnt(2)
	v_mul_f64 v[22:23], v[110:111], v[240:241]
	v_mul_f64 v[100:101], v[100:101], v[108:109]
	v_fma_f64 v[236:237], v[98:99], v[114:115], -v[100:101]
	v_mul_f64 v[20:21], v[102:103], v[244:245]
	v_add_f64 v[230:231], v[230:231], 0
	s_waitcnt lgkmcnt(1)
	v_mul_f64 v[24:25], v[2:3], v[118:119]
	v_add_f64 v[230:231], v[230:231], v[232:233]
	v_fmac_f64_e32 v[14:15], v[88:89], v[250:251]
	v_add_f64 v[10:11], v[10:11], v[14:15]
	v_fmac_f64_e32 v[16:17], v[92:93], v[248:249]
	;; [unrolled: 2-line block ×4, first 2 shown]
	v_add_f64 v[10:11], v[10:11], v[20:21]
	v_add_f64 v[10:11], v[10:11], v[22:23]
	s_waitcnt lgkmcnt(0)
	v_mul_f64 v[16:17], v[6:7], v[120:121]
	v_fmac_f64_e32 v[16:17], v[8:9], v[122:123]
	v_fmac_f64_e32 v[24:25], v[4:5], v[124:125]
	v_add_f64 v[14:15], v[10:11], v[24:25]
	ds_read_b128 v[10:13], v1 offset:1488
	v_add_f64 v[18:19], v[14:15], v[16:17]
	ds_read_b128 v[14:17], v1 offset:1504
	v_mul_f64 v[88:89], v[88:89], v[94:95]
	v_mul_f64 v[92:93], v[92:93], v[116:117]
	s_waitcnt lgkmcnt(1)
	v_mul_f64 v[20:21], v[10:11], v[130:131]
	v_fmac_f64_e32 v[20:21], v[12:13], v[132:133]
	s_waitcnt lgkmcnt(0)
	v_mul_f64 v[24:25], v[14:15], v[126:127]
	v_add_f64 v[22:23], v[18:19], v[20:21]
	ds_read_b128 v[18:21], v1 offset:1520
	v_fmac_f64_e32 v[24:25], v[16:17], v[128:129]
	v_add_f64 v[26:27], v[22:23], v[24:25]
	ds_read_b128 v[22:25], v1 offset:1536
	v_fma_f64 v[234:235], v[90:91], v[248:249], -v[92:93]
	s_waitcnt lgkmcnt(1)
	v_mul_f64 v[28:29], v[18:19], v[142:143]
	v_fmac_f64_e32 v[28:29], v[20:21], v[144:145]
	v_add_f64 v[30:31], v[26:27], v[28:29]
	s_waitcnt lgkmcnt(0)
	v_mul_f64 v[32:33], v[22:23], v[134:135]
	ds_read_b128 v[26:29], v1 offset:1552
	v_fmac_f64_e32 v[32:33], v[24:25], v[136:137]
	v_add_f64 v[34:35], v[30:31], v[32:33]
	ds_read_b128 v[30:33], v1 offset:1568
	v_mul_f64 v[104:105], v[104:105], v[244:245]
	s_waitcnt vmcnt(58) lgkmcnt(1)
	v_mul_f64 v[36:37], v[26:27], v[158:159]
	s_waitcnt vmcnt(56)
	v_fmac_f64_e32 v[36:37], v[28:29], v[162:163]
	v_add_f64 v[38:39], v[34:35], v[36:37]
	s_waitcnt lgkmcnt(0)
	v_mul_f64 v[40:41], v[30:31], v[138:139]
	ds_read_b128 v[34:37], v1 offset:1584
	v_fmac_f64_e32 v[40:41], v[32:33], v[140:141]
	v_add_f64 v[42:43], v[38:39], v[40:41]
	ds_read_b128 v[38:41], v1 offset:1600
	v_mul_f64 v[112:113], v[112:113], v[240:241]
	s_waitcnt vmcnt(50) lgkmcnt(1)
	v_mul_f64 v[44:45], v[34:35], v[166:167]
	s_waitcnt vmcnt(48)
	v_fmac_f64_e32 v[44:45], v[36:37], v[170:171]
	v_add_f64 v[46:47], v[42:43], v[44:45]
	s_waitcnt lgkmcnt(0)
	v_mul_f64 v[48:49], v[38:39], v[146:147]
	v_fmac_f64_e32 v[48:49], v[40:41], v[148:149]
	ds_read_b128 v[42:45], v1 offset:1616
	v_add_f64 v[50:51], v[46:47], v[48:49]
	ds_read_b128 v[46:49], v1 offset:1632
	buffer_load_dword v207, off, s[0:3], 0 offset:892
	buffer_load_dword v209, off, s[0:3], 0 offset:876
	;; [unrolled: 1-line block ×12, first 2 shown]
	v_fma_f64 v[252:253], v[110:111], v[242:243], -v[112:113]
	s_waitcnt vmcnt(54) lgkmcnt(1)
	v_mul_f64 v[52:53], v[42:43], v[174:175]
	s_waitcnt vmcnt(52)
	v_fmac_f64_e32 v[52:53], v[44:45], v[178:179]
	v_add_f64 v[54:55], v[50:51], v[52:53]
	ds_read_b128 v[50:53], v1 offset:1648
	s_waitcnt lgkmcnt(1)
	v_mul_f64 v[56:57], v[46:47], v[150:151]
	v_fmac_f64_e32 v[56:57], v[48:49], v[152:153]
	buffer_load_dword v221, off, s[0:3], 0 offset:924
	buffer_load_dword v220, off, s[0:3], 0 offset:920
	buffer_load_dword v223, off, s[0:3], 0 offset:916
	buffer_load_dword v222, off, s[0:3], 0 offset:912
	buffer_load_dword v218, off, s[0:3], 0 offset:952
	buffer_load_dword v227, off, s[0:3], 0 offset:940
	buffer_load_dword v226, off, s[0:3], 0 offset:936
	buffer_load_dword v239, off, s[0:3], 0 offset:932
	buffer_load_dword v238, off, s[0:3], 0 offset:928
	buffer_load_dword v224, off, s[0:3], 0 offset:944
	buffer_load_dword v219, off, s[0:3], 0 offset:956
	buffer_load_dword v225, off, s[0:3], 0 offset:948
	v_add_f64 v[58:59], v[54:55], v[56:57]
	ds_read_b128 v[54:57], v1 offset:1664
	s_waitcnt vmcnt(58) lgkmcnt(1)
	v_mul_f64 v[60:61], v[50:51], v[182:183]
	s_waitcnt vmcnt(56)
	v_fmac_f64_e32 v[60:61], v[52:53], v[186:187]
	v_add_f64 v[62:63], v[58:59], v[60:61]
	ds_read_b128 v[58:61], v1 offset:1680
	s_waitcnt lgkmcnt(1)
	v_mul_f64 v[64:65], v[54:55], v[154:155]
	v_fmac_f64_e32 v[64:65], v[56:57], v[156:157]
	v_add_f64 v[70:71], v[62:63], v[64:65]
	ds_read_b128 v[62:65], v1 offset:1696
	ds_read_b128 v[66:69], v1 offset:1712
	s_waitcnt vmcnt(50) lgkmcnt(2)
	v_mul_f64 v[72:73], v[58:59], v[190:191]
	s_waitcnt vmcnt(48)
	v_fmac_f64_e32 v[72:73], v[60:61], v[192:193]
	v_add_f64 v[70:71], v[70:71], v[72:73]
	s_waitcnt lgkmcnt(1)
	v_mul_f64 v[72:73], v[62:63], v[160:161]
	v_fmac_f64_e32 v[72:73], v[64:65], v[164:165]
	v_add_f64 v[70:71], v[70:71], v[72:73]
	s_waitcnt vmcnt(42) lgkmcnt(0)
	v_mul_f64 v[72:73], v[66:67], v[194:195]
	s_waitcnt vmcnt(40)
	v_fmac_f64_e32 v[72:73], v[68:69], v[196:197]
	v_add_f64 v[228:229], v[70:71], v[72:73]
	ds_read_b128 v[70:73], v1 offset:1728
	ds_read_b128 v[74:77], v1 offset:1744
	;; [unrolled: 1-line block ×5, first 2 shown]
	s_waitcnt lgkmcnt(4)
	v_mul_f64 v[84:85], v[70:71], v[168:169]
	v_fmac_f64_e32 v[84:85], v[72:73], v[172:173]
	v_add_f64 v[82:83], v[228:229], v[84:85]
	s_waitcnt vmcnt(34) lgkmcnt(3)
	v_mul_f64 v[84:85], v[74:75], v[198:199]
	s_waitcnt vmcnt(32)
	v_fmac_f64_e32 v[84:85], v[76:77], v[200:201]
	v_add_f64 v[82:83], v[82:83], v[84:85]
	v_fma_f64 v[228:229], v[86:87], v[250:251], -v[88:89]
	ds_read_b128 v[86:89], v1 offset:1792
	s_waitcnt lgkmcnt(3)
	v_mul_f64 v[84:85], v[78:79], v[176:177]
	v_fmac_f64_e32 v[84:85], v[80:81], v[180:181]
	v_add_f64 v[96:97], v[82:83], v[84:85]
	ds_read_b128 v[82:85], v1 offset:1776
	v_fma_f64 v[250:251], v[102:103], v[246:247], -v[104:105]
	ds_read_b128 v[110:113], v1 offset:1888
	v_add_f64 v[228:229], v[230:231], v[228:229]
	v_add_f64 v[228:229], v[228:229], v[234:235]
	s_waitcnt vmcnt(26) lgkmcnt(1)
	v_mul_f64 v[94:95], v[82:83], v[202:203]
	s_waitcnt vmcnt(24)
	v_fmac_f64_e32 v[94:95], v[84:85], v[204:205]
	v_add_f64 v[94:95], v[96:97], v[94:95]
	v_mul_f64 v[96:97], v[86:87], v[184:185]
	v_fmac_f64_e32 v[96:97], v[88:89], v[188:189]
	v_add_f64 v[106:107], v[94:95], v[96:97]
	ds_read_b128 v[94:97], v1 offset:1824
	v_add_f64 v[254:255], v[228:229], v[236:237]
	v_add_f64 v[228:229], v[254:255], v[250:251]
	v_mul_f64 v[4:5], v[4:5], v[118:119]
	v_add_f64 v[228:229], v[228:229], v[252:253]
	ds_read_b128 v[102:105], v1 offset:1872
	v_fma_f64 v[2:3], v[2:3], v[124:125], -v[4:5]
	v_mul_f64 v[4:5], v[8:9], v[120:121]
	v_add_f64 v[2:3], v[228:229], v[2:3]
	v_fma_f64 v[4:5], v[6:7], v[122:123], -v[4:5]
	v_add_f64 v[2:3], v[2:3], v[4:5]
	v_mul_f64 v[4:5], v[12:13], v[130:131]
	v_fma_f64 v[4:5], v[10:11], v[132:133], -v[4:5]
	v_add_f64 v[2:3], v[2:3], v[4:5]
	v_mul_f64 v[4:5], v[16:17], v[126:127]
	s_waitcnt vmcnt(21)
	v_mul_f64 v[108:109], v[90:91], v[208:209]
	v_fma_f64 v[4:5], v[14:15], v[128:129], -v[4:5]
	s_waitcnt vmcnt(19)
	v_fmac_f64_e32 v[108:109], v[92:93], v[214:215]
	v_add_f64 v[106:107], v[106:107], v[108:109]
	s_waitcnt vmcnt(18) lgkmcnt(1)
	v_mul_f64 v[108:109], v[94:95], v[206:207]
	s_waitcnt vmcnt(16)
	v_fmac_f64_e32 v[108:109], v[96:97], v[212:213]
	v_add_f64 v[114:115], v[106:107], v[108:109]
	ds_read_b128 v[106:109], v1 offset:1856
	buffer_load_dword v243, off, s[0:3], 0 offset:972
	buffer_load_dword v242, off, s[0:3], 0 offset:968
	;; [unrolled: 1-line block ×4, first 2 shown]
	s_waitcnt vmcnt(18)
	v_mul_f64 v[116:117], v[98:99], v[210:211]
	s_waitcnt vmcnt(16)
	v_fmac_f64_e32 v[116:117], v[100:101], v[216:217]
	v_add_f64 v[114:115], v[114:115], v[116:117]
	s_waitcnt vmcnt(14) lgkmcnt(0)
	v_mul_f64 v[116:117], v[106:107], v[220:221]
	s_waitcnt vmcnt(12)
	v_fmac_f64_e32 v[116:117], v[108:109], v[222:223]
	v_add_f64 v[114:115], v[114:115], v[116:117]
	s_waitcnt vmcnt(9)
	v_mul_f64 v[116:117], v[102:103], v[226:227]
	s_waitcnt vmcnt(7)
	v_fmac_f64_e32 v[116:117], v[104:105], v[238:239]
	v_add_f64 v[114:115], v[114:115], v[116:117]
	s_waitcnt vmcnt(5)
	v_mul_f64 v[116:117], v[110:111], v[218:219]
	s_waitcnt vmcnt(4)
	v_fmac_f64_e32 v[116:117], v[112:113], v[224:225]
	v_add_f64 v[240:241], v[114:115], v[116:117]
	ds_read_b128 v[114:117], v1 offset:1904
	v_add_f64 v[2:3], v[2:3], v[4:5]
	v_mul_f64 v[4:5], v[20:21], v[142:143]
	v_fma_f64 v[4:5], v[18:19], v[144:145], -v[4:5]
	v_add_f64 v[2:3], v[2:3], v[4:5]
	v_mul_f64 v[4:5], v[24:25], v[134:135]
	v_fma_f64 v[4:5], v[22:23], v[136:137], -v[4:5]
	v_add_f64 v[2:3], v[2:3], v[4:5]
	v_mul_f64 v[4:5], v[28:29], v[158:159]
	v_fma_f64 v[4:5], v[26:27], v[162:163], -v[4:5]
	v_add_f64 v[2:3], v[2:3], v[4:5]
	v_mul_f64 v[4:5], v[32:33], v[138:139]
	v_fma_f64 v[4:5], v[30:31], v[140:141], -v[4:5]
	v_add_f64 v[2:3], v[2:3], v[4:5]
	v_mul_f64 v[4:5], v[36:37], v[166:167]
	v_fma_f64 v[4:5], v[34:35], v[170:171], -v[4:5]
	v_add_f64 v[2:3], v[2:3], v[4:5]
	v_mul_f64 v[4:5], v[40:41], v[146:147]
	v_fma_f64 v[4:5], v[38:39], v[148:149], -v[4:5]
	v_add_f64 v[2:3], v[2:3], v[4:5]
	v_mul_f64 v[4:5], v[44:45], v[174:175]
	v_fma_f64 v[4:5], v[42:43], v[178:179], -v[4:5]
	v_add_f64 v[2:3], v[2:3], v[4:5]
	v_mul_f64 v[4:5], v[48:49], v[150:151]
	v_fma_f64 v[4:5], v[46:47], v[152:153], -v[4:5]
	v_add_f64 v[2:3], v[2:3], v[4:5]
	v_mul_f64 v[4:5], v[52:53], v[182:183]
	v_fma_f64 v[4:5], v[50:51], v[186:187], -v[4:5]
	v_add_f64 v[2:3], v[2:3], v[4:5]
	v_mul_f64 v[4:5], v[56:57], v[154:155]
	v_fma_f64 v[4:5], v[54:55], v[156:157], -v[4:5]
	v_add_f64 v[2:3], v[2:3], v[4:5]
	v_mul_f64 v[4:5], v[60:61], v[190:191]
	v_fma_f64 v[4:5], v[58:59], v[192:193], -v[4:5]
	v_add_f64 v[2:3], v[2:3], v[4:5]
	v_mul_f64 v[4:5], v[64:65], v[160:161]
	v_fma_f64 v[4:5], v[62:63], v[164:165], -v[4:5]
	v_add_f64 v[2:3], v[2:3], v[4:5]
	v_mul_f64 v[4:5], v[68:69], v[194:195]
	v_fma_f64 v[4:5], v[66:67], v[196:197], -v[4:5]
	v_add_f64 v[2:3], v[2:3], v[4:5]
	v_mul_f64 v[4:5], v[72:73], v[168:169]
	v_fma_f64 v[4:5], v[70:71], v[172:173], -v[4:5]
	v_add_f64 v[2:3], v[2:3], v[4:5]
	v_mul_f64 v[4:5], v[76:77], v[198:199]
	v_fma_f64 v[4:5], v[74:75], v[200:201], -v[4:5]
	v_add_f64 v[2:3], v[2:3], v[4:5]
	v_mul_f64 v[4:5], v[80:81], v[176:177]
	v_fma_f64 v[4:5], v[78:79], v[180:181], -v[4:5]
	v_add_f64 v[2:3], v[2:3], v[4:5]
	v_mul_f64 v[4:5], v[84:85], v[202:203]
	v_fma_f64 v[4:5], v[82:83], v[204:205], -v[4:5]
	v_add_f64 v[2:3], v[2:3], v[4:5]
	v_mul_f64 v[4:5], v[88:89], v[184:185]
	v_fma_f64 v[4:5], v[86:87], v[188:189], -v[4:5]
	v_add_f64 v[2:3], v[2:3], v[4:5]
	v_mul_f64 v[4:5], v[92:93], v[208:209]
	v_fma_f64 v[4:5], v[90:91], v[214:215], -v[4:5]
	v_add_f64 v[2:3], v[2:3], v[4:5]
	v_mul_f64 v[4:5], v[96:97], v[206:207]
	v_fma_f64 v[4:5], v[94:95], v[212:213], -v[4:5]
	v_add_f64 v[2:3], v[2:3], v[4:5]
	v_mul_f64 v[4:5], v[100:101], v[210:211]
	v_fma_f64 v[4:5], v[98:99], v[216:217], -v[4:5]
	v_add_f64 v[2:3], v[2:3], v[4:5]
	s_waitcnt vmcnt(2) lgkmcnt(0)
	v_mul_f64 v[246:247], v[114:115], v[242:243]
	v_mul_f64 v[4:5], v[108:109], v[220:221]
	s_waitcnt vmcnt(0)
	v_fmac_f64_e32 v[246:247], v[116:117], v[244:245]
	v_add_f64 v[240:241], v[240:241], v[246:247]
	buffer_load_dword v248, off, s[0:3], 0 offset:384
	buffer_load_dword v249, off, s[0:3], 0 offset:388
	;; [unrolled: 1-line block ×4, first 2 shown]
	v_fma_f64 v[4:5], v[106:107], v[222:223], -v[4:5]
	v_add_f64 v[2:3], v[2:3], v[4:5]
	v_mul_f64 v[4:5], v[104:105], v[226:227]
	v_fma_f64 v[4:5], v[102:103], v[238:239], -v[4:5]
	v_add_f64 v[2:3], v[2:3], v[4:5]
	v_mul_f64 v[4:5], v[112:113], v[218:219]
	;; [unrolled: 3-line block ×3, first 2 shown]
	v_fma_f64 v[4:5], v[114:115], v[244:245], -v[4:5]
	v_add_f64 v[2:3], v[2:3], v[4:5]
	v_accvgpr_read_b32 v254, a179
	v_cmp_lt_u32_e32 vcc, 22, v254
	s_waitcnt vmcnt(2)
	v_add_f64 v[2:3], v[248:249], -v[2:3]
	s_waitcnt vmcnt(0)
	v_add_f64 v[4:5], v[246:247], -v[240:241]
	buffer_store_dword v3, off, s[0:3], 0 offset:388
	buffer_store_dword v2, off, s[0:3], 0 offset:384
	buffer_store_dword v5, off, s[0:3], 0 offset:396
	buffer_store_dword v4, off, s[0:3], 0 offset:392
	s_and_saveexec_b64 s[4:5], vcc
	s_cbranch_execz .LBB123_329
; %bb.328:
	v_accvgpr_read_b32 v0, a157
	buffer_load_dword v2, v0, s[0:3], 0 offen
	buffer_load_dword v3, v0, s[0:3], 0 offen offset:4
	buffer_load_dword v4, v0, s[0:3], 0 offen offset:8
	;; [unrolled: 1-line block ×3, first 2 shown]
	v_mov_b32_e32 v0, 0
	v_accvgpr_read_b32 v1, a180
	buffer_store_dword v0, off, s[0:3], 0 offset:368
	buffer_store_dword v0, off, s[0:3], 0 offset:372
	;; [unrolled: 1-line block ×4, first 2 shown]
	s_waitcnt vmcnt(4)
	ds_write_b128 v1, v[2:5]
.LBB123_329:
	s_or_b64 exec, exec, s[4:5]
	s_waitcnt lgkmcnt(0)
	; wave barrier
	s_waitcnt lgkmcnt(0)
	buffer_load_dword v66, off, s[0:3], 0 offset:384
	buffer_load_dword v67, off, s[0:3], 0 offset:388
	;; [unrolled: 1-line block ×55, first 2 shown]
	v_mov_b32_e32 v1, 0
	ds_read_b128 v[74:77], v1 offset:1328
	ds_read_b128 v[86:89], v1 offset:1344
	;; [unrolled: 1-line block ×9, first 2 shown]
	buffer_load_dword v136, off, s[0:3], 0 offset:608
	buffer_load_dword v155, off, s[0:3], 0 offset:604
	;; [unrolled: 1-line block ×61, first 2 shown]
	v_cmp_lt_u32_e32 vcc, 21, v254
	s_waitcnt vmcnt(62) lgkmcnt(8)
	v_mul_f64 v[6:7], v[74:75], v[68:69]
	v_fmac_f64_e32 v[6:7], v[76:77], v[66:67]
	v_add_f64 v[6:7], v[6:7], 0
	v_mul_f64 v[68:69], v[76:77], v[68:69]
	s_waitcnt lgkmcnt(7)
	v_mul_f64 v[8:9], v[86:87], v[72:73]
	v_fmac_f64_e32 v[8:9], v[88:89], v[70:71]
	s_waitcnt lgkmcnt(6)
	v_mul_f64 v[10:11], v[98:99], v[78:79]
	v_add_f64 v[6:7], v[6:7], v[8:9]
	s_waitcnt lgkmcnt(4)
	v_mul_f64 v[14:15], v[114:115], v[90:91]
	v_fma_f64 v[234:235], v[74:75], v[66:67], -v[68:69]
	v_fmac_f64_e32 v[14:15], v[116:117], v[92:93]
	v_mul_f64 v[72:73], v[88:89], v[72:73]
	v_mul_f64 v[12:13], v[110:111], v[82:83]
	v_mul_f64 v[78:79], v[100:101], v[78:79]
	s_waitcnt lgkmcnt(2)
	v_mul_f64 v[18:19], v[240:241], v[102:103]
	v_mul_f64 v[82:83], v[112:113], v[82:83]
	;; [unrolled: 1-line block ×4, first 2 shown]
	v_fma_f64 v[252:253], v[114:115], v[92:93], -v[90:91]
	s_waitcnt lgkmcnt(1)
	v_mul_f64 v[20:21], v[244:245], v[106:107]
	v_fmac_f64_e32 v[20:21], v[246:247], v[108:109]
	v_fmac_f64_e32 v[10:11], v[100:101], v[80:81]
	v_add_f64 v[6:7], v[6:7], v[10:11]
	v_fmac_f64_e32 v[12:13], v[112:113], v[84:85]
	v_add_f64 v[6:7], v[6:7], v[12:13]
	;; [unrolled: 2-line block ×4, first 2 shown]
	v_add_f64 v[6:7], v[6:7], v[18:19]
	v_add_f64 v[10:11], v[6:7], v[20:21]
	ds_read_b128 v[6:9], v1 offset:1472
	s_waitcnt lgkmcnt(1)
	v_mul_f64 v[12:13], v[2:3], v[118:119]
	v_fmac_f64_e32 v[12:13], v[4:5], v[120:121]
	v_add_f64 v[14:15], v[10:11], v[12:13]
	ds_read_b128 v[10:13], v1 offset:1488
	s_waitcnt lgkmcnt(1)
	v_mul_f64 v[16:17], v[6:7], v[126:127]
	v_fmac_f64_e32 v[16:17], v[8:9], v[128:129]
	;; [unrolled: 5-line block ×5, first 2 shown]
	v_add_f64 v[30:31], v[26:27], v[28:29]
	ds_read_b128 v[26:29], v1 offset:1552
	s_waitcnt vmcnt(58) lgkmcnt(1)
	v_mul_f64 v[32:33], v[22:23], v[154:155]
	s_waitcnt vmcnt(56)
	v_fmac_f64_e32 v[32:33], v[24:25], v[158:159]
	v_add_f64 v[34:35], v[30:31], v[32:33]
	ds_read_b128 v[30:33], v1 offset:1568
	s_waitcnt lgkmcnt(1)
	v_mul_f64 v[36:37], v[26:27], v[134:135]
	v_fmac_f64_e32 v[36:37], v[28:29], v[136:137]
	v_add_f64 v[38:39], v[34:35], v[36:37]
	ds_read_b128 v[34:37], v1 offset:1584
	s_waitcnt vmcnt(50) lgkmcnt(1)
	v_mul_f64 v[40:41], v[30:31], v[162:163]
	s_waitcnt vmcnt(48)
	v_fmac_f64_e32 v[40:41], v[32:33], v[166:167]
	v_add_f64 v[42:43], v[38:39], v[40:41]
	ds_read_b128 v[38:41], v1 offset:1600
	s_waitcnt lgkmcnt(1)
	v_mul_f64 v[44:45], v[34:35], v[142:143]
	v_fmac_f64_e32 v[44:45], v[36:37], v[144:145]
	v_add_f64 v[46:47], v[42:43], v[44:45]
	ds_read_b128 v[42:45], v1 offset:1616
	s_waitcnt vmcnt(42) lgkmcnt(1)
	v_mul_f64 v[48:49], v[38:39], v[170:171]
	s_waitcnt vmcnt(40)
	v_fmac_f64_e32 v[48:49], v[40:41], v[174:175]
	v_add_f64 v[50:51], v[46:47], v[48:49]
	ds_read_b128 v[46:49], v1 offset:1632
	buffer_load_dword v203, off, s[0:3], 0 offset:860
	buffer_load_dword v202, off, s[0:3], 0 offset:856
	buffer_load_dword v205, off, s[0:3], 0 offset:852
	buffer_load_dword v204, off, s[0:3], 0 offset:848
	s_waitcnt lgkmcnt(1)
	v_mul_f64 v[52:53], v[42:43], v[146:147]
	v_fmac_f64_e32 v[52:53], v[44:45], v[148:149]
	v_add_f64 v[54:55], v[50:51], v[52:53]
	ds_read_b128 v[50:53], v1 offset:1648
	buffer_load_dword v207, off, s[0:3], 0 offset:876
	buffer_load_dword v206, off, s[0:3], 0 offset:872
	;; [unrolled: 1-line block ×8, first 2 shown]
	s_waitcnt vmcnt(46) lgkmcnt(1)
	v_mul_f64 v[56:57], v[46:47], v[178:179]
	s_waitcnt vmcnt(44)
	v_fmac_f64_e32 v[56:57], v[48:49], v[182:183]
	v_add_f64 v[58:59], v[54:55], v[56:57]
	ds_read_b128 v[54:57], v1 offset:1664
	buffer_load_dword v217, off, s[0:3], 0 offset:908
	buffer_load_dword v216, off, s[0:3], 0 offset:904
	;; [unrolled: 1-line block ×12, first 2 shown]
	s_waitcnt lgkmcnt(1)
	v_mul_f64 v[60:61], v[50:51], v[150:151]
	v_fmac_f64_e32 v[60:61], v[52:53], v[152:153]
	v_add_f64 v[62:63], v[58:59], v[60:61]
	ds_read_b128 v[58:61], v1 offset:1680
	s_waitcnt vmcnt(50) lgkmcnt(1)
	v_mul_f64 v[64:65], v[54:55], v[186:187]
	s_waitcnt vmcnt(48)
	v_fmac_f64_e32 v[64:65], v[56:57], v[188:189]
	v_add_f64 v[62:63], v[62:63], v[64:65]
	buffer_load_dword v227, off, s[0:3], 0 offset:956
	buffer_load_dword v226, off, s[0:3], 0 offset:952
	;; [unrolled: 1-line block ×4, first 2 shown]
	s_waitcnt lgkmcnt(0)
	v_mul_f64 v[64:65], v[58:59], v[156:157]
	v_fmac_f64_e32 v[64:65], v[60:61], v[160:161]
	v_add_f64 v[232:233], v[62:63], v[64:65]
	ds_read_b128 v[62:65], v1 offset:1696
	ds_read_b128 v[66:69], v1 offset:1712
	v_fma_f64 v[236:237], v[98:99], v[80:81], -v[78:79]
	ds_read_b128 v[78:81], v1 offset:1760
	v_fma_f64 v[248:249], v[110:111], v[84:85], -v[82:83]
	ds_read_b128 v[82:85], v1 offset:1776
	s_waitcnt vmcnt(46) lgkmcnt(3)
	v_mul_f64 v[74:75], v[62:63], v[190:191]
	s_waitcnt vmcnt(44)
	v_fmac_f64_e32 v[74:75], v[64:65], v[192:193]
	v_add_f64 v[74:75], v[232:233], v[74:75]
	v_fma_f64 v[232:233], v[86:87], v[70:71], -v[72:73]
	ds_read_b128 v[70:73], v1 offset:1728
	s_waitcnt lgkmcnt(3)
	v_mul_f64 v[76:77], v[66:67], v[164:165]
	v_fmac_f64_e32 v[76:77], v[68:69], v[168:169]
	v_add_f64 v[86:87], v[74:75], v[76:77]
	ds_read_b128 v[74:77], v1 offset:1744
	s_waitcnt vmcnt(38) lgkmcnt(1)
	v_mul_f64 v[88:89], v[70:71], v[194:195]
	s_waitcnt vmcnt(36)
	v_fmac_f64_e32 v[88:89], v[72:73], v[196:197]
	v_add_f64 v[86:87], v[86:87], v[88:89]
	ds_read_b128 v[90:93], v1 offset:1808
	s_waitcnt lgkmcnt(1)
	v_mul_f64 v[88:89], v[74:75], v[172:173]
	v_fmac_f64_e32 v[88:89], v[76:77], v[176:177]
	v_add_f64 v[86:87], v[86:87], v[88:89]
	s_waitcnt vmcnt(30)
	v_mul_f64 v[88:89], v[78:79], v[198:199]
	s_waitcnt vmcnt(28)
	v_fmac_f64_e32 v[88:89], v[80:81], v[200:201]
	v_add_f64 v[86:87], v[86:87], v[88:89]
	v_mul_f64 v[88:89], v[82:83], v[180:181]
	v_fmac_f64_e32 v[88:89], v[84:85], v[184:185]
	v_add_f64 v[98:99], v[86:87], v[88:89]
	ds_read_b128 v[86:89], v1 offset:1792
	v_mul_f64 v[94:95], v[230:231], v[94:95]
	v_fma_f64 v[228:229], v[228:229], v[96:97], -v[94:95]
	ds_read_b128 v[94:97], v1 offset:1824
	v_mul_f64 v[102:103], v[242:243], v[102:103]
	v_fma_f64 v[230:231], v[240:241], v[104:105], -v[102:103]
	;; [unrolled: 3-line block ×3, first 2 shown]
	v_add_f64 v[234:235], v[234:235], 0
	v_add_f64 v[232:233], v[234:235], v[232:233]
	;; [unrolled: 1-line block ×7, first 2 shown]
	v_mul_f64 v[4:5], v[4:5], v[118:119]
	v_add_f64 v[228:229], v[252:253], v[250:251]
	v_fma_f64 v[2:3], v[2:3], v[120:121], -v[4:5]
	v_mul_f64 v[4:5], v[8:9], v[126:127]
	v_add_f64 v[2:3], v[228:229], v[2:3]
	v_fma_f64 v[4:5], v[6:7], v[128:129], -v[4:5]
	v_add_f64 v[2:3], v[2:3], v[4:5]
	ds_read_b128 v[106:109], v1 offset:1872
	v_mul_f64 v[4:5], v[12:13], v[122:123]
	v_fma_f64 v[4:5], v[10:11], v[124:125], -v[4:5]
	v_add_f64 v[2:3], v[2:3], v[4:5]
	s_waitcnt vmcnt(26) lgkmcnt(3)
	v_mul_f64 v[100:101], v[86:87], v[202:203]
	v_mul_f64 v[4:5], v[16:17], v[138:139]
	s_waitcnt vmcnt(24)
	v_fmac_f64_e32 v[100:101], v[88:89], v[204:205]
	v_add_f64 v[98:99], v[98:99], v[100:101]
	s_waitcnt vmcnt(22)
	v_mul_f64 v[100:101], v[90:91], v[206:207]
	s_waitcnt vmcnt(20)
	v_fmac_f64_e32 v[100:101], v[92:93], v[210:211]
	v_add_f64 v[98:99], v[98:99], v[100:101]
	s_waitcnt vmcnt(18) lgkmcnt(2)
	v_mul_f64 v[100:101], v[94:95], v[208:209]
	s_waitcnt vmcnt(16)
	v_fmac_f64_e32 v[100:101], v[96:97], v[212:213]
	v_add_f64 v[110:111], v[98:99], v[100:101]
	ds_read_b128 v[98:101], v1 offset:1840
	v_fma_f64 v[4:5], v[14:15], v[140:141], -v[4:5]
	v_add_f64 v[2:3], v[2:3], v[4:5]
	v_mul_f64 v[4:5], v[20:21], v[130:131]
	v_fma_f64 v[4:5], v[18:19], v[132:133], -v[4:5]
	s_waitcnt vmcnt(14) lgkmcnt(0)
	v_mul_f64 v[112:113], v[98:99], v[216:217]
	s_waitcnt vmcnt(12)
	v_fmac_f64_e32 v[112:113], v[100:101], v[218:219]
	v_add_f64 v[110:111], v[110:111], v[112:113]
	s_waitcnt vmcnt(9)
	v_mul_f64 v[112:113], v[102:103], v[222:223]
	s_waitcnt vmcnt(7)
	v_fmac_f64_e32 v[112:113], v[104:105], v[224:225]
	v_add_f64 v[110:111], v[110:111], v[112:113]
	s_waitcnt vmcnt(5)
	v_mul_f64 v[112:113], v[106:107], v[214:215]
	s_waitcnt vmcnt(4)
	v_fmac_f64_e32 v[112:113], v[108:109], v[220:221]
	v_add_f64 v[114:115], v[110:111], v[112:113]
	ds_read_b128 v[110:113], v1 offset:1888
	buffer_load_dword v242, off, s[0:3], 0 offset:968
	buffer_load_dword v243, off, s[0:3], 0 offset:972
	;; [unrolled: 1-line block ×4, first 2 shown]
	v_add_f64 v[2:3], v[2:3], v[4:5]
	v_mul_f64 v[4:5], v[24:25], v[154:155]
	v_fma_f64 v[4:5], v[22:23], v[158:159], -v[4:5]
	s_waitcnt vmcnt(6) lgkmcnt(0)
	v_mul_f64 v[116:117], v[110:111], v[226:227]
	s_waitcnt vmcnt(4)
	v_fmac_f64_e32 v[116:117], v[112:113], v[238:239]
	v_add_f64 v[240:241], v[114:115], v[116:117]
	ds_read_b128 v[114:117], v1 offset:1904
	buffer_load_dword v248, off, s[0:3], 0 offset:368
	buffer_load_dword v249, off, s[0:3], 0 offset:372
	v_add_f64 v[2:3], v[2:3], v[4:5]
	v_mul_f64 v[4:5], v[28:29], v[134:135]
	v_fma_f64 v[4:5], v[26:27], v[136:137], -v[4:5]
	v_add_f64 v[2:3], v[2:3], v[4:5]
	v_mul_f64 v[4:5], v[32:33], v[162:163]
	v_fma_f64 v[4:5], v[30:31], v[166:167], -v[4:5]
	v_add_f64 v[2:3], v[2:3], v[4:5]
	v_mul_f64 v[4:5], v[36:37], v[142:143]
	v_fma_f64 v[4:5], v[34:35], v[144:145], -v[4:5]
	v_add_f64 v[2:3], v[2:3], v[4:5]
	v_mul_f64 v[4:5], v[40:41], v[170:171]
	v_fma_f64 v[4:5], v[38:39], v[174:175], -v[4:5]
	v_add_f64 v[2:3], v[2:3], v[4:5]
	v_mul_f64 v[4:5], v[44:45], v[146:147]
	v_fma_f64 v[4:5], v[42:43], v[148:149], -v[4:5]
	v_add_f64 v[2:3], v[2:3], v[4:5]
	v_mul_f64 v[4:5], v[48:49], v[178:179]
	v_fma_f64 v[4:5], v[46:47], v[182:183], -v[4:5]
	v_add_f64 v[2:3], v[2:3], v[4:5]
	v_mul_f64 v[4:5], v[52:53], v[150:151]
	v_fma_f64 v[4:5], v[50:51], v[152:153], -v[4:5]
	v_add_f64 v[2:3], v[2:3], v[4:5]
	v_mul_f64 v[4:5], v[56:57], v[186:187]
	v_fma_f64 v[4:5], v[54:55], v[188:189], -v[4:5]
	v_add_f64 v[2:3], v[2:3], v[4:5]
	v_mul_f64 v[4:5], v[60:61], v[156:157]
	v_fma_f64 v[4:5], v[58:59], v[160:161], -v[4:5]
	v_add_f64 v[2:3], v[2:3], v[4:5]
	v_mul_f64 v[4:5], v[64:65], v[190:191]
	v_fma_f64 v[4:5], v[62:63], v[192:193], -v[4:5]
	v_add_f64 v[2:3], v[2:3], v[4:5]
	v_mul_f64 v[4:5], v[68:69], v[164:165]
	v_fma_f64 v[4:5], v[66:67], v[168:169], -v[4:5]
	v_add_f64 v[2:3], v[2:3], v[4:5]
	v_mul_f64 v[4:5], v[72:73], v[194:195]
	v_fma_f64 v[4:5], v[70:71], v[196:197], -v[4:5]
	v_add_f64 v[2:3], v[2:3], v[4:5]
	v_mul_f64 v[4:5], v[76:77], v[172:173]
	v_fma_f64 v[4:5], v[74:75], v[176:177], -v[4:5]
	v_add_f64 v[2:3], v[2:3], v[4:5]
	v_mul_f64 v[4:5], v[80:81], v[198:199]
	v_fma_f64 v[4:5], v[78:79], v[200:201], -v[4:5]
	v_add_f64 v[2:3], v[2:3], v[4:5]
	v_mul_f64 v[4:5], v[84:85], v[180:181]
	v_fma_f64 v[4:5], v[82:83], v[184:185], -v[4:5]
	v_add_f64 v[2:3], v[2:3], v[4:5]
	v_mul_f64 v[4:5], v[88:89], v[202:203]
	v_fma_f64 v[4:5], v[86:87], v[204:205], -v[4:5]
	v_add_f64 v[2:3], v[2:3], v[4:5]
	v_mul_f64 v[4:5], v[92:93], v[206:207]
	v_fma_f64 v[4:5], v[90:91], v[210:211], -v[4:5]
	v_add_f64 v[2:3], v[2:3], v[4:5]
	v_mul_f64 v[4:5], v[96:97], v[208:209]
	v_fma_f64 v[4:5], v[94:95], v[212:213], -v[4:5]
	v_add_f64 v[2:3], v[2:3], v[4:5]
	v_mul_f64 v[4:5], v[100:101], v[216:217]
	v_fma_f64 v[4:5], v[98:99], v[218:219], -v[4:5]
	v_add_f64 v[2:3], v[2:3], v[4:5]
	v_mul_f64 v[4:5], v[104:105], v[222:223]
	v_fma_f64 v[4:5], v[102:103], v[224:225], -v[4:5]
	v_add_f64 v[2:3], v[2:3], v[4:5]
	v_mul_f64 v[4:5], v[108:109], v[214:215]
	v_fma_f64 v[4:5], v[106:107], v[220:221], -v[4:5]
	v_add_f64 v[2:3], v[2:3], v[4:5]
	v_mul_f64 v[4:5], v[112:113], v[226:227]
	v_fma_f64 v[4:5], v[110:111], v[238:239], -v[4:5]
	v_add_f64 v[2:3], v[2:3], v[4:5]
	s_waitcnt vmcnt(4) lgkmcnt(0)
	v_mul_f64 v[246:247], v[114:115], v[242:243]
	v_mul_f64 v[4:5], v[116:117], v[242:243]
	s_waitcnt vmcnt(2)
	v_fmac_f64_e32 v[246:247], v[116:117], v[244:245]
	v_add_f64 v[240:241], v[240:241], v[246:247]
	buffer_load_dword v246, off, s[0:3], 0 offset:376
	buffer_load_dword v247, off, s[0:3], 0 offset:380
	v_fma_f64 v[4:5], v[114:115], v[244:245], -v[4:5]
	v_add_f64 v[2:3], v[2:3], v[4:5]
	s_waitcnt vmcnt(2)
	v_add_f64 v[2:3], v[248:249], -v[2:3]
	s_waitcnt vmcnt(0)
	v_add_f64 v[4:5], v[246:247], -v[240:241]
	buffer_store_dword v3, off, s[0:3], 0 offset:372
	buffer_store_dword v2, off, s[0:3], 0 offset:368
	;; [unrolled: 1-line block ×4, first 2 shown]
	s_and_saveexec_b64 s[4:5], vcc
	s_cbranch_execz .LBB123_331
; %bb.330:
	v_accvgpr_read_b32 v0, a158
	buffer_load_dword v2, v0, s[0:3], 0 offen
	buffer_load_dword v3, v0, s[0:3], 0 offen offset:4
	buffer_load_dword v4, v0, s[0:3], 0 offen offset:8
	;; [unrolled: 1-line block ×3, first 2 shown]
	v_accvgpr_read_b32 v0, a180
	buffer_store_dword v1, off, s[0:3], 0 offset:352
	buffer_store_dword v1, off, s[0:3], 0 offset:356
	buffer_store_dword v1, off, s[0:3], 0 offset:360
	buffer_store_dword v1, off, s[0:3], 0 offset:364
	s_waitcnt vmcnt(4)
	ds_write_b128 v0, v[2:5]
.LBB123_331:
	s_or_b64 exec, exec, s[4:5]
	s_waitcnt lgkmcnt(0)
	; wave barrier
	s_waitcnt lgkmcnt(0)
	buffer_load_dword v66, off, s[0:3], 0 offset:368
	buffer_load_dword v67, off, s[0:3], 0 offset:372
	;; [unrolled: 1-line block ×42, first 2 shown]
	ds_read_b128 v[78:81], v1 offset:1312
	ds_read_b128 v[90:93], v1 offset:1328
	;; [unrolled: 1-line block ×10, first 2 shown]
	buffer_load_dword v129, off, s[0:3], 0 offset:516
	buffer_load_dword v128, off, s[0:3], 0 offset:512
	ds_read_b128 v[6:9], v1 offset:1472
	buffer_load_dword v125, off, s[0:3], 0 offset:572
	buffer_load_dword v124, off, s[0:3], 0 offset:568
	buffer_load_dword v127, off, s[0:3], 0 offset:564
	buffer_load_dword v126, off, s[0:3], 0 offset:560
	buffer_load_dword v131, off, s[0:3], 0 offset:556
	buffer_load_dword v130, off, s[0:3], 0 offset:552
	buffer_load_dword v147, off, s[0:3], 0 offset:548
	buffer_load_dword v146, off, s[0:3], 0 offset:544
	buffer_load_dword v133, off, s[0:3], 0 offset:604
	buffer_load_dword v132, off, s[0:3], 0 offset:600
	buffer_load_dword v135, off, s[0:3], 0 offset:596
	buffer_load_dword v134, off, s[0:3], 0 offset:592
	buffer_load_dword v151, off, s[0:3], 0 offset:588
	buffer_load_dword v150, off, s[0:3], 0 offset:584
	buffer_load_dword v155, off, s[0:3], 0 offset:580
	buffer_load_dword v154, off, s[0:3], 0 offset:576
	buffer_load_dword v137, off, s[0:3], 0 offset:636
	buffer_load_dword v136, off, s[0:3], 0 offset:632
	buffer_load_dword v139, off, s[0:3], 0 offset:628
	buffer_load_dword v138, off, s[0:3], 0 offset:624
	buffer_load_dword v159, off, s[0:3], 0 offset:620
	buffer_load_dword v158, off, s[0:3], 0 offset:616
	buffer_load_dword v163, off, s[0:3], 0 offset:612
	buffer_load_dword v162, off, s[0:3], 0 offset:608
	buffer_load_dword v141, off, s[0:3], 0 offset:668
	buffer_load_dword v140, off, s[0:3], 0 offset:664
	buffer_load_dword v143, off, s[0:3], 0 offset:660
	buffer_load_dword v142, off, s[0:3], 0 offset:656
	buffer_load_dword v167, off, s[0:3], 0 offset:652
	buffer_load_dword v166, off, s[0:3], 0 offset:648
	buffer_load_dword v171, off, s[0:3], 0 offset:644
	buffer_load_dword v170, off, s[0:3], 0 offset:640
	buffer_load_dword v145, off, s[0:3], 0 offset:700
	buffer_load_dword v144, off, s[0:3], 0 offset:696
	buffer_load_dword v149, off, s[0:3], 0 offset:692
	buffer_load_dword v148, off, s[0:3], 0 offset:688
	buffer_load_dword v175, off, s[0:3], 0 offset:684
	buffer_load_dword v174, off, s[0:3], 0 offset:680
	buffer_load_dword v179, off, s[0:3], 0 offset:676
	buffer_load_dword v178, off, s[0:3], 0 offset:672
	buffer_load_dword v153, off, s[0:3], 0 offset:732
	buffer_load_dword v152, off, s[0:3], 0 offset:728
	buffer_load_dword v157, off, s[0:3], 0 offset:724
	buffer_load_dword v156, off, s[0:3], 0 offset:720
	buffer_load_dword v183, off, s[0:3], 0 offset:716
	buffer_load_dword v182, off, s[0:3], 0 offset:712
	buffer_load_dword v187, off, s[0:3], 0 offset:708
	buffer_load_dword v186, off, s[0:3], 0 offset:704
	buffer_load_dword v161, off, s[0:3], 0 offset:764
	buffer_load_dword v160, off, s[0:3], 0 offset:760
	buffer_load_dword v165, off, s[0:3], 0 offset:756
	buffer_load_dword v164, off, s[0:3], 0 offset:752
	buffer_load_dword v191, off, s[0:3], 0 offset:748
	buffer_load_dword v190, off, s[0:3], 0 offset:744
	buffer_load_dword v193, off, s[0:3], 0 offset:740
	buffer_load_dword v192, off, s[0:3], 0 offset:736
	buffer_load_dword v169, off, s[0:3], 0 offset:796
	buffer_load_dword v168, off, s[0:3], 0 offset:792
	buffer_load_dword v173, off, s[0:3], 0 offset:788
	buffer_load_dword v172, off, s[0:3], 0 offset:784
	buffer_load_dword v195, off, s[0:3], 0 offset:780
	buffer_load_dword v194, off, s[0:3], 0 offset:776
	buffer_load_dword v197, off, s[0:3], 0 offset:772
	buffer_load_dword v196, off, s[0:3], 0 offset:768
	buffer_load_dword v177, off, s[0:3], 0 offset:828
	buffer_load_dword v176, off, s[0:3], 0 offset:824
	buffer_load_dword v181, off, s[0:3], 0 offset:820
	buffer_load_dword v180, off, s[0:3], 0 offset:816
	buffer_load_dword v199, off, s[0:3], 0 offset:812
	buffer_load_dword v198, off, s[0:3], 0 offset:808
	buffer_load_dword v201, off, s[0:3], 0 offset:804
	buffer_load_dword v200, off, s[0:3], 0 offset:800
	buffer_load_dword v185, off, s[0:3], 0 offset:860
	buffer_load_dword v184, off, s[0:3], 0 offset:856
	buffer_load_dword v189, off, s[0:3], 0 offset:852
	buffer_load_dword v188, off, s[0:3], 0 offset:848
	buffer_load_dword v203, off, s[0:3], 0 offset:844
	buffer_load_dword v202, off, s[0:3], 0 offset:840
	buffer_load_dword v205, off, s[0:3], 0 offset:836
	buffer_load_dword v204, off, s[0:3], 0 offset:832
	s_waitcnt vmcnt(62) lgkmcnt(10)
	v_mul_f64 v[10:11], v[78:79], v[68:69]
	v_fmac_f64_e32 v[10:11], v[80:81], v[66:67]
	v_add_f64 v[10:11], v[10:11], 0
	v_mul_f64 v[68:69], v[80:81], v[68:69]
	s_waitcnt lgkmcnt(9)
	v_mul_f64 v[12:13], v[90:91], v[64:65]
	v_fmac_f64_e32 v[12:13], v[92:93], v[62:63]
	s_waitcnt lgkmcnt(8)
	v_mul_f64 v[14:15], v[102:103], v[70:71]
	v_add_f64 v[10:11], v[10:11], v[12:13]
	s_waitcnt lgkmcnt(6)
	v_mul_f64 v[18:19], v[114:115], v[82:83]
	v_mul_f64 v[64:65], v[92:93], v[64:65]
	v_fmac_f64_e32 v[18:19], v[116:117], v[84:85]
	v_fma_f64 v[236:237], v[90:91], v[62:63], -v[64:65]
	v_mul_f64 v[16:17], v[110:111], v[74:75]
	v_fma_f64 v[234:235], v[78:79], v[66:67], -v[68:69]
	s_waitcnt lgkmcnt(4)
	v_mul_f64 v[22:23], v[240:241], v[94:95]
	v_mul_f64 v[70:71], v[104:105], v[70:71]
	v_fmac_f64_e32 v[22:23], v[242:243], v[96:97]
	v_mul_f64 v[74:75], v[112:113], v[74:75]
	v_mul_f64 v[20:21], v[228:229], v[86:87]
	;; [unrolled: 1-line block ×3, first 2 shown]
	s_waitcnt lgkmcnt(2)
	v_mul_f64 v[26:27], v[252:253], v[106:107]
	v_fma_f64 v[250:251], v[114:115], v[84:85], -v[82:83]
	v_mul_f64 v[86:87], v[230:231], v[86:87]
	v_mul_f64 v[24:25], v[244:245], v[98:99]
	;; [unrolled: 1-line block ×3, first 2 shown]
	s_waitcnt lgkmcnt(1)
	v_mul_f64 v[28:29], v[118:119], v[4:5]
	v_mul_f64 v[98:99], v[246:247], v[98:99]
	v_fmac_f64_e32 v[14:15], v[104:105], v[72:73]
	v_add_f64 v[10:11], v[10:11], v[14:15]
	v_fmac_f64_e32 v[16:17], v[112:113], v[76:77]
	v_add_f64 v[10:11], v[10:11], v[16:17]
	;; [unrolled: 2-line block ×3, first 2 shown]
	v_add_f64 v[10:11], v[10:11], v[20:21]
	v_fmac_f64_e32 v[24:25], v[246:247], v[100:101]
	v_add_f64 v[10:11], v[10:11], v[22:23]
	v_fmac_f64_e32 v[26:27], v[254:255], v[108:109]
	v_add_f64 v[10:11], v[10:11], v[24:25]
	v_add_f64 v[10:11], v[10:11], v[26:27]
	s_waitcnt lgkmcnt(0)
	v_mul_f64 v[16:17], v[6:7], v[2:3]
	v_fmac_f64_e32 v[28:29], v[120:121], v[128:129]
	v_add_f64 v[14:15], v[10:11], v[28:29]
	ds_read_b128 v[10:13], v1 offset:1488
	v_fmac_f64_e32 v[16:17], v[8:9], v[122:123]
	v_add_f64 v[18:19], v[14:15], v[16:17]
	ds_read_b128 v[14:17], v1 offset:1504
	v_fma_f64 v[248:249], v[110:111], v[76:77], -v[74:75]
	s_waitcnt lgkmcnt(1)
	v_mul_f64 v[20:21], v[10:11], v[130:131]
	v_fmac_f64_e32 v[20:21], v[12:13], v[146:147]
	v_add_f64 v[22:23], v[18:19], v[20:21]
	ds_read_b128 v[18:21], v1 offset:1520
	s_waitcnt lgkmcnt(1)
	v_mul_f64 v[24:25], v[14:15], v[124:125]
	v_fmac_f64_e32 v[24:25], v[16:17], v[126:127]
	v_add_f64 v[26:27], v[22:23], v[24:25]
	ds_read_b128 v[22:25], v1 offset:1536
	;; [unrolled: 5-line block ×4, first 2 shown]
	s_waitcnt vmcnt(58) lgkmcnt(1)
	v_mul_f64 v[36:37], v[26:27], v[158:159]
	s_waitcnt vmcnt(56)
	v_fmac_f64_e32 v[36:37], v[28:29], v[162:163]
	v_add_f64 v[38:39], v[34:35], v[36:37]
	ds_read_b128 v[34:37], v1 offset:1584
	s_waitcnt lgkmcnt(1)
	v_mul_f64 v[40:41], v[30:31], v[136:137]
	v_fmac_f64_e32 v[40:41], v[32:33], v[138:139]
	v_add_f64 v[42:43], v[38:39], v[40:41]
	ds_read_b128 v[38:41], v1 offset:1600
	s_waitcnt vmcnt(50) lgkmcnt(1)
	v_mul_f64 v[44:45], v[34:35], v[166:167]
	s_waitcnt vmcnt(48)
	v_fmac_f64_e32 v[44:45], v[36:37], v[170:171]
	v_add_f64 v[46:47], v[42:43], v[44:45]
	ds_read_b128 v[42:45], v1 offset:1616
	s_waitcnt lgkmcnt(1)
	v_mul_f64 v[48:49], v[38:39], v[140:141]
	v_fmac_f64_e32 v[48:49], v[40:41], v[142:143]
	v_add_f64 v[50:51], v[46:47], v[48:49]
	ds_read_b128 v[46:49], v1 offset:1632
	s_waitcnt vmcnt(42) lgkmcnt(1)
	v_mul_f64 v[52:53], v[42:43], v[174:175]
	s_waitcnt vmcnt(40)
	v_fmac_f64_e32 v[52:53], v[44:45], v[178:179]
	v_add_f64 v[54:55], v[50:51], v[52:53]
	ds_read_b128 v[50:53], v1 offset:1648
	s_waitcnt lgkmcnt(1)
	v_mul_f64 v[56:57], v[46:47], v[144:145]
	buffer_load_dword v207, off, s[0:3], 0 offset:876
	buffer_load_dword v206, off, s[0:3], 0 offset:872
	;; [unrolled: 1-line block ×4, first 2 shown]
	v_fmac_f64_e32 v[56:57], v[48:49], v[148:149]
	v_add_f64 v[58:59], v[54:55], v[56:57]
	ds_read_b128 v[54:57], v1 offset:1664
	buffer_load_dword v212, off, s[0:3], 0 offset:888
	buffer_load_dword v214, off, s[0:3], 0 offset:880
	;; [unrolled: 1-line block ×16, first 2 shown]
	s_waitcnt vmcnt(54) lgkmcnt(1)
	v_mul_f64 v[60:61], v[50:51], v[182:183]
	s_waitcnt vmcnt(52)
	v_fmac_f64_e32 v[60:61], v[52:53], v[186:187]
	v_add_f64 v[232:233], v[58:59], v[60:61]
	ds_read_b128 v[58:61], v1 offset:1680
	buffer_load_dword v226, off, s[0:3], 0 offset:952
	buffer_load_dword v238, off, s[0:3], 0 offset:944
	;; [unrolled: 1-line block ×4, first 2 shown]
	ds_read_b128 v[62:65], v1 offset:1696
	s_waitcnt lgkmcnt(2)
	v_mul_f64 v[66:67], v[54:55], v[152:153]
	v_fmac_f64_e32 v[66:67], v[56:57], v[156:157]
	s_waitcnt vmcnt(50) lgkmcnt(1)
	v_mul_f64 v[68:69], v[58:59], v[190:191]
	v_add_f64 v[66:67], v[232:233], v[66:67]
	s_waitcnt vmcnt(48)
	v_fmac_f64_e32 v[68:69], v[60:61], v[192:193]
	v_add_f64 v[66:67], v[66:67], v[68:69]
	v_fma_f64 v[232:233], v[102:103], v[72:73], -v[70:71]
	ds_read_b128 v[70:73], v1 offset:1728
	s_waitcnt lgkmcnt(1)
	v_mul_f64 v[68:69], v[62:63], v[160:161]
	v_fmac_f64_e32 v[68:69], v[64:65], v[164:165]
	v_add_f64 v[78:79], v[66:67], v[68:69]
	ds_read_b128 v[66:69], v1 offset:1712
	ds_read_b128 v[74:77], v1 offset:1744
	;; [unrolled: 1-line block ×3, first 2 shown]
	v_fma_f64 v[230:231], v[228:229], v[88:89], -v[86:87]
	ds_read_b128 v[86:89], v1 offset:1792
	s_waitcnt vmcnt(42) lgkmcnt(3)
	v_mul_f64 v[80:81], v[66:67], v[194:195]
	s_waitcnt vmcnt(40)
	v_fmac_f64_e32 v[80:81], v[68:69], v[196:197]
	v_add_f64 v[78:79], v[78:79], v[80:81]
	v_mul_f64 v[80:81], v[70:71], v[168:169]
	v_fmac_f64_e32 v[80:81], v[72:73], v[172:173]
	v_add_f64 v[90:91], v[78:79], v[80:81]
	ds_read_b128 v[78:81], v1 offset:1760
	s_waitcnt vmcnt(34) lgkmcnt(3)
	v_mul_f64 v[92:93], v[74:75], v[198:199]
	s_waitcnt vmcnt(32)
	v_fmac_f64_e32 v[92:93], v[76:77], v[200:201]
	v_add_f64 v[90:91], v[90:91], v[92:93]
	v_accvgpr_write_b32 a183, v3
	s_waitcnt lgkmcnt(0)
	v_mul_f64 v[92:93], v[78:79], v[176:177]
	v_fmac_f64_e32 v[92:93], v[80:81], v[180:181]
	v_add_f64 v[90:91], v[90:91], v[92:93]
	s_waitcnt vmcnt(26)
	v_mul_f64 v[92:93], v[82:83], v[202:203]
	s_waitcnt vmcnt(24)
	v_fmac_f64_e32 v[92:93], v[84:85], v[204:205]
	v_accvgpr_write_b32 a182, v2
	v_add_f64 v[90:91], v[90:91], v[92:93]
	v_fma_f64 v[2:3], v[240:241], v[96:97], -v[94:95]
	ds_read_b128 v[94:97], v1 offset:1824
	v_mul_f64 v[92:93], v[86:87], v[184:185]
	v_fmac_f64_e32 v[92:93], v[88:89], v[188:189]
	v_add_f64 v[102:103], v[90:91], v[92:93]
	ds_read_b128 v[90:93], v1 offset:1808
	v_fma_f64 v[228:229], v[244:245], v[100:101], -v[98:99]
	ds_read_b128 v[98:101], v1 offset:1840
	v_mul_f64 v[106:107], v[254:255], v[106:107]
	v_fma_f64 v[252:253], v[252:253], v[108:109], -v[106:107]
	v_add_f64 v[234:235], v[234:235], 0
	v_add_f64 v[234:235], v[234:235], v[236:237]
	;; [unrolled: 1-line block ×8, first 2 shown]
	v_mul_f64 v[4:5], v[120:121], v[4:5]
	v_add_f64 v[2:3], v[2:3], v[252:253]
	v_fma_f64 v[4:5], v[118:119], v[128:129], -v[4:5]
	v_add_f64 v[2:3], v[2:3], v[4:5]
	ds_read_b128 v[106:109], v1 offset:1872
	s_waitcnt vmcnt(13) lgkmcnt(1)
	v_mul_f64 v[112:113], v[98:99], v[216:217]
	v_mul_f64 v[104:105], v[90:91], v[206:207]
	s_waitcnt vmcnt(11)
	v_fmac_f64_e32 v[112:113], v[100:101], v[222:223]
	v_fmac_f64_e32 v[104:105], v[92:93], v[208:209]
	v_add_f64 v[102:103], v[102:103], v[104:105]
	v_mul_f64 v[104:105], v[94:95], v[212:213]
	v_fmac_f64_e32 v[104:105], v[96:97], v[214:215]
	v_add_f64 v[110:111], v[102:103], v[104:105]
	ds_read_b128 v[102:105], v1 offset:1856
	v_add_f64 v[110:111], v[110:111], v[112:113]
	s_waitcnt vmcnt(10) lgkmcnt(0)
	v_mul_f64 v[112:113], v[102:103], v[210:211]
	s_waitcnt vmcnt(8)
	v_fmac_f64_e32 v[112:113], v[104:105], v[220:221]
	v_add_f64 v[110:111], v[110:111], v[112:113]
	s_waitcnt vmcnt(6)
	v_mul_f64 v[112:113], v[106:107], v[218:219]
	s_waitcnt vmcnt(4)
	v_fmac_f64_e32 v[112:113], v[108:109], v[224:225]
	v_add_f64 v[114:115], v[110:111], v[112:113]
	ds_read_b128 v[110:113], v1 offset:1888
	buffer_load_dword v243, off, s[0:3], 0 offset:972
	buffer_load_dword v242, off, s[0:3], 0 offset:968
	;; [unrolled: 1-line block ×4, first 2 shown]
	s_waitcnt vmcnt(5) lgkmcnt(0)
	v_mul_f64 v[116:117], v[110:111], v[226:227]
	s_waitcnt vmcnt(4)
	v_fmac_f64_e32 v[116:117], v[112:113], v[238:239]
	v_add_f64 v[240:241], v[114:115], v[116:117]
	ds_read_b128 v[114:117], v1 offset:1904
	v_accvgpr_read_b32 v0, a182
	v_accvgpr_read_b32 v1, a183
	v_mul_f64 v[4:5], v[8:9], v[0:1]
	v_fma_f64 v[4:5], v[6:7], v[122:123], -v[4:5]
	v_add_f64 v[2:3], v[2:3], v[4:5]
	v_mul_f64 v[4:5], v[12:13], v[130:131]
	v_fma_f64 v[4:5], v[10:11], v[146:147], -v[4:5]
	v_add_f64 v[2:3], v[2:3], v[4:5]
	;; [unrolled: 3-line block ×22, first 2 shown]
	v_mul_f64 v[4:5], v[96:97], v[212:213]
	v_fma_f64 v[4:5], v[94:95], v[214:215], -v[4:5]
	s_waitcnt vmcnt(2) lgkmcnt(0)
	v_mul_f64 v[246:247], v[114:115], v[242:243]
	v_add_f64 v[2:3], v[2:3], v[4:5]
	s_waitcnt vmcnt(0)
	v_fmac_f64_e32 v[246:247], v[116:117], v[244:245]
	v_add_f64 v[240:241], v[240:241], v[246:247]
	buffer_load_dword v248, off, s[0:3], 0 offset:352
	buffer_load_dword v249, off, s[0:3], 0 offset:356
	;; [unrolled: 1-line block ×4, first 2 shown]
	v_mul_f64 v[4:5], v[100:101], v[216:217]
	v_fma_f64 v[4:5], v[98:99], v[222:223], -v[4:5]
	v_add_f64 v[2:3], v[2:3], v[4:5]
	v_mul_f64 v[4:5], v[104:105], v[210:211]
	v_fma_f64 v[4:5], v[102:103], v[220:221], -v[4:5]
	v_add_f64 v[2:3], v[2:3], v[4:5]
	;; [unrolled: 3-line block ×5, first 2 shown]
	v_accvgpr_read_b32 v0, a179
	v_cmp_lt_u32_e32 vcc, 20, v0
	s_waitcnt vmcnt(2)
	v_add_f64 v[2:3], v[248:249], -v[2:3]
	s_waitcnt vmcnt(0)
	v_add_f64 v[4:5], v[246:247], -v[240:241]
	buffer_store_dword v3, off, s[0:3], 0 offset:356
	buffer_store_dword v2, off, s[0:3], 0 offset:352
	;; [unrolled: 1-line block ×4, first 2 shown]
	s_and_saveexec_b64 s[4:5], vcc
	s_cbranch_execz .LBB123_333
; %bb.332:
	v_accvgpr_read_b32 v0, a159
	buffer_load_dword v2, v0, s[0:3], 0 offen
	buffer_load_dword v3, v0, s[0:3], 0 offen offset:4
	buffer_load_dword v4, v0, s[0:3], 0 offen offset:8
	;; [unrolled: 1-line block ×3, first 2 shown]
	v_mov_b32_e32 v0, 0
	v_accvgpr_read_b32 v1, a180
	buffer_store_dword v0, off, s[0:3], 0 offset:336
	buffer_store_dword v0, off, s[0:3], 0 offset:340
	;; [unrolled: 1-line block ×4, first 2 shown]
	s_waitcnt vmcnt(4)
	ds_write_b128 v1, v[2:5]
.LBB123_333:
	s_or_b64 exec, exec, s[4:5]
	s_waitcnt lgkmcnt(0)
	; wave barrier
	s_waitcnt lgkmcnt(0)
	buffer_load_dword v54, off, s[0:3], 0 offset:352
	buffer_load_dword v55, off, s[0:3], 0 offset:356
	;; [unrolled: 1-line block ×49, first 2 shown]
	s_waitcnt vmcnt(7)
	v_pk_mov_b32 v[2:3], v[0:1], v[0:1] op_sel:[0,1]
	v_mov_b32_e32 v1, 0
	ds_read_b128 v[62:65], v1 offset:1296
	ds_read_b128 v[74:77], v1 offset:1312
	;; [unrolled: 1-line block ×11, first 2 shown]
	s_waitcnt lgkmcnt(10)
	v_mul_f64 v[6:7], v[62:63], v[56:57]
	s_waitcnt lgkmcnt(9)
	v_mul_f64 v[8:9], v[74:75], v[60:61]
	v_fmac_f64_e32 v[6:7], v[64:65], v[54:55]
	s_waitcnt lgkmcnt(8)
	v_mul_f64 v[10:11], v[86:87], v[66:67]
	v_fmac_f64_e32 v[8:9], v[76:77], v[58:59]
	v_add_f64 v[6:7], v[6:7], 0
	s_waitcnt lgkmcnt(7)
	v_mul_f64 v[12:13], v[98:99], v[70:71]
	v_fmac_f64_e32 v[10:11], v[88:89], v[68:69]
	v_add_f64 v[6:7], v[6:7], v[8:9]
	s_waitcnt lgkmcnt(6)
	v_mul_f64 v[14:15], v[110:111], v[78:79]
	v_fmac_f64_e32 v[12:13], v[100:101], v[72:73]
	v_add_f64 v[6:7], v[6:7], v[10:11]
	s_waitcnt lgkmcnt(5)
	v_mul_f64 v[16:17], v[114:115], v[82:83]
	v_fmac_f64_e32 v[14:15], v[112:113], v[80:81]
	v_add_f64 v[6:7], v[6:7], v[12:13]
	buffer_load_dword v126, off, s[0:3], 0 offset:536
	buffer_load_dword v143, off, s[0:3], 0 offset:532
	;; [unrolled: 1-line block ×75, first 2 shown]
	s_waitcnt lgkmcnt(4)
	v_mul_f64 v[18:19], v[226:227], v[90:91]
	v_fmac_f64_e32 v[16:17], v[116:117], v[84:85]
	v_add_f64 v[6:7], v[6:7], v[14:15]
	s_waitcnt lgkmcnt(3)
	v_mul_f64 v[20:21], v[238:239], v[94:95]
	v_fmac_f64_e32 v[18:19], v[228:229], v[92:93]
	v_add_f64 v[6:7], v[6:7], v[16:17]
	;; [unrolled: 4-line block ×4, first 2 shown]
	v_add_f64 v[6:7], v[6:7], v[22:23]
	s_waitcnt vmcnt(62)
	v_fmac_f64_e32 v[24:25], v[248:249], v[108:109]
	v_add_f64 v[10:11], v[6:7], v[24:25]
	ds_read_b128 v[6:9], v1 offset:1472
	s_waitcnt lgkmcnt(1)
	v_mul_f64 v[12:13], v[118:119], v[2:3]
	v_fmac_f64_e32 v[12:13], v[120:121], v[250:251]
	v_add_f64 v[14:15], v[10:11], v[12:13]
	ds_read_b128 v[10:13], v1 offset:1488
	s_waitcnt lgkmcnt(1)
	v_mul_f64 v[16:17], v[6:7], v[126:127]
	;; [unrolled: 5-line block ×5, first 2 shown]
	v_fmac_f64_e32 v[28:29], v[20:21], v[130:131]
	v_add_f64 v[30:31], v[26:27], v[28:29]
	ds_read_b128 v[26:29], v1 offset:1552
	s_waitcnt vmcnt(58) lgkmcnt(1)
	v_mul_f64 v[32:33], v[22:23], v[154:155]
	s_waitcnt vmcnt(56)
	v_fmac_f64_e32 v[32:33], v[24:25], v[158:159]
	v_add_f64 v[34:35], v[30:31], v[32:33]
	ds_read_b128 v[30:33], v1 offset:1568
	s_waitcnt lgkmcnt(1)
	v_mul_f64 v[36:37], v[26:27], v[132:133]
	v_fmac_f64_e32 v[36:37], v[28:29], v[134:135]
	v_add_f64 v[38:39], v[34:35], v[36:37]
	ds_read_b128 v[34:37], v1 offset:1584
	s_waitcnt vmcnt(50) lgkmcnt(1)
	v_mul_f64 v[40:41], v[30:31], v[162:163]
	s_waitcnt vmcnt(48)
	v_fmac_f64_e32 v[40:41], v[32:33], v[166:167]
	v_add_f64 v[42:43], v[38:39], v[40:41]
	ds_read_b128 v[38:41], v1 offset:1600
	s_waitcnt lgkmcnt(1)
	v_mul_f64 v[44:45], v[34:35], v[136:137]
	v_fmac_f64_e32 v[44:45], v[36:37], v[138:139]
	v_add_f64 v[46:47], v[42:43], v[44:45]
	ds_read_b128 v[42:45], v1 offset:1616
	s_waitcnt vmcnt(42) lgkmcnt(1)
	v_mul_f64 v[48:49], v[38:39], v[170:171]
	s_waitcnt vmcnt(40)
	v_fmac_f64_e32 v[48:49], v[40:41], v[174:175]
	v_add_f64 v[50:51], v[46:47], v[48:49]
	ds_read_b128 v[46:49], v1 offset:1632
	s_waitcnt lgkmcnt(1)
	v_mul_f64 v[52:53], v[42:43], v[140:141]
	buffer_load_dword v203, off, s[0:3], 0 offset:860
	buffer_load_dword v202, off, s[0:3], 0 offset:856
	;; [unrolled: 1-line block ×4, first 2 shown]
	v_fmac_f64_e32 v[52:53], v[44:45], v[144:145]
	v_add_f64 v[210:211], v[50:51], v[52:53]
	ds_read_b128 v[50:53], v1 offset:1648
	buffer_load_dword v206, off, s[0:3], 0 offset:872
	buffer_load_dword v208, off, s[0:3], 0 offset:864
	;; [unrolled: 1-line block ×4, first 2 shown]
	s_waitcnt vmcnt(42) lgkmcnt(1)
	v_mul_f64 v[212:213], v[46:47], v[178:179]
	s_waitcnt vmcnt(40)
	v_fmac_f64_e32 v[212:213], v[48:49], v[182:183]
	v_add_f64 v[230:231], v[210:211], v[212:213]
	buffer_load_dword v213, off, s[0:3], 0 offset:892
	buffer_load_dword v212, off, s[0:3], 0 offset:888
	;; [unrolled: 1-line block ×16, first 2 shown]
	v_mul_f64 v[56:57], v[64:65], v[56:57]
	v_fma_f64 v[232:233], v[62:63], v[54:55], -v[56:57]
	ds_read_b128 v[54:57], v1 offset:1664
	v_mul_f64 v[60:61], v[76:77], v[60:61]
	v_fma_f64 v[234:235], v[74:75], v[58:59], -v[60:61]
	ds_read_b128 v[58:61], v1 offset:1680
	s_waitcnt lgkmcnt(2)
	v_mul_f64 v[62:63], v[50:51], v[148:149]
	v_fmac_f64_e32 v[62:63], v[52:53], v[152:153]
	s_waitcnt vmcnt(50) lgkmcnt(1)
	v_mul_f64 v[64:65], v[54:55], v[186:187]
	v_add_f64 v[62:63], v[230:231], v[62:63]
	s_waitcnt vmcnt(48)
	v_fmac_f64_e32 v[64:65], v[56:57], v[188:189]
	v_add_f64 v[62:63], v[62:63], v[64:65]
	s_waitcnt lgkmcnt(0)
	v_mul_f64 v[64:65], v[58:59], v[156:157]
	v_fmac_f64_e32 v[64:65], v[60:61], v[160:161]
	v_add_f64 v[74:75], v[62:63], v[64:65]
	ds_read_b128 v[62:65], v1 offset:1696
	v_mul_f64 v[66:67], v[88:89], v[66:67]
	v_fma_f64 v[230:231], v[86:87], v[68:69], -v[66:67]
	ds_read_b128 v[66:69], v1 offset:1712
	v_mul_f64 v[70:71], v[100:101], v[70:71]
	s_waitcnt vmcnt(42) lgkmcnt(1)
	v_mul_f64 v[76:77], v[62:63], v[190:191]
	s_waitcnt vmcnt(40)
	v_fmac_f64_e32 v[76:77], v[64:65], v[192:193]
	v_add_f64 v[74:75], v[74:75], v[76:77]
	v_fma_f64 v[236:237], v[98:99], v[72:73], -v[70:71]
	ds_read_b128 v[70:73], v1 offset:1728
	s_waitcnt lgkmcnt(1)
	v_mul_f64 v[76:77], v[66:67], v[164:165]
	v_fmac_f64_e32 v[76:77], v[68:69], v[168:169]
	v_add_f64 v[86:87], v[74:75], v[76:77]
	ds_read_b128 v[74:77], v1 offset:1744
	v_mul_f64 v[78:79], v[112:113], v[78:79]
	v_fma_f64 v[252:253], v[110:111], v[80:81], -v[78:79]
	ds_read_b128 v[78:81], v1 offset:1760
	s_waitcnt vmcnt(34) lgkmcnt(2)
	v_mul_f64 v[88:89], v[70:71], v[194:195]
	v_mul_f64 v[82:83], v[116:117], v[82:83]
	s_waitcnt vmcnt(32)
	v_fmac_f64_e32 v[88:89], v[72:73], v[196:197]
	v_fma_f64 v[254:255], v[114:115], v[84:85], -v[82:83]
	ds_read_b128 v[82:85], v1 offset:1776
	v_add_f64 v[86:87], v[86:87], v[88:89]
	s_waitcnt lgkmcnt(2)
	v_mul_f64 v[88:89], v[74:75], v[172:173]
	v_fmac_f64_e32 v[88:89], v[76:77], v[176:177]
	v_add_f64 v[86:87], v[86:87], v[88:89]
	s_waitcnt vmcnt(26) lgkmcnt(1)
	v_mul_f64 v[88:89], v[78:79], v[198:199]
	s_waitcnt vmcnt(24)
	v_fmac_f64_e32 v[88:89], v[80:81], v[200:201]
	v_add_f64 v[86:87], v[86:87], v[88:89]
	s_waitcnt lgkmcnt(0)
	v_mul_f64 v[88:89], v[82:83], v[180:181]
	v_fmac_f64_e32 v[88:89], v[84:85], v[184:185]
	v_add_f64 v[98:99], v[86:87], v[88:89]
	ds_read_b128 v[86:89], v1 offset:1792
	v_mul_f64 v[90:91], v[228:229], v[90:91]
	v_fma_f64 v[228:229], v[226:227], v[92:93], -v[90:91]
	ds_read_b128 v[90:93], v1 offset:1808
	v_mul_f64 v[94:95], v[240:241], v[94:95]
	v_fma_f64 v[4:5], v[238:239], v[96:97], -v[94:95]
	ds_read_b128 v[94:97], v1 offset:1824
	v_accvgpr_write_b32 a183, v3
	v_mul_f64 v[102:103], v[244:245], v[102:103]
	v_accvgpr_write_b32 a182, v2
	v_fma_f64 v[2:3], v[242:243], v[104:105], -v[102:103]
	ds_read_b128 v[102:105], v1 offset:1856
	v_mul_f64 v[106:107], v[248:249], v[106:107]
	v_fma_f64 v[240:241], v[246:247], v[108:109], -v[106:107]
	ds_read_b128 v[106:109], v1 offset:1872
	v_add_f64 v[232:233], v[232:233], 0
	v_add_f64 v[232:233], v[232:233], v[234:235]
	;; [unrolled: 1-line block ×6, first 2 shown]
	s_waitcnt vmcnt(22) lgkmcnt(4)
	v_mul_f64 v[100:101], v[86:87], v[202:203]
	v_add_f64 v[228:229], v[230:231], v[228:229]
	s_waitcnt vmcnt(20)
	v_fmac_f64_e32 v[100:101], v[88:89], v[204:205]
	v_add_f64 v[98:99], v[98:99], v[100:101]
	v_add_f64 v[4:5], v[228:229], v[4:5]
	s_waitcnt vmcnt(17) lgkmcnt(3)
	v_mul_f64 v[100:101], v[90:91], v[206:207]
	s_waitcnt vmcnt(16)
	v_fmac_f64_e32 v[100:101], v[92:93], v[208:209]
	v_add_f64 v[110:111], v[98:99], v[100:101]
	ds_read_b128 v[98:101], v1 offset:1840
	s_waitcnt vmcnt(14) lgkmcnt(3)
	v_mul_f64 v[112:113], v[94:95], v[212:213]
	s_waitcnt vmcnt(12)
	v_fmac_f64_e32 v[112:113], v[96:97], v[216:217]
	buffer_load_dword v227, off, s[0:3], 0 offset:956
	buffer_load_dword v226, off, s[0:3], 0 offset:952
	;; [unrolled: 1-line block ×4, first 2 shown]
	v_add_f64 v[110:111], v[110:111], v[112:113]
	s_waitcnt vmcnt(14) lgkmcnt(0)
	v_mul_f64 v[112:113], v[98:99], v[214:215]
	s_waitcnt vmcnt(12)
	v_fmac_f64_e32 v[112:113], v[100:101], v[218:219]
	v_add_f64 v[110:111], v[110:111], v[112:113]
	s_waitcnt vmcnt(9)
	v_mul_f64 v[112:113], v[102:103], v[222:223]
	s_waitcnt vmcnt(7)
	v_fmac_f64_e32 v[112:113], v[104:105], v[224:225]
	v_add_f64 v[110:111], v[110:111], v[112:113]
	s_waitcnt vmcnt(5)
	v_mul_f64 v[112:113], v[106:107], v[210:211]
	s_waitcnt vmcnt(4)
	v_fmac_f64_e32 v[112:113], v[108:109], v[220:221]
	v_add_f64 v[114:115], v[110:111], v[112:113]
	ds_read_b128 v[110:113], v1 offset:1888
	buffer_load_dword v242, off, s[0:3], 0 offset:968
	buffer_load_dword v243, off, s[0:3], 0 offset:972
	;; [unrolled: 1-line block ×4, first 2 shown]
	v_add_f64 v[252:253], v[4:5], v[2:3]
	v_accvgpr_read_b32 v4, a182
	v_accvgpr_read_b32 v5, a183
	v_mul_f64 v[4:5], v[120:121], v[4:5]
	v_add_f64 v[2:3], v[252:253], v[240:241]
	v_fma_f64 v[4:5], v[118:119], v[250:251], -v[4:5]
	v_add_f64 v[2:3], v[2:3], v[4:5]
	v_mul_f64 v[4:5], v[8:9], v[126:127]
	v_fma_f64 v[4:5], v[6:7], v[142:143], -v[4:5]
	v_add_f64 v[2:3], v[2:3], v[4:5]
	v_mul_f64 v[4:5], v[12:13], v[122:123]
	;; [unrolled: 3-line block ×20, first 2 shown]
	s_waitcnt vmcnt(6) lgkmcnt(0)
	v_mul_f64 v[116:117], v[110:111], v[226:227]
	v_fma_f64 v[4:5], v[82:83], v[184:185], -v[4:5]
	s_waitcnt vmcnt(4)
	v_fmac_f64_e32 v[116:117], v[112:113], v[238:239]
	v_add_f64 v[246:247], v[114:115], v[116:117]
	ds_read_b128 v[114:117], v1 offset:1904
	v_add_f64 v[2:3], v[2:3], v[4:5]
	v_mul_f64 v[4:5], v[88:89], v[202:203]
	v_fma_f64 v[4:5], v[86:87], v[204:205], -v[4:5]
	v_add_f64 v[2:3], v[2:3], v[4:5]
	v_mul_f64 v[4:5], v[92:93], v[206:207]
	v_fma_f64 v[4:5], v[90:91], v[208:209], -v[4:5]
	v_add_f64 v[2:3], v[2:3], v[4:5]
	s_waitcnt vmcnt(2) lgkmcnt(0)
	v_mul_f64 v[248:249], v[114:115], v[242:243]
	v_mul_f64 v[4:5], v[96:97], v[212:213]
	s_waitcnt vmcnt(0)
	v_fmac_f64_e32 v[248:249], v[116:117], v[244:245]
	v_add_f64 v[246:247], v[246:247], v[248:249]
	v_accvgpr_write_b32 a184, v246
	buffer_load_dword v248, off, s[0:3], 0 offset:336
	buffer_load_dword v249, off, s[0:3], 0 offset:340
	v_accvgpr_write_b32 a185, v247
	buffer_load_dword v246, off, s[0:3], 0 offset:344
	buffer_load_dword v247, off, s[0:3], 0 offset:348
	v_fma_f64 v[4:5], v[94:95], v[216:217], -v[4:5]
	v_add_f64 v[2:3], v[2:3], v[4:5]
	v_mul_f64 v[4:5], v[100:101], v[214:215]
	v_fma_f64 v[4:5], v[98:99], v[218:219], -v[4:5]
	v_add_f64 v[2:3], v[2:3], v[4:5]
	v_mul_f64 v[4:5], v[104:105], v[222:223]
	;; [unrolled: 3-line block ×5, first 2 shown]
	v_fma_f64 v[4:5], v[114:115], v[244:245], -v[4:5]
	v_add_f64 v[2:3], v[2:3], v[4:5]
	v_accvgpr_read_b32 v4, a184
	v_accvgpr_read_b32 v0, a179
	;; [unrolled: 1-line block ×3, first 2 shown]
	v_cmp_lt_u32_e32 vcc, 19, v0
	s_waitcnt vmcnt(2)
	v_add_f64 v[2:3], v[248:249], -v[2:3]
	s_waitcnt vmcnt(0)
	v_add_f64 v[4:5], v[246:247], -v[4:5]
	buffer_store_dword v3, off, s[0:3], 0 offset:340
	buffer_store_dword v2, off, s[0:3], 0 offset:336
	;; [unrolled: 1-line block ×4, first 2 shown]
	s_and_saveexec_b64 s[4:5], vcc
	s_cbranch_execz .LBB123_335
; %bb.334:
	v_accvgpr_read_b32 v0, a160
	buffer_load_dword v2, v0, s[0:3], 0 offen
	buffer_load_dword v3, v0, s[0:3], 0 offen offset:4
	buffer_load_dword v4, v0, s[0:3], 0 offen offset:8
	buffer_load_dword v5, v0, s[0:3], 0 offen offset:12
	v_accvgpr_read_b32 v0, a180
	buffer_store_dword v1, off, s[0:3], 0 offset:320
	buffer_store_dword v1, off, s[0:3], 0 offset:324
	;; [unrolled: 1-line block ×4, first 2 shown]
	s_waitcnt vmcnt(4)
	ds_write_b128 v0, v[2:5]
.LBB123_335:
	s_or_b64 exec, exec, s[4:5]
	s_waitcnt lgkmcnt(0)
	; wave barrier
	s_waitcnt lgkmcnt(0)
	buffer_load_dword v56, off, s[0:3], 0 offset:336
	buffer_load_dword v57, off, s[0:3], 0 offset:340
	;; [unrolled: 1-line block ×42, first 2 shown]
	ds_read_b128 v[78:81], v1 offset:1280
	ds_read_b128 v[90:93], v1 offset:1296
	;; [unrolled: 1-line block ×10, first 2 shown]
	buffer_load_dword v105, off, s[0:3], 0 offset:484
	buffer_load_dword v104, off, s[0:3], 0 offset:480
	ds_read_b128 v[106:109], v1 offset:1440
	buffer_load_dword v3, off, s[0:3], 0 offset:540
	buffer_load_dword v2, off, s[0:3], 0 offset:536
	s_waitcnt vmcnt(38) lgkmcnt(9)
	v_mul_f64 v[4:5], v[90:91], v[62:63]
	v_fmac_f64_e32 v[4:5], v[92:93], v[54:55]
	s_waitcnt vmcnt(36) lgkmcnt(8)
	v_mul_f64 v[6:7], v[114:115], v[58:59]
	v_mul_f64 v[58:59], v[116:117], v[58:59]
	s_waitcnt vmcnt(34) lgkmcnt(6)
	v_mul_f64 v[10:11], v[238:239], v[70:71]
	v_mul_f64 v[70:71], v[240:241], v[70:71]
	s_waitcnt vmcnt(32)
	v_fmac_f64_e32 v[10:11], v[240:241], v[72:73]
	s_waitcnt vmcnt(30)
	v_mul_f64 v[8:9], v[226:227], v[64:65]
	s_waitcnt vmcnt(28) lgkmcnt(4)
	v_mul_f64 v[14:15], v[246:247], v[82:83]
	v_mul_f64 v[82:83], v[248:249], v[82:83]
	s_waitcnt vmcnt(26)
	v_fmac_f64_e32 v[14:15], v[248:249], v[84:85]
	v_fma_f64 v[246:247], v[246:247], v[84:85], -v[82:83]
	s_waitcnt vmcnt(24)
	v_mul_f64 v[12:13], v[242:243], v[74:75]
	v_mul_f64 v[74:75], v[244:245], v[74:75]
	s_waitcnt vmcnt(22) lgkmcnt(2)
	v_mul_f64 v[18:19], v[230:231], v[94:95]
	v_mul_f64 v[94:95], v[232:233], v[94:95]
	s_waitcnt vmcnt(19)
	v_mul_f64 v[16:17], v[250:251], v[86:87]
	v_mul_f64 v[86:87], v[252:253], v[86:87]
	s_waitcnt vmcnt(17) lgkmcnt(1)
	v_mul_f64 v[20:21], v[98:99], v[102:103]
	s_waitcnt vmcnt(15)
	v_fmac_f64_e32 v[6:7], v[116:117], v[68:69]
	s_waitcnt vmcnt(13)
	v_fmac_f64_e32 v[8:9], v[228:229], v[66:67]
	;; [unrolled: 2-line block ×3, first 2 shown]
	v_fma_f64 v[240:241], v[242:243], v[76:77], -v[74:75]
	s_waitcnt vmcnt(9)
	v_fmac_f64_e32 v[16:17], v[252:253], v[88:89]
	s_waitcnt vmcnt(8)
	v_fmac_f64_e32 v[18:19], v[232:233], v[96:97]
	v_fma_f64 v[248:249], v[250:251], v[88:89], -v[86:87]
	v_fma_f64 v[230:231], v[230:231], v[96:97], -v[94:95]
	s_waitcnt vmcnt(2)
	v_fmac_f64_e32 v[20:21], v[100:101], v[104:105]
	v_mul_f64 v[100:101], v[100:101], v[102:103]
	s_waitcnt vmcnt(0)
	v_pk_mov_b32 v[22:23], v[2:3], v[2:3] op_sel:[0,1]
	buffer_load_dword v3, off, s[0:3], 0 offset:532
	buffer_load_dword v2, off, s[0:3], 0 offset:528
	;; [unrolled: 1-line block ×78, first 2 shown]
	ds_read_b128 v[118:121], v1 offset:1456
	v_accvgpr_write_b32 a183, v23
	v_accvgpr_write_b32 a182, v22
	v_fma_f64 v[250:251], v[98:99], v[104:105], -v[100:101]
	s_waitcnt vmcnt(62)
	v_pk_mov_b32 v[24:25], v[2:3], v[2:3] op_sel:[0,1]
	v_mul_f64 v[2:3], v[78:79], v[60:61]
	v_fmac_f64_e32 v[2:3], v[80:81], v[56:57]
	v_add_f64 v[2:3], v[2:3], 0
	v_add_f64 v[2:3], v[2:3], v[4:5]
	;; [unrolled: 1-line block ×9, first 2 shown]
	s_waitcnt lgkmcnt(1)
	v_mul_f64 v[8:9], v[106:107], v[110:111]
	v_add_f64 v[6:7], v[2:3], v[20:21]
	v_fmac_f64_e32 v[8:9], v[108:109], v[112:113]
	v_add_f64 v[10:11], v[6:7], v[8:9]
	ds_read_b128 v[6:9], v1 offset:1472
	s_waitcnt lgkmcnt(1)
	v_mul_f64 v[12:13], v[118:119], v[122:123]
	v_fmac_f64_e32 v[12:13], v[120:121], v[138:139]
	v_add_f64 v[14:15], v[10:11], v[12:13]
	ds_read_b128 v[10:13], v1 offset:1488
	s_waitcnt lgkmcnt(1)
	v_mul_f64 v[16:17], v[6:7], v[22:23]
	;; [unrolled: 5-line block ×3, first 2 shown]
	v_fmac_f64_e32 v[20:21], v[12:13], v[146:147]
	v_add_f64 v[22:23], v[18:19], v[20:21]
	ds_read_b128 v[18:21], v1 offset:1520
	v_accvgpr_write_b32 a185, v25
	v_accvgpr_write_b32 a184, v24
	s_waitcnt lgkmcnt(1)
	v_mul_f64 v[24:25], v[14:15], v[124:125]
	v_fmac_f64_e32 v[24:25], v[16:17], v[126:127]
	v_add_f64 v[26:27], v[22:23], v[24:25]
	ds_read_b128 v[22:25], v1 offset:1536
	s_waitcnt vmcnt(58) lgkmcnt(1)
	v_mul_f64 v[28:29], v[18:19], v[150:151]
	s_waitcnt vmcnt(56)
	v_fmac_f64_e32 v[28:29], v[20:21], v[154:155]
	v_add_f64 v[30:31], v[26:27], v[28:29]
	ds_read_b128 v[26:29], v1 offset:1552
	s_waitcnt lgkmcnt(1)
	v_mul_f64 v[32:33], v[22:23], v[128:129]
	v_fmac_f64_e32 v[32:33], v[24:25], v[130:131]
	v_add_f64 v[34:35], v[30:31], v[32:33]
	ds_read_b128 v[30:33], v1 offset:1568
	s_waitcnt vmcnt(50) lgkmcnt(1)
	v_mul_f64 v[36:37], v[26:27], v[158:159]
	s_waitcnt vmcnt(48)
	v_fmac_f64_e32 v[36:37], v[28:29], v[162:163]
	v_add_f64 v[38:39], v[34:35], v[36:37]
	ds_read_b128 v[34:37], v1 offset:1584
	;; [unrolled: 11-line block ×4, first 2 shown]
	buffer_load_dword v198, off, s[0:3], 0 offset:856
	buffer_load_dword v203, off, s[0:3], 0 offset:844
	;; [unrolled: 1-line block ×8, first 2 shown]
	s_waitcnt lgkmcnt(1)
	v_mul_f64 v[208:209], v[46:47], v[144:145]
	v_fmac_f64_e32 v[208:209], v[48:49], v[148:149]
	v_add_f64 v[234:235], v[206:207], v[208:209]
	buffer_load_dword v207, off, s[0:3], 0 offset:876
	buffer_load_dword v206, off, s[0:3], 0 offset:872
	;; [unrolled: 1-line block ×20, first 2 shown]
	v_mul_f64 v[60:61], v[80:81], v[60:61]
	s_waitcnt vmcnt(54) lgkmcnt(0)
	v_mul_f64 v[236:237], v[50:51], v[182:183]
	v_fma_f64 v[254:255], v[78:79], v[56:57], -v[60:61]
	v_mul_f64 v[56:57], v[92:93], v[62:63]
	v_fma_f64 v[2:3], v[90:91], v[54:55], -v[56:57]
	s_waitcnt vmcnt(52)
	v_fmac_f64_e32 v[236:237], v[52:53], v[184:185]
	ds_read_b128 v[54:57], v1 offset:1664
	v_add_f64 v[4:5], v[234:235], v[236:237]
	v_fma_f64 v[234:235], v[114:115], v[68:69], -v[58:59]
	ds_read_b128 v[58:61], v1 offset:1680
	v_mul_f64 v[62:63], v[228:229], v[64:65]
	v_fma_f64 v[228:229], v[226:227], v[66:67], -v[62:63]
	ds_read_b128 v[62:65], v1 offset:1696
	s_waitcnt lgkmcnt(2)
	v_mul_f64 v[68:69], v[54:55], v[152:153]
	v_fmac_f64_e32 v[68:69], v[56:57], v[156:157]
	s_waitcnt vmcnt(46) lgkmcnt(1)
	v_mul_f64 v[66:67], v[58:59], v[186:187]
	v_add_f64 v[4:5], v[4:5], v[68:69]
	s_waitcnt vmcnt(44)
	v_fmac_f64_e32 v[66:67], v[60:61], v[188:189]
	v_add_f64 v[4:5], v[4:5], v[66:67]
	v_fma_f64 v[236:237], v[238:239], v[72:73], -v[70:71]
	ds_read_b128 v[70:73], v1 offset:1728
	s_waitcnt lgkmcnt(1)
	v_mul_f64 v[66:67], v[62:63], v[160:161]
	v_fmac_f64_e32 v[66:67], v[64:65], v[164:165]
	v_add_f64 v[4:5], v[4:5], v[66:67]
	ds_read_b128 v[66:69], v1 offset:1712
	ds_read_b128 v[74:77], v1 offset:1744
	;; [unrolled: 1-line block ×5, first 2 shown]
	s_waitcnt vmcnt(38) lgkmcnt(4)
	v_mul_f64 v[78:79], v[66:67], v[190:191]
	s_waitcnt vmcnt(36)
	v_fmac_f64_e32 v[78:79], v[68:69], v[192:193]
	v_add_f64 v[4:5], v[4:5], v[78:79]
	v_mul_f64 v[78:79], v[70:71], v[168:169]
	v_fmac_f64_e32 v[78:79], v[72:73], v[172:173]
	v_add_f64 v[4:5], v[4:5], v[78:79]
	s_waitcnt vmcnt(30) lgkmcnt(3)
	v_mul_f64 v[78:79], v[74:75], v[194:195]
	s_waitcnt vmcnt(28)
	v_fmac_f64_e32 v[78:79], v[76:77], v[196:197]
	v_add_f64 v[4:5], v[4:5], v[78:79]
	ds_read_b128 v[78:81], v1 offset:1760
	v_mul_f64 v[108:109], v[108:109], v[110:111]
	v_fma_f64 v[252:253], v[106:107], v[112:113], -v[108:109]
	v_mul_f64 v[120:121], v[120:121], v[122:123]
	v_fma_f64 v[118:119], v[118:119], v[138:139], -v[120:121]
	s_waitcnt lgkmcnt(0)
	v_mul_f64 v[90:91], v[78:79], v[176:177]
	v_fmac_f64_e32 v[90:91], v[80:81], v[180:181]
	v_add_f64 v[4:5], v[4:5], v[90:91]
	ds_read_b128 v[98:101], v1 offset:1840
	ds_read_b128 v[106:109], v1 offset:1872
	s_waitcnt vmcnt(25)
	v_mul_f64 v[90:91], v[82:83], v[202:203]
	s_waitcnt vmcnt(23)
	v_fmac_f64_e32 v[90:91], v[84:85], v[204:205]
	v_add_f64 v[4:5], v[4:5], v[90:91]
	s_waitcnt vmcnt(21)
	v_mul_f64 v[90:91], v[86:87], v[198:199]
	s_waitcnt vmcnt(20)
	v_fmac_f64_e32 v[90:91], v[88:89], v[200:201]
	v_add_f64 v[4:5], v[4:5], v[90:91]
	ds_read_b128 v[90:93], v1 offset:1808
	s_waitcnt vmcnt(14)
	v_mul_f64 v[102:103], v[94:95], v[212:213]
	s_waitcnt vmcnt(9) lgkmcnt(2)
	v_mul_f64 v[110:111], v[98:99], v[218:219]
	v_fmac_f64_e32 v[102:103], v[96:97], v[214:215]
	s_waitcnt vmcnt(7)
	v_fmac_f64_e32 v[110:111], v[100:101], v[222:223]
	s_waitcnt lgkmcnt(0)
	v_mul_f64 v[114:115], v[90:91], v[206:207]
	v_fmac_f64_e32 v[114:115], v[92:93], v[208:209]
	v_add_f64 v[4:5], v[4:5], v[114:115]
	v_add_f64 v[4:5], v[4:5], v[102:103]
	ds_read_b128 v[102:105], v1 offset:1856
	buffer_load_dword v226, off, s[0:3], 0 offset:952
	buffer_load_dword v227, off, s[0:3], 0 offset:956
	;; [unrolled: 1-line block ×4, first 2 shown]
	v_add_f64 v[4:5], v[4:5], v[110:111]
	s_waitcnt vmcnt(9) lgkmcnt(0)
	v_mul_f64 v[110:111], v[102:103], v[210:211]
	s_waitcnt vmcnt(8)
	v_fmac_f64_e32 v[110:111], v[104:105], v[216:217]
	v_add_f64 v[4:5], v[4:5], v[110:111]
	s_waitcnt vmcnt(6)
	v_mul_f64 v[110:111], v[106:107], v[220:221]
	s_waitcnt vmcnt(4)
	v_fmac_f64_e32 v[110:111], v[108:109], v[224:225]
	v_add_f64 v[4:5], v[4:5], v[110:111]
	ds_read_b128 v[110:113], v1 offset:1888
	buffer_load_dword v243, off, s[0:3], 0 offset:972
	buffer_load_dword v242, off, s[0:3], 0 offset:968
	;; [unrolled: 1-line block ×4, first 2 shown]
	s_waitcnt vmcnt(6) lgkmcnt(0)
	v_mul_f64 v[114:115], v[110:111], v[226:227]
	s_waitcnt vmcnt(4)
	v_fmac_f64_e32 v[114:115], v[112:113], v[238:239]
	v_add_f64 v[4:5], v[4:5], v[114:115]
	ds_read_b128 v[114:117], v1 offset:1904
	v_accvgpr_read_b32 v0, a182
	v_accvgpr_read_b32 v1, a183
	v_mul_f64 v[8:9], v[8:9], v[0:1]
	v_accvgpr_read_b32 v0, a184
	v_accvgpr_read_b32 v1, a185
	v_fma_f64 v[6:7], v[6:7], v[0:1], -v[8:9]
	s_waitcnt vmcnt(2) lgkmcnt(0)
	v_mul_f64 v[232:233], v[114:115], v[242:243]
	v_accvgpr_read_b32 v0, a179
	s_waitcnt vmcnt(0)
	v_fmac_f64_e32 v[232:233], v[116:117], v[244:245]
	v_add_f64 v[4:5], v[4:5], v[232:233]
	v_add_f64 v[232:233], v[254:255], 0
	;; [unrolled: 1-line block ×9, first 2 shown]
	buffer_load_dword v248, off, s[0:3], 0 offset:320
	buffer_load_dword v249, off, s[0:3], 0 offset:324
	;; [unrolled: 1-line block ×4, first 2 shown]
	v_add_f64 v[254:255], v[2:3], v[230:231]
	v_add_f64 v[2:3], v[254:255], v[250:251]
	;; [unrolled: 1-line block ×5, first 2 shown]
	v_mul_f64 v[6:7], v[12:13], v[142:143]
	v_fma_f64 v[6:7], v[10:11], v[146:147], -v[6:7]
	v_add_f64 v[2:3], v[2:3], v[6:7]
	v_mul_f64 v[6:7], v[16:17], v[124:125]
	v_fma_f64 v[6:7], v[14:15], v[126:127], -v[6:7]
	v_add_f64 v[2:3], v[2:3], v[6:7]
	;; [unrolled: 3-line block ×27, first 2 shown]
	s_waitcnt vmcnt(2)
	v_add_f64 v[2:3], v[248:249], -v[2:3]
	v_cmp_lt_u32_e32 vcc, 18, v0
	s_waitcnt vmcnt(0)
	v_add_f64 v[4:5], v[246:247], -v[4:5]
	buffer_store_dword v3, off, s[0:3], 0 offset:324
	buffer_store_dword v2, off, s[0:3], 0 offset:320
	;; [unrolled: 1-line block ×4, first 2 shown]
	s_and_saveexec_b64 s[4:5], vcc
	s_cbranch_execz .LBB123_337
; %bb.336:
	v_accvgpr_read_b32 v0, a161
	buffer_load_dword v2, v0, s[0:3], 0 offen
	buffer_load_dword v3, v0, s[0:3], 0 offen offset:4
	buffer_load_dword v4, v0, s[0:3], 0 offen offset:8
	;; [unrolled: 1-line block ×3, first 2 shown]
	v_mov_b32_e32 v0, 0
	v_accvgpr_read_b32 v1, a180
	buffer_store_dword v0, off, s[0:3], 0 offset:304
	buffer_store_dword v0, off, s[0:3], 0 offset:308
	;; [unrolled: 1-line block ×4, first 2 shown]
	s_waitcnt vmcnt(4)
	ds_write_b128 v1, v[2:5]
.LBB123_337:
	s_or_b64 exec, exec, s[4:5]
	s_waitcnt lgkmcnt(0)
	; wave barrier
	s_waitcnt lgkmcnt(0)
	buffer_load_dword v54, off, s[0:3], 0 offset:320
	buffer_load_dword v55, off, s[0:3], 0 offset:324
	;; [unrolled: 1-line block ×46, first 2 shown]
	v_mov_b32_e32 v1, 0
	v_accvgpr_read_b32 v0, a179
	v_cmp_lt_u32_e32 vcc, 17, v0
	s_waitcnt vmcnt(0)
	v_pk_mov_b32 v[22:23], v[2:3], v[2:3] op_sel:[0,1]
	buffer_load_dword v3, off, s[0:3], 0 offset:516
	buffer_load_dword v2, off, s[0:3], 0 offset:512
	;; [unrolled: 1-line block ×3, first 2 shown]
	ds_read_b128 v[94:97], v1 offset:1264
	ds_read_b128 v[108:111], v1 offset:1280
	;; [unrolled: 1-line block ×11, first 2 shown]
	buffer_load_dword v106, off, s[0:3], 0 offset:504
	buffer_load_dword v117, off, s[0:3], 0 offset:500
	;; [unrolled: 1-line block ×75, first 2 shown]
	s_waitcnt lgkmcnt(9)
	v_mul_f64 v[4:5], v[108:109], v[62:63]
	s_waitcnt lgkmcnt(8)
	v_mul_f64 v[6:7], v[112:113], v[60:61]
	v_fmac_f64_e32 v[4:5], v[110:111], v[58:59]
	s_waitcnt lgkmcnt(7)
	v_mul_f64 v[8:9], v[222:223], v[68:69]
	v_fmac_f64_e32 v[6:7], v[114:115], v[84:85]
	;; [unrolled: 3-line block ×5, first 2 shown]
	ds_read_b128 v[234:237], v1 offset:1440
	ds_read_b128 v[118:121], v1 offset:1456
	s_waitcnt lgkmcnt(5)
	v_mul_f64 v[16:17], v[242:243], v[78:79]
	v_fmac_f64_e32 v[14:15], v[240:241], v[76:77]
	s_waitcnt lgkmcnt(4)
	v_mul_f64 v[18:19], v[246:247], v[86:87]
	v_fmac_f64_e32 v[16:17], v[244:245], v[80:81]
	;; [unrolled: 3-line block ×3, first 2 shown]
	v_fmac_f64_e32 v[20:21], v[252:253], v[92:93]
	v_accvgpr_write_b32 a183, v23
	v_accvgpr_write_b32 a182, v22
	v_mul_f64 v[62:63], v[110:111], v[62:63]
	v_mul_f64 v[74:75], v[240:241], v[74:75]
	v_fma_f64 v[240:241], v[238:239], v[76:77], -v[74:75]
	v_mul_f64 v[78:79], v[244:245], v[78:79]
	v_fma_f64 v[238:239], v[242:243], v[80:81], -v[78:79]
	;; [unrolled: 2-line block ×4, first 2 shown]
	s_waitcnt vmcnt(62)
	v_pk_mov_b32 v[24:25], v[2:3], v[2:3] op_sel:[0,1]
	v_mul_f64 v[2:3], v[94:95], v[56:57]
	v_fmac_f64_e32 v[2:3], v[96:97], v[54:55]
	v_add_f64 v[2:3], v[2:3], 0
	v_add_f64 v[2:3], v[2:3], v[4:5]
	;; [unrolled: 1-line block ×9, first 2 shown]
	s_waitcnt lgkmcnt(2)
	v_mul_f64 v[4:5], v[98:99], v[102:103]
	v_add_f64 v[2:3], v[2:3], v[20:21]
	v_fmac_f64_e32 v[4:5], v[100:101], v[104:105]
	s_waitcnt lgkmcnt(1)
	v_mul_f64 v[8:9], v[234:235], v[106:107]
	v_add_f64 v[6:7], v[2:3], v[4:5]
	v_fmac_f64_e32 v[8:9], v[236:237], v[116:117]
	s_waitcnt lgkmcnt(0)
	v_mul_f64 v[12:13], v[118:119], v[22:23]
	v_add_f64 v[10:11], v[6:7], v[8:9]
	ds_read_b128 v[6:9], v1 offset:1472
	v_fmac_f64_e32 v[12:13], v[120:121], v[24:25]
	v_add_f64 v[14:15], v[10:11], v[12:13]
	ds_read_b128 v[10:13], v1 offset:1488
	v_accvgpr_write_b32 a185, v25
	s_waitcnt lgkmcnt(1)
	v_mul_f64 v[16:17], v[6:7], v[138:139]
	v_fmac_f64_e32 v[16:17], v[8:9], v[142:143]
	v_add_f64 v[18:19], v[14:15], v[16:17]
	s_waitcnt lgkmcnt(0)
	v_mul_f64 v[20:21], v[10:11], v[122:123]
	ds_read_b128 v[14:17], v1 offset:1504
	v_fmac_f64_e32 v[20:21], v[12:13], v[124:125]
	v_add_f64 v[22:23], v[18:19], v[20:21]
	ds_read_b128 v[18:21], v1 offset:1520
	v_accvgpr_write_b32 a184, v24
	s_waitcnt vmcnt(58) lgkmcnt(1)
	v_mul_f64 v[24:25], v[14:15], v[146:147]
	s_waitcnt vmcnt(56)
	v_fmac_f64_e32 v[24:25], v[16:17], v[150:151]
	v_add_f64 v[26:27], v[22:23], v[24:25]
	s_waitcnt lgkmcnt(0)
	v_mul_f64 v[28:29], v[18:19], v[126:127]
	ds_read_b128 v[22:25], v1 offset:1536
	v_fmac_f64_e32 v[28:29], v[20:21], v[128:129]
	v_add_f64 v[30:31], v[26:27], v[28:29]
	ds_read_b128 v[26:29], v1 offset:1552
	v_mul_f64 v[56:57], v[96:97], v[56:57]
	s_waitcnt vmcnt(50) lgkmcnt(1)
	v_mul_f64 v[32:33], v[22:23], v[154:155]
	s_waitcnt vmcnt(48)
	v_fmac_f64_e32 v[32:33], v[24:25], v[158:159]
	v_add_f64 v[34:35], v[30:31], v[32:33]
	s_waitcnt lgkmcnt(0)
	v_mul_f64 v[36:37], v[26:27], v[130:131]
	ds_read_b128 v[30:33], v1 offset:1568
	v_fmac_f64_e32 v[36:37], v[28:29], v[132:133]
	v_add_f64 v[38:39], v[34:35], v[36:37]
	ds_read_b128 v[34:37], v1 offset:1584
	v_fma_f64 v[2:3], v[94:95], v[54:55], -v[56:57]
	s_waitcnt vmcnt(42) lgkmcnt(1)
	v_mul_f64 v[40:41], v[30:31], v[162:163]
	s_waitcnt vmcnt(40)
	v_fmac_f64_e32 v[40:41], v[32:33], v[166:167]
	v_add_f64 v[42:43], v[38:39], v[40:41]
	s_waitcnt lgkmcnt(0)
	v_mul_f64 v[44:45], v[34:35], v[134:135]
	ds_read_b128 v[38:41], v1 offset:1600
	v_fmac_f64_e32 v[44:45], v[36:37], v[136:137]
	v_add_f64 v[46:47], v[42:43], v[44:45]
	ds_read_b128 v[42:45], v1 offset:1616
	v_fma_f64 v[94:95], v[108:109], v[58:59], -v[62:63]
	s_waitcnt vmcnt(34) lgkmcnt(1)
	v_mul_f64 v[48:49], v[38:39], v[170:171]
	s_waitcnt vmcnt(32)
	v_fmac_f64_e32 v[48:49], v[40:41], v[174:175]
	v_add_f64 v[50:51], v[46:47], v[48:49]
	s_waitcnt lgkmcnt(0)
	v_mul_f64 v[52:53], v[42:43], v[140:141]
	v_fmac_f64_e32 v[52:53], v[44:45], v[144:145]
	ds_read_b128 v[46:49], v1 offset:1632
	v_add_f64 v[198:199], v[50:51], v[52:53]
	ds_read_b128 v[50:53], v1 offset:1648
	buffer_load_dword v195, off, s[0:3], 0 offset:828
	buffer_load_dword v194, off, s[0:3], 0 offset:824
	;; [unrolled: 1-line block ×4, first 2 shown]
	v_mul_f64 v[58:59], v[114:115], v[60:61]
	s_waitcnt vmcnt(30) lgkmcnt(1)
	v_mul_f64 v[200:201], v[46:47], v[178:179]
	s_waitcnt vmcnt(28)
	v_fmac_f64_e32 v[200:201], v[48:49], v[180:181]
	v_add_f64 v[254:255], v[198:199], v[200:201]
	buffer_load_dword v200, off, s[0:3], 0 offset:840
	buffer_load_dword v202, off, s[0:3], 0 offset:832
	buffer_load_dword v201, off, s[0:3], 0 offset:844
	buffer_load_dword v203, off, s[0:3], 0 offset:836
	buffer_load_dword v199, off, s[0:3], 0 offset:876
	buffer_load_dword v205, off, s[0:3], 0 offset:860
	buffer_load_dword v204, off, s[0:3], 0 offset:856
	buffer_load_dword v209, off, s[0:3], 0 offset:852
	buffer_load_dword v208, off, s[0:3], 0 offset:848
	buffer_load_dword v198, off, s[0:3], 0 offset:872
	buffer_load_dword v207, off, s[0:3], 0 offset:868
	buffer_load_dword v206, off, s[0:3], 0 offset:864
	ds_read_b128 v[54:57], v1 offset:1664
	buffer_load_dword v211, off, s[0:3], 0 offset:892
	buffer_load_dword v210, off, s[0:3], 0 offset:888
	;; [unrolled: 1-line block ×4, first 2 shown]
	s_waitcnt lgkmcnt(1)
	v_mul_f64 v[4:5], v[50:51], v[148:149]
	buffer_load_dword v214, off, s[0:3], 0 offset:904
	buffer_load_dword v216, off, s[0:3], 0 offset:896
	;; [unrolled: 1-line block ×8, first 2 shown]
	v_fma_f64 v[96:97], v[112:113], v[84:85], -v[58:59]
	v_fmac_f64_e32 v[4:5], v[52:53], v[152:153]
	v_mul_f64 v[58:59], v[224:225], v[68:69]
	v_add_f64 v[4:5], v[254:255], v[4:5]
	v_fma_f64 v[254:255], v[222:223], v[82:83], -v[58:59]
	buffer_load_dword v222, off, s[0:3], 0 offset:936
	buffer_load_dword v224, off, s[0:3], 0 offset:928
	;; [unrolled: 1-line block ×4, first 2 shown]
	s_waitcnt vmcnt(50) lgkmcnt(0)
	v_mul_f64 v[58:59], v[54:55], v[182:183]
	s_waitcnt vmcnt(48)
	v_fmac_f64_e32 v[58:59], v[56:57], v[184:185]
	v_add_f64 v[4:5], v[4:5], v[58:59]
	ds_read_b128 v[58:61], v1 offset:1680
	v_mul_f64 v[62:63], v[228:229], v[64:65]
	v_fma_f64 v[108:109], v[226:227], v[66:67], -v[62:63]
	ds_read_b128 v[62:65], v1 offset:1696
	v_mul_f64 v[66:67], v[232:233], v[70:71]
	v_fma_f64 v[226:227], v[230:231], v[72:73], -v[66:67]
	ds_read_b128 v[66:69], v1 offset:1712
	ds_read_b128 v[74:77], v1 offset:1744
	s_waitcnt lgkmcnt(3)
	v_mul_f64 v[82:83], v[58:59], v[156:157]
	v_fmac_f64_e32 v[82:83], v[60:61], v[160:161]
	s_waitcnt vmcnt(42) lgkmcnt(2)
	v_mul_f64 v[70:71], v[62:63], v[186:187]
	v_add_f64 v[4:5], v[4:5], v[82:83]
	s_waitcnt vmcnt(40)
	v_fmac_f64_e32 v[70:71], v[64:65], v[188:189]
	v_add_f64 v[4:5], v[4:5], v[70:71]
	s_waitcnt lgkmcnt(1)
	v_mul_f64 v[70:71], v[66:67], v[164:165]
	v_fmac_f64_e32 v[70:71], v[68:69], v[168:169]
	v_add_f64 v[4:5], v[4:5], v[70:71]
	ds_read_b128 v[70:73], v1 offset:1728
	ds_read_b128 v[78:81], v1 offset:1760
	;; [unrolled: 1-line block ×4, first 2 shown]
	v_mul_f64 v[100:101], v[100:101], v[102:103]
	s_waitcnt vmcnt(34) lgkmcnt(3)
	v_mul_f64 v[82:83], v[70:71], v[190:191]
	s_waitcnt vmcnt(32)
	v_fmac_f64_e32 v[82:83], v[72:73], v[192:193]
	v_add_f64 v[4:5], v[4:5], v[82:83]
	v_mul_f64 v[82:83], v[74:75], v[172:173]
	v_fmac_f64_e32 v[82:83], v[76:77], v[176:177]
	v_add_f64 v[4:5], v[4:5], v[82:83]
	v_mul_f64 v[102:103], v[236:237], v[106:107]
	v_fma_f64 v[252:253], v[98:99], v[104:105], -v[100:101]
	ds_read_b128 v[98:101], v1 offset:1840
	v_fma_f64 v[102:103], v[234:235], v[116:117], -v[102:103]
	v_accvgpr_write_b32 a187, v103
	v_accvgpr_write_b32 a186, v102
	ds_read_b128 v[102:105], v1 offset:1856
	ds_read_b128 v[232:235], v1 offset:1872
	v_add_f64 v[2:3], v[2:3], 0
	ds_read_b128 v[86:89], v1 offset:1792
	v_add_f64 v[2:3], v[2:3], v[94:95]
	v_add_f64 v[2:3], v[2:3], v[96:97]
	;; [unrolled: 1-line block ×9, first 2 shown]
	v_accvgpr_read_b32 v94, a182
	v_add_f64 v[252:253], v[2:3], v[252:253]
	v_accvgpr_read_b32 v2, a186
	v_accvgpr_read_b32 v95, a183
	;; [unrolled: 1-line block ×4, first 2 shown]
	v_mul_f64 v[94:95], v[120:121], v[94:95]
	v_accvgpr_read_b32 v97, a185
	v_add_f64 v[2:3], v[252:253], v[2:3]
	v_fma_f64 v[94:95], v[118:119], v[96:97], -v[94:95]
	v_mul_f64 v[8:9], v[8:9], v[138:139]
	s_waitcnt vmcnt(30) lgkmcnt(6)
	v_mul_f64 v[82:83], v[78:79], v[194:195]
	v_add_f64 v[2:3], v[2:3], v[94:95]
	s_waitcnt vmcnt(28)
	v_fmac_f64_e32 v[82:83], v[80:81], v[196:197]
	v_add_f64 v[4:5], v[4:5], v[82:83]
	ds_read_b128 v[82:85], v1 offset:1776
	v_fma_f64 v[6:7], v[6:7], v[142:143], -v[8:9]
	v_add_f64 v[2:3], v[2:3], v[6:7]
	s_waitcnt vmcnt(9) lgkmcnt(4)
	v_mul_f64 v[106:107], v[98:99], v[214:215]
	s_waitcnt vmcnt(8)
	v_fmac_f64_e32 v[106:107], v[100:101], v[216:217]
	s_waitcnt lgkmcnt(0)
	v_mul_f64 v[110:111], v[82:83], v[200:201]
	v_fmac_f64_e32 v[110:111], v[84:85], v[202:203]
	v_add_f64 v[4:5], v[4:5], v[110:111]
	v_mul_f64 v[110:111], v[86:87], v[204:205]
	v_fmac_f64_e32 v[110:111], v[88:89], v[208:209]
	v_add_f64 v[4:5], v[4:5], v[110:111]
	;; [unrolled: 3-line block ×4, first 2 shown]
	v_add_f64 v[4:5], v[4:5], v[106:107]
	s_waitcnt vmcnt(6)
	v_mul_f64 v[106:107], v[102:103], v[218:219]
	s_waitcnt vmcnt(4)
	v_fmac_f64_e32 v[106:107], v[104:105], v[220:221]
	v_add_f64 v[4:5], v[4:5], v[106:107]
	s_waitcnt vmcnt(1)
	v_mul_f64 v[106:107], v[232:233], v[222:223]
	s_waitcnt vmcnt(0)
	v_fmac_f64_e32 v[106:107], v[234:235], v[224:225]
	v_add_f64 v[106:107], v[4:5], v[106:107]
	buffer_load_dword v5, off, s[0:3], 0 offset:956
	buffer_load_dword v4, off, s[0:3], 0 offset:952
	;; [unrolled: 1-line block ×4, first 2 shown]
	ds_read_b128 v[110:113], v1 offset:1888
	buffer_load_dword v242, off, s[0:3], 0 offset:968
	buffer_load_dword v243, off, s[0:3], 0 offset:972
	;; [unrolled: 1-line block ×4, first 2 shown]
	v_mul_f64 v[6:7], v[12:13], v[122:123]
	v_fma_f64 v[6:7], v[10:11], v[124:125], -v[6:7]
	v_add_f64 v[2:3], v[2:3], v[6:7]
	v_mul_f64 v[6:7], v[16:17], v[146:147]
	v_fma_f64 v[6:7], v[14:15], v[150:151], -v[6:7]
	v_add_f64 v[2:3], v[2:3], v[6:7]
	;; [unrolled: 3-line block ×25, first 2 shown]
	s_waitcnt vmcnt(6) lgkmcnt(0)
	v_mul_f64 v[114:115], v[110:111], v[4:5]
	v_mul_f64 v[4:5], v[112:113], v[4:5]
	s_waitcnt vmcnt(4)
	v_fmac_f64_e32 v[114:115], v[112:113], v[236:237]
	v_add_f64 v[106:107], v[106:107], v[114:115]
	ds_read_b128 v[114:117], v1 offset:1904
	buffer_load_dword v248, off, s[0:3], 0 offset:304
	buffer_load_dword v249, off, s[0:3], 0 offset:308
	;; [unrolled: 1-line block ×4, first 2 shown]
	v_fma_f64 v[4:5], v[110:111], v[236:237], -v[4:5]
	v_add_f64 v[2:3], v[2:3], v[4:5]
	s_waitcnt vmcnt(6) lgkmcnt(0)
	v_mul_f64 v[4:5], v[116:117], v[242:243]
	v_mul_f64 v[250:251], v[114:115], v[242:243]
	s_waitcnt vmcnt(4)
	v_fma_f64 v[4:5], v[114:115], v[244:245], -v[4:5]
	v_fmac_f64_e32 v[250:251], v[116:117], v[244:245]
	v_add_f64 v[2:3], v[2:3], v[4:5]
	v_add_f64 v[106:107], v[106:107], v[250:251]
	s_waitcnt vmcnt(2)
	v_add_f64 v[2:3], v[248:249], -v[2:3]
	s_waitcnt vmcnt(0)
	v_add_f64 v[4:5], v[246:247], -v[106:107]
	buffer_store_dword v3, off, s[0:3], 0 offset:308
	buffer_store_dword v2, off, s[0:3], 0 offset:304
	buffer_store_dword v5, off, s[0:3], 0 offset:316
	buffer_store_dword v4, off, s[0:3], 0 offset:312
	s_and_saveexec_b64 s[4:5], vcc
	s_cbranch_execz .LBB123_339
; %bb.338:
	v_accvgpr_read_b32 v0, a162
	buffer_load_dword v2, v0, s[0:3], 0 offen
	buffer_load_dword v3, v0, s[0:3], 0 offen offset:4
	buffer_load_dword v4, v0, s[0:3], 0 offen offset:8
	;; [unrolled: 1-line block ×3, first 2 shown]
	v_accvgpr_read_b32 v0, a180
	buffer_store_dword v1, off, s[0:3], 0 offset:288
	buffer_store_dword v1, off, s[0:3], 0 offset:292
	buffer_store_dword v1, off, s[0:3], 0 offset:296
	buffer_store_dword v1, off, s[0:3], 0 offset:300
	s_waitcnt vmcnt(4)
	ds_write_b128 v0, v[2:5]
.LBB123_339:
	s_or_b64 exec, exec, s[4:5]
	s_waitcnt lgkmcnt(0)
	; wave barrier
	s_waitcnt lgkmcnt(0)
	buffer_load_dword v58, off, s[0:3], 0 offset:304
	buffer_load_dword v59, off, s[0:3], 0 offset:308
	;; [unrolled: 1-line block ×42, first 2 shown]
	ds_read_b128 v[110:113], v1 offset:1248
	ds_read_b128 v[114:117], v1 offset:1264
	;; [unrolled: 1-line block ×10, first 2 shown]
	buffer_load_dword v251, off, s[0:3], 0 offset:452
	buffer_load_dword v250, off, s[0:3], 0 offset:448
	ds_read_b128 v[90:93], v1 offset:1408
	buffer_load_dword v105, off, s[0:3], 0 offset:508
	buffer_load_dword v104, off, s[0:3], 0 offset:504
	;; [unrolled: 1-line block ×6, first 2 shown]
	s_waitcnt vmcnt(46) lgkmcnt(10)
	v_mul_f64 v[2:3], v[110:111], v[60:61]
	v_fmac_f64_e32 v[2:3], v[112:113], v[58:59]
	v_add_f64 v[2:3], v[2:3], 0
	v_mul_f64 v[60:61], v[112:113], v[60:61]
	s_waitcnt vmcnt(42) lgkmcnt(9)
	v_mul_f64 v[4:5], v[114:115], v[62:63]
	v_fmac_f64_e32 v[4:5], v[116:117], v[56:57]
	v_add_f64 v[2:3], v[2:3], v[4:5]
	buffer_load_dword v253, off, s[0:3], 0 offset:484
	buffer_load_dword v252, off, s[0:3], 0 offset:480
	;; [unrolled: 1-line block ×4, first 2 shown]
	s_waitcnt vmcnt(44) lgkmcnt(8)
	v_mul_f64 v[6:7], v[210:211], v[218:219]
	s_waitcnt vmcnt(42) lgkmcnt(6)
	v_mul_f64 v[10:11], v[222:223], v[64:65]
	s_waitcnt vmcnt(40)
	v_fmac_f64_e32 v[10:11], v[224:225], v[66:67]
	s_waitcnt vmcnt(38)
	v_mul_f64 v[8:9], v[214:215], v[68:69]
	s_waitcnt vmcnt(36) lgkmcnt(4)
	v_mul_f64 v[14:15], v[230:231], v[70:71]
	s_waitcnt vmcnt(34)
	v_fmac_f64_e32 v[14:15], v[232:233], v[72:73]
	s_waitcnt vmcnt(32)
	v_mul_f64 v[12:13], v[226:227], v[74:75]
	s_waitcnt vmcnt(30) lgkmcnt(2)
	v_mul_f64 v[18:19], v[238:239], v[78:79]
	v_mul_f64 v[78:79], v[240:241], v[78:79]
	s_waitcnt vmcnt(27)
	v_mul_f64 v[16:17], v[234:235], v[76:77]
	s_waitcnt vmcnt(25) lgkmcnt(1)
	v_mul_f64 v[20:21], v[82:83], v[86:87]
	s_waitcnt vmcnt(23)
	v_fmac_f64_e32 v[6:7], v[212:213], v[100:101]
	v_add_f64 v[2:3], v[2:3], v[6:7]
	s_waitcnt vmcnt(21)
	v_fmac_f64_e32 v[8:9], v[216:217], v[98:99]
	v_add_f64 v[2:3], v[2:3], v[8:9]
	s_waitcnt vmcnt(19)
	v_fmac_f64_e32 v[12:13], v[228:229], v[94:95]
	v_add_f64 v[2:3], v[2:3], v[10:11]
	v_add_f64 v[2:3], v[2:3], v[12:13]
	s_waitcnt vmcnt(17)
	v_fmac_f64_e32 v[16:17], v[236:237], v[88:89]
	v_add_f64 v[2:3], v[2:3], v[14:15]
	s_waitcnt vmcnt(16)
	v_fmac_f64_e32 v[18:19], v[240:241], v[80:81]
	v_add_f64 v[2:3], v[2:3], v[16:17]
	v_add_f64 v[2:3], v[2:3], v[18:19]
	s_waitcnt vmcnt(10)
	v_fmac_f64_e32 v[20:21], v[84:85], v[250:251]
	v_add_f64 v[2:3], v[2:3], v[20:21]
	v_mul_f64 v[84:85], v[84:85], v[86:87]
	s_waitcnt vmcnt(0)
	v_pk_mov_b32 v[18:19], v[4:5], v[4:5] op_sel:[0,1]
	buffer_load_dword v5, off, s[0:3], 0 offset:532
	buffer_load_dword v4, off, s[0:3], 0 offset:528
	v_accvgpr_write_b32 a183, v19
	v_accvgpr_write_b32 a182, v18
	s_waitcnt vmcnt(0)
	v_pk_mov_b32 v[22:23], v[4:5], v[4:5] op_sel:[0,1]
	buffer_load_dword v135, off, s[0:3], 0 offset:524
	buffer_load_dword v134, off, s[0:3], 0 offset:520
	;; [unrolled: 1-line block ×6, first 2 shown]
	v_accvgpr_write_b32 a185, v23
	v_accvgpr_write_b32 a184, v22
	s_waitcnt vmcnt(0)
	v_pk_mov_b32 v[26:27], v[4:5], v[4:5] op_sel:[0,1]
	buffer_load_dword v5, off, s[0:3], 0 offset:564
	buffer_load_dword v4, off, s[0:3], 0 offset:560
	v_accvgpr_write_b32 a187, v27
	v_accvgpr_write_b32 a186, v26
	s_waitcnt vmcnt(0)
	v_pk_mov_b32 v[28:29], v[4:5], v[4:5] op_sel:[0,1]
	buffer_load_dword v143, off, s[0:3], 0 offset:556
	buffer_load_dword v142, off, s[0:3], 0 offset:552
	;; [unrolled: 1-line block ×60, first 2 shown]
	ds_read_b128 v[242:245], v1 offset:1424
	ds_read_b128 v[246:249], v1 offset:1440
	;; [unrolled: 1-line block ×5, first 2 shown]
	v_accvgpr_write_b32 a189, v29
	s_waitcnt lgkmcnt(3)
	v_mul_f64 v[8:9], v[246:247], v[104:105]
	v_fmac_f64_e32 v[8:9], v[248:249], v[106:107]
	s_waitcnt lgkmcnt(2)
	v_mul_f64 v[12:13], v[118:119], v[134:135]
	v_fmac_f64_e32 v[12:13], v[120:121], v[138:139]
	;; [unrolled: 3-line block ×3, first 2 shown]
	v_accvgpr_write_b32 a188, v28
	s_waitcnt vmcnt(54)
	v_pk_mov_b32 v[34:35], v[4:5], v[4:5] op_sel:[0,1]
	v_mul_f64 v[4:5], v[90:91], v[96:97]
	v_fmac_f64_e32 v[4:5], v[92:93], v[102:103]
	v_add_f64 v[2:3], v[2:3], v[4:5]
	v_mul_f64 v[4:5], v[242:243], v[108:109]
	v_fmac_f64_e32 v[4:5], v[244:245], v[252:253]
	v_add_f64 v[6:7], v[2:3], v[4:5]
	v_add_f64 v[10:11], v[6:7], v[8:9]
	;; [unrolled: 1-line block ×4, first 2 shown]
	ds_read_b128 v[14:17], v1 offset:1504
	s_waitcnt lgkmcnt(1)
	v_mul_f64 v[20:21], v[122:123], v[142:143]
	v_fmac_f64_e32 v[20:21], v[124:125], v[146:147]
	v_add_f64 v[22:23], v[18:19], v[20:21]
	ds_read_b128 v[18:21], v1 offset:1520
	s_waitcnt lgkmcnt(1)
	v_mul_f64 v[24:25], v[14:15], v[26:27]
	v_fmac_f64_e32 v[24:25], v[16:17], v[28:29]
	v_add_f64 v[26:27], v[22:23], v[24:25]
	ds_read_b128 v[22:25], v1 offset:1536
	s_waitcnt vmcnt(50) lgkmcnt(1)
	v_mul_f64 v[28:29], v[18:19], v[150:151]
	s_waitcnt vmcnt(48)
	v_fmac_f64_e32 v[28:29], v[20:21], v[154:155]
	v_add_f64 v[30:31], v[26:27], v[28:29]
	ds_read_b128 v[26:29], v1 offset:1552
	s_waitcnt lgkmcnt(1)
	v_mul_f64 v[32:33], v[22:23], v[34:35]
	v_accvgpr_write_b32 a191, v35
	v_fmac_f64_e32 v[32:33], v[24:25], v[128:129]
	v_accvgpr_write_b32 a190, v34
	v_add_f64 v[34:35], v[30:31], v[32:33]
	ds_read_b128 v[30:33], v1 offset:1568
	s_waitcnt vmcnt(42) lgkmcnt(1)
	v_mul_f64 v[36:37], v[26:27], v[158:159]
	s_waitcnt vmcnt(40)
	v_fmac_f64_e32 v[36:37], v[28:29], v[162:163]
	v_add_f64 v[38:39], v[34:35], v[36:37]
	ds_read_b128 v[34:37], v1 offset:1584
	s_waitcnt lgkmcnt(1)
	v_mul_f64 v[40:41], v[30:31], v[130:131]
	v_fmac_f64_e32 v[40:41], v[32:33], v[132:133]
	v_add_f64 v[42:43], v[38:39], v[40:41]
	ds_read_b128 v[38:41], v1 offset:1600
	s_waitcnt vmcnt(34) lgkmcnt(1)
	v_mul_f64 v[44:45], v[34:35], v[166:167]
	s_waitcnt vmcnt(32)
	v_fmac_f64_e32 v[44:45], v[36:37], v[170:171]
	v_add_f64 v[46:47], v[42:43], v[44:45]
	ds_read_b128 v[42:45], v1 offset:1616
	s_waitcnt lgkmcnt(1)
	v_mul_f64 v[48:49], v[38:39], v[136:137]
	v_fmac_f64_e32 v[48:49], v[40:41], v[140:141]
	v_add_f64 v[50:51], v[46:47], v[48:49]
	ds_read_b128 v[46:49], v1 offset:1632
	s_waitcnt vmcnt(26) lgkmcnt(1)
	v_mul_f64 v[52:53], v[42:43], v[174:175]
	s_waitcnt vmcnt(24)
	v_fmac_f64_e32 v[52:53], v[44:45], v[176:177]
	v_add_f64 v[254:255], v[50:51], v[52:53]
	ds_read_b128 v[50:53], v1 offset:1648
	buffer_load_dword v13, off, s[0:3], 0 offset:812
	buffer_load_dword v12, off, s[0:3], 0 offset:808
	buffer_load_dword v127, off, s[0:3], 0 offset:804
	buffer_load_dword v126, off, s[0:3], 0 offset:800
	buffer_load_dword v196, off, s[0:3], 0 offset:824
	buffer_load_dword v198, off, s[0:3], 0 offset:816
	buffer_load_dword v197, off, s[0:3], 0 offset:828
	buffer_load_dword v199, off, s[0:3], 0 offset:820
	buffer_load_dword v195, off, s[0:3], 0 offset:860
	buffer_load_dword v201, off, s[0:3], 0 offset:844
	buffer_load_dword v200, off, s[0:3], 0 offset:840
	buffer_load_dword v207, off, s[0:3], 0 offset:836
	buffer_load_dword v206, off, s[0:3], 0 offset:832
	buffer_load_dword v194, off, s[0:3], 0 offset:856
	buffer_load_dword v205, off, s[0:3], 0 offset:852
	buffer_load_dword v204, off, s[0:3], 0 offset:848
	buffer_load_dword v203, off, s[0:3], 0 offset:876
	buffer_load_dword v202, off, s[0:3], 0 offset:872
	buffer_load_dword v209, off, s[0:3], 0 offset:868
	buffer_load_dword v208, off, s[0:3], 0 offset:864
	v_mul_f64 v[4:5], v[116:117], v[62:63]
	v_fma_f64 v[8:9], v[114:115], v[56:57], -v[4:5]
	v_mul_f64 v[56:57], v[212:213], v[218:219]
	v_fma_f64 v[100:101], v[210:211], v[100:101], -v[56:57]
	;; [unrolled: 2-line block ×3, first 2 shown]
	buffer_load_dword v212, off, s[0:3], 0 offset:888
	buffer_load_dword v214, off, s[0:3], 0 offset:880
	;; [unrolled: 1-line block ×12, first 2 shown]
	s_waitcnt lgkmcnt(1)
	v_mul_f64 v[54:55], v[46:47], v[144:145]
	v_fmac_f64_e32 v[54:55], v[48:49], v[148:149]
	v_fma_f64 v[10:11], v[110:111], v[58:59], -v[60:61]
	v_add_f64 v[58:59], v[254:255], v[54:55]
	v_mul_f64 v[54:55], v[224:225], v[64:65]
	v_fma_f64 v[254:255], v[222:223], v[66:67], -v[54:55]
	buffer_load_dword v223, off, s[0:3], 0 offset:940
	buffer_load_dword v222, off, s[0:3], 0 offset:936
	;; [unrolled: 1-line block ×4, first 2 shown]
	s_waitcnt vmcnt(54) lgkmcnt(0)
	v_mul_f64 v[60:61], v[50:51], v[178:179]
	ds_read_b128 v[54:57], v1 offset:1664
	s_waitcnt vmcnt(52)
	v_fmac_f64_e32 v[60:61], v[52:53], v[180:181]
	v_add_f64 v[62:63], v[58:59], v[60:61]
	v_mul_f64 v[58:59], v[228:229], v[74:75]
	v_fma_f64 v[74:75], v[226:227], v[94:95], -v[58:59]
	ds_read_b128 v[58:61], v1 offset:1680
	s_waitcnt lgkmcnt(1)
	v_mul_f64 v[64:65], v[54:55], v[152:153]
	v_fmac_f64_e32 v[64:65], v[56:57], v[156:157]
	v_add_f64 v[94:95], v[62:63], v[64:65]
	ds_read_b128 v[62:65], v1 offset:1696
	v_mul_f64 v[66:67], v[232:233], v[70:71]
	s_waitcnt vmcnt(46) lgkmcnt(1)
	v_mul_f64 v[70:71], v[58:59], v[182:183]
	v_fma_f64 v[226:227], v[230:231], v[72:73], -v[66:67]
	ds_read_b128 v[66:69], v1 offset:1712
	s_waitcnt vmcnt(44)
	v_fmac_f64_e32 v[70:71], v[60:61], v[184:185]
	v_add_f64 v[94:95], v[94:95], v[70:71]
	v_mul_f64 v[70:71], v[236:237], v[76:77]
	v_fma_f64 v[236:237], v[234:235], v[88:89], -v[70:71]
	ds_read_b128 v[70:73], v1 offset:1728
	ds_read_b128 v[232:235], v1 offset:1744
	s_waitcnt lgkmcnt(3)
	v_mul_f64 v[110:111], v[62:63], v[160:161]
	v_fmac_f64_e32 v[110:111], v[64:65], v[164:165]
	s_waitcnt vmcnt(38) lgkmcnt(2)
	v_mul_f64 v[88:89], v[66:67], v[186:187]
	v_fma_f64 v[6:7], v[238:239], v[80:81], -v[78:79]
	ds_read_b128 v[78:81], v1 offset:1760
	v_add_f64 v[76:77], v[94:95], v[110:111]
	s_waitcnt vmcnt(36)
	v_fmac_f64_e32 v[88:89], v[68:69], v[188:189]
	v_add_f64 v[76:77], v[76:77], v[88:89]
	s_waitcnt lgkmcnt(2)
	v_mul_f64 v[88:89], v[70:71], v[168:169]
	v_fmac_f64_e32 v[88:89], v[72:73], v[172:173]
	v_add_f64 v[76:77], v[76:77], v[88:89]
	v_fma_f64 v[4:5], v[82:83], v[250:251], -v[84:85]
	ds_read_b128 v[82:85], v1 offset:1776
	v_mul_f64 v[92:93], v[92:93], v[96:97]
	v_fma_f64 v[2:3], v[90:91], v[102:103], -v[92:93]
	ds_read_b128 v[228:231], v1 offset:1824
	v_mul_f64 v[96:97], v[244:245], v[108:109]
	v_fma_f64 v[250:251], v[242:243], v[252:253], -v[96:97]
	v_mul_f64 v[102:103], v[248:249], v[104:105]
	v_fma_f64 v[252:253], v[246:247], v[106:107], -v[102:103]
	ds_read_b128 v[102:105], v1 offset:1856
	v_add_f64 v[10:11], v[10:11], 0
	v_add_f64 v[8:9], v[10:11], v[8:9]
	;; [unrolled: 1-line block ×3, first 2 shown]
	ds_read_b128 v[90:93], v1 offset:1808
	v_add_f64 v[8:9], v[8:9], v[98:99]
	v_add_f64 v[8:9], v[8:9], v[254:255]
	;; [unrolled: 1-line block ×9, first 2 shown]
	v_mul_f64 v[4:5], v[120:121], v[134:135]
	s_waitcnt vmcnt(25) lgkmcnt(3)
	v_mul_f64 v[94:95], v[82:83], v[200:201]
	v_add_f64 v[2:3], v[2:3], v[252:253]
	s_waitcnt vmcnt(23)
	v_fmac_f64_e32 v[94:95], v[84:85], v[206:207]
	v_fma_f64 v[4:5], v[118:119], v[138:139], -v[4:5]
	v_mul_f64 v[88:89], v[232:233], v[12:13]
	v_add_f64 v[2:3], v[2:3], v[4:5]
	v_fmac_f64_e32 v[88:89], v[234:235], v[126:127]
	v_mul_f64 v[86:87], v[78:79], v[196:197]
	v_add_f64 v[76:77], v[76:77], v[88:89]
	v_fmac_f64_e32 v[86:87], v[80:81], v[198:199]
	v_add_f64 v[76:77], v[76:77], v[86:87]
	ds_read_b128 v[86:89], v1 offset:1792
	v_add_f64 v[76:77], v[76:77], v[94:95]
	s_waitcnt vmcnt(22) lgkmcnt(0)
	v_mul_f64 v[94:95], v[86:87], v[194:195]
	s_waitcnt vmcnt(20)
	v_fmac_f64_e32 v[94:95], v[88:89], v[204:205]
	v_add_f64 v[76:77], v[76:77], v[94:95]
	s_waitcnt vmcnt(18)
	v_mul_f64 v[94:95], v[90:91], v[202:203]
	s_waitcnt vmcnt(16)
	v_fmac_f64_e32 v[94:95], v[92:93], v[208:209]
	v_add_f64 v[76:77], v[76:77], v[94:95]
	ds_read_b128 v[94:97], v1 offset:1840
	s_waitcnt vmcnt(13)
	v_mul_f64 v[106:107], v[228:229], v[212:213]
	s_waitcnt vmcnt(12)
	v_fmac_f64_e32 v[106:107], v[230:231], v[214:215]
	v_add_f64 v[76:77], v[76:77], v[106:107]
	s_waitcnt vmcnt(9) lgkmcnt(0)
	v_mul_f64 v[106:107], v[94:95], v[218:219]
	s_waitcnt vmcnt(7)
	v_fmac_f64_e32 v[106:107], v[96:97], v[220:221]
	v_add_f64 v[76:77], v[76:77], v[106:107]
	s_waitcnt vmcnt(5)
	v_mul_f64 v[106:107], v[102:103], v[210:211]
	s_waitcnt vmcnt(4)
	v_fmac_f64_e32 v[106:107], v[104:105], v[216:217]
	v_add_f64 v[76:77], v[76:77], v[106:107]
	ds_read_b128 v[106:109], v1 offset:1872
	s_waitcnt vmcnt(2) lgkmcnt(0)
	v_mul_f64 v[110:111], v[106:107], v[222:223]
	s_waitcnt vmcnt(0)
	v_fmac_f64_e32 v[110:111], v[108:109], v[224:225]
	v_add_f64 v[114:115], v[76:77], v[110:111]
	buffer_load_dword v76, off, s[0:3], 0 offset:952
	buffer_load_dword v77, off, s[0:3], 0 offset:956
	;; [unrolled: 1-line block ×4, first 2 shown]
	ds_read_b128 v[110:113], v1 offset:1888
	buffer_load_dword v243, off, s[0:3], 0 offset:972
	buffer_load_dword v242, off, s[0:3], 0 offset:968
	buffer_load_dword v245, off, s[0:3], 0 offset:964
	buffer_load_dword v244, off, s[0:3], 0 offset:960
	s_waitcnt vmcnt(6) lgkmcnt(0)
	v_mul_f64 v[116:117], v[110:111], v[76:77]
	s_waitcnt vmcnt(4)
	v_fmac_f64_e32 v[116:117], v[112:113], v[238:239]
	v_add_f64 v[240:241], v[114:115], v[116:117]
	ds_read_b128 v[114:117], v1 offset:1904
	v_accvgpr_read_b32 v0, a182
	v_accvgpr_read_b32 v1, a183
	v_mul_f64 v[4:5], v[192:193], v[0:1]
	v_accvgpr_read_b32 v0, a184
	s_waitcnt vmcnt(2) lgkmcnt(0)
	v_mul_f64 v[246:247], v[114:115], v[242:243]
	s_waitcnt vmcnt(0)
	v_fmac_f64_e32 v[246:247], v[116:117], v[244:245]
	v_add_f64 v[240:241], v[240:241], v[246:247]
	buffer_load_dword v248, off, s[0:3], 0 offset:288
	buffer_load_dword v249, off, s[0:3], 0 offset:292
	;; [unrolled: 1-line block ×4, first 2 shown]
	v_accvgpr_read_b32 v1, a185
	v_fma_f64 v[4:5], v[190:191], v[0:1], -v[4:5]
	v_add_f64 v[2:3], v[2:3], v[4:5]
	v_mul_f64 v[4:5], v[124:125], v[142:143]
	v_accvgpr_read_b32 v0, a186
	v_fma_f64 v[4:5], v[122:123], v[146:147], -v[4:5]
	v_accvgpr_read_b32 v1, a187
	v_add_f64 v[2:3], v[2:3], v[4:5]
	v_mul_f64 v[4:5], v[16:17], v[0:1]
	v_accvgpr_read_b32 v0, a188
	v_accvgpr_read_b32 v1, a189
	v_fma_f64 v[4:5], v[14:15], v[0:1], -v[4:5]
	v_add_f64 v[2:3], v[2:3], v[4:5]
	v_mul_f64 v[4:5], v[20:21], v[150:151]
	v_accvgpr_read_b32 v0, a190
	v_fma_f64 v[4:5], v[18:19], v[154:155], -v[4:5]
	v_accvgpr_read_b32 v1, a191
	v_add_f64 v[2:3], v[2:3], v[4:5]
	v_mul_f64 v[4:5], v[24:25], v[0:1]
	v_fma_f64 v[4:5], v[22:23], v[128:129], -v[4:5]
	v_add_f64 v[2:3], v[2:3], v[4:5]
	v_mul_f64 v[4:5], v[28:29], v[158:159]
	v_fma_f64 v[4:5], v[26:27], v[162:163], -v[4:5]
	;; [unrolled: 3-line block ×24, first 2 shown]
	v_add_f64 v[2:3], v[2:3], v[4:5]
	v_accvgpr_read_b32 v0, a179
	s_waitcnt vmcnt(2)
	v_add_f64 v[2:3], v[248:249], -v[2:3]
	v_cmp_lt_u32_e32 vcc, 16, v0
	s_waitcnt vmcnt(0)
	v_add_f64 v[4:5], v[246:247], -v[240:241]
	buffer_store_dword v3, off, s[0:3], 0 offset:292
	buffer_store_dword v2, off, s[0:3], 0 offset:288
	buffer_store_dword v5, off, s[0:3], 0 offset:300
	buffer_store_dword v4, off, s[0:3], 0 offset:296
	s_and_saveexec_b64 s[4:5], vcc
	s_cbranch_execz .LBB123_341
; %bb.340:
	v_accvgpr_read_b32 v0, a163
	buffer_load_dword v2, v0, s[0:3], 0 offen
	buffer_load_dword v3, v0, s[0:3], 0 offen offset:4
	buffer_load_dword v4, v0, s[0:3], 0 offen offset:8
	;; [unrolled: 1-line block ×3, first 2 shown]
	v_mov_b32_e32 v0, 0
	v_accvgpr_read_b32 v1, a180
	buffer_store_dword v0, off, s[0:3], 0 offset:272
	buffer_store_dword v0, off, s[0:3], 0 offset:276
	buffer_store_dword v0, off, s[0:3], 0 offset:280
	buffer_store_dword v0, off, s[0:3], 0 offset:284
	s_waitcnt vmcnt(4)
	ds_write_b128 v1, v[2:5]
.LBB123_341:
	s_or_b64 exec, exec, s[4:5]
	s_waitcnt lgkmcnt(0)
	; wave barrier
	s_waitcnt lgkmcnt(0)
	buffer_load_dword v50, off, s[0:3], 0 offset:288
	buffer_load_dword v51, off, s[0:3], 0 offset:292
	;; [unrolled: 1-line block ×54, first 2 shown]
	v_mov_b32_e32 v1, 0
	ds_read_b128 v[102:105], v1 offset:1232
	ds_read_b128 v[106:109], v1 offset:1248
	;; [unrolled: 1-line block ×9, first 2 shown]
	v_accvgpr_read_b32 v0, a179
	v_cmp_lt_u32_e32 vcc, 15, v0
	s_waitcnt vmcnt(46) lgkmcnt(7)
	v_mul_f64 v[4:5], v[106:107], v[58:59]
	v_fmac_f64_e32 v[4:5], v[108:109], v[52:53]
	s_waitcnt vmcnt(44) lgkmcnt(6)
	v_mul_f64 v[6:7], v[110:111], v[54:55]
	s_waitcnt vmcnt(42) lgkmcnt(4)
	v_mul_f64 v[10:11], v[206:207], v[62:63]
	s_waitcnt vmcnt(40)
	v_fmac_f64_e32 v[10:11], v[208:209], v[60:61]
	s_waitcnt vmcnt(38)
	v_mul_f64 v[8:9], v[114:115], v[64:65]
	s_waitcnt vmcnt(36) lgkmcnt(2)
	v_mul_f64 v[14:15], v[226:227], v[66:67]
	s_waitcnt vmcnt(34)
	v_fmac_f64_e32 v[14:15], v[228:229], v[70:71]
	s_waitcnt vmcnt(32)
	;; [unrolled: 6-line block ×3, first 2 shown]
	v_fmac_f64_e32 v[8:9], v[116:117], v[210:211]
	s_waitcnt vmcnt(24)
	v_fmac_f64_e32 v[12:13], v[224:225], v[78:79]
	s_waitcnt vmcnt(22)
	;; [unrolled: 2-line block ×3, first 2 shown]
	v_pk_mov_b32 v[18:19], v[2:3], v[2:3] op_sel:[0,1]
	v_mul_f64 v[2:3], v[102:103], v[56:57]
	v_fmac_f64_e32 v[2:3], v[104:105], v[50:51]
	v_add_f64 v[2:3], v[2:3], 0
	v_add_f64 v[2:3], v[2:3], v[4:5]
	buffer_load_dword v5, off, s[0:3], 0 offset:516
	buffer_load_dword v4, off, s[0:3], 0 offset:512
	v_add_f64 v[2:3], v[2:3], v[6:7]
	v_add_f64 v[2:3], v[2:3], v[8:9]
	;; [unrolled: 1-line block ×6, first 2 shown]
	v_accvgpr_write_b32 a183, v19
	v_accvgpr_write_b32 a182, v18
	s_waitcnt vmcnt(0)
	v_pk_mov_b32 v[14:15], v[4:5], v[4:5] op_sel:[0,1]
	buffer_load_dword v81, off, s[0:3], 0 offset:508
	buffer_load_dword v80, off, s[0:3], 0 offset:504
	;; [unrolled: 1-line block ×6, first 2 shown]
	v_accvgpr_write_b32 a185, v15
	v_accvgpr_write_b32 a184, v14
	s_waitcnt vmcnt(0)
	v_pk_mov_b32 v[22:23], v[4:5], v[4:5] op_sel:[0,1]
	buffer_load_dword v5, off, s[0:3], 0 offset:548
	buffer_load_dword v4, off, s[0:3], 0 offset:544
	v_accvgpr_write_b32 a187, v23
	v_accvgpr_write_b32 a186, v22
	s_waitcnt vmcnt(0)
	v_pk_mov_b32 v[24:25], v[4:5], v[4:5] op_sel:[0,1]
	buffer_load_dword v139, off, s[0:3], 0 offset:540
	buffer_load_dword v138, off, s[0:3], 0 offset:536
	;; [unrolled: 1-line block ×52, first 2 shown]
	ds_read_b128 v[238:241], v1 offset:1376
	ds_read_b128 v[242:245], v1 offset:1392
	;; [unrolled: 1-line block ×7, first 2 shown]
	v_accvgpr_write_b32 a189, v25
	v_accvgpr_write_b32 a188, v24
	s_waitcnt lgkmcnt(2)
	v_mul_f64 v[8:9], v[118:119], v[80:81]
	v_fmac_f64_e32 v[8:9], v[120:121], v[82:83]
	s_waitcnt lgkmcnt(1)
	v_mul_f64 v[12:13], v[126:127], v[18:19]
	v_fmac_f64_e32 v[12:13], v[128:129], v[14:15]
	v_mul_f64 v[80:81], v[120:121], v[80:81]
	s_waitcnt vmcnt(44)
	v_pk_mov_b32 v[30:31], v[4:5], v[4:5] op_sel:[0,1]
	v_mul_f64 v[4:5], v[234:235], v[74:75]
	v_fmac_f64_e32 v[4:5], v[236:237], v[84:85]
	v_add_f64 v[2:3], v[2:3], v[4:5]
	v_mul_f64 v[4:5], v[238:239], v[90:91]
	v_fmac_f64_e32 v[4:5], v[240:241], v[92:93]
	v_add_f64 v[2:3], v[2:3], v[4:5]
	;; [unrolled: 3-line block ×5, first 2 shown]
	v_add_f64 v[10:11], v[6:7], v[8:9]
	v_add_f64 v[14:15], v[10:11], v[12:13]
	ds_read_b128 v[10:13], v1 offset:1488
	s_waitcnt lgkmcnt(1)
	v_mul_f64 v[16:17], v[122:123], v[138:139]
	v_fmac_f64_e32 v[16:17], v[124:125], v[142:143]
	v_add_f64 v[18:19], v[14:15], v[16:17]
	ds_read_b128 v[14:17], v1 offset:1504
	s_waitcnt lgkmcnt(1)
	v_mul_f64 v[20:21], v[10:11], v[22:23]
	v_fmac_f64_e32 v[20:21], v[12:13], v[24:25]
	v_add_f64 v[22:23], v[18:19], v[20:21]
	ds_read_b128 v[18:21], v1 offset:1520
	s_waitcnt vmcnt(42) lgkmcnt(1)
	v_mul_f64 v[24:25], v[14:15], v[146:147]
	s_waitcnt vmcnt(40)
	v_fmac_f64_e32 v[24:25], v[16:17], v[150:151]
	v_add_f64 v[26:27], v[22:23], v[24:25]
	ds_read_b128 v[22:25], v1 offset:1536
	s_waitcnt lgkmcnt(1)
	v_mul_f64 v[28:29], v[18:19], v[254:255]
	v_fmac_f64_e32 v[28:29], v[20:21], v[30:31]
	v_accvgpr_write_b32 a191, v31
	v_accvgpr_write_b32 a190, v30
	v_add_f64 v[30:31], v[26:27], v[28:29]
	ds_read_b128 v[26:29], v1 offset:1552
	s_waitcnt vmcnt(34) lgkmcnt(1)
	v_mul_f64 v[32:33], v[22:23], v[154:155]
	s_waitcnt vmcnt(32)
	v_fmac_f64_e32 v[32:33], v[24:25], v[158:159]
	v_add_f64 v[34:35], v[30:31], v[32:33]
	ds_read_b128 v[30:33], v1 offset:1568
	s_waitcnt lgkmcnt(1)
	v_mul_f64 v[36:37], v[26:27], v[130:131]
	v_fmac_f64_e32 v[36:37], v[28:29], v[132:133]
	v_add_f64 v[38:39], v[34:35], v[36:37]
	ds_read_b128 v[34:37], v1 offset:1584
	s_waitcnt vmcnt(26) lgkmcnt(1)
	v_mul_f64 v[40:41], v[30:31], v[162:163]
	s_waitcnt vmcnt(24)
	v_fmac_f64_e32 v[40:41], v[32:33], v[164:165]
	v_add_f64 v[42:43], v[38:39], v[40:41]
	ds_read_b128 v[38:41], v1 offset:1600
	s_waitcnt lgkmcnt(1)
	v_mul_f64 v[44:45], v[34:35], v[134:135]
	v_fmac_f64_e32 v[44:45], v[36:37], v[136:137]
	v_add_f64 v[46:47], v[42:43], v[44:45]
	ds_read_b128 v[42:45], v1 offset:1616
	buffer_load_dword v179, off, s[0:3], 0 offset:780
	buffer_load_dword v181, off, s[0:3], 0 offset:764
	;; [unrolled: 1-line block ×8, first 2 shown]
	s_waitcnt vmcnt(26) lgkmcnt(1)
	v_mul_f64 v[48:49], v[38:39], v[166:167]
	s_waitcnt vmcnt(24)
	v_fmac_f64_e32 v[48:49], v[40:41], v[168:169]
	v_add_f64 v[190:191], v[46:47], v[48:49]
	ds_read_b128 v[46:49], v1 offset:1632
	buffer_load_dword v187, off, s[0:3], 0 offset:796
	buffer_load_dword v186, off, s[0:3], 0 offset:792
	;; [unrolled: 1-line block ×4, first 2 shown]
	s_waitcnt lgkmcnt(1)
	v_mul_f64 v[192:193], v[42:43], v[140:141]
	v_fmac_f64_e32 v[192:193], v[44:45], v[144:145]
	v_add_f64 v[2:3], v[190:191], v[192:193]
	buffer_load_dword v191, off, s[0:3], 0 offset:812
	buffer_load_dword v190, off, s[0:3], 0 offset:808
	;; [unrolled: 1-line block ×8, first 2 shown]
	v_mul_f64 v[4:5], v[104:105], v[56:57]
	v_fma_f64 v[6:7], v[102:103], v[50:51], -v[4:5]
	buffer_load_dword v198, off, s[0:3], 0 offset:840
	v_mul_f64 v[50:51], v[108:109], v[58:59]
	v_fma_f64 v[102:103], v[106:107], v[52:53], -v[50:51]
	buffer_load_dword v200, off, s[0:3], 0 offset:832
	buffer_load_dword v199, off, s[0:3], 0 offset:844
	;; [unrolled: 1-line block ×3, first 2 shown]
	v_mul_f64 v[50:51], v[112:113], v[54:55]
	v_fma_f64 v[104:105], v[110:111], v[202:203], -v[50:51]
	buffer_load_dword v203, off, s[0:3], 0 offset:860
	buffer_load_dword v202, off, s[0:3], 0 offset:856
	;; [unrolled: 1-line block ×4, first 2 shown]
	v_mul_f64 v[50:51], v[116:117], v[64:65]
	v_fma_f64 v[106:107], v[114:115], v[210:211], -v[50:51]
	v_mul_f64 v[50:51], v[208:209], v[62:63]
	buffer_load_dword v209, off, s[0:3], 0 offset:876
	buffer_load_dword v208, off, s[0:3], 0 offset:872
	;; [unrolled: 1-line block ×4, first 2 shown]
	v_fma_f64 v[108:109], v[206:207], v[60:61], -v[50:51]
	buffer_load_dword v207, off, s[0:3], 0 offset:908
	buffer_load_dword v213, off, s[0:3], 0 offset:892
	;; [unrolled: 1-line block ×12, first 2 shown]
	ds_read_b128 v[50:53], v1 offset:1648
	v_mul_f64 v[54:55], v[224:225], v[76:77]
	v_fma_f64 v[222:223], v[222:223], v[78:79], -v[54:55]
	ds_read_b128 v[54:57], v1 offset:1664
	s_waitcnt vmcnt(54) lgkmcnt(2)
	v_mul_f64 v[58:59], v[46:47], v[170:171]
	s_waitcnt vmcnt(52)
	v_fmac_f64_e32 v[58:59], v[48:49], v[172:173]
	v_add_f64 v[2:3], v[2:3], v[58:59]
	s_waitcnt lgkmcnt(1)
	v_mul_f64 v[58:59], v[50:51], v[148:149]
	v_fmac_f64_e32 v[58:59], v[52:53], v[152:153]
	v_add_f64 v[2:3], v[2:3], v[58:59]
	s_waitcnt vmcnt(46) lgkmcnt(0)
	v_mul_f64 v[58:59], v[54:55], v[174:175]
	s_waitcnt vmcnt(44)
	v_fmac_f64_e32 v[58:59], v[56:57], v[176:177]
	v_add_f64 v[2:3], v[2:3], v[58:59]
	ds_read_b128 v[58:61], v1 offset:1680
	v_mul_f64 v[62:63], v[228:229], v[66:67]
	v_fma_f64 v[78:79], v[226:227], v[70:71], -v[62:63]
	ds_read_b128 v[62:65], v1 offset:1696
	v_mul_f64 v[66:67], v[232:233], v[68:69]
	v_fma_f64 v[224:225], v[230:231], v[72:73], -v[66:67]
	ds_read_b128 v[66:69], v1 offset:1712
	s_waitcnt lgkmcnt(2)
	v_mul_f64 v[70:71], v[58:59], v[156:157]
	v_fmac_f64_e32 v[70:71], v[60:61], v[160:161]
	v_add_f64 v[2:3], v[2:3], v[70:71]
	v_mul_f64 v[74:75], v[236:237], v[74:75]
	v_fma_f64 v[236:237], v[234:235], v[84:85], -v[74:75]
	ds_read_b128 v[74:77], v1 offset:1744
	ds_read_b128 v[232:235], v1 offset:1776
	v_mul_f64 v[90:91], v[240:241], v[90:91]
	v_fma_f64 v[4:5], v[238:239], v[92:93], -v[90:91]
	v_mul_f64 v[90:91], v[248:249], v[98:99]
	v_fma_f64 v[246:247], v[246:247], v[100:101], -v[90:91]
	ds_read_b128 v[90:93], v1 offset:1808
	v_mul_f64 v[94:95], v[252:253], v[94:95]
	v_fma_f64 v[252:253], v[250:251], v[96:97], -v[94:95]
	ds_read_b128 v[94:97], v1 offset:1824
	ds_read_b128 v[228:231], v1 offset:1760
	v_fma_f64 v[250:251], v[118:119], v[82:83], -v[80:81]
	v_add_f64 v[6:7], v[6:7], 0
	v_add_f64 v[6:7], v[6:7], v[102:103]
	;; [unrolled: 1-line block ×10, first 2 shown]
	v_accvgpr_read_b32 v6, a182
	v_accvgpr_read_b32 v7, a183
	v_mul_f64 v[6:7], v[128:129], v[6:7]
	s_waitcnt vmcnt(41) lgkmcnt(6)
	v_mul_f64 v[70:71], v[62:63], v[180:181]
	ds_read_b128 v[118:121], v1 offset:1856
	s_waitcnt vmcnt(39)
	v_fmac_f64_e32 v[70:71], v[64:65], v[184:185]
	v_add_f64 v[2:3], v[2:3], v[70:71]
	s_waitcnt vmcnt(38) lgkmcnt(6)
	v_mul_f64 v[70:71], v[66:67], v[178:179]
	s_waitcnt vmcnt(36)
	v_fmac_f64_e32 v[70:71], v[68:69], v[182:183]
	v_add_f64 v[2:3], v[2:3], v[70:71]
	ds_read_b128 v[70:73], v1 offset:1728
	s_waitcnt vmcnt(30) lgkmcnt(6)
	v_mul_f64 v[8:9], v[74:75], v[190:191]
	s_waitcnt vmcnt(28)
	v_fmac_f64_e32 v[8:9], v[76:77], v[194:195]
	s_waitcnt lgkmcnt(0)
	v_mul_f64 v[84:85], v[70:71], v[186:187]
	v_fmac_f64_e32 v[84:85], v[72:73], v[188:189]
	v_add_f64 v[2:3], v[2:3], v[84:85]
	v_add_f64 v[2:3], v[2:3], v[8:9]
	s_waitcnt vmcnt(26)
	v_mul_f64 v[8:9], v[228:229], v[192:193]
	s_waitcnt vmcnt(24)
	v_fmac_f64_e32 v[8:9], v[230:231], v[196:197]
	v_add_f64 v[2:3], v[2:3], v[8:9]
	v_mul_f64 v[8:9], v[244:245], v[86:87]
	v_fma_f64 v[8:9], v[242:243], v[88:89], -v[8:9]
	ds_read_b128 v[86:89], v1 offset:1792
	s_waitcnt vmcnt(21)
	v_mul_f64 v[84:85], v[232:233], v[198:199]
	s_waitcnt vmcnt(20)
	v_fmac_f64_e32 v[84:85], v[234:235], v[200:201]
	v_add_f64 v[84:85], v[2:3], v[84:85]
	s_waitcnt vmcnt(9)
	v_mul_f64 v[80:81], v[94:95], v[212:213]
	s_waitcnt lgkmcnt(0)
	v_mul_f64 v[98:99], v[86:87], v[202:203]
	v_fmac_f64_e32 v[98:99], v[88:89], v[204:205]
	v_add_f64 v[84:85], v[84:85], v[98:99]
	v_mul_f64 v[98:99], v[90:91], v[208:209]
	v_fmac_f64_e32 v[98:99], v[92:93], v[210:211]
	v_add_f64 v[84:85], v[84:85], v[98:99]
	ds_read_b128 v[98:101], v1 offset:1840
	s_waitcnt vmcnt(7)
	v_fmac_f64_e32 v[80:81], v[96:97], v[218:219]
	v_add_f64 v[80:81], v[84:85], v[80:81]
	buffer_load_dword v2, off, s[0:3], 0 offset:936
	v_add_f64 v[4:5], v[4:5], v[8:9]
	s_waitcnt vmcnt(7) lgkmcnt(0)
	v_mul_f64 v[82:83], v[98:99], v[206:207]
	s_waitcnt vmcnt(5)
	v_fmac_f64_e32 v[82:83], v[100:101], v[216:217]
	v_add_f64 v[80:81], v[80:81], v[82:83]
	s_waitcnt vmcnt(3)
	v_mul_f64 v[82:83], v[118:119], v[214:215]
	s_waitcnt vmcnt(1)
	v_fmac_f64_e32 v[82:83], v[120:121], v[220:221]
	v_add_f64 v[110:111], v[80:81], v[82:83]
	buffer_load_dword v80, off, s[0:3], 0 offset:928
	buffer_load_dword v3, off, s[0:3], 0 offset:940
	;; [unrolled: 1-line block ×3, first 2 shown]
	ds_read_b128 v[82:85], v1 offset:1872
	buffer_load_dword v227, off, s[0:3], 0 offset:956
	buffer_load_dword v226, off, s[0:3], 0 offset:952
	;; [unrolled: 1-line block ×4, first 2 shown]
	v_add_f64 v[4:5], v[4:5], v[246:247]
	v_accvgpr_read_b32 v8, a184
	v_add_f64 v[252:253], v[4:5], v[252:253]
	v_accvgpr_read_b32 v9, a185
	v_add_f64 v[4:5], v[252:253], v[250:251]
	v_fma_f64 v[6:7], v[126:127], v[8:9], -v[6:7]
	v_add_f64 v[4:5], v[4:5], v[6:7]
	v_mul_f64 v[6:7], v[124:125], v[138:139]
	v_fma_f64 v[6:7], v[122:123], v[142:143], -v[6:7]
	v_add_f64 v[4:5], v[4:5], v[6:7]
	v_accvgpr_read_b32 v6, a186
	v_accvgpr_read_b32 v7, a187
	;; [unrolled: 1-line block ×3, first 2 shown]
	v_mul_f64 v[6:7], v[12:13], v[6:7]
	v_accvgpr_read_b32 v9, a189
	v_fma_f64 v[6:7], v[10:11], v[8:9], -v[6:7]
	v_add_f64 v[4:5], v[4:5], v[6:7]
	v_mul_f64 v[6:7], v[16:17], v[146:147]
	v_fma_f64 v[6:7], v[14:15], v[150:151], -v[6:7]
	v_accvgpr_read_b32 v8, a190
	v_add_f64 v[4:5], v[4:5], v[6:7]
	v_mul_f64 v[6:7], v[20:21], v[254:255]
	v_accvgpr_read_b32 v9, a191
	v_fma_f64 v[6:7], v[18:19], v[8:9], -v[6:7]
	v_add_f64 v[4:5], v[4:5], v[6:7]
	v_mul_f64 v[6:7], v[24:25], v[154:155]
	v_fma_f64 v[6:7], v[22:23], v[158:159], -v[6:7]
	v_add_f64 v[4:5], v[4:5], v[6:7]
	v_mul_f64 v[6:7], v[28:29], v[130:131]
	v_fma_f64 v[6:7], v[26:27], v[132:133], -v[6:7]
	v_add_f64 v[4:5], v[4:5], v[6:7]
	v_mul_f64 v[6:7], v[32:33], v[162:163]
	v_fma_f64 v[6:7], v[30:31], v[164:165], -v[6:7]
	v_add_f64 v[4:5], v[4:5], v[6:7]
	v_mul_f64 v[6:7], v[36:37], v[134:135]
	v_fma_f64 v[6:7], v[34:35], v[136:137], -v[6:7]
	v_add_f64 v[4:5], v[4:5], v[6:7]
	v_mul_f64 v[6:7], v[40:41], v[166:167]
	v_fma_f64 v[6:7], v[38:39], v[168:169], -v[6:7]
	v_add_f64 v[4:5], v[4:5], v[6:7]
	v_mul_f64 v[6:7], v[44:45], v[140:141]
	v_fma_f64 v[6:7], v[42:43], v[144:145], -v[6:7]
	v_add_f64 v[4:5], v[4:5], v[6:7]
	v_mul_f64 v[6:7], v[48:49], v[170:171]
	v_fma_f64 v[6:7], v[46:47], v[172:173], -v[6:7]
	v_add_f64 v[4:5], v[4:5], v[6:7]
	v_mul_f64 v[6:7], v[52:53], v[148:149]
	v_fma_f64 v[6:7], v[50:51], v[152:153], -v[6:7]
	v_add_f64 v[4:5], v[4:5], v[6:7]
	v_mul_f64 v[6:7], v[56:57], v[174:175]
	v_fma_f64 v[6:7], v[54:55], v[176:177], -v[6:7]
	v_add_f64 v[4:5], v[4:5], v[6:7]
	v_mul_f64 v[6:7], v[60:61], v[156:157]
	v_fma_f64 v[6:7], v[58:59], v[160:161], -v[6:7]
	v_add_f64 v[4:5], v[4:5], v[6:7]
	v_mul_f64 v[6:7], v[64:65], v[180:181]
	v_fma_f64 v[6:7], v[62:63], v[184:185], -v[6:7]
	v_add_f64 v[4:5], v[4:5], v[6:7]
	v_mul_f64 v[6:7], v[68:69], v[178:179]
	v_fma_f64 v[6:7], v[66:67], v[182:183], -v[6:7]
	v_add_f64 v[4:5], v[4:5], v[6:7]
	v_mul_f64 v[6:7], v[72:73], v[186:187]
	v_fma_f64 v[6:7], v[70:71], v[188:189], -v[6:7]
	v_add_f64 v[4:5], v[4:5], v[6:7]
	v_mul_f64 v[6:7], v[76:77], v[190:191]
	v_fma_f64 v[6:7], v[74:75], v[194:195], -v[6:7]
	v_add_f64 v[4:5], v[4:5], v[6:7]
	v_mul_f64 v[6:7], v[230:231], v[192:193]
	v_fma_f64 v[6:7], v[228:229], v[196:197], -v[6:7]
	v_add_f64 v[4:5], v[4:5], v[6:7]
	v_mul_f64 v[6:7], v[234:235], v[198:199]
	v_fma_f64 v[6:7], v[232:233], v[200:201], -v[6:7]
	v_add_f64 v[4:5], v[4:5], v[6:7]
	v_mul_f64 v[6:7], v[88:89], v[202:203]
	v_fma_f64 v[6:7], v[86:87], v[204:205], -v[6:7]
	v_add_f64 v[4:5], v[4:5], v[6:7]
	s_waitcnt vmcnt(5) lgkmcnt(0)
	v_mul_f64 v[112:113], v[82:83], v[2:3]
	s_waitcnt vmcnt(4)
	v_fmac_f64_e32 v[112:113], v[84:85], v[80:81]
	v_add_f64 v[114:115], v[110:111], v[112:113]
	ds_read_b128 v[110:113], v1 offset:1888
	buffer_load_dword v242, off, s[0:3], 0 offset:968
	buffer_load_dword v243, off, s[0:3], 0 offset:972
	;; [unrolled: 1-line block ×4, first 2 shown]
	v_mul_f64 v[6:7], v[92:93], v[208:209]
	v_fma_f64 v[6:7], v[90:91], v[210:211], -v[6:7]
	v_add_f64 v[4:5], v[4:5], v[6:7]
	s_waitcnt vmcnt(6) lgkmcnt(0)
	v_mul_f64 v[116:117], v[110:111], v[226:227]
	s_waitcnt vmcnt(4)
	v_fmac_f64_e32 v[116:117], v[112:113], v[238:239]
	v_add_f64 v[240:241], v[114:115], v[116:117]
	ds_read_b128 v[114:117], v1 offset:1904
	v_mul_f64 v[6:7], v[96:97], v[212:213]
	v_fma_f64 v[6:7], v[94:95], v[218:219], -v[6:7]
	v_add_f64 v[4:5], v[4:5], v[6:7]
	v_mul_f64 v[6:7], v[100:101], v[206:207]
	v_fma_f64 v[6:7], v[98:99], v[216:217], -v[6:7]
	v_add_f64 v[4:5], v[4:5], v[6:7]
	v_mul_f64 v[6:7], v[120:121], v[214:215]
	v_fma_f64 v[6:7], v[118:119], v[220:221], -v[6:7]
	v_mul_f64 v[2:3], v[84:85], v[2:3]
	v_add_f64 v[4:5], v[4:5], v[6:7]
	v_fma_f64 v[2:3], v[82:83], v[80:81], -v[2:3]
	v_add_f64 v[2:3], v[4:5], v[2:3]
	v_mul_f64 v[4:5], v[112:113], v[226:227]
	v_fma_f64 v[4:5], v[110:111], v[238:239], -v[4:5]
	v_add_f64 v[2:3], v[2:3], v[4:5]
	s_waitcnt vmcnt(2) lgkmcnt(0)
	v_mul_f64 v[248:249], v[114:115], v[242:243]
	v_mul_f64 v[4:5], v[116:117], v[242:243]
	s_waitcnt vmcnt(0)
	v_fmac_f64_e32 v[248:249], v[116:117], v[244:245]
	v_add_f64 v[240:241], v[240:241], v[248:249]
	buffer_load_dword v248, off, s[0:3], 0 offset:272
	buffer_load_dword v249, off, s[0:3], 0 offset:276
	;; [unrolled: 1-line block ×4, first 2 shown]
	v_fma_f64 v[4:5], v[114:115], v[244:245], -v[4:5]
	v_add_f64 v[2:3], v[2:3], v[4:5]
	s_waitcnt vmcnt(2)
	v_add_f64 v[2:3], v[248:249], -v[2:3]
	s_waitcnt vmcnt(0)
	v_add_f64 v[4:5], v[246:247], -v[240:241]
	buffer_store_dword v3, off, s[0:3], 0 offset:276
	buffer_store_dword v2, off, s[0:3], 0 offset:272
	buffer_store_dword v5, off, s[0:3], 0 offset:284
	buffer_store_dword v4, off, s[0:3], 0 offset:280
	s_and_saveexec_b64 s[4:5], vcc
	s_cbranch_execz .LBB123_343
; %bb.342:
	v_accvgpr_read_b32 v0, a164
	buffer_load_dword v2, v0, s[0:3], 0 offen
	buffer_load_dword v3, v0, s[0:3], 0 offen offset:4
	buffer_load_dword v4, v0, s[0:3], 0 offen offset:8
	;; [unrolled: 1-line block ×3, first 2 shown]
	v_accvgpr_read_b32 v0, a180
	buffer_store_dword v1, off, s[0:3], 0 offset:256
	buffer_store_dword v1, off, s[0:3], 0 offset:260
	;; [unrolled: 1-line block ×4, first 2 shown]
	s_waitcnt vmcnt(4)
	ds_write_b128 v0, v[2:5]
.LBB123_343:
	s_or_b64 exec, exec, s[4:5]
	s_waitcnt lgkmcnt(0)
	; wave barrier
	s_waitcnt lgkmcnt(0)
	buffer_load_dword v184, off, s[0:3], 0 offset:272
	buffer_load_dword v185, off, s[0:3], 0 offset:276
	;; [unrolled: 1-line block ×36, first 2 shown]
	ds_read_b128 v[82:85], v1 offset:1216
	ds_read_b128 v[78:81], v1 offset:1232
	;; [unrolled: 1-line block ×9, first 2 shown]
	buffer_load_dword v225, off, s[0:3], 0 offset:444
	buffer_load_dword v224, off, s[0:3], 0 offset:440
	;; [unrolled: 1-line block ×19, first 2 shown]
	s_waitcnt vmcnt(51) lgkmcnt(8)
	v_mul_f64 v[2:3], v[82:83], v[192:193]
	v_fmac_f64_e32 v[2:3], v[84:85], v[184:185]
	v_add_f64 v[2:3], v[2:3], 0
	s_waitcnt vmcnt(47) lgkmcnt(7)
	v_mul_f64 v[4:5], v[78:79], v[196:197]
	v_fmac_f64_e32 v[4:5], v[80:81], v[194:195]
	v_add_f64 v[2:3], v[2:3], v[4:5]
	buffer_load_dword v244, off, s[0:3], 0 offset:496
	buffer_load_dword v99, off, s[0:3], 0 offset:492
	;; [unrolled: 1-line block ×7, first 2 shown]
	s_waitcnt vmcnt(52) lgkmcnt(6)
	v_mul_f64 v[6:7], v[74:75], v[200:201]
	s_waitcnt vmcnt(50) lgkmcnt(4)
	v_mul_f64 v[10:11], v[62:63], v[210:211]
	s_waitcnt vmcnt(48)
	v_fmac_f64_e32 v[10:11], v[64:65], v[212:213]
	v_mul_f64 v[80:81], v[80:81], v[196:197]
	s_waitcnt vmcnt(46)
	v_mul_f64 v[8:9], v[70:71], v[202:203]
	v_fma_f64 v[78:79], v[78:79], v[194:195], -v[80:81]
	s_waitcnt vmcnt(44) lgkmcnt(2)
	v_mul_f64 v[14:15], v[54:55], v[104:105]
	v_mul_f64 v[64:65], v[64:65], v[210:211]
	s_waitcnt vmcnt(42)
	v_fmac_f64_e32 v[14:15], v[56:57], v[108:109]
	v_fma_f64 v[210:211], v[62:63], v[212:213], -v[64:65]
	s_waitcnt vmcnt(40)
	v_mul_f64 v[12:13], v[50:51], v[112:113]
	s_waitcnt vmcnt(38) lgkmcnt(1)
	v_mul_f64 v[16:17], v[58:59], v[106:107]
	s_waitcnt vmcnt(36)
	v_fmac_f64_e32 v[6:7], v[76:77], v[198:199]
	v_add_f64 v[2:3], v[2:3], v[6:7]
	s_waitcnt vmcnt(34)
	v_fmac_f64_e32 v[8:9], v[72:73], v[116:117]
	v_add_f64 v[2:3], v[2:3], v[8:9]
	;; [unrolled: 3-line block ×3, first 2 shown]
	v_add_f64 v[2:3], v[2:3], v[12:13]
	s_waitcnt vmcnt(30)
	v_fmac_f64_e32 v[16:17], v[60:61], v[110:111]
	v_add_f64 v[2:3], v[2:3], v[14:15]
	v_add_f64 v[2:3], v[2:3], v[16:17]
	v_mul_f64 v[76:77], v[76:77], v[200:201]
	v_fma_f64 v[80:81], v[74:75], v[198:199], -v[76:77]
	v_mul_f64 v[72:73], v[72:73], v[202:203]
	v_mul_f64 v[52:53], v[52:53], v[112:113]
	;; [unrolled: 1-line block ×3, first 2 shown]
	v_fma_f64 v[116:117], v[70:71], v[116:117], -v[72:73]
	s_waitcnt vmcnt(0)
	v_pk_mov_b32 v[18:19], v[4:5], v[4:5] op_sel:[0,1]
	buffer_load_dword v5, off, s[0:3], 0 offset:532
	buffer_load_dword v4, off, s[0:3], 0 offset:528
	v_accvgpr_write_b32 a183, v19
	v_accvgpr_write_b32 a182, v18
	s_waitcnt vmcnt(0)
	v_pk_mov_b32 v[20:21], v[4:5], v[4:5] op_sel:[0,1]
	buffer_load_dword v135, off, s[0:3], 0 offset:524
	buffer_load_dword v134, off, s[0:3], 0 offset:520
	;; [unrolled: 1-line block ×6, first 2 shown]
	v_accvgpr_write_b32 a185, v21
	v_accvgpr_write_b32 a184, v20
	s_waitcnt vmcnt(0)
	v_pk_mov_b32 v[26:27], v[4:5], v[4:5] op_sel:[0,1]
	buffer_load_dword v5, off, s[0:3], 0 offset:564
	buffer_load_dword v4, off, s[0:3], 0 offset:560
	v_accvgpr_write_b32 a187, v27
	v_accvgpr_write_b32 a186, v26
	s_waitcnt vmcnt(0)
	v_pk_mov_b32 v[28:29], v[4:5], v[4:5] op_sel:[0,1]
	buffer_load_dword v143, off, s[0:3], 0 offset:556
	buffer_load_dword v142, off, s[0:3], 0 offset:552
	;; [unrolled: 1-line block ×6, first 2 shown]
	v_accvgpr_write_b32 a189, v29
	v_accvgpr_write_b32 a188, v28
	s_waitcnt vmcnt(0)
	v_pk_mov_b32 v[34:35], v[4:5], v[4:5] op_sel:[0,1]
	buffer_load_dword v5, off, s[0:3], 0 offset:596
	buffer_load_dword v4, off, s[0:3], 0 offset:592
	;; [unrolled: 1-line block ×38, first 2 shown]
	ds_read_b128 v[230:233], v1 offset:1360
	ds_read_b128 v[234:237], v1 offset:1376
	;; [unrolled: 1-line block ×9, first 2 shown]
	v_accvgpr_write_b32 a191, v35
	s_waitcnt lgkmcnt(3)
	v_mul_f64 v[8:9], v[94:95], v[242:243]
	v_fmac_f64_e32 v[8:9], v[96:97], v[244:245]
	s_waitcnt lgkmcnt(2)
	v_mul_f64 v[12:13], v[126:127], v[134:135]
	v_fmac_f64_e32 v[12:13], v[128:129], v[138:139]
	;; [unrolled: 3-line block ×3, first 2 shown]
	v_accvgpr_write_b32 a190, v34
	v_mul_f64 v[70:71], v[232:233], v[238:239]
	v_mul_f64 v[96:97], v[96:97], v[242:243]
	s_waitcnt vmcnt(36)
	v_pk_mov_b32 v[36:37], v[4:5], v[4:5] op_sel:[0,1]
	v_mul_f64 v[4:5], v[66:67], v[102:103]
	v_fmac_f64_e32 v[4:5], v[68:69], v[222:223]
	v_add_f64 v[2:3], v[2:3], v[4:5]
	v_mul_f64 v[4:5], v[230:231], v[238:239]
	v_fmac_f64_e32 v[4:5], v[232:233], v[240:241]
	v_add_f64 v[2:3], v[2:3], v[4:5]
	;; [unrolled: 3-line block ×6, first 2 shown]
	v_add_f64 v[10:11], v[6:7], v[8:9]
	v_add_f64 v[14:15], v[10:11], v[12:13]
	;; [unrolled: 1-line block ×3, first 2 shown]
	ds_read_b128 v[14:17], v1 offset:1504
	s_waitcnt lgkmcnt(1)
	v_mul_f64 v[20:21], v[118:119], v[142:143]
	v_fmac_f64_e32 v[20:21], v[120:121], v[146:147]
	v_add_f64 v[22:23], v[18:19], v[20:21]
	ds_read_b128 v[18:21], v1 offset:1520
	s_waitcnt lgkmcnt(1)
	v_mul_f64 v[24:25], v[14:15], v[26:27]
	v_fmac_f64_e32 v[24:25], v[16:17], v[28:29]
	v_add_f64 v[26:27], v[22:23], v[24:25]
	ds_read_b128 v[22:25], v1 offset:1536
	s_waitcnt vmcnt(34) lgkmcnt(1)
	v_mul_f64 v[28:29], v[18:19], v[150:151]
	s_waitcnt vmcnt(32)
	v_fmac_f64_e32 v[28:29], v[20:21], v[154:155]
	v_add_f64 v[30:31], v[26:27], v[28:29]
	ds_read_b128 v[26:29], v1 offset:1552
	s_waitcnt lgkmcnt(1)
	v_mul_f64 v[32:33], v[22:23], v[34:35]
	v_fmac_f64_e32 v[32:33], v[24:25], v[36:37]
	v_accvgpr_write_b32 a193, v37
	v_accvgpr_write_b32 a192, v36
	v_add_f64 v[34:35], v[30:31], v[32:33]
	ds_read_b128 v[30:33], v1 offset:1568
	s_waitcnt vmcnt(26) lgkmcnt(1)
	v_mul_f64 v[36:37], v[26:27], v[158:159]
	s_waitcnt vmcnt(24)
	v_fmac_f64_e32 v[36:37], v[28:29], v[160:161]
	v_add_f64 v[38:39], v[34:35], v[36:37]
	ds_read_b128 v[34:37], v1 offset:1584
	s_waitcnt lgkmcnt(1)
	v_mul_f64 v[40:41], v[30:31], v[130:131]
	v_fmac_f64_e32 v[40:41], v[32:33], v[132:133]
	v_add_f64 v[42:43], v[38:39], v[40:41]
	ds_read_b128 v[38:41], v1 offset:1600
	s_waitcnt vmcnt(18) lgkmcnt(1)
	v_mul_f64 v[44:45], v[34:35], v[162:163]
	s_waitcnt vmcnt(16)
	v_fmac_f64_e32 v[44:45], v[36:37], v[164:165]
	v_add_f64 v[46:47], v[42:43], v[44:45]
	ds_read_b128 v[42:45], v1 offset:1616
	buffer_load_dword v175, off, s[0:3], 0 offset:748
	buffer_load_dword v174, off, s[0:3], 0 offset:744
	;; [unrolled: 1-line block ×4, first 2 shown]
	s_waitcnt lgkmcnt(1)
	v_mul_f64 v[48:49], v[38:39], v[136:137]
	v_fmac_f64_e32 v[48:49], v[40:41], v[140:141]
	v_add_f64 v[178:179], v[46:47], v[48:49]
	ds_read_b128 v[46:49], v1 offset:1632
	buffer_load_dword v181, off, s[0:3], 0 offset:764
	buffer_load_dword v180, off, s[0:3], 0 offset:760
	;; [unrolled: 1-line block ×4, first 2 shown]
	s_waitcnt vmcnt(18) lgkmcnt(1)
	v_mul_f64 v[186:187], v[42:43], v[166:167]
	s_waitcnt vmcnt(16)
	v_fmac_f64_e32 v[186:187], v[44:45], v[168:169]
	v_add_f64 v[2:3], v[178:179], v[186:187]
	buffer_load_dword v179, off, s[0:3], 0 offset:796
	buffer_load_dword v187, off, s[0:3], 0 offset:780
	;; [unrolled: 1-line block ×8, first 2 shown]
	v_mul_f64 v[4:5], v[84:85], v[192:193]
	v_fma_f64 v[10:11], v[82:83], v[184:185], -v[4:5]
	buffer_load_dword v184, off, s[0:3], 0 offset:824
	buffer_load_dword v193, off, s[0:3], 0 offset:812
	;; [unrolled: 1-line block ×20, first 2 shown]
	s_waitcnt lgkmcnt(0)
	v_mul_f64 v[8:9], v[46:47], v[144:145]
	v_fmac_f64_e32 v[8:9], v[48:49], v[148:149]
	v_fma_f64 v[6:7], v[50:51], v[114:115], -v[52:53]
	buffer_load_dword v213, off, s[0:3], 0 offset:892
	buffer_load_dword v212, off, s[0:3], 0 offset:888
	;; [unrolled: 1-line block ×12, first 2 shown]
	v_add_f64 v[2:3], v[2:3], v[8:9]
	ds_read_b128 v[50:53], v1 offset:1648
	v_mul_f64 v[8:9], v[56:57], v[104:105]
	v_fma_f64 v[8:9], v[54:55], v[108:109], -v[8:9]
	ds_read_b128 v[54:57], v1 offset:1664
	v_fma_f64 v[4:5], v[58:59], v[110:111], -v[60:61]
	ds_read_b128 v[58:61], v1 offset:1680
	s_waitcnt vmcnt(50) lgkmcnt(2)
	v_mul_f64 v[62:63], v[50:51], v[170:171]
	s_waitcnt vmcnt(48)
	v_fmac_f64_e32 v[62:63], v[52:53], v[172:173]
	s_waitcnt lgkmcnt(1)
	v_mul_f64 v[12:13], v[54:55], v[152:153]
	v_add_f64 v[2:3], v[2:3], v[62:63]
	ds_read_b128 v[62:65], v1 offset:1696
	v_fmac_f64_e32 v[12:13], v[56:57], v[156:157]
	v_add_f64 v[2:3], v[2:3], v[12:13]
	v_fma_f64 v[240:241], v[230:231], v[240:241], -v[70:71]
	v_mul_f64 v[82:83], v[236:237], v[224:225]
	v_fma_f64 v[236:237], v[234:235], v[226:227], -v[82:83]
	v_mul_f64 v[88:89], v[88:89], v[246:247]
	v_fma_f64 v[246:247], v[86:87], v[248:249], -v[88:89]
	ds_read_b128 v[86:89], v1 offset:1808
	v_mul_f64 v[92:93], v[92:93], v[98:99]
	v_add_f64 v[10:11], v[10:11], 0
	v_add_f64 v[10:11], v[10:11], v[78:79]
	;; [unrolled: 1-line block ×8, first 2 shown]
	v_mul_f64 v[6:7], v[128:129], v[134:135]
	v_fma_f64 v[6:7], v[126:127], v[138:139], -v[6:7]
	ds_read_b128 v[70:73], v1 offset:1728
	ds_read_b128 v[232:235], v1 offset:1760
	s_waitcnt vmcnt(46) lgkmcnt(4)
	v_mul_f64 v[12:13], v[58:59], v[174:175]
	s_waitcnt vmcnt(44)
	v_fmac_f64_e32 v[12:13], v[60:61], v[176:177]
	v_add_f64 v[2:3], v[2:3], v[12:13]
	v_mul_f64 v[12:13], v[68:69], v[102:103]
	v_fma_f64 v[12:13], v[66:67], v[222:223], -v[12:13]
	ds_read_b128 v[66:69], v1 offset:1712
	s_waitcnt vmcnt(42) lgkmcnt(4)
	v_mul_f64 v[74:75], v[62:63], v[180:181]
	s_waitcnt vmcnt(40)
	v_fmac_f64_e32 v[74:75], v[64:65], v[182:183]
	v_add_f64 v[2:3], v[2:3], v[74:75]
	v_add_f64 v[4:5], v[4:5], v[12:13]
	s_waitcnt vmcnt(37) lgkmcnt(0)
	v_mul_f64 v[74:75], v[66:67], v[186:187]
	s_waitcnt vmcnt(35)
	v_fmac_f64_e32 v[74:75], v[68:69], v[190:191]
	v_add_f64 v[2:3], v[2:3], v[74:75]
	s_waitcnt vmcnt(34)
	v_mul_f64 v[74:75], v[70:71], v[178:179]
	s_waitcnt vmcnt(32)
	v_fmac_f64_e32 v[74:75], v[72:73], v[188:189]
	v_add_f64 v[2:3], v[2:3], v[74:75]
	ds_read_b128 v[74:77], v1 offset:1744
	s_waitcnt vmcnt(25)
	v_mul_f64 v[102:103], v[232:233], v[184:185]
	s_waitcnt vmcnt(24)
	v_fmac_f64_e32 v[102:103], v[234:235], v[194:195]
	v_add_f64 v[4:5], v[4:5], v[240:241]
	v_add_f64 v[4:5], v[4:5], v[236:237]
	s_waitcnt lgkmcnt(0)
	v_mul_f64 v[82:83], v[74:75], v[192:193]
	v_fmac_f64_e32 v[82:83], v[76:77], v[196:197]
	v_add_f64 v[2:3], v[2:3], v[82:83]
	v_mul_f64 v[82:83], v[254:255], v[228:229]
	v_fma_f64 v[254:255], v[252:253], v[250:251], -v[82:83]
	ds_read_b128 v[82:85], v1 offset:1776
	ds_read_b128 v[228:231], v1 offset:1792
	v_add_f64 v[2:3], v[2:3], v[102:103]
	v_fma_f64 v[250:251], v[90:91], v[100:101], -v[92:93]
	ds_read_b128 v[98:101], v1 offset:1824
	s_waitcnt vmcnt(21) lgkmcnt(2)
	v_mul_f64 v[102:103], v[82:83], v[200:201]
	s_waitcnt vmcnt(19)
	v_fmac_f64_e32 v[102:103], v[84:85], v[206:207]
	v_add_f64 v[2:3], v[2:3], v[102:103]
	s_waitcnt vmcnt(18) lgkmcnt(1)
	v_mul_f64 v[102:103], v[228:229], v[198:199]
	s_waitcnt vmcnt(16)
	v_fmac_f64_e32 v[102:103], v[230:231], v[204:205]
	v_add_f64 v[2:3], v[2:3], v[102:103]
	s_waitcnt vmcnt(14)
	v_mul_f64 v[102:103], v[86:87], v[202:203]
	s_waitcnt vmcnt(12)
	v_fmac_f64_e32 v[102:103], v[88:89], v[208:209]
	v_add_f64 v[2:3], v[2:3], v[102:103]
	ds_read_b128 v[90:93], v1 offset:1840
	ds_read_b128 v[102:105], v1 offset:1856
	buffer_load_dword v223, off, s[0:3], 0 offset:940
	buffer_load_dword v222, off, s[0:3], 0 offset:936
	;; [unrolled: 1-line block ×4, first 2 shown]
	ds_read_b128 v[106:109], v1 offset:1872
	buffer_load_dword v226, off, s[0:3], 0 offset:952
	buffer_load_dword v227, off, s[0:3], 0 offset:956
	buffer_load_dword v238, off, s[0:3], 0 offset:944
	buffer_load_dword v239, off, s[0:3], 0 offset:948
	v_fma_f64 v[252:253], v[94:95], v[244:245], -v[96:97]
	ds_read_b128 v[110:113], v1 offset:1888
	buffer_load_dword v243, off, s[0:3], 0 offset:972
	buffer_load_dword v242, off, s[0:3], 0 offset:968
	;; [unrolled: 1-line block ×4, first 2 shown]
	s_waitcnt vmcnt(22) lgkmcnt(4)
	v_mul_f64 v[94:95], v[98:99], v[212:213]
	s_waitcnt vmcnt(20)
	v_fmac_f64_e32 v[94:95], v[100:101], v[214:215]
	v_add_f64 v[2:3], v[2:3], v[94:95]
	s_waitcnt vmcnt(17) lgkmcnt(3)
	v_mul_f64 v[94:95], v[90:91], v[218:219]
	s_waitcnt vmcnt(15)
	v_fmac_f64_e32 v[94:95], v[92:93], v[220:221]
	v_add_f64 v[2:3], v[2:3], v[94:95]
	;; [unrolled: 5-line block ×3, first 2 shown]
	v_add_f64 v[4:5], v[4:5], v[254:255]
	v_add_f64 v[254:255], v[4:5], v[246:247]
	;; [unrolled: 1-line block ×5, first 2 shown]
	s_waitcnt vmcnt(10) lgkmcnt(1)
	v_mul_f64 v[94:95], v[106:107], v[222:223]
	s_waitcnt vmcnt(8)
	v_fmac_f64_e32 v[94:95], v[108:109], v[224:225]
	v_add_f64 v[2:3], v[2:3], v[94:95]
	s_waitcnt vmcnt(6) lgkmcnt(0)
	v_mul_f64 v[94:95], v[110:111], v[226:227]
	s_waitcnt vmcnt(4)
	v_fmac_f64_e32 v[94:95], v[112:113], v[238:239]
	v_add_f64 v[2:3], v[2:3], v[94:95]
	ds_read_b128 v[94:97], v1 offset:1904
	v_accvgpr_read_b32 v0, a182
	v_accvgpr_read_b32 v1, a183
	v_mul_f64 v[6:7], v[124:125], v[0:1]
	v_accvgpr_read_b32 v0, a184
	s_waitcnt vmcnt(2) lgkmcnt(0)
	v_mul_f64 v[248:249], v[94:95], v[242:243]
	s_waitcnt vmcnt(0)
	v_fmac_f64_e32 v[248:249], v[96:97], v[244:245]
	v_add_f64 v[2:3], v[2:3], v[248:249]
	buffer_load_dword v248, off, s[0:3], 0 offset:256
	buffer_load_dword v249, off, s[0:3], 0 offset:260
	;; [unrolled: 1-line block ×4, first 2 shown]
	v_accvgpr_read_b32 v1, a185
	v_fma_f64 v[6:7], v[122:123], v[0:1], -v[6:7]
	v_add_f64 v[4:5], v[4:5], v[6:7]
	v_mul_f64 v[6:7], v[120:121], v[142:143]
	v_accvgpr_read_b32 v0, a186
	v_fma_f64 v[6:7], v[118:119], v[146:147], -v[6:7]
	v_accvgpr_read_b32 v1, a187
	v_add_f64 v[4:5], v[4:5], v[6:7]
	v_mul_f64 v[6:7], v[16:17], v[0:1]
	v_accvgpr_read_b32 v0, a188
	v_accvgpr_read_b32 v1, a189
	v_fma_f64 v[6:7], v[14:15], v[0:1], -v[6:7]
	v_add_f64 v[4:5], v[4:5], v[6:7]
	v_mul_f64 v[6:7], v[20:21], v[150:151]
	v_accvgpr_read_b32 v0, a190
	v_fma_f64 v[6:7], v[18:19], v[154:155], -v[6:7]
	v_accvgpr_read_b32 v1, a191
	v_add_f64 v[4:5], v[4:5], v[6:7]
	v_mul_f64 v[6:7], v[24:25], v[0:1]
	v_accvgpr_read_b32 v0, a192
	v_accvgpr_read_b32 v1, a193
	v_fma_f64 v[6:7], v[22:23], v[0:1], -v[6:7]
	v_add_f64 v[4:5], v[4:5], v[6:7]
	v_mul_f64 v[6:7], v[28:29], v[158:159]
	v_fma_f64 v[6:7], v[26:27], v[160:161], -v[6:7]
	v_add_f64 v[4:5], v[4:5], v[6:7]
	v_mul_f64 v[6:7], v[32:33], v[130:131]
	;; [unrolled: 3-line block ×23, first 2 shown]
	v_fma_f64 v[6:7], v[94:95], v[244:245], -v[6:7]
	v_add_f64 v[4:5], v[4:5], v[6:7]
	v_accvgpr_read_b32 v0, a179
	s_waitcnt vmcnt(2)
	v_add_f64 v[4:5], v[248:249], -v[4:5]
	v_cmp_lt_u32_e32 vcc, 14, v0
	s_waitcnt vmcnt(0)
	v_add_f64 v[2:3], v[246:247], -v[2:3]
	buffer_store_dword v5, off, s[0:3], 0 offset:260
	buffer_store_dword v4, off, s[0:3], 0 offset:256
	buffer_store_dword v3, off, s[0:3], 0 offset:268
	buffer_store_dword v2, off, s[0:3], 0 offset:264
	s_and_saveexec_b64 s[4:5], vcc
	s_cbranch_execz .LBB123_345
; %bb.344:
	v_accvgpr_read_b32 v0, a165
	buffer_load_dword v2, v0, s[0:3], 0 offen
	buffer_load_dword v3, v0, s[0:3], 0 offen offset:4
	buffer_load_dword v4, v0, s[0:3], 0 offen offset:8
	;; [unrolled: 1-line block ×3, first 2 shown]
	v_mov_b32_e32 v0, 0
	v_accvgpr_read_b32 v1, a180
	buffer_store_dword v0, off, s[0:3], 0 offset:240
	buffer_store_dword v0, off, s[0:3], 0 offset:244
	;; [unrolled: 1-line block ×4, first 2 shown]
	s_waitcnt vmcnt(4)
	ds_write_b128 v1, v[2:5]
.LBB123_345:
	s_or_b64 exec, exec, s[4:5]
	s_waitcnt lgkmcnt(0)
	; wave barrier
	s_waitcnt lgkmcnt(0)
	buffer_load_dword v56, off, s[0:3], 0 offset:256
	buffer_load_dword v57, off, s[0:3], 0 offset:260
	buffer_load_dword v58, off, s[0:3], 0 offset:264
	buffer_load_dword v59, off, s[0:3], 0 offset:268
	buffer_load_dword v52, off, s[0:3], 0 offset:272
	buffer_load_dword v53, off, s[0:3], 0 offset:276
	buffer_load_dword v54, off, s[0:3], 0 offset:280
	buffer_load_dword v55, off, s[0:3], 0 offset:284
	buffer_load_dword v50, off, s[0:3], 0 offset:296
	buffer_load_dword v51, off, s[0:3], 0 offset:300
	buffer_load_dword v61, off, s[0:3], 0 offset:332
	buffer_load_dword v60, off, s[0:3], 0 offset:328
	buffer_load_dword v63, off, s[0:3], 0 offset:324
	buffer_load_dword v62, off, s[0:3], 0 offset:320
	buffer_load_dword v65, off, s[0:3], 0 offset:316
	buffer_load_dword v64, off, s[0:3], 0 offset:312
	buffer_load_dword v75, off, s[0:3], 0 offset:364
	buffer_load_dword v74, off, s[0:3], 0 offset:360
	buffer_load_dword v217, off, s[0:3], 0 offset:356
	buffer_load_dword v216, off, s[0:3], 0 offset:352
	buffer_load_dword v77, off, s[0:3], 0 offset:348
	buffer_load_dword v76, off, s[0:3], 0 offset:344
	buffer_load_dword v69, off, s[0:3], 0 offset:380
	buffer_load_dword v68, off, s[0:3], 0 offset:376
	buffer_load_dword v82, off, s[0:3], 0 offset:288
	buffer_load_dword v83, off, s[0:3], 0 offset:292
	buffer_load_dword v81, off, s[0:3], 0 offset:308
	buffer_load_dword v80, off, s[0:3], 0 offset:304
	buffer_load_dword v79, off, s[0:3], 0 offset:340
	buffer_load_dword v78, off, s[0:3], 0 offset:336
	buffer_load_dword v71, off, s[0:3], 0 offset:372
	buffer_load_dword v70, off, s[0:3], 0 offset:368
	buffer_load_dword v66, off, s[0:3], 0 offset:392
	buffer_load_dword v84, off, s[0:3], 0 offset:384
	buffer_load_dword v85, off, s[0:3], 0 offset:388
	buffer_load_dword v67, off, s[0:3], 0 offset:396
	v_mov_b32_e32 v1, 0
	buffer_load_dword v87, off, s[0:3], 0 offset:428
	buffer_load_dword v86, off, s[0:3], 0 offset:424
	;; [unrolled: 1-line block ×18, first 2 shown]
	ds_read_b128 v[110:113], v1 offset:1200
	ds_read_b128 v[114:117], v1 offset:1216
	;; [unrolled: 1-line block ×9, first 2 shown]
	v_accvgpr_read_b32 v0, a179
	v_cmp_lt_u32_e32 vcc, 13, v0
	s_waitcnt vmcnt(50) lgkmcnt(8)
	v_mul_f64 v[2:3], v[110:111], v[58:59]
	v_fmac_f64_e32 v[2:3], v[112:113], v[56:57]
	v_add_f64 v[2:3], v[2:3], 0
	s_waitcnt vmcnt(46) lgkmcnt(7)
	v_mul_f64 v[4:5], v[114:115], v[54:55]
	v_fmac_f64_e32 v[4:5], v[116:117], v[52:53]
	v_add_f64 v[2:3], v[2:3], v[4:5]
	buffer_load_dword v105, off, s[0:3], 0 offset:484
	buffer_load_dword v104, off, s[0:3], 0 offset:480
	;; [unrolled: 1-line block ×8, first 2 shown]
	s_waitcnt vmcnt(52) lgkmcnt(6)
	v_mul_f64 v[6:7], v[194:195], v[50:51]
	s_waitcnt vmcnt(50) lgkmcnt(4)
	v_mul_f64 v[10:11], v[202:203], v[60:61]
	s_waitcnt vmcnt(48)
	v_fmac_f64_e32 v[10:11], v[204:205], v[62:63]
	v_mul_f64 v[50:51], v[196:197], v[50:51]
	s_waitcnt vmcnt(46)
	v_mul_f64 v[8:9], v[198:199], v[64:65]
	v_mul_f64 v[54:55], v[116:117], v[54:55]
	s_waitcnt vmcnt(44) lgkmcnt(2)
	v_mul_f64 v[14:15], v[212:213], v[74:75]
	s_waitcnt vmcnt(42)
	v_fmac_f64_e32 v[14:15], v[214:215], v[216:217]
	s_waitcnt vmcnt(40)
	v_mul_f64 v[12:13], v[206:207], v[76:77]
	s_waitcnt vmcnt(38) lgkmcnt(1)
	v_mul_f64 v[16:17], v[218:219], v[68:69]
	s_waitcnt vmcnt(36)
	v_fmac_f64_e32 v[6:7], v[196:197], v[82:83]
	v_add_f64 v[2:3], v[2:3], v[6:7]
	s_waitcnt vmcnt(34)
	v_fmac_f64_e32 v[8:9], v[200:201], v[80:81]
	v_add_f64 v[2:3], v[2:3], v[8:9]
	;; [unrolled: 3-line block ×3, first 2 shown]
	v_add_f64 v[2:3], v[2:3], v[12:13]
	v_add_f64 v[2:3], v[2:3], v[14:15]
	s_waitcnt vmcnt(30)
	v_fmac_f64_e32 v[16:17], v[220:221], v[70:71]
	v_add_f64 v[2:3], v[2:3], v[16:17]
	s_waitcnt vmcnt(0)
	v_pk_mov_b32 v[14:15], v[4:5], v[4:5] op_sel:[0,1]
	buffer_load_dword v5, off, s[0:3], 0 offset:516
	buffer_load_dword v4, off, s[0:3], 0 offset:512
	v_accvgpr_write_b32 a183, v15
	v_accvgpr_write_b32 a182, v14
	s_waitcnt vmcnt(0)
	v_pk_mov_b32 v[18:19], v[4:5], v[4:5] op_sel:[0,1]
	buffer_load_dword v107, off, s[0:3], 0 offset:508
	buffer_load_dword v106, off, s[0:3], 0 offset:504
	buffer_load_dword v109, off, s[0:3], 0 offset:500
	buffer_load_dword v108, off, s[0:3], 0 offset:496
	buffer_load_dword v5, off, s[0:3], 0 offset:556
	buffer_load_dword v4, off, s[0:3], 0 offset:552
	v_accvgpr_write_b32 a185, v19
	v_accvgpr_write_b32 a184, v18
	s_waitcnt vmcnt(0)
	v_pk_mov_b32 v[22:23], v[4:5], v[4:5] op_sel:[0,1]
	buffer_load_dword v5, off, s[0:3], 0 offset:548
	buffer_load_dword v4, off, s[0:3], 0 offset:544
	v_accvgpr_write_b32 a187, v23
	v_accvgpr_write_b32 a186, v22
	s_waitcnt vmcnt(0)
	v_pk_mov_b32 v[24:25], v[4:5], v[4:5] op_sel:[0,1]
	buffer_load_dword v139, off, s[0:3], 0 offset:540
	buffer_load_dword v138, off, s[0:3], 0 offset:536
	buffer_load_dword v143, off, s[0:3], 0 offset:532
	buffer_load_dword v142, off, s[0:3], 0 offset:528
	buffer_load_dword v5, off, s[0:3], 0 offset:588
	buffer_load_dword v4, off, s[0:3], 0 offset:584
	v_accvgpr_write_b32 a189, v25
	v_accvgpr_write_b32 a188, v24
	;; [unrolled: 16-line block ×3, first 2 shown]
	s_waitcnt vmcnt(0)
	v_pk_mov_b32 v[38:39], v[4:5], v[4:5] op_sel:[0,1]
	buffer_load_dword v5, off, s[0:3], 0 offset:612
	buffer_load_dword v4, off, s[0:3], 0 offset:608
	;; [unrolled: 1-line block ×30, first 2 shown]
	ds_read_b128 v[226:229], v1 offset:1344
	ds_read_b128 v[230:233], v1 offset:1360
	;; [unrolled: 1-line block ×11, first 2 shown]
	s_waitcnt lgkmcnt(4)
	v_mul_f64 v[8:9], v[250:251], v[106:107]
	v_fmac_f64_e32 v[8:9], v[252:253], v[108:109]
	s_waitcnt lgkmcnt(3)
	v_mul_f64 v[12:13], v[130:131], v[14:15]
	v_fmac_f64_e32 v[12:13], v[132:133], v[18:19]
	;; [unrolled: 3-line block ×4, first 2 shown]
	v_accvgpr_write_b32 a195, v39
	v_accvgpr_write_b32 a194, v38
	s_waitcnt vmcnt(28)
	v_pk_mov_b32 v[40:41], v[4:5], v[4:5] op_sel:[0,1]
	v_mul_f64 v[4:5], v[222:223], v[66:67]
	v_fmac_f64_e32 v[4:5], v[224:225], v[84:85]
	v_add_f64 v[2:3], v[2:3], v[4:5]
	v_mul_f64 v[4:5], v[226:227], v[90:91]
	v_fmac_f64_e32 v[4:5], v[228:229], v[92:93]
	v_add_f64 v[2:3], v[2:3], v[4:5]
	;; [unrolled: 3-line block ×7, first 2 shown]
	v_add_f64 v[10:11], v[6:7], v[8:9]
	v_add_f64 v[14:15], v[10:11], v[12:13]
	v_add_f64 v[18:19], v[14:15], v[16:17]
	v_add_f64 v[22:23], v[18:19], v[20:21]
	ds_read_b128 v[18:21], v1 offset:1520
	s_waitcnt lgkmcnt(1)
	v_mul_f64 v[24:25], v[118:119], v[146:147]
	v_fmac_f64_e32 v[24:25], v[120:121], v[150:151]
	v_add_f64 v[26:27], v[22:23], v[24:25]
	ds_read_b128 v[22:25], v1 offset:1536
	s_waitcnt lgkmcnt(1)
	v_mul_f64 v[28:29], v[18:19], v[30:31]
	v_fmac_f64_e32 v[28:29], v[20:21], v[32:33]
	v_add_f64 v[30:31], v[26:27], v[28:29]
	ds_read_b128 v[26:29], v1 offset:1552
	s_waitcnt vmcnt(26) lgkmcnt(1)
	v_mul_f64 v[32:33], v[22:23], v[154:155]
	s_waitcnt vmcnt(24)
	v_fmac_f64_e32 v[32:33], v[24:25], v[156:157]
	v_add_f64 v[34:35], v[30:31], v[32:33]
	ds_read_b128 v[30:33], v1 offset:1568
	s_waitcnt lgkmcnt(1)
	v_mul_f64 v[36:37], v[26:27], v[38:39]
	v_fmac_f64_e32 v[36:37], v[28:29], v[40:41]
	v_accvgpr_write_b32 a197, v41
	v_add_f64 v[38:39], v[34:35], v[36:37]
	ds_read_b128 v[34:37], v1 offset:1584
	v_accvgpr_write_b32 a196, v40
	s_waitcnt vmcnt(18) lgkmcnt(1)
	v_mul_f64 v[40:41], v[30:31], v[158:159]
	s_waitcnt vmcnt(16)
	v_fmac_f64_e32 v[40:41], v[32:33], v[160:161]
	v_add_f64 v[42:43], v[38:39], v[40:41]
	ds_read_b128 v[38:41], v1 offset:1600
	s_waitcnt lgkmcnt(1)
	v_mul_f64 v[44:45], v[34:35], v[134:135]
	v_fmac_f64_e32 v[44:45], v[36:37], v[136:137]
	v_add_f64 v[46:47], v[42:43], v[44:45]
	ds_read_b128 v[42:45], v1 offset:1616
	s_waitcnt vmcnt(10) lgkmcnt(1)
	v_mul_f64 v[48:49], v[38:39], v[162:163]
	s_waitcnt vmcnt(8)
	v_fmac_f64_e32 v[48:49], v[40:41], v[164:165]
	v_add_f64 v[172:173], v[46:47], v[48:49]
	ds_read_b128 v[46:49], v1 offset:1632
	buffer_load_dword v171, off, s[0:3], 0 offset:732
	buffer_load_dword v170, off, s[0:3], 0 offset:728
	;; [unrolled: 1-line block ×4, first 2 shown]
	s_waitcnt lgkmcnt(1)
	v_mul_f64 v[176:177], v[42:43], v[140:141]
	v_fmac_f64_e32 v[176:177], v[44:45], v[144:145]
	v_add_f64 v[2:3], v[172:173], v[176:177]
	buffer_load_dword v177, off, s[0:3], 0 offset:748
	buffer_load_dword v176, off, s[0:3], 0 offset:744
	;; [unrolled: 1-line block ×20, first 2 shown]
	v_mul_f64 v[4:5], v[112:113], v[58:59]
	v_fma_f64 v[112:113], v[194:195], v[82:83], -v[50:51]
	buffer_load_dword v195, off, s[0:3], 0 offset:828
	buffer_load_dword v194, off, s[0:3], 0 offset:824
	;; [unrolled: 1-line block ×4, first 2 shown]
	v_mul_f64 v[50:51], v[200:201], v[64:65]
	v_fma_f64 v[80:81], v[198:199], v[80:81], -v[50:51]
	v_mul_f64 v[50:51], v[204:205], v[60:61]
	v_fma_f64 v[210:211], v[202:203], v[62:63], -v[50:51]
	buffer_load_dword v199, off, s[0:3], 0 offset:844
	buffer_load_dword v198, off, s[0:3], 0 offset:840
	;; [unrolled: 1-line block ×8, first 2 shown]
	v_fma_f64 v[14:15], v[110:111], v[56:57], -v[4:5]
	v_fma_f64 v[110:111], v[114:115], v[52:53], -v[54:55]
	v_mul_f64 v[54:55], v[208:209], v[76:77]
	ds_read_b128 v[50:53], v1 offset:1648
	v_fma_f64 v[10:11], v[206:207], v[78:79], -v[54:55]
	buffer_load_dword v209, off, s[0:3], 0 offset:876
	buffer_load_dword v208, off, s[0:3], 0 offset:872
	;; [unrolled: 1-line block ×4, first 2 shown]
	v_mul_f64 v[8:9], v[214:215], v[74:75]
	v_fma_f64 v[8:9], v[212:213], v[216:217], -v[8:9]
	buffer_load_dword v206, off, s[0:3], 0 offset:904
	buffer_load_dword v215, off, s[0:3], 0 offset:892
	;; [unrolled: 1-line block ×8, first 2 shown]
	v_mul_f64 v[56:57], v[220:221], v[68:69]
	v_fma_f64 v[6:7], v[218:219], v[70:71], -v[56:57]
	buffer_load_dword v219, off, s[0:3], 0 offset:924
	buffer_load_dword v218, off, s[0:3], 0 offset:920
	;; [unrolled: 1-line block ×4, first 2 shown]
	s_waitcnt vmcnt(54) lgkmcnt(1)
	v_mul_f64 v[54:55], v[46:47], v[166:167]
	s_waitcnt vmcnt(52)
	v_fmac_f64_e32 v[54:55], v[48:49], v[168:169]
	v_add_f64 v[2:3], v[2:3], v[54:55]
	ds_read_b128 v[54:57], v1 offset:1664
	ds_read_b128 v[58:61], v1 offset:1680
	s_waitcnt lgkmcnt(2)
	v_mul_f64 v[12:13], v[50:51], v[148:149]
	v_fmac_f64_e32 v[12:13], v[52:53], v[152:153]
	v_add_f64 v[2:3], v[2:3], v[12:13]
	v_mul_f64 v[12:13], v[224:225], v[66:67]
	v_fma_f64 v[12:13], v[222:223], v[84:85], -v[12:13]
	v_mul_f64 v[70:71], v[232:233], v[86:87]
	v_fma_f64 v[224:225], v[230:231], v[88:89], -v[70:71]
	;; [unrolled: 2-line block ×3, first 2 shown]
	ds_read_b128 v[232:235], v1 offset:1760
	ds_read_b128 v[82:85], v1 offset:1776
	;; [unrolled: 1-line block ×3, first 2 shown]
	v_add_f64 v[14:15], v[14:15], 0
	v_add_f64 v[14:15], v[14:15], v[110:111]
	;; [unrolled: 1-line block ×9, first 2 shown]
	v_accvgpr_read_b32 v8, a184
	v_accvgpr_read_b32 v9, a185
	ds_read_b128 v[74:77], v1 offset:1744
	s_waitcnt vmcnt(50) lgkmcnt(5)
	v_mul_f64 v[62:63], v[54:55], v[170:171]
	s_waitcnt vmcnt(48)
	v_fmac_f64_e32 v[62:63], v[56:57], v[174:175]
	v_add_f64 v[2:3], v[2:3], v[62:63]
	v_mul_f64 v[62:63], v[228:229], v[90:91]
	v_fma_f64 v[222:223], v[226:227], v[92:93], -v[62:63]
	ds_read_b128 v[90:93], v1 offset:1808
	ds_read_b128 v[62:65], v1 offset:1696
	s_waitcnt vmcnt(46) lgkmcnt(6)
	v_mul_f64 v[66:67], v[58:59], v[176:177]
	s_waitcnt vmcnt(44)
	v_fmac_f64_e32 v[66:67], v[60:61], v[178:179]
	v_add_f64 v[2:3], v[2:3], v[66:67]
	ds_read_b128 v[66:69], v1 offset:1712
	ds_read_b128 v[228:231], v1 offset:1728
	s_waitcnt vmcnt(41) lgkmcnt(2)
	v_mul_f64 v[70:71], v[62:63], v[182:183]
	s_waitcnt vmcnt(39)
	v_fmac_f64_e32 v[70:71], v[64:65], v[186:187]
	v_add_f64 v[2:3], v[2:3], v[70:71]
	s_waitcnt vmcnt(38) lgkmcnt(1)
	v_mul_f64 v[70:71], v[66:67], v[172:173]
	s_waitcnt vmcnt(36)
	v_fmac_f64_e32 v[70:71], v[68:69], v[184:185]
	v_add_f64 v[2:3], v[2:3], v[70:71]
	;; [unrolled: 5-line block ×3, first 2 shown]
	s_waitcnt vmcnt(29)
	v_mul_f64 v[70:71], v[74:75], v[180:181]
	s_waitcnt vmcnt(28)
	v_fmac_f64_e32 v[70:71], v[76:77], v[188:189]
	s_waitcnt vmcnt(26)
	v_mul_f64 v[16:17], v[232:233], v[194:195]
	v_add_f64 v[2:3], v[2:3], v[70:71]
	s_waitcnt vmcnt(24)
	v_fmac_f64_e32 v[16:17], v[234:235], v[196:197]
	v_add_f64 v[2:3], v[2:3], v[16:17]
	s_waitcnt vmcnt(22)
	v_mul_f64 v[16:17], v[82:83], v[198:199]
	s_waitcnt vmcnt(20)
	v_fmac_f64_e32 v[16:17], v[84:85], v[202:203]
	v_add_f64 v[2:3], v[2:3], v[16:17]
	s_waitcnt vmcnt(18)
	v_mul_f64 v[16:17], v[86:87], v[200:201]
	s_waitcnt vmcnt(16)
	v_fmac_f64_e32 v[16:17], v[88:89], v[204:205]
	v_mul_f64 v[70:71], v[240:241], v[96:97]
	v_add_f64 v[2:3], v[2:3], v[16:17]
	v_mul_f64 v[16:17], v[248:249], v[94:95]
	ds_read_b128 v[94:97], v1 offset:1824
	v_fma_f64 v[4:5], v[238:239], v[98:99], -v[70:71]
	ds_read_b128 v[98:101], v1 offset:1840
	v_fma_f64 v[246:247], v[246:247], v[104:105], -v[16:17]
	s_waitcnt vmcnt(14)
	v_mul_f64 v[16:17], v[90:91], v[208:209]
	s_waitcnt vmcnt(12)
	v_fmac_f64_e32 v[16:17], v[92:93], v[78:79]
	ds_read_b128 v[102:105], v1 offset:1856
	v_add_f64 v[2:3], v[2:3], v[16:17]
	s_waitcnt vmcnt(9) lgkmcnt(2)
	v_mul_f64 v[16:17], v[94:95], v[214:215]
	s_waitcnt vmcnt(7)
	v_fmac_f64_e32 v[16:17], v[96:97], v[216:217]
	v_add_f64 v[2:3], v[2:3], v[16:17]
	s_waitcnt vmcnt(5) lgkmcnt(1)
	v_mul_f64 v[16:17], v[98:99], v[206:207]
	s_waitcnt vmcnt(4)
	v_fmac_f64_e32 v[16:17], v[100:101], v[212:213]
	;; [unrolled: 5-line block ×3, first 2 shown]
	v_mul_f64 v[70:71], v[244:245], v[254:255]
	v_add_f64 v[16:17], v[2:3], v[16:17]
	buffer_load_dword v2, off, s[0:3], 0 offset:936
	buffer_load_dword v3, off, s[0:3], 0 offset:940
	;; [unrolled: 1-line block ×4, first 2 shown]
	v_fma_f64 v[240:241], v[242:243], v[72:73], -v[70:71]
	v_mul_f64 v[70:71], v[252:253], v[106:107]
	v_fma_f64 v[250:251], v[250:251], v[108:109], -v[70:71]
	ds_read_b128 v[106:109], v1 offset:1872
	buffer_load_dword v227, off, s[0:3], 0 offset:956
	buffer_load_dword v226, off, s[0:3], 0 offset:952
	;; [unrolled: 1-line block ×4, first 2 shown]
	v_add_f64 v[6:7], v[6:7], v[222:223]
	v_add_f64 v[6:7], v[6:7], v[224:225]
	;; [unrolled: 1-line block ×6, first 2 shown]
	v_accvgpr_read_b32 v6, a182
	v_accvgpr_read_b32 v7, a183
	v_mul_f64 v[6:7], v[132:133], v[6:7]
	v_add_f64 v[4:5], v[252:253], v[250:251]
	v_fma_f64 v[6:7], v[130:131], v[8:9], -v[6:7]
	v_add_f64 v[4:5], v[4:5], v[6:7]
	v_mul_f64 v[6:7], v[128:129], v[138:139]
	v_fma_f64 v[6:7], v[126:127], v[142:143], -v[6:7]
	v_add_f64 v[4:5], v[4:5], v[6:7]
	v_accvgpr_read_b32 v6, a186
	v_accvgpr_read_b32 v7, a187
	v_accvgpr_read_b32 v8, a188
	v_mul_f64 v[6:7], v[124:125], v[6:7]
	v_accvgpr_read_b32 v9, a189
	v_fma_f64 v[6:7], v[122:123], v[8:9], -v[6:7]
	v_add_f64 v[4:5], v[4:5], v[6:7]
	v_mul_f64 v[6:7], v[120:121], v[146:147]
	v_fma_f64 v[6:7], v[118:119], v[150:151], -v[6:7]
	v_add_f64 v[4:5], v[4:5], v[6:7]
	v_accvgpr_read_b32 v6, a190
	v_accvgpr_read_b32 v7, a191
	v_accvgpr_read_b32 v8, a192
	v_mul_f64 v[6:7], v[20:21], v[6:7]
	v_accvgpr_read_b32 v9, a193
	v_fma_f64 v[6:7], v[18:19], v[8:9], -v[6:7]
	v_add_f64 v[4:5], v[4:5], v[6:7]
	v_mul_f64 v[6:7], v[24:25], v[154:155]
	v_fma_f64 v[6:7], v[22:23], v[156:157], -v[6:7]
	v_add_f64 v[4:5], v[4:5], v[6:7]
	v_accvgpr_read_b32 v6, a194
	v_accvgpr_read_b32 v7, a195
	v_accvgpr_read_b32 v8, a196
	v_mul_f64 v[6:7], v[28:29], v[6:7]
	v_accvgpr_read_b32 v9, a197
	v_fma_f64 v[6:7], v[26:27], v[8:9], -v[6:7]
	v_add_f64 v[4:5], v[4:5], v[6:7]
	v_mul_f64 v[6:7], v[32:33], v[158:159]
	v_fma_f64 v[6:7], v[30:31], v[160:161], -v[6:7]
	v_add_f64 v[4:5], v[4:5], v[6:7]
	v_mul_f64 v[6:7], v[36:37], v[134:135]
	v_fma_f64 v[6:7], v[34:35], v[136:137], -v[6:7]
	v_add_f64 v[4:5], v[4:5], v[6:7]
	v_mul_f64 v[6:7], v[40:41], v[162:163]
	v_fma_f64 v[6:7], v[38:39], v[164:165], -v[6:7]
	v_add_f64 v[4:5], v[4:5], v[6:7]
	v_mul_f64 v[6:7], v[44:45], v[140:141]
	v_fma_f64 v[6:7], v[42:43], v[144:145], -v[6:7]
	v_add_f64 v[4:5], v[4:5], v[6:7]
	v_mul_f64 v[6:7], v[48:49], v[166:167]
	v_fma_f64 v[6:7], v[46:47], v[168:169], -v[6:7]
	v_add_f64 v[4:5], v[4:5], v[6:7]
	v_mul_f64 v[6:7], v[52:53], v[148:149]
	v_fma_f64 v[6:7], v[50:51], v[152:153], -v[6:7]
	v_add_f64 v[4:5], v[4:5], v[6:7]
	v_mul_f64 v[6:7], v[56:57], v[170:171]
	v_fma_f64 v[6:7], v[54:55], v[174:175], -v[6:7]
	v_add_f64 v[4:5], v[4:5], v[6:7]
	v_mul_f64 v[6:7], v[60:61], v[176:177]
	v_fma_f64 v[6:7], v[58:59], v[178:179], -v[6:7]
	v_add_f64 v[4:5], v[4:5], v[6:7]
	v_mul_f64 v[6:7], v[64:65], v[182:183]
	v_fma_f64 v[6:7], v[62:63], v[186:187], -v[6:7]
	v_add_f64 v[4:5], v[4:5], v[6:7]
	v_mul_f64 v[6:7], v[68:69], v[172:173]
	v_fma_f64 v[6:7], v[66:67], v[184:185], -v[6:7]
	v_add_f64 v[4:5], v[4:5], v[6:7]
	s_waitcnt vmcnt(6) lgkmcnt(0)
	v_mul_f64 v[70:71], v[106:107], v[2:3]
	v_mul_f64 v[6:7], v[230:231], v[190:191]
	s_waitcnt vmcnt(4)
	v_fmac_f64_e32 v[70:71], v[108:109], v[254:255]
	v_add_f64 v[16:17], v[16:17], v[70:71]
	ds_read_b128 v[70:73], v1 offset:1888
	buffer_load_dword v242, off, s[0:3], 0 offset:968
	buffer_load_dword v243, off, s[0:3], 0 offset:972
	;; [unrolled: 1-line block ×4, first 2 shown]
	v_fma_f64 v[6:7], v[228:229], v[192:193], -v[6:7]
	v_add_f64 v[4:5], v[4:5], v[6:7]
	v_mul_f64 v[6:7], v[76:77], v[180:181]
	s_waitcnt vmcnt(6) lgkmcnt(0)
	v_mul_f64 v[114:115], v[70:71], v[226:227]
	s_waitcnt vmcnt(4)
	v_fmac_f64_e32 v[114:115], v[72:73], v[238:239]
	v_add_f64 v[16:17], v[16:17], v[114:115]
	ds_read_b128 v[114:117], v1 offset:1904
	v_fma_f64 v[6:7], v[74:75], v[188:189], -v[6:7]
	v_add_f64 v[4:5], v[4:5], v[6:7]
	v_mul_f64 v[6:7], v[234:235], v[194:195]
	v_fma_f64 v[6:7], v[232:233], v[196:197], -v[6:7]
	v_add_f64 v[4:5], v[4:5], v[6:7]
	v_mul_f64 v[6:7], v[84:85], v[198:199]
	;; [unrolled: 3-line block ×7, first 2 shown]
	v_fma_f64 v[6:7], v[102:103], v[220:221], -v[6:7]
	v_mul_f64 v[2:3], v[108:109], v[2:3]
	v_add_f64 v[4:5], v[4:5], v[6:7]
	v_fma_f64 v[2:3], v[106:107], v[254:255], -v[2:3]
	v_add_f64 v[2:3], v[4:5], v[2:3]
	v_mul_f64 v[4:5], v[72:73], v[226:227]
	v_fma_f64 v[4:5], v[70:71], v[238:239], -v[4:5]
	v_add_f64 v[2:3], v[2:3], v[4:5]
	s_waitcnt vmcnt(2) lgkmcnt(0)
	v_mul_f64 v[248:249], v[114:115], v[242:243]
	v_mul_f64 v[4:5], v[116:117], v[242:243]
	s_waitcnt vmcnt(0)
	v_fmac_f64_e32 v[248:249], v[116:117], v[244:245]
	v_add_f64 v[16:17], v[16:17], v[248:249]
	buffer_load_dword v248, off, s[0:3], 0 offset:240
	buffer_load_dword v249, off, s[0:3], 0 offset:244
	;; [unrolled: 1-line block ×4, first 2 shown]
	v_fma_f64 v[4:5], v[114:115], v[244:245], -v[4:5]
	v_add_f64 v[2:3], v[2:3], v[4:5]
	s_waitcnt vmcnt(2)
	v_add_f64 v[2:3], v[248:249], -v[2:3]
	s_waitcnt vmcnt(0)
	v_add_f64 v[4:5], v[246:247], -v[16:17]
	buffer_store_dword v3, off, s[0:3], 0 offset:244
	buffer_store_dword v2, off, s[0:3], 0 offset:240
	;; [unrolled: 1-line block ×4, first 2 shown]
	s_and_saveexec_b64 s[4:5], vcc
	s_cbranch_execz .LBB123_347
; %bb.346:
	v_accvgpr_read_b32 v0, a166
	buffer_load_dword v2, v0, s[0:3], 0 offen
	buffer_load_dword v3, v0, s[0:3], 0 offen offset:4
	buffer_load_dword v4, v0, s[0:3], 0 offen offset:8
	;; [unrolled: 1-line block ×3, first 2 shown]
	v_accvgpr_read_b32 v0, a180
	buffer_store_dword v1, off, s[0:3], 0 offset:224
	buffer_store_dword v1, off, s[0:3], 0 offset:228
	;; [unrolled: 1-line block ×4, first 2 shown]
	s_waitcnt vmcnt(4)
	ds_write_b128 v0, v[2:5]
.LBB123_347:
	s_or_b64 exec, exec, s[4:5]
	s_waitcnt lgkmcnt(0)
	; wave barrier
	s_waitcnt lgkmcnt(0)
	buffer_load_dword v60, off, s[0:3], 0 offset:240
	buffer_load_dword v61, off, s[0:3], 0 offset:244
	;; [unrolled: 1-line block ×42, first 2 shown]
	ds_read_b128 v[114:117], v1 offset:1184
	ds_read_b128 v[180:183], v1 offset:1200
	;; [unrolled: 1-line block ×10, first 2 shown]
	buffer_load_dword v247, off, s[0:3], 0 offset:388
	buffer_load_dword v246, off, s[0:3], 0 offset:384
	ds_read_b128 v[62:65], v1 offset:1344
	buffer_load_dword v101, off, s[0:3], 0 offset:444
	buffer_load_dword v100, off, s[0:3], 0 offset:440
	;; [unrolled: 1-line block ×6, first 2 shown]
	s_waitcnt vmcnt(46) lgkmcnt(10)
	v_mul_f64 v[2:3], v[114:115], v[66:67]
	v_fmac_f64_e32 v[2:3], v[116:117], v[60:61]
	v_add_f64 v[2:3], v[2:3], 0
	s_waitcnt vmcnt(42) lgkmcnt(9)
	v_mul_f64 v[4:5], v[180:181], v[58:59]
	v_fmac_f64_e32 v[4:5], v[182:183], v[50:51]
	v_add_f64 v[2:3], v[2:3], v[4:5]
	buffer_load_dword v249, off, s[0:3], 0 offset:420
	buffer_load_dword v248, off, s[0:3], 0 offset:416
	;; [unrolled: 1-line block ×20, first 2 shown]
	s_waitcnt vmcnt(60) lgkmcnt(8)
	v_mul_f64 v[6:7], v[184:185], v[52:53]
	s_waitcnt vmcnt(58) lgkmcnt(6)
	v_mul_f64 v[10:11], v[198:199], v[68:69]
	s_waitcnt vmcnt(56)
	v_fmac_f64_e32 v[10:11], v[200:201], v[70:71]
	v_mul_f64 v[58:59], v[182:183], v[58:59]
	s_waitcnt vmcnt(54)
	v_mul_f64 v[8:9], v[192:193], v[72:73]
	s_waitcnt vmcnt(52) lgkmcnt(4)
	v_mul_f64 v[14:15], v[206:207], v[74:75]
	s_waitcnt vmcnt(50)
	v_fmac_f64_e32 v[14:15], v[208:209], v[76:77]
	s_waitcnt vmcnt(48)
	v_mul_f64 v[12:13], v[202:203], v[214:215]
	s_waitcnt vmcnt(46) lgkmcnt(2)
	v_mul_f64 v[18:19], v[218:219], v[82:83]
	s_waitcnt vmcnt(43)
	v_mul_f64 v[16:17], v[210:211], v[86:87]
	s_waitcnt vmcnt(41) lgkmcnt(1)
	v_mul_f64 v[20:21], v[54:55], v[80:81]
	s_waitcnt vmcnt(39)
	v_fmac_f64_e32 v[6:7], v[186:187], v[96:97]
	v_add_f64 v[2:3], v[2:3], v[6:7]
	s_waitcnt vmcnt(37)
	v_fmac_f64_e32 v[8:9], v[194:195], v[92:93]
	v_add_f64 v[2:3], v[2:3], v[8:9]
	;; [unrolled: 3-line block ×3, first 2 shown]
	v_add_f64 v[2:3], v[2:3], v[12:13]
	s_waitcnt vmcnt(33)
	v_fmac_f64_e32 v[16:17], v[212:213], v[88:89]
	v_add_f64 v[2:3], v[2:3], v[14:15]
	s_waitcnt vmcnt(32)
	v_fmac_f64_e32 v[18:19], v[220:221], v[84:85]
	v_add_f64 v[2:3], v[2:3], v[16:17]
	v_add_f64 v[2:3], v[2:3], v[18:19]
	s_waitcnt vmcnt(26)
	v_fmac_f64_e32 v[20:21], v[56:57], v[246:247]
	v_add_f64 v[2:3], v[2:3], v[20:21]
	v_mul_f64 v[56:57], v[56:57], v[80:81]
	v_fma_f64 v[246:247], v[54:55], v[246:247], -v[56:57]
	s_waitcnt vmcnt(0)
	v_pk_mov_b32 v[18:19], v[4:5], v[4:5] op_sel:[0,1]
	buffer_load_dword v5, off, s[0:3], 0 offset:532
	buffer_load_dword v4, off, s[0:3], 0 offset:528
	v_accvgpr_write_b32 a183, v19
	v_accvgpr_write_b32 a182, v18
	s_waitcnt vmcnt(0)
	v_pk_mov_b32 v[22:23], v[4:5], v[4:5] op_sel:[0,1]
	buffer_load_dword v135, off, s[0:3], 0 offset:524
	buffer_load_dword v134, off, s[0:3], 0 offset:520
	buffer_load_dword v139, off, s[0:3], 0 offset:516
	buffer_load_dword v138, off, s[0:3], 0 offset:512
	buffer_load_dword v5, off, s[0:3], 0 offset:572
	buffer_load_dword v4, off, s[0:3], 0 offset:568
	v_accvgpr_write_b32 a185, v23
	v_accvgpr_write_b32 a184, v22
	s_waitcnt vmcnt(0)
	v_pk_mov_b32 v[26:27], v[4:5], v[4:5] op_sel:[0,1]
	buffer_load_dword v5, off, s[0:3], 0 offset:564
	buffer_load_dword v4, off, s[0:3], 0 offset:560
	v_accvgpr_write_b32 a187, v27
	v_accvgpr_write_b32 a186, v26
	s_waitcnt vmcnt(0)
	v_pk_mov_b32 v[28:29], v[4:5], v[4:5] op_sel:[0,1]
	buffer_load_dword v143, off, s[0:3], 0 offset:556
	buffer_load_dword v142, off, s[0:3], 0 offset:552
	buffer_load_dword v147, off, s[0:3], 0 offset:548
	buffer_load_dword v146, off, s[0:3], 0 offset:544
	buffer_load_dword v5, off, s[0:3], 0 offset:604
	buffer_load_dword v4, off, s[0:3], 0 offset:600
	v_accvgpr_write_b32 a189, v29
	v_accvgpr_write_b32 a188, v28
	;; [unrolled: 16-line block ×3, first 2 shown]
	s_waitcnt vmcnt(0)
	v_pk_mov_b32 v[42:43], v[4:5], v[4:5] op_sel:[0,1]
	buffer_load_dword v5, off, s[0:3], 0 offset:628
	buffer_load_dword v4, off, s[0:3], 0 offset:624
	;; [unrolled: 1-line block ×30, first 2 shown]
	ds_read_b128 v[222:225], v1 offset:1360
	ds_read_b128 v[226:229], v1 offset:1376
	;; [unrolled: 1-line block ×10, first 2 shown]
	s_waitcnt lgkmcnt(4)
	v_mul_f64 v[8:9], v[242:243], v[106:107]
	v_fmac_f64_e32 v[8:9], v[244:245], v[108:109]
	s_waitcnt lgkmcnt(3)
	v_mul_f64 v[12:13], v[130:131], v[134:135]
	v_fmac_f64_e32 v[12:13], v[132:133], v[138:139]
	;; [unrolled: 3-line block ×5, first 2 shown]
	v_accvgpr_write_b32 a195, v43
	v_accvgpr_write_b32 a194, v42
	s_waitcnt vmcnt(28)
	v_pk_mov_b32 v[44:45], v[4:5], v[4:5] op_sel:[0,1]
	v_mul_f64 v[4:5], v[62:63], v[94:95]
	v_fmac_f64_e32 v[4:5], v[64:65], v[98:99]
	v_add_f64 v[2:3], v[2:3], v[4:5]
	v_mul_f64 v[4:5], v[222:223], v[104:105]
	v_fmac_f64_e32 v[4:5], v[224:225], v[248:249]
	v_add_f64 v[2:3], v[2:3], v[4:5]
	;; [unrolled: 3-line block ×6, first 2 shown]
	v_add_f64 v[10:11], v[6:7], v[8:9]
	v_add_f64 v[14:15], v[10:11], v[12:13]
	;; [unrolled: 1-line block ×4, first 2 shown]
	ds_read_b128 v[18:21], v1 offset:1520
	v_add_f64 v[26:27], v[22:23], v[24:25]
	ds_read_b128 v[22:25], v1 offset:1536
	v_accvgpr_write_b32 a197, v45
	v_accvgpr_write_b32 a196, v44
	s_waitcnt lgkmcnt(1)
	v_mul_f64 v[28:29], v[18:19], v[150:151]
	v_fmac_f64_e32 v[28:29], v[20:21], v[154:155]
	v_add_f64 v[30:31], v[26:27], v[28:29]
	ds_read_b128 v[26:29], v1 offset:1552
	s_waitcnt lgkmcnt(1)
	v_mul_f64 v[32:33], v[22:23], v[34:35]
	v_fmac_f64_e32 v[32:33], v[24:25], v[36:37]
	v_add_f64 v[34:35], v[30:31], v[32:33]
	ds_read_b128 v[30:33], v1 offset:1568
	s_waitcnt vmcnt(26) lgkmcnt(1)
	v_mul_f64 v[36:37], v[26:27], v[158:159]
	s_waitcnt vmcnt(24)
	v_fmac_f64_e32 v[36:37], v[28:29], v[160:161]
	v_add_f64 v[38:39], v[34:35], v[36:37]
	ds_read_b128 v[34:37], v1 offset:1584
	s_waitcnt lgkmcnt(1)
	v_mul_f64 v[40:41], v[30:31], v[42:43]
	v_fmac_f64_e32 v[40:41], v[32:33], v[44:45]
	v_add_f64 v[46:47], v[38:39], v[40:41]
	ds_read_b128 v[38:41], v1 offset:1600
	ds_read_b128 v[42:45], v1 offset:1616
	s_waitcnt vmcnt(18) lgkmcnt(2)
	v_mul_f64 v[48:49], v[34:35], v[162:163]
	s_waitcnt vmcnt(16)
	v_fmac_f64_e32 v[48:49], v[36:37], v[164:165]
	v_add_f64 v[46:47], v[46:47], v[48:49]
	s_waitcnt lgkmcnt(1)
	v_mul_f64 v[48:49], v[38:39], v[136:137]
	v_fmac_f64_e32 v[48:49], v[40:41], v[140:141]
	v_add_f64 v[46:47], v[46:47], v[48:49]
	s_waitcnt vmcnt(10) lgkmcnt(0)
	v_mul_f64 v[48:49], v[42:43], v[166:167]
	s_waitcnt vmcnt(8)
	v_fmac_f64_e32 v[48:49], v[44:45], v[168:169]
	v_add_f64 v[2:3], v[46:47], v[48:49]
	ds_read_b128 v[46:49], v1 offset:1632
	v_mul_f64 v[4:5], v[116:117], v[66:67]
	buffer_load_dword v175, off, s[0:3], 0 offset:748
	buffer_load_dword v174, off, s[0:3], 0 offset:744
	;; [unrolled: 1-line block ×5, first 2 shown]
	v_fma_f64 v[14:15], v[114:115], v[60:61], -v[4:5]
	v_fma_f64 v[114:115], v[180:181], v[50:51], -v[58:59]
	buffer_load_dword v180, off, s[0:3], 0 offset:752
	buffer_load_dword v177, off, s[0:3], 0 offset:764
	;; [unrolled: 1-line block ×3, first 2 shown]
	v_mul_f64 v[50:51], v[186:187], v[52:53]
	v_fma_f64 v[116:117], v[184:185], v[96:97], -v[50:51]
	buffer_load_dword v185, off, s[0:3], 0 offset:780
	buffer_load_dword v184, off, s[0:3], 0 offset:776
	;; [unrolled: 1-line block ×8, first 2 shown]
	v_mul_f64 v[50:51], v[194:195], v[72:73]
	v_fma_f64 v[92:93], v[192:193], v[92:93], -v[50:51]
	buffer_load_dword v182, off, s[0:3], 0 offset:824
	buffer_load_dword v195, off, s[0:3], 0 offset:812
	;; [unrolled: 1-line block ×8, first 2 shown]
	v_mul_f64 v[50:51], v[200:201], v[68:69]
	v_fma_f64 v[198:199], v[198:199], v[70:71], -v[50:51]
	v_mul_f64 v[50:51], v[204:205], v[214:215]
	v_fma_f64 v[10:11], v[202:203], v[90:91], -v[50:51]
	buffer_load_dword v91, off, s[0:3], 0 offset:844
	buffer_load_dword v90, off, s[0:3], 0 offset:840
	buffer_load_dword v201, off, s[0:3], 0 offset:836
	buffer_load_dword v200, off, s[0:3], 0 offset:832
	v_mul_f64 v[8:9], v[208:209], v[74:75]
	v_fma_f64 v[8:9], v[206:207], v[76:77], -v[8:9]
	buffer_load_dword v204, off, s[0:3], 0 offset:856
	buffer_load_dword v206, off, s[0:3], 0 offset:848
	buffer_load_dword v205, off, s[0:3], 0 offset:860
	buffer_load_dword v207, off, s[0:3], 0 offset:852
	;; [unrolled: 6-line block ×3, first 2 shown]
	buffer_load_dword v214, off, s[0:3], 0 offset:864
	buffer_load_dword v202, off, s[0:3], 0 offset:888
	;; [unrolled: 1-line block ×8, first 2 shown]
	ds_read_b128 v[50:53], v1 offset:1648
	v_mul_f64 v[12:13], v[220:221], v[82:83]
	v_fma_f64 v[12:13], v[218:219], v[84:85], -v[12:13]
	buffer_load_dword v218, off, s[0:3], 0 offset:920
	buffer_load_dword v220, off, s[0:3], 0 offset:912
	;; [unrolled: 1-line block ×4, first 2 shown]
	ds_read_b128 v[54:57], v1 offset:1664
	s_waitcnt lgkmcnt(2)
	v_mul_f64 v[58:59], v[46:47], v[144:145]
	v_fmac_f64_e32 v[58:59], v[48:49], v[148:149]
	v_add_f64 v[2:3], v[2:3], v[58:59]
	s_waitcnt vmcnt(50) lgkmcnt(1)
	v_mul_f64 v[58:59], v[50:51], v[170:171]
	s_waitcnt vmcnt(48)
	v_fmac_f64_e32 v[58:59], v[52:53], v[172:173]
	v_mul_f64 v[64:65], v[64:65], v[94:95]
	v_add_f64 v[2:3], v[2:3], v[58:59]
	v_fma_f64 v[4:5], v[62:63], v[98:99], -v[64:65]
	ds_read_b128 v[62:65], v1 offset:1696
	s_waitcnt lgkmcnt(1)
	v_mul_f64 v[58:59], v[54:55], v[152:153]
	v_fmac_f64_e32 v[58:59], v[56:57], v[156:157]
	v_add_f64 v[2:3], v[2:3], v[58:59]
	ds_read_b128 v[58:61], v1 offset:1680
	ds_read_b128 v[66:69], v1 offset:1712
	v_mul_f64 v[74:75], v[228:229], v[100:101]
	v_mul_f64 v[82:83], v[232:233], v[250:251]
	v_fma_f64 v[250:251], v[230:231], v[252:253], -v[82:83]
	ds_read_b128 v[228:231], v1 offset:1760
	ds_read_b128 v[82:85], v1 offset:1776
	;; [unrolled: 1-line block ×5, first 2 shown]
	v_add_f64 v[14:15], v[14:15], 0
	v_add_f64 v[14:15], v[14:15], v[114:115]
	v_add_f64 v[14:15], v[14:15], v[116:117]
	v_add_f64 v[14:15], v[14:15], v[92:93]
	v_add_f64 v[14:15], v[14:15], v[198:199]
	v_add_f64 v[10:11], v[14:15], v[10:11]
	v_add_f64 v[8:9], v[10:11], v[8:9]
	v_add_f64 v[6:7], v[8:9], v[6:7]
	v_add_f64 v[6:7], v[6:7], v[12:13]
	v_add_f64 v[6:7], v[6:7], v[246:247]
	v_add_f64 v[4:5], v[6:7], v[4:5]
	s_waitcnt vmcnt(46) lgkmcnt(6)
	v_mul_f64 v[16:17], v[58:59], v[174:175]
	s_waitcnt vmcnt(44)
	v_fmac_f64_e32 v[16:17], v[60:61], v[178:179]
	v_add_f64 v[2:3], v[2:3], v[16:17]
	v_mul_f64 v[16:17], v[224:225], v[104:105]
	s_waitcnt vmcnt(41)
	v_mul_f64 v[70:71], v[62:63], v[176:177]
	s_waitcnt vmcnt(40)
	v_fmac_f64_e32 v[70:71], v[64:65], v[180:181]
	v_add_f64 v[2:3], v[2:3], v[70:71]
	ds_read_b128 v[70:73], v1 offset:1728
	v_fma_f64 v[16:17], v[222:223], v[248:249], -v[16:17]
	v_fma_f64 v[248:249], v[226:227], v[102:103], -v[74:75]
	ds_read_b128 v[74:77], v1 offset:1744
	s_waitcnt vmcnt(38) lgkmcnt(7)
	v_mul_f64 v[80:81], v[66:67], v[184:185]
	s_waitcnt vmcnt(36)
	v_fmac_f64_e32 v[80:81], v[68:69], v[188:189]
	v_add_f64 v[2:3], v[2:3], v[80:81]
	s_waitcnt vmcnt(34) lgkmcnt(1)
	v_mul_f64 v[80:81], v[70:71], v[186:187]
	s_waitcnt vmcnt(32)
	v_fmac_f64_e32 v[80:81], v[72:73], v[190:191]
	v_add_f64 v[2:3], v[2:3], v[80:81]
	;; [unrolled: 5-line block ×3, first 2 shown]
	s_waitcnt vmcnt(25)
	v_mul_f64 v[80:81], v[228:229], v[182:183]
	s_waitcnt vmcnt(24)
	v_fmac_f64_e32 v[80:81], v[230:231], v[192:193]
	v_add_f64 v[2:3], v[2:3], v[80:81]
	v_mul_f64 v[80:81], v[236:237], v[110:111]
	v_fma_f64 v[236:237], v[234:235], v[112:113], -v[80:81]
	s_waitcnt vmcnt(22)
	v_mul_f64 v[80:81], v[82:83], v[90:91]
	s_waitcnt vmcnt(20)
	v_fmac_f64_e32 v[80:81], v[84:85], v[200:201]
	v_add_f64 v[80:81], v[2:3], v[80:81]
	v_mul_f64 v[2:3], v[240:241], v[254:255]
	v_fma_f64 v[2:3], v[238:239], v[78:79], -v[2:3]
	ds_read_b128 v[232:235], v1 offset:1808
	s_waitcnt vmcnt(17)
	v_mul_f64 v[78:79], v[86:87], v[204:205]
	s_waitcnt vmcnt(16)
	v_fmac_f64_e32 v[78:79], v[88:89], v[206:207]
	ds_read_b128 v[102:105], v1 offset:1856
	buffer_load_dword v223, off, s[0:3], 0 offset:940
	buffer_load_dword v222, off, s[0:3], 0 offset:936
	;; [unrolled: 1-line block ×4, first 2 shown]
	v_add_f64 v[78:79], v[80:81], v[78:79]
	v_mul_f64 v[80:81], v[244:245], v[106:107]
	v_fma_f64 v[252:253], v[242:243], v[108:109], -v[80:81]
	ds_read_b128 v[106:109], v1 offset:1872
	buffer_load_dword v226, off, s[0:3], 0 offset:952
	buffer_load_dword v227, off, s[0:3], 0 offset:956
	;; [unrolled: 1-line block ×4, first 2 shown]
	ds_read_b128 v[110:113], v1 offset:1888
	buffer_load_dword v243, off, s[0:3], 0 offset:972
	buffer_load_dword v242, off, s[0:3], 0 offset:968
	;; [unrolled: 1-line block ×4, first 2 shown]
	s_waitcnt vmcnt(25) lgkmcnt(3)
	v_mul_f64 v[80:81], v[232:233], v[208:209]
	s_waitcnt vmcnt(23)
	v_fmac_f64_e32 v[80:81], v[234:235], v[214:215]
	v_add_f64 v[78:79], v[78:79], v[80:81]
	s_waitcnt vmcnt(22)
	v_mul_f64 v[80:81], v[94:95], v[202:203]
	s_waitcnt vmcnt(20)
	v_fmac_f64_e32 v[80:81], v[96:97], v[212:213]
	v_add_f64 v[78:79], v[78:79], v[80:81]
	s_waitcnt vmcnt(18)
	v_mul_f64 v[80:81], v[98:99], v[210:211]
	s_waitcnt vmcnt(16)
	v_fmac_f64_e32 v[80:81], v[100:101], v[216:217]
	v_add_f64 v[78:79], v[78:79], v[80:81]
	s_waitcnt vmcnt(13) lgkmcnt(2)
	v_mul_f64 v[80:81], v[102:103], v[218:219]
	s_waitcnt vmcnt(12)
	v_fmac_f64_e32 v[80:81], v[104:105], v[220:221]
	v_add_f64 v[78:79], v[78:79], v[80:81]
	v_add_f64 v[4:5], v[4:5], v[16:17]
	;; [unrolled: 1-line block ×4, first 2 shown]
	s_waitcnt vmcnt(10) lgkmcnt(1)
	v_mul_f64 v[80:81], v[106:107], v[222:223]
	s_waitcnt vmcnt(8)
	v_fmac_f64_e32 v[80:81], v[108:109], v[224:225]
	v_add_f64 v[78:79], v[78:79], v[80:81]
	s_waitcnt vmcnt(6) lgkmcnt(0)
	v_mul_f64 v[80:81], v[110:111], v[226:227]
	s_waitcnt vmcnt(4)
	v_fmac_f64_e32 v[80:81], v[112:113], v[238:239]
	v_add_f64 v[240:241], v[78:79], v[80:81]
	ds_read_b128 v[78:81], v1 offset:1904
	buffer_load_dword v248, off, s[0:3], 0 offset:224
	buffer_load_dword v249, off, s[0:3], 0 offset:228
	;; [unrolled: 1-line block ×4, first 2 shown]
	v_accvgpr_read_b32 v0, a182
	v_accvgpr_read_b32 v1, a183
	s_waitcnt vmcnt(6) lgkmcnt(0)
	v_mul_f64 v[254:255], v[78:79], v[242:243]
	s_waitcnt vmcnt(4)
	v_fmac_f64_e32 v[254:255], v[80:81], v[244:245]
	v_add_f64 v[240:241], v[240:241], v[254:255]
	v_add_f64 v[254:255], v[4:5], v[236:237]
	;; [unrolled: 1-line block ×3, first 2 shown]
	v_mul_f64 v[4:5], v[132:133], v[134:135]
	v_add_f64 v[2:3], v[2:3], v[252:253]
	v_fma_f64 v[4:5], v[130:131], v[138:139], -v[4:5]
	v_add_f64 v[2:3], v[2:3], v[4:5]
	v_mul_f64 v[4:5], v[128:129], v[0:1]
	v_accvgpr_read_b32 v0, a184
	v_accvgpr_read_b32 v1, a185
	v_fma_f64 v[4:5], v[126:127], v[0:1], -v[4:5]
	v_add_f64 v[2:3], v[2:3], v[4:5]
	v_mul_f64 v[4:5], v[124:125], v[142:143]
	v_accvgpr_read_b32 v0, a186
	v_fma_f64 v[4:5], v[122:123], v[146:147], -v[4:5]
	v_accvgpr_read_b32 v1, a187
	v_add_f64 v[2:3], v[2:3], v[4:5]
	v_mul_f64 v[4:5], v[120:121], v[0:1]
	v_accvgpr_read_b32 v0, a188
	v_accvgpr_read_b32 v1, a189
	v_fma_f64 v[4:5], v[118:119], v[0:1], -v[4:5]
	v_add_f64 v[2:3], v[2:3], v[4:5]
	v_mul_f64 v[4:5], v[20:21], v[150:151]
	v_accvgpr_read_b32 v0, a190
	v_fma_f64 v[4:5], v[18:19], v[154:155], -v[4:5]
	v_accvgpr_read_b32 v1, a191
	;; [unrolled: 10-line block ×3, first 2 shown]
	v_add_f64 v[2:3], v[2:3], v[4:5]
	v_mul_f64 v[4:5], v[32:33], v[0:1]
	v_accvgpr_read_b32 v0, a196
	v_accvgpr_read_b32 v1, a197
	v_fma_f64 v[4:5], v[30:31], v[0:1], -v[4:5]
	v_add_f64 v[2:3], v[2:3], v[4:5]
	v_mul_f64 v[4:5], v[36:37], v[162:163]
	v_fma_f64 v[4:5], v[34:35], v[164:165], -v[4:5]
	v_add_f64 v[2:3], v[2:3], v[4:5]
	v_mul_f64 v[4:5], v[40:41], v[136:137]
	;; [unrolled: 3-line block ×21, first 2 shown]
	v_fma_f64 v[4:5], v[78:79], v[244:245], -v[4:5]
	v_add_f64 v[2:3], v[2:3], v[4:5]
	v_accvgpr_read_b32 v0, a179
	s_waitcnt vmcnt(2)
	v_add_f64 v[2:3], v[248:249], -v[2:3]
	v_cmp_lt_u32_e32 vcc, 12, v0
	s_waitcnt vmcnt(0)
	v_add_f64 v[4:5], v[246:247], -v[240:241]
	buffer_store_dword v3, off, s[0:3], 0 offset:228
	buffer_store_dword v2, off, s[0:3], 0 offset:224
	;; [unrolled: 1-line block ×4, first 2 shown]
	s_and_saveexec_b64 s[4:5], vcc
	s_cbranch_execz .LBB123_349
; %bb.348:
	v_accvgpr_read_b32 v0, a167
	buffer_load_dword v2, v0, s[0:3], 0 offen
	buffer_load_dword v3, v0, s[0:3], 0 offen offset:4
	buffer_load_dword v4, v0, s[0:3], 0 offen offset:8
	;; [unrolled: 1-line block ×3, first 2 shown]
	v_mov_b32_e32 v0, 0
	v_accvgpr_read_b32 v1, a180
	buffer_store_dword v0, off, s[0:3], 0 offset:208
	buffer_store_dword v0, off, s[0:3], 0 offset:212
	;; [unrolled: 1-line block ×4, first 2 shown]
	s_waitcnt vmcnt(4)
	ds_write_b128 v1, v[2:5]
.LBB123_349:
	s_or_b64 exec, exec, s[4:5]
	s_waitcnt lgkmcnt(0)
	; wave barrier
	s_waitcnt lgkmcnt(0)
	buffer_load_dword v48, off, s[0:3], 0 offset:224
	buffer_load_dword v49, off, s[0:3], 0 offset:228
	;; [unrolled: 1-line block ×42, first 2 shown]
	v_mov_b32_e32 v1, 0
	buffer_load_dword v99, off, s[0:3], 0 offset:372
	buffer_load_dword v98, off, s[0:3], 0 offset:368
	buffer_load_dword v93, off, s[0:3], 0 offset:428
	buffer_load_dword v92, off, s[0:3], 0 offset:424
	buffer_load_dword v95, off, s[0:3], 0 offset:420
	buffer_load_dword v94, off, s[0:3], 0 offset:416
	buffer_load_dword v97, off, s[0:3], 0 offset:412
	ds_read_b128 v[112:115], v1 offset:1168
	ds_read_b128 v[170:173], v1 offset:1184
	;; [unrolled: 1-line block ×11, first 2 shown]
	v_accvgpr_read_b32 v0, a179
	v_cmp_lt_u32_e32 vcc, 11, v0
	s_waitcnt vmcnt(45) lgkmcnt(10)
	v_mul_f64 v[2:3], v[112:113], v[52:53]
	v_fmac_f64_e32 v[2:3], v[114:115], v[48:49]
	v_add_f64 v[2:3], v[2:3], 0
	s_waitcnt vmcnt(41) lgkmcnt(9)
	v_mul_f64 v[4:5], v[170:171], v[54:55]
	v_fmac_f64_e32 v[4:5], v[172:173], v[50:51]
	v_add_f64 v[2:3], v[2:3], v[4:5]
	buffer_load_dword v96, off, s[0:3], 0 offset:408
	buffer_load_dword v117, off, s[0:3], 0 offset:404
	;; [unrolled: 1-line block ×21, first 2 shown]
	s_waitcnt vmcnt(60) lgkmcnt(8)
	v_mul_f64 v[6:7], v[178:179], v[46:47]
	s_waitcnt vmcnt(58) lgkmcnt(6)
	v_mul_f64 v[10:11], v[188:189], v[62:63]
	s_waitcnt vmcnt(56)
	v_fmac_f64_e32 v[10:11], v[190:191], v[56:57]
	v_mul_f64 v[46:47], v[180:181], v[46:47]
	s_waitcnt vmcnt(54)
	v_mul_f64 v[8:9], v[182:183], v[64:65]
	s_waitcnt vmcnt(52) lgkmcnt(4)
	v_mul_f64 v[14:15], v[198:199], v[66:67]
	s_waitcnt vmcnt(50)
	v_fmac_f64_e32 v[14:15], v[200:201], v[68:69]
	s_waitcnt vmcnt(48)
	v_mul_f64 v[12:13], v[194:195], v[70:71]
	s_waitcnt vmcnt(46) lgkmcnt(2)
	v_mul_f64 v[18:19], v[212:213], v[76:77]
	s_waitcnt vmcnt(43)
	v_mul_f64 v[16:17], v[202:203], v[78:79]
	s_waitcnt vmcnt(41) lgkmcnt(1)
	v_mul_f64 v[20:21], v[218:219], v[72:73]
	s_waitcnt vmcnt(39)
	v_fmac_f64_e32 v[6:7], v[180:181], v[90:91]
	v_add_f64 v[2:3], v[2:3], v[6:7]
	s_waitcnt vmcnt(37)
	v_fmac_f64_e32 v[8:9], v[184:185], v[88:89]
	v_add_f64 v[2:3], v[2:3], v[8:9]
	;; [unrolled: 3-line block ×3, first 2 shown]
	v_add_f64 v[2:3], v[2:3], v[12:13]
	v_add_f64 v[2:3], v[2:3], v[14:15]
	s_waitcnt vmcnt(33)
	v_fmac_f64_e32 v[16:17], v[204:205], v[80:81]
	v_add_f64 v[2:3], v[2:3], v[16:17]
	s_waitcnt vmcnt(32)
	v_fmac_f64_e32 v[18:19], v[214:215], v[216:217]
	;; [unrolled: 3-line block ×3, first 2 shown]
	v_add_f64 v[2:3], v[2:3], v[20:21]
	v_fma_f64 v[90:91], v[178:179], v[90:91], -v[46:47]
	v_mul_f64 v[46:47], v[184:185], v[64:65]
	s_waitcnt vmcnt(0)
	v_pk_mov_b32 v[14:15], v[4:5], v[4:5] op_sel:[0,1]
	buffer_load_dword v5, off, s[0:3], 0 offset:516
	buffer_load_dword v4, off, s[0:3], 0 offset:512
	v_accvgpr_write_b32 a183, v15
	v_accvgpr_write_b32 a182, v14
	s_waitcnt vmcnt(0)
	v_pk_mov_b32 v[16:17], v[4:5], v[4:5] op_sel:[0,1]
	buffer_load_dword v105, off, s[0:3], 0 offset:508
	buffer_load_dword v104, off, s[0:3], 0 offset:504
	buffer_load_dword v107, off, s[0:3], 0 offset:500
	buffer_load_dword v106, off, s[0:3], 0 offset:496
	buffer_load_dword v5, off, s[0:3], 0 offset:556
	buffer_load_dword v4, off, s[0:3], 0 offset:552
	v_accvgpr_write_b32 a185, v17
	v_accvgpr_write_b32 a184, v16
	s_waitcnt vmcnt(0)
	v_pk_mov_b32 v[22:23], v[4:5], v[4:5] op_sel:[0,1]
	buffer_load_dword v5, off, s[0:3], 0 offset:548
	buffer_load_dword v4, off, s[0:3], 0 offset:544
	v_accvgpr_write_b32 a187, v23
	v_accvgpr_write_b32 a186, v22
	s_waitcnt vmcnt(0)
	v_pk_mov_b32 v[24:25], v[4:5], v[4:5] op_sel:[0,1]
	buffer_load_dword v139, off, s[0:3], 0 offset:540
	buffer_load_dword v138, off, s[0:3], 0 offset:536
	buffer_load_dword v143, off, s[0:3], 0 offset:532
	buffer_load_dword v142, off, s[0:3], 0 offset:528
	buffer_load_dword v5, off, s[0:3], 0 offset:588
	buffer_load_dword v4, off, s[0:3], 0 offset:584
	v_accvgpr_write_b32 a189, v25
	v_accvgpr_write_b32 a188, v24
	;; [unrolled: 16-line block ×4, first 2 shown]
	s_waitcnt vmcnt(0)
	v_pk_mov_b32 v[174:175], v[4:5], v[4:5] op_sel:[0,1]
	buffer_load_dword v5, off, s[0:3], 0 offset:644
	buffer_load_dword v4, off, s[0:3], 0 offset:640
	buffer_load_dword v159, off, s[0:3], 0 offset:636
	buffer_load_dword v158, off, s[0:3], 0 offset:632
	buffer_load_dword v161, off, s[0:3], 0 offset:628
	buffer_load_dword v160, off, s[0:3], 0 offset:624
	buffer_load_dword v141, off, s[0:3], 0 offset:684
	buffer_load_dword v140, off, s[0:3], 0 offset:680
	buffer_load_dword v145, off, s[0:3], 0 offset:676
	buffer_load_dword v144, off, s[0:3], 0 offset:672
	buffer_load_dword v163, off, s[0:3], 0 offset:668
	buffer_load_dword v162, off, s[0:3], 0 offset:664
	buffer_load_dword v165, off, s[0:3], 0 offset:660
	buffer_load_dword v164, off, s[0:3], 0 offset:656
	buffer_load_dword v149, off, s[0:3], 0 offset:716
	buffer_load_dword v148, off, s[0:3], 0 offset:712
	buffer_load_dword v153, off, s[0:3], 0 offset:708
	buffer_load_dword v152, off, s[0:3], 0 offset:704
	buffer_load_dword v167, off, s[0:3], 0 offset:700
	buffer_load_dword v166, off, s[0:3], 0 offset:696
	buffer_load_dword v169, off, s[0:3], 0 offset:692
	buffer_load_dword v168, off, s[0:3], 0 offset:688
	ds_read_b128 v[222:225], v1 offset:1344
	ds_read_b128 v[226:229], v1 offset:1360
	;; [unrolled: 1-line block ×12, first 2 shown]
	s_waitcnt lgkmcnt(5)
	v_mul_f64 v[8:9], v[246:247], v[104:105]
	v_fmac_f64_e32 v[8:9], v[248:249], v[106:107]
	s_waitcnt lgkmcnt(4)
	v_mul_f64 v[12:13], v[134:135], v[14:15]
	v_fmac_f64_e32 v[12:13], v[136:137], v[16:17]
	;; [unrolled: 3-line block ×6, first 2 shown]
	v_accvgpr_write_b32 a199, v175
	v_accvgpr_write_b32 a198, v174
	s_waitcnt vmcnt(20)
	v_pk_mov_b32 v[176:177], v[4:5], v[4:5] op_sel:[0,1]
	v_mul_f64 v[4:5], v[58:59], v[84:85]
	v_fmac_f64_e32 v[4:5], v[60:61], v[86:87]
	v_add_f64 v[2:3], v[2:3], v[4:5]
	v_mul_f64 v[4:5], v[222:223], v[96:97]
	v_fmac_f64_e32 v[4:5], v[224:225], v[116:117]
	v_add_f64 v[2:3], v[2:3], v[4:5]
	;; [unrolled: 3-line block ×7, first 2 shown]
	v_add_f64 v[10:11], v[6:7], v[8:9]
	v_add_f64 v[14:15], v[10:11], v[12:13]
	;; [unrolled: 1-line block ×5, first 2 shown]
	ds_read_b128 v[22:25], v1 offset:1536
	v_add_f64 v[30:31], v[26:27], v[28:29]
	ds_read_b128 v[26:29], v1 offset:1552
	v_mul_f64 v[4:5], v[114:115], v[52:53]
	v_accvgpr_write_b32 a201, v177
	s_waitcnt lgkmcnt(1)
	v_mul_f64 v[32:33], v[22:23], v[154:155]
	v_fmac_f64_e32 v[32:33], v[24:25], v[156:157]
	s_waitcnt lgkmcnt(0)
	v_mul_f64 v[36:37], v[26:27], v[38:39]
	v_add_f64 v[34:35], v[30:31], v[32:33]
	ds_read_b128 v[30:33], v1 offset:1568
	v_fmac_f64_e32 v[36:37], v[28:29], v[40:41]
	v_add_f64 v[38:39], v[34:35], v[36:37]
	ds_read_b128 v[34:37], v1 offset:1584
	v_fma_f64 v[18:19], v[112:113], v[48:49], -v[4:5]
	s_waitcnt vmcnt(18) lgkmcnt(1)
	v_mul_f64 v[40:41], v[30:31], v[158:159]
	s_waitcnt vmcnt(16)
	v_fmac_f64_e32 v[40:41], v[32:33], v[160:161]
	v_add_f64 v[42:43], v[38:39], v[40:41]
	s_waitcnt lgkmcnt(0)
	v_mul_f64 v[44:45], v[34:35], v[174:175]
	v_fmac_f64_e32 v[44:45], v[36:37], v[176:177]
	v_mul_f64 v[48:49], v[172:173], v[54:55]
	ds_read_b128 v[38:41], v1 offset:1600
	v_accvgpr_write_b32 a200, v176
	v_add_f64 v[2:3], v[42:43], v[44:45]
	ds_read_b128 v[42:45], v1 offset:1616
	v_fma_f64 v[206:207], v[170:171], v[50:51], -v[48:49]
	buffer_load_dword v171, off, s[0:3], 0 offset:732
	buffer_load_dword v170, off, s[0:3], 0 offset:728
	;; [unrolled: 1-line block ×8, first 2 shown]
	v_fma_f64 v[14:15], v[182:183], v[88:89], -v[46:47]
	buffer_load_dword v179, off, s[0:3], 0 offset:780
	buffer_load_dword v183, off, s[0:3], 0 offset:764
	;; [unrolled: 1-line block ×8, first 2 shown]
	v_mul_f64 v[8:9], v[190:191], v[62:63]
	v_fma_f64 v[10:11], v[188:189], v[56:57], -v[8:9]
	buffer_load_dword v180, off, s[0:3], 0 offset:808
	buffer_load_dword v191, off, s[0:3], 0 offset:796
	;; [unrolled: 1-line block ×8, first 2 shown]
	v_mul_f64 v[50:51], v[196:197], v[70:71]
	ds_read_b128 v[46:49], v1 offset:1632
	v_fma_f64 v[8:9], v[194:195], v[82:83], -v[50:51]
	buffer_load_dword v195, off, s[0:3], 0 offset:828
	buffer_load_dword v194, off, s[0:3], 0 offset:824
	;; [unrolled: 1-line block ×4, first 2 shown]
	v_mul_f64 v[12:13], v[200:201], v[66:67]
	v_fma_f64 v[12:13], v[198:199], v[68:69], -v[12:13]
	buffer_load_dword v198, off, s[0:3], 0 offset:840
	buffer_load_dword v200, off, s[0:3], 0 offset:832
	;; [unrolled: 1-line block ×4, first 2 shown]
	v_mul_f64 v[50:51], v[204:205], v[78:79]
	v_mul_f64 v[16:17], v[214:215], v[76:77]
	buffer_load_dword v205, off, s[0:3], 0 offset:860
	buffer_load_dword v204, off, s[0:3], 0 offset:856
	;; [unrolled: 1-line block ×8, first 2 shown]
	v_fma_f64 v[6:7], v[202:203], v[80:81], -v[50:51]
	v_fma_f64 v[16:17], v[212:213], v[216:217], -v[16:17]
	buffer_load_dword v202, off, s[0:3], 0 offset:904
	buffer_load_dword v215, off, s[0:3], 0 offset:892
	;; [unrolled: 1-line block ×8, first 2 shown]
	s_waitcnt vmcnt(58) lgkmcnt(2)
	v_mul_f64 v[52:53], v[38:39], v[162:163]
	s_waitcnt vmcnt(56)
	v_fmac_f64_e32 v[52:53], v[40:41], v[164:165]
	v_mul_f64 v[50:51], v[220:221], v[72:73]
	v_add_f64 v[2:3], v[2:3], v[52:53]
	v_fma_f64 v[218:219], v[218:219], v[98:99], -v[50:51]
	ds_read_b128 v[50:53], v1 offset:1648
	s_waitcnt lgkmcnt(2)
	v_mul_f64 v[54:55], v[42:43], v[140:141]
	v_fmac_f64_e32 v[54:55], v[44:45], v[144:145]
	v_add_f64 v[2:3], v[2:3], v[54:55]
	s_waitcnt vmcnt(50) lgkmcnt(1)
	v_mul_f64 v[54:55], v[46:47], v[166:167]
	s_waitcnt vmcnt(48)
	v_fmac_f64_e32 v[54:55], v[48:49], v[168:169]
	v_mul_f64 v[60:61], v[60:61], v[84:85]
	v_add_f64 v[2:3], v[2:3], v[54:55]
	v_fma_f64 v[220:221], v[58:59], v[86:87], -v[60:61]
	ds_read_b128 v[58:61], v1 offset:1680
	s_waitcnt lgkmcnt(1)
	v_mul_f64 v[54:55], v[50:51], v[148:149]
	v_fmac_f64_e32 v[54:55], v[52:53], v[152:153]
	v_add_f64 v[2:3], v[2:3], v[54:55]
	ds_read_b128 v[54:57], v1 offset:1664
	v_mul_f64 v[70:71], v[228:229], v[92:93]
	v_fma_f64 v[92:93], v[226:227], v[94:95], -v[70:71]
	ds_read_b128 v[70:73], v1 offset:1728
	v_mul_f64 v[80:81], v[232:233], v[250:251]
	v_fma_f64 v[252:253], v[230:231], v[252:253], -v[80:81]
	;; [unrolled: 3-line block ×3, first 2 shown]
	ds_read_b128 v[82:85], v1 offset:1776
	v_mul_f64 v[98:99], v[248:249], v[104:105]
	v_add_f64 v[18:19], v[18:19], 0
	v_add_f64 v[18:19], v[18:19], v[206:207]
	v_add_f64 v[18:19], v[18:19], v[90:91]
	v_add_f64 v[14:15], v[18:19], v[14:15]
	v_add_f64 v[10:11], v[14:15], v[10:11]
	v_add_f64 v[8:9], v[10:11], v[8:9]
	v_add_f64 v[8:9], v[8:9], v[12:13]
	v_add_f64 v[6:7], v[8:9], v[6:7]
	v_add_f64 v[6:7], v[6:7], v[16:17]
	v_add_f64 v[6:7], v[6:7], v[218:219]
	v_add_f64 v[6:7], v[6:7], v[220:221]
	v_accvgpr_read_b32 v8, a184
	v_accvgpr_read_b32 v9, a185
	ds_read_b128 v[232:235], v1 offset:1808
	s_waitcnt vmcnt(46) lgkmcnt(4)
	v_mul_f64 v[62:63], v[54:55], v[170:171]
	s_waitcnt vmcnt(44)
	v_fmac_f64_e32 v[62:63], v[56:57], v[176:177]
	v_add_f64 v[2:3], v[2:3], v[62:63]
	v_mul_f64 v[62:63], v[224:225], v[96:97]
	v_fma_f64 v[222:223], v[222:223], v[116:117], -v[62:63]
	ds_read_b128 v[62:65], v1 offset:1696
	s_waitcnt vmcnt(41)
	v_mul_f64 v[66:67], v[58:59], v[172:173]
	s_waitcnt vmcnt(40)
	v_fmac_f64_e32 v[66:67], v[60:61], v[174:175]
	v_add_f64 v[2:3], v[2:3], v[66:67]
	ds_read_b128 v[66:69], v1 offset:1712
	s_waitcnt vmcnt(37) lgkmcnt(1)
	v_mul_f64 v[78:79], v[62:63], v[182:183]
	s_waitcnt vmcnt(35)
	v_fmac_f64_e32 v[78:79], v[64:65], v[184:185]
	v_add_f64 v[2:3], v[2:3], v[78:79]
	ds_read_b128 v[94:97], v1 offset:1824
	s_waitcnt vmcnt(34) lgkmcnt(1)
	v_mul_f64 v[78:79], v[66:67], v[178:179]
	s_waitcnt vmcnt(32)
	v_fmac_f64_e32 v[78:79], v[68:69], v[186:187]
	v_add_f64 v[2:3], v[2:3], v[78:79]
	s_waitcnt vmcnt(29)
	v_mul_f64 v[78:79], v[70:71], v[190:191]
	s_waitcnt vmcnt(27)
	v_fmac_f64_e32 v[78:79], v[72:73], v[192:193]
	v_add_f64 v[2:3], v[2:3], v[78:79]
	s_waitcnt vmcnt(25)
	v_mul_f64 v[78:79], v[228:229], v[180:181]
	s_waitcnt vmcnt(24)
	v_fmac_f64_e32 v[78:79], v[230:231], v[188:189]
	v_add_f64 v[2:3], v[2:3], v[78:79]
	ds_read_b128 v[78:81], v1 offset:1760
	s_waitcnt vmcnt(17)
	v_mul_f64 v[20:21], v[82:83], v[198:199]
	s_waitcnt vmcnt(16)
	v_fmac_f64_e32 v[20:21], v[84:85], v[200:201]
	v_add_f64 v[6:7], v[6:7], v[222:223]
	v_add_f64 v[6:7], v[6:7], v[92:93]
	s_waitcnt lgkmcnt(0)
	v_mul_f64 v[86:87], v[78:79], v[194:195]
	v_fmac_f64_e32 v[86:87], v[80:81], v[196:197]
	v_add_f64 v[2:3], v[2:3], v[86:87]
	v_mul_f64 v[86:87], v[240:241], v[254:255]
	v_fma_f64 v[4:5], v[238:239], v[74:75], -v[86:87]
	ds_read_b128 v[86:89], v1 offset:1792
	v_add_f64 v[2:3], v[2:3], v[20:21]
	v_mul_f64 v[20:21], v[244:245], v[100:101]
	v_fma_f64 v[254:255], v[246:247], v[106:107], -v[98:99]
	ds_read_b128 v[98:101], v1 offset:1840
	s_waitcnt vmcnt(14) lgkmcnt(1)
	v_mul_f64 v[74:75], v[86:87], v[204:205]
	s_waitcnt vmcnt(12)
	v_fmac_f64_e32 v[74:75], v[88:89], v[208:209]
	v_add_f64 v[2:3], v[2:3], v[74:75]
	s_waitcnt vmcnt(10)
	v_mul_f64 v[74:75], v[232:233], v[76:77]
	s_waitcnt vmcnt(8)
	v_fmac_f64_e32 v[74:75], v[234:235], v[210:211]
	v_add_f64 v[2:3], v[2:3], v[74:75]
	s_waitcnt vmcnt(5)
	v_mul_f64 v[74:75], v[94:95], v[214:215]
	s_waitcnt vmcnt(3)
	v_fmac_f64_e32 v[74:75], v[96:97], v[216:217]
	v_add_f64 v[2:3], v[2:3], v[74:75]
	s_waitcnt vmcnt(1) lgkmcnt(0)
	v_mul_f64 v[74:75], v[98:99], v[202:203]
	s_waitcnt vmcnt(0)
	v_fmac_f64_e32 v[74:75], v[100:101], v[212:213]
	v_add_f64 v[106:107], v[2:3], v[74:75]
	buffer_load_dword v3, off, s[0:3], 0 offset:924
	buffer_load_dword v2, off, s[0:3], 0 offset:920
	;; [unrolled: 1-line block ×4, first 2 shown]
	v_fma_f64 v[20:21], v[242:243], v[102:103], -v[20:21]
	ds_read_b128 v[102:105], v1 offset:1856
	buffer_load_dword v236, off, s[0:3], 0 offset:936
	buffer_load_dword v237, off, s[0:3], 0 offset:940
	;; [unrolled: 1-line block ×4, first 2 shown]
	v_add_f64 v[6:7], v[6:7], v[252:253]
	v_add_f64 v[6:7], v[6:7], v[250:251]
	;; [unrolled: 1-line block ×3, first 2 shown]
	v_accvgpr_read_b32 v6, a182
	v_accvgpr_read_b32 v7, a183
	v_add_f64 v[252:253], v[4:5], v[20:21]
	v_mul_f64 v[6:7], v[136:137], v[6:7]
	v_add_f64 v[4:5], v[252:253], v[254:255]
	v_fma_f64 v[6:7], v[134:135], v[8:9], -v[6:7]
	v_add_f64 v[4:5], v[4:5], v[6:7]
	v_mul_f64 v[6:7], v[132:133], v[138:139]
	v_fma_f64 v[6:7], v[130:131], v[142:143], -v[6:7]
	v_add_f64 v[4:5], v[4:5], v[6:7]
	v_accvgpr_read_b32 v6, a186
	v_accvgpr_read_b32 v7, a187
	v_accvgpr_read_b32 v8, a188
	v_mul_f64 v[6:7], v[128:129], v[6:7]
	v_accvgpr_read_b32 v9, a189
	v_fma_f64 v[6:7], v[126:127], v[8:9], -v[6:7]
	v_add_f64 v[4:5], v[4:5], v[6:7]
	v_mul_f64 v[6:7], v[124:125], v[146:147]
	v_fma_f64 v[6:7], v[122:123], v[150:151], -v[6:7]
	v_add_f64 v[4:5], v[4:5], v[6:7]
	v_accvgpr_read_b32 v6, a190
	v_accvgpr_read_b32 v7, a191
	v_accvgpr_read_b32 v8, a192
	v_mul_f64 v[6:7], v[120:121], v[6:7]
	v_accvgpr_read_b32 v9, a193
	;; [unrolled: 10-line block ×4, first 2 shown]
	v_fma_f64 v[6:7], v[34:35], v[8:9], -v[6:7]
	v_add_f64 v[4:5], v[4:5], v[6:7]
	v_mul_f64 v[6:7], v[40:41], v[162:163]
	v_fma_f64 v[6:7], v[38:39], v[164:165], -v[6:7]
	v_add_f64 v[4:5], v[4:5], v[6:7]
	v_mul_f64 v[6:7], v[44:45], v[140:141]
	;; [unrolled: 3-line block ×8, first 2 shown]
	v_fma_f64 v[6:7], v[66:67], v[186:187], -v[6:7]
	v_add_f64 v[4:5], v[4:5], v[6:7]
	s_waitcnt vmcnt(6) lgkmcnt(0)
	v_mul_f64 v[108:109], v[102:103], v[2:3]
	v_mul_f64 v[6:7], v[72:73], v[190:191]
	s_waitcnt vmcnt(4)
	v_fmac_f64_e32 v[108:109], v[104:105], v[74:75]
	v_add_f64 v[110:111], v[106:107], v[108:109]
	ds_read_b128 v[106:109], v1 offset:1872
	buffer_load_dword v227, off, s[0:3], 0 offset:956
	buffer_load_dword v226, off, s[0:3], 0 offset:952
	;; [unrolled: 1-line block ×4, first 2 shown]
	v_fma_f64 v[6:7], v[70:71], v[192:193], -v[6:7]
	v_add_f64 v[4:5], v[4:5], v[6:7]
	v_mul_f64 v[6:7], v[230:231], v[180:181]
	s_waitcnt vmcnt(6) lgkmcnt(0)
	v_mul_f64 v[112:113], v[106:107], v[236:237]
	s_waitcnt vmcnt(4)
	v_fmac_f64_e32 v[112:113], v[108:109], v[224:225]
	v_add_f64 v[114:115], v[110:111], v[112:113]
	ds_read_b128 v[110:113], v1 offset:1888
	buffer_load_dword v242, off, s[0:3], 0 offset:968
	buffer_load_dword v243, off, s[0:3], 0 offset:972
	;; [unrolled: 1-line block ×4, first 2 shown]
	v_fma_f64 v[6:7], v[228:229], v[188:189], -v[6:7]
	v_add_f64 v[4:5], v[4:5], v[6:7]
	v_mul_f64 v[6:7], v[80:81], v[194:195]
	v_fma_f64 v[6:7], v[78:79], v[196:197], -v[6:7]
	v_add_f64 v[4:5], v[4:5], v[6:7]
	v_mul_f64 v[6:7], v[84:85], v[198:199]
	;; [unrolled: 3-line block ×6, first 2 shown]
	v_fma_f64 v[6:7], v[98:99], v[212:213], -v[6:7]
	v_mul_f64 v[2:3], v[104:105], v[2:3]
	v_add_f64 v[4:5], v[4:5], v[6:7]
	v_fma_f64 v[2:3], v[102:103], v[74:75], -v[2:3]
	v_add_f64 v[2:3], v[4:5], v[2:3]
	v_mul_f64 v[4:5], v[108:109], v[236:237]
	v_fma_f64 v[4:5], v[106:107], v[224:225], -v[4:5]
	v_add_f64 v[2:3], v[2:3], v[4:5]
	s_waitcnt vmcnt(6) lgkmcnt(0)
	v_mul_f64 v[116:117], v[110:111], v[226:227]
	v_mul_f64 v[4:5], v[112:113], v[226:227]
	s_waitcnt vmcnt(4)
	v_fmac_f64_e32 v[116:117], v[112:113], v[238:239]
	v_add_f64 v[240:241], v[114:115], v[116:117]
	ds_read_b128 v[114:117], v1 offset:1904
	buffer_load_dword v248, off, s[0:3], 0 offset:208
	buffer_load_dword v249, off, s[0:3], 0 offset:212
	v_fma_f64 v[4:5], v[110:111], v[238:239], -v[4:5]
	v_add_f64 v[2:3], v[2:3], v[4:5]
	s_waitcnt vmcnt(4) lgkmcnt(0)
	v_mul_f64 v[246:247], v[114:115], v[242:243]
	s_waitcnt vmcnt(2)
	v_fmac_f64_e32 v[246:247], v[116:117], v[244:245]
	v_add_f64 v[240:241], v[240:241], v[246:247]
	buffer_load_dword v246, off, s[0:3], 0 offset:216
	buffer_load_dword v247, off, s[0:3], 0 offset:220
	v_mul_f64 v[4:5], v[116:117], v[242:243]
	v_fma_f64 v[4:5], v[114:115], v[244:245], -v[4:5]
	v_add_f64 v[2:3], v[2:3], v[4:5]
	s_waitcnt vmcnt(2)
	v_add_f64 v[2:3], v[248:249], -v[2:3]
	s_waitcnt vmcnt(0)
	v_add_f64 v[4:5], v[246:247], -v[240:241]
	buffer_store_dword v3, off, s[0:3], 0 offset:212
	buffer_store_dword v2, off, s[0:3], 0 offset:208
	;; [unrolled: 1-line block ×4, first 2 shown]
	s_and_saveexec_b64 s[4:5], vcc
	s_cbranch_execz .LBB123_351
; %bb.350:
	v_accvgpr_read_b32 v0, a168
	buffer_load_dword v2, v0, s[0:3], 0 offen
	buffer_load_dword v3, v0, s[0:3], 0 offen offset:4
	buffer_load_dword v4, v0, s[0:3], 0 offen offset:8
	;; [unrolled: 1-line block ×3, first 2 shown]
	v_accvgpr_read_b32 v0, a180
	buffer_store_dword v1, off, s[0:3], 0 offset:192
	buffer_store_dword v1, off, s[0:3], 0 offset:196
	;; [unrolled: 1-line block ×4, first 2 shown]
	s_waitcnt vmcnt(4)
	ds_write_b128 v0, v[2:5]
.LBB123_351:
	s_or_b64 exec, exec, s[4:5]
	s_waitcnt lgkmcnt(0)
	; wave barrier
	s_waitcnt lgkmcnt(0)
	buffer_load_dword v42, off, s[0:3], 0 offset:208
	buffer_load_dword v43, off, s[0:3], 0 offset:212
	;; [unrolled: 1-line block ×42, first 2 shown]
	ds_read_b128 v[110:113], v1 offset:1152
	ds_read_b128 v[114:117], v1 offset:1168
	;; [unrolled: 1-line block ×10, first 2 shown]
	buffer_load_dword v213, off, s[0:3], 0 offset:356
	buffer_load_dword v212, off, s[0:3], 0 offset:352
	ds_read_b128 v[50:53], v1 offset:1312
	buffer_load_dword v89, off, s[0:3], 0 offset:412
	buffer_load_dword v88, off, s[0:3], 0 offset:408
	;; [unrolled: 1-line block ×8, first 2 shown]
	s_waitcnt vmcnt(48) lgkmcnt(10)
	v_mul_f64 v[2:3], v[110:111], v[48:49]
	v_fmac_f64_e32 v[2:3], v[112:113], v[42:43]
	v_add_f64 v[2:3], v[2:3], 0
	s_waitcnt vmcnt(44) lgkmcnt(9)
	v_mul_f64 v[4:5], v[114:115], v[54:55]
	v_fmac_f64_e32 v[4:5], v[116:117], v[44:45]
	v_add_f64 v[2:3], v[2:3], v[4:5]
	buffer_load_dword v107, off, s[0:3], 0 offset:444
	buffer_load_dword v106, off, s[0:3], 0 offset:440
	;; [unrolled: 1-line block ×26, first 2 shown]
	s_waitcnt vmcnt(62) lgkmcnt(8)
	v_mul_f64 v[6:7], v[174:175], v[46:47]
	s_waitcnt lgkmcnt(6)
	v_mul_f64 v[10:11], v[186:187], v[58:59]
	v_fmac_f64_e32 v[10:11], v[188:189], v[56:57]
	v_mul_f64 v[46:47], v[176:177], v[46:47]
	v_mul_f64 v[8:9], v[178:179], v[60:61]
	s_waitcnt vmcnt(60) lgkmcnt(4)
	v_mul_f64 v[14:15], v[194:195], v[62:63]
	s_waitcnt vmcnt(58)
	v_fmac_f64_e32 v[14:15], v[196:197], v[64:65]
	s_waitcnt vmcnt(56)
	v_mul_f64 v[12:13], v[190:191], v[66:67]
	s_waitcnt vmcnt(54) lgkmcnt(2)
	v_mul_f64 v[18:19], v[202:203], v[68:69]
	s_waitcnt vmcnt(51)
	v_mul_f64 v[16:17], v[198:199], v[206:207]
	s_waitcnt vmcnt(49) lgkmcnt(1)
	v_mul_f64 v[20:21], v[208:209], v[72:73]
	s_waitcnt vmcnt(47)
	v_fmac_f64_e32 v[6:7], v[176:177], v[82:83]
	v_add_f64 v[2:3], v[2:3], v[6:7]
	s_waitcnt vmcnt(45)
	v_fmac_f64_e32 v[8:9], v[180:181], v[80:81]
	v_add_f64 v[2:3], v[2:3], v[8:9]
	;; [unrolled: 3-line block ×3, first 2 shown]
	v_add_f64 v[2:3], v[2:3], v[12:13]
	s_waitcnt vmcnt(41)
	v_fmac_f64_e32 v[16:17], v[200:201], v[76:77]
	v_add_f64 v[2:3], v[2:3], v[14:15]
	s_waitcnt vmcnt(40)
	v_fmac_f64_e32 v[18:19], v[204:205], v[70:71]
	v_add_f64 v[2:3], v[2:3], v[16:17]
	v_add_f64 v[2:3], v[2:3], v[18:19]
	s_waitcnt vmcnt(34)
	v_fmac_f64_e32 v[20:21], v[210:211], v[212:213]
	v_add_f64 v[2:3], v[2:3], v[20:21]
	s_waitcnt vmcnt(0)
	v_pk_mov_b32 v[18:19], v[4:5], v[4:5] op_sel:[0,1]
	buffer_load_dword v5, off, s[0:3], 0 offset:532
	buffer_load_dword v7, off, s[0:3], 0 offset:524
	;; [unrolled: 1-line block ×3, first 2 shown]
	v_accvgpr_write_b32 a187, v19
	v_accvgpr_write_b32 a186, v18
	s_waitcnt vmcnt(0)
	v_pk_mov_b32 v[14:15], v[6:7], v[6:7] op_sel:[0,1]
	buffer_load_dword v7, off, s[0:3], 0 offset:516
	buffer_load_dword v6, off, s[0:3], 0 offset:512
	;; [unrolled: 1-line block ×3, first 2 shown]
	v_accvgpr_write_b32 a183, v15
	v_accvgpr_write_b32 a182, v14
	s_waitcnt vmcnt(1)
	v_pk_mov_b32 v[16:17], v[6:7], v[6:7] op_sel:[0,1]
	s_waitcnt vmcnt(0)
	v_pk_mov_b32 v[22:23], v[4:5], v[4:5] op_sel:[0,1]
	buffer_load_dword v5, off, s[0:3], 0 offset:572
	buffer_load_dword v4, off, s[0:3], 0 offset:568
	v_accvgpr_write_b32 a185, v17
	v_accvgpr_write_b32 a184, v16
	;; [unrolled: 1-line block ×4, first 2 shown]
	s_waitcnt vmcnt(0)
	v_pk_mov_b32 v[26:27], v[4:5], v[4:5] op_sel:[0,1]
	buffer_load_dword v5, off, s[0:3], 0 offset:564
	buffer_load_dword v141, off, s[0:3], 0 offset:556
	;; [unrolled: 1-line block ×6, first 2 shown]
	v_accvgpr_write_b32 a191, v27
	v_accvgpr_write_b32 a190, v26
	s_waitcnt vmcnt(0)
	v_pk_mov_b32 v[28:29], v[4:5], v[4:5] op_sel:[0,1]
	buffer_load_dword v5, off, s[0:3], 0 offset:604
	buffer_load_dword v4, off, s[0:3], 0 offset:600
	v_accvgpr_write_b32 a193, v29
	v_accvgpr_write_b32 a192, v28
	s_waitcnt vmcnt(0)
	v_pk_mov_b32 v[34:35], v[4:5], v[4:5] op_sel:[0,1]
	buffer_load_dword v5, off, s[0:3], 0 offset:596
	buffer_load_dword v149, off, s[0:3], 0 offset:588
	;; [unrolled: 1-line block ×6, first 2 shown]
	v_accvgpr_write_b32 a195, v35
	v_accvgpr_write_b32 a194, v34
	s_waitcnt vmcnt(0)
	v_pk_mov_b32 v[36:37], v[4:5], v[4:5] op_sel:[0,1]
	buffer_load_dword v5, off, s[0:3], 0 offset:636
	buffer_load_dword v4, off, s[0:3], 0 offset:632
	v_accvgpr_write_b32 a197, v37
	v_accvgpr_write_b32 a196, v36
	s_waitcnt vmcnt(0)
	v_pk_mov_b32 v[38:39], v[4:5], v[4:5] op_sel:[0,1]
	buffer_load_dword v5, off, s[0:3], 0 offset:628
	buffer_load_dword v153, off, s[0:3], 0 offset:620
	;; [unrolled: 1-line block ×20, first 2 shown]
	ds_read_b128 v[218:221], v1 offset:1328
	ds_read_b128 v[222:225], v1 offset:1344
	;; [unrolled: 1-line block ×12, first 2 shown]
	s_waitcnt lgkmcnt(4)
	v_mul_f64 v[8:9], v[246:247], v[98:99]
	v_fmac_f64_e32 v[8:9], v[248:249], v[100:101]
	s_waitcnt lgkmcnt(3)
	v_mul_f64 v[12:13], v[134:135], v[14:15]
	v_fmac_f64_e32 v[12:13], v[136:137], v[16:17]
	;; [unrolled: 3-line block ×3, first 2 shown]
	s_waitcnt lgkmcnt(1)
	v_mul_f64 v[20:21], v[126:127], v[140:141]
	ds_read_b128 v[118:121], v1 offset:1520
	v_fmac_f64_e32 v[20:21], v[128:129], v[144:145]
	s_waitcnt lgkmcnt(1)
	v_mul_f64 v[24:25], v[122:123], v[26:27]
	v_fmac_f64_e32 v[24:25], v[124:125], v[28:29]
	v_accvgpr_write_b32 a199, v39
	v_accvgpr_write_b32 a198, v38
	v_mul_f64 v[98:99], v[248:249], v[98:99]
	s_waitcnt vmcnt(14)
	v_pk_mov_b32 v[40:41], v[4:5], v[4:5] op_sel:[0,1]
	v_mul_f64 v[4:5], v[50:51], v[84:85]
	v_fmac_f64_e32 v[4:5], v[52:53], v[86:87]
	v_add_f64 v[2:3], v[2:3], v[4:5]
	v_mul_f64 v[4:5], v[218:219], v[96:97]
	v_fmac_f64_e32 v[4:5], v[220:221], v[250:251]
	v_add_f64 v[2:3], v[2:3], v[4:5]
	;; [unrolled: 3-line block ×8, first 2 shown]
	v_add_f64 v[10:11], v[6:7], v[8:9]
	v_add_f64 v[14:15], v[10:11], v[12:13]
	;; [unrolled: 1-line block ×5, first 2 shown]
	ds_read_b128 v[22:25], v1 offset:1536
	s_waitcnt lgkmcnt(1)
	v_mul_f64 v[28:29], v[118:119], v[148:149]
	v_fmac_f64_e32 v[28:29], v[120:121], v[150:151]
	v_add_f64 v[30:31], v[26:27], v[28:29]
	ds_read_b128 v[26:29], v1 offset:1552
	s_waitcnt lgkmcnt(1)
	v_mul_f64 v[32:33], v[22:23], v[34:35]
	v_fmac_f64_e32 v[32:33], v[24:25], v[36:37]
	v_add_f64 v[34:35], v[30:31], v[32:33]
	;; [unrolled: 5-line block ×3, first 2 shown]
	ds_read_b128 v[34:37], v1 offset:1584
	s_waitcnt lgkmcnt(1)
	v_mul_f64 v[166:167], v[30:31], v[38:39]
	v_accvgpr_write_b32 a201, v41
	v_fmac_f64_e32 v[166:167], v[32:33], v[40:41]
	v_accvgpr_write_b32 a200, v40
	ds_read_b128 v[38:41], v1 offset:1600
	v_add_f64 v[164:165], v[164:165], v[166:167]
	s_waitcnt vmcnt(9) lgkmcnt(1)
	v_mul_f64 v[166:167], v[34:35], v[156:157]
	s_waitcnt vmcnt(7)
	v_fmac_f64_e32 v[166:167], v[36:37], v[160:161]
	v_add_f64 v[164:165], v[164:165], v[166:167]
	s_waitcnt lgkmcnt(0)
	v_mul_f64 v[166:167], v[38:39], v[138:139]
	s_waitcnt vmcnt(6)
	v_fmac_f64_e32 v[166:167], v[40:41], v[142:143]
	v_add_f64 v[2:3], v[164:165], v[166:167]
	buffer_load_dword v167, off, s[0:3], 0 offset:692
	buffer_load_dword v166, off, s[0:3], 0 offset:688
	;; [unrolled: 1-line block ×10, first 2 shown]
	v_mul_f64 v[4:5], v[112:113], v[48:49]
	v_fma_f64 v[18:19], v[110:111], v[42:43], -v[4:5]
	v_mul_f64 v[42:43], v[116:117], v[54:55]
	v_fma_f64 v[110:111], v[114:115], v[44:45], -v[42:43]
	ds_read_b128 v[42:45], v1 offset:1616
	v_fma_f64 v[112:113], v[174:175], v[82:83], -v[46:47]
	v_mul_f64 v[46:47], v[180:181], v[60:61]
	buffer_load_dword v175, off, s[0:3], 0 offset:748
	buffer_load_dword v174, off, s[0:3], 0 offset:744
	;; [unrolled: 1-line block ×4, first 2 shown]
	v_fma_f64 v[14:15], v[178:179], v[80:81], -v[46:47]
	buffer_load_dword v179, off, s[0:3], 0 offset:764
	buffer_load_dword v178, off, s[0:3], 0 offset:760
	;; [unrolled: 1-line block ×8, first 2 shown]
	v_mul_f64 v[8:9], v[188:189], v[58:59]
	v_fma_f64 v[10:11], v[186:187], v[56:57], -v[8:9]
	buffer_load_dword v186, off, s[0:3], 0 offset:792
	v_mul_f64 v[46:47], v[192:193], v[66:67]
	v_fma_f64 v[8:9], v[190:191], v[78:79], -v[46:47]
	buffer_load_dword v190, off, s[0:3], 0 offset:784
	buffer_load_dword v187, off, s[0:3], 0 offset:796
	;; [unrolled: 1-line block ×3, first 2 shown]
	v_mul_f64 v[12:13], v[196:197], v[62:63]
	v_fma_f64 v[12:13], v[194:195], v[64:65], -v[12:13]
	buffer_load_dword v188, off, s[0:3], 0 offset:824
	buffer_load_dword v195, off, s[0:3], 0 offset:812
	;; [unrolled: 1-line block ×8, first 2 shown]
	v_mul_f64 v[48:49], v[200:201], v[206:207]
	v_fma_f64 v[6:7], v[198:199], v[76:77], -v[48:49]
	buffer_load_dword v199, off, s[0:3], 0 offset:844
	buffer_load_dword v198, off, s[0:3], 0 offset:840
	;; [unrolled: 1-line block ×4, first 2 shown]
	v_mul_f64 v[16:17], v[204:205], v[68:69]
	buffer_load_dword v205, off, s[0:3], 0 offset:860
	buffer_load_dword v204, off, s[0:3], 0 offset:856
	;; [unrolled: 1-line block ×4, first 2 shown]
	v_mul_f64 v[48:49], v[210:211], v[72:73]
	v_fma_f64 v[16:17], v[202:203], v[70:71], -v[16:17]
	v_fma_f64 v[4:5], v[208:209], v[212:213], -v[48:49]
	buffer_load_dword v202, off, s[0:3], 0 offset:888
	buffer_load_dword v211, off, s[0:3], 0 offset:876
	;; [unrolled: 1-line block ×12, first 2 shown]
	s_waitcnt vmcnt(56) lgkmcnt(0)
	v_mul_f64 v[46:47], v[42:43], v[158:159]
	s_waitcnt vmcnt(54)
	v_fmac_f64_e32 v[46:47], v[44:45], v[162:163]
	v_add_f64 v[2:3], v[2:3], v[46:47]
	ds_read_b128 v[46:49], v1 offset:1632
	v_mul_f64 v[20:21], v[52:53], v[84:85]
	v_fma_f64 v[20:21], v[50:51], v[86:87], -v[20:21]
	ds_read_b128 v[50:53], v1 offset:1648
	v_mul_f64 v[54:55], v[220:221], v[96:97]
	v_fma_f64 v[250:251], v[218:219], v[250:251], -v[54:55]
	ds_read_b128 v[54:57], v1 offset:1664
	s_waitcnt lgkmcnt(2)
	v_mul_f64 v[58:59], v[46:47], v[146:147]
	v_mul_f64 v[62:63], v[224:225], v[88:89]
	v_fma_f64 v[218:219], v[222:223], v[90:91], -v[62:63]
	ds_read_b128 v[62:65], v1 offset:1696
	v_mul_f64 v[66:67], v[228:229], v[252:253]
	v_fma_f64 v[254:255], v[226:227], v[254:255], -v[66:67]
	v_mul_f64 v[78:79], v[232:233], v[106:107]
	v_fma_f64 v[252:253], v[230:231], v[108:109], -v[78:79]
	ds_read_b128 v[78:81], v1 offset:1760
	v_mul_f64 v[74:75], v[236:237], v[74:75]
	v_fma_f64 v[236:237], v[234:235], v[214:215], -v[74:75]
	ds_read_b128 v[86:89], v1 offset:1792
	v_mul_f64 v[90:91], v[244:245], v[102:103]
	v_fma_f64 v[214:215], v[246:247], v[100:101], -v[98:99]
	v_add_f64 v[18:19], v[18:19], 0
	v_add_f64 v[18:19], v[18:19], v[110:111]
	;; [unrolled: 1-line block ×3, first 2 shown]
	ds_read_b128 v[66:69], v1 offset:1712
	v_add_f64 v[14:15], v[18:19], v[14:15]
	v_add_f64 v[10:11], v[14:15], v[10:11]
	;; [unrolled: 1-line block ×10, first 2 shown]
	ds_read_b128 v[228:231], v1 offset:1744
	v_add_f64 v[4:5], v[4:5], v[254:255]
	v_add_f64 v[4:5], v[4:5], v[252:253]
	;; [unrolled: 1-line block ×3, first 2 shown]
	ds_read_b128 v[98:101], v1 offset:1840
	s_waitcnt vmcnt(52)
	v_fmac_f64_e32 v[58:59], v[48:49], v[166:167]
	v_add_f64 v[2:3], v[2:3], v[58:59]
	s_waitcnt vmcnt(49) lgkmcnt(7)
	v_mul_f64 v[58:59], v[50:51], v[170:171]
	s_waitcnt vmcnt(47)
	v_fmac_f64_e32 v[58:59], v[52:53], v[172:173]
	v_add_f64 v[2:3], v[2:3], v[58:59]
	s_waitcnt vmcnt(45) lgkmcnt(6)
	v_mul_f64 v[58:59], v[54:55], v[164:165]
	s_waitcnt vmcnt(44)
	v_fmac_f64_e32 v[58:59], v[56:57], v[168:169]
	v_add_f64 v[2:3], v[2:3], v[58:59]
	ds_read_b128 v[58:61], v1 offset:1680
	s_waitcnt vmcnt(42) lgkmcnt(0)
	v_mul_f64 v[70:71], v[58:59], v[174:175]
	s_waitcnt vmcnt(40)
	v_fmac_f64_e32 v[70:71], v[60:61], v[176:177]
	v_add_f64 v[2:3], v[2:3], v[70:71]
	s_waitcnt vmcnt(38)
	v_mul_f64 v[70:71], v[62:63], v[178:179]
	s_waitcnt vmcnt(36)
	v_fmac_f64_e32 v[70:71], v[64:65], v[182:183]
	v_add_f64 v[2:3], v[2:3], v[70:71]
	s_waitcnt vmcnt(34)
	v_mul_f64 v[70:71], v[66:67], v[180:181]
	s_waitcnt vmcnt(32)
	v_fmac_f64_e32 v[70:71], v[68:69], v[184:185]
	v_add_f64 v[2:3], v[2:3], v[70:71]
	ds_read_b128 v[70:73], v1 offset:1728
	s_waitcnt vmcnt(25)
	v_mul_f64 v[74:75], v[228:229], v[194:195]
	s_waitcnt vmcnt(23)
	v_fmac_f64_e32 v[74:75], v[230:231], v[196:197]
	s_waitcnt lgkmcnt(0)
	v_mul_f64 v[82:83], v[70:71], v[186:187]
	v_fmac_f64_e32 v[82:83], v[72:73], v[190:191]
	v_add_f64 v[2:3], v[2:3], v[82:83]
	ds_read_b128 v[82:85], v1 offset:1776
	v_add_f64 v[2:3], v[2:3], v[74:75]
	s_waitcnt vmcnt(21)
	v_mul_f64 v[74:75], v[78:79], v[188:189]
	s_waitcnt vmcnt(20)
	v_fmac_f64_e32 v[74:75], v[80:81], v[192:193]
	v_add_f64 v[74:75], v[2:3], v[74:75]
	v_mul_f64 v[2:3], v[240:241], v[92:93]
	v_fma_f64 v[2:3], v[238:239], v[94:95], -v[2:3]
	s_waitcnt vmcnt(18) lgkmcnt(0)
	v_mul_f64 v[94:95], v[82:83], v[198:199]
	s_waitcnt vmcnt(16)
	v_fmac_f64_e32 v[94:95], v[84:85], v[200:201]
	v_fma_f64 v[240:241], v[242:243], v[104:105], -v[90:91]
	ds_read_b128 v[90:93], v1 offset:1808
	v_add_f64 v[74:75], v[74:75], v[94:95]
	s_waitcnt vmcnt(14)
	v_mul_f64 v[94:95], v[86:87], v[204:205]
	s_waitcnt vmcnt(12)
	v_fmac_f64_e32 v[94:95], v[88:89], v[206:207]
	v_add_f64 v[74:75], v[74:75], v[94:95]
	ds_read_b128 v[94:97], v1 offset:1824
	s_waitcnt vmcnt(9) lgkmcnt(1)
	v_mul_f64 v[102:103], v[90:91], v[210:211]
	s_waitcnt vmcnt(7)
	v_fmac_f64_e32 v[102:103], v[92:93], v[76:77]
	v_add_f64 v[74:75], v[74:75], v[102:103]
	v_add_f64 v[254:255], v[4:5], v[2:3]
	s_waitcnt vmcnt(5) lgkmcnt(0)
	v_mul_f64 v[102:103], v[94:95], v[202:203]
	s_waitcnt vmcnt(4)
	v_fmac_f64_e32 v[102:103], v[96:97], v[208:209]
	v_add_f64 v[74:75], v[74:75], v[102:103]
	s_waitcnt vmcnt(2)
	v_mul_f64 v[102:103], v[98:99], v[212:213]
	s_waitcnt vmcnt(0)
	v_fmac_f64_e32 v[102:103], v[100:101], v[216:217]
	v_add_f64 v[106:107], v[74:75], v[102:103]
	buffer_load_dword v74, off, s[0:3], 0 offset:920
	buffer_load_dword v75, off, s[0:3], 0 offset:924
	;; [unrolled: 1-line block ×4, first 2 shown]
	ds_read_b128 v[102:105], v1 offset:1856
	buffer_load_dword v223, off, s[0:3], 0 offset:940
	buffer_load_dword v222, off, s[0:3], 0 offset:936
	;; [unrolled: 1-line block ×4, first 2 shown]
	v_add_f64 v[2:3], v[254:255], v[240:241]
	v_add_f64 v[2:3], v[2:3], v[214:215]
	s_waitcnt vmcnt(6) lgkmcnt(0)
	v_mul_f64 v[108:109], v[102:103], v[74:75]
	s_waitcnt vmcnt(4)
	v_fmac_f64_e32 v[108:109], v[104:105], v[220:221]
	v_add_f64 v[114:115], v[106:107], v[108:109]
	ds_read_b128 v[106:109], v1 offset:1872
	buffer_load_dword v226, off, s[0:3], 0 offset:952
	buffer_load_dword v227, off, s[0:3], 0 offset:956
	;; [unrolled: 1-line block ×4, first 2 shown]
	ds_read_b128 v[232:235], v1 offset:1888
	buffer_load_dword v243, off, s[0:3], 0 offset:972
	buffer_load_dword v242, off, s[0:3], 0 offset:968
	;; [unrolled: 1-line block ×4, first 2 shown]
	s_waitcnt vmcnt(10) lgkmcnt(1)
	v_mul_f64 v[116:117], v[106:107], v[222:223]
	s_waitcnt vmcnt(8)
	v_fmac_f64_e32 v[116:117], v[108:109], v[224:225]
	v_add_f64 v[114:115], v[114:115], v[116:117]
	s_waitcnt vmcnt(6) lgkmcnt(0)
	v_mul_f64 v[116:117], v[232:233], v[226:227]
	s_waitcnt vmcnt(4)
	v_fmac_f64_e32 v[116:117], v[234:235], v[238:239]
	v_add_f64 v[246:247], v[114:115], v[116:117]
	ds_read_b128 v[114:117], v1 offset:1904
	s_waitcnt vmcnt(2) lgkmcnt(0)
	v_mul_f64 v[248:249], v[114:115], v[242:243]
	s_waitcnt vmcnt(0)
	v_fmac_f64_e32 v[248:249], v[116:117], v[244:245]
	v_add_f64 v[0:1], v[246:247], v[248:249]
	buffer_load_dword v248, off, s[0:3], 0 offset:192
	buffer_load_dword v249, off, s[0:3], 0 offset:196
	;; [unrolled: 1-line block ×4, first 2 shown]
	v_accvgpr_write_b32 a203, v1
	v_accvgpr_write_b32 a202, v0
	v_accvgpr_read_b32 v0, a182
	v_accvgpr_read_b32 v1, a183
	v_mul_f64 v[4:5], v[136:137], v[0:1]
	v_accvgpr_read_b32 v0, a184
	v_accvgpr_read_b32 v1, a185
	v_fma_f64 v[4:5], v[134:135], v[0:1], -v[4:5]
	v_accvgpr_read_b32 v0, a186
	v_accvgpr_read_b32 v1, a187
	v_add_f64 v[2:3], v[2:3], v[4:5]
	v_mul_f64 v[4:5], v[132:133], v[0:1]
	v_accvgpr_read_b32 v0, a188
	v_accvgpr_read_b32 v1, a189
	v_fma_f64 v[4:5], v[130:131], v[0:1], -v[4:5]
	v_add_f64 v[2:3], v[2:3], v[4:5]
	v_mul_f64 v[4:5], v[128:129], v[140:141]
	v_accvgpr_read_b32 v0, a190
	v_fma_f64 v[4:5], v[126:127], v[144:145], -v[4:5]
	v_accvgpr_read_b32 v1, a191
	v_add_f64 v[2:3], v[2:3], v[4:5]
	v_mul_f64 v[4:5], v[124:125], v[0:1]
	v_accvgpr_read_b32 v0, a192
	v_accvgpr_read_b32 v1, a193
	v_fma_f64 v[4:5], v[122:123], v[0:1], -v[4:5]
	v_add_f64 v[2:3], v[2:3], v[4:5]
	v_mul_f64 v[4:5], v[120:121], v[148:149]
	v_accvgpr_read_b32 v0, a194
	v_fma_f64 v[4:5], v[118:119], v[150:151], -v[4:5]
	;; [unrolled: 10-line block ×3, first 2 shown]
	v_accvgpr_read_b32 v1, a199
	v_add_f64 v[2:3], v[2:3], v[4:5]
	v_mul_f64 v[4:5], v[32:33], v[0:1]
	v_accvgpr_read_b32 v0, a200
	v_accvgpr_read_b32 v1, a201
	v_fma_f64 v[4:5], v[30:31], v[0:1], -v[4:5]
	v_add_f64 v[2:3], v[2:3], v[4:5]
	v_mul_f64 v[4:5], v[36:37], v[156:157]
	v_fma_f64 v[4:5], v[34:35], v[160:161], -v[4:5]
	v_add_f64 v[2:3], v[2:3], v[4:5]
	v_mul_f64 v[4:5], v[40:41], v[138:139]
	;; [unrolled: 3-line block ×21, first 2 shown]
	v_accvgpr_read_b32 v0, a202
	v_fma_f64 v[4:5], v[114:115], v[244:245], -v[4:5]
	v_accvgpr_read_b32 v1, a203
	v_add_f64 v[2:3], v[2:3], v[4:5]
	s_waitcnt vmcnt(0)
	v_add_f64 v[4:5], v[246:247], -v[0:1]
	v_accvgpr_read_b32 v0, a179
	v_add_f64 v[2:3], v[248:249], -v[2:3]
	v_cmp_lt_u32_e32 vcc, 10, v0
	buffer_store_dword v3, off, s[0:3], 0 offset:196
	buffer_store_dword v2, off, s[0:3], 0 offset:192
	;; [unrolled: 1-line block ×4, first 2 shown]
	s_and_saveexec_b64 s[4:5], vcc
	s_cbranch_execz .LBB123_353
; %bb.352:
	v_accvgpr_read_b32 v0, a169
	buffer_load_dword v2, v0, s[0:3], 0 offen
	buffer_load_dword v3, v0, s[0:3], 0 offen offset:4
	buffer_load_dword v4, v0, s[0:3], 0 offen offset:8
	;; [unrolled: 1-line block ×3, first 2 shown]
	v_mov_b32_e32 v0, 0
	v_accvgpr_read_b32 v1, a180
	buffer_store_dword v0, off, s[0:3], 0 offset:176
	buffer_store_dword v0, off, s[0:3], 0 offset:180
	;; [unrolled: 1-line block ×4, first 2 shown]
	s_waitcnt vmcnt(4)
	ds_write_b128 v1, v[2:5]
.LBB123_353:
	s_or_b64 exec, exec, s[4:5]
	s_waitcnt lgkmcnt(0)
	; wave barrier
	s_waitcnt lgkmcnt(0)
	buffer_load_dword v38, off, s[0:3], 0 offset:192
	buffer_load_dword v39, off, s[0:3], 0 offset:196
	;; [unrolled: 1-line block ×42, first 2 shown]
	v_mov_b32_e32 v1, 0
	buffer_load_dword v99, off, s[0:3], 0 offset:340
	buffer_load_dword v98, off, s[0:3], 0 offset:336
	;; [unrolled: 1-line block ×7, first 2 shown]
	ds_read_b128 v[108:111], v1 offset:1136
	ds_read_b128 v[112:115], v1 offset:1152
	;; [unrolled: 1-line block ×11, first 2 shown]
	v_accvgpr_read_b32 v0, a179
	v_cmp_lt_u32_e32 vcc, 9, v0
	s_waitcnt vmcnt(45) lgkmcnt(10)
	v_mul_f64 v[2:3], v[108:109], v[40:41]
	v_fmac_f64_e32 v[2:3], v[110:111], v[38:39]
	v_add_f64 v[2:3], v[2:3], 0
	v_mul_f64 v[40:41], v[110:111], v[40:41]
	s_waitcnt vmcnt(41) lgkmcnt(9)
	v_mul_f64 v[4:5], v[112:113], v[46:47]
	v_fmac_f64_e32 v[4:5], v[114:115], v[44:45]
	v_add_f64 v[2:3], v[2:3], v[4:5]
	buffer_load_dword v84, off, s[0:3], 0 offset:376
	buffer_load_dword v117, off, s[0:3], 0 offset:372
	;; [unrolled: 1-line block ×29, first 2 shown]
	s_waitcnt vmcnt(62) lgkmcnt(8)
	v_mul_f64 v[6:7], v[170:171], v[42:43]
	s_waitcnt lgkmcnt(6)
	v_mul_f64 v[10:11], v[180:181], v[48:49]
	v_fmac_f64_e32 v[10:11], v[182:183], v[50:51]
	v_mul_f64 v[42:43], v[172:173], v[42:43]
	v_mul_f64 v[8:9], v[174:175], v[52:53]
	;; [unrolled: 1-line block ×3, first 2 shown]
	s_waitcnt vmcnt(60) lgkmcnt(4)
	v_mul_f64 v[14:15], v[190:191], v[56:57]
	s_waitcnt vmcnt(58)
	v_fmac_f64_e32 v[14:15], v[192:193], v[54:55]
	s_waitcnt vmcnt(56)
	v_mul_f64 v[12:13], v[184:185], v[58:59]
	s_waitcnt vmcnt(54) lgkmcnt(2)
	v_mul_f64 v[18:19], v[198:199], v[64:65]
	s_waitcnt vmcnt(51)
	v_mul_f64 v[16:17], v[194:195], v[66:67]
	s_waitcnt vmcnt(49) lgkmcnt(1)
	v_mul_f64 v[20:21], v[202:203], v[60:61]
	s_waitcnt vmcnt(47)
	v_fmac_f64_e32 v[6:7], v[172:173], v[74:75]
	v_add_f64 v[2:3], v[2:3], v[6:7]
	s_waitcnt vmcnt(45)
	v_fmac_f64_e32 v[8:9], v[176:177], v[72:73]
	v_add_f64 v[2:3], v[2:3], v[8:9]
	;; [unrolled: 3-line block ×3, first 2 shown]
	v_add_f64 v[2:3], v[2:3], v[12:13]
	v_add_f64 v[2:3], v[2:3], v[14:15]
	s_waitcnt vmcnt(41)
	v_fmac_f64_e32 v[16:17], v[196:197], v[68:69]
	v_add_f64 v[2:3], v[2:3], v[16:17]
	s_waitcnt vmcnt(40)
	v_fmac_f64_e32 v[18:19], v[200:201], v[62:63]
	;; [unrolled: 3-line block ×3, first 2 shown]
	v_add_f64 v[2:3], v[2:3], v[20:21]
	v_fma_f64 v[74:75], v[170:171], v[74:75], -v[42:43]
	v_mul_f64 v[42:43], v[176:177], v[52:53]
	v_fma_f64 v[210:211], v[174:175], v[72:73], -v[42:43]
	s_waitcnt vmcnt(0)
	v_pk_mov_b32 v[14:15], v[4:5], v[4:5] op_sel:[0,1]
	buffer_load_dword v5, off, s[0:3], 0 offset:516
	buffer_load_dword v4, off, s[0:3], 0 offset:512
	v_accvgpr_write_b32 a183, v15
	v_accvgpr_write_b32 a182, v14
	s_waitcnt vmcnt(0)
	v_pk_mov_b32 v[16:17], v[4:5], v[4:5] op_sel:[0,1]
	buffer_load_dword v95, off, s[0:3], 0 offset:508
	buffer_load_dword v94, off, s[0:3], 0 offset:504
	;; [unrolled: 1-line block ×6, first 2 shown]
	v_accvgpr_write_b32 a185, v17
	v_accvgpr_write_b32 a184, v16
	s_waitcnt vmcnt(0)
	v_pk_mov_b32 v[22:23], v[4:5], v[4:5] op_sel:[0,1]
	buffer_load_dword v5, off, s[0:3], 0 offset:548
	buffer_load_dword v4, off, s[0:3], 0 offset:544
	v_accvgpr_write_b32 a189, v23
	v_accvgpr_write_b32 a188, v22
	s_waitcnt vmcnt(0)
	v_pk_mov_b32 v[24:25], v[4:5], v[4:5] op_sel:[0,1]
	buffer_load_dword v5, off, s[0:3], 0 offset:540
	buffer_load_dword v4, off, s[0:3], 0 offset:536
	;; [unrolled: 6-line block ×3, first 2 shown]
	buffer_load_dword v5, off, s[0:3], 0 offset:588
	buffer_load_dword v4, off, s[0:3], 0 offset:584
	v_accvgpr_write_b32 a187, v19
	v_accvgpr_write_b32 a186, v18
	s_waitcnt vmcnt(0)
	v_pk_mov_b32 v[30:31], v[4:5], v[4:5] op_sel:[0,1]
	buffer_load_dword v5, off, s[0:3], 0 offset:580
	buffer_load_dword v4, off, s[0:3], 0 offset:576
	v_accvgpr_write_b32 a193, v31
	v_accvgpr_write_b32 a192, v30
	s_waitcnt vmcnt(0)
	v_pk_mov_b32 v[32:33], v[4:5], v[4:5] op_sel:[0,1]
	buffer_load_dword v147, off, s[0:3], 0 offset:572
	buffer_load_dword v146, off, s[0:3], 0 offset:568
	buffer_load_dword v149, off, s[0:3], 0 offset:564
	buffer_load_dword v148, off, s[0:3], 0 offset:560
	buffer_load_dword v5, off, s[0:3], 0 offset:620
	buffer_load_dword v4, off, s[0:3], 0 offset:616
	v_accvgpr_write_b32 a195, v33
	v_accvgpr_write_b32 a194, v32
	s_waitcnt vmcnt(0)
	v_pk_mov_b32 v[162:163], v[4:5], v[4:5] op_sel:[0,1]
	buffer_load_dword v5, off, s[0:3], 0 offset:612
	buffer_load_dword v4, off, s[0:3], 0 offset:608
	v_accvgpr_write_b32 a197, v163
	v_accvgpr_write_b32 a196, v162
	s_waitcnt vmcnt(0)
	v_pk_mov_b32 v[164:165], v[4:5], v[4:5] op_sel:[0,1]
	buffer_load_dword v151, off, s[0:3], 0 offset:604
	buffer_load_dword v150, off, s[0:3], 0 offset:600
	buffer_load_dword v153, off, s[0:3], 0 offset:596
	buffer_load_dword v152, off, s[0:3], 0 offset:592
	;; [unrolled: 16-line block ×3, first 2 shown]
	buffer_load_dword v5, off, s[0:3], 0 offset:684
	buffer_load_dword v4, off, s[0:3], 0 offset:680
	;; [unrolled: 1-line block ×8, first 2 shown]
	ds_read_b128 v[214:217], v1 offset:1312
	ds_read_b128 v[218:221], v1 offset:1328
	;; [unrolled: 1-line block ×14, first 2 shown]
	s_waitcnt lgkmcnt(5)
	v_mul_f64 v[8:9], v[246:247], v[94:95]
	v_fmac_f64_e32 v[8:9], v[248:249], v[96:97]
	s_waitcnt lgkmcnt(4)
	v_mul_f64 v[12:13], v[138:139], v[14:15]
	v_fmac_f64_e32 v[12:13], v[140:141], v[16:17]
	;; [unrolled: 3-line block ×5, first 2 shown]
	ds_read_b128 v[118:121], v1 offset:1536
	s_waitcnt lgkmcnt(1)
	v_mul_f64 v[28:29], v[122:123], v[30:31]
	v_fmac_f64_e32 v[28:29], v[124:125], v[32:33]
	v_accvgpr_write_b32 a203, v169
	v_accvgpr_write_b32 a202, v168
	v_mul_f64 v[72:73], v[232:233], v[254:255]
	s_waitcnt vmcnt(6)
	v_pk_mov_b32 v[212:213], v[4:5], v[4:5] op_sel:[0,1]
	v_mul_f64 v[4:5], v[206:207], v[76:77]
	v_fmac_f64_e32 v[4:5], v[208:209], v[82:83]
	v_add_f64 v[2:3], v[2:3], v[4:5]
	v_mul_f64 v[4:5], v[214:215], v[84:85]
	v_fmac_f64_e32 v[4:5], v[216:217], v[116:117]
	v_add_f64 v[2:3], v[2:3], v[4:5]
	;; [unrolled: 3-line block ×9, first 2 shown]
	v_add_f64 v[10:11], v[6:7], v[8:9]
	v_add_f64 v[14:15], v[10:11], v[12:13]
	;; [unrolled: 1-line block ×6, first 2 shown]
	ds_read_b128 v[26:29], v1 offset:1552
	s_waitcnt lgkmcnt(1)
	v_mul_f64 v[32:33], v[118:119], v[150:151]
	v_fmac_f64_e32 v[32:33], v[120:121], v[152:153]
	v_add_f64 v[34:35], v[30:31], v[32:33]
	ds_read_b128 v[30:33], v1 offset:1568
	s_waitcnt lgkmcnt(1)
	v_mul_f64 v[36:37], v[26:27], v[162:163]
	v_fmac_f64_e32 v[36:37], v[28:29], v[164:165]
	v_add_f64 v[162:163], v[34:35], v[36:37]
	ds_read_b128 v[34:37], v1 offset:1584
	s_waitcnt lgkmcnt(1)
	v_mul_f64 v[4:5], v[30:31], v[154:155]
	v_fmac_f64_e32 v[4:5], v[32:33], v[156:157]
	v_fma_f64 v[18:19], v[108:109], v[38:39], -v[40:41]
	ds_read_b128 v[38:41], v1 offset:1600
	v_add_f64 v[4:5], v[162:163], v[4:5]
	s_waitcnt lgkmcnt(1)
	v_mul_f64 v[108:109], v[34:35], v[166:167]
	buffer_load_dword v163, off, s[0:3], 0 offset:700
	buffer_load_dword v162, off, s[0:3], 0 offset:696
	;; [unrolled: 1-line block ×4, first 2 shown]
	v_fmac_f64_e32 v[108:109], v[36:37], v[168:169]
	buffer_load_dword v22, off, s[0:3], 0 offset:712
	buffer_load_dword v168, off, s[0:3], 0 offset:704
	;; [unrolled: 1-line block ×12, first 2 shown]
	v_fma_f64 v[166:167], v[112:113], v[44:45], -v[46:47]
	v_mul_f64 v[46:47], v[182:183], v[48:49]
	ds_read_b128 v[42:45], v1 offset:1616
	v_fma_f64 v[110:111], v[180:181], v[50:51], -v[46:47]
	buffer_load_dword v174, off, s[0:3], 0 offset:776
	buffer_load_dword v181, off, s[0:3], 0 offset:764
	;; [unrolled: 1-line block ×5, first 2 shown]
	v_mul_f64 v[46:47], v[186:187], v[58:59]
	v_fma_f64 v[112:113], v[184:185], v[188:189], -v[46:47]
	buffer_load_dword v184, off, s[0:3], 0 offset:768
	buffer_load_dword v175, off, s[0:3], 0 offset:780
	;; [unrolled: 1-line block ×7, first 2 shown]
	v_mul_f64 v[8:9], v[196:197], v[66:67]
	v_mul_f64 v[46:47], v[192:193], v[56:57]
	v_fma_f64 v[10:11], v[194:195], v[68:69], -v[8:9]
	buffer_load_dword v192, off, s[0:3], 0 offset:808
	buffer_load_dword v194, off, s[0:3], 0 offset:800
	;; [unrolled: 1-line block ×4, first 2 shown]
	v_fma_f64 v[14:15], v[190:191], v[54:55], -v[46:47]
	v_mul_f64 v[46:47], v[200:201], v[64:65]
	v_fma_f64 v[8:9], v[198:199], v[62:63], -v[46:47]
	buffer_load_dword v191, off, s[0:3], 0 offset:844
	buffer_load_dword v197, off, s[0:3], 0 offset:828
	;; [unrolled: 1-line block ×8, first 2 shown]
	v_mul_f64 v[50:51], v[204:205], v[60:61]
	ds_read_b128 v[46:49], v1 offset:1632
	v_fma_f64 v[6:7], v[202:203], v[98:99], -v[50:51]
	buffer_load_dword v203, off, s[0:3], 0 offset:860
	buffer_load_dword v202, off, s[0:3], 0 offset:856
	;; [unrolled: 1-line block ×4, first 2 shown]
	v_accvgpr_write_b32 a204, v212
	v_mul_f64 v[16:17], v[208:209], v[76:77]
	s_waitcnt lgkmcnt(1)
	v_mul_f64 v[12:13], v[42:43], v[212:213]
	v_accvgpr_write_b32 a205, v213
	v_fma_f64 v[16:17], v[206:207], v[82:83], -v[16:17]
	buffer_load_dword v206, off, s[0:3], 0 offset:872
	buffer_load_dword v208, off, s[0:3], 0 offset:864
	buffer_load_dword v207, off, s[0:3], 0 offset:876
	buffer_load_dword v209, off, s[0:3], 0 offset:868
	buffer_load_dword v77, off, s[0:3], 0 offset:892
	buffer_load_dword v76, off, s[0:3], 0 offset:888
	buffer_load_dword v213, off, s[0:3], 0 offset:884
	buffer_load_dword v212, off, s[0:3], 0 offset:880
	v_add_f64 v[4:5], v[4:5], v[108:109]
	s_waitcnt vmcnt(54)
	v_mul_f64 v[108:109], v[38:39], v[158:159]
	s_waitcnt vmcnt(52)
	v_fmac_f64_e32 v[108:109], v[40:41], v[160:161]
	v_mul_f64 v[50:51], v[216:217], v[84:85]
	v_add_f64 v[108:109], v[4:5], v[108:109]
	v_fma_f64 v[4:5], v[214:215], v[116:117], -v[50:51]
	buffer_load_dword v214, off, s[0:3], 0 offset:904
	buffer_load_dword v216, off, s[0:3], 0 offset:896
	;; [unrolled: 1-line block ×4, first 2 shown]
	ds_read_b128 v[50:53], v1 offset:1648
	ds_read_b128 v[54:57], v1 offset:1664
	v_mul_f64 v[58:59], v[224:225], v[250:251]
	v_fmac_f64_e32 v[12:13], v[44:45], v[144:145]
	v_fma_f64 v[252:253], v[222:223], v[252:253], -v[58:59]
	ds_read_b128 v[58:61], v1 offset:1680
	v_add_f64 v[12:13], v[108:109], v[12:13]
	v_mul_f64 v[66:67], v[228:229], v[104:105]
	v_fma_f64 v[250:251], v[226:227], v[106:107], -v[66:67]
	ds_read_b128 v[66:69], v1 offset:1712
	v_fma_f64 v[254:255], v[230:231], v[70:71], -v[72:73]
	ds_read_b128 v[228:231], v1 offset:1744
	v_mul_f64 v[82:83], v[240:241], v[100:101]
	v_fma_f64 v[2:3], v[238:239], v[102:103], -v[82:83]
	ds_read_b128 v[82:85], v1 offset:1776
	v_add_f64 v[18:19], v[18:19], 0
	v_add_f64 v[18:19], v[18:19], v[166:167]
	;; [unrolled: 1-line block ×6, first 2 shown]
	ds_read_b128 v[70:73], v1 offset:1728
	v_add_f64 v[14:15], v[18:19], v[14:15]
	v_add_f64 v[10:11], v[14:15], v[10:11]
	;; [unrolled: 1-line block ×6, first 2 shown]
	v_accvgpr_read_b32 v6, a184
	v_accvgpr_read_b32 v7, a185
	s_waitcnt vmcnt(54) lgkmcnt(7)
	v_mul_f64 v[20:21], v[46:47], v[162:163]
	s_waitcnt vmcnt(52)
	v_fmac_f64_e32 v[20:21], v[48:49], v[164:165]
	s_waitcnt vmcnt(49) lgkmcnt(6)
	v_mul_f64 v[62:63], v[50:51], v[22:23]
	v_add_f64 v[12:13], v[12:13], v[20:21]
	s_waitcnt vmcnt(48)
	v_fmac_f64_e32 v[62:63], v[52:53], v[168:169]
	v_add_f64 v[12:13], v[12:13], v[62:63]
	s_waitcnt vmcnt(45) lgkmcnt(5)
	v_mul_f64 v[62:63], v[54:55], v[172:173]
	s_waitcnt vmcnt(43)
	v_fmac_f64_e32 v[62:63], v[56:57], v[178:179]
	v_add_f64 v[12:13], v[12:13], v[62:63]
	s_waitcnt vmcnt(42) lgkmcnt(4)
	v_mul_f64 v[62:63], v[58:59], v[170:171]
	s_waitcnt vmcnt(40)
	v_fmac_f64_e32 v[62:63], v[60:61], v[176:177]
	v_add_f64 v[12:13], v[12:13], v[62:63]
	ds_read_b128 v[62:65], v1 offset:1696
	v_mul_f64 v[20:21], v[220:221], v[78:79]
	v_fma_f64 v[20:21], v[218:219], v[80:81], -v[20:21]
	v_add_f64 v[4:5], v[4:5], v[20:21]
	v_add_f64 v[4:5], v[4:5], v[252:253]
	s_waitcnt vmcnt(37) lgkmcnt(0)
	v_mul_f64 v[78:79], v[62:63], v[180:181]
	s_waitcnt vmcnt(35)
	v_fmac_f64_e32 v[78:79], v[64:65], v[182:183]
	v_add_f64 v[12:13], v[12:13], v[78:79]
	s_waitcnt vmcnt(33)
	v_mul_f64 v[78:79], v[66:67], v[174:175]
	s_waitcnt vmcnt(32)
	v_fmac_f64_e32 v[78:79], v[68:69], v[184:185]
	v_add_f64 v[12:13], v[12:13], v[78:79]
	s_waitcnt vmcnt(30)
	v_mul_f64 v[78:79], v[70:71], v[186:187]
	s_waitcnt vmcnt(28)
	v_fmac_f64_e32 v[78:79], v[72:73], v[188:189]
	v_add_f64 v[12:13], v[12:13], v[78:79]
	v_mul_f64 v[78:79], v[236:237], v[86:87]
	v_fma_f64 v[236:237], v[234:235], v[88:89], -v[78:79]
	ds_read_b128 v[78:81], v1 offset:1760
	s_waitcnt vmcnt(25)
	v_mul_f64 v[86:87], v[228:229], v[192:193]
	s_waitcnt vmcnt(24)
	v_fmac_f64_e32 v[86:87], v[230:231], v[194:195]
	v_add_f64 v[12:13], v[12:13], v[86:87]
	ds_read_b128 v[86:89], v1 offset:1792
	s_waitcnt vmcnt(21) lgkmcnt(1)
	v_mul_f64 v[24:25], v[78:79], v[196:197]
	s_waitcnt vmcnt(19)
	v_fmac_f64_e32 v[24:25], v[80:81], v[200:201]
	v_add_f64 v[12:13], v[12:13], v[24:25]
	s_waitcnt vmcnt(18)
	v_mul_f64 v[24:25], v[82:83], v[190:191]
	s_waitcnt vmcnt(16)
	v_fmac_f64_e32 v[24:25], v[84:85], v[198:199]
	v_add_f64 v[24:25], v[12:13], v[24:25]
	v_mul_f64 v[12:13], v[244:245], v[90:91]
	v_fma_f64 v[240:241], v[242:243], v[92:93], -v[12:13]
	ds_read_b128 v[90:93], v1 offset:1808
	v_mul_f64 v[12:13], v[248:249], v[94:95]
	v_fma_f64 v[12:13], v[246:247], v[96:97], -v[12:13]
	ds_read_b128 v[94:97], v1 offset:1824
	s_waitcnt vmcnt(14) lgkmcnt(2)
	v_mul_f64 v[98:99], v[86:87], v[202:203]
	s_waitcnt vmcnt(12)
	v_fmac_f64_e32 v[98:99], v[88:89], v[204:205]
	v_add_f64 v[24:25], v[24:25], v[98:99]
	s_waitcnt vmcnt(9) lgkmcnt(1)
	v_mul_f64 v[98:99], v[90:91], v[206:207]
	s_waitcnt vmcnt(8)
	v_fmac_f64_e32 v[98:99], v[92:93], v[208:209]
	v_add_f64 v[24:25], v[24:25], v[98:99]
	;; [unrolled: 5-line block ×3, first 2 shown]
	ds_read_b128 v[98:101], v1 offset:1840
	buffer_load_dword v219, off, s[0:3], 0 offset:924
	buffer_load_dword v218, off, s[0:3], 0 offset:920
	;; [unrolled: 1-line block ×4, first 2 shown]
	v_add_f64 v[4:5], v[4:5], v[250:251]
	v_add_f64 v[4:5], v[4:5], v[254:255]
	;; [unrolled: 1-line block ×3, first 2 shown]
	s_waitcnt vmcnt(5) lgkmcnt(0)
	v_mul_f64 v[102:103], v[98:99], v[214:215]
	s_waitcnt vmcnt(4)
	v_fmac_f64_e32 v[102:103], v[100:101], v[216:217]
	v_add_f64 v[24:25], v[24:25], v[102:103]
	ds_read_b128 v[102:105], v1 offset:1856
	buffer_load_dword v222, off, s[0:3], 0 offset:936
	buffer_load_dword v223, off, s[0:3], 0 offset:940
	;; [unrolled: 1-line block ×4, first 2 shown]
	v_add_f64 v[2:3], v[4:5], v[2:3]
	v_accvgpr_read_b32 v4, a182
	v_accvgpr_read_b32 v5, a183
	v_add_f64 v[252:253], v[2:3], v[240:241]
	v_mul_f64 v[4:5], v[140:141], v[4:5]
	v_add_f64 v[2:3], v[252:253], v[12:13]
	v_fma_f64 v[4:5], v[138:139], v[6:7], -v[4:5]
	v_add_f64 v[2:3], v[2:3], v[4:5]
	v_accvgpr_read_b32 v4, a186
	v_accvgpr_read_b32 v5, a187
	v_mul_f64 v[4:5], v[136:137], v[4:5]
	v_fma_f64 v[4:5], v[134:135], v[142:143], -v[4:5]
	v_add_f64 v[2:3], v[2:3], v[4:5]
	v_accvgpr_read_b32 v4, a188
	v_accvgpr_read_b32 v5, a189
	v_accvgpr_read_b32 v6, a190
	v_mul_f64 v[4:5], v[132:133], v[4:5]
	v_accvgpr_read_b32 v7, a191
	v_fma_f64 v[4:5], v[130:131], v[6:7], -v[4:5]
	v_add_f64 v[2:3], v[2:3], v[4:5]
	v_mul_f64 v[4:5], v[128:129], v[146:147]
	v_fma_f64 v[4:5], v[126:127], v[148:149], -v[4:5]
	v_add_f64 v[2:3], v[2:3], v[4:5]
	v_accvgpr_read_b32 v4, a192
	v_accvgpr_read_b32 v5, a193
	v_accvgpr_read_b32 v6, a194
	v_mul_f64 v[4:5], v[124:125], v[4:5]
	v_accvgpr_read_b32 v7, a195
	v_fma_f64 v[4:5], v[122:123], v[6:7], -v[4:5]
	v_add_f64 v[2:3], v[2:3], v[4:5]
	;; [unrolled: 10-line block ×4, first 2 shown]
	v_mul_f64 v[4:5], v[40:41], v[158:159]
	v_fma_f64 v[4:5], v[38:39], v[160:161], -v[4:5]
	v_add_f64 v[2:3], v[2:3], v[4:5]
	v_accvgpr_read_b32 v4, a204
	v_accvgpr_read_b32 v5, a205
	v_mul_f64 v[4:5], v[44:45], v[4:5]
	v_fma_f64 v[4:5], v[42:43], v[144:145], -v[4:5]
	v_add_f64 v[2:3], v[2:3], v[4:5]
	v_mul_f64 v[4:5], v[48:49], v[162:163]
	v_fma_f64 v[4:5], v[46:47], v[164:165], -v[4:5]
	v_add_f64 v[2:3], v[2:3], v[4:5]
	;; [unrolled: 3-line block ×4, first 2 shown]
	v_mul_f64 v[4:5], v[60:61], v[170:171]
	v_fma_f64 v[4:5], v[58:59], v[176:177], -v[4:5]
	s_waitcnt vmcnt(6) lgkmcnt(0)
	v_mul_f64 v[106:107], v[102:103], v[218:219]
	v_add_f64 v[2:3], v[2:3], v[4:5]
	s_waitcnt vmcnt(4)
	v_fmac_f64_e32 v[106:107], v[104:105], v[220:221]
	v_add_f64 v[24:25], v[24:25], v[106:107]
	ds_read_b128 v[106:109], v1 offset:1872
	buffer_load_dword v227, off, s[0:3], 0 offset:956
	buffer_load_dword v226, off, s[0:3], 0 offset:952
	;; [unrolled: 1-line block ×4, first 2 shown]
	ds_read_b128 v[232:235], v1 offset:1888
	buffer_load_dword v242, off, s[0:3], 0 offset:968
	buffer_load_dword v243, off, s[0:3], 0 offset:972
	;; [unrolled: 1-line block ×4, first 2 shown]
	v_mul_f64 v[4:5], v[64:65], v[180:181]
	s_waitcnt vmcnt(10) lgkmcnt(1)
	v_mul_f64 v[114:115], v[106:107], v[222:223]
	s_waitcnt vmcnt(8)
	v_fmac_f64_e32 v[114:115], v[108:109], v[224:225]
	v_add_f64 v[24:25], v[24:25], v[114:115]
	v_fma_f64 v[4:5], v[62:63], v[182:183], -v[4:5]
	v_add_f64 v[2:3], v[2:3], v[4:5]
	v_mul_f64 v[4:5], v[68:69], v[174:175]
	v_fma_f64 v[4:5], v[66:67], v[184:185], -v[4:5]
	v_add_f64 v[2:3], v[2:3], v[4:5]
	v_mul_f64 v[4:5], v[72:73], v[186:187]
	;; [unrolled: 3-line block ×11, first 2 shown]
	v_fma_f64 v[4:5], v[106:107], v[224:225], -v[4:5]
	v_add_f64 v[2:3], v[2:3], v[4:5]
	s_waitcnt vmcnt(6) lgkmcnt(0)
	v_mul_f64 v[114:115], v[232:233], v[226:227]
	v_mul_f64 v[4:5], v[234:235], v[226:227]
	s_waitcnt vmcnt(4)
	v_fmac_f64_e32 v[114:115], v[234:235], v[238:239]
	v_add_f64 v[24:25], v[24:25], v[114:115]
	ds_read_b128 v[114:117], v1 offset:1904
	buffer_load_dword v248, off, s[0:3], 0 offset:176
	buffer_load_dword v249, off, s[0:3], 0 offset:180
	v_fma_f64 v[4:5], v[232:233], v[238:239], -v[4:5]
	v_add_f64 v[2:3], v[2:3], v[4:5]
	s_waitcnt vmcnt(4) lgkmcnt(0)
	v_mul_f64 v[246:247], v[114:115], v[242:243]
	s_waitcnt vmcnt(2)
	v_fmac_f64_e32 v[246:247], v[116:117], v[244:245]
	v_add_f64 v[24:25], v[24:25], v[246:247]
	buffer_load_dword v246, off, s[0:3], 0 offset:184
	buffer_load_dword v247, off, s[0:3], 0 offset:188
	v_mul_f64 v[4:5], v[116:117], v[242:243]
	v_fma_f64 v[4:5], v[114:115], v[244:245], -v[4:5]
	v_add_f64 v[2:3], v[2:3], v[4:5]
	s_waitcnt vmcnt(2)
	v_add_f64 v[2:3], v[248:249], -v[2:3]
	s_waitcnt vmcnt(0)
	v_add_f64 v[4:5], v[246:247], -v[24:25]
	buffer_store_dword v3, off, s[0:3], 0 offset:180
	buffer_store_dword v2, off, s[0:3], 0 offset:176
	;; [unrolled: 1-line block ×4, first 2 shown]
	s_and_saveexec_b64 s[4:5], vcc
	s_cbranch_execz .LBB123_355
; %bb.354:
	v_accvgpr_read_b32 v0, a170
	buffer_load_dword v2, v0, s[0:3], 0 offen
	buffer_load_dword v3, v0, s[0:3], 0 offen offset:4
	buffer_load_dword v4, v0, s[0:3], 0 offen offset:8
	buffer_load_dword v5, v0, s[0:3], 0 offen offset:12
	v_accvgpr_read_b32 v0, a180
	buffer_store_dword v1, off, s[0:3], 0 offset:160
	buffer_store_dword v1, off, s[0:3], 0 offset:164
	;; [unrolled: 1-line block ×4, first 2 shown]
	s_waitcnt vmcnt(4)
	ds_write_b128 v0, v[2:5]
.LBB123_355:
	s_or_b64 exec, exec, s[4:5]
	s_waitcnt lgkmcnt(0)
	; wave barrier
	s_waitcnt lgkmcnt(0)
	buffer_load_dword v176, off, s[0:3], 0 offset:176
	buffer_load_dword v177, off, s[0:3], 0 offset:180
	;; [unrolled: 1-line block ×42, first 2 shown]
	ds_read_b128 v[42:45], v1 offset:1120
	ds_read_b128 v[108:111], v1 offset:1136
	;; [unrolled: 1-line block ×10, first 2 shown]
	buffer_load_dword v117, off, s[0:3], 0 offset:324
	buffer_load_dword v116, off, s[0:3], 0 offset:320
	ds_read_b128 v[46:49], v1 offset:1280
	buffer_load_dword v85, off, s[0:3], 0 offset:380
	buffer_load_dword v84, off, s[0:3], 0 offset:376
	;; [unrolled: 1-line block ×6, first 2 shown]
	s_waitcnt vmcnt(46) lgkmcnt(10)
	v_mul_f64 v[2:3], v[42:43], v[36:37]
	v_fmac_f64_e32 v[2:3], v[44:45], v[176:177]
	v_add_f64 v[2:3], v[2:3], 0
	v_mul_f64 v[36:37], v[44:45], v[36:37]
	s_waitcnt vmcnt(42) lgkmcnt(9)
	v_mul_f64 v[4:5], v[108:109], v[40:41]
	v_fmac_f64_e32 v[4:5], v[110:111], v[38:39]
	v_add_f64 v[2:3], v[2:3], v[4:5]
	buffer_load_dword v209, off, s[0:3], 0 offset:356
	buffer_load_dword v208, off, s[0:3], 0 offset:352
	buffer_load_dword v251, off, s[0:3], 0 offset:412
	buffer_load_dword v250, off, s[0:3], 0 offset:408
	buffer_load_dword v253, off, s[0:3], 0 offset:404
	buffer_load_dword v252, off, s[0:3], 0 offset:400
	buffer_load_dword v255, off, s[0:3], 0 offset:396
	buffer_load_dword v254, off, s[0:3], 0 offset:392
	buffer_load_dword v51, off, s[0:3], 0 offset:388
	buffer_load_dword v50, off, s[0:3], 0 offset:384
	buffer_load_dword v101, off, s[0:3], 0 offset:444
	buffer_load_dword v100, off, s[0:3], 0 offset:440
	buffer_load_dword v103, off, s[0:3], 0 offset:436
	buffer_load_dword v102, off, s[0:3], 0 offset:432
	buffer_load_dword v63, off, s[0:3], 0 offset:428
	buffer_load_dword v62, off, s[0:3], 0 offset:424
	buffer_load_dword v65, off, s[0:3], 0 offset:420
	buffer_load_dword v64, off, s[0:3], 0 offset:416
	buffer_load_dword v89, off, s[0:3], 0 offset:476
	buffer_load_dword v88, off, s[0:3], 0 offset:472
	buffer_load_dword v93, off, s[0:3], 0 offset:468
	buffer_load_dword v92, off, s[0:3], 0 offset:464
	buffer_load_dword v105, off, s[0:3], 0 offset:460
	buffer_load_dword v104, off, s[0:3], 0 offset:456
	buffer_load_dword v107, off, s[0:3], 0 offset:452
	buffer_load_dword v106, off, s[0:3], 0 offset:448
	buffer_load_dword v95, off, s[0:3], 0 offset:508
	buffer_load_dword v94, off, s[0:3], 0 offset:504
	buffer_load_dword v97, off, s[0:3], 0 offset:500
	buffer_load_dword v96, off, s[0:3], 0 offset:496
	buffer_load_dword v91, off, s[0:3], 0 offset:492
	buffer_load_dword v90, off, s[0:3], 0 offset:488
	buffer_load_dword v99, off, s[0:3], 0 offset:484
	buffer_load_dword v98, off, s[0:3], 0 offset:480
	buffer_load_dword v5, off, s[0:3], 0 offset:540
	buffer_load_dword v4, off, s[0:3], 0 offset:536
	s_waitcnt vmcnt(62) lgkmcnt(8)
	v_mul_f64 v[6:7], v[112:113], v[158:159]
	s_waitcnt lgkmcnt(6)
	v_mul_f64 v[10:11], v[170:171], v[52:53]
	v_fmac_f64_e32 v[10:11], v[172:173], v[54:55]
	v_mul_f64 v[40:41], v[110:111], v[40:41]
	v_mul_f64 v[8:9], v[166:167], v[56:57]
	v_fma_f64 v[108:109], v[108:109], v[38:39], -v[40:41]
	s_waitcnt lgkmcnt(4)
	v_mul_f64 v[14:15], v[182:183], v[58:59]
	v_mul_f64 v[110:111], v[114:115], v[158:159]
	v_fmac_f64_e32 v[14:15], v[184:185], v[60:61]
	v_mul_f64 v[56:57], v[168:169], v[56:57]
	v_mul_f64 v[12:13], v[178:179], v[198:199]
	;; [unrolled: 1-line block ×3, first 2 shown]
	s_waitcnt lgkmcnt(2)
	v_mul_f64 v[18:19], v[190:191], v[200:201]
	s_waitcnt vmcnt(59)
	v_mul_f64 v[16:17], v[186:187], v[70:71]
	s_waitcnt vmcnt(57) lgkmcnt(1)
	v_mul_f64 v[20:21], v[194:195], v[68:69]
	s_waitcnt vmcnt(55)
	v_fmac_f64_e32 v[6:7], v[114:115], v[78:79]
	v_add_f64 v[2:3], v[2:3], v[6:7]
	s_waitcnt vmcnt(53)
	v_fmac_f64_e32 v[8:9], v[168:169], v[76:77]
	v_add_f64 v[2:3], v[2:3], v[8:9]
	;; [unrolled: 3-line block ×3, first 2 shown]
	v_add_f64 v[2:3], v[2:3], v[12:13]
	s_waitcnt vmcnt(49)
	v_fmac_f64_e32 v[16:17], v[188:189], v[72:73]
	v_add_f64 v[2:3], v[2:3], v[14:15]
	s_waitcnt vmcnt(48)
	v_fmac_f64_e32 v[18:19], v[192:193], v[66:67]
	v_add_f64 v[2:3], v[2:3], v[16:17]
	v_add_f64 v[2:3], v[2:3], v[18:19]
	v_fma_f64 v[210:211], v[166:167], v[76:77], -v[56:57]
	s_waitcnt vmcnt(42)
	v_fmac_f64_e32 v[20:21], v[196:197], v[116:117]
	v_add_f64 v[2:3], v[2:3], v[20:21]
	v_fma_f64 v[78:79], v[112:113], v[78:79], -v[110:111]
	s_waitcnt vmcnt(0)
	v_pk_mov_b32 v[18:19], v[4:5], v[4:5] op_sel:[0,1]
	buffer_load_dword v5, off, s[0:3], 0 offset:532
	buffer_load_dword v4, off, s[0:3], 0 offset:528
	v_accvgpr_write_b32 a187, v19
	v_accvgpr_write_b32 a186, v18
	s_waitcnt vmcnt(0)
	v_pk_mov_b32 v[22:23], v[4:5], v[4:5] op_sel:[0,1]
	buffer_load_dword v5, off, s[0:3], 0 offset:524
	buffer_load_dword v4, off, s[0:3], 0 offset:520
	v_accvgpr_write_b32 a189, v23
	v_accvgpr_write_b32 a188, v22
	;; [unrolled: 6-line block ×12, first 2 shown]
	s_waitcnt vmcnt(0)
	v_pk_mov_b32 v[164:165], v[4:5], v[4:5] op_sel:[0,1]
	buffer_load_dword v5, off, s[0:3], 0 offset:628
	buffer_load_dword v4, off, s[0:3], 0 offset:624
	s_waitcnt vmcnt(0)
	v_pk_mov_b32 v[174:175], v[4:5], v[4:5] op_sel:[0,1]
	buffer_load_dword v151, off, s[0:3], 0 offset:620
	buffer_load_dword v150, off, s[0:3], 0 offset:616
	;; [unrolled: 1-line block ×12, first 2 shown]
	ds_read_b128 v[202:205], v1 offset:1296
	ds_read_b128 v[214:217], v1 offset:1312
	;; [unrolled: 1-line block ×14, first 2 shown]
	s_waitcnt lgkmcnt(4)
	v_mul_f64 v[8:9], v[246:247], v[94:95]
	ds_read_b128 v[130:133], v1 offset:1520
	ds_read_b128 v[126:129], v1 offset:1536
	v_fmac_f64_e32 v[8:9], v[248:249], v[96:97]
	s_waitcnt lgkmcnt(5)
	v_mul_f64 v[12:13], v[146:147], v[14:15]
	v_fmac_f64_e32 v[12:13], v[148:149], v[16:17]
	s_waitcnt lgkmcnt(4)
	v_mul_f64 v[16:17], v[142:143], v[18:19]
	;; [unrolled: 3-line block ×5, first 2 shown]
	ds_read_b128 v[122:125], v1 offset:1552
	v_fmac_f64_e32 v[28:29], v[132:133], v[118:119]
	ds_read_b128 v[118:121], v1 offset:1568
	s_waitcnt lgkmcnt(2)
	v_mul_f64 v[32:33], v[126:127], v[160:161]
	v_fmac_f64_e32 v[32:33], v[128:129], v[162:163]
	v_accvgpr_write_b32 a207, v175
	v_accvgpr_write_b32 a206, v174
	v_mul_f64 v[94:95], v[248:249], v[94:95]
	s_waitcnt vmcnt(6)
	v_pk_mov_b32 v[212:213], v[4:5], v[4:5] op_sel:[0,1]
	v_mul_f64 v[4:5], v[46:47], v[80:81]
	v_fmac_f64_e32 v[4:5], v[48:49], v[82:83]
	v_add_f64 v[2:3], v[2:3], v[4:5]
	v_mul_f64 v[4:5], v[202:203], v[206:207]
	v_fmac_f64_e32 v[4:5], v[204:205], v[208:209]
	v_add_f64 v[2:3], v[2:3], v[4:5]
	;; [unrolled: 3-line block ×10, first 2 shown]
	v_add_f64 v[10:11], v[6:7], v[8:9]
	v_add_f64 v[14:15], v[10:11], v[12:13]
	;; [unrolled: 1-line block ×7, first 2 shown]
	ds_read_b128 v[30:33], v1 offset:1584
	s_waitcnt lgkmcnt(2)
	v_mul_f64 v[4:5], v[122:123], v[150:151]
	v_fma_f64 v[26:27], v[42:43], v[176:177], -v[36:37]
	v_fmac_f64_e32 v[4:5], v[124:125], v[152:153]
	s_waitcnt lgkmcnt(1)
	v_mul_f64 v[42:43], v[118:119], v[164:165]
	v_add_f64 v[4:5], v[160:161], v[4:5]
	v_fmac_f64_e32 v[42:43], v[120:121], v[174:175]
	v_add_f64 v[4:5], v[4:5], v[42:43]
	s_waitcnt vmcnt(2) lgkmcnt(0)
	v_mul_f64 v[42:43], v[30:31], v[154:155]
	s_waitcnt vmcnt(0)
	v_fmac_f64_e32 v[42:43], v[32:33], v[156:157]
	v_pk_mov_b32 v[36:37], v[164:165], v[164:165] op_sel:[0,1]
	v_add_f64 v[4:5], v[4:5], v[42:43]
	ds_read_b128 v[42:45], v1 offset:1600
	ds_read_b128 v[38:41], v1 offset:1616
	buffer_load_dword v158, off, s[0:3], 0 offset:696
	buffer_load_dword v163, off, s[0:3], 0 offset:684
	;; [unrolled: 1-line block ×17, first 2 shown]
	v_mul_f64 v[8:9], v[180:181], v[198:199]
	v_fma_f64 v[22:23], v[170:171], v[54:55], -v[52:53]
	v_fma_f64 v[18:19], v[178:179], v[74:75], -v[8:9]
	buffer_load_dword v170, off, s[0:3], 0 offset:752
	buffer_load_dword v179, off, s[0:3], 0 offset:748
	;; [unrolled: 1-line block ×7, first 2 shown]
	v_mul_f64 v[52:53], v[184:185], v[58:59]
	v_fma_f64 v[14:15], v[182:183], v[60:61], -v[52:53]
	buffer_load_dword v183, off, s[0:3], 0 offset:780
	buffer_load_dword v182, off, s[0:3], 0 offset:776
	;; [unrolled: 1-line block ×4, first 2 shown]
	v_mul_f64 v[52:53], v[188:189], v[70:71]
	v_mul_f64 v[16:17], v[192:193], v[200:201]
	buffer_load_dword v188, off, s[0:3], 0 offset:792
	v_fma_f64 v[16:17], v[190:191], v[66:67], -v[16:17]
	buffer_load_dword v190, off, s[0:3], 0 offset:784
	buffer_load_dword v189, off, s[0:3], 0 offset:796
	;; [unrolled: 1-line block ×3, first 2 shown]
	v_fma_f64 v[10:11], v[186:187], v[72:73], -v[52:53]
	v_mul_f64 v[52:53], v[196:197], v[68:69]
	v_fma_f64 v[8:9], v[194:195], v[116:117], -v[52:53]
	buffer_load_dword v187, off, s[0:3], 0 offset:828
	buffer_load_dword v193, off, s[0:3], 0 offset:812
	;; [unrolled: 1-line block ×12, first 2 shown]
	v_mul_f64 v[20:21], v[48:49], v[80:81]
	v_accvgpr_write_b32 a208, v212
	v_fma_f64 v[20:21], v[46:47], v[82:83], -v[20:21]
	v_mul_f64 v[46:47], v[204:205], v[206:207]
	s_waitcnt lgkmcnt(1)
	v_mul_f64 v[12:13], v[42:43], v[212:213]
	v_accvgpr_write_b32 a209, v213
	v_fma_f64 v[6:7], v[202:203], v[208:209], -v[46:47]
	buffer_load_dword v204, off, s[0:3], 0 offset:856
	buffer_load_dword v206, off, s[0:3], 0 offset:848
	;; [unrolled: 1-line block ×12, first 2 shown]
	v_fmac_f64_e32 v[12:13], v[44:45], v[34:35]
	v_add_f64 v[4:5], v[4:5], v[12:13]
	v_mul_f64 v[12:13], v[216:217], v[84:85]
	v_fma_f64 v[12:13], v[214:215], v[86:87], -v[12:13]
	buffer_load_dword v215, off, s[0:3], 0 offset:908
	buffer_load_dword v214, off, s[0:3], 0 offset:904
	;; [unrolled: 1-line block ×4, first 2 shown]
	ds_read_b128 v[46:49], v1 offset:1632
	v_mul_f64 v[58:59], v[224:225], v[250:251]
	v_mul_f64 v[62:63], v[228:229], v[62:63]
	v_fma_f64 v[250:251], v[226:227], v[64:65], -v[62:63]
	ds_read_b128 v[62:65], v1 offset:1696
	v_mul_f64 v[70:71], v[232:233], v[100:101]
	v_add_f64 v[26:27], v[26:27], 0
	v_add_f64 v[26:27], v[26:27], v[108:109]
	;; [unrolled: 1-line block ×13, first 2 shown]
	s_waitcnt vmcnt(57) lgkmcnt(2)
	v_mul_f64 v[24:25], v[38:39], v[162:163]
	s_waitcnt vmcnt(55)
	v_fmac_f64_e32 v[24:25], v[40:41], v[164:165]
	v_add_f64 v[4:5], v[4:5], v[24:25]
	v_mul_f64 v[24:25], v[220:221], v[254:255]
	v_fma_f64 v[24:25], v[218:219], v[50:51], -v[24:25]
	ds_read_b128 v[50:53], v1 offset:1648
	s_waitcnt vmcnt(53) lgkmcnt(2)
	v_mul_f64 v[54:55], v[46:47], v[158:159]
	s_waitcnt vmcnt(52)
	v_fmac_f64_e32 v[54:55], v[48:49], v[166:167]
	v_add_f64 v[4:5], v[4:5], v[54:55]
	ds_read_b128 v[54:57], v1 offset:1664
	v_fma_f64 v[254:255], v[222:223], v[252:253], -v[58:59]
	ds_read_b128 v[58:61], v1 offset:1680
	s_waitcnt vmcnt(48) lgkmcnt(2)
	v_mul_f64 v[66:67], v[50:51], v[174:175]
	s_waitcnt vmcnt(46)
	v_fmac_f64_e32 v[66:67], v[52:53], v[176:177]
	v_add_f64 v[4:5], v[4:5], v[66:67]
	s_waitcnt lgkmcnt(1)
	v_mul_f64 v[66:67], v[54:55], v[160:161]
	s_waitcnt vmcnt(44)
	v_fmac_f64_e32 v[66:67], v[56:57], v[172:173]
	v_add_f64 v[4:5], v[4:5], v[66:67]
	s_waitcnt vmcnt(40) lgkmcnt(0)
	v_mul_f64 v[66:67], v[58:59], v[178:179]
	s_waitcnt vmcnt(38)
	v_fmac_f64_e32 v[66:67], v[60:61], v[180:181]
	v_add_f64 v[4:5], v[4:5], v[66:67]
	v_fma_f64 v[252:253], v[230:231], v[102:103], -v[70:71]
	ds_read_b128 v[70:73], v1 offset:1728
	s_waitcnt vmcnt(37)
	v_mul_f64 v[66:67], v[62:63], v[168:169]
	s_waitcnt vmcnt(36)
	v_fmac_f64_e32 v[66:67], v[64:65], v[170:171]
	v_add_f64 v[4:5], v[4:5], v[66:67]
	ds_read_b128 v[66:69], v1 offset:1712
	s_waitcnt vmcnt(29) lgkmcnt(1)
	v_mul_f64 v[82:83], v[70:71], v[188:189]
	s_waitcnt vmcnt(28)
	v_fmac_f64_e32 v[82:83], v[72:73], v[190:191]
	v_add_f64 v[6:7], v[6:7], v[24:25]
	v_add_f64 v[6:7], v[6:7], v[254:255]
	s_waitcnt lgkmcnt(0)
	v_mul_f64 v[74:75], v[66:67], v[182:183]
	v_fmac_f64_e32 v[74:75], v[68:69], v[184:185]
	v_add_f64 v[4:5], v[4:5], v[74:75]
	v_mul_f64 v[74:75], v[236:237], v[104:105]
	v_fma_f64 v[236:237], v[234:235], v[106:107], -v[74:75]
	ds_read_b128 v[74:77], v1 offset:1744
	ds_read_b128 v[232:235], v1 offset:1760
	v_add_f64 v[4:5], v[4:5], v[82:83]
	v_mul_f64 v[82:83], v[240:241], v[88:89]
	v_fma_f64 v[2:3], v[238:239], v[92:93], -v[82:83]
	ds_read_b128 v[82:85], v1 offset:1776
	s_waitcnt vmcnt(25) lgkmcnt(2)
	v_mul_f64 v[28:29], v[74:75], v[192:193]
	s_waitcnt vmcnt(23)
	v_fmac_f64_e32 v[28:29], v[76:77], v[198:199]
	v_add_f64 v[4:5], v[4:5], v[28:29]
	s_waitcnt vmcnt(22) lgkmcnt(1)
	v_mul_f64 v[28:29], v[232:233], v[186:187]
	s_waitcnt vmcnt(20)
	v_fmac_f64_e32 v[28:29], v[234:235], v[196:197]
	v_add_f64 v[28:29], v[4:5], v[28:29]
	v_mul_f64 v[4:5], v[244:245], v[90:91]
	ds_read_b128 v[90:93], v1 offset:1792
	s_waitcnt vmcnt(18) lgkmcnt(1)
	v_mul_f64 v[86:87], v[82:83], v[194:195]
	s_waitcnt vmcnt(16)
	v_fmac_f64_e32 v[86:87], v[84:85], v[200:201]
	v_add_f64 v[28:29], v[28:29], v[86:87]
	ds_read_b128 v[86:89], v1 offset:1808
	v_fma_f64 v[106:107], v[246:247], v[96:97], -v[94:95]
	ds_read_b128 v[94:97], v1 offset:1824
	v_fma_f64 v[4:5], v[242:243], v[98:99], -v[4:5]
	s_waitcnt vmcnt(13) lgkmcnt(2)
	v_mul_f64 v[98:99], v[90:91], v[204:205]
	s_waitcnt vmcnt(12)
	v_fmac_f64_e32 v[98:99], v[92:93], v[206:207]
	v_add_f64 v[28:29], v[28:29], v[98:99]
	s_waitcnt vmcnt(9) lgkmcnt(1)
	v_mul_f64 v[98:99], v[86:87], v[80:81]
	s_waitcnt vmcnt(7)
	v_fmac_f64_e32 v[98:99], v[88:89], v[212:213]
	v_add_f64 v[28:29], v[28:29], v[98:99]
	s_waitcnt vmcnt(5) lgkmcnt(0)
	v_mul_f64 v[98:99], v[94:95], v[202:203]
	s_waitcnt vmcnt(4)
	v_fmac_f64_e32 v[98:99], v[96:97], v[208:209]
	v_add_f64 v[28:29], v[28:29], v[98:99]
	ds_read_b128 v[98:101], v1 offset:1840
	buffer_load_dword v218, off, s[0:3], 0 offset:920
	buffer_load_dword v219, off, s[0:3], 0 offset:924
	;; [unrolled: 1-line block ×4, first 2 shown]
	v_add_f64 v[6:7], v[6:7], v[250:251]
	v_add_f64 v[6:7], v[6:7], v[252:253]
	;; [unrolled: 1-line block ×3, first 2 shown]
	s_waitcnt vmcnt(6) lgkmcnt(0)
	v_mul_f64 v[102:103], v[98:99], v[214:215]
	s_waitcnt vmcnt(4)
	v_fmac_f64_e32 v[102:103], v[100:101], v[216:217]
	v_add_f64 v[28:29], v[28:29], v[102:103]
	ds_read_b128 v[102:105], v1 offset:1856
	buffer_load_dword v223, off, s[0:3], 0 offset:940
	buffer_load_dword v222, off, s[0:3], 0 offset:936
	;; [unrolled: 1-line block ×4, first 2 shown]
	ds_read_b128 v[228:231], v1 offset:1872
	buffer_load_dword v226, off, s[0:3], 0 offset:952
	buffer_load_dword v227, off, s[0:3], 0 offset:956
	;; [unrolled: 1-line block ×4, first 2 shown]
	v_add_f64 v[254:255], v[6:7], v[2:3]
	v_add_f64 v[2:3], v[254:255], v[4:5]
	;; [unrolled: 1-line block ×3, first 2 shown]
	s_waitcnt vmcnt(10) lgkmcnt(1)
	v_mul_f64 v[110:111], v[102:103], v[218:219]
	s_waitcnt vmcnt(8)
	v_fmac_f64_e32 v[110:111], v[104:105], v[220:221]
	v_add_f64 v[28:29], v[28:29], v[110:111]
	s_waitcnt vmcnt(6) lgkmcnt(0)
	v_mul_f64 v[110:111], v[228:229], v[222:223]
	s_waitcnt vmcnt(4)
	v_fmac_f64_e32 v[110:111], v[230:231], v[224:225]
	v_add_f64 v[28:29], v[28:29], v[110:111]
	ds_read_b128 v[110:113], v1 offset:1888
	buffer_load_dword v243, off, s[0:3], 0 offset:972
	buffer_load_dword v242, off, s[0:3], 0 offset:968
	buffer_load_dword v245, off, s[0:3], 0 offset:964
	buffer_load_dword v244, off, s[0:3], 0 offset:960
	s_waitcnt vmcnt(6) lgkmcnt(0)
	v_mul_f64 v[114:115], v[110:111], v[226:227]
	s_waitcnt vmcnt(4)
	v_fmac_f64_e32 v[114:115], v[112:113], v[238:239]
	v_add_f64 v[28:29], v[28:29], v[114:115]
	ds_read_b128 v[114:117], v1 offset:1904
	buffer_load_dword v248, off, s[0:3], 0 offset:160
	buffer_load_dword v249, off, s[0:3], 0 offset:164
	;; [unrolled: 1-line block ×4, first 2 shown]
	v_accvgpr_read_b32 v0, a182
	v_accvgpr_read_b32 v1, a183
	v_mul_f64 v[4:5], v[148:149], v[0:1]
	v_accvgpr_read_b32 v0, a184
	v_accvgpr_read_b32 v1, a185
	v_fma_f64 v[4:5], v[146:147], v[0:1], -v[4:5]
	v_accvgpr_read_b32 v0, a186
	v_accvgpr_read_b32 v1, a187
	v_add_f64 v[2:3], v[2:3], v[4:5]
	v_mul_f64 v[4:5], v[144:145], v[0:1]
	v_accvgpr_read_b32 v0, a188
	v_accvgpr_read_b32 v1, a189
	v_fma_f64 v[4:5], v[142:143], v[0:1], -v[4:5]
	v_accvgpr_read_b32 v0, a190
	v_accvgpr_read_b32 v1, a191
	v_add_f64 v[2:3], v[2:3], v[4:5]
	;; [unrolled: 7-line block ×5, first 2 shown]
	v_mul_f64 v[4:5], v[128:129], v[0:1]
	v_accvgpr_read_b32 v0, a204
	v_accvgpr_read_b32 v1, a205
	v_fma_f64 v[4:5], v[126:127], v[0:1], -v[4:5]
	v_add_f64 v[2:3], v[2:3], v[4:5]
	v_mul_f64 v[4:5], v[124:125], v[150:151]
	v_fma_f64 v[4:5], v[122:123], v[152:153], -v[4:5]
	v_accvgpr_read_b32 v0, a206
	v_add_f64 v[2:3], v[2:3], v[4:5]
	v_mul_f64 v[4:5], v[120:121], v[36:37]
	v_accvgpr_read_b32 v1, a207
	v_fma_f64 v[4:5], v[118:119], v[0:1], -v[4:5]
	v_add_f64 v[2:3], v[2:3], v[4:5]
	v_mul_f64 v[4:5], v[32:33], v[154:155]
	v_accvgpr_read_b32 v0, a208
	v_fma_f64 v[4:5], v[30:31], v[156:157], -v[4:5]
	v_accvgpr_read_b32 v1, a209
	v_add_f64 v[2:3], v[2:3], v[4:5]
	v_mul_f64 v[4:5], v[44:45], v[0:1]
	v_fma_f64 v[4:5], v[42:43], v[34:35], -v[4:5]
	v_add_f64 v[2:3], v[2:3], v[4:5]
	v_mul_f64 v[4:5], v[40:41], v[162:163]
	v_fma_f64 v[4:5], v[38:39], v[164:165], -v[4:5]
	;; [unrolled: 3-line block ×19, first 2 shown]
	v_add_f64 v[2:3], v[2:3], v[4:5]
	s_waitcnt vmcnt(6) lgkmcnt(0)
	v_mul_f64 v[4:5], v[116:117], v[242:243]
	v_mul_f64 v[240:241], v[114:115], v[242:243]
	s_waitcnt vmcnt(4)
	v_fma_f64 v[4:5], v[114:115], v[244:245], -v[4:5]
	v_fmac_f64_e32 v[240:241], v[116:117], v[244:245]
	v_add_f64 v[2:3], v[2:3], v[4:5]
	v_accvgpr_read_b32 v0, a179
	v_add_f64 v[240:241], v[28:29], v[240:241]
	s_waitcnt vmcnt(2)
	v_add_f64 v[2:3], v[248:249], -v[2:3]
	v_cmp_lt_u32_e32 vcc, 8, v0
	s_waitcnt vmcnt(0)
	v_add_f64 v[4:5], v[246:247], -v[240:241]
	buffer_store_dword v3, off, s[0:3], 0 offset:164
	buffer_store_dword v2, off, s[0:3], 0 offset:160
	;; [unrolled: 1-line block ×4, first 2 shown]
	s_and_saveexec_b64 s[4:5], vcc
	s_cbranch_execz .LBB123_357
; %bb.356:
	v_accvgpr_read_b32 v0, a171
	buffer_load_dword v2, v0, s[0:3], 0 offen
	buffer_load_dword v3, v0, s[0:3], 0 offen offset:4
	buffer_load_dword v4, v0, s[0:3], 0 offen offset:8
	buffer_load_dword v5, v0, s[0:3], 0 offen offset:12
	v_mov_b32_e32 v0, 0
	v_accvgpr_read_b32 v1, a180
	buffer_store_dword v0, off, s[0:3], 0 offset:144
	buffer_store_dword v0, off, s[0:3], 0 offset:148
	;; [unrolled: 1-line block ×4, first 2 shown]
	s_waitcnt vmcnt(4)
	ds_write_b128 v1, v[2:5]
.LBB123_357:
	s_or_b64 exec, exec, s[4:5]
	v_mov_b32_e32 v142, 0
	s_waitcnt lgkmcnt(0)
	; wave barrier
	s_waitcnt lgkmcnt(0)
	buffer_load_dword v30, off, s[0:3], 0 offset:160
	buffer_load_dword v31, off, s[0:3], 0 offset:164
	;; [unrolled: 1-line block ×54, first 2 shown]
	ds_read_b128 v[114:117], v142 offset:1104
	ds_read_b128 v[156:159], v142 offset:1120
	;; [unrolled: 1-line block ×9, first 2 shown]
	buffer_load_dword v109, off, s[0:3], 0 offset:388
	buffer_load_dword v108, off, s[0:3], 0 offset:384
	;; [unrolled: 1-line block ×32, first 2 shown]
	s_waitcnt vmcnt(62) lgkmcnt(8)
	v_mul_f64 v[2:3], v[114:115], v[32:33]
	v_fmac_f64_e32 v[2:3], v[116:117], v[30:31]
	v_add_f64 v[2:3], v[2:3], 0
	v_mul_f64 v[32:33], v[116:117], v[32:33]
	s_waitcnt lgkmcnt(7)
	v_mul_f64 v[4:5], v[156:157], v[38:39]
	v_fmac_f64_e32 v[4:5], v[158:159], v[36:37]
	s_waitcnt lgkmcnt(6)
	v_mul_f64 v[6:7], v[166:167], v[34:35]
	v_add_f64 v[2:3], v[2:3], v[4:5]
	s_waitcnt lgkmcnt(4)
	v_mul_f64 v[10:11], v[174:175], v[40:41]
	v_fma_f64 v[254:255], v[114:115], v[30:31], -v[32:33]
	v_fmac_f64_e32 v[10:11], v[176:177], v[42:43]
	v_mul_f64 v[38:39], v[158:159], v[38:39]
	v_mul_f64 v[8:9], v[170:171], v[44:45]
	s_waitcnt lgkmcnt(2)
	v_mul_f64 v[14:15], v[182:183], v[48:49]
	v_fmac_f64_e32 v[14:15], v[184:185], v[50:51]
	v_mul_f64 v[12:13], v[178:179], v[56:57]
	s_waitcnt lgkmcnt(1)
	v_mul_f64 v[16:17], v[186:187], v[52:53]
	s_waitcnt vmcnt(60)
	v_fmac_f64_e32 v[6:7], v[168:169], v[62:63]
	v_add_f64 v[2:3], v[2:3], v[6:7]
	s_waitcnt vmcnt(58)
	v_fmac_f64_e32 v[8:9], v[172:173], v[60:61]
	v_add_f64 v[2:3], v[2:3], v[8:9]
	;; [unrolled: 3-line block ×3, first 2 shown]
	v_add_f64 v[2:3], v[2:3], v[12:13]
	v_add_f64 v[2:3], v[2:3], v[14:15]
	s_waitcnt vmcnt(54)
	v_fmac_f64_e32 v[16:17], v[188:189], v[54:55]
	v_add_f64 v[2:3], v[2:3], v[16:17]
	s_waitcnt vmcnt(50) lgkmcnt(0)
	v_mul_f64 v[4:5], v[190:191], v[46:47]
	v_fmac_f64_e32 v[4:5], v[192:193], v[64:65]
	v_add_f64 v[2:3], v[2:3], v[4:5]
	s_waitcnt vmcnt(0)
	v_pk_mov_b32 v[14:15], v[0:1], v[0:1] op_sel:[0,1]
	buffer_load_dword v1, off, s[0:3], 0 offset:516
	buffer_load_dword v0, off, s[0:3], 0 offset:512
	v_accvgpr_write_b32 a183, v15
	v_accvgpr_write_b32 a182, v14
	s_waitcnt vmcnt(0)
	v_pk_mov_b32 v[18:19], v[0:1], v[0:1] op_sel:[0,1]
	buffer_load_dword v95, off, s[0:3], 0 offset:508
	buffer_load_dword v94, off, s[0:3], 0 offset:504
	;; [unrolled: 1-line block ×6, first 2 shown]
	v_accvgpr_write_b32 a185, v19
	v_accvgpr_write_b32 a184, v18
	s_waitcnt vmcnt(0)
	v_pk_mov_b32 v[22:23], v[0:1], v[0:1] op_sel:[0,1]
	buffer_load_dword v1, off, s[0:3], 0 offset:548
	buffer_load_dword v0, off, s[0:3], 0 offset:544
	v_accvgpr_write_b32 a191, v23
	v_accvgpr_write_b32 a190, v22
	s_waitcnt vmcnt(0)
	v_pk_mov_b32 v[24:25], v[0:1], v[0:1] op_sel:[0,1]
	buffer_load_dword v1, off, s[0:3], 0 offset:540
	buffer_load_dword v0, off, s[0:3], 0 offset:536
	;; [unrolled: 6-line block ×11, first 2 shown]
	ds_read_b128 v[194:197], v142 offset:1248
	ds_read_b128 v[198:201], v142 offset:1264
	;; [unrolled: 1-line block ×8, first 2 shown]
	s_waitcnt lgkmcnt(7)
	v_mul_f64 v[4:5], v[194:195], v[70:71]
	v_fmac_f64_e32 v[4:5], v[196:197], v[72:73]
	v_add_f64 v[2:3], v[2:3], v[4:5]
	s_waitcnt lgkmcnt(6)
	v_mul_f64 v[4:5], v[198:199], v[66:67]
	v_fmac_f64_e32 v[4:5], v[200:201], v[68:69]
	v_add_f64 v[2:3], v[2:3], v[4:5]
	;; [unrolled: 4-line block ×8, first 2 shown]
	v_accvgpr_write_b32 a203, v155
	v_accvgpr_write_b32 a202, v154
	s_waitcnt vmcnt(0)
	v_pk_mov_b32 v[164:165], v[0:1], v[0:1] op_sel:[0,1]
	buffer_load_dword v1, off, s[0:3], 0 offset:652
	buffer_load_dword v153, off, s[0:3], 0 offset:636
	;; [unrolled: 1-line block ×8, first 2 shown]
	ds_read_b128 v[230:233], v142 offset:1376
	ds_read_b128 v[234:237], v142 offset:1392
	;; [unrolled: 1-line block ×6, first 2 shown]
	s_waitcnt lgkmcnt(5)
	v_mul_f64 v[4:5], v[230:231], v[102:103]
	v_fmac_f64_e32 v[4:5], v[232:233], v[106:107]
	v_add_f64 v[2:3], v[2:3], v[4:5]
	s_waitcnt lgkmcnt(4)
	v_mul_f64 v[4:5], v[234:235], v[78:79]
	v_fmac_f64_e32 v[4:5], v[236:237], v[80:81]
	v_add_f64 v[2:3], v[2:3], v[4:5]
	s_waitcnt lgkmcnt(3)
	v_mul_f64 v[4:5], v[238:239], v[82:83]
	ds_read_b128 v[134:137], v142 offset:1472
	ds_read_b128 v[130:133], v142 offset:1488
	v_fmac_f64_e32 v[4:5], v[240:241], v[84:85]
	v_add_f64 v[2:3], v[2:3], v[4:5]
	s_waitcnt lgkmcnt(4)
	v_mul_f64 v[4:5], v[242:243], v[86:87]
	ds_read_b128 v[126:129], v142 offset:1504
	ds_read_b128 v[122:125], v142 offset:1520
	v_fmac_f64_e32 v[4:5], v[244:245], v[88:89]
	s_waitcnt lgkmcnt(5)
	v_mul_f64 v[8:9], v[246:247], v[94:95]
	v_add_f64 v[6:7], v[2:3], v[4:5]
	v_fmac_f64_e32 v[8:9], v[248:249], v[96:97]
	s_waitcnt lgkmcnt(4)
	v_mul_f64 v[12:13], v[144:145], v[14:15]
	v_add_f64 v[10:11], v[6:7], v[8:9]
	;; [unrolled: 4-line block ×5, first 2 shown]
	v_fmac_f64_e32 v[28:29], v[128:129], v[140:141]
	ds_read_b128 v[138:141], v142 offset:1536
	v_add_f64 v[26:27], v[26:27], v[28:29]
	s_waitcnt lgkmcnt(1)
	v_mul_f64 v[28:29], v[122:123], v[118:119]
	v_fmac_f64_e32 v[28:29], v[124:125], v[120:121]
	ds_read_b128 v[118:121], v142 offset:1552
	v_add_f64 v[26:27], v[26:27], v[28:29]
	s_waitcnt lgkmcnt(1)
	v_mul_f64 v[28:29], v[138:139], v[154:155]
	v_fmac_f64_e32 v[28:29], v[140:141], v[164:165]
	v_accvgpr_write_b32 a205, v165
	s_waitcnt lgkmcnt(0)
	v_mul_f64 v[114:115], v[118:119], v[160:161]
	v_add_f64 v[154:155], v[26:27], v[28:29]
	v_fmac_f64_e32 v[114:115], v[120:121], v[162:163]
	v_accvgpr_write_b32 a204, v164
	ds_read_b128 v[30:33], v142 offset:1568
	v_add_f64 v[114:115], v[154:155], v[114:115]
	buffer_load_dword v155, off, s[0:3], 0 offset:684
	buffer_load_dword v154, off, s[0:3], 0 offset:680
	v_fma_f64 v[26:27], v[156:157], v[36:37], -v[38:39]
	buffer_load_dword v157, off, s[0:3], 0 offset:676
	buffer_load_dword v156, off, s[0:3], 0 offset:672
	;; [unrolled: 1-line block ×6, first 2 shown]
	v_mul_f64 v[4:5], v[168:169], v[34:35]
	v_fma_f64 v[24:25], v[166:167], v[62:63], -v[4:5]
	buffer_load_dword v158, off, s[0:3], 0 offset:712
	buffer_load_dword v163, off, s[0:3], 0 offset:700
	;; [unrolled: 1-line block ×5, first 2 shown]
	v_mul_f64 v[34:35], v[172:173], v[44:45]
	v_fma_f64 v[116:117], v[170:171], v[60:61], -v[34:35]
	ds_read_b128 v[34:37], v142 offset:1584
	buffer_load_dword v168, off, s[0:3], 0 offset:704
	buffer_load_dword v159, off, s[0:3], 0 offset:716
	;; [unrolled: 1-line block ×3, first 2 shown]
	v_mul_f64 v[8:9], v[184:185], v[48:49]
	v_fma_f64 v[18:19], v[182:183], v[50:51], -v[8:9]
	v_mul_f64 v[12:13], v[192:193], v[46:47]
	v_fma_f64 v[12:13], v[190:191], v[64:65], -v[12:13]
	;; [unrolled: 2-line block ×6, first 2 shown]
	s_waitcnt vmcnt(21) lgkmcnt(1)
	v_mul_f64 v[38:39], v[30:31], v[152:153]
	v_mul_f64 v[82:83], v[240:241], v[82:83]
	s_waitcnt vmcnt(19)
	v_fmac_f64_e32 v[38:39], v[32:33], v[150:151]
	s_waitcnt vmcnt(18) lgkmcnt(0)
	v_mul_f64 v[44:45], v[34:35], v[0:1]
	v_add_f64 v[38:39], v[114:115], v[38:39]
	s_waitcnt vmcnt(16)
	v_fmac_f64_e32 v[44:45], v[36:37], v[148:149]
	v_add_f64 v[60:61], v[38:39], v[44:45]
	v_mul_f64 v[38:39], v[176:177], v[40:41]
	v_fma_f64 v[114:115], v[174:175], v[42:43], -v[38:39]
	buffer_load_dword v171, off, s[0:3], 0 offset:748
	buffer_load_dword v173, off, s[0:3], 0 offset:732
	;; [unrolled: 1-line block ×8, first 2 shown]
	v_mul_f64 v[38:39], v[180:181], v[56:57]
	v_fma_f64 v[22:23], v[178:179], v[58:59], -v[38:39]
	ds_read_b128 v[38:41], v142 offset:1600
	buffer_load_dword v179, off, s[0:3], 0 offset:764
	buffer_load_dword v178, off, s[0:3], 0 offset:760
	;; [unrolled: 1-line block ×4, first 2 shown]
	v_mul_f64 v[42:43], v[188:189], v[52:53]
	v_fma_f64 v[14:15], v[186:187], v[54:55], -v[42:43]
	buffer_load_dword v183, off, s[0:3], 0 offset:780
	buffer_load_dword v182, off, s[0:3], 0 offset:776
	;; [unrolled: 1-line block ×9, first 2 shown]
	v_mul_f64 v[42:43], v[196:197], v[70:71]
	buffer_load_dword v192, off, s[0:3], 0 offset:800
	buffer_load_dword v191, off, s[0:3], 0 offset:812
	;; [unrolled: 1-line block ×3, first 2 shown]
	v_fma_f64 v[10:11], v[194:195], v[72:73], -v[42:43]
	buffer_load_dword v195, off, s[0:3], 0 offset:828
	buffer_load_dword v194, off, s[0:3], 0 offset:824
	;; [unrolled: 1-line block ×4, first 2 shown]
	v_mul_f64 v[42:43], v[204:205], v[100:101]
	v_fma_f64 v[100:101], v[202:203], v[104:105], -v[42:43]
	buffer_load_dword v201, off, s[0:3], 0 offset:844
	buffer_load_dword v200, off, s[0:3], 0 offset:840
	;; [unrolled: 1-line block ×4, first 2 shown]
	v_mul_f64 v[42:43], v[208:209], v[92:93]
	v_fma_f64 v[8:9], v[206:207], v[76:77], -v[42:43]
	buffer_load_dword v199, off, s[0:3], 0 offset:876
	buffer_load_dword v205, off, s[0:3], 0 offset:860
	;; [unrolled: 1-line block ×12, first 2 shown]
	ds_read_b128 v[42:45], v142 offset:1616
	ds_read_b128 v[46:49], v142 offset:1632
	v_mul_f64 v[54:55], v[220:221], v[74:75]
	v_fma_f64 v[250:251], v[218:219], v[108:109], -v[54:55]
	ds_read_b128 v[54:57], v142 offset:1664
	v_mul_f64 v[58:59], v[224:225], v[110:111]
	v_fma_f64 v[214:215], v[222:223], v[112:113], -v[58:59]
	;; [unrolled: 3-line block ×3, first 2 shown]
	v_fma_f64 v[2:3], v[238:239], v[84:85], -v[82:83]
	ds_read_b128 v[82:85], v142 offset:1776
	buffer_load_dword v236, off, s[0:3], 0 offset:904
	ds_read_b128 v[70:73], v142 offset:1728
	ds_read_b128 v[78:81], v142 offset:1760
	s_waitcnt vmcnt(55) lgkmcnt(7)
	v_mul_f64 v[20:21], v[38:39], v[160:161]
	s_waitcnt lgkmcnt(6)
	v_mul_f64 v[50:51], v[42:43], v[154:155]
	s_waitcnt vmcnt(53)
	v_fmac_f64_e32 v[20:21], v[40:41], v[164:165]
	v_add_f64 v[20:21], v[60:61], v[20:21]
	v_fmac_f64_e32 v[50:51], v[44:45], v[156:157]
	v_add_f64 v[20:21], v[20:21], v[50:51]
	s_waitcnt vmcnt(50) lgkmcnt(5)
	v_mul_f64 v[50:51], v[46:47], v[162:163]
	s_waitcnt vmcnt(48)
	v_fmac_f64_e32 v[50:51], v[48:49], v[166:167]
	v_add_f64 v[20:21], v[20:21], v[50:51]
	ds_read_b128 v[50:53], v142 offset:1648
	ds_read_b128 v[58:61], v142 offset:1680
	s_waitcnt vmcnt(46) lgkmcnt(1)
	v_mul_f64 v[62:63], v[50:51], v[158:159]
	s_waitcnt vmcnt(45)
	v_fmac_f64_e32 v[62:63], v[52:53], v[168:169]
	v_add_f64 v[20:21], v[20:21], v[62:63]
	s_waitcnt vmcnt(42)
	v_mul_f64 v[62:63], v[54:55], v[172:173]
	s_waitcnt vmcnt(40)
	v_fmac_f64_e32 v[62:63], v[56:57], v[176:177]
	v_add_f64 v[20:21], v[20:21], v[62:63]
	s_waitcnt vmcnt(39) lgkmcnt(0)
	v_mul_f64 v[62:63], v[58:59], v[170:171]
	s_waitcnt vmcnt(37)
	v_fmac_f64_e32 v[62:63], v[60:61], v[174:175]
	v_add_f64 v[20:21], v[20:21], v[62:63]
	ds_read_b128 v[62:65], v142 offset:1696
	s_waitcnt vmcnt(35) lgkmcnt(0)
	v_mul_f64 v[74:75], v[62:63], v[178:179]
	s_waitcnt vmcnt(33)
	v_fmac_f64_e32 v[74:75], v[64:65], v[180:181]
	v_add_f64 v[20:21], v[20:21], v[74:75]
	s_waitcnt vmcnt(31)
	v_mul_f64 v[74:75], v[66:67], v[182:183]
	s_waitcnt vmcnt(29)
	v_fmac_f64_e32 v[74:75], v[68:69], v[186:187]
	v_add_f64 v[20:21], v[20:21], v[74:75]
	s_waitcnt vmcnt(27)
	v_mul_f64 v[74:75], v[70:71], v[184:185]
	s_waitcnt vmcnt(25)
	v_fmac_f64_e32 v[74:75], v[72:73], v[188:189]
	v_add_f64 v[20:21], v[20:21], v[74:75]
	ds_read_b128 v[74:77], v142 offset:1744
	s_waitcnt vmcnt(19)
	v_mul_f64 v[28:29], v[78:79], v[194:195]
	s_waitcnt vmcnt(17)
	v_fmac_f64_e32 v[28:29], v[80:81], v[196:197]
	s_waitcnt lgkmcnt(0)
	v_mul_f64 v[90:91], v[74:75], v[190:191]
	v_fmac_f64_e32 v[90:91], v[76:77], v[192:193]
	v_add_f64 v[20:21], v[20:21], v[90:91]
	v_add_f64 v[20:21], v[20:21], v[28:29]
	v_mul_f64 v[28:29], v[244:245], v[86:87]
	v_fma_f64 v[28:29], v[242:243], v[88:89], -v[28:29]
	ds_read_b128 v[86:89], v142 offset:1792
	s_waitcnt vmcnt(15)
	v_mul_f64 v[90:91], v[82:83], v[200:201]
	s_waitcnt vmcnt(13)
	v_fmac_f64_e32 v[90:91], v[84:85], v[202:203]
	v_add_f64 v[102:103], v[20:21], v[90:91]
	v_mul_f64 v[20:21], v[248:249], v[94:95]
	ds_read_b128 v[90:93], v142 offset:1808
	v_fma_f64 v[20:21], v[246:247], v[96:97], -v[20:21]
	ds_read_b128 v[94:97], v142 offset:1824
	buffer_load_dword v216, off, s[0:3], 0 offset:896
	buffer_load_dword v237, off, s[0:3], 0 offset:908
	;; [unrolled: 1-line block ×3, first 2 shown]
	s_waitcnt vmcnt(13) lgkmcnt(2)
	v_mul_f64 v[104:105], v[86:87], v[204:205]
	s_waitcnt vmcnt(11)
	v_fmac_f64_e32 v[104:105], v[88:89], v[210:211]
	ds_read_b128 v[232:235], v142 offset:1840
	buffer_load_dword v219, off, s[0:3], 0 offset:924
	buffer_load_dword v218, off, s[0:3], 0 offset:920
	;; [unrolled: 1-line block ×4, first 2 shown]
	v_add_f64 v[102:103], v[102:103], v[104:105]
	s_waitcnt vmcnt(14) lgkmcnt(2)
	v_mul_f64 v[104:105], v[90:91], v[198:199]
	s_waitcnt vmcnt(12)
	v_fmac_f64_e32 v[104:105], v[92:93], v[208:209]
	v_add_f64 v[102:103], v[102:103], v[104:105]
	s_waitcnt vmcnt(10) lgkmcnt(1)
	v_mul_f64 v[104:105], v[94:95], v[206:207]
	s_waitcnt vmcnt(8)
	v_fmac_f64_e32 v[104:105], v[96:97], v[212:213]
	;; [unrolled: 5-line block ×3, first 2 shown]
	v_add_f64 v[106:107], v[102:103], v[104:105]
	ds_read_b128 v[102:105], v142 offset:1856
	buffer_load_dword v222, off, s[0:3], 0 offset:936
	buffer_load_dword v223, off, s[0:3], 0 offset:940
	buffer_load_dword v224, off, s[0:3], 0 offset:928
	buffer_load_dword v225, off, s[0:3], 0 offset:932
	s_waitcnt vmcnt(6) lgkmcnt(0)
	v_mul_f64 v[108:109], v[102:103], v[218:219]
	s_waitcnt vmcnt(4)
	v_fmac_f64_e32 v[108:109], v[104:105], v[220:221]
	v_add_f64 v[110:111], v[106:107], v[108:109]
	ds_read_b128 v[106:109], v142 offset:1872
	buffer_load_dword v227, off, s[0:3], 0 offset:956
	buffer_load_dword v226, off, s[0:3], 0 offset:952
	buffer_load_dword v239, off, s[0:3], 0 offset:948
	buffer_load_dword v238, off, s[0:3], 0 offset:944
	s_waitcnt vmcnt(6) lgkmcnt(0)
	v_mul_f64 v[112:113], v[106:107], v[222:223]
	s_waitcnt vmcnt(4)
	v_fmac_f64_e32 v[112:113], v[108:109], v[224:225]
	;; [unrolled: 10-line block ×3, first 2 shown]
	v_add_f64 v[240:241], v[228:229], v[230:231]
	ds_read_b128 v[228:231], v142 offset:1904
	buffer_load_dword v248, off, s[0:3], 0 offset:144
	buffer_load_dword v249, off, s[0:3], 0 offset:148
	s_waitcnt vmcnt(4) lgkmcnt(0)
	v_mul_f64 v[246:247], v[228:229], v[242:243]
	s_waitcnt vmcnt(2)
	v_fmac_f64_e32 v[246:247], v[230:231], v[244:245]
	v_add_f64 v[240:241], v[240:241], v[246:247]
	v_add_f64 v[246:247], v[254:255], 0
	;; [unrolled: 1-line block ×15, first 2 shown]
	buffer_load_dword v246, off, s[0:3], 0 offset:152
	buffer_load_dword v247, off, s[0:3], 0 offset:156
	v_add_f64 v[8:9], v[8:9], v[250:251]
	v_add_f64 v[8:9], v[8:9], v[214:215]
	;; [unrolled: 1-line block ×6, first 2 shown]
	v_accvgpr_read_b32 v4, a182
	v_accvgpr_read_b32 v5, a183
	;; [unrolled: 1-line block ×3, first 2 shown]
	v_add_f64 v[252:253], v[2:3], v[28:29]
	v_mul_f64 v[4:5], v[146:147], v[4:5]
	v_accvgpr_read_b32 v7, a185
	v_add_f64 v[2:3], v[252:253], v[20:21]
	v_fma_f64 v[4:5], v[144:145], v[6:7], -v[4:5]
	v_add_f64 v[2:3], v[2:3], v[4:5]
	v_accvgpr_read_b32 v4, a186
	v_accvgpr_read_b32 v5, a187
	v_accvgpr_read_b32 v6, a188
	v_mul_f64 v[4:5], v[136:137], v[4:5]
	v_accvgpr_read_b32 v7, a189
	v_fma_f64 v[4:5], v[134:135], v[6:7], -v[4:5]
	v_add_f64 v[2:3], v[2:3], v[4:5]
	v_accvgpr_read_b32 v4, a190
	v_accvgpr_read_b32 v5, a191
	v_accvgpr_read_b32 v6, a192
	v_mul_f64 v[4:5], v[132:133], v[4:5]
	v_accvgpr_read_b32 v7, a193
	;; [unrolled: 7-line block ×6, first 2 shown]
	v_fma_f64 v[4:5], v[118:119], v[6:7], -v[4:5]
	v_add_f64 v[2:3], v[2:3], v[4:5]
	v_mul_f64 v[4:5], v[32:33], v[152:153]
	v_fma_f64 v[4:5], v[30:31], v[150:151], -v[4:5]
	v_add_f64 v[2:3], v[2:3], v[4:5]
	v_mul_f64 v[4:5], v[36:37], v[0:1]
	;; [unrolled: 3-line block ×22, first 2 shown]
	v_fma_f64 v[4:5], v[228:229], v[244:245], -v[4:5]
	v_add_f64 v[2:3], v[2:3], v[4:5]
	v_accvgpr_read_b32 v0, a179
	s_waitcnt vmcnt(2)
	v_add_f64 v[2:3], v[248:249], -v[2:3]
	v_cmp_lt_u32_e32 vcc, 7, v0
	s_waitcnt vmcnt(0)
	v_add_f64 v[4:5], v[246:247], -v[240:241]
	buffer_store_dword v3, off, s[0:3], 0 offset:148
	buffer_store_dword v2, off, s[0:3], 0 offset:144
	;; [unrolled: 1-line block ×4, first 2 shown]
	s_and_saveexec_b64 s[4:5], vcc
	s_cbranch_execz .LBB123_359
; %bb.358:
	v_accvgpr_read_b32 v0, a172
	buffer_load_dword v2, v0, s[0:3], 0 offen
	buffer_load_dword v3, v0, s[0:3], 0 offen offset:4
	buffer_load_dword v4, v0, s[0:3], 0 offen offset:8
	buffer_load_dword v5, v0, s[0:3], 0 offen offset:12
	v_accvgpr_read_b32 v0, a180
	buffer_store_dword v142, off, s[0:3], 0 offset:128
	buffer_store_dword v142, off, s[0:3], 0 offset:132
	;; [unrolled: 1-line block ×4, first 2 shown]
	s_waitcnt vmcnt(4)
	ds_write_b128 v0, v[2:5]
.LBB123_359:
	s_or_b64 exec, exec, s[4:5]
	s_waitcnt lgkmcnt(0)
	; wave barrier
	s_waitcnt lgkmcnt(0)
	buffer_load_dword v22, off, s[0:3], 0 offset:144
	buffer_load_dword v23, off, s[0:3], 0 offset:148
	;; [unrolled: 1-line block ×36, first 2 shown]
	ds_read_b128 v[18:21], v142 offset:1088
	ds_read_b128 v[26:29], v142 offset:1104
	;; [unrolled: 1-line block ×9, first 2 shown]
	buffer_load_dword v91, off, s[0:3], 0 offset:316
	buffer_load_dword v90, off, s[0:3], 0 offset:312
	;; [unrolled: 1-line block ×19, first 2 shown]
	s_waitcnt vmcnt(51) lgkmcnt(8)
	v_mul_f64 v[2:3], v[18:19], v[24:25]
	v_fmac_f64_e32 v[2:3], v[20:21], v[22:23]
	v_add_f64 v[2:3], v[2:3], 0
	v_mul_f64 v[20:21], v[20:21], v[24:25]
	s_waitcnt vmcnt(47) lgkmcnt(7)
	v_mul_f64 v[4:5], v[26:27], v[160:161]
	v_fmac_f64_e32 v[4:5], v[28:29], v[158:159]
	v_add_f64 v[2:3], v[2:3], v[4:5]
	buffer_load_dword v104, off, s[0:3], 0 offset:368
	buffer_load_dword v255, off, s[0:3], 0 offset:364
	buffer_load_dword v254, off, s[0:3], 0 offset:360
	buffer_load_dword v67, off, s[0:3], 0 offset:356
	buffer_load_dword v66, off, s[0:3], 0 offset:352
	buffer_load_dword v219, off, s[0:3], 0 offset:412
	buffer_load_dword v218, off, s[0:3], 0 offset:408
	buffer_load_dword v221, off, s[0:3], 0 offset:404
	buffer_load_dword v220, off, s[0:3], 0 offset:400
	buffer_load_dword v227, off, s[0:3], 0 offset:396
	buffer_load_dword v226, off, s[0:3], 0 offset:392
	buffer_load_dword v229, off, s[0:3], 0 offset:388
	buffer_load_dword v228, off, s[0:3], 0 offset:384
	buffer_load_dword v115, off, s[0:3], 0 offset:444
	buffer_load_dword v114, off, s[0:3], 0 offset:440
	buffer_load_dword v117, off, s[0:3], 0 offset:436
	buffer_load_dword v116, off, s[0:3], 0 offset:432
	buffer_load_dword v223, off, s[0:3], 0 offset:428
	buffer_load_dword v222, off, s[0:3], 0 offset:424
	buffer_load_dword v225, off, s[0:3], 0 offset:420
	buffer_load_dword v224, off, s[0:3], 0 offset:416
	buffer_load_dword v107, off, s[0:3], 0 offset:476
	buffer_load_dword v106, off, s[0:3], 0 offset:472
	buffer_load_dword v111, off, s[0:3], 0 offset:468
	buffer_load_dword v110, off, s[0:3], 0 offset:464
	buffer_load_dword v215, off, s[0:3], 0 offset:460
	buffer_load_dword v214, off, s[0:3], 0 offset:456
	buffer_load_dword v217, off, s[0:3], 0 offset:452
	buffer_load_dword v216, off, s[0:3], 0 offset:448
	buffer_load_dword v97, off, s[0:3], 0 offset:508
	buffer_load_dword v96, off, s[0:3], 0 offset:504
	buffer_load_dword v101, off, s[0:3], 0 offset:500
	buffer_load_dword v100, off, s[0:3], 0 offset:496
	buffer_load_dword v109, off, s[0:3], 0 offset:492
	buffer_load_dword v108, off, s[0:3], 0 offset:488
	buffer_load_dword v113, off, s[0:3], 0 offset:484
	buffer_load_dword v112, off, s[0:3], 0 offset:480
	buffer_load_dword v5, off, s[0:3], 0 offset:540
	buffer_load_dword v4, off, s[0:3], 0 offset:536
	s_waitcnt vmcnt(62) lgkmcnt(6)
	v_mul_f64 v[6:7], v[54:55], v[156:157]
	s_waitcnt lgkmcnt(4)
	v_mul_f64 v[10:11], v[34:35], v[166:167]
	v_fmac_f64_e32 v[10:11], v[36:37], v[170:171]
	v_fma_f64 v[24:25], v[18:19], v[22:23], -v[20:21]
	v_mul_f64 v[8:9], v[30:31], v[68:69]
	v_mul_f64 v[28:29], v[28:29], v[160:161]
	s_waitcnt lgkmcnt(2)
	v_mul_f64 v[14:15], v[50:51], v[74:75]
	v_fma_f64 v[158:159], v[26:27], v[158:159], -v[28:29]
	v_fmac_f64_e32 v[14:15], v[52:53], v[76:77]
	v_mul_f64 v[36:37], v[36:37], v[166:167]
	v_mul_f64 v[12:13], v[38:39], v[80:81]
	v_fma_f64 v[20:21], v[34:35], v[170:171], -v[36:37]
	s_waitcnt lgkmcnt(1)
	v_mul_f64 v[16:17], v[46:47], v[72:73]
	v_mul_f64 v[52:53], v[52:53], v[74:75]
	v_fmac_f64_e32 v[6:7], v[56:57], v[86:87]
	v_add_f64 v[2:3], v[2:3], v[6:7]
	v_fmac_f64_e32 v[8:9], v[32:33], v[164:165]
	v_add_f64 v[2:3], v[2:3], v[8:9]
	;; [unrolled: 2-line block ×3, first 2 shown]
	v_add_f64 v[2:3], v[2:3], v[12:13]
	v_add_f64 v[2:3], v[2:3], v[14:15]
	v_fmac_f64_e32 v[16:17], v[48:49], v[78:79]
	v_add_f64 v[2:3], v[2:3], v[16:17]
	v_mul_f64 v[32:33], v[32:33], v[68:69]
	v_mul_f64 v[40:41], v[40:41], v[80:81]
	v_fma_f64 v[166:167], v[38:39], v[168:169], -v[40:41]
	v_fma_f64 v[18:19], v[50:51], v[76:77], -v[52:53]
	v_add_f64 v[24:25], v[24:25], 0
	v_add_f64 v[24:25], v[24:25], v[158:159]
	s_waitcnt vmcnt(0)
	v_pk_mov_b32 v[118:119], v[4:5], v[4:5] op_sel:[0,1]
	buffer_load_dword v5, off, s[0:3], 0 offset:532
	buffer_load_dword v4, off, s[0:3], 0 offset:528
	v_accvgpr_write_b32 a189, v119
	v_accvgpr_write_b32 a188, v118
	s_waitcnt vmcnt(0)
	v_pk_mov_b32 v[120:121], v[4:5], v[4:5] op_sel:[0,1]
	buffer_load_dword v5, off, s[0:3], 0 offset:524
	buffer_load_dword v4, off, s[0:3], 0 offset:520
	v_accvgpr_write_b32 a191, v121
	v_accvgpr_write_b32 a190, v120
	s_waitcnt vmcnt(0)
	v_pk_mov_b32 v[14:15], v[4:5], v[4:5] op_sel:[0,1]
	buffer_load_dword v5, off, s[0:3], 0 offset:516
	buffer_load_dword v4, off, s[0:3], 0 offset:512
	v_pk_mov_b32 v[144:145], v[14:15], v[14:15] op_sel:[0,1]
	s_waitcnt vmcnt(0)
	v_pk_mov_b32 v[122:123], v[4:5], v[4:5] op_sel:[0,1]
	buffer_load_dword v5, off, s[0:3], 0 offset:572
	buffer_load_dword v4, off, s[0:3], 0 offset:568
	v_accvgpr_write_b32 a187, v123
	v_accvgpr_write_b32 a186, v122
	s_waitcnt vmcnt(0)
	v_pk_mov_b32 v[126:127], v[4:5], v[4:5] op_sel:[0,1]
	buffer_load_dword v5, off, s[0:3], 0 offset:564
	buffer_load_dword v4, off, s[0:3], 0 offset:560
	v_accvgpr_write_b32 a197, v127
	v_accvgpr_write_b32 a196, v126
	;; [unrolled: 6-line block ×7, first 2 shown]
	s_waitcnt vmcnt(0)
	v_pk_mov_b32 v[186:187], v[4:5], v[4:5] op_sel:[0,1]
	buffer_load_dword v5, off, s[0:3], 0 offset:580
	buffer_load_dword v4, off, s[0:3], 0 offset:576
	ds_read_b128 v[182:185], v142 offset:1232
	ds_read_b128 v[194:197], v142 offset:1248
	;; [unrolled: 1-line block ×9, first 2 shown]
	buffer_load_dword v147, off, s[0:3], 0 offset:620
	buffer_load_dword v146, off, s[0:3], 0 offset:616
	;; [unrolled: 1-line block ×4, first 2 shown]
	ds_read_b128 v[246:249], v142 offset:1376
	buffer_load_dword v149, off, s[0:3], 0 offset:636
	buffer_load_dword v148, off, s[0:3], 0 offset:632
	;; [unrolled: 1-line block ×8, first 2 shown]
	ds_read_b128 v[250:253], v142 offset:1392
	ds_read_b128 v[58:61], v142 offset:1408
	;; [unrolled: 1-line block ×4, first 2 shown]
	v_accvgpr_write_b32 a201, v187
	v_accvgpr_write_b32 a200, v186
	s_waitcnt lgkmcnt(7)
	v_mul_f64 v[50:51], v[236:237], v[226:227]
	s_waitcnt lgkmcnt(5)
	v_mul_f64 v[68:69], v[244:245], v[222:223]
	;; [unrolled: 2-line block ×3, first 2 shown]
	v_fmac_f64_e32 v[8:9], v[84:85], v[100:101]
	v_mul_f64 v[84:85], v[84:85], v[96:97]
	ds_read_b128 v[128:131], v142 offset:1472
	s_waitcnt lgkmcnt(0)
	v_mul_f64 v[16:17], v[128:129], v[118:119]
	v_fmac_f64_e32 v[16:17], v[130:131], v[120:121]
	s_waitcnt vmcnt(12)
	v_pk_mov_b32 v[188:189], v[4:5], v[4:5] op_sel:[0,1]
	v_mul_f64 v[4:5], v[42:43], v[70:71]
	v_fmac_f64_e32 v[4:5], v[44:45], v[88:89]
	v_add_f64 v[2:3], v[2:3], v[4:5]
	v_mul_f64 v[4:5], v[182:183], v[94:95]
	v_fmac_f64_e32 v[4:5], v[184:185], v[98:99]
	v_add_f64 v[2:3], v[2:3], v[4:5]
	;; [unrolled: 3-line block ×14, first 2 shown]
	ds_read_b128 v[2:5], v142 offset:1456
	buffer_load_dword v155, off, s[0:3], 0 offset:668
	buffer_load_dword v154, off, s[0:3], 0 offset:664
	ds_read_b128 v[138:141], v142 offset:1488
	ds_read_b128 v[134:137], v142 offset:1504
	v_add_f64 v[10:11], v[6:7], v[8:9]
	s_waitcnt lgkmcnt(2)
	v_mul_f64 v[12:13], v[2:3], v[14:15]
	v_fmac_f64_e32 v[12:13], v[4:5], v[122:123]
	s_waitcnt lgkmcnt(1)
	v_mul_f64 v[172:173], v[138:139], v[124:125]
	ds_read_b128 v[122:125], v142 offset:1520
	ds_read_b128 v[118:121], v142 offset:1536
	v_add_f64 v[14:15], v[10:11], v[12:13]
	v_accvgpr_write_b32 a185, v5
	v_add_f64 v[162:163], v[14:15], v[16:17]
	v_fmac_f64_e32 v[172:173], v[140:141], v[180:181]
	s_waitcnt lgkmcnt(2)
	v_mul_f64 v[22:23], v[134:135], v[126:127]
	v_accvgpr_write_b32 a184, v4
	v_accvgpr_write_b32 a183, v3
	;; [unrolled: 1-line block ×3, first 2 shown]
	v_add_f64 v[4:5], v[162:163], v[172:173]
	v_fmac_f64_e32 v[22:23], v[136:137], v[174:175]
	v_add_f64 v[4:5], v[4:5], v[22:23]
	s_waitcnt lgkmcnt(1)
	v_mul_f64 v[22:23], v[122:123], v[186:187]
	v_fmac_f64_e32 v[22:23], v[124:125], v[188:189]
	s_waitcnt lgkmcnt(0)
	v_mul_f64 v[160:161], v[118:119], v[176:177]
	v_add_f64 v[4:5], v[4:5], v[22:23]
	ds_read_b128 v[26:29], v142 offset:1552
	v_fmac_f64_e32 v[160:161], v[120:121], v[178:179]
	v_add_f64 v[172:173], v[4:5], v[160:161]
	buffer_load_dword v161, off, s[0:3], 0 offset:660
	buffer_load_dword v160, off, s[0:3], 0 offset:656
	v_mul_f64 v[4:5], v[56:57], v[156:157]
	buffer_load_dword v156, off, s[0:3], 0 offset:696
	buffer_load_dword v126, off, s[0:3], 0 offset:688
	;; [unrolled: 1-line block ×4, first 2 shown]
	v_fma_f64 v[186:187], v[30:31], v[164:165], -v[32:33]
	buffer_load_dword v165, off, s[0:3], 0 offset:676
	buffer_load_dword v164, off, s[0:3], 0 offset:672
	;; [unrolled: 1-line block ×3, first 2 shown]
	s_waitcnt vmcnt(21) lgkmcnt(0)
	v_mul_f64 v[30:31], v[26:27], v[146:147]
	buffer_load_dword v127, off, s[0:3], 0 offset:692
	s_waitcnt vmcnt(20)
	v_fmac_f64_e32 v[30:31], v[28:29], v[0:1]
	v_fma_f64 v[86:87], v[54:55], v[86:87], -v[4:5]
	v_add_f64 v[54:55], v[172:173], v[30:31]
	ds_read_b128 v[30:33], v142 offset:1568
	ds_read_b128 v[34:37], v142 offset:1584
	;; [unrolled: 1-line block ×3, first 2 shown]
	buffer_load_dword v23, off, s[0:3], 0 offset:716
	buffer_load_dword v22, off, s[0:3], 0 offset:712
	;; [unrolled: 1-line block ×16, first 2 shown]
	v_mul_f64 v[12:13], v[48:49], v[72:73]
	v_mul_f64 v[44:45], v[44:45], v[70:71]
	v_accvgpr_write_b32 a203, v189
	v_fma_f64 v[14:15], v[46:47], v[78:79], -v[12:13]
	v_fma_f64 v[12:13], v[42:43], v[88:89], -v[44:45]
	v_mul_f64 v[42:43], v[184:185], v[94:95]
	v_accvgpr_write_b32 a202, v188
	v_fma_f64 v[94:95], v[182:183], v[98:99], -v[42:43]
	buffer_load_dword v183, off, s[0:3], 0 offset:780
	buffer_load_dword v182, off, s[0:3], 0 offset:776
	;; [unrolled: 1-line block ×8, first 2 shown]
	s_waitcnt vmcnt(42) lgkmcnt(2)
	v_mul_f64 v[8:9], v[30:31], v[148:149]
	s_waitcnt vmcnt(40)
	v_fmac_f64_e32 v[8:9], v[32:33], v[150:151]
	v_add_f64 v[8:9], v[54:55], v[8:9]
	s_waitcnt vmcnt(38) lgkmcnt(1)
	v_mul_f64 v[54:55], v[34:35], v[152:153]
	v_mul_f64 v[42:43], v[196:197], v[90:91]
	s_waitcnt vmcnt(36)
	v_fmac_f64_e32 v[54:55], v[36:37], v[132:133]
	v_fma_f64 v[10:11], v[194:195], v[92:93], -v[42:43]
	v_mul_f64 v[42:43], v[200:201], v[190:191]
	v_add_f64 v[54:55], v[8:9], v[54:55]
	v_fma_f64 v[8:9], v[198:199], v[192:193], -v[42:43]
	buffer_load_dword v191, off, s[0:3], 0 offset:828
	buffer_load_dword v193, off, s[0:3], 0 offset:812
	;; [unrolled: 1-line block ×12, first 2 shown]
	v_mul_f64 v[42:43], v[208:209], v[202:203]
	v_fma_f64 v[6:7], v[206:207], v[204:205], -v[42:43]
	v_mul_f64 v[42:43], v[212:213], v[254:255]
	v_fma_f64 v[254:255], v[210:211], v[66:67], -v[42:43]
	buffer_load_dword v205, off, s[0:3], 0 offset:860
	buffer_load_dword v204, off, s[0:3], 0 offset:856
	;; [unrolled: 1-line block ×12, first 2 shown]
	ds_read_b128 v[42:45], v142 offset:1616
	v_mul_f64 v[46:47], v[232:233], v[102:103]
	v_fma_f64 v[4:5], v[230:231], v[104:105], -v[46:47]
	ds_read_b128 v[46:49], v142 offset:1632
	v_fma_f64 v[236:237], v[234:235], v[228:229], -v[50:51]
	ds_read_b128 v[50:53], v142 offset:1648
	ds_read_b128 v[228:231], v142 offset:1680
	v_mul_f64 v[66:67], v[240:241], v[218:219]
	ds_read_b128 v[232:235], v142 offset:1696
	v_fma_f64 v[240:241], v[238:239], v[220:221], -v[66:67]
	v_fma_f64 v[218:219], v[242:243], v[224:225], -v[68:69]
	v_mul_f64 v[70:71], v[248:249], v[114:115]
	s_waitcnt vmcnt(58) lgkmcnt(5)
	v_mul_f64 v[16:17], v[38:39], v[154:155]
	v_fma_f64 v[246:247], v[246:247], v[116:117], -v[70:71]
	ds_read_b128 v[70:73], v142 offset:1728
	v_mul_f64 v[64:65], v[64:65], v[108:109]
	v_fma_f64 v[62:63], v[62:63], v[112:113], -v[64:65]
	v_mul_f64 v[60:61], v[60:61], v[106:107]
	v_accvgpr_write_b32 a209, v63
	v_fma_f64 v[2:3], v[58:59], v[110:111], -v[60:61]
	ds_read_b128 v[58:61], v142 offset:1776
	v_accvgpr_write_b32 a208, v62
	ds_read_b128 v[62:65], v142 offset:1808
	v_add_f64 v[24:25], v[24:25], v[86:87]
	v_add_f64 v[24:25], v[24:25], v[186:187]
	;; [unrolled: 1-line block ×16, first 2 shown]
	s_waitcnt vmcnt(56)
	v_fmac_f64_e32 v[16:17], v[40:41], v[160:161]
	v_add_f64 v[16:17], v[54:55], v[16:17]
	s_waitcnt vmcnt(52) lgkmcnt(7)
	v_mul_f64 v[54:55], v[42:43], v[162:163]
	s_waitcnt vmcnt(50)
	v_fmac_f64_e32 v[54:55], v[44:45], v[164:165]
	v_add_f64 v[16:17], v[16:17], v[54:55]
	s_waitcnt vmcnt(49) lgkmcnt(6)
	v_mul_f64 v[54:55], v[46:47], v[156:157]
	s_waitcnt vmcnt(48)
	v_fmac_f64_e32 v[54:55], v[48:49], v[126:127]
	v_add_f64 v[16:17], v[16:17], v[54:55]
	v_add_f64 v[4:5], v[4:5], v[246:247]
	v_accvgpr_read_b32 v6, a182
	v_accvgpr_read_b32 v8, a184
	s_waitcnt vmcnt(46) lgkmcnt(5)
	v_mul_f64 v[54:55], v[50:51], v[22:23]
	v_accvgpr_read_b32 v9, a185
	s_waitcnt vmcnt(44)
	v_fmac_f64_e32 v[54:55], v[52:53], v[168:169]
	v_add_f64 v[16:17], v[16:17], v[54:55]
	ds_read_b128 v[54:57], v142 offset:1664
	v_accvgpr_read_b32 v7, a183
	s_waitcnt vmcnt(42) lgkmcnt(0)
	v_mul_f64 v[66:67], v[54:55], v[172:173]
	s_waitcnt vmcnt(40)
	v_fmac_f64_e32 v[66:67], v[56:57], v[174:175]
	v_add_f64 v[16:17], v[16:17], v[66:67]
	s_waitcnt vmcnt(36)
	v_mul_f64 v[66:67], v[228:229], v[178:179]
	s_waitcnt vmcnt(34)
	v_fmac_f64_e32 v[66:67], v[230:231], v[180:181]
	v_add_f64 v[16:17], v[16:17], v[66:67]
	v_mul_f64 v[66:67], v[232:233], v[170:171]
	s_waitcnt vmcnt(32)
	v_fmac_f64_e32 v[66:67], v[234:235], v[176:177]
	v_add_f64 v[16:17], v[16:17], v[66:67]
	ds_read_b128 v[66:69], v142 offset:1712
	s_waitcnt vmcnt(25)
	v_mul_f64 v[78:79], v[70:71], v[184:185]
	s_waitcnt vmcnt(24)
	v_fmac_f64_e32 v[78:79], v[72:73], v[88:89]
	s_waitcnt lgkmcnt(0)
	v_mul_f64 v[74:75], v[66:67], v[182:183]
	v_fmac_f64_e32 v[74:75], v[68:69], v[188:189]
	v_add_f64 v[16:17], v[16:17], v[74:75]
	v_mul_f64 v[74:75], v[252:253], v[214:215]
	v_fma_f64 v[248:249], v[250:251], v[216:217], -v[74:75]
	ds_read_b128 v[74:77], v142 offset:1744
	v_add_f64 v[16:17], v[16:17], v[78:79]
	ds_read_b128 v[78:81], v142 offset:1760
	v_fma_f64 v[252:253], v[82:83], v[100:101], -v[84:85]
	ds_read_b128 v[82:85], v142 offset:1824
	s_waitcnt vmcnt(21) lgkmcnt(2)
	v_mul_f64 v[90:91], v[74:75], v[192:193]
	s_waitcnt vmcnt(19)
	v_fmac_f64_e32 v[90:91], v[76:77], v[198:199]
	v_add_f64 v[16:17], v[16:17], v[90:91]
	s_waitcnt vmcnt(18) lgkmcnt(1)
	v_mul_f64 v[90:91], v[78:79], v[190:191]
	s_waitcnt vmcnt(16)
	v_fmac_f64_e32 v[90:91], v[80:81], v[196:197]
	v_add_f64 v[16:17], v[16:17], v[90:91]
	ds_read_b128 v[90:93], v142 offset:1792
	buffer_load_dword v215, off, s[0:3], 0 offset:908
	buffer_load_dword v214, off, s[0:3], 0 offset:904
	buffer_load_dword v217, off, s[0:3], 0 offset:900
	buffer_load_dword v216, off, s[0:3], 0 offset:896
	s_waitcnt vmcnt(18)
	v_mul_f64 v[98:99], v[58:59], v[194:195]
	s_waitcnt vmcnt(16)
	v_fmac_f64_e32 v[98:99], v[60:61], v[200:201]
	v_add_f64 v[16:17], v[16:17], v[98:99]
	s_waitcnt vmcnt(14) lgkmcnt(0)
	v_mul_f64 v[96:97], v[90:91], v[204:205]
	s_waitcnt vmcnt(12)
	v_fmac_f64_e32 v[96:97], v[92:93], v[206:207]
	ds_read_b128 v[98:101], v142 offset:1840
	v_add_f64 v[16:17], v[16:17], v[96:97]
	s_waitcnt vmcnt(9)
	v_mul_f64 v[96:97], v[62:63], v[210:211]
	s_waitcnt vmcnt(7)
	v_fmac_f64_e32 v[96:97], v[64:65], v[212:213]
	v_add_f64 v[16:17], v[16:17], v[96:97]
	s_waitcnt vmcnt(5)
	v_mul_f64 v[96:97], v[82:83], v[202:203]
	s_waitcnt vmcnt(4)
	v_fmac_f64_e32 v[96:97], v[84:85], v[208:209]
	v_add_f64 v[16:17], v[16:17], v[96:97]
	v_add_f64 v[4:5], v[4:5], v[248:249]
	;; [unrolled: 1-line block ×3, first 2 shown]
	v_accvgpr_read_b32 v2, a208
	v_accvgpr_read_b32 v3, a209
	v_mul_f64 v[4:5], v[8:9], v[144:145]
	v_accvgpr_read_b32 v8, a186
	v_add_f64 v[2:3], v[254:255], v[2:3]
	v_accvgpr_read_b32 v9, a187
	v_add_f64 v[2:3], v[2:3], v[252:253]
	v_fma_f64 v[4:5], v[6:7], v[8:9], -v[4:5]
	v_add_f64 v[2:3], v[2:3], v[4:5]
	v_accvgpr_read_b32 v4, a188
	v_accvgpr_read_b32 v5, a189
	v_accvgpr_read_b32 v6, a190
	v_mul_f64 v[4:5], v[130:131], v[4:5]
	v_accvgpr_read_b32 v7, a191
	v_fma_f64 v[4:5], v[128:129], v[6:7], -v[4:5]
	v_add_f64 v[2:3], v[2:3], v[4:5]
	v_accvgpr_read_b32 v4, a192
	v_accvgpr_read_b32 v5, a193
	v_accvgpr_read_b32 v6, a194
	v_mul_f64 v[4:5], v[140:141], v[4:5]
	v_accvgpr_read_b32 v7, a195
	;; [unrolled: 7-line block ×5, first 2 shown]
	v_fma_f64 v[4:5], v[118:119], v[6:7], -v[4:5]
	v_add_f64 v[2:3], v[2:3], v[4:5]
	v_mul_f64 v[4:5], v[28:29], v[146:147]
	v_fma_f64 v[4:5], v[26:27], v[0:1], -v[4:5]
	v_add_f64 v[2:3], v[2:3], v[4:5]
	v_mul_f64 v[4:5], v[32:33], v[148:149]
	;; [unrolled: 3-line block ×6, first 2 shown]
	v_fma_f64 v[4:5], v[46:47], v[126:127], -v[4:5]
	v_add_f64 v[2:3], v[2:3], v[4:5]
	s_waitcnt vmcnt(2) lgkmcnt(0)
	v_mul_f64 v[96:97], v[98:99], v[214:215]
	v_mul_f64 v[4:5], v[52:53], v[22:23]
	s_waitcnt vmcnt(0)
	v_fmac_f64_e32 v[96:97], v[100:101], v[216:217]
	v_add_f64 v[16:17], v[16:17], v[96:97]
	buffer_load_dword v96, off, s[0:3], 0 offset:920
	buffer_load_dword v97, off, s[0:3], 0 offset:924
	;; [unrolled: 1-line block ×4, first 2 shown]
	ds_read_b128 v[102:105], v142 offset:1856
	buffer_load_dword v223, off, s[0:3], 0 offset:940
	buffer_load_dword v222, off, s[0:3], 0 offset:936
	;; [unrolled: 1-line block ×4, first 2 shown]
	v_fma_f64 v[4:5], v[50:51], v[168:169], -v[4:5]
	v_add_f64 v[2:3], v[2:3], v[4:5]
	v_mul_f64 v[4:5], v[56:57], v[172:173]
	v_fma_f64 v[4:5], v[54:55], v[174:175], -v[4:5]
	v_add_f64 v[2:3], v[2:3], v[4:5]
	v_mul_f64 v[4:5], v[230:231], v[178:179]
	;; [unrolled: 3-line block ×12, first 2 shown]
	v_fma_f64 v[4:5], v[98:99], v[216:217], -v[4:5]
	v_add_f64 v[2:3], v[2:3], v[4:5]
	v_accvgpr_read_b32 v0, a179
	v_cmp_lt_u32_e32 vcc, 6, v0
	s_waitcnt vmcnt(6) lgkmcnt(0)
	v_mul_f64 v[106:107], v[102:103], v[96:97]
	v_mul_f64 v[4:5], v[104:105], v[96:97]
	s_waitcnt vmcnt(4)
	v_fmac_f64_e32 v[106:107], v[104:105], v[220:221]
	v_add_f64 v[16:17], v[16:17], v[106:107]
	ds_read_b128 v[106:109], v142 offset:1872
	buffer_load_dword v226, off, s[0:3], 0 offset:952
	buffer_load_dword v227, off, s[0:3], 0 offset:956
	;; [unrolled: 1-line block ×4, first 2 shown]
	v_fma_f64 v[4:5], v[102:103], v[220:221], -v[4:5]
	v_add_f64 v[2:3], v[2:3], v[4:5]
	s_waitcnt vmcnt(6) lgkmcnt(0)
	v_mul_f64 v[110:111], v[106:107], v[222:223]
	s_waitcnt vmcnt(4)
	v_fmac_f64_e32 v[110:111], v[108:109], v[224:225]
	v_add_f64 v[16:17], v[16:17], v[110:111]
	ds_read_b128 v[110:113], v142 offset:1888
	buffer_load_dword v243, off, s[0:3], 0 offset:972
	buffer_load_dword v242, off, s[0:3], 0 offset:968
	;; [unrolled: 1-line block ×4, first 2 shown]
	v_mul_f64 v[4:5], v[108:109], v[222:223]
	v_fma_f64 v[4:5], v[106:107], v[224:225], -v[4:5]
	v_add_f64 v[2:3], v[2:3], v[4:5]
	s_waitcnt vmcnt(6) lgkmcnt(0)
	v_mul_f64 v[114:115], v[110:111], v[226:227]
	v_mul_f64 v[4:5], v[112:113], v[226:227]
	s_waitcnt vmcnt(4)
	v_fmac_f64_e32 v[114:115], v[112:113], v[238:239]
	v_add_f64 v[16:17], v[16:17], v[114:115]
	ds_read_b128 v[114:117], v142 offset:1904
	buffer_load_dword v248, off, s[0:3], 0 offset:128
	buffer_load_dword v249, off, s[0:3], 0 offset:132
	;; [unrolled: 1-line block ×4, first 2 shown]
	v_fma_f64 v[4:5], v[110:111], v[238:239], -v[4:5]
	v_add_f64 v[2:3], v[2:3], v[4:5]
	s_waitcnt vmcnt(6) lgkmcnt(0)
	v_mul_f64 v[4:5], v[116:117], v[242:243]
	v_mul_f64 v[250:251], v[114:115], v[242:243]
	s_waitcnt vmcnt(4)
	v_fma_f64 v[4:5], v[114:115], v[244:245], -v[4:5]
	v_fmac_f64_e32 v[250:251], v[116:117], v[244:245]
	v_add_f64 v[2:3], v[2:3], v[4:5]
	v_add_f64 v[16:17], v[16:17], v[250:251]
	s_waitcnt vmcnt(2)
	v_add_f64 v[2:3], v[248:249], -v[2:3]
	s_waitcnt vmcnt(0)
	v_add_f64 v[4:5], v[246:247], -v[16:17]
	buffer_store_dword v3, off, s[0:3], 0 offset:132
	buffer_store_dword v2, off, s[0:3], 0 offset:128
	;; [unrolled: 1-line block ×4, first 2 shown]
	s_and_saveexec_b64 s[4:5], vcc
	s_cbranch_execz .LBB123_361
; %bb.360:
	v_accvgpr_read_b32 v0, a173
	buffer_load_dword v2, v0, s[0:3], 0 offen
	buffer_load_dword v3, v0, s[0:3], 0 offen offset:4
	buffer_load_dword v4, v0, s[0:3], 0 offen offset:8
	;; [unrolled: 1-line block ×3, first 2 shown]
	v_mov_b32_e32 v0, 0
	v_accvgpr_read_b32 v1, a180
	buffer_store_dword v0, off, s[0:3], 0 offset:112
	buffer_store_dword v0, off, s[0:3], 0 offset:116
	;; [unrolled: 1-line block ×4, first 2 shown]
	s_waitcnt vmcnt(4)
	ds_write_b128 v1, v[2:5]
.LBB123_361:
	s_or_b64 exec, exec, s[4:5]
	s_waitcnt lgkmcnt(0)
	; wave barrier
	s_waitcnt lgkmcnt(0)
	buffer_load_dword v248, off, s[0:3], 0 offset:128
	buffer_load_dword v249, off, s[0:3], 0 offset:132
	buffer_load_dword v16, off, s[0:3], 0 offset:136
	buffer_load_dword v17, off, s[0:3], 0 offset:140
	buffer_load_dword v156, off, s[0:3], 0 offset:144
	buffer_load_dword v157, off, s[0:3], 0 offset:148
	buffer_load_dword v20, off, s[0:3], 0 offset:152
	buffer_load_dword v21, off, s[0:3], 0 offset:156
	buffer_load_dword v26, off, s[0:3], 0 offset:168
	buffer_load_dword v27, off, s[0:3], 0 offset:172
	buffer_load_dword v31, off, s[0:3], 0 offset:204
	buffer_load_dword v30, off, s[0:3], 0 offset:200
	buffer_load_dword v33, off, s[0:3], 0 offset:196
	buffer_load_dword v32, off, s[0:3], 0 offset:192
	buffer_load_dword v29, off, s[0:3], 0 offset:188
	buffer_load_dword v28, off, s[0:3], 0 offset:184
	buffer_load_dword v45, off, s[0:3], 0 offset:236
	buffer_load_dword v44, off, s[0:3], 0 offset:232
	buffer_load_dword v47, off, s[0:3], 0 offset:228
	buffer_load_dword v46, off, s[0:3], 0 offset:224
	buffer_load_dword v35, off, s[0:3], 0 offset:220
	buffer_load_dword v34, off, s[0:3], 0 offset:216
	buffer_load_dword v43, off, s[0:3], 0 offset:252
	buffer_load_dword v42, off, s[0:3], 0 offset:248
	buffer_load_dword v250, off, s[0:3], 0 offset:160
	buffer_load_dword v251, off, s[0:3], 0 offset:164
	buffer_load_dword v39, off, s[0:3], 0 offset:180
	buffer_load_dword v38, off, s[0:3], 0 offset:176
	buffer_load_dword v37, off, s[0:3], 0 offset:212
	buffer_load_dword v36, off, s[0:3], 0 offset:208
	buffer_load_dword v51, off, s[0:3], 0 offset:244
	buffer_load_dword v50, off, s[0:3], 0 offset:240
	buffer_load_dword v48, off, s[0:3], 0 offset:264
	buffer_load_dword v52, off, s[0:3], 0 offset:256
	buffer_load_dword v53, off, s[0:3], 0 offset:260
	buffer_load_dword v49, off, s[0:3], 0 offset:268
	v_mov_b32_e32 v146, 0
	buffer_load_dword v55, off, s[0:3], 0 offset:300
	buffer_load_dword v54, off, s[0:3], 0 offset:296
	;; [unrolled: 1-line block ×18, first 2 shown]
	ds_read_b128 v[22:25], v146 offset:1072
	ds_read_b128 v[110:113], v146 offset:1088
	;; [unrolled: 1-line block ×9, first 2 shown]
	s_waitcnt vmcnt(50) lgkmcnt(8)
	v_mul_f64 v[2:3], v[22:23], v[16:17]
	v_fmac_f64_e32 v[2:3], v[24:25], v[248:249]
	v_add_f64 v[2:3], v[2:3], 0
	v_mul_f64 v[16:17], v[24:25], v[16:17]
	s_waitcnt vmcnt(46) lgkmcnt(7)
	v_mul_f64 v[4:5], v[110:111], v[20:21]
	v_fmac_f64_e32 v[4:5], v[112:113], v[156:157]
	s_waitcnt vmcnt(44) lgkmcnt(6)
	v_mul_f64 v[6:7], v[114:115], v[26:27]
	v_add_f64 v[2:3], v[2:3], v[4:5]
	s_waitcnt vmcnt(42) lgkmcnt(4)
	v_mul_f64 v[10:11], v[164:165], v[30:31]
	v_fma_f64 v[248:249], v[22:23], v[248:249], -v[16:17]
	s_waitcnt vmcnt(40)
	v_fmac_f64_e32 v[10:11], v[166:167], v[32:33]
	v_mul_f64 v[20:21], v[112:113], v[20:21]
	s_waitcnt vmcnt(38)
	v_mul_f64 v[8:9], v[160:161], v[28:29]
	v_fma_f64 v[252:253], v[110:111], v[156:157], -v[20:21]
	s_waitcnt vmcnt(36) lgkmcnt(2)
	v_mul_f64 v[68:69], v[172:173], v[44:45]
	v_mul_f64 v[26:27], v[116:117], v[26:27]
	s_waitcnt vmcnt(34)
	v_fmac_f64_e32 v[68:69], v[174:175], v[46:47]
	v_mul_f64 v[28:29], v[162:163], v[28:29]
	s_waitcnt vmcnt(32)
	v_mul_f64 v[12:13], v[168:169], v[34:35]
	v_mul_f64 v[30:31], v[166:167], v[30:31]
	s_waitcnt vmcnt(30) lgkmcnt(1)
	v_mul_f64 v[138:139], v[176:177], v[42:43]
	v_mul_f64 v[34:35], v[170:171], v[34:35]
	s_waitcnt vmcnt(28)
	v_fmac_f64_e32 v[6:7], v[116:117], v[250:251]
	v_add_f64 v[2:3], v[2:3], v[6:7]
	s_waitcnt vmcnt(26)
	v_fmac_f64_e32 v[8:9], v[162:163], v[38:39]
	v_add_f64 v[2:3], v[2:3], v[8:9]
	;; [unrolled: 3-line block ×3, first 2 shown]
	v_add_f64 v[2:3], v[2:3], v[12:13]
	v_add_f64 v[2:3], v[2:3], v[68:69]
	buffer_load_dword v109, off, s[0:3], 0 offset:356
	buffer_load_dword v108, off, s[0:3], 0 offset:352
	;; [unrolled: 1-line block ×40, first 2 shown]
	s_waitcnt vmcnt(62)
	v_fmac_f64_e32 v[138:139], v[178:179], v[50:51]
	s_waitcnt vmcnt(58) lgkmcnt(0)
	v_mul_f64 v[4:5], v[180:181], v[48:49]
	v_add_f64 v[2:3], v[2:3], v[138:139]
	v_fmac_f64_e32 v[4:5], v[182:183], v[52:53]
	v_add_f64 v[2:3], v[2:3], v[4:5]
	v_fma_f64 v[254:255], v[114:115], v[250:251], -v[26:27]
	v_fma_f64 v[250:251], v[160:161], v[38:39], -v[28:29]
	;; [unrolled: 1-line block ×3, first 2 shown]
	v_mul_f64 v[42:43], v[178:179], v[42:43]
	v_fma_f64 v[114:115], v[176:177], v[50:51], -v[42:43]
	v_mul_f64 v[42:43], v[182:183], v[48:49]
	v_fma_f64 v[116:117], v[180:181], v[52:53], -v[42:43]
	s_waitcnt vmcnt(0)
	v_pk_mov_b32 v[6:7], v[0:1], v[0:1] op_sel:[0,1]
	buffer_load_dword v1, off, s[0:3], 0 offset:516
	buffer_load_dword v0, off, s[0:3], 0 offset:512
	v_pk_mov_b32 v[148:149], v[6:7], v[6:7] op_sel:[0,1]
	s_waitcnt vmcnt(0)
	v_pk_mov_b32 v[8:9], v[0:1], v[0:1] op_sel:[0,1]
	buffer_load_dword v91, off, s[0:3], 0 offset:508
	buffer_load_dword v90, off, s[0:3], 0 offset:504
	;; [unrolled: 1-line block ×6, first 2 shown]
	v_accvgpr_write_b32 a187, v9
	v_accvgpr_write_b32 a186, v8
	s_waitcnt vmcnt(0)
	v_pk_mov_b32 v[118:119], v[0:1], v[0:1] op_sel:[0,1]
	buffer_load_dword v1, off, s[0:3], 0 offset:548
	buffer_load_dword v0, off, s[0:3], 0 offset:544
	v_accvgpr_write_b32 a193, v119
	v_accvgpr_write_b32 a192, v118
	s_waitcnt vmcnt(0)
	v_pk_mov_b32 v[120:121], v[0:1], v[0:1] op_sel:[0,1]
	buffer_load_dword v1, off, s[0:3], 0 offset:540
	buffer_load_dword v0, off, s[0:3], 0 offset:536
	;; [unrolled: 6-line block ×7, first 2 shown]
	ds_read_b128 v[184:187], v146 offset:1216
	ds_read_b128 v[188:191], v146 offset:1232
	;; [unrolled: 1-line block ×9, first 2 shown]
	s_waitcnt lgkmcnt(8)
	v_mul_f64 v[4:5], v[184:185], v[58:59]
	v_fmac_f64_e32 v[4:5], v[186:187], v[60:61]
	v_add_f64 v[2:3], v[2:3], v[4:5]
	s_waitcnt lgkmcnt(7)
	v_mul_f64 v[4:5], v[188:189], v[54:55]
	v_fmac_f64_e32 v[4:5], v[190:191], v[56:57]
	v_add_f64 v[2:3], v[2:3], v[4:5]
	s_waitcnt lgkmcnt(6)
	v_mul_f64 v[4:5], v[192:193], v[96:97]
	v_fmac_f64_e32 v[4:5], v[194:195], v[98:99]
	v_add_f64 v[2:3], v[2:3], v[4:5]
	s_waitcnt lgkmcnt(5)
	v_mul_f64 v[4:5], v[196:197], v[64:65]
	v_fmac_f64_e32 v[4:5], v[198:199], v[66:67]
	v_add_f64 v[2:3], v[2:3], v[4:5]
	s_waitcnt lgkmcnt(4)
	v_mul_f64 v[4:5], v[200:201], v[208:209]
	v_fmac_f64_e32 v[4:5], v[202:203], v[246:247]
	v_add_f64 v[2:3], v[2:3], v[4:5]
	s_waitcnt lgkmcnt(3)
	v_mul_f64 v[4:5], v[204:205], v[62:63]
	v_fmac_f64_e32 v[4:5], v[206:207], v[108:109]
	v_add_f64 v[2:3], v[2:3], v[4:5]
	s_waitcnt lgkmcnt(2)
	v_mul_f64 v[4:5], v[210:211], v[104:105]
	v_fmac_f64_e32 v[4:5], v[212:213], v[106:107]
	v_add_f64 v[2:3], v[2:3], v[4:5]
	s_waitcnt lgkmcnt(1)
	v_mul_f64 v[4:5], v[214:215], v[84:85]
	v_fmac_f64_e32 v[4:5], v[216:217], v[94:95]
	v_add_f64 v[2:3], v[2:3], v[4:5]
	s_waitcnt lgkmcnt(0)
	v_mul_f64 v[4:5], v[218:219], v[100:101]
	v_fmac_f64_e32 v[4:5], v[220:221], v[102:103]
	v_add_f64 v[2:3], v[2:3], v[4:5]
	v_accvgpr_write_b32 a197, v127
	v_accvgpr_write_b32 a196, v126
	v_mul_f64 v[42:43], v[186:187], v[58:59]
	v_mul_f64 v[16:17], v[212:213], v[104:105]
	v_fma_f64 v[16:17], v[210:211], v[106:107], -v[16:17]
	v_mul_f64 v[50:51], v[216:217], v[84:85]
	s_waitcnt vmcnt(0)
	v_pk_mov_b32 v[128:129], v[0:1], v[0:1] op_sel:[0,1]
	buffer_load_dword v19, off, s[0:3], 0 offset:604
	buffer_load_dword v18, off, s[0:3], 0 offset:600
	;; [unrolled: 1-line block ×4, first 2 shown]
	ds_read_b128 v[222:225], v146 offset:1360
	buffer_load_dword v15, off, s[0:3], 0 offset:620
	buffer_load_dword v14, off, s[0:3], 0 offset:616
	;; [unrolled: 1-line block ×12, first 2 shown]
	ds_read_b128 v[226:229], v146 offset:1376
	ds_read_b128 v[230:233], v146 offset:1392
	s_waitcnt lgkmcnt(2)
	v_mul_f64 v[4:5], v[222:223], v[68:69]
	v_fmac_f64_e32 v[4:5], v[224:225], v[70:71]
	ds_read_b128 v[234:237], v146 offset:1408
	ds_read_b128 v[238:241], v146 offset:1424
	v_add_f64 v[2:3], v[2:3], v[4:5]
	s_waitcnt lgkmcnt(3)
	v_mul_f64 v[4:5], v[226:227], v[72:73]
	v_fmac_f64_e32 v[4:5], v[228:229], v[82:83]
	v_add_f64 v[2:3], v[2:3], v[4:5]
	s_waitcnt lgkmcnt(2)
	v_mul_f64 v[4:5], v[230:231], v[74:75]
	v_fmac_f64_e32 v[4:5], v[232:233], v[76:77]
	v_add_f64 v[2:3], v[2:3], v[4:5]
	s_waitcnt lgkmcnt(1)
	v_mul_f64 v[4:5], v[234:235], v[78:79]
	ds_read_b128 v[242:245], v146 offset:1440
	ds_read_b128 v[140:143], v146 offset:1456
	v_fmac_f64_e32 v[4:5], v[236:237], v[80:81]
	v_add_f64 v[2:3], v[2:3], v[4:5]
	s_waitcnt lgkmcnt(2)
	v_mul_f64 v[4:5], v[238:239], v[86:87]
	v_fmac_f64_e32 v[4:5], v[240:241], v[88:89]
	v_add_f64 v[10:11], v[2:3], v[4:5]
	ds_read_b128 v[2:5], v146 offset:1472
	ds_read_b128 v[130:133], v146 offset:1488
	s_waitcnt lgkmcnt(3)
	v_mul_f64 v[12:13], v[242:243], v[90:91]
	v_fmac_f64_e32 v[12:13], v[244:245], v[92:93]
	v_add_f64 v[10:11], v[10:11], v[12:13]
	s_waitcnt lgkmcnt(2)
	v_mul_f64 v[12:13], v[140:141], v[6:7]
	v_fmac_f64_e32 v[12:13], v[142:143], v[8:9]
	v_add_f64 v[10:11], v[10:11], v[12:13]
	s_waitcnt lgkmcnt(1)
	v_mul_f64 v[12:13], v[2:3], v[122:123]
	v_fmac_f64_e32 v[12:13], v[4:5], v[124:125]
	s_waitcnt lgkmcnt(0)
	v_mul_f64 v[22:23], v[130:131], v[118:119]
	v_add_f64 v[154:155], v[10:11], v[12:13]
	ds_read_b128 v[122:125], v146 offset:1504
	v_fmac_f64_e32 v[22:23], v[132:133], v[120:121]
	v_add_f64 v[22:23], v[154:155], v[22:23]
	ds_read_b128 v[154:157], v146 offset:1520
	v_accvgpr_write_b32 a199, v129
	s_waitcnt lgkmcnt(1)
	v_mul_f64 v[24:25], v[122:123], v[126:127]
	v_fmac_f64_e32 v[24:25], v[124:125], v[128:129]
	v_accvgpr_write_b32 a198, v128
	ds_read_b128 v[126:129], v146 offset:1536
	s_waitcnt lgkmcnt(1)
	v_mul_f64 v[26:27], v[154:155], v[134:135]
	v_fmac_f64_e32 v[26:27], v[156:157], v[158:159]
	buffer_load_dword v159, off, s[0:3], 0 offset:668
	buffer_load_dword v158, off, s[0:3], 0 offset:664
	;; [unrolled: 1-line block ×7, first 2 shown]
	ds_read_b128 v[118:121], v146 offset:1552
	v_add_f64 v[110:111], v[22:23], v[24:25]
	buffer_load_dword v139, off, s[0:3], 0 offset:676
	v_fma_f64 v[24:25], v[164:165], v[32:33], -v[30:31]
	ds_read_b128 v[30:33], v146 offset:1568
	v_accvgpr_write_b32 a185, v5
	ds_read_b128 v[34:37], v146 offset:1584
	v_accvgpr_write_b32 a184, v4
	v_accvgpr_write_b32 a183, v3
	;; [unrolled: 1-line block ×3, first 2 shown]
	v_add_f64 v[26:27], v[110:111], v[26:27]
	v_fma_f64 v[22:23], v[184:185], v[60:61], -v[42:43]
	v_mul_f64 v[42:43], v[190:191], v[54:55]
	v_fma_f64 v[20:21], v[188:189], v[56:57], -v[42:43]
	v_mul_f64 v[42:43], v[194:195], v[96:97]
	v_mul_f64 v[12:13], v[198:199], v[64:65]
	;; [unrolled: 1-line block ×4, first 2 shown]
	v_fma_f64 v[2:3], v[234:235], v[80:81], -v[78:79]
	v_mul_f64 v[86:87], v[240:241], v[86:87]
	v_fma_f64 v[240:241], v[238:239], v[88:89], -v[86:87]
	v_mul_f64 v[90:91], v[244:245], v[90:91]
	v_fma_f64 v[90:91], v[242:243], v[92:93], -v[90:91]
	v_accvgpr_write_b32 a211, v91
	v_accvgpr_write_b32 a210, v90
	s_waitcnt vmcnt(22) lgkmcnt(3)
	v_mul_f64 v[28:29], v[126:127], v[18:19]
	v_accvgpr_write_b32 a205, v19
	s_waitcnt vmcnt(20)
	v_fmac_f64_e32 v[28:29], v[128:129], v[0:1]
	s_waitcnt vmcnt(18) lgkmcnt(2)
	v_mul_f64 v[4:5], v[118:119], v[14:15]
	v_add_f64 v[38:39], v[26:27], v[28:29]
	s_waitcnt vmcnt(16)
	v_fmac_f64_e32 v[4:5], v[120:121], v[152:153]
	v_add_f64 v[4:5], v[38:39], v[4:5]
	s_waitcnt vmcnt(13) lgkmcnt(1)
	v_mul_f64 v[38:39], v[30:31], v[150:151]
	s_waitcnt vmcnt(11)
	v_fmac_f64_e32 v[38:39], v[32:33], v[144:145]
	v_add_f64 v[4:5], v[4:5], v[38:39]
	s_waitcnt vmcnt(10) lgkmcnt(0)
	v_mul_f64 v[38:39], v[34:35], v[40:41]
	v_accvgpr_write_b32 a207, v1
	s_waitcnt vmcnt(8)
	v_fmac_f64_e32 v[38:39], v[36:37], v[136:137]
	v_accvgpr_write_b32 a206, v0
	v_pk_mov_b32 v[0:1], v[40:41], v[40:41] op_sel:[0,1]
	v_add_f64 v[110:111], v[4:5], v[38:39]
	ds_read_b128 v[38:41], v146 offset:1600
	buffer_load_dword v27, off, s[0:3], 0 offset:700
	buffer_load_dword v26, off, s[0:3], 0 offset:696
	;; [unrolled: 1-line block ×9, first 2 shown]
	v_mul_f64 v[4:5], v[174:175], v[44:45]
	v_fma_f64 v[112:113], v[172:173], v[46:47], -v[4:5]
	buffer_load_dword v175, off, s[0:3], 0 offset:732
	buffer_load_dword v174, off, s[0:3], 0 offset:728
	;; [unrolled: 1-line block ×19, first 2 shown]
	v_accvgpr_write_b32 a209, v15
	v_accvgpr_write_b32 a204, v18
	;; [unrolled: 1-line block ×3, first 2 shown]
	v_fma_f64 v[18:19], v[192:193], v[98:99], -v[42:43]
	v_fma_f64 v[14:15], v[196:197], v[66:67], -v[12:13]
	buffer_load_dword v191, off, s[0:3], 0 offset:812
	buffer_load_dword v190, off, s[0:3], 0 offset:808
	buffer_load_dword v195, off, s[0:3], 0 offset:804
	buffer_load_dword v194, off, s[0:3], 0 offset:800
	buffer_load_dword v193, off, s[0:3], 0 offset:828
	buffer_load_dword v192, off, s[0:3], 0 offset:824
	buffer_load_dword v197, off, s[0:3], 0 offset:820
	buffer_load_dword v196, off, s[0:3], 0 offset:816
	v_mul_f64 v[42:43], v[202:203], v[208:209]
	v_fma_f64 v[246:247], v[200:201], v[246:247], -v[42:43]
	buffer_load_dword v201, off, s[0:3], 0 offset:844
	buffer_load_dword v200, off, s[0:3], 0 offset:840
	;; [unrolled: 1-line block ×4, first 2 shown]
	v_mul_f64 v[42:43], v[206:207], v[62:63]
	v_fma_f64 v[12:13], v[204:205], v[108:109], -v[42:43]
	buffer_load_dword v198, off, s[0:3], 0 offset:872
	buffer_load_dword v207, off, s[0:3], 0 offset:860
	;; [unrolled: 1-line block ×8, first 2 shown]
	ds_read_b128 v[42:45], v146 offset:1616
	buffer_load_dword v211, off, s[0:3], 0 offset:892
	buffer_load_dword v210, off, s[0:3], 0 offset:888
	;; [unrolled: 1-line block ×4, first 2 shown]
	v_mul_f64 v[62:63], v[224:225], v[68:69]
	v_fma_f64 v[8:9], v[222:223], v[70:71], -v[62:63]
	ds_read_b128 v[62:65], v146 offset:1696
	v_fma_f64 v[4:5], v[230:231], v[76:77], -v[74:75]
	ds_read_b128 v[78:81], v146 offset:1760
	ds_read_b128 v[86:89], v146 offset:1792
	;; [unrolled: 1-line block ×4, first 2 shown]
	s_waitcnt vmcnt(58) lgkmcnt(6)
	v_mul_f64 v[46:47], v[38:39], v[158:159]
	s_waitcnt vmcnt(54)
	v_fmac_f64_e32 v[46:47], v[40:41], v[160:161]
	s_waitcnt vmcnt(53) lgkmcnt(5)
	v_mul_f64 v[48:49], v[42:43], v[134:135]
	v_add_f64 v[46:47], v[110:111], v[46:47]
	v_fma_f64 v[110:111], v[214:215], v[94:95], -v[50:51]
	s_waitcnt vmcnt(52)
	v_fmac_f64_e32 v[48:49], v[44:45], v[138:139]
	v_add_f64 v[54:55], v[46:47], v[48:49]
	ds_read_b128 v[46:49], v146 offset:1632
	ds_read_b128 v[50:53], v146 offset:1648
	s_waitcnt vmcnt(50) lgkmcnt(1)
	v_mul_f64 v[56:57], v[46:47], v[26:27]
	s_waitcnt vmcnt(48)
	v_fmac_f64_e32 v[56:57], v[48:49], v[168:169]
	v_add_f64 v[58:59], v[54:55], v[56:57]
	v_mul_f64 v[54:55], v[220:221], v[100:101]
	v_fma_f64 v[10:11], v[218:219], v[102:103], -v[54:55]
	ds_read_b128 v[54:57], v146 offset:1664
	s_waitcnt vmcnt(46) lgkmcnt(1)
	v_mul_f64 v[60:61], v[50:51], v[166:167]
	s_waitcnt vmcnt(44)
	v_fmac_f64_e32 v[60:61], v[52:53], v[170:171]
	v_add_f64 v[66:67], v[58:59], v[60:61]
	ds_read_b128 v[58:61], v146 offset:1680
	s_waitcnt vmcnt(41) lgkmcnt(1)
	v_mul_f64 v[68:69], v[54:55], v[174:175]
	s_waitcnt vmcnt(39)
	v_fmac_f64_e32 v[68:69], v[56:57], v[178:179]
	v_add_f64 v[70:71], v[66:67], v[68:69]
	v_mul_f64 v[66:67], v[228:229], v[72:73]
	v_fma_f64 v[6:7], v[226:227], v[82:83], -v[66:67]
	ds_read_b128 v[66:69], v146 offset:1712
	s_waitcnt vmcnt(38) lgkmcnt(1)
	v_mul_f64 v[84:85], v[58:59], v[164:165]
	s_waitcnt vmcnt(36)
	v_fmac_f64_e32 v[84:85], v[60:61], v[176:177]
	s_waitcnt vmcnt(33)
	v_mul_f64 v[72:73], v[62:63], v[182:183]
	v_add_f64 v[70:71], v[70:71], v[84:85]
	s_waitcnt vmcnt(31)
	v_fmac_f64_e32 v[72:73], v[64:65], v[184:185]
	v_add_f64 v[70:71], v[70:71], v[72:73]
	s_waitcnt vmcnt(29) lgkmcnt(0)
	v_mul_f64 v[72:73], v[66:67], v[172:173]
	s_waitcnt vmcnt(28)
	v_fmac_f64_e32 v[72:73], v[68:69], v[180:181]
	v_add_f64 v[82:83], v[70:71], v[72:73]
	ds_read_b128 v[70:73], v146 offset:1728
	s_waitcnt vmcnt(26) lgkmcnt(0)
	v_mul_f64 v[84:85], v[70:71], v[186:187]
	s_waitcnt vmcnt(24)
	v_fmac_f64_e32 v[84:85], v[72:73], v[188:189]
	v_add_f64 v[28:29], v[82:83], v[84:85]
	s_waitcnt vmcnt(22)
	v_mul_f64 v[82:83], v[74:75], v[190:191]
	s_waitcnt vmcnt(20)
	v_fmac_f64_e32 v[82:83], v[76:77], v[194:195]
	v_add_f64 v[28:29], v[28:29], v[82:83]
	s_waitcnt vmcnt(18)
	v_mul_f64 v[82:83], v[78:79], v[192:193]
	s_waitcnt vmcnt(16)
	v_fmac_f64_e32 v[82:83], v[80:81], v[196:197]
	v_add_f64 v[28:29], v[28:29], v[82:83]
	ds_read_b128 v[82:85], v146 offset:1776
	s_waitcnt vmcnt(14) lgkmcnt(0)
	v_mul_f64 v[94:95], v[82:83], v[200:201]
	s_waitcnt vmcnt(12)
	v_fmac_f64_e32 v[94:95], v[84:85], v[202:203]
	v_add_f64 v[28:29], v[28:29], v[94:95]
	s_waitcnt vmcnt(9)
	v_mul_f64 v[94:95], v[86:87], v[206:207]
	s_waitcnt vmcnt(7)
	v_fmac_f64_e32 v[94:95], v[88:89], v[208:209]
	v_add_f64 v[28:29], v[28:29], v[94:95]
	s_waitcnt vmcnt(5)
	v_mul_f64 v[94:95], v[90:91], v[198:199]
	s_waitcnt vmcnt(4)
	v_fmac_f64_e32 v[94:95], v[92:93], v[204:205]
	v_add_f64 v[28:29], v[28:29], v[94:95]
	ds_read_b128 v[94:97], v146 offset:1824
	buffer_load_dword v214, off, s[0:3], 0 offset:904
	buffer_load_dword v215, off, s[0:3], 0 offset:908
	buffer_load_dword v216, off, s[0:3], 0 offset:896
	buffer_load_dword v217, off, s[0:3], 0 offset:900
	s_waitcnt vmcnt(6) lgkmcnt(0)
	v_mul_f64 v[98:99], v[94:95], v[210:211]
	s_waitcnt vmcnt(4)
	v_fmac_f64_e32 v[98:99], v[96:97], v[212:213]
	v_add_f64 v[28:29], v[28:29], v[98:99]
	ds_read_b128 v[98:101], v146 offset:1840
	buffer_load_dword v219, off, s[0:3], 0 offset:924
	buffer_load_dword v218, off, s[0:3], 0 offset:920
	buffer_load_dword v221, off, s[0:3], 0 offset:916
	buffer_load_dword v220, off, s[0:3], 0 offset:912
	s_waitcnt vmcnt(6) lgkmcnt(0)
	;; [unrolled: 10-line block ×3, first 2 shown]
	v_mul_f64 v[106:107], v[102:103], v[218:219]
	s_waitcnt vmcnt(4)
	v_fmac_f64_e32 v[106:107], v[104:105], v[220:221]
	v_add_f64 v[28:29], v[28:29], v[106:107]
	ds_read_b128 v[106:109], v146 offset:1872
	s_waitcnt vmcnt(2) lgkmcnt(0)
	v_mul_f64 v[226:227], v[106:107], v[222:223]
	s_waitcnt vmcnt(0)
	v_fmac_f64_e32 v[226:227], v[108:109], v[224:225]
	v_add_f64 v[28:29], v[28:29], v[226:227]
	buffer_load_dword v227, off, s[0:3], 0 offset:956
	buffer_load_dword v226, off, s[0:3], 0 offset:952
	;; [unrolled: 1-line block ×4, first 2 shown]
	ds_read_b128 v[230:233], v146 offset:1888
	buffer_load_dword v242, off, s[0:3], 0 offset:968
	buffer_load_dword v243, off, s[0:3], 0 offset:972
	buffer_load_dword v244, off, s[0:3], 0 offset:960
	buffer_load_dword v245, off, s[0:3], 0 offset:964
	s_waitcnt vmcnt(6) lgkmcnt(0)
	v_mul_f64 v[234:235], v[230:231], v[226:227]
	s_waitcnt vmcnt(4)
	v_fmac_f64_e32 v[234:235], v[232:233], v[238:239]
	v_add_f64 v[28:29], v[28:29], v[234:235]
	ds_read_b128 v[234:237], v146 offset:1904
	s_waitcnt vmcnt(2) lgkmcnt(0)
	v_mul_f64 v[228:229], v[234:235], v[242:243]
	s_waitcnt vmcnt(0)
	v_fmac_f64_e32 v[228:229], v[236:237], v[244:245]
	v_add_f64 v[28:29], v[28:29], v[228:229]
	v_add_f64 v[228:229], v[248:249], 0
	v_add_f64 v[228:229], v[228:229], v[252:253]
	v_add_f64 v[228:229], v[228:229], v[254:255]
	v_add_f64 v[228:229], v[228:229], v[250:251]
	v_add_f64 v[24:25], v[228:229], v[24:25]
	v_add_f64 v[24:25], v[24:25], v[162:163]
	v_add_f64 v[24:25], v[24:25], v[112:113]
	v_add_f64 v[24:25], v[24:25], v[114:115]
	v_add_f64 v[24:25], v[24:25], v[116:117]
	v_add_f64 v[22:23], v[24:25], v[22:23]
	v_add_f64 v[20:21], v[22:23], v[20:21]
	v_add_f64 v[18:19], v[20:21], v[18:19]
	v_add_f64 v[14:15], v[18:19], v[14:15]
	v_add_f64 v[14:15], v[14:15], v[246:247]
	v_add_f64 v[12:13], v[14:15], v[12:13]
	v_add_f64 v[12:13], v[12:13], v[16:17]
	buffer_load_dword v248, off, s[0:3], 0 offset:112
	buffer_load_dword v249, off, s[0:3], 0 offset:116
	v_add_f64 v[12:13], v[12:13], v[110:111]
	buffer_load_dword v246, off, s[0:3], 0 offset:120
	buffer_load_dword v247, off, s[0:3], 0 offset:124
	v_add_f64 v[10:11], v[12:13], v[10:11]
	v_add_f64 v[8:9], v[10:11], v[8:9]
	;; [unrolled: 1-line block ×6, first 2 shown]
	v_accvgpr_read_b32 v2, a210
	v_accvgpr_read_b32 v6, a186
	;; [unrolled: 1-line block ×3, first 2 shown]
	v_mul_f64 v[4:5], v[142:143], v[148:149]
	v_accvgpr_read_b32 v7, a187
	v_add_f64 v[2:3], v[252:253], v[2:3]
	v_fma_f64 v[4:5], v[140:141], v[6:7], -v[4:5]
	v_add_f64 v[2:3], v[2:3], v[4:5]
	v_accvgpr_read_b32 v6, a182
	v_accvgpr_read_b32 v4, a188
	;; [unrolled: 1-line block ×5, first 2 shown]
	v_mul_f64 v[4:5], v[8:9], v[4:5]
	v_accvgpr_read_b32 v8, a190
	v_accvgpr_read_b32 v7, a183
	v_accvgpr_read_b32 v9, a191
	v_fma_f64 v[4:5], v[6:7], v[8:9], -v[4:5]
	v_add_f64 v[2:3], v[2:3], v[4:5]
	v_accvgpr_read_b32 v4, a192
	v_accvgpr_read_b32 v5, a193
	v_accvgpr_read_b32 v6, a194
	v_mul_f64 v[4:5], v[132:133], v[4:5]
	v_accvgpr_read_b32 v7, a195
	v_fma_f64 v[4:5], v[130:131], v[6:7], -v[4:5]
	v_add_f64 v[2:3], v[2:3], v[4:5]
	v_accvgpr_read_b32 v4, a196
	v_accvgpr_read_b32 v5, a197
	v_accvgpr_read_b32 v6, a198
	v_mul_f64 v[4:5], v[124:125], v[4:5]
	v_accvgpr_read_b32 v7, a199
	;; [unrolled: 7-line block ×4, first 2 shown]
	v_fma_f64 v[4:5], v[126:127], v[6:7], -v[4:5]
	v_add_f64 v[2:3], v[2:3], v[4:5]
	v_accvgpr_read_b32 v4, a208
	v_accvgpr_read_b32 v5, a209
	v_mul_f64 v[4:5], v[120:121], v[4:5]
	v_fma_f64 v[4:5], v[118:119], v[152:153], -v[4:5]
	v_add_f64 v[2:3], v[2:3], v[4:5]
	v_mul_f64 v[4:5], v[32:33], v[150:151]
	v_fma_f64 v[4:5], v[30:31], v[144:145], -v[4:5]
	v_add_f64 v[2:3], v[2:3], v[4:5]
	;; [unrolled: 3-line block ×23, first 2 shown]
	v_accvgpr_read_b32 v0, a179
	s_waitcnt vmcnt(2)
	v_add_f64 v[2:3], v[248:249], -v[2:3]
	v_cmp_lt_u32_e32 vcc, 5, v0
	s_waitcnt vmcnt(0)
	v_add_f64 v[4:5], v[246:247], -v[28:29]
	buffer_store_dword v3, off, s[0:3], 0 offset:116
	buffer_store_dword v2, off, s[0:3], 0 offset:112
	;; [unrolled: 1-line block ×4, first 2 shown]
	s_and_saveexec_b64 s[4:5], vcc
	s_cbranch_execz .LBB123_363
; %bb.362:
	v_accvgpr_read_b32 v0, a174
	buffer_load_dword v2, v0, s[0:3], 0 offen
	buffer_load_dword v3, v0, s[0:3], 0 offen offset:4
	buffer_load_dword v4, v0, s[0:3], 0 offen offset:8
	;; [unrolled: 1-line block ×3, first 2 shown]
	v_accvgpr_read_b32 v0, a180
	buffer_store_dword v146, off, s[0:3], 0 offset:96
	buffer_store_dword v146, off, s[0:3], 0 offset:100
	;; [unrolled: 1-line block ×4, first 2 shown]
	s_waitcnt vmcnt(4)
	ds_write_b128 v0, v[2:5]
.LBB123_363:
	s_or_b64 exec, exec, s[4:5]
	s_waitcnt lgkmcnt(0)
	; wave barrier
	s_waitcnt lgkmcnt(0)
	buffer_load_dword v140, off, s[0:3], 0 offset:112
	buffer_load_dword v141, off, s[0:3], 0 offset:116
	;; [unrolled: 1-line block ×42, first 2 shown]
	ds_read_b128 v[14:17], v146 offset:1056
	ds_read_b128 v[26:29], v146 offset:1072
	;; [unrolled: 1-line block ×10, first 2 shown]
	buffer_load_dword v105, off, s[0:3], 0 offset:260
	buffer_load_dword v104, off, s[0:3], 0 offset:256
	ds_read_b128 v[42:45], v146 offset:1216
	buffer_load_dword v65, off, s[0:3], 0 offset:316
	buffer_load_dword v64, off, s[0:3], 0 offset:312
	;; [unrolled: 1-line block ×6, first 2 shown]
	s_waitcnt vmcnt(46) lgkmcnt(10)
	v_mul_f64 v[2:3], v[14:15], v[8:9]
	v_fmac_f64_e32 v[2:3], v[16:17], v[140:141]
	v_add_f64 v[2:3], v[2:3], 0
	v_mul_f64 v[8:9], v[16:17], v[8:9]
	s_waitcnt vmcnt(42) lgkmcnt(9)
	v_mul_f64 v[4:5], v[26:27], v[12:13]
	v_fmac_f64_e32 v[4:5], v[28:29], v[138:139]
	s_waitcnt vmcnt(40) lgkmcnt(8)
	v_mul_f64 v[66:67], v[106:107], v[18:19]
	v_add_f64 v[2:3], v[2:3], v[4:5]
	s_waitcnt vmcnt(38) lgkmcnt(6)
	v_mul_f64 v[72:73], v[114:115], v[30:31]
	v_mul_f64 v[12:13], v[28:29], v[12:13]
	s_waitcnt vmcnt(36)
	v_fmac_f64_e32 v[72:73], v[116:117], v[32:33]
	v_fma_f64 v[254:255], v[14:15], v[140:141], -v[8:9]
	s_waitcnt vmcnt(34)
	v_mul_f64 v[68:69], v[110:111], v[22:23]
	v_fma_f64 v[28:29], v[26:27], v[138:139], -v[12:13]
	s_waitcnt vmcnt(32) lgkmcnt(4)
	v_mul_f64 v[76:77], v[162:163], v[38:39]
	v_mul_f64 v[18:19], v[108:109], v[18:19]
	s_waitcnt vmcnt(30)
	v_fmac_f64_e32 v[76:77], v[164:165], v[40:41]
	v_mul_f64 v[22:23], v[112:113], v[22:23]
	s_waitcnt vmcnt(28)
	v_mul_f64 v[74:75], v[154:155], v[34:35]
	v_mul_f64 v[34:35], v[156:157], v[34:35]
	s_waitcnt vmcnt(26) lgkmcnt(2)
	v_mul_f64 v[80:81], v[170:171], v[52:53]
	v_mul_f64 v[30:31], v[116:117], v[30:31]
	;; [unrolled: 1-line block ×3, first 2 shown]
	s_waitcnt vmcnt(23)
	v_mul_f64 v[78:79], v[166:167], v[56:57]
	s_waitcnt vmcnt(21) lgkmcnt(1)
	v_mul_f64 v[142:143], v[46:47], v[50:51]
	v_mul_f64 v[12:13], v[48:49], v[50:51]
	s_waitcnt vmcnt(19)
	v_fmac_f64_e32 v[66:67], v[108:109], v[20:21]
	v_add_f64 v[2:3], v[2:3], v[66:67]
	s_waitcnt vmcnt(17)
	v_fmac_f64_e32 v[68:69], v[112:113], v[24:25]
	v_add_f64 v[2:3], v[2:3], v[68:69]
	;; [unrolled: 3-line block ×3, first 2 shown]
	v_add_f64 v[2:3], v[2:3], v[74:75]
	s_waitcnt vmcnt(13)
	v_fmac_f64_e32 v[78:79], v[168:169], v[58:59]
	v_add_f64 v[2:3], v[2:3], v[76:77]
	s_waitcnt vmcnt(12)
	v_fmac_f64_e32 v[80:81], v[172:173], v[54:55]
	v_add_f64 v[2:3], v[2:3], v[78:79]
	v_add_f64 v[2:3], v[2:3], v[80:81]
	buffer_load_dword v185, off, s[0:3], 0 offset:292
	buffer_load_dword v184, off, s[0:3], 0 offset:288
	;; [unrolled: 1-line block ×52, first 2 shown]
	s_waitcnt vmcnt(58)
	v_fmac_f64_e32 v[142:143], v[48:49], v[104:105]
	v_add_f64 v[2:3], v[2:3], v[142:143]
	v_fma_f64 v[108:109], v[114:115], v[32:33], -v[30:31]
	s_waitcnt vmcnt(0)
	v_pk_mov_b32 v[118:119], v[4:5], v[4:5] op_sel:[0,1]
	buffer_load_dword v5, off, s[0:3], 0 offset:532
	buffer_load_dword v4, off, s[0:3], 0 offset:528
	v_accvgpr_write_b32 a189, v119
	v_accvgpr_write_b32 a188, v118
	s_waitcnt vmcnt(0)
	v_pk_mov_b32 v[120:121], v[4:5], v[4:5] op_sel:[0,1]
	buffer_load_dword v5, off, s[0:3], 0 offset:524
	buffer_load_dword v4, off, s[0:3], 0 offset:520
	v_accvgpr_write_b32 a191, v121
	v_accvgpr_write_b32 a190, v120
	s_waitcnt vmcnt(0)
	v_pk_mov_b32 v[126:127], v[4:5], v[4:5] op_sel:[0,1]
	buffer_load_dword v5, off, s[0:3], 0 offset:516
	buffer_load_dword v4, off, s[0:3], 0 offset:512
	v_pk_mov_b32 v[148:149], v[126:127], v[126:127] op_sel:[0,1]
	s_waitcnt vmcnt(0)
	v_pk_mov_b32 v[128:129], v[4:5], v[4:5] op_sel:[0,1]
	buffer_load_dword v5, off, s[0:3], 0 offset:572
	buffer_load_dword v4, off, s[0:3], 0 offset:568
	v_accvgpr_write_b32 a187, v129
	v_accvgpr_write_b32 a186, v128
	s_waitcnt vmcnt(0)
	v_pk_mov_b32 v[122:123], v[4:5], v[4:5] op_sel:[0,1]
	buffer_load_dword v5, off, s[0:3], 0 offset:564
	buffer_load_dword v4, off, s[0:3], 0 offset:560
	v_accvgpr_write_b32 a197, v123
	v_accvgpr_write_b32 a196, v122
	;; [unrolled: 6-line block ×7, first 2 shown]
	s_waitcnt vmcnt(0)
	v_pk_mov_b32 v[182:183], v[4:5], v[4:5] op_sel:[0,1]
	buffer_load_dword v5, off, s[0:3], 0 offset:580
	buffer_load_dword v4, off, s[0:3], 0 offset:576
	ds_read_b128 v[174:177], v146 offset:1232
	ds_read_b128 v[190:193], v146 offset:1248
	;; [unrolled: 1-line block ×7, first 2 shown]
	buffer_load_dword v135, off, s[0:3], 0 offset:620
	buffer_load_dword v134, off, s[0:3], 0 offset:616
	v_accvgpr_write_b32 a205, v183
	v_accvgpr_write_b32 a204, v182
	s_waitcnt lgkmcnt(6)
	v_mul_f64 v[16:17], v[176:177], v[178:179]
	v_fma_f64 v[16:17], v[174:175], v[184:185], -v[16:17]
	s_waitcnt vmcnt(2)
	v_pk_mov_b32 v[186:187], v[4:5], v[4:5] op_sel:[0,1]
	v_mul_f64 v[4:5], v[42:43], v[60:61]
	v_fmac_f64_e32 v[4:5], v[44:45], v[62:63]
	v_add_f64 v[2:3], v[2:3], v[4:5]
	v_mul_f64 v[4:5], v[174:175], v[178:179]
	v_fmac_f64_e32 v[4:5], v[176:177], v[184:185]
	v_add_f64 v[2:3], v[2:3], v[4:5]
	s_waitcnt lgkmcnt(5)
	v_mul_f64 v[4:5], v[190:191], v[64:65]
	s_waitcnt vmcnt(0)
	v_pk_mov_b32 v[188:189], v[134:135], v[134:135] op_sel:[0,1]
	buffer_load_dword v135, off, s[0:3], 0 offset:612
	buffer_load_dword v134, off, s[0:3], 0 offset:608
	ds_read_b128 v[218:221], v146 offset:1344
	buffer_load_dword v136, off, s[0:3], 0 offset:632
	buffer_load_dword v137, off, s[0:3], 0 offset:636
	;; [unrolled: 1-line block ×4, first 2 shown]
	ds_read_b128 v[222:225], v146 offset:1360
	ds_read_b128 v[226:229], v146 offset:1376
	;; [unrolled: 1-line block ×4, first 2 shown]
	buffer_load_dword v7, off, s[0:3], 0 offset:652
	buffer_load_dword v6, off, s[0:3], 0 offset:648
	;; [unrolled: 1-line block ×4, first 2 shown]
	v_fmac_f64_e32 v[4:5], v[192:193], v[70:71]
	v_add_f64 v[2:3], v[2:3], v[4:5]
	s_waitcnt lgkmcnt(9)
	v_mul_f64 v[4:5], v[194:195], v[246:247]
	v_fmac_f64_e32 v[4:5], v[196:197], v[248:249]
	v_add_f64 v[2:3], v[2:3], v[4:5]
	s_waitcnt lgkmcnt(8)
	v_mul_f64 v[4:5], v[198:199], v[206:207]
	;; [unrolled: 4-line block ×8, first 2 shown]
	v_fmac_f64_e32 v[4:5], v[228:229], v[68:69]
	ds_read_b128 v[238:241], v146 offset:1424
	ds_read_b128 v[242:245], v146 offset:1440
	v_add_f64 v[2:3], v[2:3], v[4:5]
	s_waitcnt lgkmcnt(3)
	v_mul_f64 v[4:5], v[230:231], v[72:73]
	v_fmac_f64_e32 v[4:5], v[232:233], v[74:75]
	v_add_f64 v[2:3], v[2:3], v[4:5]
	s_waitcnt lgkmcnt(2)
	v_mul_f64 v[4:5], v[234:235], v[78:79]
	v_fmac_f64_e32 v[4:5], v[236:237], v[80:81]
	;; [unrolled: 4-line block ×4, first 2 shown]
	v_add_f64 v[158:159], v[2:3], v[4:5]
	ds_read_b128 v[2:5], v146 offset:1456
	ds_read_b128 v[142:145], v146 offset:1472
	;; [unrolled: 1-line block ×4, first 2 shown]
	v_accvgpr_write_b32 a207, v187
	s_waitcnt lgkmcnt(3)
	v_mul_f64 v[14:15], v[2:3], v[126:127]
	v_accvgpr_write_b32 a185, v5
	v_fmac_f64_e32 v[14:15], v[4:5], v[128:129]
	v_accvgpr_write_b32 a184, v4
	v_accvgpr_write_b32 a183, v3
	;; [unrolled: 1-line block ×3, first 2 shown]
	s_waitcnt lgkmcnt(2)
	v_mul_f64 v[4:5], v[142:143], v[118:119]
	s_waitcnt lgkmcnt(1)
	v_mul_f64 v[26:27], v[150:151], v[130:131]
	v_add_f64 v[14:15], v[158:159], v[14:15]
	v_fmac_f64_e32 v[4:5], v[144:145], v[120:121]
	v_fmac_f64_e32 v[26:27], v[152:153], v[132:133]
	ds_read_b128 v[130:133], v146 offset:1520
	ds_read_b128 v[126:129], v146 offset:1536
	v_add_f64 v[4:5], v[14:15], v[4:5]
	v_add_f64 v[4:5], v[4:5], v[26:27]
	s_waitcnt lgkmcnt(2)
	v_mul_f64 v[26:27], v[138:139], v[122:123]
	v_fmac_f64_e32 v[26:27], v[140:141], v[124:125]
	ds_read_b128 v[122:125], v146 offset:1552
	ds_read_b128 v[118:121], v146 offset:1568
	v_add_f64 v[4:5], v[4:5], v[26:27]
	s_waitcnt lgkmcnt(3)
	v_mul_f64 v[26:27], v[130:131], v[182:183]
	v_fmac_f64_e32 v[26:27], v[132:133], v[186:187]
	v_add_f64 v[4:5], v[4:5], v[26:27]
	s_waitcnt lgkmcnt(2)
	v_mul_f64 v[26:27], v[126:127], v[160:161]
	v_fma_f64 v[158:159], v[106:107], v[20:21], -v[18:19]
	v_fma_f64 v[106:107], v[110:111], v[24:25], -v[22:23]
	v_fmac_f64_e32 v[26:27], v[128:129], v[180:181]
	s_waitcnt lgkmcnt(1)
	v_mul_f64 v[110:111], v[122:123], v[188:189]
	v_add_f64 v[4:5], v[4:5], v[26:27]
	s_waitcnt vmcnt(8)
	v_fmac_f64_e32 v[110:111], v[124:125], v[134:135]
	s_waitcnt vmcnt(6) lgkmcnt(0)
	v_mul_f64 v[112:113], v[118:119], v[136:137]
	v_add_f64 v[4:5], v[4:5], v[110:111]
	v_fma_f64 v[110:111], v[154:155], v[36:37], -v[34:35]
	ds_read_b128 v[34:37], v146 offset:1584
	buffer_load_dword v155, off, s[0:3], 0 offset:668
	buffer_load_dword v154, off, s[0:3], 0 offset:664
	s_waitcnt vmcnt(6)
	v_fmac_f64_e32 v[112:113], v[120:121], v[10:11]
	v_add_f64 v[112:113], v[4:5], v[112:113]
	buffer_load_dword v161, off, s[0:3], 0 offset:660
	buffer_load_dword v160, off, s[0:3], 0 offset:656
	v_mul_f64 v[4:5], v[164:165], v[38:39]
	v_fma_f64 v[180:181], v[162:163], v[40:41], -v[4:5]
	buffer_load_dword v156, off, s[0:3], 0 offset:696
	buffer_load_dword v30, off, s[0:3], 0 offset:688
	;; [unrolled: 1-line block ×8, first 2 shown]
	v_mul_f64 v[38:39], v[168:169], v[56:57]
	v_fma_f64 v[20:21], v[166:167], v[58:59], -v[38:39]
	ds_read_b128 v[38:41], v146 offset:1600
	v_fma_f64 v[18:19], v[170:171], v[54:55], -v[52:53]
	buffer_load_dword v167, off, s[0:3], 0 offset:716
	buffer_load_dword v166, off, s[0:3], 0 offset:712
	;; [unrolled: 1-line block ×8, first 2 shown]
	s_waitcnt vmcnt(22) lgkmcnt(1)
	v_mul_f64 v[8:9], v[34:35], v[6:7]
	s_waitcnt vmcnt(20)
	v_fmac_f64_e32 v[8:9], v[36:37], v[0:1]
	v_add_f64 v[8:9], v[112:113], v[8:9]
	buffer_load_dword v177, off, s[0:3], 0 offset:748
	buffer_load_dword v176, off, s[0:3], 0 offset:744
	buffer_load_dword v113, off, s[0:3], 0 offset:740
	buffer_load_dword v112, off, s[0:3], 0 offset:736
	buffer_load_dword v179, off, s[0:3], 0 offset:764
	buffer_load_dword v178, off, s[0:3], 0 offset:760
	buffer_load_dword v183, off, s[0:3], 0 offset:756
	buffer_load_dword v182, off, s[0:3], 0 offset:752
	v_accvgpr_write_b32 a209, v189
	v_accvgpr_write_b32 a206, v186
	;; [unrolled: 1-line block ×3, first 2 shown]
	buffer_load_dword v174, off, s[0:3], 0 offset:792
	buffer_load_dword v187, off, s[0:3], 0 offset:780
	buffer_load_dword v186, off, s[0:3], 0 offset:776
	buffer_load_dword v189, off, s[0:3], 0 offset:772
	buffer_load_dword v188, off, s[0:3], 0 offset:768
	buffer_load_dword v184, off, s[0:3], 0 offset:784
	buffer_load_dword v175, off, s[0:3], 0 offset:796
	buffer_load_dword v185, off, s[0:3], 0 offset:788
	v_mul_f64 v[44:45], v[44:45], v[60:61]
	v_accvgpr_write_b32 a213, v137
	v_fma_f64 v[14:15], v[46:47], v[104:105], -v[12:13]
	v_fma_f64 v[12:13], v[42:43], v[62:63], -v[44:45]
	v_mul_f64 v[42:43], v[192:193], v[64:65]
	v_accvgpr_write_b32 a212, v136
	v_pk_mov_b32 v[136:137], v[10:11], v[10:11] op_sel:[0,1]
	v_fma_f64 v[10:11], v[190:191], v[70:71], -v[42:43]
	buffer_load_dword v191, off, s[0:3], 0 offset:812
	buffer_load_dword v190, off, s[0:3], 0 offset:808
	;; [unrolled: 1-line block ×4, first 2 shown]
	v_mul_f64 v[42:43], v[200:201], v[206:207]
	v_mul_f64 v[26:27], v[196:197], v[246:247]
	v_fma_f64 v[246:247], v[198:199], v[208:209], -v[42:43]
	buffer_load_dword v196, off, s[0:3], 0 offset:824
	buffer_load_dword v198, off, s[0:3], 0 offset:816
	;; [unrolled: 1-line block ×4, first 2 shown]
	v_mul_f64 v[42:43], v[204:205], v[250:251]
	v_fma_f64 v[26:27], v[194:195], v[248:249], -v[26:27]
	v_fma_f64 v[248:249], v[202:203], v[252:253], -v[42:43]
	buffer_load_dword v195, off, s[0:3], 0 offset:860
	buffer_load_dword v201, off, s[0:3], 0 offset:844
	;; [unrolled: 1-line block ×12, first 2 shown]
	v_mul_f64 v[46:47], v[212:213], v[96:97]
	ds_read_b128 v[42:45], v146 offset:1616
	v_fma_f64 v[250:251], v[210:211], v[98:99], -v[46:47]
	buffer_load_dword v210, off, s[0:3], 0 offset:888
	buffer_load_dword v212, off, s[0:3], 0 offset:880
	;; [unrolled: 1-line block ×4, first 2 shown]
	v_mul_f64 v[46:47], v[216:217], v[100:101]
	v_fma_f64 v[252:253], v[214:215], v[102:103], -v[46:47]
	ds_read_b128 v[46:49], v146 offset:1632
	v_accvgpr_write_b32 a211, v135
	v_mul_f64 v[54:55], v[220:221], v[76:77]
	v_accvgpr_write_b32 a210, v134
	v_pk_mov_b32 v[134:135], v[6:7], v[6:7] op_sel:[0,1]
	v_fma_f64 v[6:7], v[218:219], v[86:87], -v[54:55]
	ds_read_b128 v[54:57], v146 offset:1664
	v_mul_f64 v[66:67], v[228:229], v[66:67]
	ds_read_b128 v[58:61], v146 offset:1680
	v_fma_f64 v[4:5], v[226:227], v[68:69], -v[66:67]
	v_mul_f64 v[70:71], v[232:233], v[72:73]
	v_fma_f64 v[214:215], v[230:231], v[74:75], -v[70:71]
	ds_read_b128 v[70:73], v146 offset:1728
	ds_read_b128 v[74:77], v146 offset:1744
	;; [unrolled: 1-line block ×3, first 2 shown]
	s_waitcnt vmcnt(58) lgkmcnt(7)
	v_mul_f64 v[50:51], v[38:39], v[154:155]
	s_waitcnt vmcnt(56)
	v_fmac_f64_e32 v[50:51], v[40:41], v[160:161]
	v_add_f64 v[8:9], v[8:9], v[50:51]
	s_waitcnt vmcnt(52) lgkmcnt(6)
	v_mul_f64 v[50:51], v[42:43], v[162:163]
	s_waitcnt vmcnt(50)
	v_fmac_f64_e32 v[50:51], v[44:45], v[164:165]
	v_add_f64 v[8:9], v[8:9], v[50:51]
	;; [unrolled: 5-line block ×3, first 2 shown]
	ds_read_b128 v[50:53], v146 offset:1648
	s_waitcnt vmcnt(41) lgkmcnt(5)
	v_mul_f64 v[62:63], v[54:55], v[168:169]
	s_waitcnt vmcnt(40)
	v_fmac_f64_e32 v[62:63], v[56:57], v[172:173]
	s_waitcnt vmcnt(38) lgkmcnt(4)
	v_mul_f64 v[22:23], v[58:59], v[176:177]
	s_waitcnt vmcnt(36)
	v_fmac_f64_e32 v[22:23], v[60:61], v[112:113]
	s_waitcnt lgkmcnt(0)
	v_mul_f64 v[24:25], v[50:51], v[166:167]
	v_fmac_f64_e32 v[24:25], v[52:53], v[170:171]
	v_add_f64 v[8:9], v[8:9], v[24:25]
	v_add_f64 v[8:9], v[8:9], v[62:63]
	ds_read_b128 v[62:65], v146 offset:1696
	v_add_f64 v[8:9], v[8:9], v[22:23]
	v_mul_f64 v[24:25], v[224:225], v[88:89]
	ds_read_b128 v[86:89], v146 offset:1792
	v_fma_f64 v[24:25], v[222:223], v[94:95], -v[24:25]
	s_waitcnt vmcnt(34) lgkmcnt(1)
	v_mul_f64 v[22:23], v[62:63], v[178:179]
	s_waitcnt vmcnt(32)
	v_fmac_f64_e32 v[22:23], v[64:65], v[182:183]
	v_add_f64 v[8:9], v[8:9], v[22:23]
	s_waitcnt vmcnt(29)
	v_mul_f64 v[22:23], v[66:67], v[186:187]
	s_waitcnt vmcnt(27)
	v_fmac_f64_e32 v[22:23], v[68:69], v[188:189]
	v_add_f64 v[8:9], v[8:9], v[22:23]
	s_waitcnt vmcnt(25)
	v_mul_f64 v[22:23], v[70:71], v[174:175]
	s_waitcnt vmcnt(24)
	v_fmac_f64_e32 v[22:23], v[72:73], v[184:185]
	v_add_f64 v[8:9], v[8:9], v[22:23]
	v_mul_f64 v[22:23], v[236:237], v[78:79]
	v_fma_f64 v[2:3], v[234:235], v[80:81], -v[22:23]
	ds_read_b128 v[78:81], v146 offset:1760
	s_waitcnt vmcnt(22)
	v_mul_f64 v[22:23], v[74:75], v[190:191]
	s_waitcnt vmcnt(20)
	v_fmac_f64_e32 v[22:23], v[76:77], v[192:193]
	v_add_f64 v[22:23], v[8:9], v[22:23]
	v_mul_f64 v[8:9], v[240:241], v[82:83]
	v_fma_f64 v[8:9], v[238:239], v[84:85], -v[8:9]
	ds_read_b128 v[82:85], v146 offset:1776
	s_waitcnt vmcnt(17) lgkmcnt(1)
	v_mul_f64 v[32:33], v[78:79], v[196:197]
	s_waitcnt vmcnt(16)
	v_fmac_f64_e32 v[32:33], v[80:81], v[198:199]
	v_add_f64 v[22:23], v[22:23], v[32:33]
	v_mul_f64 v[32:33], v[244:245], v[90:91]
	v_fma_f64 v[236:237], v[242:243], v[92:93], -v[32:33]
	ds_read_b128 v[90:93], v146 offset:1808
	s_waitcnt vmcnt(13) lgkmcnt(1)
	v_mul_f64 v[32:33], v[82:83], v[200:201]
	s_waitcnt vmcnt(11)
	v_fmac_f64_e32 v[32:33], v[84:85], v[206:207]
	ds_read_b128 v[94:97], v146 offset:1824
	v_add_f64 v[22:23], v[22:23], v[32:33]
	s_waitcnt vmcnt(10)
	v_mul_f64 v[32:33], v[86:87], v[194:195]
	s_waitcnt vmcnt(8)
	v_fmac_f64_e32 v[32:33], v[88:89], v[204:205]
	v_add_f64 v[22:23], v[22:23], v[32:33]
	s_waitcnt vmcnt(6) lgkmcnt(1)
	v_mul_f64 v[32:33], v[90:91], v[202:203]
	s_waitcnt vmcnt(4)
	v_fmac_f64_e32 v[32:33], v[92:93], v[208:209]
	v_add_f64 v[22:23], v[22:23], v[32:33]
	s_waitcnt vmcnt(1) lgkmcnt(0)
	v_mul_f64 v[32:33], v[94:95], v[210:211]
	s_waitcnt vmcnt(0)
	v_fmac_f64_e32 v[32:33], v[96:97], v[212:213]
	v_add_f64 v[32:33], v[22:23], v[32:33]
	buffer_load_dword v23, off, s[0:3], 0 offset:908
	buffer_load_dword v22, off, s[0:3], 0 offset:904
	;; [unrolled: 1-line block ×4, first 2 shown]
	ds_read_b128 v[98:101], v146 offset:1840
	buffer_load_dword v218, off, s[0:3], 0 offset:920
	buffer_load_dword v219, off, s[0:3], 0 offset:924
	;; [unrolled: 1-line block ×4, first 2 shown]
	s_waitcnt vmcnt(6) lgkmcnt(0)
	v_mul_f64 v[102:103], v[98:99], v[22:23]
	s_waitcnt vmcnt(4)
	v_fmac_f64_e32 v[102:103], v[100:101], v[216:217]
	v_add_f64 v[32:33], v[32:33], v[102:103]
	ds_read_b128 v[102:105], v146 offset:1856
	buffer_load_dword v223, off, s[0:3], 0 offset:940
	buffer_load_dword v222, off, s[0:3], 0 offset:936
	buffer_load_dword v225, off, s[0:3], 0 offset:932
	buffer_load_dword v224, off, s[0:3], 0 offset:928
	ds_read_b128 v[228:231], v146 offset:1872
	buffer_load_dword v226, off, s[0:3], 0 offset:952
	buffer_load_dword v227, off, s[0:3], 0 offset:956
	buffer_load_dword v238, off, s[0:3], 0 offset:944
	buffer_load_dword v239, off, s[0:3], 0 offset:948
	;; [unrolled: 5-line block ×3, first 2 shown]
	s_waitcnt vmcnt(14) lgkmcnt(2)
	v_mul_f64 v[114:115], v[102:103], v[218:219]
	s_waitcnt vmcnt(12)
	v_fmac_f64_e32 v[114:115], v[104:105], v[220:221]
	v_add_f64 v[32:33], v[32:33], v[114:115]
	s_waitcnt vmcnt(10) lgkmcnt(1)
	v_mul_f64 v[114:115], v[228:229], v[222:223]
	s_waitcnt vmcnt(8)
	v_fmac_f64_e32 v[114:115], v[230:231], v[224:225]
	v_add_f64 v[32:33], v[32:33], v[114:115]
	;; [unrolled: 5-line block ×3, first 2 shown]
	ds_read_b128 v[114:117], v146 offset:1904
	s_waitcnt vmcnt(2) lgkmcnt(0)
	v_mul_f64 v[240:241], v[114:115], v[242:243]
	s_waitcnt vmcnt(0)
	v_fmac_f64_e32 v[240:241], v[116:117], v[244:245]
	v_add_f64 v[240:241], v[32:33], v[240:241]
	v_add_f64 v[32:33], v[254:255], 0
	;; [unrolled: 1-line block ×22, first 2 shown]
	buffer_load_dword v248, off, s[0:3], 0 offset:96
	buffer_load_dword v249, off, s[0:3], 0 offset:100
	;; [unrolled: 1-line block ×4, first 2 shown]
	v_add_f64 v[4:5], v[4:5], v[214:215]
	v_add_f64 v[254:255], v[4:5], v[2:3]
	;; [unrolled: 1-line block ×3, first 2 shown]
	v_accvgpr_read_b32 v6, a182
	v_accvgpr_read_b32 v8, a184
	;; [unrolled: 1-line block ×3, first 2 shown]
	v_mul_f64 v[4:5], v[8:9], v[148:149]
	v_accvgpr_read_b32 v8, a186
	v_accvgpr_read_b32 v7, a183
	;; [unrolled: 1-line block ×3, first 2 shown]
	v_add_f64 v[2:3], v[2:3], v[236:237]
	v_fma_f64 v[4:5], v[6:7], v[8:9], -v[4:5]
	v_add_f64 v[2:3], v[2:3], v[4:5]
	v_accvgpr_read_b32 v4, a188
	v_accvgpr_read_b32 v5, a189
	v_accvgpr_read_b32 v6, a190
	v_mul_f64 v[4:5], v[144:145], v[4:5]
	v_accvgpr_read_b32 v7, a191
	v_fma_f64 v[4:5], v[142:143], v[6:7], -v[4:5]
	v_add_f64 v[2:3], v[2:3], v[4:5]
	v_accvgpr_read_b32 v4, a192
	v_accvgpr_read_b32 v5, a193
	v_accvgpr_read_b32 v6, a194
	v_mul_f64 v[4:5], v[152:153], v[4:5]
	v_accvgpr_read_b32 v7, a195
	;; [unrolled: 7-line block ×6, first 2 shown]
	v_fma_f64 v[4:5], v[122:123], v[6:7], -v[4:5]
	v_add_f64 v[2:3], v[2:3], v[4:5]
	v_accvgpr_read_b32 v4, a212
	v_accvgpr_read_b32 v5, a213
	v_mul_f64 v[4:5], v[120:121], v[4:5]
	v_fma_f64 v[4:5], v[118:119], v[136:137], -v[4:5]
	v_add_f64 v[2:3], v[2:3], v[4:5]
	v_mul_f64 v[4:5], v[36:37], v[134:135]
	v_fma_f64 v[4:5], v[34:35], v[0:1], -v[4:5]
	v_add_f64 v[2:3], v[2:3], v[4:5]
	;; [unrolled: 3-line block ×22, first 2 shown]
	v_accvgpr_read_b32 v0, a179
	s_waitcnt vmcnt(2)
	v_add_f64 v[2:3], v[248:249], -v[2:3]
	v_cmp_lt_u32_e32 vcc, 4, v0
	s_waitcnt vmcnt(0)
	v_add_f64 v[4:5], v[246:247], -v[240:241]
	buffer_store_dword v3, off, s[0:3], 0 offset:100
	buffer_store_dword v2, off, s[0:3], 0 offset:96
	;; [unrolled: 1-line block ×4, first 2 shown]
	s_and_saveexec_b64 s[4:5], vcc
	s_cbranch_execz .LBB123_365
; %bb.364:
	v_accvgpr_read_b32 v0, a175
	buffer_load_dword v2, v0, s[0:3], 0 offen
	buffer_load_dword v3, v0, s[0:3], 0 offen offset:4
	buffer_load_dword v4, v0, s[0:3], 0 offen offset:8
	;; [unrolled: 1-line block ×3, first 2 shown]
	v_mov_b32_e32 v0, 0
	v_accvgpr_read_b32 v1, a180
	buffer_store_dword v0, off, s[0:3], 0 offset:80
	buffer_store_dword v0, off, s[0:3], 0 offset:84
	;; [unrolled: 1-line block ×4, first 2 shown]
	s_waitcnt vmcnt(4)
	ds_write_b128 v1, v[2:5]
.LBB123_365:
	s_or_b64 exec, exec, s[4:5]
	s_waitcnt lgkmcnt(0)
	; wave barrier
	s_waitcnt lgkmcnt(0)
	buffer_load_dword v132, off, s[0:3], 0 offset:96
	buffer_load_dword v133, off, s[0:3], 0 offset:100
	buffer_load_dword v4, off, s[0:3], 0 offset:104
	buffer_load_dword v5, off, s[0:3], 0 offset:108
	buffer_load_dword v14, off, s[0:3], 0 offset:112
	buffer_load_dword v15, off, s[0:3], 0 offset:116
	buffer_load_dword v8, off, s[0:3], 0 offset:120
	buffer_load_dword v9, off, s[0:3], 0 offset:124
	buffer_load_dword v2, off, s[0:3], 0 offset:136
	buffer_load_dword v3, off, s[0:3], 0 offset:140
	buffer_load_dword v27, off, s[0:3], 0 offset:172
	buffer_load_dword v26, off, s[0:3], 0 offset:168
	buffer_load_dword v29, off, s[0:3], 0 offset:164
	buffer_load_dword v28, off, s[0:3], 0 offset:160
	buffer_load_dword v19, off, s[0:3], 0 offset:156
	buffer_load_dword v18, off, s[0:3], 0 offset:152
	buffer_load_dword v35, off, s[0:3], 0 offset:204
	buffer_load_dword v34, off, s[0:3], 0 offset:200
	buffer_load_dword v37, off, s[0:3], 0 offset:196
	buffer_load_dword v36, off, s[0:3], 0 offset:192
	buffer_load_dword v255, off, s[0:3], 0 offset:188
	buffer_load_dword v254, off, s[0:3], 0 offset:184
	buffer_load_dword v39, off, s[0:3], 0 offset:236
	buffer_load_dword v38, off, s[0:3], 0 offset:232
	buffer_load_dword v40, off, s[0:3], 0 offset:224
	buffer_load_dword v45, off, s[0:3], 0 offset:220
	buffer_load_dword v44, off, s[0:3], 0 offset:216
	buffer_load_dword v43, off, s[0:3], 0 offset:252
	buffer_load_dword v42, off, s[0:3], 0 offset:248
	buffer_load_dword v16, off, s[0:3], 0 offset:128
	buffer_load_dword v17, off, s[0:3], 0 offset:132
	buffer_load_dword v21, off, s[0:3], 0 offset:148
	buffer_load_dword v20, off, s[0:3], 0 offset:144
	buffer_load_dword v33, off, s[0:3], 0 offset:180
	buffer_load_dword v32, off, s[0:3], 0 offset:176
	buffer_load_dword v47, off, s[0:3], 0 offset:212
	buffer_load_dword v46, off, s[0:3], 0 offset:208
	buffer_load_dword v41, off, s[0:3], 0 offset:228
	buffer_load_dword v48, off, s[0:3], 0 offset:264
	buffer_load_dword v50, off, s[0:3], 0 offset:256
	buffer_load_dword v51, off, s[0:3], 0 offset:260
	buffer_load_dword v49, off, s[0:3], 0 offset:268
	v_mov_b32_e32 v30, 0
	buffer_load_dword v83, off, s[0:3], 0 offset:244
	buffer_load_dword v82, off, s[0:3], 0 offset:240
	;; [unrolled: 1-line block ×7, first 2 shown]
	ds_read_b128 v[10:13], v30 offset:1040
	ds_read_b128 v[22:25], v30 offset:1056
	;; [unrolled: 1-line block ×11, first 2 shown]
	s_waitcnt vmcnt(45) lgkmcnt(10)
	v_mul_f64 v[56:57], v[10:11], v[4:5]
	v_fmac_f64_e32 v[56:57], v[12:13], v[132:133]
	v_add_f64 v[56:57], v[56:57], 0
	v_mul_f64 v[4:5], v[12:13], v[4:5]
	s_waitcnt vmcnt(41) lgkmcnt(9)
	v_mul_f64 v[58:59], v[22:23], v[8:9]
	v_fmac_f64_e32 v[58:59], v[24:25], v[14:15]
	s_waitcnt vmcnt(39) lgkmcnt(8)
	v_mul_f64 v[60:61], v[98:99], v[2:3]
	v_add_f64 v[56:57], v[56:57], v[58:59]
	s_waitcnt vmcnt(37) lgkmcnt(6)
	v_mul_f64 v[64:65], v[106:107], v[26:27]
	v_accvgpr_write_b32 a189, v3
	s_waitcnt vmcnt(35)
	v_fmac_f64_e32 v[64:65], v[108:109], v[28:29]
	v_accvgpr_write_b32 a188, v2
	s_waitcnt vmcnt(33)
	v_mul_f64 v[62:63], v[102:103], v[18:19]
	v_mul_f64 v[8:9], v[24:25], v[8:9]
	s_waitcnt vmcnt(31) lgkmcnt(4)
	v_mul_f64 v[68:69], v[114:115], v[34:35]
	v_fma_f64 v[132:133], v[10:11], v[132:133], -v[4:5]
	s_waitcnt vmcnt(29)
	v_fmac_f64_e32 v[68:69], v[116:117], v[36:37]
	v_mul_f64 v[26:27], v[108:109], v[26:27]
	s_waitcnt vmcnt(27)
	v_mul_f64 v[66:67], v[110:111], v[254:255]
	v_mul_f64 v[34:35], v[116:117], v[34:35]
	s_waitcnt vmcnt(25) lgkmcnt(2)
	v_mul_f64 v[74:75], v[164:165], v[38:39]
	v_mul_f64 v[18:19], v[104:105], v[18:19]
	s_waitcnt vmcnt(22)
	v_mul_f64 v[70:71], v[160:161], v[44:45]
	s_waitcnt vmcnt(20) lgkmcnt(1)
	v_mul_f64 v[138:139], v[170:171], v[42:43]
	v_mul_f64 v[12:13], v[172:173], v[42:43]
	s_waitcnt vmcnt(18)
	v_fmac_f64_e32 v[60:61], v[100:101], v[16:17]
	v_add_f64 v[56:57], v[56:57], v[60:61]
	s_waitcnt vmcnt(16)
	v_fmac_f64_e32 v[62:63], v[104:105], v[20:21]
	v_add_f64 v[56:57], v[56:57], v[62:63]
	;; [unrolled: 3-line block ×3, first 2 shown]
	v_add_f64 v[56:57], v[56:57], v[66:67]
	s_waitcnt vmcnt(12)
	v_fmac_f64_e32 v[70:71], v[162:163], v[46:47]
	v_add_f64 v[56:57], v[56:57], v[68:69]
	s_waitcnt vmcnt(11)
	v_fmac_f64_e32 v[74:75], v[166:167], v[40:41]
	v_add_f64 v[56:57], v[56:57], v[70:71]
	v_add_f64 v[140:141], v[56:57], v[74:75]
	buffer_load_dword v72, off, s[0:3], 0 offset:280
	buffer_load_dword v199, off, s[0:3], 0 offset:276
	;; [unrolled: 1-line block ×53, first 2 shown]
	s_waitcnt vmcnt(58)
	v_fmac_f64_e32 v[138:139], v[172:173], v[82:83]
	v_add_f64 v[138:139], v[140:141], v[138:139]
	s_waitcnt lgkmcnt(0)
	v_mul_f64 v[140:141], v[174:175], v[48:49]
	v_fmac_f64_e32 v[140:141], v[176:177], v[50:51]
	v_add_f64 v[138:139], v[138:139], v[140:141]
	s_waitcnt vmcnt(0)
	v_pk_mov_b32 v[120:121], v[90:91], v[90:91] op_sel:[0,1]
	buffer_load_dword v91, off, s[0:3], 0 offset:516
	buffer_load_dword v90, off, s[0:3], 0 offset:512
	s_waitcnt vmcnt(0)
	v_pk_mov_b32 v[122:123], v[90:91], v[90:91] op_sel:[0,1]
	buffer_load_dword v91, off, s[0:3], 0 offset:508
	buffer_load_dword v90, off, s[0:3], 0 offset:504
	;; [unrolled: 1-line block ×6, first 2 shown]
	v_accvgpr_write_b32 a187, v123
	v_accvgpr_write_b32 a186, v122
	s_waitcnt vmcnt(0)
	v_pk_mov_b32 v[124:125], v[118:119], v[118:119] op_sel:[0,1]
	buffer_load_dword v119, off, s[0:3], 0 offset:548
	buffer_load_dword v118, off, s[0:3], 0 offset:544
	v_accvgpr_write_b32 a201, v125
	v_accvgpr_write_b32 a200, v124
	s_waitcnt vmcnt(0)
	v_pk_mov_b32 v[126:127], v[118:119], v[118:119] op_sel:[0,1]
	buffer_load_dword v119, off, s[0:3], 0 offset:540
	buffer_load_dword v118, off, s[0:3], 0 offset:536
	;; [unrolled: 6-line block ×3, first 2 shown]
	buffer_load_dword v119, off, s[0:3], 0 offset:588
	buffer_load_dword v118, off, s[0:3], 0 offset:584
	v_accvgpr_write_b32 a193, v129
	v_accvgpr_write_b32 a192, v128
	s_waitcnt vmcnt(2)
	v_accvgpr_write_b32 a195, v1
	v_accvgpr_write_b32 a194, v0
	s_waitcnt vmcnt(0)
	v_pk_mov_b32 v[154:155], v[118:119], v[118:119] op_sel:[0,1]
	buffer_load_dword v119, off, s[0:3], 0 offset:580
	buffer_load_dword v118, off, s[0:3], 0 offset:576
	v_accvgpr_write_b32 a209, v155
	v_accvgpr_write_b32 a208, v154
	s_waitcnt vmcnt(0)
	v_pk_mov_b32 v[156:157], v[118:119], v[118:119] op_sel:[0,1]
	buffer_load_dword v119, off, s[0:3], 0 offset:572
	buffer_load_dword v118, off, s[0:3], 0 offset:568
	v_accvgpr_write_b32 a211, v157
	v_accvgpr_write_b32 a210, v156
	s_waitcnt vmcnt(0)
	v_pk_mov_b32 v[158:159], v[118:119], v[118:119] op_sel:[0,1]
	buffer_load_dword v119, off, s[0:3], 0 offset:564
	buffer_load_dword v118, off, s[0:3], 0 offset:560
	ds_read_b128 v[178:181], v30 offset:1216
	ds_read_b128 v[182:185], v30 offset:1232
	;; [unrolled: 1-line block ×6, first 2 shown]
	s_waitcnt lgkmcnt(5)
	v_mul_f64 v[140:141], v[178:179], v[72:73]
	v_fmac_f64_e32 v[140:141], v[180:181], v[198:199]
	v_add_f64 v[138:139], v[138:139], v[140:141]
	s_waitcnt lgkmcnt(4)
	v_mul_f64 v[140:141], v[182:183], v[54:55]
	v_fmac_f64_e32 v[140:141], v[184:185], v[52:53]
	v_add_f64 v[138:139], v[138:139], v[140:141]
	s_waitcnt lgkmcnt(3)
	v_mul_f64 v[140:141], v[186:187], v[208:209]
	v_fmac_f64_e32 v[140:141], v[188:189], v[246:247]
	ds_read_b128 v[210:213], v30 offset:1312
	v_add_f64 v[138:139], v[138:139], v[140:141]
	s_waitcnt lgkmcnt(3)
	v_mul_f64 v[140:141], v[190:191], v[200:201]
	v_fmac_f64_e32 v[140:141], v[192:193], v[202:203]
	v_add_f64 v[138:139], v[138:139], v[140:141]
	s_waitcnt lgkmcnt(2)
	v_mul_f64 v[140:141], v[194:195], v[250:251]
	v_fmac_f64_e32 v[140:141], v[196:197], v[252:253]
	s_waitcnt lgkmcnt(1)
	v_mul_f64 v[144:145], v[204:205], v[248:249]
	v_add_f64 v[142:143], v[138:139], v[140:141]
	v_fmac_f64_e32 v[144:145], v[206:207], v[96:97]
	s_waitcnt lgkmcnt(0)
	v_mul_f64 v[146:147], v[210:211], v[84:85]
	v_add_f64 v[144:145], v[142:143], v[144:145]
	v_fmac_f64_e32 v[146:147], v[212:213], v[94:95]
	v_add_f64 v[146:147], v[144:145], v[146:147]
	v_fma_f64 v[138:139], v[22:23], v[14:15], -v[8:9]
	v_accvgpr_read_b32 v8, a188
	v_accvgpr_read_b32 v9, a189
	v_pk_mov_b32 v[144:145], v[120:121], v[120:121] op_sel:[0,1]
	v_mul_f64 v[14:15], v[100:101], v[8:9]
	v_accvgpr_write_b32 a213, v159
	v_accvgpr_write_b32 a212, v158
	v_fma_f64 v[100:101], v[106:107], v[28:29], -v[26:27]
	v_fma_f64 v[26:27], v[114:115], v[36:37], -v[34:35]
	v_mul_f64 v[34:35], v[166:167], v[38:39]
	v_mul_f64 v[42:43], v[192:193], v[200:201]
	s_waitcnt vmcnt(0)
	v_pk_mov_b32 v[168:169], v[118:119], v[118:119] op_sel:[0,1]
	buffer_load_dword v7, off, s[0:3], 0 offset:604
	buffer_load_dword v6, off, s[0:3], 0 offset:600
	;; [unrolled: 1-line block ×4, first 2 shown]
	ds_read_b128 v[214:217], v30 offset:1328
	buffer_load_dword v134, off, s[0:3], 0 offset:616
	buffer_load_dword v135, off, s[0:3], 0 offset:620
	;; [unrolled: 1-line block ×4, first 2 shown]
	ds_read_b128 v[218:221], v30 offset:1344
	ds_read_b128 v[222:225], v30 offset:1360
	s_waitcnt lgkmcnt(2)
	v_mul_f64 v[148:149], v[214:215], v[56:57]
	ds_read_b128 v[226:229], v30 offset:1376
	ds_read_b128 v[230:233], v30 offset:1392
	v_fmac_f64_e32 v[148:149], v[216:217], v[58:59]
	v_add_f64 v[146:147], v[146:147], v[148:149]
	s_waitcnt lgkmcnt(3)
	v_mul_f64 v[148:149], v[218:219], v[60:61]
	v_fmac_f64_e32 v[148:149], v[220:221], v[70:71]
	v_add_f64 v[146:147], v[146:147], v[148:149]
	s_waitcnt lgkmcnt(2)
	v_mul_f64 v[148:149], v[222:223], v[62:63]
	buffer_load_dword v131, off, s[0:3], 0 offset:636
	buffer_load_dword v130, off, s[0:3], 0 offset:632
	;; [unrolled: 1-line block ×4, first 2 shown]
	ds_read_b128 v[234:237], v30 offset:1408
	ds_read_b128 v[238:241], v30 offset:1424
	v_fmac_f64_e32 v[148:149], v[224:225], v[64:65]
	s_waitcnt lgkmcnt(3)
	v_mul_f64 v[152:153], v[226:227], v[66:67]
	v_add_f64 v[150:151], v[146:147], v[148:149]
	v_fmac_f64_e32 v[152:153], v[228:229], v[68:69]
	v_add_f64 v[150:151], v[150:151], v[152:153]
	s_waitcnt lgkmcnt(2)
	v_mul_f64 v[152:153], v[230:231], v[74:75]
	ds_read_b128 v[242:245], v30 offset:1440
	ds_read_b128 v[140:143], v30 offset:1456
	v_fmac_f64_e32 v[152:153], v[232:233], v[76:77]
	v_add_f64 v[150:151], v[150:151], v[152:153]
	s_waitcnt lgkmcnt(3)
	v_mul_f64 v[152:153], v[234:235], v[78:79]
	v_fmac_f64_e32 v[152:153], v[236:237], v[80:81]
	ds_read_b128 v[22:25], v30 offset:1472
	v_add_f64 v[150:151], v[150:151], v[152:153]
	s_waitcnt lgkmcnt(3)
	v_mul_f64 v[152:153], v[238:239], v[86:87]
	v_fmac_f64_e32 v[152:153], v[240:241], v[88:89]
	s_waitcnt lgkmcnt(2)
	v_mul_f64 v[10:11], v[242:243], v[90:91]
	v_add_f64 v[150:151], v[150:151], v[152:153]
	v_fmac_f64_e32 v[10:11], v[244:245], v[92:93]
	s_waitcnt lgkmcnt(1)
	v_mul_f64 v[4:5], v[140:141], v[120:121]
	v_add_f64 v[10:11], v[150:151], v[10:11]
	v_fmac_f64_e32 v[4:5], v[142:143], v[122:123]
	ds_read_b128 v[120:123], v30 offset:1488
	v_add_f64 v[4:5], v[10:11], v[4:5]
	s_waitcnt lgkmcnt(1)
	v_pk_mov_b32 v[8:9], v[22:23], v[22:23] op_sel:[0,1]
	v_pk_mov_b32 v[10:11], v[24:25], v[24:25] op_sel:[0,1]
	v_mul_f64 v[22:23], v[8:9], v[128:129]
	v_accvgpr_write_b32 a191, v11
	v_fmac_f64_e32 v[22:23], v[10:11], v[0:1]
	v_accvgpr_write_b32 a190, v10
	v_accvgpr_write_b32 a189, v9
	;; [unrolled: 1-line block ×3, first 2 shown]
	ds_read_b128 v[8:11], v30 offset:1504
	v_accvgpr_write_b32 a185, v143
	v_accvgpr_write_b32 a184, v142
	;; [unrolled: 1-line block ×4, first 2 shown]
	ds_read_b128 v[140:143], v30 offset:1520
	v_add_f64 v[4:5], v[4:5], v[22:23]
	s_waitcnt lgkmcnt(2)
	v_mul_f64 v[22:23], v[120:121], v[124:125]
	v_fmac_f64_e32 v[22:23], v[122:123], v[126:127]
	v_add_f64 v[4:5], v[4:5], v[22:23]
	s_waitcnt lgkmcnt(1)
	v_mul_f64 v[22:23], v[8:9], v[158:159]
	v_accvgpr_write_b32 a199, v123
	v_fmac_f64_e32 v[22:23], v[10:11], v[168:169]
	v_accvgpr_write_b32 a198, v122
	v_accvgpr_write_b32 a197, v121
	;; [unrolled: 1-line block ×3, first 2 shown]
	v_add_f64 v[4:5], v[4:5], v[22:23]
	s_waitcnt lgkmcnt(0)
	v_mul_f64 v[22:23], v[140:141], v[154:155]
	ds_read_b128 v[126:129], v30 offset:1536
	ds_read_b128 v[146:149], v30 offset:1552
	;; [unrolled: 1-line block ×3, first 2 shown]
	buffer_load_dword v121, off, s[0:3], 0 offset:652
	buffer_load_dword v120, off, s[0:3], 0 offset:648
	v_fmac_f64_e32 v[22:23], v[142:143], v[156:157]
	buffer_load_dword v157, off, s[0:3], 0 offset:644
	buffer_load_dword v156, off, s[0:3], 0 offset:640
	;; [unrolled: 1-line block ×6, first 2 shown]
	v_accvgpr_write_b32 a207, v11
	v_accvgpr_write_b32 a206, v10
	;; [unrolled: 1-line block ×4, first 2 shown]
	v_mul_f64 v[8:9], v[162:163], v[44:45]
	buffer_load_dword v163, off, s[0:3], 0 offset:660
	buffer_load_dword v162, off, s[0:3], 0 offset:656
	;; [unrolled: 1-line block ×4, first 2 shown]
	v_accvgpr_write_b32 a215, v169
	v_fma_f64 v[150:151], v[98:99], v[16:17], -v[14:15]
	v_accvgpr_write_b32 a214, v168
	v_fma_f64 v[24:25], v[160:161], v[46:47], -v[8:9]
	v_fma_f64 v[16:17], v[164:165], v[40:41], -v[34:35]
	buffer_load_dword v160, off, s[0:3], 0 offset:712
	buffer_load_dword v165, off, s[0:3], 0 offset:700
	buffer_load_dword v164, off, s[0:3], 0 offset:696
	buffer_load_dword v169, off, s[0:3], 0 offset:692
	buffer_load_dword v168, off, s[0:3], 0 offset:688
	buffer_load_dword v166, off, s[0:3], 0 offset:704
	buffer_load_dword v161, off, s[0:3], 0 offset:716
	buffer_load_dword v167, off, s[0:3], 0 offset:708
	v_mul_f64 v[34:35], v[176:177], v[48:49]
	v_add_f64 v[4:5], v[4:5], v[22:23]
	v_fma_f64 v[14:15], v[170:171], v[82:83], -v[12:13]
	v_fma_f64 v[12:13], v[174:175], v[50:51], -v[34:35]
	v_mul_f64 v[22:23], v[180:181], v[72:73]
	buffer_load_dword v171, off, s[0:3], 0 offset:748
	buffer_load_dword v175, off, s[0:3], 0 offset:732
	;; [unrolled: 1-line block ×6, first 2 shown]
	v_fma_f64 v[22:23], v[178:179], v[198:199], -v[22:23]
	buffer_load_dword v179, off, s[0:3], 0 offset:740
	buffer_load_dword v178, off, s[0:3], 0 offset:736
	v_mul_f64 v[34:35], v[184:185], v[54:55]
	v_fma_f64 v[10:11], v[182:183], v[52:53], -v[34:35]
	buffer_load_dword v172, off, s[0:3], 0 offset:776
	buffer_load_dword v183, off, s[0:3], 0 offset:764
	;; [unrolled: 1-line block ×8, first 2 shown]
	v_fma_f64 v[98:99], v[102:103], v[20:21], -v[18:19]
	v_mul_f64 v[20:21], v[188:189], v[208:209]
	ds_read_b128 v[38:41], v30 offset:1584
	ds_read_b128 v[34:37], v30 offset:1600
	v_fma_f64 v[20:21], v[186:187], v[246:247], -v[20:21]
	buffer_load_dword v187, off, s[0:3], 0 offset:796
	buffer_load_dword v186, off, s[0:3], 0 offset:792
	;; [unrolled: 1-line block ×4, first 2 shown]
	v_fma_f64 v[246:247], v[190:191], v[202:203], -v[42:43]
	buffer_load_dword v190, off, s[0:3], 0 offset:808
	buffer_load_dword v192, off, s[0:3], 0 offset:800
	;; [unrolled: 1-line block ×4, first 2 shown]
	v_mul_f64 v[42:43], v[196:197], v[250:251]
	buffer_load_dword v197, off, s[0:3], 0 offset:828
	buffer_load_dword v196, off, s[0:3], 0 offset:824
	;; [unrolled: 1-line block ×8, first 2 shown]
	v_fma_f64 v[250:251], v[194:195], v[252:253], -v[42:43]
	v_mul_f64 v[42:43], v[206:207], v[248:249]
	v_fma_f64 v[248:249], v[204:205], v[96:97], -v[42:43]
	buffer_load_dword v194, off, s[0:3], 0 offset:872
	buffer_load_dword v207, off, s[0:3], 0 offset:860
	;; [unrolled: 1-line block ×8, first 2 shown]
	s_waitcnt vmcnt(62) lgkmcnt(4)
	v_mul_f64 v[102:103], v[126:127], v[6:7]
	v_fmac_f64_e32 v[102:103], v[128:129], v[118:119]
	s_waitcnt lgkmcnt(3)
	v_mul_f64 v[106:107], v[146:147], v[134:135]
	v_add_f64 v[102:103], v[4:5], v[102:103]
	v_fmac_f64_e32 v[106:107], v[148:149], v[2:3]
	s_waitcnt lgkmcnt(2)
	v_mul_f64 v[44:45], v[122:123], v[130:131]
	v_add_f64 v[102:103], v[102:103], v[106:107]
	s_waitcnt vmcnt(60)
	v_fmac_f64_e32 v[44:45], v[124:125], v[136:137]
	v_mul_f64 v[42:43], v[212:213], v[84:85]
	v_add_f64 v[46:47], v[102:103], v[44:45]
	v_fma_f64 v[252:253], v[210:211], v[94:95], -v[42:43]
	ds_read_b128 v[42:45], v30 offset:1616
	v_mul_f64 v[50:51], v[216:217], v[56:57]
	v_fma_f64 v[8:9], v[214:215], v[58:59], -v[50:51]
	ds_read_b128 v[50:53], v30 offset:1648
	v_accvgpr_write_b32 a217, v7
	v_mul_f64 v[62:63], v[224:225], v[62:63]
	v_accvgpr_write_b32 a216, v6
	v_fma_f64 v[6:7], v[222:223], v[64:65], -v[62:63]
	ds_read_b128 v[62:65], v30 offset:1696
	v_mul_f64 v[66:67], v[228:229], v[66:67]
	v_fma_f64 v[226:227], v[226:227], v[68:69], -v[66:67]
	ds_read_b128 v[66:69], v30 offset:1712
	v_mul_f64 v[4:5], v[112:113], v[254:255]
	v_mul_f64 v[78:79], v[236:237], v[78:79]
	v_fma_f64 v[104:105], v[110:111], v[32:33], -v[4:5]
	v_fma_f64 v[4:5], v[234:235], v[80:81], -v[78:79]
	ds_read_b128 v[78:81], v30 offset:1760
	v_mul_f64 v[86:87], v[240:241], v[86:87]
	v_pk_mov_b32 v[0:1], v[2:3], v[2:3] op_sel:[0,1]
	v_fma_f64 v[2:3], v[238:239], v[88:89], -v[86:87]
	ds_read_b128 v[86:89], v30 offset:1792
	v_mul_f64 v[90:91], v[244:245], v[90:91]
	v_fma_f64 v[32:33], v[242:243], v[92:93], -v[90:91]
	ds_read_b128 v[90:93], v30 offset:1808
	v_accvgpr_write_b32 a219, v119
	v_accvgpr_write_b32 a218, v118
	s_waitcnt vmcnt(58) lgkmcnt(8)
	v_mul_f64 v[48:49], v[38:39], v[120:121]
	s_waitcnt vmcnt(56)
	v_fmac_f64_e32 v[48:49], v[40:41], v[156:157]
	v_add_f64 v[46:47], v[46:47], v[48:49]
	s_waitcnt vmcnt(52) lgkmcnt(7)
	v_mul_f64 v[48:49], v[34:35], v[158:159]
	s_waitcnt vmcnt(50)
	v_fmac_f64_e32 v[48:49], v[36:37], v[162:163]
	v_add_f64 v[46:47], v[46:47], v[48:49]
	s_waitcnt vmcnt(49) lgkmcnt(6)
	v_mul_f64 v[48:49], v[42:43], v[152:153]
	s_waitcnt vmcnt(48)
	v_fmac_f64_e32 v[48:49], v[44:45], v[154:155]
	v_add_f64 v[54:55], v[46:47], v[48:49]
	ds_read_b128 v[46:49], v30 offset:1632
	s_waitcnt vmcnt(41) lgkmcnt(6)
	v_mul_f64 v[58:59], v[50:51], v[160:161]
	s_waitcnt lgkmcnt(0)
	v_mul_f64 v[18:19], v[46:47], v[164:165]
	v_fmac_f64_e32 v[18:19], v[48:49], v[168:169]
	v_add_f64 v[18:19], v[54:55], v[18:19]
	v_mul_f64 v[54:55], v[220:221], v[60:61]
	v_fma_f64 v[210:211], v[218:219], v[70:71], -v[54:55]
	ds_read_b128 v[54:57], v30 offset:1664
	s_waitcnt vmcnt(40)
	v_fmac_f64_e32 v[58:59], v[52:53], v[166:167]
	v_add_f64 v[18:19], v[18:19], v[58:59]
	ds_read_b128 v[58:61], v30 offset:1680
	ds_read_b128 v[70:73], v30 offset:1728
	s_waitcnt vmcnt(37) lgkmcnt(2)
	v_mul_f64 v[28:29], v[54:55], v[174:175]
	s_waitcnt vmcnt(35)
	v_fmac_f64_e32 v[28:29], v[56:57], v[176:177]
	v_add_f64 v[18:19], v[18:19], v[28:29]
	s_waitcnt vmcnt(34) lgkmcnt(1)
	v_mul_f64 v[28:29], v[58:59], v[170:171]
	s_waitcnt vmcnt(32)
	v_fmac_f64_e32 v[28:29], v[60:61], v[178:179]
	v_add_f64 v[18:19], v[18:19], v[28:29]
	s_waitcnt vmcnt(29)
	v_mul_f64 v[28:29], v[62:63], v[182:183]
	s_waitcnt vmcnt(27)
	v_fmac_f64_e32 v[28:29], v[64:65], v[184:185]
	v_add_f64 v[18:19], v[18:19], v[28:29]
	s_waitcnt vmcnt(25)
	v_mul_f64 v[28:29], v[66:67], v[172:173]
	s_waitcnt vmcnt(24)
	v_fmac_f64_e32 v[28:29], v[68:69], v[180:181]
	v_add_f64 v[18:19], v[18:19], v[28:29]
	v_mul_f64 v[28:29], v[232:233], v[74:75]
	v_fma_f64 v[28:29], v[230:231], v[76:77], -v[28:29]
	ds_read_b128 v[74:77], v30 offset:1744
	s_waitcnt vmcnt(22) lgkmcnt(1)
	v_mul_f64 v[82:83], v[70:71], v[186:187]
	s_waitcnt vmcnt(20)
	v_fmac_f64_e32 v[82:83], v[72:73], v[188:189]
	v_add_f64 v[18:19], v[18:19], v[82:83]
	s_waitcnt vmcnt(14)
	v_mul_f64 v[94:95], v[78:79], v[196:197]
	s_waitcnt lgkmcnt(0)
	v_mul_f64 v[82:83], v[74:75], v[190:191]
	v_fmac_f64_e32 v[82:83], v[76:77], v[192:193]
	v_add_f64 v[18:19], v[18:19], v[82:83]
	ds_read_b128 v[82:85], v30 offset:1776
	s_waitcnt vmcnt(12)
	v_fmac_f64_e32 v[94:95], v[80:81], v[200:201]
	v_add_f64 v[18:19], v[18:19], v[94:95]
	s_waitcnt vmcnt(10) lgkmcnt(0)
	v_mul_f64 v[94:95], v[82:83], v[198:199]
	s_waitcnt vmcnt(8)
	v_fmac_f64_e32 v[94:95], v[84:85], v[202:203]
	v_add_f64 v[18:19], v[18:19], v[94:95]
	s_waitcnt vmcnt(5)
	v_mul_f64 v[94:95], v[86:87], v[206:207]
	s_waitcnt vmcnt(3)
	v_fmac_f64_e32 v[94:95], v[88:89], v[208:209]
	v_add_f64 v[18:19], v[18:19], v[94:95]
	s_waitcnt vmcnt(1)
	v_mul_f64 v[94:95], v[90:91], v[194:195]
	s_waitcnt vmcnt(0)
	v_fmac_f64_e32 v[94:95], v[92:93], v[204:205]
	v_add_f64 v[102:103], v[18:19], v[94:95]
	buffer_load_dword v19, off, s[0:3], 0 offset:892
	buffer_load_dword v18, off, s[0:3], 0 offset:888
	buffer_load_dword v213, off, s[0:3], 0 offset:884
	buffer_load_dword v212, off, s[0:3], 0 offset:880
	ds_read_b128 v[94:97], v30 offset:1824
	buffer_load_dword v214, off, s[0:3], 0 offset:904
	buffer_load_dword v215, off, s[0:3], 0 offset:908
	buffer_load_dword v216, off, s[0:3], 0 offset:896
	buffer_load_dword v217, off, s[0:3], 0 offset:900
	ds_read_b128 v[228:231], v30 offset:1840
	buffer_load_dword v219, off, s[0:3], 0 offset:924
	buffer_load_dword v218, off, s[0:3], 0 offset:920
	buffer_load_dword v221, off, s[0:3], 0 offset:916
	buffer_load_dword v220, off, s[0:3], 0 offset:912
	ds_read_b128 v[232:235], v30 offset:1856
	buffer_load_dword v222, off, s[0:3], 0 offset:936
	buffer_load_dword v223, off, s[0:3], 0 offset:940
	;; [unrolled: 1-line block ×4, first 2 shown]
	s_waitcnt vmcnt(14) lgkmcnt(2)
	v_mul_f64 v[106:107], v[94:95], v[18:19]
	s_waitcnt vmcnt(12)
	v_fmac_f64_e32 v[106:107], v[96:97], v[212:213]
	v_add_f64 v[102:103], v[102:103], v[106:107]
	s_waitcnt vmcnt(10) lgkmcnt(1)
	v_mul_f64 v[106:107], v[228:229], v[214:215]
	s_waitcnt vmcnt(8)
	v_fmac_f64_e32 v[106:107], v[230:231], v[216:217]
	v_add_f64 v[102:103], v[102:103], v[106:107]
	;; [unrolled: 5-line block ×3, first 2 shown]
	ds_read_b128 v[106:109], v30 offset:1872
	buffer_load_dword v239, off, s[0:3], 0 offset:956
	buffer_load_dword v238, off, s[0:3], 0 offset:952
	;; [unrolled: 1-line block ×4, first 2 shown]
	s_waitcnt vmcnt(6) lgkmcnt(0)
	v_mul_f64 v[110:111], v[106:107], v[222:223]
	s_waitcnt vmcnt(4)
	v_fmac_f64_e32 v[110:111], v[108:109], v[224:225]
	v_add_f64 v[102:103], v[102:103], v[110:111]
	ds_read_b128 v[110:113], v30 offset:1888
	s_waitcnt vmcnt(2) lgkmcnt(0)
	v_mul_f64 v[114:115], v[110:111], v[238:239]
	s_waitcnt vmcnt(0)
	v_fmac_f64_e32 v[114:115], v[112:113], v[240:241]
	v_add_f64 v[242:243], v[102:103], v[114:115]
	buffer_load_dword v244, off, s[0:3], 0 offset:968
	buffer_load_dword v245, off, s[0:3], 0 offset:972
	;; [unrolled: 1-line block ×4, first 2 shown]
	ds_read_b128 v[114:117], v30 offset:1904
	s_waitcnt vmcnt(2) lgkmcnt(0)
	v_mul_f64 v[236:237], v[114:115], v[244:245]
	s_waitcnt vmcnt(0)
	v_fmac_f64_e32 v[236:237], v[116:117], v[102:103]
	v_add_f64 v[242:243], v[242:243], v[236:237]
	v_add_f64 v[236:237], v[132:133], 0
	;; [unrolled: 1-line block ×20, first 2 shown]
	buffer_load_dword v250, off, s[0:3], 0 offset:80
	buffer_load_dword v251, off, s[0:3], 0 offset:84
	v_add_f64 v[8:9], v[8:9], v[210:211]
	buffer_load_dword v248, off, s[0:3], 0 offset:88
	buffer_load_dword v249, off, s[0:3], 0 offset:92
	v_add_f64 v[6:7], v[8:9], v[6:7]
	v_add_f64 v[6:7], v[6:7], v[226:227]
	;; [unrolled: 1-line block ×4, first 2 shown]
	v_accvgpr_read_b32 v6, a182
	v_accvgpr_read_b32 v8, a184
	;; [unrolled: 1-line block ×3, first 2 shown]
	v_add_f64 v[226:227], v[4:5], v[2:3]
	v_mul_f64 v[4:5], v[8:9], v[144:145]
	v_accvgpr_read_b32 v8, a186
	v_accvgpr_read_b32 v7, a183
	;; [unrolled: 1-line block ×3, first 2 shown]
	v_add_f64 v[2:3], v[226:227], v[32:33]
	v_fma_f64 v[4:5], v[6:7], v[8:9], -v[4:5]
	v_add_f64 v[2:3], v[2:3], v[4:5]
	v_accvgpr_read_b32 v6, a188
	v_accvgpr_read_b32 v4, a192
	v_accvgpr_read_b32 v8, a190
	v_accvgpr_read_b32 v9, a191
	v_accvgpr_read_b32 v5, a193
	v_mul_f64 v[4:5], v[8:9], v[4:5]
	v_accvgpr_read_b32 v8, a194
	v_accvgpr_read_b32 v7, a189
	v_accvgpr_read_b32 v9, a195
	v_fma_f64 v[4:5], v[6:7], v[8:9], -v[4:5]
	v_add_f64 v[2:3], v[2:3], v[4:5]
	v_accvgpr_read_b32 v6, a196
	v_accvgpr_read_b32 v4, a200
	v_accvgpr_read_b32 v8, a198
	v_accvgpr_read_b32 v9, a199
	v_accvgpr_read_b32 v5, a201
	v_mul_f64 v[4:5], v[8:9], v[4:5]
	v_accvgpr_read_b32 v8, a202
	v_accvgpr_read_b32 v7, a197
	v_accvgpr_read_b32 v9, a203
	v_fma_f64 v[4:5], v[6:7], v[8:9], -v[4:5]
	v_add_f64 v[2:3], v[2:3], v[4:5]
	v_accvgpr_read_b32 v6, a204
	v_accvgpr_read_b32 v4, a212
	v_accvgpr_read_b32 v8, a206
	v_accvgpr_read_b32 v9, a207
	v_accvgpr_read_b32 v5, a213
	v_mul_f64 v[4:5], v[8:9], v[4:5]
	v_accvgpr_read_b32 v8, a214
	v_accvgpr_read_b32 v7, a205
	v_accvgpr_read_b32 v9, a215
	v_fma_f64 v[4:5], v[6:7], v[8:9], -v[4:5]
	v_add_f64 v[2:3], v[2:3], v[4:5]
	v_accvgpr_read_b32 v4, a208
	v_accvgpr_read_b32 v5, a209
	v_accvgpr_read_b32 v6, a210
	v_mul_f64 v[4:5], v[142:143], v[4:5]
	v_accvgpr_read_b32 v7, a211
	v_fma_f64 v[4:5], v[140:141], v[6:7], -v[4:5]
	v_add_f64 v[2:3], v[2:3], v[4:5]
	v_accvgpr_read_b32 v4, a216
	v_accvgpr_read_b32 v5, a217
	;; [unrolled: 1-line block ×3, first 2 shown]
	v_mul_f64 v[4:5], v[128:129], v[4:5]
	v_accvgpr_read_b32 v7, a219
	v_fma_f64 v[4:5], v[126:127], v[6:7], -v[4:5]
	v_add_f64 v[2:3], v[2:3], v[4:5]
	v_mul_f64 v[4:5], v[148:149], v[134:135]
	v_fma_f64 v[4:5], v[146:147], v[0:1], -v[4:5]
	v_add_f64 v[2:3], v[2:3], v[4:5]
	v_mul_f64 v[4:5], v[124:125], v[130:131]
	;; [unrolled: 3-line block ×23, first 2 shown]
	v_fma_f64 v[4:5], v[114:115], v[102:103], -v[4:5]
	v_add_f64 v[2:3], v[2:3], v[4:5]
	v_accvgpr_read_b32 v0, a179
	s_waitcnt vmcnt(2)
	v_add_f64 v[2:3], v[250:251], -v[2:3]
	v_cmp_lt_u32_e32 vcc, 3, v0
	s_waitcnt vmcnt(0)
	v_add_f64 v[4:5], v[248:249], -v[242:243]
	buffer_store_dword v3, off, s[0:3], 0 offset:84
	buffer_store_dword v2, off, s[0:3], 0 offset:80
	;; [unrolled: 1-line block ×4, first 2 shown]
	s_and_saveexec_b64 s[4:5], vcc
	s_cbranch_execz .LBB123_367
; %bb.366:
	v_accvgpr_read_b32 v0, a176
	buffer_load_dword v2, v0, s[0:3], 0 offen
	buffer_load_dword v3, v0, s[0:3], 0 offen offset:4
	buffer_load_dword v4, v0, s[0:3], 0 offen offset:8
	;; [unrolled: 1-line block ×3, first 2 shown]
	v_accvgpr_read_b32 v0, a180
	buffer_store_dword v30, off, s[0:3], 0 offset:64
	buffer_store_dword v30, off, s[0:3], 0 offset:68
	;; [unrolled: 1-line block ×4, first 2 shown]
	s_waitcnt vmcnt(4)
	ds_write_b128 v0, v[2:5]
.LBB123_367:
	s_or_b64 exec, exec, s[4:5]
	s_waitcnt lgkmcnt(0)
	; wave barrier
	s_waitcnt lgkmcnt(0)
	buffer_load_dword v4, off, s[0:3], 0 offset:80
	buffer_load_dword v5, off, s[0:3], 0 offset:84
	;; [unrolled: 1-line block ×42, first 2 shown]
	ds_read_b128 v[102:105], v30 offset:1024
	ds_read_b128 v[106:109], v30 offset:1040
	;; [unrolled: 1-line block ×10, first 2 shown]
	buffer_load_dword v167, off, s[0:3], 0 offset:228
	buffer_load_dword v166, off, s[0:3], 0 offset:224
	ds_read_b128 v[38:41], v30 offset:1184
	buffer_load_dword v87, off, s[0:3], 0 offset:284
	buffer_load_dword v86, off, s[0:3], 0 offset:280
	buffer_load_dword v61, off, s[0:3], 0 offset:276
	buffer_load_dword v60, off, s[0:3], 0 offset:272
	buffer_load_dword v99, off, s[0:3], 0 offset:268
	buffer_load_dword v98, off, s[0:3], 0 offset:264
	s_waitcnt vmcnt(46) lgkmcnt(10)
	v_mul_f64 v[56:57], v[102:103], v[10:11]
	v_fmac_f64_e32 v[56:57], v[104:105], v[4:5]
	v_add_f64 v[56:57], v[56:57], 0
	v_mul_f64 v[10:11], v[104:105], v[10:11]
	s_waitcnt vmcnt(42) lgkmcnt(9)
	v_mul_f64 v[58:59], v[106:107], v[8:9]
	v_fmac_f64_e32 v[58:59], v[108:109], v[2:3]
	s_waitcnt vmcnt(40) lgkmcnt(8)
	v_mul_f64 v[62:63], v[110:111], v[6:7]
	v_add_f64 v[56:57], v[56:57], v[58:59]
	s_waitcnt vmcnt(38) lgkmcnt(6)
	v_mul_f64 v[66:67], v[150:151], v[14:15]
	v_fma_f64 v[228:229], v[102:103], v[4:5], -v[10:11]
	s_waitcnt vmcnt(36)
	v_fmac_f64_e32 v[66:67], v[152:153], v[144:145]
	v_mul_f64 v[8:9], v[108:109], v[8:9]
	s_waitcnt vmcnt(34)
	v_mul_f64 v[64:65], v[114:115], v[146:147]
	v_fma_f64 v[248:249], v[106:107], v[2:3], -v[8:9]
	s_waitcnt vmcnt(32) lgkmcnt(4)
	v_mul_f64 v[70:71], v[158:159], v[26:27]
	v_mul_f64 v[6:7], v[112:113], v[6:7]
	s_waitcnt vmcnt(30)
	v_fmac_f64_e32 v[70:71], v[160:161], v[28:29]
	v_mul_f64 v[10:11], v[116:117], v[146:147]
	s_waitcnt vmcnt(28)
	v_mul_f64 v[68:69], v[154:155], v[18:19]
	v_mul_f64 v[14:15], v[152:153], v[14:15]
	s_waitcnt vmcnt(26) lgkmcnt(2)
	v_mul_f64 v[74:75], v[42:43], v[46:47]
	v_mul_f64 v[18:19], v[156:157], v[18:19]
	;; [unrolled: 1-line block ×3, first 2 shown]
	s_waitcnt vmcnt(23)
	v_mul_f64 v[72:73], v[162:163], v[16:17]
	s_waitcnt vmcnt(21) lgkmcnt(1)
	v_mul_f64 v[134:135], v[34:35], v[50:51]
	s_waitcnt vmcnt(19)
	v_fmac_f64_e32 v[62:63], v[112:113], v[24:25]
	v_add_f64 v[56:57], v[56:57], v[62:63]
	s_waitcnt vmcnt(17)
	v_fmac_f64_e32 v[64:65], v[116:117], v[22:23]
	v_add_f64 v[56:57], v[56:57], v[64:65]
	;; [unrolled: 3-line block ×3, first 2 shown]
	v_add_f64 v[56:57], v[56:57], v[68:69]
	s_waitcnt vmcnt(13)
	v_fmac_f64_e32 v[72:73], v[164:165], v[32:33]
	v_add_f64 v[56:57], v[56:57], v[70:71]
	s_waitcnt vmcnt(12)
	v_fmac_f64_e32 v[74:75], v[44:45], v[48:49]
	v_add_f64 v[56:57], v[56:57], v[72:73]
	v_add_f64 v[136:137], v[56:57], v[74:75]
	buffer_load_dword v175, off, s[0:3], 0 offset:260
	buffer_load_dword v174, off, s[0:3], 0 offset:256
	;; [unrolled: 1-line block ×60, first 2 shown]
	s_waitcnt vmcnt(62)
	v_fmac_f64_e32 v[134:135], v[36:37], v[166:167]
	v_add_f64 v[134:135], v[136:137], v[134:135]
	s_waitcnt lgkmcnt(0)
	v_mul_f64 v[136:137], v[38:39], v[52:53]
	v_fmac_f64_e32 v[136:137], v[40:41], v[54:55]
	v_add_f64 v[134:135], v[134:135], v[136:137]
	v_fma_f64 v[250:251], v[110:111], v[24:25], -v[6:7]
	v_fma_f64 v[116:117], v[154:155], v[20:21], -v[18:19]
	;; [unrolled: 1-line block ×3, first 2 shown]
	v_mul_f64 v[40:41], v[40:41], v[52:53]
	v_fma_f64 v[28:29], v[38:39], v[54:55], -v[40:41]
	v_mul_f64 v[44:45], v[44:45], v[46:47]
	s_waitcnt vmcnt(0)
	v_pk_mov_b32 v[120:121], v[118:119], v[118:119] op_sel:[0,1]
	buffer_load_dword v119, off, s[0:3], 0 offset:532
	buffer_load_dword v118, off, s[0:3], 0 offset:528
	v_accvgpr_write_b32 a199, v121
	v_accvgpr_write_b32 a198, v120
	s_waitcnt vmcnt(0)
	v_pk_mov_b32 v[122:123], v[118:119], v[118:119] op_sel:[0,1]
	buffer_load_dword v119, off, s[0:3], 0 offset:524
	buffer_load_dword v118, off, s[0:3], 0 offset:520
	v_accvgpr_write_b32 a201, v123
	v_accvgpr_write_b32 a200, v122
	;; [unrolled: 6-line block ×4, first 2 shown]
	s_waitcnt vmcnt(0)
	v_pk_mov_b32 v[124:125], v[118:119], v[118:119] op_sel:[0,1]
	buffer_load_dword v119, off, s[0:3], 0 offset:564
	buffer_load_dword v118, off, s[0:3], 0 offset:560
	;; [unrolled: 1-line block ×4, first 2 shown]
	v_accvgpr_write_b32 a207, v125
	v_accvgpr_write_b32 a206, v124
	s_waitcnt vmcnt(2)
	v_accvgpr_write_b32 a209, v119
	v_accvgpr_write_b32 a208, v118
	s_waitcnt vmcnt(0)
	v_pk_mov_b32 v[252:253], v[128:129], v[128:129] op_sel:[0,1]
	buffer_load_dword v129, off, s[0:3], 0 offset:548
	buffer_load_dword v128, off, s[0:3], 0 offset:544
	ds_read_b128 v[170:173], v30 offset:1200
	ds_read_b128 v[178:181], v30 offset:1216
	;; [unrolled: 1-line block ×6, first 2 shown]
	s_waitcnt lgkmcnt(5)
	v_mul_f64 v[136:137], v[170:171], v[98:99]
	v_fmac_f64_e32 v[136:137], v[172:173], v[174:175]
	v_add_f64 v[134:135], v[134:135], v[136:137]
	s_waitcnt lgkmcnt(4)
	v_mul_f64 v[136:137], v[178:179], v[86:87]
	v_fmac_f64_e32 v[136:137], v[180:181], v[60:61]
	v_add_f64 v[134:135], v[134:135], v[136:137]
	;; [unrolled: 4-line block ×3, first 2 shown]
	s_waitcnt lgkmcnt(2)
	v_mul_f64 v[136:137], v[186:187], v[198:199]
	v_fmac_f64_e32 v[136:137], v[188:189], v[204:205]
	ds_read_b128 v[200:203], v30 offset:1296
	ds_read_b128 v[210:213], v30 offset:1312
	v_add_f64 v[134:135], v[134:135], v[136:137]
	s_waitcnt lgkmcnt(3)
	v_mul_f64 v[136:137], v[190:191], v[226:227]
	v_fmac_f64_e32 v[136:137], v[192:193], v[242:243]
	v_add_f64 v[134:135], v[134:135], v[136:137]
	s_waitcnt lgkmcnt(2)
	v_mul_f64 v[136:137], v[194:195], v[96:97]
	v_fmac_f64_e32 v[136:137], v[196:197], v[100:101]
	;; [unrolled: 4-line block ×3, first 2 shown]
	ds_read_b128 v[214:217], v30 offset:1328
	buffer_load_dword v13, off, s[0:3], 0 offset:588
	buffer_load_dword v12, off, s[0:3], 0 offset:584
	;; [unrolled: 1-line block ×4, first 2 shown]
	v_add_f64 v[134:135], v[134:135], v[136:137]
	s_waitcnt lgkmcnt(1)
	v_mul_f64 v[136:137], v[210:211], v[74:75]
	v_fmac_f64_e32 v[136:137], v[212:213], v[76:77]
	v_add_f64 v[138:139], v[134:135], v[136:137]
	ds_read_b128 v[218:221], v30 offset:1344
	buffer_load_dword v132, off, s[0:3], 0 offset:600
	buffer_load_dword v136, off, s[0:3], 0 offset:592
	;; [unrolled: 1-line block ×4, first 2 shown]
	s_waitcnt lgkmcnt(1)
	v_mul_f64 v[140:141], v[214:215], v[88:89]
	v_fmac_f64_e32 v[140:141], v[216:217], v[94:95]
	v_add_f64 v[168:169], v[138:139], v[140:141]
	ds_read_b128 v[222:225], v30 offset:1360
	buffer_load_dword v135, off, s[0:3], 0 offset:636
	buffer_load_dword v255, off, s[0:3], 0 offset:620
	;; [unrolled: 1-line block ×8, first 2 shown]
	ds_read_b128 v[230:233], v30 offset:1376
	ds_read_b128 v[234:237], v30 offset:1392
	s_waitcnt lgkmcnt(3)
	v_mul_f64 v[176:177], v[218:219], v[56:57]
	v_fmac_f64_e32 v[176:177], v[220:221], v[58:59]
	v_add_f64 v[168:169], v[168:169], v[176:177]
	s_waitcnt lgkmcnt(2)
	v_mul_f64 v[176:177], v[222:223], v[62:63]
	ds_read_b128 v[238:241], v30 offset:1408
	ds_read_b128 v[102:105], v30 offset:1424
	v_fmac_f64_e32 v[176:177], v[224:225], v[64:65]
	v_add_f64 v[168:169], v[168:169], v[176:177]
	s_waitcnt lgkmcnt(3)
	v_mul_f64 v[176:177], v[230:231], v[66:67]
	v_fmac_f64_e32 v[176:177], v[232:233], v[68:69]
	v_add_f64 v[168:169], v[168:169], v[176:177]
	s_waitcnt lgkmcnt(2)
	v_mul_f64 v[176:177], v[234:235], v[70:71]
	ds_read_b128 v[106:109], v30 offset:1440
	ds_read_b128 v[6:9], v30 offset:1472
	v_fmac_f64_e32 v[176:177], v[236:237], v[72:73]
	s_waitcnt lgkmcnt(3)
	v_mul_f64 v[4:5], v[238:239], v[78:79]
	v_add_f64 v[168:169], v[168:169], v[176:177]
	v_fmac_f64_e32 v[4:5], v[240:241], v[80:81]
	v_add_f64 v[2:3], v[168:169], v[4:5]
	s_waitcnt lgkmcnt(2)
	v_mul_f64 v[4:5], v[102:103], v[82:83]
	v_fmac_f64_e32 v[4:5], v[104:105], v[84:85]
	v_add_f64 v[2:3], v[2:3], v[4:5]
	s_waitcnt lgkmcnt(1)
	v_mul_f64 v[4:5], v[106:107], v[90:91]
	v_fmac_f64_e32 v[4:5], v[108:109], v[92:93]
	v_add_f64 v[168:169], v[2:3], v[4:5]
	ds_read_b128 v[2:5], v30 offset:1456
	v_accvgpr_write_b32 a202, v252
	v_accvgpr_write_b32 a203, v253
	s_waitcnt lgkmcnt(1)
	v_accvgpr_write_b32 a193, v9
	v_accvgpr_write_b32 a192, v8
	s_waitcnt lgkmcnt(0)
	v_mul_f64 v[24:25], v[2:3], v[126:127]
	v_accvgpr_write_b32 a185, v5
	v_fmac_f64_e32 v[24:25], v[4:5], v[130:131]
	v_accvgpr_write_b32 a184, v4
	v_accvgpr_write_b32 a183, v3
	v_accvgpr_write_b32 a182, v2
	ds_read_b128 v[2:5], v30 offset:1488
	v_fma_f64 v[126:127], v[114:115], v[22:23], -v[10:11]
	v_add_f64 v[22:23], v[168:169], v[24:25]
	v_mul_f64 v[24:25], v[6:7], v[120:121]
	v_fmac_f64_e32 v[24:25], v[8:9], v[122:123]
	v_add_f64 v[22:23], v[22:23], v[24:25]
	s_waitcnt lgkmcnt(0)
	v_mul_f64 v[24:25], v[2:3], v[252:253]
	v_fma_f64 v[252:253], v[150:151], v[144:145], -v[14:15]
	ds_read_b128 v[150:153], v30 offset:1504
	buffer_load_dword v149, off, s[0:3], 0 offset:652
	buffer_load_dword v148, off, s[0:3], 0 offset:648
	;; [unrolled: 1-line block ×4, first 2 shown]
	ds_read_b128 v[144:147], v30 offset:1520
	s_waitcnt vmcnt(20)
	v_accvgpr_write_b32 a205, v129
	v_fmac_f64_e32 v[24:25], v[4:5], v[128:129]
	v_accvgpr_write_b32 a197, v5
	v_accvgpr_write_b32 a204, v128
	ds_read_b128 v[128:131], v30 offset:1536
	v_accvgpr_write_b32 a196, v4
	v_accvgpr_write_b32 a195, v3
	;; [unrolled: 1-line block ×3, first 2 shown]
	v_add_f64 v[4:5], v[22:23], v[24:25]
	s_waitcnt lgkmcnt(2)
	v_mul_f64 v[22:23], v[150:151], v[124:125]
	v_fmac_f64_e32 v[22:23], v[152:153], v[118:119]
	v_add_f64 v[4:5], v[4:5], v[22:23]
	ds_read_b128 v[122:125], v30 offset:1552
	ds_read_b128 v[118:121], v30 offset:1568
	v_accvgpr_write_b32 a191, v7
	v_accvgpr_write_b32 a190, v6
	v_mul_f64 v[8:9], v[36:37], v[50:51]
	s_waitcnt vmcnt(18) lgkmcnt(3)
	v_mul_f64 v[22:23], v[144:145], v[12:13]
	v_accvgpr_write_b32 a211, v13
	s_waitcnt vmcnt(16)
	v_accvgpr_write_b32 a213, v1
	v_fmac_f64_e32 v[22:23], v[146:147], v[0:1]
	v_accvgpr_write_b32 a212, v0
	buffer_load_dword v0, off, s[0:3], 0 offset:664
	buffer_load_dword v158, off, s[0:3], 0 offset:656
	;; [unrolled: 1-line block ×4, first 2 shown]
	s_waitcnt vmcnt(17) lgkmcnt(2)
	v_mul_f64 v[110:111], v[128:129], v[132:133]
	v_add_f64 v[4:5], v[4:5], v[22:23]
	s_waitcnt vmcnt(16)
	v_fmac_f64_e32 v[110:111], v[130:131], v[136:137]
	v_add_f64 v[110:111], v[4:5], v[110:111]
	v_mul_f64 v[4:5], v[164:165], v[16:17]
	buffer_load_dword v156, off, s[0:3], 0 offset:696
	v_fma_f64 v[112:113], v[162:163], v[32:33], -v[4:5]
	buffer_load_dword v163, off, s[0:3], 0 offset:684
	buffer_load_dword v162, off, s[0:3], 0 offset:680
	;; [unrolled: 1-line block ×7, first 2 shown]
	v_accvgpr_write_b32 a215, v133
	s_waitcnt vmcnt(21) lgkmcnt(1)
	v_mul_f64 v[114:115], v[122:123], v[254:255]
	v_accvgpr_write_b32 a210, v12
	v_accvgpr_write_b32 a214, v132
	s_waitcnt vmcnt(19)
	v_fmac_f64_e32 v[114:115], v[124:125], v[142:143]
	v_pk_mov_b32 v[132:133], v[142:143], v[142:143] op_sel:[0,1]
	v_fma_f64 v[142:143], v[34:35], v[166:167], -v[8:9]
	ds_read_b128 v[34:37], v30 offset:1584
	v_mul_f64 v[12:13], v[172:173], v[98:99]
	buffer_load_dword v167, off, s[0:3], 0 offset:716
	buffer_load_dword v166, off, s[0:3], 0 offset:712
	;; [unrolled: 1-line block ×4, first 2 shown]
	v_fma_f64 v[26:27], v[170:171], v[174:175], -v[12:13]
	buffer_load_dword v171, off, s[0:3], 0 offset:732
	buffer_load_dword v170, off, s[0:3], 0 offset:728
	;; [unrolled: 1-line block ×8, first 2 shown]
	v_mul_f64 v[38:39], v[180:181], v[86:87]
	v_fma_f64 v[24:25], v[178:179], v[60:61], -v[38:39]
	buffer_load_dword v178, off, s[0:3], 0 offset:760
	v_mul_f64 v[38:39], v[184:185], v[206:207]
	v_fma_f64 v[18:19], v[182:183], v[208:209], -v[38:39]
	buffer_load_dword v182, off, s[0:3], 0 offset:752
	buffer_load_dword v179, off, s[0:3], 0 offset:764
	;; [unrolled: 1-line block ×3, first 2 shown]
	v_mul_f64 v[38:39], v[188:189], v[198:199]
	v_fma_f64 v[16:17], v[186:187], v[204:205], -v[38:39]
	buffer_load_dword v180, off, s[0:3], 0 offset:792
	buffer_load_dword v187, off, s[0:3], 0 offset:780
	;; [unrolled: 1-line block ×8, first 2 shown]
	v_mul_f64 v[38:39], v[192:193], v[226:227]
	v_fma_f64 v[242:243], v[190:191], v[242:243], -v[38:39]
	buffer_load_dword v191, off, s[0:3], 0 offset:812
	buffer_load_dword v190, off, s[0:3], 0 offset:808
	;; [unrolled: 1-line block ×4, first 2 shown]
	v_mul_f64 v[38:39], v[196:197], v[96:97]
	buffer_load_dword v197, off, s[0:3], 0 offset:828
	buffer_load_dword v196, off, s[0:3], 0 offset:824
	;; [unrolled: 1-line block ×4, first 2 shown]
	v_fma_f64 v[226:227], v[194:195], v[100:101], -v[38:39]
	v_mul_f64 v[38:39], v[202:203], v[244:245]
	v_fma_f64 v[32:33], v[42:43], v[48:49], -v[44:45]
	v_fma_f64 v[244:245], v[200:201], v[246:247], -v[38:39]
	buffer_load_dword v194, off, s[0:3], 0 offset:856
	buffer_load_dword v203, off, s[0:3], 0 offset:844
	;; [unrolled: 1-line block ×12, first 2 shown]
	ds_read_b128 v[38:41], v30 offset:1600
	v_mul_f64 v[42:43], v[212:213], v[74:75]
	v_fma_f64 v[14:15], v[210:211], v[76:77], -v[42:43]
	ds_read_b128 v[42:45], v30 offset:1616
	v_mul_f64 v[46:47], v[216:217], v[88:89]
	v_add_f64 v[110:111], v[110:111], v[114:115]
	s_waitcnt vmcnt(62) lgkmcnt(3)
	v_mul_f64 v[114:115], v[118:119], v[134:135]
	v_fma_f64 v[12:13], v[214:215], v[94:95], -v[46:47]
	ds_read_b128 v[46:49], v30 offset:1632
	s_waitcnt vmcnt(60)
	v_fmac_f64_e32 v[114:115], v[120:121], v[138:139]
	v_add_f64 v[110:111], v[110:111], v[114:115]
	v_mul_f64 v[70:71], v[236:237], v[70:71]
	s_waitcnt vmcnt(58) lgkmcnt(3)
	v_mul_f64 v[20:21], v[34:35], v[148:149]
	v_fma_f64 v[4:5], v[234:235], v[72:73], -v[70:71]
	s_waitcnt vmcnt(56)
	v_fmac_f64_e32 v[20:21], v[36:37], v[140:141]
	v_add_f64 v[20:21], v[110:111], v[20:21]
	ds_read_b128 v[70:73], v30 offset:1728
	ds_read_b128 v[74:77], v30 offset:1744
	v_mul_f64 v[82:83], v[104:105], v[82:83]
	v_fma_f64 v[82:83], v[102:103], v[84:85], -v[82:83]
	v_accvgpr_write_b32 a217, v83
	v_accvgpr_write_b32 a216, v82
	ds_read_b128 v[86:89], v30 offset:1792
	ds_read_b128 v[82:85], v30 offset:1776
	s_waitcnt vmcnt(53) lgkmcnt(6)
	v_mul_f64 v[50:51], v[38:39], v[0:1]
	s_waitcnt vmcnt(52)
	v_fmac_f64_e32 v[50:51], v[40:41], v[158:159]
	v_add_f64 v[20:21], v[20:21], v[50:51]
	ds_read_b128 v[50:53], v30 offset:1648
	s_waitcnt vmcnt(49) lgkmcnt(6)
	v_mul_f64 v[22:23], v[42:43], v[162:163]
	s_waitcnt vmcnt(47)
	v_fmac_f64_e32 v[22:23], v[44:45], v[164:165]
	v_add_f64 v[20:21], v[20:21], v[22:23]
	s_waitcnt vmcnt(45) lgkmcnt(5)
	v_mul_f64 v[22:23], v[46:47], v[156:157]
	s_waitcnt vmcnt(44)
	v_fmac_f64_e32 v[22:23], v[48:49], v[160:161]
	v_add_f64 v[20:21], v[20:21], v[22:23]
	v_mul_f64 v[22:23], v[220:221], v[56:57]
	ds_read_b128 v[54:57], v30 offset:1664
	v_fma_f64 v[10:11], v[218:219], v[58:59], -v[22:23]
	v_mul_f64 v[58:59], v[224:225], v[62:63]
	v_fma_f64 v[8:9], v[222:223], v[64:65], -v[58:59]
	ds_read_b128 v[58:61], v30 offset:1680
	s_waitcnt vmcnt(42) lgkmcnt(2)
	v_mul_f64 v[22:23], v[50:51], v[166:167]
	ds_read_b128 v[62:65], v30 offset:1696
	s_waitcnt vmcnt(40)
	v_fmac_f64_e32 v[22:23], v[52:53], v[168:169]
	v_add_f64 v[20:21], v[20:21], v[22:23]
	s_waitcnt vmcnt(38) lgkmcnt(2)
	v_mul_f64 v[22:23], v[54:55], v[170:171]
	s_waitcnt vmcnt(36)
	v_fmac_f64_e32 v[22:23], v[56:57], v[174:175]
	v_add_f64 v[20:21], v[20:21], v[22:23]
	s_waitcnt vmcnt(34) lgkmcnt(1)
	v_mul_f64 v[22:23], v[58:59], v[172:173]
	s_waitcnt vmcnt(32)
	v_fmac_f64_e32 v[22:23], v[60:61], v[176:177]
	v_add_f64 v[20:21], v[20:21], v[22:23]
	v_mul_f64 v[22:23], v[232:233], v[66:67]
	v_fma_f64 v[6:7], v[230:231], v[68:69], -v[22:23]
	ds_read_b128 v[66:69], v30 offset:1712
	s_waitcnt vmcnt(29) lgkmcnt(1)
	v_mul_f64 v[22:23], v[62:63], v[178:179]
	s_waitcnt vmcnt(28)
	v_fmac_f64_e32 v[22:23], v[64:65], v[182:183]
	v_add_f64 v[20:21], v[20:21], v[22:23]
	s_waitcnt vmcnt(25) lgkmcnt(0)
	v_mul_f64 v[22:23], v[66:67], v[186:187]
	s_waitcnt vmcnt(23)
	v_fmac_f64_e32 v[22:23], v[68:69], v[188:189]
	v_add_f64 v[20:21], v[20:21], v[22:23]
	s_waitcnt vmcnt(21)
	v_mul_f64 v[22:23], v[70:71], v[180:181]
	s_waitcnt vmcnt(20)
	v_fmac_f64_e32 v[22:23], v[72:73], v[184:185]
	v_add_f64 v[20:21], v[20:21], v[22:23]
	v_mul_f64 v[22:23], v[240:241], v[78:79]
	v_fma_f64 v[2:3], v[238:239], v[80:81], -v[22:23]
	ds_read_b128 v[78:81], v30 offset:1760
	s_waitcnt vmcnt(18)
	v_mul_f64 v[22:23], v[74:75], v[190:191]
	s_waitcnt vmcnt(16)
	v_fmac_f64_e32 v[22:23], v[76:77], v[192:193]
	v_add_f64 v[20:21], v[20:21], v[22:23]
	s_waitcnt vmcnt(14) lgkmcnt(0)
	v_mul_f64 v[22:23], v[78:79], v[196:197]
	s_waitcnt vmcnt(12)
	v_fmac_f64_e32 v[22:23], v[80:81], v[198:199]
	v_add_f64 v[20:21], v[20:21], v[22:23]
	v_mul_f64 v[22:23], v[108:109], v[90:91]
	v_fma_f64 v[230:231], v[106:107], v[92:93], -v[22:23]
	ds_read_b128 v[90:93], v30 offset:1808
	buffer_load_dword v210, off, s[0:3], 0 offset:888
	buffer_load_dword v211, off, s[0:3], 0 offset:892
	buffer_load_dword v212, off, s[0:3], 0 offset:880
	buffer_load_dword v213, off, s[0:3], 0 offset:884
	ds_read_b128 v[94:97], v30 offset:1824
	buffer_load_dword v215, off, s[0:3], 0 offset:908
	buffer_load_dword v214, off, s[0:3], 0 offset:904
	buffer_load_dword v217, off, s[0:3], 0 offset:900
	buffer_load_dword v216, off, s[0:3], 0 offset:896
	;; [unrolled: 5-line block ×6, first 2 shown]
	s_waitcnt vmcnt(33)
	v_mul_f64 v[22:23], v[82:83], v[202:203]
	s_waitcnt vmcnt(31)
	v_fmac_f64_e32 v[22:23], v[84:85], v[206:207]
	v_add_f64 v[20:21], v[20:21], v[22:23]
	s_waitcnt vmcnt(29)
	v_mul_f64 v[22:23], v[86:87], v[194:195]
	s_waitcnt vmcnt(28)
	v_fmac_f64_e32 v[22:23], v[88:89], v[200:201]
	v_add_f64 v[20:21], v[20:21], v[22:23]
	s_waitcnt vmcnt(26) lgkmcnt(5)
	v_mul_f64 v[22:23], v[90:91], v[204:205]
	s_waitcnt vmcnt(24)
	v_fmac_f64_e32 v[22:23], v[92:93], v[208:209]
	v_add_f64 v[20:21], v[20:21], v[22:23]
	s_waitcnt vmcnt(22) lgkmcnt(4)
	;; [unrolled: 5-line block ×6, first 2 shown]
	v_mul_f64 v[22:23], v[232:233], v[238:239]
	s_waitcnt vmcnt(4)
	v_fmac_f64_e32 v[22:23], v[234:235], v[240:241]
	v_add_f64 v[114:115], v[20:21], v[22:23]
	ds_read_b128 v[20:23], v30 offset:1904
	s_waitcnt vmcnt(2) lgkmcnt(0)
	v_mul_f64 v[110:111], v[20:21], v[236:237]
	s_waitcnt vmcnt(0)
	v_fmac_f64_e32 v[110:111], v[22:23], v[246:247]
	v_add_f64 v[114:115], v[114:115], v[110:111]
	v_add_f64 v[110:111], v[228:229], 0
	;; [unrolled: 1-line block ×23, first 2 shown]
	buffer_load_dword v250, off, s[0:3], 0 offset:64
	buffer_load_dword v251, off, s[0:3], 0 offset:68
	;; [unrolled: 1-line block ×4, first 2 shown]
	v_add_f64 v[6:7], v[8:9], v[6:7]
	v_add_f64 v[4:5], v[6:7], v[4:5]
	;; [unrolled: 1-line block ×3, first 2 shown]
	v_accvgpr_read_b32 v4, a216
	v_accvgpr_read_b32 v5, a217
	v_add_f64 v[2:3], v[2:3], v[4:5]
	v_accvgpr_read_b32 v6, a182
	v_accvgpr_read_b32 v4, a186
	;; [unrolled: 1-line block ×5, first 2 shown]
	v_mul_f64 v[4:5], v[8:9], v[4:5]
	v_accvgpr_read_b32 v8, a188
	v_accvgpr_read_b32 v7, a183
	;; [unrolled: 1-line block ×3, first 2 shown]
	v_add_f64 v[2:3], v[2:3], v[230:231]
	v_fma_f64 v[4:5], v[6:7], v[8:9], -v[4:5]
	v_add_f64 v[2:3], v[2:3], v[4:5]
	v_accvgpr_read_b32 v6, a190
	v_accvgpr_read_b32 v4, a198
	;; [unrolled: 1-line block ×5, first 2 shown]
	v_mul_f64 v[4:5], v[8:9], v[4:5]
	v_accvgpr_read_b32 v8, a200
	v_accvgpr_read_b32 v7, a191
	;; [unrolled: 1-line block ×3, first 2 shown]
	v_fma_f64 v[4:5], v[6:7], v[8:9], -v[4:5]
	v_add_f64 v[2:3], v[2:3], v[4:5]
	v_accvgpr_read_b32 v6, a194
	v_accvgpr_read_b32 v4, a202
	;; [unrolled: 1-line block ×5, first 2 shown]
	v_mul_f64 v[4:5], v[8:9], v[4:5]
	v_accvgpr_read_b32 v8, a204
	v_accvgpr_read_b32 v7, a195
	;; [unrolled: 1-line block ×3, first 2 shown]
	v_fma_f64 v[4:5], v[6:7], v[8:9], -v[4:5]
	v_add_f64 v[2:3], v[2:3], v[4:5]
	v_accvgpr_read_b32 v4, a206
	v_accvgpr_read_b32 v5, a207
	;; [unrolled: 1-line block ×3, first 2 shown]
	v_mul_f64 v[4:5], v[152:153], v[4:5]
	v_accvgpr_read_b32 v7, a209
	v_fma_f64 v[4:5], v[150:151], v[6:7], -v[4:5]
	v_add_f64 v[2:3], v[2:3], v[4:5]
	v_accvgpr_read_b32 v4, a210
	v_accvgpr_read_b32 v5, a211
	;; [unrolled: 1-line block ×3, first 2 shown]
	v_mul_f64 v[4:5], v[146:147], v[4:5]
	v_accvgpr_read_b32 v7, a213
	v_fma_f64 v[4:5], v[144:145], v[6:7], -v[4:5]
	v_add_f64 v[2:3], v[2:3], v[4:5]
	v_accvgpr_read_b32 v4, a214
	v_accvgpr_read_b32 v5, a215
	v_mul_f64 v[4:5], v[130:131], v[4:5]
	v_fma_f64 v[4:5], v[128:129], v[136:137], -v[4:5]
	v_add_f64 v[2:3], v[2:3], v[4:5]
	v_mul_f64 v[4:5], v[124:125], v[254:255]
	v_fma_f64 v[4:5], v[122:123], v[132:133], -v[4:5]
	v_add_f64 v[2:3], v[2:3], v[4:5]
	;; [unrolled: 3-line block ×24, first 2 shown]
	v_accvgpr_read_b32 v0, a179
	s_waitcnt vmcnt(2)
	v_add_f64 v[2:3], v[250:251], -v[2:3]
	v_cmp_lt_u32_e32 vcc, 2, v0
	s_waitcnt vmcnt(0)
	v_add_f64 v[4:5], v[248:249], -v[114:115]
	buffer_store_dword v3, off, s[0:3], 0 offset:68
	buffer_store_dword v2, off, s[0:3], 0 offset:64
	;; [unrolled: 1-line block ×4, first 2 shown]
	s_and_saveexec_b64 s[4:5], vcc
	s_cbranch_execz .LBB123_369
; %bb.368:
	v_accvgpr_read_b32 v0, a177
	buffer_load_dword v2, v0, s[0:3], 0 offen
	buffer_load_dword v3, v0, s[0:3], 0 offen offset:4
	buffer_load_dword v4, v0, s[0:3], 0 offen offset:8
	;; [unrolled: 1-line block ×3, first 2 shown]
	v_mov_b32_e32 v0, 0
	v_accvgpr_read_b32 v1, a180
	buffer_store_dword v0, off, s[0:3], 0 offset:48
	buffer_store_dword v0, off, s[0:3], 0 offset:52
	;; [unrolled: 1-line block ×4, first 2 shown]
	s_waitcnt vmcnt(4)
	ds_write_b128 v1, v[2:5]
.LBB123_369:
	s_or_b64 exec, exec, s[4:5]
	s_waitcnt lgkmcnt(0)
	; wave barrier
	s_waitcnt lgkmcnt(0)
	buffer_load_dword v6, off, s[0:3], 0 offset:64
	buffer_load_dword v7, off, s[0:3], 0 offset:68
	;; [unrolled: 1-line block ×42, first 2 shown]
	v_mov_b32_e32 v220, 0
	buffer_load_dword v91, off, s[0:3], 0 offset:212
	buffer_load_dword v90, off, s[0:3], 0 offset:208
	;; [unrolled: 1-line block ×7, first 2 shown]
	ds_read_b128 v[104:107], v220 offset:1008
	ds_read_b128 v[108:111], v220 offset:1024
	;; [unrolled: 1-line block ×11, first 2 shown]
	s_waitcnt vmcnt(45) lgkmcnt(10)
	v_mul_f64 v[52:53], v[104:105], v[10:11]
	v_fmac_f64_e32 v[52:53], v[106:107], v[6:7]
	v_add_f64 v[52:53], v[52:53], 0
	v_mul_f64 v[10:11], v[106:107], v[10:11]
	s_waitcnt vmcnt(41) lgkmcnt(9)
	v_mul_f64 v[54:55], v[108:109], v[8:9]
	v_fmac_f64_e32 v[54:55], v[110:111], v[4:5]
	s_waitcnt vmcnt(39) lgkmcnt(8)
	v_mul_f64 v[56:57], v[112:113], v[2:3]
	v_add_f64 v[52:53], v[52:53], v[54:55]
	s_waitcnt vmcnt(37) lgkmcnt(6)
	v_mul_f64 v[60:61], v[136:137], v[240:241]
	v_fma_f64 v[218:219], v[104:105], v[6:7], -v[10:11]
	s_waitcnt vmcnt(35)
	v_fmac_f64_e32 v[60:61], v[138:139], v[14:15]
	v_mul_f64 v[8:9], v[110:111], v[8:9]
	s_waitcnt vmcnt(33)
	v_mul_f64 v[58:59], v[132:133], v[236:237]
	v_fma_f64 v[248:249], v[108:109], v[4:5], -v[8:9]
	s_waitcnt vmcnt(31) lgkmcnt(4)
	v_mul_f64 v[64:65], v[144:145], v[22:23]
	v_mul_f64 v[2:3], v[114:115], v[2:3]
	s_waitcnt vmcnt(29)
	v_fmac_f64_e32 v[64:65], v[146:147], v[24:25]
	v_mul_f64 v[10:11], v[138:139], v[240:241]
	s_waitcnt vmcnt(27)
	v_mul_f64 v[62:63], v[140:141], v[18:19]
	s_waitcnt vmcnt(25) lgkmcnt(2)
	v_mul_f64 v[70:71], v[152:153], v[30:31]
	v_mul_f64 v[30:31], v[154:155], v[30:31]
	s_waitcnt vmcnt(22)
	v_mul_f64 v[66:67], v[148:149], v[26:27]
	v_mul_f64 v[26:27], v[150:151], v[26:27]
	s_waitcnt vmcnt(20) lgkmcnt(1)
	v_mul_f64 v[116:117], v[156:157], v[38:39]
	v_mul_f64 v[38:39], v[158:159], v[38:39]
	s_waitcnt vmcnt(18)
	v_fmac_f64_e32 v[56:57], v[114:115], v[44:45]
	v_add_f64 v[52:53], v[52:53], v[56:57]
	s_waitcnt vmcnt(16)
	v_fmac_f64_e32 v[58:59], v[134:135], v[40:41]
	v_add_f64 v[52:53], v[52:53], v[58:59]
	;; [unrolled: 3-line block ×3, first 2 shown]
	v_add_f64 v[52:53], v[52:53], v[62:63]
	s_waitcnt vmcnt(12)
	v_fmac_f64_e32 v[66:67], v[150:151], v[28:29]
	v_add_f64 v[52:53], v[52:53], v[64:65]
	s_waitcnt vmcnt(11)
	v_fmac_f64_e32 v[70:71], v[154:155], v[32:33]
	v_add_f64 v[52:53], v[52:53], v[66:67]
	v_add_f64 v[118:119], v[52:53], v[70:71]
	buffer_load_dword v68, off, s[0:3], 0 offset:248
	buffer_load_dword v217, off, s[0:3], 0 offset:244
	;; [unrolled: 1-line block ×69, first 2 shown]
	s_waitcnt vmcnt(62)
	v_fmac_f64_e32 v[116:117], v[158:159], v[90:91]
	v_add_f64 v[116:117], v[118:119], v[116:117]
	s_waitcnt lgkmcnt(0)
	v_mul_f64 v[118:119], v[34:35], v[42:43]
	v_fmac_f64_e32 v[118:119], v[36:37], v[46:47]
	v_add_f64 v[116:117], v[116:117], v[118:119]
	v_fma_f64 v[224:225], v[112:113], v[44:45], -v[2:3]
	v_mul_f64 v[2:3], v[134:135], v[236:237]
	v_fma_f64 v[236:237], v[132:133], v[40:41], -v[2:3]
	v_fma_f64 v[134:135], v[136:137], v[14:15], -v[10:11]
	v_mul_f64 v[14:15], v[142:143], v[18:19]
	v_fma_f64 v[132:133], v[140:141], v[242:243], -v[14:15]
	v_mul_f64 v[36:37], v[36:37], v[42:43]
	s_waitcnt vmcnt(8)
	v_accvgpr_write_b32 a187, v1
	v_accvgpr_write_b32 a186, v0
	s_waitcnt vmcnt(6)
	v_pk_mov_b32 v[244:245], v[16:17], v[16:17] op_sel:[0,1]
	s_waitcnt vmcnt(0)
	v_pk_mov_b32 v[122:123], v[120:121], v[120:121] op_sel:[0,1]
	buffer_load_dword v121, off, s[0:3], 0 offset:548
	buffer_load_dword v120, off, s[0:3], 0 offset:544
	v_accvgpr_write_b32 a188, v244
	v_accvgpr_write_b32 a189, v245
	;; [unrolled: 1-line block ×4, first 2 shown]
	s_waitcnt vmcnt(0)
	v_pk_mov_b32 v[124:125], v[120:121], v[120:121] op_sel:[0,1]
	buffer_load_dword v121, off, s[0:3], 0 offset:540
	buffer_load_dword v120, off, s[0:3], 0 offset:536
	v_accvgpr_write_b32 a209, v125
	v_accvgpr_write_b32 a208, v124
	s_waitcnt vmcnt(0)
	v_pk_mov_b32 v[126:127], v[120:121], v[120:121] op_sel:[0,1]
	buffer_load_dword v121, off, s[0:3], 0 offset:532
	buffer_load_dword v120, off, s[0:3], 0 offset:528
	ds_read_b128 v[160:163], v220 offset:1184
	ds_read_b128 v[164:167], v220 offset:1200
	;; [unrolled: 1-line block ×10, first 2 shown]
	s_waitcnt lgkmcnt(9)
	v_mul_f64 v[118:119], v[160:161], v[68:69]
	v_fmac_f64_e32 v[118:119], v[162:163], v[216:217]
	v_add_f64 v[116:117], v[116:117], v[118:119]
	s_waitcnt lgkmcnt(8)
	v_mul_f64 v[118:119], v[164:165], v[48:49]
	v_fmac_f64_e32 v[118:119], v[166:167], v[50:51]
	v_add_f64 v[116:117], v[116:117], v[118:119]
	s_waitcnt lgkmcnt(7)
	v_mul_f64 v[118:119], v[168:169], v[226:227]
	v_fmac_f64_e32 v[118:119], v[170:171], v[228:229]
	v_add_f64 v[116:117], v[116:117], v[118:119]
	s_waitcnt lgkmcnt(6)
	v_mul_f64 v[118:119], v[172:173], v[222:223]
	v_fmac_f64_e32 v[118:119], v[174:175], v[102:103]
	v_add_f64 v[116:117], v[116:117], v[118:119]
	s_waitcnt lgkmcnt(5)
	v_mul_f64 v[118:119], v[176:177], v[232:233]
	v_fmac_f64_e32 v[118:119], v[178:179], v[234:235]
	v_add_f64 v[116:117], v[116:117], v[118:119]
	s_waitcnt lgkmcnt(4)
	v_mul_f64 v[118:119], v[180:181], v[230:231]
	v_fmac_f64_e32 v[118:119], v[182:183], v[100:101]
	v_add_f64 v[116:117], v[116:117], v[118:119]
	s_waitcnt lgkmcnt(3)
	v_mul_f64 v[118:119], v[184:185], v[96:97]
	v_fmac_f64_e32 v[118:119], v[186:187], v[98:99]
	v_add_f64 v[116:117], v[116:117], v[118:119]
	s_waitcnt lgkmcnt(2)
	v_mul_f64 v[118:119], v[188:189], v[80:81]
	v_fmac_f64_e32 v[118:119], v[190:191], v[94:95]
	v_add_f64 v[116:117], v[116:117], v[118:119]
	s_waitcnt lgkmcnt(1)
	v_mul_f64 v[118:119], v[192:193], v[78:79]
	v_fmac_f64_e32 v[118:119], v[194:195], v[92:93]
	v_add_f64 v[116:117], v[116:117], v[118:119]
	v_accvgpr_write_b32 a195, v127
	v_accvgpr_write_b32 a194, v126
	s_waitcnt vmcnt(0)
	v_pk_mov_b32 v[128:129], v[120:121], v[120:121] op_sel:[0,1]
	buffer_load_dword v121, off, s[0:3], 0 offset:572
	buffer_load_dword v120, off, s[0:3], 0 offset:568
	v_accvgpr_write_b32 a197, v129
	v_accvgpr_write_b32 a196, v128
	s_waitcnt vmcnt(0)
	v_pk_mov_b32 v[130:131], v[120:121], v[120:121] op_sel:[0,1]
	buffer_load_dword v121, off, s[0:3], 0 offset:564
	buffer_load_dword v120, off, s[0:3], 0 offset:560
	ds_read_b128 v[200:203], v220 offset:1344
	buffer_load_dword v118, off, s[0:3], 0 offset:584
	buffer_load_dword v204, off, s[0:3], 0 offset:576
	buffer_load_dword v119, off, s[0:3], 0 offset:588
	buffer_load_dword v205, off, s[0:3], 0 offset:580
	ds_read_b128 v[82:85], v220 offset:1360
	v_accvgpr_write_b32 a211, v131
	v_accvgpr_write_b32 a210, v130
	s_waitcnt lgkmcnt(0)
	v_mul_f64 v[208:209], v[82:83], v[58:59]
	v_fmac_f64_e32 v[208:209], v[84:85], v[60:61]
	v_mul_f64 v[58:59], v[84:85], v[58:59]
	s_waitcnt vmcnt(4)
	v_pk_mov_b32 v[238:239], v[120:121], v[120:121] op_sel:[0,1]
	v_mul_f64 v[120:121], v[196:197], v[52:53]
	v_fmac_f64_e32 v[120:121], v[198:199], v[54:55]
	v_add_f64 v[116:117], v[116:117], v[120:121]
	v_mul_f64 v[120:121], v[200:201], v[56:57]
	v_fmac_f64_e32 v[120:121], v[202:203], v[66:67]
	v_add_f64 v[116:117], v[116:117], v[120:121]
	buffer_load_dword v17, off, s[0:3], 0 offset:620
	buffer_load_dword v21, off, s[0:3], 0 offset:604
	;; [unrolled: 1-line block ×12, first 2 shown]
	v_add_f64 v[116:117], v[116:117], v[208:209]
	ds_read_b128 v[208:211], v220 offset:1376
	ds_read_b128 v[104:107], v220 offset:1392
	;; [unrolled: 1-line block ×5, first 2 shown]
	s_waitcnt lgkmcnt(4)
	v_mul_f64 v[6:7], v[208:209], v[62:63]
	v_fmac_f64_e32 v[6:7], v[210:211], v[64:65]
	v_add_f64 v[4:5], v[116:117], v[6:7]
	s_waitcnt lgkmcnt(3)
	v_mul_f64 v[6:7], v[104:105], v[70:71]
	v_fmac_f64_e32 v[6:7], v[106:107], v[72:73]
	v_add_f64 v[4:5], v[4:5], v[6:7]
	;; [unrolled: 4-line block ×3, first 2 shown]
	ds_read_b128 v[2:5], v220 offset:1456
	s_waitcnt lgkmcnt(2)
	v_mul_f64 v[8:9], v[212:213], v[206:207]
	v_fmac_f64_e32 v[8:9], v[214:215], v[12:13]
	v_add_f64 v[6:7], v[6:7], v[8:9]
	s_waitcnt lgkmcnt(1)
	v_mul_f64 v[8:9], v[112:113], v[86:87]
	v_fmac_f64_e32 v[8:9], v[114:115], v[88:89]
	s_waitcnt lgkmcnt(0)
	v_accvgpr_write_b32 a185, v5
	v_add_f64 v[6:7], v[6:7], v[8:9]
	v_mul_f64 v[8:9], v[2:3], v[0:1]
	v_accvgpr_write_b32 a184, v4
	v_accvgpr_write_b32 a183, v3
	;; [unrolled: 1-line block ×3, first 2 shown]
	ds_read_b128 v[0:3], v220 offset:1472
	v_fmac_f64_e32 v[8:9], v[4:5], v[244:245]
	v_add_f64 v[40:41], v[6:7], v[8:9]
	ds_read_b128 v[6:9], v220 offset:1504
	ds_read_b128 v[242:245], v220 offset:1520
	s_waitcnt lgkmcnt(2)
	v_mul_f64 v[4:5], v[0:1], v[126:127]
	v_accvgpr_write_b32 a193, v3
	v_fmac_f64_e32 v[4:5], v[2:3], v[128:129]
	v_accvgpr_write_b32 a192, v2
	v_accvgpr_write_b32 a191, v1
	;; [unrolled: 1-line block ×3, first 2 shown]
	ds_read_b128 v[0:3], v220 offset:1488
	v_add_f64 v[4:5], v[40:41], v[4:5]
	v_accvgpr_write_b32 a212, v238
	v_accvgpr_write_b32 a213, v239
	buffer_load_dword v250, off, s[0:3], 0 offset:648
	buffer_load_dword v251, off, s[0:3], 0 offset:652
	s_waitcnt lgkmcnt(0)
	v_mul_f64 v[18:19], v[0:1], v[122:123]
	v_fmac_f64_e32 v[18:19], v[2:3], v[124:125]
	v_add_f64 v[4:5], v[4:5], v[18:19]
	v_mul_f64 v[18:19], v[6:7], v[130:131]
	v_fmac_f64_e32 v[18:19], v[8:9], v[238:239]
	ds_read_b128 v[238:241], v220 offset:1536
	s_waitcnt vmcnt(15)
	v_accvgpr_write_b32 a215, v119
	v_add_f64 v[40:41], v[4:5], v[18:19]
	v_mul_f64 v[4:5], v[146:147], v[22:23]
	v_mul_f64 v[22:23], v[242:243], v[118:119]
	v_accvgpr_write_b32 a214, v118
	buffer_load_dword v118, off, s[0:3], 0 offset:640
	buffer_load_dword v119, off, s[0:3], 0 offset:644
	ds_read_b128 v[126:129], v220 offset:1552
	ds_read_b128 v[122:125], v220 offset:1568
	s_waitcnt vmcnt(16)
	v_fmac_f64_e32 v[22:23], v[244:245], v[204:205]
	v_add_f64 v[40:41], v[40:41], v[22:23]
	v_accvgpr_write_b32 a205, v9
	v_accvgpr_write_b32 a204, v8
	;; [unrolled: 1-line block ×4, first 2 shown]
	v_fma_f64 v[116:117], v[152:153], v[32:33], -v[30:31]
	v_fma_f64 v[44:45], v[144:145], v[24:25], -v[4:5]
	;; [unrolled: 1-line block ×4, first 2 shown]
	v_mul_f64 v[34:35], v[162:163], v[68:69]
	v_fma_f64 v[30:31], v[156:157], v[90:91], -v[38:39]
	v_fma_f64 v[216:217], v[160:161], v[216:217], -v[34:35]
	s_waitcnt vmcnt(13) lgkmcnt(2)
	v_mul_f64 v[136:137], v[238:239], v[20:21]
	v_mul_f64 v[38:39], v[166:167], v[48:49]
	s_waitcnt vmcnt(11)
	v_fmac_f64_e32 v[136:137], v[240:241], v[252:253]
	v_add_f64 v[40:41], v[40:41], v[136:137]
	s_waitcnt vmcnt(10) lgkmcnt(1)
	v_mul_f64 v[136:137], v[126:127], v[16:17]
	s_waitcnt vmcnt(8)
	v_fmac_f64_e32 v[136:137], v[128:129], v[246:247]
	v_add_f64 v[40:41], v[40:41], v[136:137]
	buffer_load_dword v137, off, s[0:3], 0 offset:668
	buffer_load_dword v136, off, s[0:3], 0 offset:664
	;; [unrolled: 1-line block ×4, first 2 shown]
	s_waitcnt vmcnt(10) lgkmcnt(0)
	v_mul_f64 v[140:141], v[122:123], v[120:121]
	s_waitcnt vmcnt(8)
	v_fmac_f64_e32 v[140:141], v[124:125], v[254:255]
	v_add_f64 v[8:9], v[40:41], v[140:141]
	buffer_load_dword v140, off, s[0:3], 0 offset:680
	buffer_load_dword v142, off, s[0:3], 0 offset:672
	;; [unrolled: 1-line block ×12, first 2 shown]
	ds_read_b128 v[34:37], v220 offset:1584
	buffer_load_dword v148, off, s[0:3], 0 offset:744
	buffer_load_dword v155, off, s[0:3], 0 offset:732
	;; [unrolled: 1-line block ×12, first 2 shown]
	v_fma_f64 v[164:165], v[164:165], v[50:51], -v[38:39]
	v_mul_f64 v[38:39], v[170:171], v[226:227]
	v_fma_f64 v[24:25], v[168:169], v[228:229], -v[38:39]
	buffer_load_dword v166, off, s[0:3], 0 offset:776
	buffer_load_dword v168, off, s[0:3], 0 offset:768
	;; [unrolled: 1-line block ×4, first 2 shown]
	v_mul_f64 v[38:39], v[174:175], v[222:223]
	v_fma_f64 v[222:223], v[172:173], v[102:103], -v[38:39]
	v_mul_f64 v[38:39], v[178:179], v[232:233]
	v_fma_f64 v[22:23], v[176:177], v[234:235], -v[38:39]
	buffer_load_dword v235, off, s[0:3], 0 offset:812
	buffer_load_dword v171, off, s[0:3], 0 offset:796
	;; [unrolled: 1-line block ×8, first 2 shown]
	v_mul_f64 v[38:39], v[182:183], v[230:231]
	v_fma_f64 v[18:19], v[180:181], v[100:101], -v[38:39]
	ds_read_b128 v[38:41], v220 offset:1600
	buffer_load_dword v177, off, s[0:3], 0 offset:828
	buffer_load_dword v176, off, s[0:3], 0 offset:824
	;; [unrolled: 1-line block ×4, first 2 shown]
	v_mul_f64 v[48:49], v[186:187], v[96:97]
	v_pk_mov_b32 v[130:131], v[16:17], v[16:17] op_sel:[0,1]
	v_fma_f64 v[16:17], v[184:185], v[98:99], -v[48:49]
	buffer_load_dword v180, off, s[0:3], 0 offset:840
	buffer_load_dword v182, off, s[0:3], 0 offset:832
	;; [unrolled: 1-line block ×8, first 2 shown]
	v_mul_f64 v[48:49], v[190:191], v[80:81]
	v_fma_f64 v[14:15], v[188:189], v[94:95], -v[48:49]
	buffer_load_dword v188, off, s[0:3], 0 offset:872
	buffer_load_dword v190, off, s[0:3], 0 offset:864
	;; [unrolled: 1-line block ×4, first 2 shown]
	ds_read_b128 v[226:229], v220 offset:1616
	v_accvgpr_write_b32 a201, v3
	v_accvgpr_write_b32 a219, v21
	;; [unrolled: 1-line block ×6, first 2 shown]
	v_mul_f64 v[50:51], v[202:203], v[56:57]
	v_fma_f64 v[10:11], v[200:201], v[66:67], -v[50:51]
	v_fma_f64 v[6:7], v[82:83], v[60:61], -v[58:59]
	v_mul_f64 v[62:63], v[210:211], v[62:63]
	v_fma_f64 v[4:5], v[208:209], v[64:65], -v[62:63]
	v_mul_f64 v[74:75], v[110:111], v[74:75]
	v_fma_f64 v[2:3], v[108:109], v[76:77], -v[74:75]
	ds_read_b128 v[74:77], v220 offset:1744
	s_waitcnt vmcnt(58) lgkmcnt(3)
	v_mul_f64 v[46:47], v[34:35], v[250:251]
	ds_read_b128 v[82:85], v220 offset:1776
	v_mul_f64 v[86:87], v[114:115], v[86:87]
	v_accvgpr_write_b32 a217, v205
	v_accvgpr_write_b32 a216, v204
	ds_read_b128 v[58:61], v220 offset:1680
	ds_read_b128 v[62:65], v220 offset:1696
	s_waitcnt vmcnt(56)
	v_fmac_f64_e32 v[46:47], v[36:37], v[118:119]
	v_add_f64 v[8:9], v[8:9], v[46:47]
	v_mul_f64 v[46:47], v[194:195], v[78:79]
	v_fma_f64 v[0:1], v[192:193], v[92:93], -v[46:47]
	ds_read_b128 v[46:49], v220 offset:1632
	s_waitcnt vmcnt(54) lgkmcnt(6)
	v_mul_f64 v[20:21], v[38:39], v[136:137]
	s_waitcnt vmcnt(52)
	v_fmac_f64_e32 v[20:21], v[40:41], v[138:139]
	v_add_f64 v[8:9], v[8:9], v[20:21]
	v_mul_f64 v[20:21], v[198:199], v[52:53]
	ds_read_b128 v[50:53], v220 offset:1648
	v_fma_f64 v[20:21], v[196:197], v[54:55], -v[20:21]
	s_waitcnt vmcnt(49) lgkmcnt(6)
	v_mul_f64 v[54:55], v[226:227], v[140:141]
	s_waitcnt vmcnt(48)
	v_fmac_f64_e32 v[54:55], v[228:229], v[142:143]
	v_add_f64 v[8:9], v[8:9], v[54:55]
	s_waitcnt vmcnt(45) lgkmcnt(1)
	v_mul_f64 v[54:55], v[46:47], v[146:147]
	s_waitcnt vmcnt(43)
	v_fmac_f64_e32 v[54:55], v[48:49], v[152:153]
	v_add_f64 v[8:9], v[8:9], v[54:55]
	s_waitcnt vmcnt(42) lgkmcnt(0)
	v_mul_f64 v[54:55], v[50:51], v[42:43]
	s_waitcnt vmcnt(40)
	v_fmac_f64_e32 v[54:55], v[52:53], v[150:151]
	v_add_f64 v[8:9], v[8:9], v[54:55]
	ds_read_b128 v[54:57], v220 offset:1664
	s_waitcnt vmcnt(33)
	v_mul_f64 v[28:29], v[58:59], v[148:149]
	s_waitcnt vmcnt(32)
	v_fmac_f64_e32 v[28:29], v[60:61], v[158:159]
	s_waitcnt lgkmcnt(0)
	v_mul_f64 v[66:67], v[54:55], v[154:155]
	v_fmac_f64_e32 v[66:67], v[56:57], v[156:157]
	v_add_f64 v[8:9], v[8:9], v[66:67]
	v_add_f64 v[8:9], v[8:9], v[28:29]
	s_waitcnt vmcnt(30)
	v_mul_f64 v[28:29], v[62:63], v[160:161]
	s_waitcnt vmcnt(28)
	v_fmac_f64_e32 v[28:29], v[64:65], v[162:163]
	v_add_f64 v[8:9], v[8:9], v[28:29]
	ds_read_b128 v[66:69], v220 offset:1712
	v_mul_f64 v[28:29], v[106:107], v[70:71]
	v_fma_f64 v[28:29], v[104:105], v[72:73], -v[28:29]
	ds_read_b128 v[70:73], v220 offset:1728
	s_waitcnt vmcnt(25) lgkmcnt(1)
	v_mul_f64 v[78:79], v[66:67], v[166:167]
	s_waitcnt vmcnt(24)
	v_fmac_f64_e32 v[78:79], v[68:69], v[168:169]
	v_add_f64 v[8:9], v[8:9], v[78:79]
	s_waitcnt vmcnt(21) lgkmcnt(0)
	v_mul_f64 v[32:33], v[70:71], v[170:171]
	s_waitcnt vmcnt(19)
	v_fmac_f64_e32 v[32:33], v[72:73], v[174:175]
	ds_read_b128 v[78:81], v220 offset:1760
	v_add_f64 v[8:9], v[8:9], v[32:33]
	s_waitcnt vmcnt(18)
	v_mul_f64 v[32:33], v[74:75], v[234:235]
	s_waitcnt vmcnt(16)
	v_fmac_f64_e32 v[32:33], v[76:77], v[172:173]
	v_add_f64 v[8:9], v[8:9], v[32:33]
	v_mul_f64 v[32:33], v[214:215], v[206:207]
	v_fma_f64 v[32:33], v[212:213], v[12:13], -v[32:33]
	v_fma_f64 v[12:13], v[112:113], v[88:89], -v[86:87]
	ds_read_b128 v[86:89], v220 offset:1792
	s_waitcnt vmcnt(14) lgkmcnt(1)
	v_mul_f64 v[90:91], v[78:79], v[176:177]
	s_waitcnt vmcnt(12)
	v_fmac_f64_e32 v[90:91], v[80:81], v[178:179]
	v_add_f64 v[8:9], v[8:9], v[90:91]
	s_waitcnt vmcnt(9)
	v_mul_f64 v[90:91], v[82:83], v[180:181]
	s_waitcnt vmcnt(8)
	v_fmac_f64_e32 v[90:91], v[84:85], v[182:183]
	v_add_f64 v[8:9], v[8:9], v[90:91]
	s_waitcnt vmcnt(6) lgkmcnt(0)
	v_mul_f64 v[90:91], v[86:87], v[184:185]
	s_waitcnt vmcnt(4)
	v_fmac_f64_e32 v[90:91], v[88:89], v[186:187]
	v_add_f64 v[8:9], v[8:9], v[90:91]
	ds_read_b128 v[90:93], v220 offset:1808
	buffer_load_dword v193, off, s[0:3], 0 offset:892
	buffer_load_dword v192, off, s[0:3], 0 offset:888
	;; [unrolled: 1-line block ×4, first 2 shown]
	v_accvgpr_write_b32 a221, v13
	v_accvgpr_write_b32 a220, v12
	s_waitcnt vmcnt(5) lgkmcnt(0)
	v_mul_f64 v[94:95], v[90:91], v[188:189]
	s_waitcnt vmcnt(4)
	v_fmac_f64_e32 v[94:95], v[92:93], v[190:191]
	v_add_f64 v[8:9], v[8:9], v[94:95]
	ds_read_b128 v[94:97], v220 offset:1824
	buffer_load_dword v196, off, s[0:3], 0 offset:904
	buffer_load_dword v197, off, s[0:3], 0 offset:908
	buffer_load_dword v198, off, s[0:3], 0 offset:896
	buffer_load_dword v199, off, s[0:3], 0 offset:900
	s_waitcnt vmcnt(6) lgkmcnt(0)
	v_mul_f64 v[98:99], v[94:95], v[192:193]
	s_waitcnt vmcnt(4)
	v_fmac_f64_e32 v[98:99], v[96:97], v[194:195]
	v_add_f64 v[8:9], v[8:9], v[98:99]
	ds_read_b128 v[98:101], v220 offset:1840
	buffer_load_dword v201, off, s[0:3], 0 offset:924
	buffer_load_dword v200, off, s[0:3], 0 offset:920
	buffer_load_dword v203, off, s[0:3], 0 offset:916
	buffer_load_dword v202, off, s[0:3], 0 offset:912
	;; [unrolled: 10-line block ×4, first 2 shown]
	s_waitcnt vmcnt(6) lgkmcnt(0)
	v_mul_f64 v[110:111], v[106:107], v[204:205]
	s_waitcnt vmcnt(4)
	v_fmac_f64_e32 v[110:111], v[108:109], v[206:207]
	v_add_f64 v[8:9], v[8:9], v[110:111]
	ds_read_b128 v[110:113], v220 offset:1888
	s_waitcnt vmcnt(2) lgkmcnt(0)
	v_mul_f64 v[212:213], v[110:111], v[208:209]
	s_waitcnt vmcnt(0)
	v_fmac_f64_e32 v[212:213], v[112:113], v[210:211]
	v_add_f64 v[212:213], v[8:9], v[212:213]
	buffer_load_dword v214, off, s[0:3], 0 offset:968
	buffer_load_dword v215, off, s[0:3], 0 offset:972
	;; [unrolled: 1-line block ×4, first 2 shown]
	ds_read_b128 v[230:233], v220 offset:1904
	s_waitcnt vmcnt(2) lgkmcnt(0)
	v_mul_f64 v[114:115], v[230:231], v[214:215]
	s_waitcnt vmcnt(0)
	v_fmac_f64_e32 v[114:115], v[232:233], v[8:9]
	v_add_f64 v[212:213], v[212:213], v[114:115]
	v_add_f64 v[114:115], v[218:219], 0
	;; [unrolled: 1-line block ×21, first 2 shown]
	buffer_load_dword v0, off, s[0:3], 0 offset:48
	buffer_load_dword v1, off, s[0:3], 0 offset:52
	;; [unrolled: 1-line block ×4, first 2 shown]
	v_add_f64 v[12:13], v[12:13], v[20:21]
	v_add_f64 v[10:11], v[12:13], v[10:11]
	;; [unrolled: 1-line block ×6, first 2 shown]
	v_accvgpr_read_b32 v10, a182
	v_accvgpr_read_b32 v4, a186
	v_add_f64 v[224:225], v[2:3], v[32:33]
	v_accvgpr_read_b32 v2, a220
	v_accvgpr_read_b32 v12, a184
	;; [unrolled: 1-line block ×7, first 2 shown]
	v_mul_f64 v[4:5], v[12:13], v[4:5]
	v_accvgpr_read_b32 v7, a189
	v_add_f64 v[2:3], v[224:225], v[2:3]
	v_fma_f64 v[4:5], v[10:11], v[6:7], -v[4:5]
	v_add_f64 v[2:3], v[2:3], v[4:5]
	v_accvgpr_read_b32 v10, a190
	v_accvgpr_read_b32 v4, a194
	v_accvgpr_read_b32 v12, a192
	v_accvgpr_read_b32 v13, a193
	v_accvgpr_read_b32 v5, a195
	v_accvgpr_read_b32 v6, a196
	v_accvgpr_read_b32 v11, a191
	v_mul_f64 v[4:5], v[12:13], v[4:5]
	v_accvgpr_read_b32 v7, a197
	v_fma_f64 v[4:5], v[10:11], v[6:7], -v[4:5]
	v_add_f64 v[2:3], v[2:3], v[4:5]
	v_accvgpr_read_b32 v10, a198
	v_accvgpr_read_b32 v4, a206
	v_accvgpr_read_b32 v12, a200
	v_accvgpr_read_b32 v13, a201
	v_accvgpr_read_b32 v5, a207
	v_accvgpr_read_b32 v6, a208
	v_accvgpr_read_b32 v11, a199
	v_mul_f64 v[4:5], v[12:13], v[4:5]
	v_accvgpr_read_b32 v7, a209
	;; [unrolled: 11-line block ×3, first 2 shown]
	v_fma_f64 v[4:5], v[10:11], v[6:7], -v[4:5]
	v_add_f64 v[2:3], v[2:3], v[4:5]
	v_accvgpr_read_b32 v4, a214
	v_accvgpr_read_b32 v5, a215
	v_accvgpr_read_b32 v6, a216
	v_mul_f64 v[4:5], v[244:245], v[4:5]
	v_accvgpr_read_b32 v7, a217
	v_fma_f64 v[4:5], v[242:243], v[6:7], -v[4:5]
	v_add_f64 v[2:3], v[2:3], v[4:5]
	v_accvgpr_read_b32 v4, a218
	v_accvgpr_read_b32 v5, a219
	v_mul_f64 v[4:5], v[240:241], v[4:5]
	v_fma_f64 v[4:5], v[238:239], v[252:253], -v[4:5]
	v_add_f64 v[2:3], v[2:3], v[4:5]
	v_mul_f64 v[4:5], v[128:129], v[130:131]
	v_fma_f64 v[4:5], v[126:127], v[246:247], -v[4:5]
	v_add_f64 v[2:3], v[2:3], v[4:5]
	;; [unrolled: 3-line block ×24, first 2 shown]
	s_waitcnt vmcnt(2)
	v_add_f64 v[2:3], v[0:1], -v[2:3]
	v_accvgpr_read_b32 v0, a179
	v_cmp_lt_u32_e32 vcc, 1, v0
	s_waitcnt vmcnt(0)
	v_add_f64 v[4:5], v[218:219], -v[212:213]
	buffer_store_dword v3, off, s[0:3], 0 offset:52
	buffer_store_dword v2, off, s[0:3], 0 offset:48
	;; [unrolled: 1-line block ×4, first 2 shown]
	s_and_saveexec_b64 s[4:5], vcc
	s_cbranch_execz .LBB123_371
; %bb.370:
	v_accvgpr_read_b32 v0, a178
	buffer_load_dword v2, v0, s[0:3], 0 offen
	buffer_load_dword v3, v0, s[0:3], 0 offen offset:4
	buffer_load_dword v4, v0, s[0:3], 0 offen offset:8
	;; [unrolled: 1-line block ×3, first 2 shown]
	v_accvgpr_read_b32 v0, a180
	buffer_store_dword v220, off, s[0:3], 0 offset:32
	buffer_store_dword v220, off, s[0:3], 0 offset:36
	;; [unrolled: 1-line block ×4, first 2 shown]
	s_waitcnt vmcnt(4)
	ds_write_b128 v0, v[2:5]
.LBB123_371:
	s_or_b64 exec, exec, s[4:5]
	s_waitcnt lgkmcnt(0)
	; wave barrier
	s_waitcnt lgkmcnt(0)
	buffer_load_dword v6, off, s[0:3], 0 offset:48
	buffer_load_dword v7, off, s[0:3], 0 offset:52
	;; [unrolled: 1-line block ×42, first 2 shown]
	ds_read_b128 v[104:107], v220 offset:992
	ds_read_b128 v[108:111], v220 offset:1008
	ds_read_b128 v[112:115], v220 offset:1024
	ds_read_b128 v[132:135], v220 offset:1040
	ds_read_b128 v[136:139], v220 offset:1056
	ds_read_b128 v[140:143], v220 offset:1072
	ds_read_b128 v[144:147], v220 offset:1088
	ds_read_b128 v[148:151], v220 offset:1104
	ds_read_b128 v[152:155], v220 offset:1120
	ds_read_b128 v[30:33], v220 offset:1136
	buffer_load_dword v99, off, s[0:3], 0 offset:196
	buffer_load_dword v98, off, s[0:3], 0 offset:192
	ds_read_b128 v[38:41], v220 offset:1152
	buffer_load_dword v85, off, s[0:3], 0 offset:252
	buffer_load_dword v84, off, s[0:3], 0 offset:248
	;; [unrolled: 1-line block ×6, first 2 shown]
	s_waitcnt vmcnt(46) lgkmcnt(10)
	v_mul_f64 v[52:53], v[104:105], v[10:11]
	v_fmac_f64_e32 v[52:53], v[106:107], v[6:7]
	v_add_f64 v[52:53], v[52:53], 0
	v_mul_f64 v[10:11], v[106:107], v[10:11]
	s_waitcnt vmcnt(42) lgkmcnt(9)
	v_mul_f64 v[54:55], v[108:109], v[8:9]
	v_fmac_f64_e32 v[54:55], v[110:111], v[4:5]
	s_waitcnt vmcnt(40) lgkmcnt(8)
	v_mul_f64 v[56:57], v[112:113], v[226:227]
	v_add_f64 v[52:53], v[52:53], v[54:55]
	s_waitcnt vmcnt(38) lgkmcnt(6)
	v_mul_f64 v[60:61], v[136:137], v[12:13]
	v_mul_f64 v[8:9], v[110:111], v[8:9]
	s_waitcnt vmcnt(36)
	v_fmac_f64_e32 v[60:61], v[138:139], v[14:15]
	v_fma_f64 v[224:225], v[108:109], v[4:5], -v[8:9]
	s_waitcnt vmcnt(34)
	v_mul_f64 v[58:59], v[132:133], v[228:229]
	s_waitcnt vmcnt(32) lgkmcnt(4)
	v_mul_f64 v[64:65], v[144:145], v[252:253]
	s_waitcnt vmcnt(30)
	v_fmac_f64_e32 v[64:65], v[146:147], v[250:251]
	s_waitcnt vmcnt(28)
	v_mul_f64 v[62:63], v[140:141], v[22:23]
	s_waitcnt vmcnt(26) lgkmcnt(2)
	v_mul_f64 v[68:69], v[152:153], v[206:207]
	s_waitcnt vmcnt(23)
	v_mul_f64 v[66:67], v[148:149], v[24:25]
	s_waitcnt vmcnt(21) lgkmcnt(1)
	v_mul_f64 v[116:117], v[30:31], v[34:35]
	s_waitcnt vmcnt(19)
	v_fmac_f64_e32 v[56:57], v[114:115], v[214:215]
	v_add_f64 v[52:53], v[52:53], v[56:57]
	s_waitcnt vmcnt(17)
	v_fmac_f64_e32 v[58:59], v[134:135], v[212:213]
	v_add_f64 v[52:53], v[52:53], v[58:59]
	;; [unrolled: 3-line block ×3, first 2 shown]
	v_add_f64 v[52:53], v[52:53], v[62:63]
	s_waitcnt vmcnt(13)
	v_fmac_f64_e32 v[66:67], v[150:151], v[36:37]
	v_add_f64 v[52:53], v[52:53], v[64:65]
	s_waitcnt vmcnt(12)
	v_fmac_f64_e32 v[68:69], v[154:155], v[18:19]
	v_add_f64 v[52:53], v[52:53], v[66:67]
	v_add_f64 v[118:119], v[52:53], v[68:69]
	buffer_load_dword v217, off, s[0:3], 0 offset:228
	buffer_load_dword v216, off, s[0:3], 0 offset:224
	;; [unrolled: 1-line block ×68, first 2 shown]
	s_waitcnt vmcnt(62)
	v_fmac_f64_e32 v[116:117], v[32:33], v[98:99]
	v_add_f64 v[116:117], v[118:119], v[116:117]
	s_waitcnt lgkmcnt(0)
	v_mul_f64 v[118:119], v[38:39], v[48:49]
	v_fmac_f64_e32 v[118:119], v[40:41], v[50:51]
	v_add_f64 v[116:117], v[116:117], v[118:119]
	v_mul_f64 v[32:33], v[32:33], v[34:35]
	v_mul_f64 v[40:41], v[40:41], v[48:49]
	s_waitcnt vmcnt(0)
	v_pk_mov_b32 v[124:125], v[122:123], v[122:123] op_sel:[0,1]
	buffer_load_dword v123, off, s[0:3], 0 offset:532
	buffer_load_dword v122, off, s[0:3], 0 offset:528
	;; [unrolled: 1-line block ×4, first 2 shown]
	v_accvgpr_write_b32 a195, v125
	v_accvgpr_write_b32 a194, v124
	s_waitcnt vmcnt(2)
	v_accvgpr_write_b32 a197, v123
	v_accvgpr_write_b32 a196, v122
	s_waitcnt vmcnt(0)
	v_pk_mov_b32 v[128:129], v[126:127], v[126:127] op_sel:[0,1]
	buffer_load_dword v127, off, s[0:3], 0 offset:516
	buffer_load_dword v126, off, s[0:3], 0 offset:512
	ds_read_b128 v[156:159], v220 offset:1168
	ds_read_b128 v[160:163], v220 offset:1184
	;; [unrolled: 1-line block ×6, first 2 shown]
	s_waitcnt lgkmcnt(5)
	v_mul_f64 v[118:119], v[156:157], v[96:97]
	v_fmac_f64_e32 v[118:119], v[158:159], v[216:217]
	v_add_f64 v[116:117], v[116:117], v[118:119]
	s_waitcnt lgkmcnt(4)
	v_mul_f64 v[118:119], v[160:161], v[84:85]
	v_fmac_f64_e32 v[118:119], v[162:163], v[90:91]
	v_add_f64 v[116:117], v[116:117], v[118:119]
	;; [unrolled: 4-line block ×3, first 2 shown]
	s_waitcnt lgkmcnt(2)
	v_mul_f64 v[118:119], v[168:169], v[218:219]
	v_fmac_f64_e32 v[118:119], v[170:171], v[222:223]
	ds_read_b128 v[180:183], v220 offset:1264
	ds_read_b128 v[184:187], v220 offset:1280
	v_add_f64 v[116:117], v[116:117], v[118:119]
	s_waitcnt lgkmcnt(3)
	v_mul_f64 v[118:119], v[172:173], v[44:45]
	v_fmac_f64_e32 v[118:119], v[174:175], v[46:47]
	v_add_f64 v[116:117], v[116:117], v[118:119]
	s_waitcnt lgkmcnt(2)
	v_mul_f64 v[118:119], v[176:177], v[236:237]
	v_fmac_f64_e32 v[118:119], v[178:179], v[254:255]
	ds_read_b128 v[188:191], v220 offset:1296
	ds_read_b128 v[192:195], v220 offset:1312
	v_add_f64 v[116:117], v[116:117], v[118:119]
	s_waitcnt lgkmcnt(3)
	v_mul_f64 v[118:119], v[180:181], v[0:1]
	v_fmac_f64_e32 v[118:119], v[182:183], v[2:3]
	v_add_f64 v[116:117], v[116:117], v[118:119]
	s_waitcnt lgkmcnt(2)
	v_mul_f64 v[118:119], v[184:185], v[92:93]
	v_fmac_f64_e32 v[118:119], v[186:187], v[94:95]
	;; [unrolled: 4-line block ×3, first 2 shown]
	v_add_f64 v[116:117], v[116:117], v[118:119]
	ds_read_b128 v[196:199], v220 offset:1328
	buffer_load_dword v118, off, s[0:3], 0 offset:568
	buffer_load_dword v131, off, s[0:3], 0 offset:556
	;; [unrolled: 1-line block ×3, first 2 shown]
	v_accvgpr_write_b32 a187, v129
	v_accvgpr_write_b32 a186, v128
	v_mul_f64 v[44:45], v[174:175], v[44:45]
	v_mul_f64 v[0:1], v[182:183], v[0:1]
	s_waitcnt vmcnt(3)
	v_accvgpr_write_b32 a189, v127
	v_accvgpr_write_b32 a188, v126
	s_waitcnt vmcnt(0)
	v_pk_mov_b32 v[238:239], v[130:131], v[130:131] op_sel:[0,1]
	buffer_load_dword v131, off, s[0:3], 0 offset:548
	buffer_load_dword v130, off, s[0:3], 0 offset:544
	v_accvgpr_write_b32 a202, v238
	v_accvgpr_write_b32 a203, v239
	s_waitcnt vmcnt(0)
	v_pk_mov_b32 v[244:245], v[130:131], v[130:131] op_sel:[0,1]
	buffer_load_dword v130, off, s[0:3], 0 offset:560
	buffer_load_dword v119, off, s[0:3], 0 offset:572
	;; [unrolled: 1-line block ×3, first 2 shown]
	ds_read_b128 v[200:203], v220 offset:1344
	v_accvgpr_write_b32 a208, v244
	v_accvgpr_write_b32 a209, v245
	s_waitcnt vmcnt(1)
	v_pk_mov_b32 v[240:241], v[118:119], v[118:119] op_sel:[0,1]
	s_waitcnt vmcnt(0)
	v_pk_mov_b32 v[242:243], v[130:131], v[130:131] op_sel:[0,1]
	buffer_load_dword v131, off, s[0:3], 0 offset:604
	buffer_load_dword v121, off, s[0:3], 0 offset:588
	;; [unrolled: 1-line block ×6, first 2 shown]
	s_waitcnt lgkmcnt(2)
	v_mul_f64 v[118:119], v[192:193], v[60:61]
	v_fmac_f64_e32 v[118:119], v[194:195], v[70:71]
	v_add_f64 v[116:117], v[116:117], v[118:119]
	s_waitcnt lgkmcnt(1)
	v_mul_f64 v[118:119], v[196:197], v[72:73]
	v_fmac_f64_e32 v[118:119], v[198:199], v[82:83]
	v_add_f64 v[116:117], v[116:117], v[118:119]
	s_waitcnt lgkmcnt(0)
	v_mul_f64 v[118:119], v[200:201], v[52:53]
	v_fmac_f64_e32 v[118:119], v[202:203], v[54:55]
	v_add_f64 v[116:117], v[116:117], v[118:119]
	v_fma_f64 v[118:119], v[104:105], v[6:7], -v[10:11]
	v_accvgpr_write_b32 a206, v242
	v_accvgpr_write_b32 a207, v243
	v_accvgpr_write_b32 a204, v240
	v_accvgpr_write_b32 a205, v241
	s_waitcnt vmcnt(3)
	v_accvgpr_write_b32 a211, v121
	v_accvgpr_write_b32 a210, v120
	s_waitcnt vmcnt(1)
	v_accvgpr_write_b32 a213, v205
	s_waitcnt vmcnt(0)
	v_pk_mov_b32 v[246:247], v[130:131], v[130:131] op_sel:[0,1]
	buffer_load_dword v21, off, s[0:3], 0 offset:596
	buffer_load_dword v20, off, s[0:3], 0 offset:592
	;; [unrolled: 1-line block ×6, first 2 shown]
	ds_read_b128 v[26:29], v220 offset:1360
	ds_read_b128 v[104:107], v220 offset:1376
	;; [unrolled: 1-line block ×5, first 2 shown]
	s_waitcnt lgkmcnt(4)
	v_mul_f64 v[6:7], v[26:27], v[56:57]
	v_fmac_f64_e32 v[6:7], v[28:29], v[58:59]
	v_add_f64 v[4:5], v[116:117], v[6:7]
	s_waitcnt lgkmcnt(3)
	v_mul_f64 v[6:7], v[104:105], v[62:63]
	v_fmac_f64_e32 v[6:7], v[106:107], v[64:65]
	v_add_f64 v[4:5], v[4:5], v[6:7]
	;; [unrolled: 4-line block ×3, first 2 shown]
	v_mul_f64 v[6:7], v[114:115], v[226:227]
	v_fma_f64 v[226:227], v[112:113], v[214:215], -v[6:7]
	ds_read_b128 v[112:115], v220 offset:1424
	s_waitcnt lgkmcnt(2)
	v_mul_f64 v[6:7], v[208:209], v[74:75]
	v_fmac_f64_e32 v[6:7], v[210:211], v[76:77]
	v_add_f64 v[4:5], v[4:5], v[6:7]
	v_mul_f64 v[6:7], v[134:135], v[228:229]
	v_fma_f64 v[228:229], v[132:133], v[212:213], -v[6:7]
	ds_read_b128 v[212:215], v220 offset:1440
	s_waitcnt lgkmcnt(1)
	v_mul_f64 v[6:7], v[112:113], v[78:79]
	v_fmac_f64_e32 v[6:7], v[114:115], v[80:81]
	v_add_f64 v[4:5], v[4:5], v[6:7]
	v_mul_f64 v[6:7], v[138:139], v[12:13]
	v_fma_f64 v[230:231], v[136:137], v[14:15], -v[6:7]
	s_waitcnt lgkmcnt(0)
	v_mul_f64 v[6:7], v[212:213], v[86:87]
	v_fmac_f64_e32 v[6:7], v[214:215], v[88:89]
	v_add_f64 v[4:5], v[4:5], v[6:7]
	v_mul_f64 v[6:7], v[8:9], v[128:129]
	v_fmac_f64_e32 v[6:7], v[10:11], v[126:127]
	v_accvgpr_write_b32 a185, v11
	buffer_load_dword v248, off, s[0:3], 0 offset:632
	buffer_load_dword v249, off, s[0:3], 0 offset:636
	v_accvgpr_write_b32 a184, v10
	v_accvgpr_write_b32 a183, v9
	;; [unrolled: 1-line block ×3, first 2 shown]
	v_add_f64 v[4:5], v[4:5], v[6:7]
	ds_read_b128 v[6:9], v220 offset:1472
	ds_read_b128 v[126:129], v220 offset:1488
	v_mul_f64 v[10:11], v[142:143], v[22:23]
	v_fma_f64 v[116:117], v[140:141], v[42:43], -v[10:11]
	v_mul_f64 v[14:15], v[146:147], v[252:253]
	s_waitcnt lgkmcnt(1)
	v_pk_mov_b32 v[12:13], v[8:9], v[8:9] op_sel:[0,1]
	v_pk_mov_b32 v[10:11], v[6:7], v[6:7] op_sel:[0,1]
	v_fma_f64 v[132:133], v[144:145], v[250:251], -v[14:15]
	ds_read_b128 v[250:253], v220 offset:1504
	v_mul_f64 v[8:9], v[10:11], v[124:125]
	v_fmac_f64_e32 v[8:9], v[12:13], v[122:123]
	v_add_f64 v[4:5], v[4:5], v[8:9]
	s_waitcnt lgkmcnt(1)
	v_mul_f64 v[8:9], v[126:127], v[238:239]
	v_fmac_f64_e32 v[8:9], v[128:129], v[244:245]
	v_add_f64 v[4:5], v[4:5], v[8:9]
	s_waitcnt lgkmcnt(0)
	v_mul_f64 v[8:9], v[250:251], v[240:241]
	v_fmac_f64_e32 v[8:9], v[252:253], v[242:243]
	ds_read_b128 v[242:245], v220 offset:1520
	v_add_f64 v[8:9], v[4:5], v[8:9]
	v_mul_f64 v[4:5], v[150:151], v[24:25]
	v_fma_f64 v[22:23], v[148:149], v[36:37], -v[4:5]
	buffer_load_dword v4, off, s[0:3], 0 offset:624
	buffer_load_dword v5, off, s[0:3], 0 offset:628
	ds_read_b128 v[238:241], v220 offset:1536
	v_accvgpr_write_b32 a201, v129
	v_accvgpr_write_b32 a200, v128
	v_accvgpr_write_b32 a199, v127
	v_accvgpr_write_b32 a198, v126
	ds_read_b128 v[126:129], v220 offset:1552
	s_waitcnt lgkmcnt(2)
	v_mul_f64 v[36:37], v[242:243], v[120:121]
	v_fmac_f64_e32 v[36:37], v[244:245], v[204:205]
	v_add_f64 v[8:9], v[8:9], v[36:37]
	s_waitcnt lgkmcnt(1)
	v_mul_f64 v[36:37], v[238:239], v[246:247]
	v_accvgpr_write_b32 a193, v13
	v_accvgpr_write_b32 a192, v12
	;; [unrolled: 1-line block ×4, first 2 shown]
	s_waitcnt vmcnt(8)
	v_fmac_f64_e32 v[36:37], v[240:241], v[20:21]
	v_add_f64 v[8:9], v[8:9], v[36:37]
	s_waitcnt vmcnt(6) lgkmcnt(0)
	v_mul_f64 v[36:37], v[126:127], v[16:17]
	v_mul_f64 v[12:13], v[154:155], v[206:207]
	s_waitcnt vmcnt(4)
	v_fmac_f64_e32 v[36:37], v[128:129], v[130:131]
	v_add_f64 v[8:9], v[8:9], v[36:37]
	ds_read_b128 v[34:37], v220 offset:1568
	ds_read_b128 v[122:125], v220 offset:1584
	buffer_load_dword v134, off, s[0:3], 0 offset:664
	buffer_load_dword v139, off, s[0:3], 0 offset:652
	;; [unrolled: 1-line block ×10, first 2 shown]
	v_fma_f64 v[18:19], v[152:153], v[18:19], -v[12:13]
	buffer_load_dword v151, off, s[0:3], 0 offset:684
	buffer_load_dword v150, off, s[0:3], 0 offset:680
	;; [unrolled: 1-line block ×7, first 2 shown]
	v_fma_f64 v[154:155], v[38:39], v[50:51], -v[40:41]
	v_mul_f64 v[38:39], v[158:159], v[96:97]
	v_mul_f64 v[42:43], v[166:167], v[232:233]
	v_fma_f64 v[38:39], v[156:157], v[216:217], -v[38:39]
	v_mul_f64 v[40:41], v[162:163], v[84:85]
	v_fma_f64 v[162:163], v[164:165], v[234:235], -v[42:43]
	buffer_load_dword v232, off, s[0:3], 0 offset:720
	buffer_load_dword v235, off, s[0:3], 0 offset:716
	;; [unrolled: 1-line block ×7, first 2 shown]
	v_fma_f64 v[40:41], v[160:161], v[90:91], -v[40:41]
	buffer_load_dword v159, off, s[0:3], 0 offset:748
	buffer_load_dword v158, off, s[0:3], 0 offset:744
	;; [unrolled: 1-line block ×8, first 2 shown]
	v_accvgpr_write_b32 a217, v17
	v_accvgpr_write_b32 a216, v16
	v_mul_f64 v[42:43], v[170:171], v[218:219]
	v_fma_f64 v[16:17], v[172:173], v[46:47], -v[44:45]
	v_mul_f64 v[44:45], v[178:179], v[236:237]
	v_fma_f64 v[218:219], v[168:169], v[222:223], -v[42:43]
	v_fma_f64 v[120:121], v[176:177], v[254:255], -v[44:45]
	buffer_load_dword v237, off, s[0:3], 0 offset:796
	buffer_load_dword v169, off, s[0:3], 0 offset:780
	;; [unrolled: 1-line block ×12, first 2 shown]
	v_fma_f64 v[12:13], v[180:181], v[2:3], -v[0:1]
	v_mul_f64 v[2:3], v[186:187], v[92:93]
	v_mul_f64 v[14:15], v[190:191], v[100:101]
	v_fma_f64 v[146:147], v[30:31], v[98:99], -v[32:33]
	v_fma_f64 v[10:11], v[184:185], v[94:95], -v[2:3]
	;; [unrolled: 1-line block ×3, first 2 shown]
	buffer_load_dword v180, off, s[0:3], 0 offset:824
	buffer_load_dword v182, off, s[0:3], 0 offset:816
	buffer_load_dword v181, off, s[0:3], 0 offset:828
	buffer_load_dword v183, off, s[0:3], 0 offset:820
	buffer_load_dword v178, off, s[0:3], 0 offset:856
	buffer_load_dword v187, off, s[0:3], 0 offset:844
	buffer_load_dword v186, off, s[0:3], 0 offset:840
	buffer_load_dword v189, off, s[0:3], 0 offset:836
	buffer_load_dword v188, off, s[0:3], 0 offset:832
	buffer_load_dword v184, off, s[0:3], 0 offset:848
	buffer_load_dword v179, off, s[0:3], 0 offset:860
	buffer_load_dword v185, off, s[0:3], 0 offset:852
	buffer_load_dword v191, off, s[0:3], 0 offset:876
	buffer_load_dword v190, off, s[0:3], 0 offset:872
	buffer_load_dword v255, off, s[0:3], 0 offset:868
	buffer_load_dword v254, off, s[0:3], 0 offset:864
	ds_read_b128 v[30:33], v220 offset:1600
	s_waitcnt vmcnt(62) lgkmcnt(2)
	v_mul_f64 v[42:43], v[34:35], v[248:249]
	v_accvgpr_write_b32 a221, v131
	v_accvgpr_write_b32 a220, v130
	ds_read_b128 v[46:49], v220 offset:1632
	v_accvgpr_write_b32 a219, v21
	v_mul_f64 v[14:15], v[194:195], v[60:61]
	v_accvgpr_write_b32 a218, v20
	v_fma_f64 v[14:15], v[192:193], v[70:71], -v[14:15]
	v_mul_f64 v[66:67], v[110:111], v[66:67]
	v_fma_f64 v[0:1], v[108:109], v[68:69], -v[66:67]
	v_accvgpr_write_b32 a212, v204
	v_accvgpr_write_b32 a214, v246
	v_accvgpr_write_b32 a215, v247
	ds_read_b128 v[66:69], v220 offset:1712
	ds_read_b128 v[90:93], v220 offset:1808
	s_waitcnt vmcnt(60)
	v_fmac_f64_e32 v[42:43], v[36:37], v[4:5]
	v_add_f64 v[8:9], v[8:9], v[42:43]
	v_pk_mov_b32 v[130:131], v[4:5], v[4:5] op_sel:[0,1]
	s_waitcnt vmcnt(57) lgkmcnt(4)
	v_mul_f64 v[42:43], v[122:123], v[138:139]
	s_waitcnt vmcnt(55)
	v_fmac_f64_e32 v[42:43], v[124:125], v[140:141]
	v_add_f64 v[8:9], v[8:9], v[42:43]
	v_mul_f64 v[42:43], v[198:199], v[72:73]
	v_fma_f64 v[4:5], v[196:197], v[82:83], -v[42:43]
	ds_read_b128 v[42:45], v220 offset:1616
	s_waitcnt vmcnt(53) lgkmcnt(4)
	v_mul_f64 v[24:25], v[30:31], v[134:135]
	s_waitcnt vmcnt(52)
	v_fmac_f64_e32 v[24:25], v[32:33], v[142:143]
	v_add_f64 v[8:9], v[8:9], v[24:25]
	v_mul_f64 v[24:25], v[202:203], v[52:53]
	ds_read_b128 v[50:53], v220 offset:1648
	v_fma_f64 v[24:25], v[200:201], v[54:55], -v[24:25]
	s_waitcnt vmcnt(48) lgkmcnt(1)
	v_mul_f64 v[54:55], v[42:43], v[150:151]
	s_waitcnt vmcnt(46)
	v_fmac_f64_e32 v[54:55], v[44:45], v[152:153]
	v_add_f64 v[8:9], v[8:9], v[54:55]
	v_mul_f64 v[54:55], v[28:29], v[56:57]
	v_fma_f64 v[2:3], v[26:27], v[58:59], -v[54:55]
	ds_read_b128 v[54:57], v220 offset:1664
	v_mul_f64 v[60:61], v[46:47], v[136:137]
	s_waitcnt vmcnt(44)
	v_fmac_f64_e32 v[60:61], v[48:49], v[148:149]
	s_waitcnt vmcnt(40) lgkmcnt(1)
	v_mul_f64 v[20:21], v[50:51], v[234:235]
	v_add_f64 v[8:9], v[8:9], v[60:61]
	ds_read_b128 v[58:61], v220 offset:1680
	s_waitcnt vmcnt(38)
	v_fmac_f64_e32 v[20:21], v[52:53], v[156:157]
	v_add_f64 v[8:9], v[8:9], v[20:21]
	s_waitcnt vmcnt(37) lgkmcnt(1)
	v_mul_f64 v[20:21], v[54:55], v[144:145]
	s_waitcnt vmcnt(36)
	v_fmac_f64_e32 v[20:21], v[56:57], v[232:233]
	v_add_f64 v[8:9], v[8:9], v[20:21]
	v_mul_f64 v[20:21], v[106:107], v[62:63]
	v_fma_f64 v[20:21], v[104:105], v[64:65], -v[20:21]
	ds_read_b128 v[62:65], v220 offset:1696
	s_waitcnt vmcnt(34) lgkmcnt(1)
	v_mul_f64 v[70:71], v[58:59], v[158:159]
	s_waitcnt vmcnt(32)
	v_fmac_f64_e32 v[70:71], v[60:61], v[160:161]
	v_add_f64 v[8:9], v[8:9], v[70:71]
	ds_read_b128 v[70:73], v220 offset:1728
	s_waitcnt vmcnt(29) lgkmcnt(1)
	v_mul_f64 v[26:27], v[62:63], v[164:165]
	s_waitcnt vmcnt(28)
	v_fmac_f64_e32 v[26:27], v[64:65], v[166:167]
	v_add_f64 v[8:9], v[8:9], v[26:27]
	v_mul_f64 v[26:27], v[210:211], v[74:75]
	v_fma_f64 v[222:223], v[208:209], v[76:77], -v[26:27]
	ds_read_b128 v[74:77], v220 offset:1744
	s_waitcnt vmcnt(25)
	v_mul_f64 v[26:27], v[66:67], v[168:169]
	s_waitcnt vmcnt(23)
	v_fmac_f64_e32 v[26:27], v[68:69], v[174:175]
	v_add_f64 v[8:9], v[8:9], v[26:27]
	s_waitcnt vmcnt(22) lgkmcnt(1)
	v_mul_f64 v[26:27], v[70:71], v[236:237]
	s_waitcnt vmcnt(20)
	v_fmac_f64_e32 v[26:27], v[72:73], v[172:173]
	s_waitcnt vmcnt(18) lgkmcnt(0)
	v_mul_f64 v[28:29], v[74:75], v[170:171]
	v_add_f64 v[26:27], v[8:9], v[26:27]
	s_waitcnt vmcnt(16)
	v_fmac_f64_e32 v[28:29], v[76:77], v[176:177]
	v_mul_f64 v[8:9], v[114:115], v[78:79]
	v_add_f64 v[26:27], v[26:27], v[28:29]
	v_mul_f64 v[28:29], v[214:215], v[86:87]
	v_fma_f64 v[8:9], v[112:113], v[80:81], -v[8:9]
	ds_read_b128 v[82:85], v220 offset:1760
	ds_read_b128 v[78:81], v220 offset:1776
	v_fma_f64 v[114:115], v[212:213], v[88:89], -v[28:29]
	ds_read_b128 v[86:89], v220 offset:1792
	buffer_load_dword v192, off, s[0:3], 0 offset:888
	buffer_load_dword v193, off, s[0:3], 0 offset:892
	buffer_load_dword v194, off, s[0:3], 0 offset:880
	buffer_load_dword v195, off, s[0:3], 0 offset:884
	ds_read_b128 v[94:97], v220 offset:1824
	buffer_load_dword v197, off, s[0:3], 0 offset:908
	buffer_load_dword v196, off, s[0:3], 0 offset:904
	buffer_load_dword v199, off, s[0:3], 0 offset:900
	buffer_load_dword v198, off, s[0:3], 0 offset:896
	;; [unrolled: 5-line block ×5, first 2 shown]
	s_waitcnt vmcnt(33) lgkmcnt(6)
	v_mul_f64 v[28:29], v[82:83], v[180:181]
	s_waitcnt vmcnt(32)
	v_fmac_f64_e32 v[28:29], v[84:85], v[182:183]
	v_add_f64 v[26:27], v[26:27], v[28:29]
	s_waitcnt vmcnt(29) lgkmcnt(5)
	v_mul_f64 v[28:29], v[78:79], v[186:187]
	s_waitcnt vmcnt(27)
	v_fmac_f64_e32 v[28:29], v[80:81], v[188:189]
	v_add_f64 v[26:27], v[26:27], v[28:29]
	;; [unrolled: 5-line block ×3, first 2 shown]
	s_waitcnt vmcnt(22)
	v_mul_f64 v[28:29], v[90:91], v[190:191]
	s_waitcnt vmcnt(20)
	v_fmac_f64_e32 v[28:29], v[92:93], v[254:255]
	v_add_f64 v[26:27], v[26:27], v[28:29]
	ds_read_b128 v[110:113], v220 offset:1888
	buffer_load_dword v215, off, s[0:3], 0 offset:972
	buffer_load_dword v214, off, s[0:3], 0 offset:968
	;; [unrolled: 1-line block ×4, first 2 shown]
	s_waitcnt vmcnt(22) lgkmcnt(4)
	v_mul_f64 v[28:29], v[94:95], v[192:193]
	s_waitcnt vmcnt(20)
	v_fmac_f64_e32 v[28:29], v[96:97], v[194:195]
	v_add_f64 v[26:27], v[26:27], v[28:29]
	s_waitcnt vmcnt(18) lgkmcnt(3)
	v_mul_f64 v[28:29], v[98:99], v[196:197]
	s_waitcnt vmcnt(16)
	v_fmac_f64_e32 v[28:29], v[100:101], v[198:199]
	v_add_f64 v[26:27], v[26:27], v[28:29]
	;; [unrolled: 5-line block ×5, first 2 shown]
	ds_read_b128 v[26:29], v220 offset:1904
	v_add_f64 v[220:221], v[118:119], 0
	v_add_f64 v[220:221], v[220:221], v[224:225]
	;; [unrolled: 1-line block ×23, first 2 shown]
	buffer_load_dword v224, off, s[0:3], 0 offset:32
	buffer_load_dword v225, off, s[0:3], 0 offset:36
	;; [unrolled: 1-line block ×4, first 2 shown]
	v_add_f64 v[2:3], v[4:5], v[2:3]
	v_add_f64 v[2:3], v[2:3], v[20:21]
	;; [unrolled: 1-line block ×3, first 2 shown]
	v_accvgpr_read_b32 v4, a182
	v_accvgpr_read_b32 v2, a186
	;; [unrolled: 1-line block ×5, first 2 shown]
	v_add_f64 v[226:227], v[0:1], v[222:223]
	v_mul_f64 v[2:3], v[6:7], v[2:3]
	v_accvgpr_read_b32 v6, a188
	v_add_f64 v[0:1], v[226:227], v[8:9]
	v_accvgpr_read_b32 v5, a183
	v_accvgpr_read_b32 v7, a189
	v_add_f64 v[0:1], v[0:1], v[114:115]
	v_fma_f64 v[2:3], v[4:5], v[6:7], -v[2:3]
	v_add_f64 v[0:1], v[0:1], v[2:3]
	v_accvgpr_read_b32 v4, a190
	v_accvgpr_read_b32 v2, a194
	;; [unrolled: 1-line block ×5, first 2 shown]
	v_mul_f64 v[2:3], v[6:7], v[2:3]
	v_accvgpr_read_b32 v6, a196
	v_accvgpr_read_b32 v5, a191
	;; [unrolled: 1-line block ×3, first 2 shown]
	v_fma_f64 v[2:3], v[4:5], v[6:7], -v[2:3]
	v_add_f64 v[0:1], v[0:1], v[2:3]
	v_accvgpr_read_b32 v4, a198
	v_accvgpr_read_b32 v2, a202
	;; [unrolled: 1-line block ×5, first 2 shown]
	v_mul_f64 v[2:3], v[6:7], v[2:3]
	v_accvgpr_read_b32 v6, a208
	v_accvgpr_read_b32 v5, a199
	;; [unrolled: 1-line block ×3, first 2 shown]
	v_fma_f64 v[2:3], v[4:5], v[6:7], -v[2:3]
	v_add_f64 v[0:1], v[0:1], v[2:3]
	v_accvgpr_read_b32 v2, a204
	v_accvgpr_read_b32 v3, a205
	v_accvgpr_read_b32 v4, a206
	v_mul_f64 v[2:3], v[252:253], v[2:3]
	v_accvgpr_read_b32 v5, a207
	v_fma_f64 v[2:3], v[250:251], v[4:5], -v[2:3]
	v_add_f64 v[0:1], v[0:1], v[2:3]
	v_accvgpr_read_b32 v2, a210
	v_accvgpr_read_b32 v3, a211
	v_accvgpr_read_b32 v4, a212
	v_mul_f64 v[2:3], v[244:245], v[2:3]
	v_accvgpr_read_b32 v5, a213
	;; [unrolled: 7-line block ×4, first 2 shown]
	v_fma_f64 v[2:3], v[126:127], v[4:5], -v[2:3]
	v_add_f64 v[0:1], v[0:1], v[2:3]
	v_mul_f64 v[2:3], v[36:37], v[248:249]
	v_fma_f64 v[2:3], v[34:35], v[130:131], -v[2:3]
	v_add_f64 v[0:1], v[0:1], v[2:3]
	v_mul_f64 v[2:3], v[124:125], v[138:139]
	;; [unrolled: 3-line block ×21, first 2 shown]
	v_fma_f64 v[2:3], v[110:111], v[210:211], -v[2:3]
	v_add_f64 v[0:1], v[0:1], v[2:3]
	s_waitcnt vmcnt(6) lgkmcnt(0)
	v_mul_f64 v[2:3], v[28:29], v[214:215]
	v_mul_f64 v[246:247], v[26:27], v[214:215]
	s_waitcnt vmcnt(4)
	v_fma_f64 v[2:3], v[26:27], v[216:217], -v[2:3]
	v_fmac_f64_e32 v[246:247], v[28:29], v[216:217]
	v_add_f64 v[0:1], v[0:1], v[2:3]
	v_add_f64 v[212:213], v[212:213], v[246:247]
	s_waitcnt vmcnt(2)
	v_add_f64 v[0:1], v[224:225], -v[0:1]
	s_waitcnt vmcnt(0)
	v_add_f64 v[2:3], v[220:221], -v[212:213]
	buffer_store_dword v1, off, s[0:3], 0 offset:36
	buffer_store_dword v0, off, s[0:3], 0 offset:32
	;; [unrolled: 1-line block ×4, first 2 shown]
	v_accvgpr_read_b32 v0, a179
	v_cmp_ne_u32_e32 vcc, 0, v0
	s_and_saveexec_b64 s[4:5], vcc
	s_cbranch_execz .LBB123_373
; %bb.372:
	buffer_load_dword v0, off, s[0:3], 0 offset:16
	buffer_load_dword v1, off, s[0:3], 0 offset:20
	buffer_load_dword v2, off, s[0:3], 0 offset:24
	buffer_load_dword v3, off, s[0:3], 0 offset:28
	v_mov_b32_e32 v4, 0
	v_accvgpr_read_b32 v5, a180
	buffer_store_dword v4, off, s[0:3], 0 offset:16
	buffer_store_dword v4, off, s[0:3], 0 offset:20
	;; [unrolled: 1-line block ×4, first 2 shown]
	s_waitcnt vmcnt(4)
	ds_write_b128 v5, v[0:3]
.LBB123_373:
	s_or_b64 exec, exec, s[4:5]
	s_waitcnt lgkmcnt(0)
	; wave barrier
	s_waitcnt lgkmcnt(0)
	buffer_load_dword v6, off, s[0:3], 0 offset:32
	buffer_load_dword v7, off, s[0:3], 0 offset:36
	;; [unrolled: 1-line block ×54, first 2 shown]
	v_mov_b32_e32 v210, 0
	ds_read_b128 v[118:121], v210 offset:976
	ds_read_b128 v[122:125], v210 offset:992
	ds_read_b128 v[126:129], v210 offset:1008
	ds_read_b128 v[130:133], v210 offset:1024
	ds_read_b128 v[134:137], v210 offset:1040
	ds_read_b128 v[138:141], v210 offset:1056
	ds_read_b128 v[142:145], v210 offset:1072
	ds_read_b128 v[146:149], v210 offset:1088
	ds_read_b128 v[150:153], v210 offset:1104
	s_and_b64 vcc, exec, s[16:17]
	s_waitcnt vmcnt(50) lgkmcnt(8)
	v_mul_f64 v[46:47], v[118:119], v[8:9]
	v_fmac_f64_e32 v[46:47], v[120:121], v[6:7]
	v_add_f64 v[46:47], v[46:47], 0
	v_mul_f64 v[8:9], v[120:121], v[8:9]
	s_waitcnt vmcnt(46) lgkmcnt(7)
	v_mul_f64 v[48:49], v[122:123], v[4:5]
	v_fmac_f64_e32 v[48:49], v[124:125], v[0:1]
	s_waitcnt vmcnt(44) lgkmcnt(6)
	v_mul_f64 v[50:51], v[126:127], v[2:3]
	v_add_f64 v[46:47], v[46:47], v[48:49]
	s_waitcnt vmcnt(42) lgkmcnt(4)
	v_mul_f64 v[54:55], v[134:135], v[68:69]
	v_fma_f64 v[6:7], v[118:119], v[6:7], -v[8:9]
	s_waitcnt vmcnt(40)
	v_fmac_f64_e32 v[54:55], v[136:137], v[66:67]
	v_accvgpr_write_b32 a227, v7
	s_waitcnt vmcnt(38)
	v_mul_f64 v[52:53], v[130:131], v[34:35]
	v_mul_f64 v[4:5], v[124:125], v[4:5]
	s_waitcnt vmcnt(36) lgkmcnt(2)
	v_mul_f64 v[60:61], v[142:143], v[18:19]
	v_accvgpr_write_b32 a226, v6
	s_waitcnt vmcnt(34)
	v_fmac_f64_e32 v[60:61], v[144:145], v[22:23]
	v_mul_f64 v[18:19], v[144:145], v[18:19]
	s_waitcnt vmcnt(32)
	v_mul_f64 v[56:57], v[138:139], v[26:27]
	v_mul_f64 v[26:27], v[140:141], v[26:27]
	s_waitcnt vmcnt(30) lgkmcnt(1)
	v_mul_f64 v[106:107], v[146:147], v[10:11]
	v_accvgpr_write_b32 a189, v11
	s_waitcnt vmcnt(28)
	v_fmac_f64_e32 v[50:51], v[128:129], v[32:33]
	v_add_f64 v[46:47], v[46:47], v[50:51]
	s_waitcnt vmcnt(26)
	v_fmac_f64_e32 v[52:53], v[132:133], v[30:31]
	v_add_f64 v[46:47], v[46:47], v[52:53]
	;; [unrolled: 3-line block ×3, first 2 shown]
	v_add_f64 v[46:47], v[46:47], v[56:57]
	v_add_f64 v[108:109], v[46:47], v[60:61]
	buffer_load_dword v111, off, s[0:3], 0 offset:260
	buffer_load_dword v110, off, s[0:3], 0 offset:256
	;; [unrolled: 1-line block ×62, first 2 shown]
	ds_read_b128 v[154:157], v210 offset:1120
	ds_read_b128 v[158:161], v210 offset:1136
	s_waitcnt vmcnt(62)
	v_fmac_f64_e32 v[106:107], v[148:149], v[24:25]
	v_add_f64 v[106:107], v[108:109], v[106:107]
	s_waitcnt lgkmcnt(2)
	v_mul_f64 v[108:109], v[150:151], v[12:13]
	v_fmac_f64_e32 v[108:109], v[152:153], v[250:251]
	ds_read_b128 v[162:165], v210 offset:1152
	ds_read_b128 v[166:169], v210 offset:1168
	v_add_f64 v[106:107], v[106:107], v[108:109]
	s_waitcnt lgkmcnt(3)
	v_mul_f64 v[108:109], v[154:155], v[40:41]
	v_fmac_f64_e32 v[108:109], v[156:157], v[42:43]
	v_add_f64 v[106:107], v[106:107], v[108:109]
	s_waitcnt lgkmcnt(2)
	v_mul_f64 v[108:109], v[158:159], v[248:249]
	v_fmac_f64_e32 v[108:109], v[160:161], v[228:229]
	ds_read_b128 v[170:173], v210 offset:1184
	ds_read_b128 v[174:177], v210 offset:1200
	v_add_f64 v[106:107], v[106:107], v[108:109]
	s_waitcnt lgkmcnt(3)
	v_mul_f64 v[108:109], v[162:163], v[84:85]
	v_fmac_f64_e32 v[108:109], v[164:165], v[86:87]
	v_add_f64 v[106:107], v[106:107], v[108:109]
	s_waitcnt lgkmcnt(2)
	v_mul_f64 v[108:109], v[166:167], v[58:59]
	v_fmac_f64_e32 v[108:109], v[168:169], v[38:39]
	ds_read_b128 v[178:181], v210 offset:1216
	ds_read_b128 v[182:185], v210 offset:1232
	v_add_f64 v[106:107], v[106:107], v[108:109]
	s_waitcnt vmcnt(58) lgkmcnt(3)
	v_mul_f64 v[108:109], v[170:171], v[36:37]
	s_waitcnt vmcnt(56)
	v_fmac_f64_e32 v[108:109], v[172:173], v[226:227]
	v_add_f64 v[106:107], v[106:107], v[108:109]
	s_waitcnt lgkmcnt(2)
	v_mul_f64 v[108:109], v[174:175], v[44:45]
	v_fmac_f64_e32 v[108:109], v[176:177], v[110:111]
	ds_read_b128 v[186:189], v210 offset:1248
	ds_read_b128 v[190:193], v210 offset:1264
	v_add_f64 v[106:107], v[106:107], v[108:109]
	s_waitcnt vmcnt(50) lgkmcnt(3)
	v_mul_f64 v[108:109], v[178:179], v[112:113]
	s_waitcnt vmcnt(48)
	;; [unrolled: 11-line block ×3, first 2 shown]
	v_fmac_f64_e32 v[108:109], v[188:189], v[104:105]
	v_add_f64 v[106:107], v[106:107], v[108:109]
	s_waitcnt lgkmcnt(2)
	v_mul_f64 v[108:109], v[190:191], v[90:91]
	v_fmac_f64_e32 v[108:109], v[192:193], v[92:93]
	v_add_f64 v[106:107], v[106:107], v[108:109]
	s_waitcnt vmcnt(34) lgkmcnt(1)
	v_mul_f64 v[108:109], v[194:195], v[98:99]
	s_waitcnt vmcnt(32)
	v_fmac_f64_e32 v[108:109], v[196:197], v[102:103]
	v_add_f64 v[106:107], v[106:107], v[108:109]
	s_waitcnt lgkmcnt(0)
	v_mul_f64 v[108:109], v[198:199], v[88:89]
	v_fmac_f64_e32 v[108:109], v[200:201], v[82:83]
	ds_read_b128 v[202:205], v210 offset:1312
	v_add_f64 v[212:213], v[106:107], v[108:109]
	buffer_load_dword v107, off, s[0:3], 0 offset:508
	buffer_load_dword v106, off, s[0:3], 0 offset:504
	;; [unrolled: 1-line block ×4, first 2 shown]
	ds_read_b128 v[206:209], v210 offset:1328
	buffer_load_dword v217, off, s[0:3], 0 offset:524
	buffer_load_dword v216, off, s[0:3], 0 offset:520
	s_waitcnt vmcnt(32) lgkmcnt(1)
	v_mul_f64 v[214:215], v[202:203], v[70:71]
	s_waitcnt vmcnt(30)
	v_fmac_f64_e32 v[214:215], v[204:205], v[80:81]
	v_accvgpr_write_b32 a205, v13
	v_accvgpr_write_b32 a188, v10
	;; [unrolled: 1-line block ×3, first 2 shown]
	v_fma_f64 v[140:141], v[138:139], v[16:17], -v[26:27]
	v_fma_f64 v[142:143], v[142:143], v[22:23], -v[18:19]
	s_waitcnt vmcnt(0)
	v_pk_mov_b32 v[240:241], v[216:217], v[216:217] op_sel:[0,1]
	buffer_load_dword v217, off, s[0:3], 0 offset:516
	buffer_load_dword v216, off, s[0:3], 0 offset:512
	v_accvgpr_write_b32 a184, v240
	v_accvgpr_write_b32 a185, v241
	s_waitcnt vmcnt(0)
	v_pk_mov_b32 v[242:243], v[216:217], v[216:217] op_sel:[0,1]
	v_add_f64 v[216:217], v[212:213], v[214:215]
	ds_read_b128 v[212:215], v210 offset:1344
	buffer_load_dword v219, off, s[0:3], 0 offset:540
	buffer_load_dword v218, off, s[0:3], 0 offset:536
	v_accvgpr_write_b32 a186, v242
	v_accvgpr_write_b32 a187, v243
	s_waitcnt lgkmcnt(0)
	v_mul_f64 v[224:225], v[212:213], v[48:49]
	v_fmac_f64_e32 v[224:225], v[214:215], v[56:57]
	v_mul_f64 v[48:49], v[214:215], v[48:49]
	s_waitcnt vmcnt(0)
	v_pk_mov_b32 v[244:245], v[218:219], v[218:219] op_sel:[0,1]
	buffer_load_dword v219, off, s[0:3], 0 offset:532
	buffer_load_dword v218, off, s[0:3], 0 offset:528
	v_accvgpr_write_b32 a192, v244
	v_accvgpr_write_b32 a193, v245
	s_waitcnt vmcnt(0)
	v_pk_mov_b32 v[246:247], v[218:219], v[218:219] op_sel:[0,1]
	buffer_load_dword v219, off, s[0:3], 0 offset:556
	buffer_load_dword v218, off, s[0:3], 0 offset:552
	v_accvgpr_write_b32 a194, v246
	v_accvgpr_write_b32 a195, v247
	s_waitcnt vmcnt(0)
	v_pk_mov_b32 v[252:253], v[218:219], v[218:219] op_sel:[0,1]
	buffer_load_dword v219, off, s[0:3], 0 offset:548
	buffer_load_dword v218, off, s[0:3], 0 offset:544
	;; [unrolled: 1-line block ×10, first 2 shown]
	ds_read_b128 v[236:239], v210 offset:1392
	v_accvgpr_write_b32 a200, v252
	v_accvgpr_write_b32 a201, v253
	ds_read_b128 v[232:235], v210 offset:1376
	s_waitcnt vmcnt(5)
	v_accvgpr_write_b32 a213, v117
	v_accvgpr_write_b32 a212, v116
	s_waitcnt vmcnt(3)
	v_accvgpr_write_b32 a219, v29
	v_accvgpr_write_b32 a218, v28
	v_pk_mov_b32 v[254:255], v[218:219], v[218:219] op_sel:[0,1]
	v_mul_f64 v[218:219], v[206:207], v[46:47]
	v_fmac_f64_e32 v[218:219], v[208:209], v[50:51]
	v_add_f64 v[222:223], v[216:217], v[218:219]
	ds_read_b128 v[216:219], v210 offset:1360
	v_add_f64 v[6:7], v[222:223], v[224:225]
	v_fma_f64 v[222:223], v[122:123], v[0:1], -v[4:5]
	buffer_load_dword v1, off, s[0:3], 0 offset:604
	buffer_load_dword v0, off, s[0:3], 0 offset:600
	s_waitcnt lgkmcnt(2)
	v_mul_f64 v[4:5], v[236:237], v[64:65]
	s_waitcnt lgkmcnt(0)
	v_mul_f64 v[8:9], v[216:217], v[52:53]
	v_fmac_f64_e32 v[8:9], v[218:219], v[54:55]
	v_add_f64 v[6:7], v[6:7], v[8:9]
	v_mul_f64 v[8:9], v[232:233], v[60:61]
	v_fmac_f64_e32 v[8:9], v[234:235], v[62:63]
	v_add_f64 v[6:7], v[6:7], v[8:9]
	v_mul_f64 v[8:9], v[136:137], v[68:69]
	v_fma_f64 v[134:135], v[134:135], v[66:67], -v[8:9]
	v_fmac_f64_e32 v[4:5], v[238:239], v[76:77]
	v_add_f64 v[4:5], v[6:7], v[4:5]
	v_accvgpr_write_b32 a202, v254
	v_accvgpr_write_b32 a203, v255
	s_waitcnt vmcnt(3)
	v_accvgpr_write_b32 a214, v220
	v_accvgpr_write_b32 a215, v221
	s_waitcnt vmcnt(2)
	v_accvgpr_write_b32 a217, v15
	v_accvgpr_write_b32 a216, v14
	v_mul_f64 v[52:53], v[218:219], v[52:53]
	v_fma_f64 v[216:217], v[216:217], v[54:55], -v[52:53]
	v_mul_f64 v[60:61], v[234:235], v[60:61]
	v_mul_f64 v[64:65], v[238:239], v[64:65]
	v_fma_f64 v[218:219], v[236:237], v[76:77], -v[64:65]
	s_waitcnt vmcnt(0)
	v_pk_mov_b32 v[120:121], v[0:1], v[0:1] op_sel:[0,1]
	buffer_load_dword v1, off, s[0:3], 0 offset:596
	buffer_load_dword v0, off, s[0:3], 0 offset:592
	s_waitcnt vmcnt(0)
	v_pk_mov_b32 v[122:123], v[0:1], v[0:1] op_sel:[0,1]
	v_mul_f64 v[0:1], v[128:129], v[2:3]
	buffer_load_dword v21, off, s[0:3], 0 offset:620
	buffer_load_dword v20, off, s[0:3], 0 offset:616
	;; [unrolled: 1-line block ×8, first 2 shown]
	v_fma_f64 v[224:225], v[126:127], v[32:33], -v[0:1]
	v_mul_f64 v[0:1], v[132:133], v[34:35]
	ds_read_b128 v[32:35], v210 offset:1408
	ds_read_b128 v[66:69], v210 offset:1424
	v_fma_f64 v[126:127], v[130:131], v[30:31], -v[0:1]
	ds_read_b128 v[130:133], v210 offset:1456
	ds_read_b128 v[136:139], v210 offset:1472
	s_waitcnt lgkmcnt(3)
	v_mul_f64 v[6:7], v[32:33], v[72:73]
	v_fmac_f64_e32 v[6:7], v[34:35], v[74:75]
	v_add_f64 v[4:5], v[4:5], v[6:7]
	s_waitcnt lgkmcnt(2)
	v_mul_f64 v[6:7], v[66:67], v[230:231]
	v_fmac_f64_e32 v[6:7], v[68:69], v[78:79]
	v_add_f64 v[30:31], v[4:5], v[6:7]
	ds_read_b128 v[4:7], v210 offset:1440
	s_waitcnt lgkmcnt(2)
	v_mul_f64 v[18:19], v[130:131], v[240:241]
	v_accvgpr_write_b32 a183, v133
	v_fmac_f64_e32 v[18:19], v[132:133], v[242:243]
	v_accvgpr_write_b32 a182, v132
	v_accvgpr_write_b32 a181, v131
	;; [unrolled: 1-line block ×3, first 2 shown]
	ds_read_b128 v[130:133], v210 offset:1488
	v_accvgpr_read_b32 v0, a188
	v_accvgpr_read_b32 v1, a189
	v_mul_f64 v[16:17], v[148:149], v[0:1]
	v_fma_f64 v[144:145], v[146:147], v[24:25], -v[16:17]
	s_waitcnt lgkmcnt(2)
	v_mul_f64 v[16:17], v[136:137], v[244:245]
	v_accvgpr_write_b32 a191, v139
	v_fmac_f64_e32 v[16:17], v[138:139], v[246:247]
	v_accvgpr_write_b32 a190, v138
	v_accvgpr_write_b32 a189, v137
	;; [unrolled: 1-line block ×3, first 2 shown]
	ds_read_b128 v[136:139], v210 offset:1504
	s_waitcnt lgkmcnt(2)
	v_mul_f64 v[26:27], v[4:5], v[106:107]
	s_waitcnt lgkmcnt(1)
	v_mul_f64 v[24:25], v[130:131], v[252:253]
	v_accvgpr_write_b32 a199, v133
	v_fmac_f64_e32 v[26:27], v[6:7], v[108:109]
	v_fmac_f64_e32 v[24:25], v[132:133], v[254:255]
	v_accvgpr_write_b32 a198, v132
	v_accvgpr_write_b32 a197, v131
	;; [unrolled: 1-line block ×3, first 2 shown]
	ds_read_b128 v[130:133], v210 offset:1520
	v_add_f64 v[26:27], v[30:31], v[26:27]
	v_accvgpr_read_b32 v0, a204
	v_add_f64 v[18:19], v[26:27], v[18:19]
	v_accvgpr_read_b32 v1, a205
	v_add_f64 v[22:23], v[18:19], v[16:17]
	v_mul_f64 v[16:17], v[152:153], v[0:1]
	s_waitcnt lgkmcnt(1)
	v_mul_f64 v[18:19], v[136:137], v[116:117]
	v_fma_f64 v[118:119], v[150:151], v[250:251], -v[16:17]
	v_add_f64 v[16:17], v[22:23], v[24:25]
	v_fmac_f64_e32 v[18:19], v[138:139], v[28:29]
	v_add_f64 v[16:17], v[16:17], v[18:19]
	s_waitcnt lgkmcnt(0)
	v_mul_f64 v[18:19], v[130:131], v[220:221]
	v_fmac_f64_e32 v[18:19], v[132:133], v[14:15]
	v_add_f64 v[16:17], v[16:17], v[18:19]
	ds_read_b128 v[252:255], v210 offset:1536
	v_mul_f64 v[18:19], v[156:157], v[40:41]
	v_fma_f64 v[30:31], v[154:155], v[42:43], -v[18:19]
	v_mul_f64 v[18:19], v[160:161], v[248:249]
	buffer_load_dword v129, off, s[0:3], 0 offset:652
	buffer_load_dword v128, off, s[0:3], 0 offset:648
	;; [unrolled: 1-line block ×5, first 2 shown]
	v_fma_f64 v[246:247], v[158:159], v[228:229], -v[18:19]
	buffer_load_dword v220, off, s[0:3], 0 offset:672
	buffer_load_dword v117, off, s[0:3], 0 offset:668
	;; [unrolled: 1-line block ×7, first 2 shown]
	ds_read_b128 v[240:243], v210 offset:1552
	v_accvgpr_write_b32 a211, v139
	v_accvgpr_write_b32 a210, v138
	;; [unrolled: 1-line block ×4, first 2 shown]
	ds_read_b128 v[136:139], v210 offset:1568
	v_mul_f64 v[18:19], v[164:165], v[84:85]
	v_fma_f64 v[26:27], v[162:163], v[86:87], -v[18:19]
	s_waitcnt lgkmcnt(2)
	v_mul_f64 v[18:19], v[252:253], v[120:121]
	v_fmac_f64_e32 v[18:19], v[254:255], v[122:123]
	v_add_f64 v[16:17], v[16:17], v[18:19]
	s_waitcnt vmcnt(18) lgkmcnt(1)
	v_mul_f64 v[18:19], v[240:241], v[20:21]
	v_accvgpr_write_b32 a223, v21
	s_waitcnt vmcnt(16)
	v_fmac_f64_e32 v[18:19], v[242:243], v[12:13]
	v_add_f64 v[16:17], v[16:17], v[18:19]
	s_waitcnt vmcnt(14) lgkmcnt(0)
	v_mul_f64 v[18:19], v[136:137], v[10:11]
	v_accvgpr_write_b32 a207, v133
	v_accvgpr_write_b32 a222, v20
	v_pk_mov_b32 v[20:21], v[12:13], v[12:13] op_sel:[0,1]
	s_waitcnt vmcnt(12)
	v_fmac_f64_e32 v[18:19], v[138:139], v[2:3]
	v_mul_f64 v[12:13], v[172:173], v[36:37]
	v_accvgpr_write_b32 a206, v132
	v_accvgpr_write_b32 a205, v131
	;; [unrolled: 1-line block ×3, first 2 shown]
	v_mul_f64 v[28:29], v[168:169], v[58:59]
	v_add_f64 v[58:59], v[16:17], v[18:19]
	ds_read_b128 v[130:133], v210 offset:1584
	v_fma_f64 v[16:17], v[170:171], v[226:227], -v[12:13]
	buffer_load_dword v251, off, s[0:3], 0 offset:700
	buffer_load_dword v250, off, s[0:3], 0 offset:696
	;; [unrolled: 1-line block ×16, first 2 shown]
	v_mul_f64 v[36:37], v[176:177], v[44:45]
	buffer_load_dword v152, off, s[0:3], 0 offset:776
	buffer_load_dword v163, off, s[0:3], 0 offset:764
	buffer_load_dword v162, off, s[0:3], 0 offset:760
	buffer_load_dword v165, off, s[0:3], 0 offset:756
	buffer_load_dword v164, off, s[0:3], 0 offset:752
	buffer_load_dword v160, off, s[0:3], 0 offset:768
	buffer_load_dword v153, off, s[0:3], 0 offset:780
	buffer_load_dword v161, off, s[0:3], 0 offset:772
	v_fma_f64 v[84:85], v[174:175], v[110:111], -v[36:37]
	v_mul_f64 v[36:37], v[180:181], v[112:113]
	v_fma_f64 v[86:87], v[178:179], v[114:115], -v[36:37]
	v_mul_f64 v[36:37], v[184:185], v[94:95]
	;; [unrolled: 2-line block ×3, first 2 shown]
	v_fma_f64 v[22:23], v[166:167], v[38:39], -v[28:29]
	v_fma_f64 v[166:167], v[186:187], v[104:105], -v[36:37]
	v_mul_f64 v[36:37], v[192:193], v[90:91]
	v_fma_f64 v[186:187], v[190:191], v[92:93], -v[36:37]
	buffer_load_dword v93, off, s[0:3], 0 offset:796
	buffer_load_dword v92, off, s[0:3], 0 offset:792
	;; [unrolled: 1-line block ×20, first 2 shown]
	v_accvgpr_write_b32 a221, v123
	v_pk_mov_b32 v[248:249], v[120:121], v[120:121] op_sel:[0,1]
	v_accvgpr_write_b32 a220, v122
	ds_read_b128 v[120:123], v210 offset:1600
	v_mul_f64 v[40:41], v[204:205], v[70:71]
	buffer_load_dword v70, off, s[0:3], 0 offset:872
	buffer_load_dword v188, off, s[0:3], 0 offset:864
	;; [unrolled: 1-line block ×4, first 2 shown]
	v_mul_f64 v[36:37], v[196:197], v[98:99]
	v_fma_f64 v[90:91], v[194:195], v[102:103], -v[36:37]
	v_mul_f64 v[36:37], v[200:201], v[88:89]
	v_fma_f64 v[80:81], v[202:203], v[80:81], -v[40:41]
	;; [unrolled: 2-line block ×3, first 2 shown]
	v_fma_f64 v[82:83], v[206:207], v[50:51], -v[40:41]
	ds_read_b128 v[40:43], v210 offset:1616
	v_fma_f64 v[14:15], v[212:213], v[56:57], -v[48:49]
	ds_read_b128 v[48:51], v210 offset:1648
	ds_read_b128 v[52:55], v210 offset:1664
	v_fma_f64 v[12:13], v[232:233], v[62:63], -v[60:61]
	ds_read_b128 v[36:39], v210 offset:1712
	ds_read_b128 v[232:235], v210 offset:1728
	v_accvgpr_write_b32 a225, v3
	v_accvgpr_write_b32 a224, v2
	v_mul_f64 v[2:3], v[34:35], v[72:73]
	v_pk_mov_b32 v[28:29], v[10:11], v[10:11] op_sel:[0,1]
	v_fma_f64 v[0:1], v[32:33], v[74:75], -v[2:3]
	ds_read_b128 v[72:75], v210 offset:1744
	v_mul_f64 v[10:11], v[68:69], v[230:231]
	ds_read_b128 v[236:239], v210 offset:1776
	ds_read_b128 v[32:35], v210 offset:1792
	s_waitcnt vmcnt(58) lgkmcnt(9)
	v_mul_f64 v[44:45], v[130:131], v[128:129]
	s_waitcnt vmcnt(56)
	v_fmac_f64_e32 v[44:45], v[132:133], v[124:125]
	s_waitcnt vmcnt(52) lgkmcnt(8)
	v_mul_f64 v[46:47], v[120:121], v[116:117]
	v_add_f64 v[44:45], v[58:59], v[44:45]
	s_waitcnt vmcnt(50)
	v_fmac_f64_e32 v[46:47], v[122:123], v[228:229]
	v_add_f64 v[44:45], v[44:45], v[46:47]
	s_waitcnt vmcnt(49) lgkmcnt(7)
	v_mul_f64 v[46:47], v[40:41], v[244:245]
	s_waitcnt vmcnt(48)
	v_fmac_f64_e32 v[46:47], v[42:43], v[220:221]
	v_add_f64 v[58:59], v[44:45], v[46:47]
	ds_read_b128 v[44:47], v210 offset:1632
	ds_read_b128 v[60:63], v210 offset:1696
	v_mul_f64 v[6:7], v[6:7], v[106:107]
	s_waitcnt vmcnt(37) lgkmcnt(7)
	v_mul_f64 v[18:19], v[52:53], v[154:155]
	s_waitcnt lgkmcnt(1)
	v_mul_f64 v[24:25], v[44:45], v[250:251]
	v_mul_f64 v[56:57], v[48:49], v[148:149]
	v_fmac_f64_e32 v[24:25], v[46:47], v[226:227]
	v_add_f64 v[24:25], v[58:59], v[24:25]
	v_fmac_f64_e32 v[56:57], v[50:51], v[150:151]
	v_add_f64 v[24:25], v[24:25], v[56:57]
	ds_read_b128 v[56:59], v210 offset:1680
	s_waitcnt vmcnt(35)
	v_fmac_f64_e32 v[18:19], v[54:55], v[158:159]
	v_add_f64 v[18:19], v[24:25], v[18:19]
	s_waitcnt vmcnt(34) lgkmcnt(0)
	v_mul_f64 v[24:25], v[56:57], v[146:147]
	s_waitcnt vmcnt(32)
	v_fmac_f64_e32 v[24:25], v[58:59], v[156:157]
	v_add_f64 v[18:19], v[18:19], v[24:25]
	s_waitcnt vmcnt(29)
	v_mul_f64 v[24:25], v[60:61], v[162:163]
	s_waitcnt vmcnt(27)
	v_fmac_f64_e32 v[24:25], v[62:63], v[164:165]
	v_add_f64 v[18:19], v[18:19], v[24:25]
	s_waitcnt vmcnt(25)
	v_mul_f64 v[24:25], v[36:37], v[152:153]
	s_waitcnt vmcnt(24)
	v_fmac_f64_e32 v[24:25], v[38:39], v[160:161]
	v_add_f64 v[18:19], v[18:19], v[24:25]
	v_fma_f64 v[24:25], v[66:67], v[78:79], -v[10:11]
	ds_read_b128 v[76:79], v210 offset:1760
	s_waitcnt vmcnt(22)
	v_mul_f64 v[2:3], v[232:233], v[92:93]
	s_waitcnt vmcnt(20)
	v_fmac_f64_e32 v[2:3], v[234:235], v[168:169]
	s_waitcnt vmcnt(18)
	v_mul_f64 v[8:9], v[72:73], v[172:173]
	v_add_f64 v[2:3], v[18:19], v[2:3]
	s_waitcnt vmcnt(16)
	v_fmac_f64_e32 v[8:9], v[74:75], v[174:175]
	v_fma_f64 v[18:19], v[4:5], v[108:109], -v[6:7]
	s_waitcnt vmcnt(13) lgkmcnt(0)
	v_mul_f64 v[4:5], v[76:77], v[176:177]
	v_add_f64 v[2:3], v[2:3], v[8:9]
	s_waitcnt vmcnt(11)
	v_fmac_f64_e32 v[4:5], v[78:79], v[182:183]
	ds_read_b128 v[8:11], v210 offset:1808
	buffer_load_dword v191, off, s[0:3], 0 offset:892
	buffer_load_dword v190, off, s[0:3], 0 offset:888
	;; [unrolled: 1-line block ×4, first 2 shown]
	v_add_f64 v[2:3], v[2:3], v[4:5]
	s_waitcnt vmcnt(14)
	v_mul_f64 v[4:5], v[236:237], v[170:171]
	s_waitcnt vmcnt(12)
	v_fmac_f64_e32 v[4:5], v[238:239], v[180:181]
	v_add_f64 v[2:3], v[2:3], v[4:5]
	s_waitcnt vmcnt(10)
	v_mul_f64 v[4:5], v[32:33], v[178:179]
	s_waitcnt vmcnt(8)
	v_fmac_f64_e32 v[4:5], v[34:35], v[184:185]
	v_add_f64 v[2:3], v[2:3], v[4:5]
	s_waitcnt vmcnt(5) lgkmcnt(0)
	v_mul_f64 v[4:5], v[8:9], v[70:71]
	s_waitcnt vmcnt(4)
	v_fmac_f64_e32 v[4:5], v[10:11], v[188:189]
	v_add_f64 v[2:3], v[2:3], v[4:5]
	ds_read_b128 v[4:7], v210 offset:1824
	buffer_load_dword v194, off, s[0:3], 0 offset:904
	buffer_load_dword v195, off, s[0:3], 0 offset:908
	buffer_load_dword v196, off, s[0:3], 0 offset:896
	buffer_load_dword v197, off, s[0:3], 0 offset:900
	s_waitcnt vmcnt(6) lgkmcnt(0)
	v_mul_f64 v[96:97], v[4:5], v[190:191]
	s_waitcnt vmcnt(4)
	v_fmac_f64_e32 v[96:97], v[6:7], v[192:193]
	v_add_f64 v[2:3], v[2:3], v[96:97]
	ds_read_b128 v[96:99], v210 offset:1840
	buffer_load_dword v199, off, s[0:3], 0 offset:924
	buffer_load_dword v198, off, s[0:3], 0 offset:920
	buffer_load_dword v201, off, s[0:3], 0 offset:916
	buffer_load_dword v200, off, s[0:3], 0 offset:912
	;; [unrolled: 10-line block ×5, first 2 shown]
	s_waitcnt vmcnt(6) lgkmcnt(0)
	v_mul_f64 v[112:113], v[108:109], v[206:207]
	s_waitcnt vmcnt(4)
	v_fmac_f64_e32 v[112:113], v[110:111], v[208:209]
	v_add_f64 v[2:3], v[2:3], v[112:113]
	ds_read_b128 v[112:115], v210 offset:1904
	s_waitcnt vmcnt(2) lgkmcnt(0)
	v_mul_f64 v[210:211], v[112:113], v[212:213]
	s_waitcnt vmcnt(0)
	v_fmac_f64_e32 v[210:211], v[114:115], v[214:215]
	v_add_f64 v[210:211], v[2:3], v[210:211]
	v_accvgpr_read_b32 v2, a226
	v_accvgpr_read_b32 v3, a227
	v_add_f64 v[2:3], v[2:3], 0
	v_add_f64 v[2:3], v[2:3], v[222:223]
	;; [unrolled: 1-line block ×25, first 2 shown]
	buffer_load_dword v222, off, s[0:3], 0 offset:16
	buffer_load_dword v223, off, s[0:3], 0 offset:20
	v_add_f64 v[2:3], v[2:3], v[12:13]
	buffer_load_dword v12, off, s[0:3], 0 offset:24
	buffer_load_dword v13, off, s[0:3], 0 offset:28
	v_add_f64 v[2:3], v[2:3], v[218:219]
	v_add_f64 v[224:225], v[2:3], v[0:1]
	v_accvgpr_read_b32 v14, a180
	v_accvgpr_read_b32 v2, a184
	;; [unrolled: 1-line block ×5, first 2 shown]
	v_mul_f64 v[2:3], v[16:17], v[2:3]
	v_accvgpr_read_b32 v16, a186
	v_add_f64 v[0:1], v[224:225], v[24:25]
	v_accvgpr_read_b32 v15, a181
	v_accvgpr_read_b32 v17, a187
	v_add_f64 v[0:1], v[0:1], v[18:19]
	v_fma_f64 v[2:3], v[14:15], v[16:17], -v[2:3]
	v_add_f64 v[0:1], v[0:1], v[2:3]
	v_accvgpr_read_b32 v14, a188
	v_accvgpr_read_b32 v2, a192
	v_accvgpr_read_b32 v16, a190
	v_accvgpr_read_b32 v17, a191
	v_accvgpr_read_b32 v3, a193
	v_mul_f64 v[2:3], v[16:17], v[2:3]
	v_accvgpr_read_b32 v16, a194
	v_accvgpr_read_b32 v15, a189
	v_accvgpr_read_b32 v17, a195
	v_fma_f64 v[2:3], v[14:15], v[16:17], -v[2:3]
	v_add_f64 v[0:1], v[0:1], v[2:3]
	v_accvgpr_read_b32 v14, a196
	v_accvgpr_read_b32 v2, a200
	v_accvgpr_read_b32 v16, a198
	v_accvgpr_read_b32 v17, a199
	v_accvgpr_read_b32 v3, a201
	v_mul_f64 v[2:3], v[16:17], v[2:3]
	v_accvgpr_read_b32 v16, a202
	v_accvgpr_read_b32 v15, a197
	v_accvgpr_read_b32 v17, a203
	;; [unrolled: 11-line block ×4, first 2 shown]
	v_fma_f64 v[2:3], v[14:15], v[16:17], -v[2:3]
	v_accvgpr_read_b32 v14, a220
	v_add_f64 v[0:1], v[0:1], v[2:3]
	v_mul_f64 v[2:3], v[254:255], v[248:249]
	v_accvgpr_read_b32 v15, a221
	v_fma_f64 v[2:3], v[252:253], v[14:15], -v[2:3]
	v_add_f64 v[0:1], v[0:1], v[2:3]
	v_accvgpr_read_b32 v2, a222
	v_accvgpr_read_b32 v3, a223
	v_mul_f64 v[2:3], v[242:243], v[2:3]
	v_fma_f64 v[2:3], v[240:241], v[20:21], -v[2:3]
	v_accvgpr_read_b32 v14, a224
	v_add_f64 v[0:1], v[0:1], v[2:3]
	v_mul_f64 v[2:3], v[138:139], v[28:29]
	v_accvgpr_read_b32 v15, a225
	v_fma_f64 v[2:3], v[136:137], v[14:15], -v[2:3]
	v_add_f64 v[0:1], v[0:1], v[2:3]
	v_mul_f64 v[2:3], v[132:133], v[128:129]
	v_fma_f64 v[2:3], v[130:131], v[124:125], -v[2:3]
	v_add_f64 v[0:1], v[0:1], v[2:3]
	v_mul_f64 v[2:3], v[122:123], v[116:117]
	;; [unrolled: 3-line block ×21, first 2 shown]
	v_fma_f64 v[2:3], v[112:113], v[214:215], -v[2:3]
	v_add_f64 v[0:1], v[0:1], v[2:3]
	s_waitcnt vmcnt(2)
	v_add_f64 v[0:1], v[222:223], -v[0:1]
	s_waitcnt vmcnt(0)
	v_add_f64 v[2:3], v[12:13], -v[210:211]
	buffer_store_dword v1, off, s[0:3], 0 offset:20
	buffer_store_dword v0, off, s[0:3], 0 offset:16
	;; [unrolled: 1-line block ×4, first 2 shown]
	s_cbranch_vccz .LBB123_493
; %bb.374:
	v_pk_mov_b32 v[0:1], s[10:11], s[10:11] op_sel:[0,1]
	flat_load_dword v0, v[0:1] offset:232
	s_waitcnt vmcnt(0) lgkmcnt(0)
	v_add_u32_e32 v0, -1, v0
	v_cmp_ne_u32_e32 vcc, 58, v0
	s_and_saveexec_b64 s[4:5], vcc
	s_cbranch_execz .LBB123_376
; %bb.375:
	v_mov_b32_e32 v1, 16
	v_accvgpr_read_b32 v9, a121
	v_lshl_add_u32 v0, v0, 4, v1
	buffer_load_dword v1, v9, s[0:3], 0 offen offset:4
	buffer_load_dword v2, v9, s[0:3], 0 offen offset:8
	buffer_load_dword v3, v9, s[0:3], 0 offen offset:12
	buffer_load_dword v4, v0, s[0:3], 0 offen
	buffer_load_dword v5, v0, s[0:3], 0 offen offset:4
	buffer_load_dword v6, v0, s[0:3], 0 offen offset:8
	buffer_load_dword v7, v0, s[0:3], 0 offen offset:12
	buffer_load_dword v8, v9, s[0:3], 0 offen
	s_waitcnt vmcnt(4)
	buffer_store_dword v4, v9, s[0:3], 0 offen
	s_waitcnt vmcnt(4)
	buffer_store_dword v5, v9, s[0:3], 0 offen offset:4
	s_waitcnt vmcnt(4)
	buffer_store_dword v6, v9, s[0:3], 0 offen offset:8
	s_waitcnt vmcnt(4)
	buffer_store_dword v7, v9, s[0:3], 0 offen offset:12
	buffer_store_dword v3, v0, s[0:3], 0 offen offset:12
	buffer_store_dword v2, v0, s[0:3], 0 offen offset:8
	buffer_store_dword v1, v0, s[0:3], 0 offen offset:4
	s_waitcnt vmcnt(7)
	buffer_store_dword v8, v0, s[0:3], 0 offen
.LBB123_376:
	s_or_b64 exec, exec, s[4:5]
	v_pk_mov_b32 v[0:1], s[10:11], s[10:11] op_sel:[0,1]
	flat_load_dword v0, v[0:1] offset:228
	s_waitcnt vmcnt(0) lgkmcnt(0)
	v_add_u32_e32 v0, -1, v0
	v_cmp_ne_u32_e32 vcc, 57, v0
	s_and_saveexec_b64 s[4:5], vcc
	s_cbranch_execz .LBB123_378
; %bb.377:
	v_mov_b32_e32 v1, 16
	v_accvgpr_read_b32 v9, a122
	v_lshl_add_u32 v0, v0, 4, v1
	buffer_load_dword v1, v9, s[0:3], 0 offen offset:4
	buffer_load_dword v2, v9, s[0:3], 0 offen offset:8
	buffer_load_dword v3, v9, s[0:3], 0 offen offset:12
	buffer_load_dword v4, v0, s[0:3], 0 offen
	buffer_load_dword v5, v0, s[0:3], 0 offen offset:4
	buffer_load_dword v6, v0, s[0:3], 0 offen offset:8
	buffer_load_dword v7, v0, s[0:3], 0 offen offset:12
	buffer_load_dword v8, v9, s[0:3], 0 offen
	s_waitcnt vmcnt(4)
	buffer_store_dword v4, v9, s[0:3], 0 offen
	s_waitcnt vmcnt(4)
	buffer_store_dword v5, v9, s[0:3], 0 offen offset:4
	s_waitcnt vmcnt(4)
	buffer_store_dword v6, v9, s[0:3], 0 offen offset:8
	s_waitcnt vmcnt(4)
	buffer_store_dword v7, v9, s[0:3], 0 offen offset:12
	buffer_store_dword v3, v0, s[0:3], 0 offen offset:12
	buffer_store_dword v2, v0, s[0:3], 0 offen offset:8
	buffer_store_dword v1, v0, s[0:3], 0 offen offset:4
	s_waitcnt vmcnt(7)
	buffer_store_dword v8, v0, s[0:3], 0 offen
.LBB123_378:
	s_or_b64 exec, exec, s[4:5]
	;; [unrolled: 34-line block ×58, first 2 shown]
	v_pk_mov_b32 v[0:1], s[10:11], s[10:11] op_sel:[0,1]
	flat_load_dword v0, v[0:1]
	s_waitcnt vmcnt(0) lgkmcnt(0)
	v_add_u32_e32 v0, -1, v0
	v_cmp_ne_u32_e32 vcc, 0, v0
	s_and_saveexec_b64 s[4:5], vcc
	s_cbranch_execz .LBB123_492
; %bb.491:
	v_mov_b32_e32 v1, 16
	v_lshl_add_u32 v0, v0, 4, v1
	buffer_load_dword v1, v0, s[0:3], 0 offen
	buffer_load_dword v2, v0, s[0:3], 0 offen offset:4
	buffer_load_dword v3, v0, s[0:3], 0 offen offset:8
	;; [unrolled: 1-line block ×3, first 2 shown]
	buffer_load_dword v5, off, s[0:3], 0 offset:28
	buffer_load_dword v6, off, s[0:3], 0 offset:24
	;; [unrolled: 1-line block ×4, first 2 shown]
	s_waitcnt vmcnt(7)
	buffer_store_dword v1, off, s[0:3], 0 offset:16
	s_waitcnt vmcnt(7)
	buffer_store_dword v2, off, s[0:3], 0 offset:20
	;; [unrolled: 2-line block ×4, first 2 shown]
	s_waitcnt vmcnt(7)
	buffer_store_dword v5, v0, s[0:3], 0 offen offset:12
	s_waitcnt vmcnt(7)
	buffer_store_dword v6, v0, s[0:3], 0 offen offset:8
	;; [unrolled: 2-line block ×3, first 2 shown]
	s_waitcnt vmcnt(7)
	buffer_store_dword v8, v0, s[0:3], 0 offen
.LBB123_492:
	s_or_b64 exec, exec, s[4:5]
.LBB123_493:
	buffer_load_dword v0, off, s[0:3], 0 offset:16
	buffer_load_dword v1, off, s[0:3], 0 offset:20
	;; [unrolled: 1-line block ×4, first 2 shown]
	v_accvgpr_read_b32 v4, a118
	v_accvgpr_read_b32 v5, a119
	s_waitcnt vmcnt(0)
	global_store_dwordx4 v[4:5], v[0:3], off
	s_nop 0
	v_accvgpr_read_b32 v3, a178
	buffer_load_dword v0, v3, s[0:3], 0 offen
	buffer_load_dword v1, v3, s[0:3], 0 offen offset:4
	buffer_load_dword v2, v3, s[0:3], 0 offen offset:8
	s_nop 0
	buffer_load_dword v3, v3, s[0:3], 0 offen offset:12
	v_accvgpr_read_b32 v4, a116
	v_accvgpr_read_b32 v5, a117
	s_waitcnt vmcnt(0)
	global_store_dwordx4 v[4:5], v[0:3], off
	s_nop 0
	v_accvgpr_read_b32 v3, a177
	buffer_load_dword v0, v3, s[0:3], 0 offen
	buffer_load_dword v1, v3, s[0:3], 0 offen offset:4
	buffer_load_dword v2, v3, s[0:3], 0 offen offset:8
	s_nop 0
	buffer_load_dword v3, v3, s[0:3], 0 offen offset:12
	;; [unrolled: 11-line block ×18, first 2 shown]
	v_accvgpr_read_b32 v4, a34
	v_accvgpr_read_b32 v5, a35
	s_waitcnt vmcnt(0)
	global_store_dwordx4 v[4:5], v[0:3], off
	v_accvgpr_read_b32 v4, a160
	buffer_load_dword v0, v4, s[0:3], 0 offen
	buffer_load_dword v1, v4, s[0:3], 0 offen offset:4
	buffer_load_dword v2, v4, s[0:3], 0 offen offset:8
	buffer_load_dword v3, v4, s[0:3], 0 offen offset:12
	v_accvgpr_read_b32 v4, a114
	v_accvgpr_read_b32 v5, a115
	s_waitcnt vmcnt(0)
	global_store_dwordx4 v[4:5], v[0:3], off
	v_accvgpr_read_b32 v4, a159
	buffer_load_dword v0, v4, s[0:3], 0 offen
	buffer_load_dword v1, v4, s[0:3], 0 offen offset:4
	buffer_load_dword v2, v4, s[0:3], 0 offen offset:8
	buffer_load_dword v3, v4, s[0:3], 0 offen offset:12
	;; [unrolled: 9-line block ×41, first 2 shown]
	v_accvgpr_read_b32 v5, a1
	v_accvgpr_read_b32 v4, a0
	s_waitcnt vmcnt(0)
	global_store_dwordx4 v[4:5], v[0:3], off
	s_endpgm
	.section	.rodata,"a",@progbits
	.p2align	6, 0x0
	.amdhsa_kernel _ZN9rocsolver6v33100L18getri_kernel_smallILi60E19rocblas_complex_numIdEPKPS3_EEvT1_iilPiilS8_bb
		.amdhsa_group_segment_fixed_size 1928
		.amdhsa_private_segment_fixed_size 992
		.amdhsa_kernarg_size 60
		.amdhsa_user_sgpr_count 8
		.amdhsa_user_sgpr_private_segment_buffer 1
		.amdhsa_user_sgpr_dispatch_ptr 0
		.amdhsa_user_sgpr_queue_ptr 0
		.amdhsa_user_sgpr_kernarg_segment_ptr 1
		.amdhsa_user_sgpr_dispatch_id 0
		.amdhsa_user_sgpr_flat_scratch_init 1
		.amdhsa_user_sgpr_kernarg_preload_length 0
		.amdhsa_user_sgpr_kernarg_preload_offset 0
		.amdhsa_user_sgpr_private_segment_size 0
		.amdhsa_uses_dynamic_stack 0
		.amdhsa_system_sgpr_private_segment_wavefront_offset 1
		.amdhsa_system_sgpr_workgroup_id_x 1
		.amdhsa_system_sgpr_workgroup_id_y 0
		.amdhsa_system_sgpr_workgroup_id_z 0
		.amdhsa_system_sgpr_workgroup_info 0
		.amdhsa_system_vgpr_workitem_id 0
		.amdhsa_next_free_vgpr 484
		.amdhsa_next_free_sgpr 22
		.amdhsa_accum_offset 256
		.amdhsa_reserve_vcc 1
		.amdhsa_reserve_flat_scratch 1
		.amdhsa_float_round_mode_32 0
		.amdhsa_float_round_mode_16_64 0
		.amdhsa_float_denorm_mode_32 3
		.amdhsa_float_denorm_mode_16_64 3
		.amdhsa_dx10_clamp 1
		.amdhsa_ieee_mode 1
		.amdhsa_fp16_overflow 0
		.amdhsa_tg_split 0
		.amdhsa_exception_fp_ieee_invalid_op 0
		.amdhsa_exception_fp_denorm_src 0
		.amdhsa_exception_fp_ieee_div_zero 0
		.amdhsa_exception_fp_ieee_overflow 0
		.amdhsa_exception_fp_ieee_underflow 0
		.amdhsa_exception_fp_ieee_inexact 0
		.amdhsa_exception_int_div_zero 0
	.end_amdhsa_kernel
	.section	.text._ZN9rocsolver6v33100L18getri_kernel_smallILi60E19rocblas_complex_numIdEPKPS3_EEvT1_iilPiilS8_bb,"axG",@progbits,_ZN9rocsolver6v33100L18getri_kernel_smallILi60E19rocblas_complex_numIdEPKPS3_EEvT1_iilPiilS8_bb,comdat
.Lfunc_end123:
	.size	_ZN9rocsolver6v33100L18getri_kernel_smallILi60E19rocblas_complex_numIdEPKPS3_EEvT1_iilPiilS8_bb, .Lfunc_end123-_ZN9rocsolver6v33100L18getri_kernel_smallILi60E19rocblas_complex_numIdEPKPS3_EEvT1_iilPiilS8_bb
                                        ; -- End function
	.section	.AMDGPU.csdata,"",@progbits
; Kernel info:
; codeLenInByte = 223464
; NumSgprs: 28
; NumVgprs: 256
; NumAgprs: 228
; TotalNumVgprs: 484
; ScratchSize: 992
; MemoryBound: 0
; FloatMode: 240
; IeeeMode: 1
; LDSByteSize: 1928 bytes/workgroup (compile time only)
; SGPRBlocks: 3
; VGPRBlocks: 60
; NumSGPRsForWavesPerEU: 28
; NumVGPRsForWavesPerEU: 484
; AccumOffset: 256
; Occupancy: 1
; WaveLimiterHint : 1
; COMPUTE_PGM_RSRC2:SCRATCH_EN: 1
; COMPUTE_PGM_RSRC2:USER_SGPR: 8
; COMPUTE_PGM_RSRC2:TRAP_HANDLER: 0
; COMPUTE_PGM_RSRC2:TGID_X_EN: 1
; COMPUTE_PGM_RSRC2:TGID_Y_EN: 0
; COMPUTE_PGM_RSRC2:TGID_Z_EN: 0
; COMPUTE_PGM_RSRC2:TIDIG_COMP_CNT: 0
; COMPUTE_PGM_RSRC3_GFX90A:ACCUM_OFFSET: 63
; COMPUTE_PGM_RSRC3_GFX90A:TG_SPLIT: 0
	.section	.text._ZN9rocsolver6v33100L18getri_kernel_smallILi61E19rocblas_complex_numIdEPKPS3_EEvT1_iilPiilS8_bb,"axG",@progbits,_ZN9rocsolver6v33100L18getri_kernel_smallILi61E19rocblas_complex_numIdEPKPS3_EEvT1_iilPiilS8_bb,comdat
	.globl	_ZN9rocsolver6v33100L18getri_kernel_smallILi61E19rocblas_complex_numIdEPKPS3_EEvT1_iilPiilS8_bb ; -- Begin function _ZN9rocsolver6v33100L18getri_kernel_smallILi61E19rocblas_complex_numIdEPKPS3_EEvT1_iilPiilS8_bb
	.p2align	8
	.type	_ZN9rocsolver6v33100L18getri_kernel_smallILi61E19rocblas_complex_numIdEPKPS3_EEvT1_iilPiilS8_bb,@function
_ZN9rocsolver6v33100L18getri_kernel_smallILi61E19rocblas_complex_numIdEPKPS3_EEvT1_iilPiilS8_bb: ; @_ZN9rocsolver6v33100L18getri_kernel_smallILi61E19rocblas_complex_numIdEPKPS3_EEvT1_iilPiilS8_bb
; %bb.0:
	s_add_u32 flat_scratch_lo, s6, s9
	s_addc_u32 flat_scratch_hi, s7, 0
	s_add_u32 s0, s0, s9
	v_mov_b32_e32 v226, v0
	s_addc_u32 s1, s1, 0
	v_cmp_gt_u32_e32 vcc, 61, v226
	s_and_saveexec_b64 s[6:7], vcc
	s_cbranch_execz .LBB124_270
; %bb.1:
	s_load_dword s20, s[4:5], 0x38
	s_load_dwordx2 s[6:7], s[4:5], 0x0
	s_load_dwordx4 s[12:15], s[4:5], 0x28
                                        ; implicit-def: $sgpr16_sgpr17
	s_waitcnt lgkmcnt(0)
	s_bitcmp1_b32 s20, 8
	s_cselect_b64 s[18:19], -1, 0
	s_ashr_i32 s9, s8, 31
	s_lshl_b64 s[10:11], s[8:9], 3
	s_add_u32 s6, s6, s10
	s_addc_u32 s7, s7, s11
	s_load_dwordx2 s[6:7], s[6:7], 0x0
	s_bfe_u32 s10, s20, 0x10008
	s_cmp_eq_u32 s10, 0
	s_cbranch_scc1 .LBB124_3
; %bb.2:
	s_load_dword s10, s[4:5], 0x20
	s_load_dwordx2 s[16:17], s[4:5], 0x18
	s_mul_i32 s11, s8, s13
	s_mul_hi_u32 s13, s8, s12
	s_add_i32 s13, s13, s11
	s_mul_i32 s21, s9, s12
	s_add_i32 s13, s13, s21
	s_mul_i32 s12, s8, s12
	s_waitcnt lgkmcnt(0)
	s_ashr_i32 s11, s10, 31
	s_lshl_b64 s[12:13], s[12:13], 2
	s_add_u32 s12, s16, s12
	s_addc_u32 s13, s17, s13
	s_lshl_b64 s[10:11], s[10:11], 2
	s_add_u32 s16, s12, s10
	s_addc_u32 s17, s13, s11
.LBB124_3:
	s_load_dwordx2 s[4:5], s[4:5], 0x8
	v_lshlrev_b32_e32 v1, 4, v226
	s_waitcnt lgkmcnt(0)
	s_ashr_i32 s11, s4, 31
	s_mov_b32 s10, s4
	s_lshl_b64 s[10:11], s[10:11], 4
	s_add_u32 s6, s6, s10
	s_addc_u32 s7, s7, s11
	s_mov_b32 s12, s5
	s_ashr_i32 s13, s5, 31
	v_mov_b32_e32 v0, s7
	v_add_co_u32_e32 v12, vcc, s6, v1
	s_lshl_b64 s[10:11], s[12:13], 4
	v_addc_co_u32_e32 v13, vcc, 0, v0, vcc
	global_load_dwordx4 v[2:5], v1, s[6:7]
	s_add_i32 s4, s5, s5
	v_mov_b32_e32 v0, s11
	v_add_co_u32_e32 v14, vcc, s10, v12
	v_add_u32_e32 v6, s4, v226
	v_addc_co_u32_e32 v15, vcc, v13, v0, vcc
	v_ashrrev_i32_e32 v7, 31, v6
	v_accvgpr_write_b32 a27, v15
	v_add_u32_e32 v8, s5, v6
	v_accvgpr_write_b32 a33, v13
	v_lshlrev_b64 v[6:7], 4, v[6:7]
	v_accvgpr_write_b32 a26, v14
	global_load_dwordx4 v[14:17], v[14:15], off
	v_mov_b32_e32 v10, s7
	v_accvgpr_write_b32 a32, v12
	v_add_co_u32_e32 v12, vcc, s6, v6
	v_addc_co_u32_e32 v13, vcc, v10, v7, vcc
	v_accvgpr_write_b32 a21, v13
	v_ashrrev_i32_e32 v9, 31, v8
	v_accvgpr_write_b32 a20, v12
	global_load_dwordx4 v[10:13], v[12:13], off
	v_lshlrev_b64 v[6:7], 4, v[8:9]
	v_mov_b32_e32 v20, s7
	v_add_co_u32_e32 v22, vcc, s6, v6
	v_add_u32_e32 v18, s5, v8
	v_addc_co_u32_e32 v23, vcc, v20, v7, vcc
	v_accvgpr_write_b32 a18, v22
	v_ashrrev_i32_e32 v19, 31, v18
	v_accvgpr_write_b32 a19, v23
	global_load_dwordx4 v[22:25], v[22:23], off
	v_lshlrev_b64 v[6:7], 4, v[18:19]
	v_mov_b32_e32 v21, s7
	v_add_u32_e32 v8, s5, v18
	v_add_co_u32_e32 v18, vcc, s6, v6
	v_addc_co_u32_e32 v19, vcc, v21, v7, vcc
	v_accvgpr_write_b32 a16, v18
	v_ashrrev_i32_e32 v9, 31, v8
	v_accvgpr_write_b32 a17, v19
	global_load_dwordx4 v[18:21], v[18:19], off
	v_lshlrev_b64 v[6:7], 4, v[8:9]
	v_mov_b32_e32 v28, s7
	v_add_co_u32_e32 v30, vcc, s6, v6
	v_add_u32_e32 v26, s5, v8
	v_addc_co_u32_e32 v31, vcc, v28, v7, vcc
	v_accvgpr_write_b32 a14, v30
	v_ashrrev_i32_e32 v27, 31, v26
	v_accvgpr_write_b32 a15, v31
	global_load_dwordx4 v[30:33], v[30:31], off
	v_lshlrev_b64 v[6:7], 4, v[26:27]
	v_mov_b32_e32 v29, s7
	v_add_u32_e32 v8, s5, v26
	;; [unrolled: 18-line block ×3, first 2 shown]
	v_add_co_u32_e32 v34, vcc, s6, v6
	v_addc_co_u32_e32 v35, vcc, v37, v7, vcc
	v_accvgpr_write_b32 a4, v34
	v_ashrrev_i32_e32 v9, 31, v8
	v_accvgpr_write_b32 a5, v35
	global_load_dwordx4 v[34:37], v[34:35], off
	v_lshlrev_b64 v[6:7], 4, v[8:9]
	v_mov_b32_e32 v0, s7
	v_add_co_u32_e32 v42, vcc, s6, v6
	v_addc_co_u32_e32 v43, vcc, v0, v7, vcc
	v_add_u32_e32 v6, s5, v8
	v_accvgpr_write_b32 a0, v42
	v_ashrrev_i32_e32 v7, 31, v6
	v_accvgpr_write_b32 a1, v43
	global_load_dwordx4 v[42:45], v[42:43], off
	v_lshlrev_b64 v[8:9], 4, v[6:7]
	v_add_co_u32_e32 v8, vcc, s6, v8
	v_addc_co_u32_e32 v9, vcc, v0, v9, vcc
	v_add_u32_e32 v6, s5, v6
	v_accvgpr_write_b32 a2, v8
	global_load_dwordx4 v[46:49], v[8:9], off
	v_ashrrev_i32_e32 v7, 31, v6
	v_accvgpr_write_b32 a3, v9
	v_lshlrev_b64 v[8:9], 4, v[6:7]
	v_add_co_u32_e32 v50, vcc, s6, v8
	v_addc_co_u32_e32 v51, vcc, v0, v9, vcc
	v_add_u32_e32 v6, s5, v6
	v_accvgpr_write_b32 a6, v50
	v_ashrrev_i32_e32 v7, 31, v6
	v_accvgpr_write_b32 a7, v51
	global_load_dwordx4 v[50:53], v[50:51], off
	v_lshlrev_b64 v[8:9], 4, v[6:7]
	v_add_co_u32_e32 v8, vcc, s6, v8
	v_addc_co_u32_e32 v9, vcc, v0, v9, vcc
	v_add_u32_e32 v6, s5, v6
	v_accvgpr_write_b32 a13, v9
	global_load_dwordx4 v[54:57], v[8:9], off
	v_ashrrev_i32_e32 v7, 31, v6
	v_accvgpr_write_b32 a12, v8
	v_lshlrev_b64 v[8:9], 4, v[6:7]
	;; [unrolled: 16-line block ×5, first 2 shown]
	v_add_co_u32_e32 v8, vcc, s6, v8
	v_add_u32_e32 v86, s5, v6
	v_addc_co_u32_e32 v9, vcc, v0, v9, vcc
	v_ashrrev_i32_e32 v87, 31, v86
	global_load_dwordx4 v[82:85], v[8:9], off
	v_lshlrev_b64 v[6:7], 4, v[86:87]
	v_add_co_u32_e32 v6, vcc, s6, v6
	v_addc_co_u32_e32 v7, vcc, v0, v7, vcc
	v_accvgpr_write_b32 a39, v9
	v_accvgpr_write_b32 a41, v7
	v_accvgpr_write_b32 a38, v8
	v_accvgpr_write_b32 a40, v6
	global_load_dwordx4 v[6:9], v[6:7], off
	s_bitcmp0_b32 s20, 0
	s_waitcnt vmcnt(20)
	buffer_store_dword v5, off, s[0:3], 0 offset:28
	buffer_store_dword v4, off, s[0:3], 0 offset:24
	buffer_store_dword v3, off, s[0:3], 0 offset:20
	buffer_store_dword v2, off, s[0:3], 0 offset:16
	s_waitcnt vmcnt(23)
	buffer_store_dword v17, off, s[0:3], 0 offset:44
	buffer_store_dword v16, off, s[0:3], 0 offset:40
	buffer_store_dword v15, off, s[0:3], 0 offset:36
	buffer_store_dword v14, off, s[0:3], 0 offset:32
	;; [unrolled: 5-line block ×16, first 2 shown]
	buffer_store_dword v73, off, s[0:3], 0 offset:284
	buffer_store_dword v72, off, s[0:3], 0 offset:280
	;; [unrolled: 1-line block ×12, first 2 shown]
	s_waitcnt vmcnt(62)
	buffer_store_dword v85, off, s[0:3], 0 offset:332
	buffer_store_dword v84, off, s[0:3], 0 offset:328
	;; [unrolled: 1-line block ×5, first 2 shown]
	v_add_u32_e32 v2, s5, v86
	v_ashrrev_i32_e32 v3, 31, v2
	v_lshlrev_b64 v[4:5], 4, v[2:3]
	v_add_co_u32_e32 v10, vcc, s6, v4
	v_addc_co_u32_e32 v11, vcc, v0, v5, vcc
	v_add_u32_e32 v2, s5, v2
	v_ashrrev_i32_e32 v3, 31, v2
	v_accvgpr_write_b32 a43, v11
	v_lshlrev_b64 v[4:5], 4, v[2:3]
	v_accvgpr_write_b32 a42, v10
	global_load_dwordx4 v[10:13], v[10:11], off
	v_add_co_u32_e32 v4, vcc, s6, v4
	v_addc_co_u32_e32 v5, vcc, v0, v5, vcc
	v_add_u32_e32 v2, s5, v2
	v_accvgpr_write_b32 a45, v5
	v_ashrrev_i32_e32 v3, 31, v2
	v_accvgpr_write_b32 a44, v4
	global_load_dwordx4 v[14:17], v[4:5], off
	v_lshlrev_b64 v[4:5], 4, v[2:3]
	v_add_co_u32_e32 v18, vcc, s6, v4
	v_addc_co_u32_e32 v19, vcc, v0, v5, vcc
	v_add_u32_e32 v2, s5, v2
	v_ashrrev_i32_e32 v3, 31, v2
	v_accvgpr_write_b32 a47, v19
	v_lshlrev_b64 v[4:5], 4, v[2:3]
	v_accvgpr_write_b32 a46, v18
	global_load_dwordx4 v[18:21], v[18:19], off
	v_add_co_u32_e32 v4, vcc, s6, v4
	v_addc_co_u32_e32 v5, vcc, v0, v5, vcc
	global_load_dwordx4 v[22:25], v[4:5], off
	v_add_u32_e32 v2, s5, v2
	v_accvgpr_write_b32 a49, v5
	v_ashrrev_i32_e32 v3, 31, v2
	v_accvgpr_write_b32 a48, v4
	v_lshlrev_b64 v[4:5], 4, v[2:3]
	v_add_co_u32_e32 v26, vcc, s6, v4
	v_addc_co_u32_e32 v27, vcc, v0, v5, vcc
	v_add_u32_e32 v2, s5, v2
	v_ashrrev_i32_e32 v3, 31, v2
	v_accvgpr_write_b32 a51, v27
	v_lshlrev_b64 v[4:5], 4, v[2:3]
	v_accvgpr_write_b32 a50, v26
	global_load_dwordx4 v[26:29], v[26:27], off
	v_add_co_u32_e32 v4, vcc, s6, v4
	v_addc_co_u32_e32 v5, vcc, v0, v5, vcc
	global_load_dwordx4 v[30:33], v[4:5], off
	v_add_u32_e32 v2, s5, v2
	v_accvgpr_write_b32 a53, v5
	v_ashrrev_i32_e32 v3, 31, v2
	v_accvgpr_write_b32 a52, v4
	;; [unrolled: 16-line block ×6, first 2 shown]
	v_lshlrev_b64 v[4:5], 4, v[2:3]
	v_add_co_u32_e32 v66, vcc, s6, v4
	v_addc_co_u32_e32 v67, vcc, v0, v5, vcc
	v_add_u32_e32 v2, s5, v2
	v_accvgpr_write_b32 a71, v67
	v_ashrrev_i32_e32 v3, 31, v2
	v_accvgpr_write_b32 a70, v66
	global_load_dwordx4 v[66:69], v[66:67], off
	v_lshlrev_b64 v[4:5], 4, v[2:3]
	v_add_co_u32_e32 v4, vcc, s6, v4
	v_addc_co_u32_e32 v5, vcc, v0, v5, vcc
	global_load_dwordx4 v[70:73], v[4:5], off
	v_add_u32_e32 v2, s5, v2
	v_accvgpr_write_b32 a73, v5
	v_ashrrev_i32_e32 v3, 31, v2
	v_accvgpr_write_b32 a72, v4
	v_lshlrev_b64 v[4:5], 4, v[2:3]
	v_add_co_u32_e32 v74, vcc, s6, v4
	v_addc_co_u32_e32 v75, vcc, v0, v5, vcc
	v_add_u32_e32 v2, s5, v2
	v_accvgpr_write_b32 a74, v74
	v_ashrrev_i32_e32 v3, 31, v2
	v_accvgpr_write_b32 a75, v75
	global_load_dwordx4 v[74:77], v[74:75], off
	v_lshlrev_b64 v[4:5], 4, v[2:3]
	v_add_co_u32_e32 v4, vcc, s6, v4
	v_addc_co_u32_e32 v5, vcc, v0, v5, vcc
	global_load_dwordx4 v[78:81], v[4:5], off
	v_add_u32_e32 v2, s5, v2
	v_accvgpr_write_b32 a77, v5
	v_ashrrev_i32_e32 v3, 31, v2
	v_accvgpr_write_b32 a76, v4
	v_lshlrev_b64 v[4:5], 4, v[2:3]
	v_add_co_u32_e32 v4, vcc, s6, v4
	v_add_u32_e32 v86, s5, v2
	v_addc_co_u32_e32 v5, vcc, v0, v5, vcc
	v_ashrrev_i32_e32 v87, 31, v86
	v_lshlrev_b64 v[2:3], 4, v[86:87]
	global_load_dwordx4 v[82:85], v[4:5], off
	v_add_co_u32_e32 v2, vcc, s6, v2
	v_addc_co_u32_e32 v3, vcc, v0, v3, vcc
	v_accvgpr_write_b32 a79, v5
	v_accvgpr_write_b32 a81, v3
	;; [unrolled: 1-line block ×4, first 2 shown]
	global_load_dwordx4 v[2:5], v[2:3], off
	s_nop 0
	buffer_store_dword v8, off, s[0:3], 0 offset:344
	buffer_store_dword v7, off, s[0:3], 0 offset:340
	buffer_store_dword v6, off, s[0:3], 0 offset:336
	s_waitcnt vmcnt(22)
	buffer_store_dword v13, off, s[0:3], 0 offset:364
	buffer_store_dword v12, off, s[0:3], 0 offset:360
	buffer_store_dword v11, off, s[0:3], 0 offset:356
	buffer_store_dword v10, off, s[0:3], 0 offset:352
	s_waitcnt vmcnt(25)
	buffer_store_dword v17, off, s[0:3], 0 offset:380
	;; [unrolled: 5-line block ×15, first 2 shown]
	buffer_store_dword v68, off, s[0:3], 0 offset:584
	buffer_store_dword v67, off, s[0:3], 0 offset:580
	;; [unrolled: 1-line block ×11, first 2 shown]
	s_waitcnt vmcnt(62)
	buffer_store_dword v81, off, s[0:3], 0 offset:636
	buffer_store_dword v80, off, s[0:3], 0 offset:632
	;; [unrolled: 1-line block ×9, first 2 shown]
	v_add_u32_e32 v6, s5, v86
	v_ashrrev_i32_e32 v7, 31, v6
	v_lshlrev_b64 v[8:9], 4, v[6:7]
	v_add_u32_e32 v14, s5, v6
	v_add_co_u32_e32 v8, vcc, s6, v8
	v_ashrrev_i32_e32 v15, 31, v14
	v_addc_co_u32_e32 v9, vcc, v0, v9, vcc
	v_lshlrev_b64 v[6:7], 4, v[14:15]
	v_add_co_u32_e32 v10, vcc, s6, v6
	v_accvgpr_write_b32 a85, v9
	v_addc_co_u32_e32 v11, vcc, v0, v7, vcc
	v_accvgpr_write_b32 a84, v8
	global_load_dwordx4 v[6:9], v[8:9], off
	v_add_u32_e32 v14, s5, v14
	v_accvgpr_write_b32 a87, v11
	v_ashrrev_i32_e32 v15, 31, v14
	v_accvgpr_write_b32 a86, v10
	global_load_dwordx4 v[10:13], v[10:11], off
	v_lshlrev_b64 v[16:17], 4, v[14:15]
	v_add_u32_e32 v22, s5, v14
	v_add_co_u32_e32 v16, vcc, s6, v16
	v_ashrrev_i32_e32 v23, 31, v22
	v_addc_co_u32_e32 v17, vcc, v0, v17, vcc
	v_lshlrev_b64 v[14:15], 4, v[22:23]
	v_add_co_u32_e32 v18, vcc, s6, v14
	v_accvgpr_write_b32 a89, v17
	v_addc_co_u32_e32 v19, vcc, v0, v15, vcc
	v_accvgpr_write_b32 a88, v16
	global_load_dwordx4 v[14:17], v[16:17], off
	v_add_u32_e32 v22, s5, v22
	v_accvgpr_write_b32 a91, v19
	v_ashrrev_i32_e32 v23, 31, v22
	v_accvgpr_write_b32 a90, v18
	global_load_dwordx4 v[18:21], v[18:19], off
	v_lshlrev_b64 v[24:25], 4, v[22:23]
	v_add_u32_e32 v30, s5, v22
	v_add_co_u32_e32 v24, vcc, s6, v24
	v_ashrrev_i32_e32 v31, 31, v30
	v_addc_co_u32_e32 v25, vcc, v0, v25, vcc
	v_lshlrev_b64 v[22:23], 4, v[30:31]
	v_add_co_u32_e32 v26, vcc, s6, v22
	v_accvgpr_write_b32 a93, v25
	v_addc_co_u32_e32 v27, vcc, v0, v23, vcc
	v_accvgpr_write_b32 a92, v24
	global_load_dwordx4 v[22:25], v[24:25], off
	v_add_u32_e32 v30, s5, v30
	v_accvgpr_write_b32 a95, v27
	v_ashrrev_i32_e32 v31, 31, v30
	v_accvgpr_write_b32 a94, v26
	global_load_dwordx4 v[26:29], v[26:27], off
	v_lshlrev_b64 v[32:33], 4, v[30:31]
	v_add_u32_e32 v38, s5, v30
	v_add_co_u32_e32 v32, vcc, s6, v32
	v_ashrrev_i32_e32 v39, 31, v38
	v_addc_co_u32_e32 v33, vcc, v0, v33, vcc
	v_lshlrev_b64 v[30:31], 4, v[38:39]
	v_add_co_u32_e32 v34, vcc, s6, v30
	v_accvgpr_write_b32 a97, v33
	v_addc_co_u32_e32 v35, vcc, v0, v31, vcc
	v_accvgpr_write_b32 a96, v32
	global_load_dwordx4 v[30:33], v[32:33], off
	v_add_u32_e32 v38, s5, v38
	v_accvgpr_write_b32 a99, v35
	v_ashrrev_i32_e32 v39, 31, v38
	v_accvgpr_write_b32 a98, v34
	global_load_dwordx4 v[34:37], v[34:35], off
	v_lshlrev_b64 v[40:41], 4, v[38:39]
	v_add_u32_e32 v46, s5, v38
	v_add_co_u32_e32 v40, vcc, s6, v40
	v_ashrrev_i32_e32 v47, 31, v46
	v_addc_co_u32_e32 v41, vcc, v0, v41, vcc
	v_lshlrev_b64 v[38:39], 4, v[46:47]
	v_add_co_u32_e32 v42, vcc, s6, v38
	v_accvgpr_write_b32 a101, v41
	v_addc_co_u32_e32 v43, vcc, v0, v39, vcc
	v_accvgpr_write_b32 a100, v40
	global_load_dwordx4 v[38:41], v[40:41], off
	v_add_u32_e32 v46, s5, v46
	v_accvgpr_write_b32 a103, v43
	v_ashrrev_i32_e32 v47, 31, v46
	v_accvgpr_write_b32 a102, v42
	global_load_dwordx4 v[42:45], v[42:43], off
	v_lshlrev_b64 v[48:49], 4, v[46:47]
	v_add_u32_e32 v54, s5, v46
	v_add_co_u32_e32 v48, vcc, s6, v48
	v_ashrrev_i32_e32 v55, 31, v54
	v_addc_co_u32_e32 v49, vcc, v0, v49, vcc
	v_lshlrev_b64 v[46:47], 4, v[54:55]
	v_add_co_u32_e32 v50, vcc, s6, v46
	v_accvgpr_write_b32 a105, v49
	v_addc_co_u32_e32 v51, vcc, v0, v47, vcc
	v_accvgpr_write_b32 a104, v48
	global_load_dwordx4 v[46:49], v[48:49], off
	v_add_u32_e32 v54, s5, v54
	v_accvgpr_write_b32 a107, v51
	v_ashrrev_i32_e32 v55, 31, v54
	v_accvgpr_write_b32 a106, v50
	global_load_dwordx4 v[50:53], v[50:51], off
	v_lshlrev_b64 v[56:57], 4, v[54:55]
	v_add_u32_e32 v62, s5, v54
	v_add_co_u32_e32 v56, vcc, s6, v56
	v_ashrrev_i32_e32 v63, 31, v62
	v_addc_co_u32_e32 v57, vcc, v0, v57, vcc
	v_lshlrev_b64 v[54:55], 4, v[62:63]
	v_add_co_u32_e32 v58, vcc, s6, v54
	v_accvgpr_write_b32 a109, v57
	v_addc_co_u32_e32 v59, vcc, v0, v55, vcc
	v_accvgpr_write_b32 a108, v56
	global_load_dwordx4 v[54:57], v[56:57], off
	v_add_u32_e32 v62, s5, v62
	v_accvgpr_write_b32 a111, v59
	v_ashrrev_i32_e32 v63, 31, v62
	v_accvgpr_write_b32 a110, v58
	global_load_dwordx4 v[58:61], v[58:59], off
	v_lshlrev_b64 v[64:65], 4, v[62:63]
	v_add_u32_e32 v70, s5, v62
	v_add_co_u32_e32 v64, vcc, s6, v64
	v_ashrrev_i32_e32 v71, 31, v70
	v_addc_co_u32_e32 v65, vcc, v0, v65, vcc
	v_lshlrev_b64 v[62:63], 4, v[70:71]
	v_add_co_u32_e32 v66, vcc, s6, v62
	v_accvgpr_write_b32 a113, v65
	v_addc_co_u32_e32 v67, vcc, v0, v63, vcc
	v_accvgpr_write_b32 a112, v64
	global_load_dwordx4 v[62:65], v[64:65], off
	v_add_u32_e32 v70, s5, v70
	v_accvgpr_write_b32 a115, v67
	v_ashrrev_i32_e32 v71, 31, v70
	v_accvgpr_write_b32 a114, v66
	global_load_dwordx4 v[66:69], v[66:67], off
	v_lshlrev_b64 v[72:73], 4, v[70:71]
	v_add_u32_e32 v78, s5, v70
	v_add_co_u32_e32 v72, vcc, s6, v72
	v_ashrrev_i32_e32 v79, 31, v78
	v_addc_co_u32_e32 v73, vcc, v0, v73, vcc
	v_lshlrev_b64 v[70:71], 4, v[78:79]
	v_add_co_u32_e32 v74, vcc, s6, v70
	v_accvgpr_write_b32 a117, v73
	v_addc_co_u32_e32 v75, vcc, v0, v71, vcc
	v_accvgpr_write_b32 a116, v72
	global_load_dwordx4 v[70:73], v[72:73], off
	v_add_u32_e32 v78, s5, v78
	v_accvgpr_write_b32 a119, v75
	v_ashrrev_i32_e32 v79, 31, v78
	v_accvgpr_write_b32 a118, v74
	global_load_dwordx4 v[74:77], v[74:75], off
	v_lshlrev_b64 v[80:81], 4, v[78:79]
	v_add_co_u32_e32 v80, vcc, s6, v80
	v_addc_co_u32_e32 v81, vcc, v0, v81, vcc
	v_add_u32_e32 v78, s5, v78
	v_ashrrev_i32_e32 v79, 31, v78
	v_accvgpr_write_b32 a121, v81
	v_lshlrev_b64 v[82:83], 4, v[78:79]
	v_accvgpr_write_b32 a120, v80
	global_load_dwordx4 v[78:81], v[80:81], off
	v_add_co_u32_e32 v82, vcc, s6, v82
	v_addc_co_u32_e32 v83, vcc, v0, v83, vcc
	v_accvgpr_write_b32 a82, v82
	v_accvgpr_write_b32 a83, v83
	global_load_dwordx4 v[82:85], v[82:83], off
	v_mov_b32_e32 v0, 16
	buffer_store_dword v4, off, s[0:3], 0 offset:664
	buffer_store_dword v3, off, s[0:3], 0 offset:660
	buffer_store_dword v2, off, s[0:3], 0 offset:656
	s_waitcnt vmcnt(22)
	buffer_store_dword v9, off, s[0:3], 0 offset:684
	buffer_store_dword v8, off, s[0:3], 0 offset:680
	buffer_store_dword v7, off, s[0:3], 0 offset:676
	buffer_store_dword v6, off, s[0:3], 0 offset:672
	s_waitcnt vmcnt(25)
	buffer_store_dword v13, off, s[0:3], 0 offset:700
	;; [unrolled: 5-line block ×15, first 2 shown]
	buffer_store_dword v64, off, s[0:3], 0 offset:904
	buffer_store_dword v63, off, s[0:3], 0 offset:900
	;; [unrolled: 1-line block ×11, first 2 shown]
	s_waitcnt vmcnt(62)
	buffer_store_dword v77, off, s[0:3], 0 offset:956
	buffer_store_dword v76, off, s[0:3], 0 offset:952
	;; [unrolled: 1-line block ×12, first 2 shown]
	v_add_u32_e32 v2, 16, v0
	v_accvgpr_write_b32 a181, v2
	v_add_u32_e32 v2, 32, v0
	v_accvgpr_write_b32 a180, v2
	;; [unrolled: 2-line block ×58, first 2 shown]
	v_add_u32_e32 v2, 0x3b0, v0
	v_add_u32_e32 v0, 0x3c0, v0
	v_accvgpr_write_b32 a123, v2
	v_accvgpr_write_b32 a122, v0
	s_mov_b64 s[6:7], -1
	s_cbranch_scc1 .LBB124_268
; %bb.4:
	v_cmp_eq_u32_e64 s[4:5], 0, v226
	s_and_saveexec_b64 s[6:7], s[4:5]
	s_cbranch_execz .LBB124_6
; %bb.5:
	v_mov_b32_e32 v0, 0
	ds_write_b32 v0, v0 offset:1952
.LBB124_6:
	s_or_b64 exec, exec, s[6:7]
	v_mov_b32_e32 v0, 16
	v_lshl_add_u32 v12, v226, 4, v0
	s_waitcnt lgkmcnt(0)
	; wave barrier
	s_waitcnt lgkmcnt(0)
	buffer_load_dword v2, v12, s[0:3], 0 offen
	buffer_load_dword v3, v12, s[0:3], 0 offen offset:4
	buffer_load_dword v4, v12, s[0:3], 0 offen offset:8
	;; [unrolled: 1-line block ×3, first 2 shown]
	s_waitcnt vmcnt(2)
	v_cmp_eq_f64_e32 vcc, 0, v[2:3]
	s_waitcnt vmcnt(0)
	v_cmp_eq_f64_e64 s[6:7], 0, v[4:5]
	s_and_b64 s[6:7], vcc, s[6:7]
	s_and_saveexec_b64 s[10:11], s[6:7]
	s_cbranch_execz .LBB124_10
; %bb.7:
	v_mov_b32_e32 v2, 0
	ds_read_b32 v0, v2 offset:1952
	v_add_u32_e32 v3, 1, v226
	s_waitcnt lgkmcnt(0)
	v_readfirstlane_b32 s6, v0
	s_cmp_eq_u32 s6, 0
	s_cselect_b64 s[12:13], -1, 0
	v_cmp_gt_i32_e32 vcc, s6, v3
	s_or_b64 s[12:13], s[12:13], vcc
	s_and_b64 exec, exec, s[12:13]
	s_cbranch_execz .LBB124_10
; %bb.8:
	s_mov_b64 s[12:13], 0
	v_mov_b32_e32 v4, s6
.LBB124_9:                              ; =>This Inner Loop Header: Depth=1
	ds_cmpst_rtn_b32 v4, v2, v4, v3 offset:1952
	s_waitcnt lgkmcnt(0)
	v_cmp_ne_u32_e32 vcc, 0, v4
	v_cmp_le_i32_e64 s[6:7], v4, v3
	s_and_b64 s[6:7], vcc, s[6:7]
	s_and_b64 s[6:7], exec, s[6:7]
	s_or_b64 s[12:13], s[6:7], s[12:13]
	s_andn2_b64 exec, exec, s[12:13]
	s_cbranch_execnz .LBB124_9
.LBB124_10:
	s_or_b64 exec, exec, s[10:11]
	v_mov_b32_e32 v3, 0
	s_waitcnt lgkmcnt(0)
	; wave barrier
	ds_read_b32 v2, v3 offset:1952
	s_and_saveexec_b64 s[6:7], s[4:5]
	s_cbranch_execz .LBB124_12
; %bb.11:
	s_lshl_b64 s[10:11], s[8:9], 2
	s_add_u32 s10, s14, s10
	s_addc_u32 s11, s15, s11
	s_waitcnt lgkmcnt(0)
	global_store_dword v3, v2, s[10:11]
.LBB124_12:
	s_or_b64 exec, exec, s[6:7]
	s_waitcnt lgkmcnt(0)
	v_cmp_ne_u32_e32 vcc, 0, v2
	s_mov_b64 s[6:7], 0
	s_cbranch_vccnz .LBB124_268
; %bb.13:
	buffer_load_dword v7, v12, s[0:3], 0 offen offset:4
	buffer_load_dword v6, v12, s[0:3], 0 offen
	buffer_load_dword v9, v12, s[0:3], 0 offen offset:12
	buffer_load_dword v8, v12, s[0:3], 0 offen offset:8
                                        ; implicit-def: $vgpr10_vgpr11
	s_waitcnt vmcnt(3)
	v_xor_b32_e32 v0, 0x80000000, v7
	s_waitcnt vmcnt(2)
	v_cmp_gt_f64_e32 vcc, 0, v[6:7]
	s_waitcnt vmcnt(1)
	v_xor_b32_e32 v4, 0x80000000, v9
	v_cndmask_b32_e32 v3, v7, v0, vcc
	s_waitcnt vmcnt(0)
	v_cmp_gt_f64_e32 vcc, 0, v[8:9]
	v_mov_b32_e32 v2, v6
	v_cndmask_b32_e32 v5, v9, v4, vcc
	v_mov_b32_e32 v4, v8
	v_cmp_ngt_f64_e32 vcc, v[2:3], v[4:5]
                                        ; implicit-def: $vgpr4_vgpr5
	s_and_saveexec_b64 s[6:7], vcc
	s_xor_b64 s[6:7], exec, s[6:7]
	s_cbranch_execz .LBB124_15
; %bb.14:
	v_div_scale_f64 v[2:3], s[10:11], v[8:9], v[8:9], v[6:7]
	v_rcp_f64_e32 v[4:5], v[2:3]
	v_div_scale_f64 v[10:11], vcc, v[6:7], v[8:9], v[6:7]
	v_fma_f64 v[14:15], -v[2:3], v[4:5], 1.0
	v_fmac_f64_e32 v[4:5], v[4:5], v[14:15]
	v_fma_f64 v[14:15], -v[2:3], v[4:5], 1.0
	v_fmac_f64_e32 v[4:5], v[4:5], v[14:15]
	v_mul_f64 v[14:15], v[10:11], v[4:5]
	v_fma_f64 v[2:3], -v[2:3], v[14:15], v[10:11]
	v_div_fmas_f64 v[2:3], v[2:3], v[4:5], v[14:15]
	v_div_fixup_f64 v[2:3], v[2:3], v[8:9], v[6:7]
	v_fmac_f64_e32 v[8:9], v[6:7], v[2:3]
	v_div_scale_f64 v[4:5], s[10:11], v[8:9], v[8:9], 1.0
	v_rcp_f64_e32 v[6:7], v[4:5]
	v_fma_f64 v[10:11], -v[4:5], v[6:7], 1.0
	v_fmac_f64_e32 v[6:7], v[6:7], v[10:11]
	v_fma_f64 v[10:11], -v[4:5], v[6:7], 1.0
	v_fmac_f64_e32 v[6:7], v[6:7], v[10:11]
	v_div_scale_f64 v[10:11], vcc, 1.0, v[8:9], 1.0
	v_mul_f64 v[14:15], v[10:11], v[6:7]
	v_fma_f64 v[4:5], -v[4:5], v[14:15], v[10:11]
	s_nop 1
	v_div_fmas_f64 v[4:5], v[4:5], v[6:7], v[14:15]
	v_div_fixup_f64 v[4:5], v[4:5], v[8:9], 1.0
	v_mul_f64 v[10:11], v[2:3], v[4:5]
	v_xor_b32_e32 v5, 0x80000000, v5
	v_xor_b32_e32 v3, 0x80000000, v11
	v_mov_b32_e32 v2, v10
                                        ; implicit-def: $vgpr6_vgpr7
                                        ; implicit-def: $vgpr8_vgpr9
.LBB124_15:
	s_andn2_saveexec_b64 s[6:7], s[6:7]
	s_cbranch_execz .LBB124_17
; %bb.16:
	v_div_scale_f64 v[2:3], s[10:11], v[6:7], v[6:7], v[8:9]
	v_rcp_f64_e32 v[4:5], v[2:3]
	v_div_scale_f64 v[10:11], vcc, v[8:9], v[6:7], v[8:9]
	v_fma_f64 v[14:15], -v[2:3], v[4:5], 1.0
	v_fmac_f64_e32 v[4:5], v[4:5], v[14:15]
	v_fma_f64 v[14:15], -v[2:3], v[4:5], 1.0
	v_fmac_f64_e32 v[4:5], v[4:5], v[14:15]
	v_mul_f64 v[14:15], v[10:11], v[4:5]
	v_fma_f64 v[2:3], -v[2:3], v[14:15], v[10:11]
	v_div_fmas_f64 v[2:3], v[2:3], v[4:5], v[14:15]
	v_div_fixup_f64 v[4:5], v[2:3], v[6:7], v[8:9]
	v_fmac_f64_e32 v[6:7], v[8:9], v[4:5]
	v_div_scale_f64 v[2:3], s[10:11], v[6:7], v[6:7], 1.0
	v_rcp_f64_e32 v[8:9], v[2:3]
	v_fma_f64 v[10:11], -v[2:3], v[8:9], 1.0
	v_fmac_f64_e32 v[8:9], v[8:9], v[10:11]
	v_fma_f64 v[10:11], -v[2:3], v[8:9], 1.0
	v_fmac_f64_e32 v[8:9], v[8:9], v[10:11]
	v_div_scale_f64 v[10:11], vcc, 1.0, v[6:7], 1.0
	v_mul_f64 v[14:15], v[10:11], v[8:9]
	v_fma_f64 v[2:3], -v[2:3], v[14:15], v[10:11]
	s_nop 1
	v_div_fmas_f64 v[2:3], v[2:3], v[8:9], v[14:15]
	v_div_fixup_f64 v[10:11], v[2:3], v[6:7], 1.0
	v_xor_b32_e32 v3, 0x80000000, v11
	v_mov_b32_e32 v2, v10
	v_mul_f64 v[4:5], v[4:5], -v[10:11]
.LBB124_17:
	s_or_b64 exec, exec, s[6:7]
	buffer_store_dword v11, v12, s[0:3], 0 offen offset:4
	buffer_store_dword v10, v12, s[0:3], 0 offen
	buffer_store_dword v5, v12, s[0:3], 0 offen offset:12
	buffer_store_dword v4, v12, s[0:3], 0 offen offset:8
	v_accvgpr_read_b32 v0, a181
	buffer_load_dword v11, v0, s[0:3], 0 offen offset:12
	buffer_load_dword v10, v0, s[0:3], 0 offen offset:8
	;; [unrolled: 1-line block ×3, first 2 shown]
	buffer_load_dword v8, v0, s[0:3], 0 offen
	v_xor_b32_e32 v5, 0x80000000, v5
	v_add_u32_e32 v6, 0x3d0, v1
	ds_write_b128 v1, v[2:5]
	s_waitcnt vmcnt(0)
	ds_write_b128 v1, v[8:11] offset:976
	s_waitcnt lgkmcnt(0)
	; wave barrier
	s_waitcnt lgkmcnt(0)
	s_and_saveexec_b64 s[6:7], s[4:5]
	s_cbranch_execz .LBB124_19
; %bb.18:
	buffer_load_dword v14, v12, s[0:3], 0 offen offset:8
	buffer_load_dword v15, v12, s[0:3], 0 offen offset:12
	buffer_load_dword v16, v12, s[0:3], 0 offen
	buffer_load_dword v17, v12, s[0:3], 0 offen offset:4
	ds_read_b128 v[2:5], v6
	v_mov_b32_e32 v0, 0
	ds_read_b128 v[8:11], v0 offset:16
	s_waitcnt vmcnt(2) lgkmcnt(1)
	v_mul_f64 v[18:19], v[4:5], v[14:15]
	v_mul_f64 v[14:15], v[2:3], v[14:15]
	s_waitcnt vmcnt(0)
	v_fmac_f64_e32 v[14:15], v[4:5], v[16:17]
	v_fma_f64 v[2:3], v[2:3], v[16:17], -v[18:19]
	v_add_f64 v[4:5], v[14:15], 0
	v_add_f64 v[2:3], v[2:3], 0
	s_waitcnt lgkmcnt(0)
	v_mul_f64 v[14:15], v[4:5], v[10:11]
	v_mul_f64 v[10:11], v[2:3], v[10:11]
	v_fma_f64 v[2:3], v[2:3], v[8:9], -v[14:15]
	v_fmac_f64_e32 v[10:11], v[4:5], v[8:9]
	buffer_store_dword v2, off, s[0:3], 0 offset:32
	buffer_store_dword v3, off, s[0:3], 0 offset:36
	;; [unrolled: 1-line block ×4, first 2 shown]
.LBB124_19:
	s_or_b64 exec, exec, s[6:7]
	v_accvgpr_read_b32 v0, a180
	s_waitcnt lgkmcnt(0)
	; wave barrier
	buffer_load_dword v2, v0, s[0:3], 0 offen
	buffer_load_dword v3, v0, s[0:3], 0 offen offset:4
	buffer_load_dword v4, v0, s[0:3], 0 offen offset:8
	;; [unrolled: 1-line block ×3, first 2 shown]
	v_cmp_gt_u32_e32 vcc, 2, v226
	s_waitcnt vmcnt(0)
	ds_write_b128 v6, v[2:5]
	s_waitcnt lgkmcnt(0)
	; wave barrier
	s_waitcnt lgkmcnt(0)
	s_and_saveexec_b64 s[6:7], vcc
	s_cbranch_execz .LBB124_23
; %bb.20:
	buffer_load_dword v8, v12, s[0:3], 0 offen offset:8
	buffer_load_dword v9, v12, s[0:3], 0 offen offset:12
	buffer_load_dword v10, v12, s[0:3], 0 offen
	buffer_load_dword v11, v12, s[0:3], 0 offen offset:4
	ds_read_b128 v[2:5], v6
	s_waitcnt vmcnt(2) lgkmcnt(0)
	v_mul_f64 v[14:15], v[4:5], v[8:9]
	v_mul_f64 v[8:9], v[2:3], v[8:9]
	s_waitcnt vmcnt(0)
	v_fma_f64 v[2:3], v[2:3], v[10:11], -v[14:15]
	v_fmac_f64_e32 v[8:9], v[4:5], v[10:11]
	v_add_f64 v[4:5], v[2:3], 0
	v_add_f64 v[2:3], v[8:9], 0
	s_and_saveexec_b64 s[10:11], s[4:5]
	s_cbranch_execz .LBB124_22
; %bb.21:
	buffer_load_dword v14, off, s[0:3], 0 offset:40
	buffer_load_dword v15, off, s[0:3], 0 offset:44
	;; [unrolled: 1-line block ×4, first 2 shown]
	v_mov_b32_e32 v0, 0
	ds_read_b128 v[8:11], v0 offset:992
	s_waitcnt vmcnt(2) lgkmcnt(0)
	v_mul_f64 v[18:19], v[8:9], v[14:15]
	v_mul_f64 v[14:15], v[10:11], v[14:15]
	s_waitcnt vmcnt(0)
	v_fmac_f64_e32 v[18:19], v[10:11], v[16:17]
	v_fma_f64 v[8:9], v[8:9], v[16:17], -v[14:15]
	v_add_f64 v[2:3], v[2:3], v[18:19]
	v_add_f64 v[4:5], v[4:5], v[8:9]
.LBB124_22:
	s_or_b64 exec, exec, s[10:11]
	v_mov_b32_e32 v0, 0
	ds_read_b128 v[8:11], v0 offset:32
	s_waitcnt lgkmcnt(0)
	v_mul_f64 v[14:15], v[2:3], v[10:11]
	v_mul_f64 v[10:11], v[4:5], v[10:11]
	v_fma_f64 v[4:5], v[4:5], v[8:9], -v[14:15]
	v_fmac_f64_e32 v[10:11], v[2:3], v[8:9]
	buffer_store_dword v5, off, s[0:3], 0 offset:52
	buffer_store_dword v4, off, s[0:3], 0 offset:48
	;; [unrolled: 1-line block ×4, first 2 shown]
.LBB124_23:
	s_or_b64 exec, exec, s[6:7]
	v_accvgpr_read_b32 v0, a179
	s_waitcnt lgkmcnt(0)
	; wave barrier
	buffer_load_dword v2, v0, s[0:3], 0 offen
	buffer_load_dword v3, v0, s[0:3], 0 offen offset:4
	buffer_load_dword v4, v0, s[0:3], 0 offen offset:8
	;; [unrolled: 1-line block ×3, first 2 shown]
	v_cmp_gt_u32_e64 s[6:7], 3, v226
	v_add_u32_e32 v7, -1, v226
	s_waitcnt vmcnt(0)
	ds_write_b128 v6, v[2:5]
	s_waitcnt lgkmcnt(0)
	; wave barrier
	s_waitcnt lgkmcnt(0)
	s_and_saveexec_b64 s[10:11], s[6:7]
	s_cbranch_execz .LBB124_27
; %bb.24:
	v_pk_mov_b32 v[2:3], 0, 0
	v_add_u32_e32 v8, -1, v226
	v_add_u32_e32 v9, 0x3d0, v1
	v_add_u32_e32 v10, 16, v1
	s_mov_b64 s[12:13], 0
	v_pk_mov_b32 v[4:5], v[2:3], v[2:3] op_sel:[0,1]
.LBB124_25:                             ; =>This Inner Loop Header: Depth=1
	buffer_load_dword v18, v10, s[0:3], 0 offen offset:8
	buffer_load_dword v19, v10, s[0:3], 0 offen offset:12
	buffer_load_dword v20, v10, s[0:3], 0 offen
	buffer_load_dword v21, v10, s[0:3], 0 offen offset:4
	ds_read_b128 v[14:17], v9
	v_add_u32_e32 v8, 1, v8
	v_cmp_lt_u32_e64 s[6:7], 1, v8
	v_add_u32_e32 v9, 16, v9
	v_add_u32_e32 v10, 16, v10
	s_or_b64 s[12:13], s[6:7], s[12:13]
	s_waitcnt vmcnt(2) lgkmcnt(0)
	v_mul_f64 v[22:23], v[16:17], v[18:19]
	v_mul_f64 v[18:19], v[14:15], v[18:19]
	s_waitcnt vmcnt(0)
	v_fma_f64 v[14:15], v[14:15], v[20:21], -v[22:23]
	v_fmac_f64_e32 v[18:19], v[16:17], v[20:21]
	v_add_f64 v[4:5], v[4:5], v[14:15]
	v_add_f64 v[2:3], v[2:3], v[18:19]
	s_andn2_b64 exec, exec, s[12:13]
	s_cbranch_execnz .LBB124_25
; %bb.26:
	s_or_b64 exec, exec, s[12:13]
	v_mov_b32_e32 v0, 0
	ds_read_b128 v[8:11], v0 offset:48
	s_waitcnt lgkmcnt(0)
	v_mul_f64 v[14:15], v[2:3], v[10:11]
	v_mul_f64 v[10:11], v[4:5], v[10:11]
	v_fma_f64 v[4:5], v[4:5], v[8:9], -v[14:15]
	v_fmac_f64_e32 v[10:11], v[2:3], v[8:9]
	buffer_store_dword v5, off, s[0:3], 0 offset:68
	buffer_store_dword v4, off, s[0:3], 0 offset:64
	buffer_store_dword v11, off, s[0:3], 0 offset:76
	buffer_store_dword v10, off, s[0:3], 0 offset:72
.LBB124_27:
	s_or_b64 exec, exec, s[10:11]
	v_accvgpr_read_b32 v0, a178
	s_waitcnt lgkmcnt(0)
	; wave barrier
	buffer_load_dword v2, v0, s[0:3], 0 offen
	buffer_load_dword v3, v0, s[0:3], 0 offen offset:4
	buffer_load_dword v4, v0, s[0:3], 0 offen offset:8
	buffer_load_dword v5, v0, s[0:3], 0 offen offset:12
	v_cmp_gt_u32_e64 s[6:7], 4, v226
	s_waitcnt vmcnt(0)
	ds_write_b128 v6, v[2:5]
	s_waitcnt lgkmcnt(0)
	; wave barrier
	s_waitcnt lgkmcnt(0)
	s_and_saveexec_b64 s[12:13], s[6:7]
	s_cbranch_execz .LBB124_31
; %bb.28:
	v_pk_mov_b32 v[2:3], 0, 0
	v_add_u32_e32 v8, -1, v226
	v_add_u32_e32 v9, 0x3d0, v1
	v_add_u32_e32 v10, 16, v1
	s_mov_b64 s[20:21], 0
	v_pk_mov_b32 v[4:5], v[2:3], v[2:3] op_sel:[0,1]
.LBB124_29:                             ; =>This Inner Loop Header: Depth=1
	buffer_load_dword v18, v10, s[0:3], 0 offen offset:8
	buffer_load_dword v19, v10, s[0:3], 0 offen offset:12
	buffer_load_dword v20, v10, s[0:3], 0 offen
	buffer_load_dword v21, v10, s[0:3], 0 offen offset:4
	ds_read_b128 v[14:17], v9
	v_add_u32_e32 v8, 1, v8
	v_cmp_lt_u32_e64 s[10:11], 2, v8
	v_add_u32_e32 v9, 16, v9
	v_add_u32_e32 v10, 16, v10
	s_or_b64 s[20:21], s[10:11], s[20:21]
	s_waitcnt vmcnt(2) lgkmcnt(0)
	v_mul_f64 v[22:23], v[16:17], v[18:19]
	v_mul_f64 v[18:19], v[14:15], v[18:19]
	s_waitcnt vmcnt(0)
	v_fma_f64 v[14:15], v[14:15], v[20:21], -v[22:23]
	v_fmac_f64_e32 v[18:19], v[16:17], v[20:21]
	v_add_f64 v[4:5], v[4:5], v[14:15]
	v_add_f64 v[2:3], v[2:3], v[18:19]
	s_andn2_b64 exec, exec, s[20:21]
	s_cbranch_execnz .LBB124_29
; %bb.30:
	s_or_b64 exec, exec, s[20:21]
	v_mov_b32_e32 v0, 0
	ds_read_b128 v[8:11], v0 offset:64
	s_waitcnt lgkmcnt(0)
	v_mul_f64 v[14:15], v[2:3], v[10:11]
	v_mul_f64 v[10:11], v[4:5], v[10:11]
	v_fma_f64 v[4:5], v[4:5], v[8:9], -v[14:15]
	v_fmac_f64_e32 v[10:11], v[2:3], v[8:9]
	buffer_store_dword v5, off, s[0:3], 0 offset:84
	buffer_store_dword v4, off, s[0:3], 0 offset:80
	buffer_store_dword v11, off, s[0:3], 0 offset:92
	buffer_store_dword v10, off, s[0:3], 0 offset:88
.LBB124_31:
	s_or_b64 exec, exec, s[12:13]
	v_accvgpr_read_b32 v0, a177
	s_waitcnt lgkmcnt(0)
	; wave barrier
	buffer_load_dword v2, v0, s[0:3], 0 offen
	buffer_load_dword v3, v0, s[0:3], 0 offen offset:4
	buffer_load_dword v4, v0, s[0:3], 0 offen offset:8
	buffer_load_dword v5, v0, s[0:3], 0 offen offset:12
	v_cmp_gt_u32_e64 s[10:11], 5, v226
	s_waitcnt vmcnt(0)
	ds_write_b128 v6, v[2:5]
	s_waitcnt lgkmcnt(0)
	; wave barrier
	s_waitcnt lgkmcnt(0)
	s_and_saveexec_b64 s[12:13], s[10:11]
	s_cbranch_execz .LBB124_35
; %bb.32:
	v_pk_mov_b32 v[2:3], 0, 0
	v_add_u32_e32 v8, -1, v226
	v_add_u32_e32 v9, 0x3d0, v1
	v_add_u32_e32 v10, 16, v1
	s_mov_b64 s[20:21], 0
	v_pk_mov_b32 v[4:5], v[2:3], v[2:3] op_sel:[0,1]
.LBB124_33:                             ; =>This Inner Loop Header: Depth=1
	buffer_load_dword v18, v10, s[0:3], 0 offen offset:8
	buffer_load_dword v19, v10, s[0:3], 0 offen offset:12
	buffer_load_dword v20, v10, s[0:3], 0 offen
	buffer_load_dword v21, v10, s[0:3], 0 offen offset:4
	ds_read_b128 v[14:17], v9
	v_add_u32_e32 v8, 1, v8
	v_cmp_lt_u32_e64 s[10:11], 3, v8
	v_add_u32_e32 v9, 16, v9
	v_add_u32_e32 v10, 16, v10
	s_or_b64 s[20:21], s[10:11], s[20:21]
	s_waitcnt vmcnt(2) lgkmcnt(0)
	v_mul_f64 v[22:23], v[16:17], v[18:19]
	v_mul_f64 v[18:19], v[14:15], v[18:19]
	s_waitcnt vmcnt(0)
	v_fma_f64 v[14:15], v[14:15], v[20:21], -v[22:23]
	v_fmac_f64_e32 v[18:19], v[16:17], v[20:21]
	v_add_f64 v[4:5], v[4:5], v[14:15]
	v_add_f64 v[2:3], v[2:3], v[18:19]
	s_andn2_b64 exec, exec, s[20:21]
	s_cbranch_execnz .LBB124_33
; %bb.34:
	s_or_b64 exec, exec, s[20:21]
	v_mov_b32_e32 v0, 0
	ds_read_b128 v[8:11], v0 offset:80
	s_waitcnt lgkmcnt(0)
	v_mul_f64 v[14:15], v[2:3], v[10:11]
	v_mul_f64 v[10:11], v[4:5], v[10:11]
	v_fma_f64 v[4:5], v[4:5], v[8:9], -v[14:15]
	v_fmac_f64_e32 v[10:11], v[2:3], v[8:9]
	buffer_store_dword v5, off, s[0:3], 0 offset:100
	buffer_store_dword v4, off, s[0:3], 0 offset:96
	buffer_store_dword v11, off, s[0:3], 0 offset:108
	buffer_store_dword v10, off, s[0:3], 0 offset:104
.LBB124_35:
	s_or_b64 exec, exec, s[12:13]
	v_accvgpr_read_b32 v0, a176
	s_waitcnt lgkmcnt(0)
	; wave barrier
	buffer_load_dword v2, v0, s[0:3], 0 offen
	buffer_load_dword v3, v0, s[0:3], 0 offen offset:4
	buffer_load_dword v4, v0, s[0:3], 0 offen offset:8
	buffer_load_dword v5, v0, s[0:3], 0 offen offset:12
	v_cmp_gt_u32_e64 s[10:11], 6, v226
	s_waitcnt vmcnt(0)
	ds_write_b128 v6, v[2:5]
	s_waitcnt lgkmcnt(0)
	; wave barrier
	s_waitcnt lgkmcnt(0)
	s_and_saveexec_b64 s[20:21], s[10:11]
	s_cbranch_execz .LBB124_39
; %bb.36:
	v_pk_mov_b32 v[2:3], 0, 0
	v_add_u32_e32 v8, -1, v226
	v_add_u32_e32 v9, 0x3d0, v1
	v_add_u32_e32 v10, 16, v1
	s_mov_b64 s[22:23], 0
	v_pk_mov_b32 v[4:5], v[2:3], v[2:3] op_sel:[0,1]
.LBB124_37:                             ; =>This Inner Loop Header: Depth=1
	buffer_load_dword v18, v10, s[0:3], 0 offen offset:8
	buffer_load_dword v19, v10, s[0:3], 0 offen offset:12
	buffer_load_dword v20, v10, s[0:3], 0 offen
	buffer_load_dword v21, v10, s[0:3], 0 offen offset:4
	ds_read_b128 v[14:17], v9
	v_add_u32_e32 v8, 1, v8
	v_cmp_lt_u32_e64 s[12:13], 4, v8
	v_add_u32_e32 v9, 16, v9
	v_add_u32_e32 v10, 16, v10
	s_or_b64 s[22:23], s[12:13], s[22:23]
	s_waitcnt vmcnt(2) lgkmcnt(0)
	v_mul_f64 v[22:23], v[16:17], v[18:19]
	v_mul_f64 v[18:19], v[14:15], v[18:19]
	s_waitcnt vmcnt(0)
	v_fma_f64 v[14:15], v[14:15], v[20:21], -v[22:23]
	v_fmac_f64_e32 v[18:19], v[16:17], v[20:21]
	v_add_f64 v[4:5], v[4:5], v[14:15]
	v_add_f64 v[2:3], v[2:3], v[18:19]
	s_andn2_b64 exec, exec, s[22:23]
	s_cbranch_execnz .LBB124_37
; %bb.38:
	s_or_b64 exec, exec, s[22:23]
	v_mov_b32_e32 v0, 0
	ds_read_b128 v[8:11], v0 offset:96
	s_waitcnt lgkmcnt(0)
	v_mul_f64 v[14:15], v[2:3], v[10:11]
	v_mul_f64 v[10:11], v[4:5], v[10:11]
	v_fma_f64 v[4:5], v[4:5], v[8:9], -v[14:15]
	v_fmac_f64_e32 v[10:11], v[2:3], v[8:9]
	buffer_store_dword v5, off, s[0:3], 0 offset:116
	buffer_store_dword v4, off, s[0:3], 0 offset:112
	buffer_store_dword v11, off, s[0:3], 0 offset:124
	buffer_store_dword v10, off, s[0:3], 0 offset:120
.LBB124_39:
	s_or_b64 exec, exec, s[20:21]
	v_accvgpr_read_b32 v0, a175
	s_waitcnt lgkmcnt(0)
	; wave barrier
	buffer_load_dword v2, v0, s[0:3], 0 offen
	buffer_load_dword v3, v0, s[0:3], 0 offen offset:4
	buffer_load_dword v4, v0, s[0:3], 0 offen offset:8
	buffer_load_dword v5, v0, s[0:3], 0 offen offset:12
	v_cmp_gt_u32_e64 s[12:13], 7, v226
	s_waitcnt vmcnt(0)
	ds_write_b128 v6, v[2:5]
	s_waitcnt lgkmcnt(0)
	; wave barrier
	s_waitcnt lgkmcnt(0)
	s_and_saveexec_b64 s[20:21], s[12:13]
	s_cbranch_execz .LBB124_43
; %bb.40:
	v_pk_mov_b32 v[2:3], 0, 0
	v_add_u32_e32 v8, -1, v226
	v_add_u32_e32 v9, 0x3d0, v1
	v_add_u32_e32 v10, 16, v1
	s_mov_b64 s[22:23], 0
	v_pk_mov_b32 v[4:5], v[2:3], v[2:3] op_sel:[0,1]
.LBB124_41:                             ; =>This Inner Loop Header: Depth=1
	buffer_load_dword v18, v10, s[0:3], 0 offen offset:8
	buffer_load_dword v19, v10, s[0:3], 0 offen offset:12
	buffer_load_dword v20, v10, s[0:3], 0 offen
	buffer_load_dword v21, v10, s[0:3], 0 offen offset:4
	ds_read_b128 v[14:17], v9
	v_add_u32_e32 v8, 1, v8
	v_cmp_lt_u32_e64 s[12:13], 5, v8
	v_add_u32_e32 v9, 16, v9
	v_add_u32_e32 v10, 16, v10
	s_or_b64 s[22:23], s[12:13], s[22:23]
	s_waitcnt vmcnt(2) lgkmcnt(0)
	v_mul_f64 v[22:23], v[16:17], v[18:19]
	v_mul_f64 v[18:19], v[14:15], v[18:19]
	s_waitcnt vmcnt(0)
	v_fma_f64 v[14:15], v[14:15], v[20:21], -v[22:23]
	v_fmac_f64_e32 v[18:19], v[16:17], v[20:21]
	v_add_f64 v[4:5], v[4:5], v[14:15]
	v_add_f64 v[2:3], v[2:3], v[18:19]
	s_andn2_b64 exec, exec, s[22:23]
	s_cbranch_execnz .LBB124_41
; %bb.42:
	s_or_b64 exec, exec, s[22:23]
	v_mov_b32_e32 v0, 0
	ds_read_b128 v[8:11], v0 offset:112
	s_waitcnt lgkmcnt(0)
	v_mul_f64 v[14:15], v[2:3], v[10:11]
	v_mul_f64 v[10:11], v[4:5], v[10:11]
	v_fma_f64 v[4:5], v[4:5], v[8:9], -v[14:15]
	v_fmac_f64_e32 v[10:11], v[2:3], v[8:9]
	buffer_store_dword v5, off, s[0:3], 0 offset:132
	buffer_store_dword v4, off, s[0:3], 0 offset:128
	buffer_store_dword v11, off, s[0:3], 0 offset:140
	buffer_store_dword v10, off, s[0:3], 0 offset:136
.LBB124_43:
	s_or_b64 exec, exec, s[20:21]
	v_accvgpr_read_b32 v0, a174
	s_waitcnt lgkmcnt(0)
	; wave barrier
	buffer_load_dword v2, v0, s[0:3], 0 offen
	buffer_load_dword v3, v0, s[0:3], 0 offen offset:4
	buffer_load_dword v4, v0, s[0:3], 0 offen offset:8
	buffer_load_dword v5, v0, s[0:3], 0 offen offset:12
	v_cmp_gt_u32_e64 s[12:13], 8, v226
	s_waitcnt vmcnt(0)
	ds_write_b128 v6, v[2:5]
	s_waitcnt lgkmcnt(0)
	; wave barrier
	s_waitcnt lgkmcnt(0)
	s_and_saveexec_b64 s[20:21], s[12:13]
	s_cbranch_execz .LBB124_59
; %bb.44:
	buffer_load_dword v8, v12, s[0:3], 0 offen offset:8
	buffer_load_dword v9, v12, s[0:3], 0 offen offset:12
	buffer_load_dword v10, v12, s[0:3], 0 offen
	buffer_load_dword v11, v12, s[0:3], 0 offen offset:4
	ds_read_b128 v[2:5], v6
	v_cmp_ne_u32_e64 s[12:13], 7, v226
	s_waitcnt vmcnt(2) lgkmcnt(0)
	v_mul_f64 v[14:15], v[4:5], v[8:9]
	v_mul_f64 v[8:9], v[2:3], v[8:9]
	s_waitcnt vmcnt(0)
	v_fma_f64 v[2:3], v[2:3], v[10:11], -v[14:15]
	v_fmac_f64_e32 v[8:9], v[4:5], v[10:11]
	v_add_f64 v[4:5], v[2:3], 0
	v_add_f64 v[2:3], v[8:9], 0
	s_and_saveexec_b64 s[22:23], s[12:13]
	s_cbranch_execz .LBB124_58
; %bb.45:
	buffer_load_dword v14, v12, s[0:3], 0 offen offset:24
	buffer_load_dword v15, v12, s[0:3], 0 offen offset:28
	;; [unrolled: 1-line block ×4, first 2 shown]
	ds_read_b128 v[8:11], v6 offset:16
	s_waitcnt vmcnt(2) lgkmcnt(0)
	v_mul_f64 v[18:19], v[10:11], v[14:15]
	v_mul_f64 v[14:15], v[8:9], v[14:15]
	s_waitcnt vmcnt(0)
	v_fma_f64 v[8:9], v[8:9], v[16:17], -v[18:19]
	v_fmac_f64_e32 v[14:15], v[10:11], v[16:17]
	v_add_f64 v[4:5], v[4:5], v[8:9]
	v_add_f64 v[2:3], v[2:3], v[14:15]
	s_and_saveexec_b64 s[12:13], s[10:11]
	s_cbranch_execz .LBB124_57
; %bb.46:
	buffer_load_dword v14, v12, s[0:3], 0 offen offset:40
	buffer_load_dword v15, v12, s[0:3], 0 offen offset:44
	;; [unrolled: 1-line block ×4, first 2 shown]
	ds_read_b128 v[8:11], v6 offset:32
	v_cmp_ne_u32_e64 s[10:11], 5, v226
	s_waitcnt vmcnt(2) lgkmcnt(0)
	v_mul_f64 v[18:19], v[10:11], v[14:15]
	v_mul_f64 v[14:15], v[8:9], v[14:15]
	s_waitcnt vmcnt(0)
	v_fma_f64 v[8:9], v[8:9], v[16:17], -v[18:19]
	v_fmac_f64_e32 v[14:15], v[10:11], v[16:17]
	v_add_f64 v[4:5], v[4:5], v[8:9]
	v_add_f64 v[2:3], v[2:3], v[14:15]
	s_and_saveexec_b64 s[24:25], s[10:11]
	s_cbranch_execz .LBB124_56
; %bb.47:
	buffer_load_dword v14, v12, s[0:3], 0 offen offset:56
	buffer_load_dword v15, v12, s[0:3], 0 offen offset:60
	;; [unrolled: 1-line block ×4, first 2 shown]
	ds_read_b128 v[8:11], v6 offset:48
	s_waitcnt vmcnt(2) lgkmcnt(0)
	v_mul_f64 v[18:19], v[10:11], v[14:15]
	v_mul_f64 v[14:15], v[8:9], v[14:15]
	s_waitcnt vmcnt(0)
	v_fma_f64 v[8:9], v[8:9], v[16:17], -v[18:19]
	v_fmac_f64_e32 v[14:15], v[10:11], v[16:17]
	v_add_f64 v[4:5], v[4:5], v[8:9]
	v_add_f64 v[2:3], v[2:3], v[14:15]
	s_and_saveexec_b64 s[10:11], s[6:7]
	s_cbranch_execz .LBB124_55
; %bb.48:
	buffer_load_dword v14, v12, s[0:3], 0 offen offset:72
	buffer_load_dword v15, v12, s[0:3], 0 offen offset:76
	;; [unrolled: 1-line block ×4, first 2 shown]
	ds_read_b128 v[8:11], v6 offset:64
	v_cmp_ne_u32_e64 s[6:7], 3, v226
	s_waitcnt vmcnt(2) lgkmcnt(0)
	v_mul_f64 v[18:19], v[10:11], v[14:15]
	v_mul_f64 v[14:15], v[8:9], v[14:15]
	s_waitcnt vmcnt(0)
	v_fma_f64 v[8:9], v[8:9], v[16:17], -v[18:19]
	v_fmac_f64_e32 v[14:15], v[10:11], v[16:17]
	v_add_f64 v[4:5], v[4:5], v[8:9]
	v_add_f64 v[2:3], v[2:3], v[14:15]
	s_and_saveexec_b64 s[26:27], s[6:7]
	s_cbranch_execz .LBB124_54
; %bb.49:
	buffer_load_dword v14, v12, s[0:3], 0 offen offset:88
	buffer_load_dword v15, v12, s[0:3], 0 offen offset:92
	;; [unrolled: 1-line block ×4, first 2 shown]
	ds_read_b128 v[8:11], v6 offset:80
	s_waitcnt vmcnt(2) lgkmcnt(0)
	v_mul_f64 v[18:19], v[10:11], v[14:15]
	v_mul_f64 v[14:15], v[8:9], v[14:15]
	s_waitcnt vmcnt(0)
	v_fma_f64 v[8:9], v[8:9], v[16:17], -v[18:19]
	v_fmac_f64_e32 v[14:15], v[10:11], v[16:17]
	v_add_f64 v[4:5], v[4:5], v[8:9]
	v_add_f64 v[2:3], v[2:3], v[14:15]
	s_and_saveexec_b64 s[6:7], vcc
	s_cbranch_execz .LBB124_53
; %bb.50:
	buffer_load_dword v14, v12, s[0:3], 0 offen offset:104
	buffer_load_dword v15, v12, s[0:3], 0 offen offset:108
	buffer_load_dword v16, v12, s[0:3], 0 offen offset:96
	buffer_load_dword v17, v12, s[0:3], 0 offen offset:100
	ds_read_b128 v[8:11], v6 offset:96
	s_waitcnt vmcnt(2) lgkmcnt(0)
	v_mul_f64 v[18:19], v[10:11], v[14:15]
	v_mul_f64 v[14:15], v[8:9], v[14:15]
	s_waitcnt vmcnt(0)
	v_fma_f64 v[8:9], v[8:9], v[16:17], -v[18:19]
	v_fmac_f64_e32 v[14:15], v[10:11], v[16:17]
	v_add_f64 v[4:5], v[4:5], v[8:9]
	v_add_f64 v[2:3], v[2:3], v[14:15]
	s_and_saveexec_b64 s[28:29], s[4:5]
	s_cbranch_execz .LBB124_52
; %bb.51:
	buffer_load_dword v14, v12, s[0:3], 0 offen offset:120
	buffer_load_dword v15, v12, s[0:3], 0 offen offset:124
	;; [unrolled: 1-line block ×4, first 2 shown]
	ds_read_b128 v[8:11], v6 offset:112
	s_waitcnt vmcnt(2) lgkmcnt(0)
	v_mul_f64 v[12:13], v[10:11], v[14:15]
	v_mul_f64 v[14:15], v[8:9], v[14:15]
	s_waitcnt vmcnt(0)
	v_fma_f64 v[8:9], v[8:9], v[16:17], -v[12:13]
	v_fmac_f64_e32 v[14:15], v[10:11], v[16:17]
	v_add_f64 v[4:5], v[4:5], v[8:9]
	v_add_f64 v[2:3], v[2:3], v[14:15]
.LBB124_52:
	s_or_b64 exec, exec, s[28:29]
.LBB124_53:
	s_or_b64 exec, exec, s[6:7]
.LBB124_54:
	s_or_b64 exec, exec, s[26:27]
.LBB124_55:
	s_or_b64 exec, exec, s[10:11]
.LBB124_56:
	s_or_b64 exec, exec, s[24:25]
.LBB124_57:
	s_or_b64 exec, exec, s[12:13]
.LBB124_58:
	s_or_b64 exec, exec, s[22:23]
	v_mov_b32_e32 v0, 0
	ds_read_b128 v[8:11], v0 offset:128
	s_waitcnt lgkmcnt(0)
	v_mul_f64 v[12:13], v[2:3], v[10:11]
	v_mul_f64 v[10:11], v[4:5], v[10:11]
	v_fma_f64 v[4:5], v[4:5], v[8:9], -v[12:13]
	v_fmac_f64_e32 v[10:11], v[2:3], v[8:9]
	buffer_store_dword v5, off, s[0:3], 0 offset:148
	buffer_store_dword v4, off, s[0:3], 0 offset:144
	;; [unrolled: 1-line block ×4, first 2 shown]
.LBB124_59:
	s_or_b64 exec, exec, s[20:21]
	v_accvgpr_read_b32 v0, a173
	s_waitcnt lgkmcnt(0)
	; wave barrier
	buffer_load_dword v2, v0, s[0:3], 0 offen
	buffer_load_dword v3, v0, s[0:3], 0 offen offset:4
	buffer_load_dword v4, v0, s[0:3], 0 offen offset:8
	buffer_load_dword v5, v0, s[0:3], 0 offen offset:12
	v_cmp_gt_u32_e32 vcc, 9, v226
	s_waitcnt vmcnt(0)
	ds_write_b128 v6, v[2:5]
	s_waitcnt lgkmcnt(0)
	; wave barrier
	s_waitcnt lgkmcnt(0)
	s_and_saveexec_b64 s[4:5], vcc
	s_cbranch_execz .LBB124_63
; %bb.60:
	v_pk_mov_b32 v[2:3], 0, 0
	v_add_u32_e32 v8, -1, v226
	v_add_u32_e32 v9, 0x3d0, v1
	v_add_u32_e32 v10, 16, v1
	s_mov_b64 s[6:7], 0
	v_pk_mov_b32 v[4:5], v[2:3], v[2:3] op_sel:[0,1]
.LBB124_61:                             ; =>This Inner Loop Header: Depth=1
	buffer_load_dword v16, v10, s[0:3], 0 offen offset:8
	buffer_load_dword v17, v10, s[0:3], 0 offen offset:12
	buffer_load_dword v18, v10, s[0:3], 0 offen
	buffer_load_dword v19, v10, s[0:3], 0 offen offset:4
	ds_read_b128 v[12:15], v9
	v_add_u32_e32 v8, 1, v8
	v_cmp_lt_u32_e32 vcc, 7, v8
	v_add_u32_e32 v9, 16, v9
	v_add_u32_e32 v10, 16, v10
	s_or_b64 s[6:7], vcc, s[6:7]
	s_waitcnt vmcnt(2) lgkmcnt(0)
	v_mul_f64 v[20:21], v[14:15], v[16:17]
	v_mul_f64 v[16:17], v[12:13], v[16:17]
	s_waitcnt vmcnt(0)
	v_fma_f64 v[12:13], v[12:13], v[18:19], -v[20:21]
	v_fmac_f64_e32 v[16:17], v[14:15], v[18:19]
	v_add_f64 v[4:5], v[4:5], v[12:13]
	v_add_f64 v[2:3], v[2:3], v[16:17]
	s_andn2_b64 exec, exec, s[6:7]
	s_cbranch_execnz .LBB124_61
; %bb.62:
	s_or_b64 exec, exec, s[6:7]
	v_mov_b32_e32 v0, 0
	ds_read_b128 v[8:11], v0 offset:144
	s_waitcnt lgkmcnt(0)
	v_mul_f64 v[12:13], v[2:3], v[10:11]
	v_mul_f64 v[10:11], v[4:5], v[10:11]
	v_fma_f64 v[4:5], v[4:5], v[8:9], -v[12:13]
	v_fmac_f64_e32 v[10:11], v[2:3], v[8:9]
	buffer_store_dword v5, off, s[0:3], 0 offset:164
	buffer_store_dword v4, off, s[0:3], 0 offset:160
	buffer_store_dword v11, off, s[0:3], 0 offset:172
	buffer_store_dword v10, off, s[0:3], 0 offset:168
.LBB124_63:
	s_or_b64 exec, exec, s[4:5]
	v_accvgpr_read_b32 v0, a172
	s_waitcnt lgkmcnt(0)
	; wave barrier
	buffer_load_dword v2, v0, s[0:3], 0 offen
	buffer_load_dword v3, v0, s[0:3], 0 offen offset:4
	buffer_load_dword v4, v0, s[0:3], 0 offen offset:8
	buffer_load_dword v5, v0, s[0:3], 0 offen offset:12
	v_cmp_gt_u32_e32 vcc, 10, v226
	s_waitcnt vmcnt(0)
	ds_write_b128 v6, v[2:5]
	s_waitcnt lgkmcnt(0)
	; wave barrier
	s_waitcnt lgkmcnt(0)
	s_and_saveexec_b64 s[4:5], vcc
	s_cbranch_execz .LBB124_67
; %bb.64:
	v_pk_mov_b32 v[2:3], 0, 0
	v_add_u32_e32 v8, -1, v226
	v_add_u32_e32 v9, 0x3d0, v1
	v_add_u32_e32 v10, 16, v1
	s_mov_b64 s[6:7], 0
	v_pk_mov_b32 v[4:5], v[2:3], v[2:3] op_sel:[0,1]
.LBB124_65:                             ; =>This Inner Loop Header: Depth=1
	buffer_load_dword v16, v10, s[0:3], 0 offen offset:8
	buffer_load_dword v17, v10, s[0:3], 0 offen offset:12
	buffer_load_dword v18, v10, s[0:3], 0 offen
	buffer_load_dword v19, v10, s[0:3], 0 offen offset:4
	ds_read_b128 v[12:15], v9
	v_add_u32_e32 v8, 1, v8
	v_cmp_lt_u32_e32 vcc, 8, v8
	v_add_u32_e32 v9, 16, v9
	v_add_u32_e32 v10, 16, v10
	s_or_b64 s[6:7], vcc, s[6:7]
	s_waitcnt vmcnt(2) lgkmcnt(0)
	v_mul_f64 v[20:21], v[14:15], v[16:17]
	v_mul_f64 v[16:17], v[12:13], v[16:17]
	s_waitcnt vmcnt(0)
	v_fma_f64 v[12:13], v[12:13], v[18:19], -v[20:21]
	v_fmac_f64_e32 v[16:17], v[14:15], v[18:19]
	v_add_f64 v[4:5], v[4:5], v[12:13]
	v_add_f64 v[2:3], v[2:3], v[16:17]
	s_andn2_b64 exec, exec, s[6:7]
	s_cbranch_execnz .LBB124_65
; %bb.66:
	s_or_b64 exec, exec, s[6:7]
	v_mov_b32_e32 v0, 0
	ds_read_b128 v[8:11], v0 offset:160
	s_waitcnt lgkmcnt(0)
	v_mul_f64 v[12:13], v[2:3], v[10:11]
	v_mul_f64 v[10:11], v[4:5], v[10:11]
	v_fma_f64 v[4:5], v[4:5], v[8:9], -v[12:13]
	v_fmac_f64_e32 v[10:11], v[2:3], v[8:9]
	buffer_store_dword v5, off, s[0:3], 0 offset:180
	buffer_store_dword v4, off, s[0:3], 0 offset:176
	buffer_store_dword v11, off, s[0:3], 0 offset:188
	buffer_store_dword v10, off, s[0:3], 0 offset:184
.LBB124_67:
	;; [unrolled: 58-line block ×10, first 2 shown]
	s_or_b64 exec, exec, s[4:5]
	v_accvgpr_read_b32 v0, a163
	s_waitcnt lgkmcnt(0)
	; wave barrier
	buffer_load_dword v2, v0, s[0:3], 0 offen
	buffer_load_dword v3, v0, s[0:3], 0 offen offset:4
	buffer_load_dword v4, v0, s[0:3], 0 offen offset:8
	buffer_load_dword v5, v0, s[0:3], 0 offen offset:12
	v_cmp_gt_u32_e32 vcc, 19, v226
	s_waitcnt vmcnt(0)
	ds_write_b128 v6, v[2:5]
	s_waitcnt lgkmcnt(0)
	; wave barrier
	s_waitcnt lgkmcnt(0)
	s_and_saveexec_b64 s[4:5], vcc
	s_cbranch_execz .LBB124_103
; %bb.100:
	v_pk_mov_b32 v[2:3], 0, 0
	v_add_u32_e32 v8, -1, v226
	v_add_u32_e32 v9, 0x3d0, v1
	v_add_u32_e32 v10, 16, v1
	s_mov_b64 s[6:7], 0
	v_pk_mov_b32 v[4:5], v[2:3], v[2:3] op_sel:[0,1]
.LBB124_101:                            ; =>This Inner Loop Header: Depth=1
	buffer_load_dword v16, v10, s[0:3], 0 offen offset:8
	buffer_load_dword v17, v10, s[0:3], 0 offen offset:12
	buffer_load_dword v18, v10, s[0:3], 0 offen
	buffer_load_dword v19, v10, s[0:3], 0 offen offset:4
	ds_read_b128 v[12:15], v9
	v_add_u32_e32 v8, 1, v8
	v_cmp_lt_u32_e32 vcc, 17, v8
	v_add_u32_e32 v9, 16, v9
	v_add_u32_e32 v10, 16, v10
	s_or_b64 s[6:7], vcc, s[6:7]
	s_waitcnt vmcnt(2) lgkmcnt(0)
	v_mul_f64 v[20:21], v[14:15], v[16:17]
	v_mul_f64 v[16:17], v[12:13], v[16:17]
	s_waitcnt vmcnt(0)
	v_fma_f64 v[12:13], v[12:13], v[18:19], -v[20:21]
	v_fmac_f64_e32 v[16:17], v[14:15], v[18:19]
	v_add_f64 v[4:5], v[4:5], v[12:13]
	v_add_f64 v[2:3], v[2:3], v[16:17]
	s_andn2_b64 exec, exec, s[6:7]
	s_cbranch_execnz .LBB124_101
; %bb.102:
	s_or_b64 exec, exec, s[6:7]
	v_mov_b32_e32 v0, 0
	ds_read_b128 v[8:11], v0 offset:304
	s_waitcnt lgkmcnt(0)
	v_mul_f64 v[12:13], v[2:3], v[10:11]
	v_mul_f64 v[10:11], v[4:5], v[10:11]
	v_fma_f64 v[4:5], v[4:5], v[8:9], -v[12:13]
	v_fmac_f64_e32 v[10:11], v[2:3], v[8:9]
	buffer_store_dword v5, off, s[0:3], 0 offset:324
	buffer_store_dword v4, off, s[0:3], 0 offset:320
	buffer_store_dword v11, off, s[0:3], 0 offset:332
	buffer_store_dword v10, off, s[0:3], 0 offset:328
.LBB124_103:
	s_or_b64 exec, exec, s[4:5]
	v_accvgpr_read_b32 v0, a162
	s_waitcnt lgkmcnt(0)
	; wave barrier
	buffer_load_dword v2, v0, s[0:3], 0 offen
	buffer_load_dword v3, v0, s[0:3], 0 offen offset:4
	buffer_load_dword v4, v0, s[0:3], 0 offen offset:8
	buffer_load_dword v5, v0, s[0:3], 0 offen offset:12
	v_cmp_gt_u32_e32 vcc, 20, v226
	s_waitcnt vmcnt(0)
	ds_write_b128 v6, v[2:5]
	s_waitcnt lgkmcnt(0)
	; wave barrier
	s_waitcnt lgkmcnt(0)
	s_and_saveexec_b64 s[4:5], vcc
	s_cbranch_execz .LBB124_107
; %bb.104:
	v_pk_mov_b32 v[2:3], 0, 0
	v_add_u32_e32 v8, -1, v226
	v_add_u32_e32 v9, 0x3d0, v1
	v_add_u32_e32 v10, 16, v1
	s_mov_b64 s[6:7], 0
	v_pk_mov_b32 v[4:5], v[2:3], v[2:3] op_sel:[0,1]
.LBB124_105:                            ; =>This Inner Loop Header: Depth=1
	buffer_load_dword v16, v10, s[0:3], 0 offen offset:8
	buffer_load_dword v17, v10, s[0:3], 0 offen offset:12
	buffer_load_dword v18, v10, s[0:3], 0 offen
	buffer_load_dword v19, v10, s[0:3], 0 offen offset:4
	ds_read_b128 v[12:15], v9
	v_add_u32_e32 v8, 1, v8
	v_cmp_lt_u32_e32 vcc, 18, v8
	v_add_u32_e32 v9, 16, v9
	v_add_u32_e32 v10, 16, v10
	s_or_b64 s[6:7], vcc, s[6:7]
	s_waitcnt vmcnt(2) lgkmcnt(0)
	v_mul_f64 v[20:21], v[14:15], v[16:17]
	v_mul_f64 v[16:17], v[12:13], v[16:17]
	s_waitcnt vmcnt(0)
	v_fma_f64 v[12:13], v[12:13], v[18:19], -v[20:21]
	v_fmac_f64_e32 v[16:17], v[14:15], v[18:19]
	v_add_f64 v[4:5], v[4:5], v[12:13]
	v_add_f64 v[2:3], v[2:3], v[16:17]
	s_andn2_b64 exec, exec, s[6:7]
	s_cbranch_execnz .LBB124_105
; %bb.106:
	s_or_b64 exec, exec, s[6:7]
	v_mov_b32_e32 v0, 0
	ds_read_b128 v[8:11], v0 offset:320
	s_waitcnt lgkmcnt(0)
	v_mul_f64 v[12:13], v[2:3], v[10:11]
	v_mul_f64 v[10:11], v[4:5], v[10:11]
	v_fma_f64 v[4:5], v[4:5], v[8:9], -v[12:13]
	v_fmac_f64_e32 v[10:11], v[2:3], v[8:9]
	buffer_store_dword v5, off, s[0:3], 0 offset:340
	buffer_store_dword v4, off, s[0:3], 0 offset:336
	buffer_store_dword v11, off, s[0:3], 0 offset:348
	buffer_store_dword v10, off, s[0:3], 0 offset:344
.LBB124_107:
	;; [unrolled: 58-line block ×41, first 2 shown]
	s_or_b64 exec, exec, s[4:5]
	v_accvgpr_read_b32 v0, a122
	s_waitcnt lgkmcnt(0)
	; wave barrier
	buffer_load_dword v2, v0, s[0:3], 0 offen
	buffer_load_dword v3, v0, s[0:3], 0 offen offset:4
	buffer_load_dword v4, v0, s[0:3], 0 offen offset:8
	;; [unrolled: 1-line block ×3, first 2 shown]
	v_cmp_ne_u32_e32 vcc, 60, v226
	s_waitcnt vmcnt(0)
	ds_write_b128 v6, v[2:5]
	s_waitcnt lgkmcnt(0)
	; wave barrier
	s_waitcnt lgkmcnt(0)
	s_and_saveexec_b64 s[4:5], vcc
	s_cbranch_execz .LBB124_267
; %bb.264:
	v_pk_mov_b32 v[2:3], 0, 0
	v_add_u32_e32 v6, 0x3d0, v1
	v_add_u32_e32 v1, 16, v1
	s_mov_b64 s[6:7], 0
	v_pk_mov_b32 v[4:5], v[2:3], v[2:3] op_sel:[0,1]
.LBB124_265:                            ; =>This Inner Loop Header: Depth=1
	buffer_load_dword v12, v1, s[0:3], 0 offen offset:8
	buffer_load_dword v13, v1, s[0:3], 0 offen offset:12
	buffer_load_dword v14, v1, s[0:3], 0 offen
	buffer_load_dword v15, v1, s[0:3], 0 offen offset:4
	ds_read_b128 v[8:11], v6
	v_add_u32_e32 v7, 1, v7
	v_cmp_lt_u32_e32 vcc, 58, v7
	v_add_u32_e32 v6, 16, v6
	v_add_u32_e32 v1, 16, v1
	s_or_b64 s[6:7], vcc, s[6:7]
	s_waitcnt vmcnt(2) lgkmcnt(0)
	v_mul_f64 v[16:17], v[10:11], v[12:13]
	v_mul_f64 v[12:13], v[8:9], v[12:13]
	s_waitcnt vmcnt(0)
	v_fma_f64 v[8:9], v[8:9], v[14:15], -v[16:17]
	v_fmac_f64_e32 v[12:13], v[10:11], v[14:15]
	v_add_f64 v[4:5], v[4:5], v[8:9]
	v_add_f64 v[2:3], v[2:3], v[12:13]
	s_andn2_b64 exec, exec, s[6:7]
	s_cbranch_execnz .LBB124_265
; %bb.266:
	s_or_b64 exec, exec, s[6:7]
	v_mov_b32_e32 v0, 0
	ds_read_b128 v[6:9], v0 offset:960
	s_waitcnt lgkmcnt(0)
	v_mul_f64 v[0:1], v[2:3], v[8:9]
	v_mul_f64 v[8:9], v[4:5], v[8:9]
	v_fma_f64 v[0:1], v[4:5], v[6:7], -v[0:1]
	v_fmac_f64_e32 v[8:9], v[2:3], v[6:7]
	buffer_store_dword v1, off, s[0:3], 0 offset:980
	buffer_store_dword v0, off, s[0:3], 0 offset:976
	;; [unrolled: 1-line block ×4, first 2 shown]
.LBB124_267:
	s_or_b64 exec, exec, s[4:5]
	s_mov_b64 s[6:7], -1
	s_waitcnt lgkmcnt(0)
	; wave barrier
.LBB124_268:
	s_and_b64 vcc, exec, s[6:7]
	s_cbranch_vccz .LBB124_270
; %bb.269:
	s_lshl_b64 s[4:5], s[8:9], 2
	s_add_u32 s4, s14, s4
	s_addc_u32 s5, s15, s5
	v_mov_b32_e32 v0, 0
	global_load_dword v0, v0, s[4:5]
	s_waitcnt vmcnt(0)
	v_cmp_ne_u32_e32 vcc, 0, v0
	s_cbranch_vccz .LBB124_271
.LBB124_270:
	s_endpgm
.LBB124_271:
	v_mov_b32_e32 v0, 0x3d0
	v_lshl_add_u32 v0, v226, 4, v0
	v_accvgpr_write_b32 a183, v0
	v_cmp_eq_u32_e32 vcc, 60, v226
	s_and_saveexec_b64 s[4:5], vcc
	s_cbranch_execz .LBB124_273
; %bb.272:
	v_accvgpr_read_b32 v0, a123
	buffer_load_dword v2, v0, s[0:3], 0 offen
	buffer_load_dword v3, v0, s[0:3], 0 offen offset:4
	buffer_load_dword v4, v0, s[0:3], 0 offen offset:8
	;; [unrolled: 1-line block ×3, first 2 shown]
	v_mov_b32_e32 v0, 0
	v_accvgpr_read_b32 v1, a183
	buffer_store_dword v0, off, s[0:3], 0 offset:960
	buffer_store_dword v0, off, s[0:3], 0 offset:964
	;; [unrolled: 1-line block ×4, first 2 shown]
	s_waitcnt vmcnt(4)
	ds_write_b128 v1, v[2:5]
.LBB124_273:
	s_or_b64 exec, exec, s[4:5]
	s_waitcnt lgkmcnt(0)
	; wave barrier
	s_waitcnt lgkmcnt(0)
	buffer_load_dword v0, off, s[0:3], 0 offset:984
	buffer_load_dword v1, off, s[0:3], 0 offset:988
	;; [unrolled: 1-line block ×8, first 2 shown]
	v_mov_b32_e32 v2, 0
	ds_read_b128 v[4:7], v2 offset:1936
	v_cmp_lt_u32_e32 vcc, 58, v226
	s_waitcnt vmcnt(6) lgkmcnt(0)
	v_mul_f64 v[14:15], v[4:5], v[0:1]
	v_mul_f64 v[0:1], v[6:7], v[0:1]
	s_waitcnt vmcnt(4)
	v_fma_f64 v[0:1], v[4:5], v[8:9], -v[0:1]
	v_fmac_f64_e32 v[14:15], v[6:7], v[8:9]
	v_add_f64 v[0:1], v[0:1], 0
	v_add_f64 v[4:5], v[14:15], 0
	s_waitcnt vmcnt(2)
	v_add_f64 v[0:1], v[10:11], -v[0:1]
	s_waitcnt vmcnt(0)
	v_add_f64 v[4:5], v[12:13], -v[4:5]
	buffer_store_dword v0, off, s[0:3], 0 offset:960
	buffer_store_dword v1, off, s[0:3], 0 offset:964
	buffer_store_dword v4, off, s[0:3], 0 offset:968
	buffer_store_dword v5, off, s[0:3], 0 offset:972
	s_and_saveexec_b64 s[4:5], vcc
	s_cbranch_execz .LBB124_275
; %bb.274:
	v_accvgpr_read_b32 v0, a124
	buffer_load_dword v4, v0, s[0:3], 0 offen
	buffer_load_dword v5, v0, s[0:3], 0 offen offset:4
	buffer_load_dword v6, v0, s[0:3], 0 offen offset:8
	;; [unrolled: 1-line block ×3, first 2 shown]
	v_accvgpr_read_b32 v0, a183
	buffer_store_dword v2, off, s[0:3], 0 offset:944
	buffer_store_dword v2, off, s[0:3], 0 offset:948
	buffer_store_dword v2, off, s[0:3], 0 offset:952
	buffer_store_dword v2, off, s[0:3], 0 offset:956
	s_waitcnt vmcnt(4)
	ds_write_b128 v0, v[4:7]
.LBB124_275:
	s_or_b64 exec, exec, s[4:5]
	s_waitcnt lgkmcnt(0)
	; wave barrier
	s_waitcnt lgkmcnt(0)
	buffer_load_dword v0, off, s[0:3], 0 offset:968
	buffer_load_dword v1, off, s[0:3], 0 offset:972
	;; [unrolled: 1-line block ×12, first 2 shown]
	ds_read_b128 v[4:7], v2 offset:1920
	ds_read_b128 v[8:11], v2 offset:1936
	v_cmp_lt_u32_e32 vcc, 57, v226
	s_waitcnt vmcnt(10) lgkmcnt(1)
	v_mul_f64 v[2:3], v[4:5], v[0:1]
	v_mul_f64 v[0:1], v[6:7], v[0:1]
	s_waitcnt vmcnt(8) lgkmcnt(0)
	v_mul_f64 v[22:23], v[8:9], v[12:13]
	v_mul_f64 v[12:13], v[10:11], v[12:13]
	s_waitcnt vmcnt(6)
	v_fma_f64 v[0:1], v[4:5], v[14:15], -v[0:1]
	v_fmac_f64_e32 v[2:3], v[6:7], v[14:15]
	s_waitcnt vmcnt(4)
	v_fma_f64 v[4:5], v[8:9], v[16:17], -v[12:13]
	v_add_f64 v[0:1], v[0:1], 0
	v_fmac_f64_e32 v[22:23], v[10:11], v[16:17]
	v_add_f64 v[2:3], v[2:3], 0
	v_add_f64 v[0:1], v[0:1], v[4:5]
	;; [unrolled: 1-line block ×3, first 2 shown]
	s_waitcnt vmcnt(2)
	v_add_f64 v[0:1], v[18:19], -v[0:1]
	s_waitcnt vmcnt(0)
	v_add_f64 v[2:3], v[20:21], -v[2:3]
	buffer_store_dword v0, off, s[0:3], 0 offset:944
	buffer_store_dword v1, off, s[0:3], 0 offset:948
	;; [unrolled: 1-line block ×4, first 2 shown]
	s_and_saveexec_b64 s[4:5], vcc
	s_cbranch_execz .LBB124_277
; %bb.276:
	v_accvgpr_read_b32 v0, a125
	buffer_load_dword v2, v0, s[0:3], 0 offen
	buffer_load_dword v3, v0, s[0:3], 0 offen offset:4
	buffer_load_dword v4, v0, s[0:3], 0 offen offset:8
	buffer_load_dword v5, v0, s[0:3], 0 offen offset:12
	v_mov_b32_e32 v0, 0
	v_accvgpr_read_b32 v1, a183
	buffer_store_dword v0, off, s[0:3], 0 offset:928
	buffer_store_dword v0, off, s[0:3], 0 offset:932
	;; [unrolled: 1-line block ×4, first 2 shown]
	s_waitcnt vmcnt(4)
	ds_write_b128 v1, v[2:5]
.LBB124_277:
	s_or_b64 exec, exec, s[4:5]
	s_waitcnt lgkmcnt(0)
	; wave barrier
	s_waitcnt lgkmcnt(0)
	buffer_load_dword v0, off, s[0:3], 0 offset:952
	buffer_load_dword v1, off, s[0:3], 0 offset:956
	buffer_load_dword v16, off, s[0:3], 0 offset:968
	buffer_load_dword v17, off, s[0:3], 0 offset:972
	buffer_load_dword v18, off, s[0:3], 0 offset:984
	buffer_load_dword v19, off, s[0:3], 0 offset:988
	buffer_load_dword v20, off, s[0:3], 0 offset:944
	buffer_load_dword v21, off, s[0:3], 0 offset:948
	buffer_load_dword v22, off, s[0:3], 0 offset:960
	buffer_load_dword v23, off, s[0:3], 0 offset:964
	buffer_load_dword v24, off, s[0:3], 0 offset:976
	buffer_load_dword v25, off, s[0:3], 0 offset:980
	buffer_load_dword v26, off, s[0:3], 0 offset:928
	buffer_load_dword v27, off, s[0:3], 0 offset:932
	buffer_load_dword v28, off, s[0:3], 0 offset:936
	buffer_load_dword v29, off, s[0:3], 0 offset:940
	v_mov_b32_e32 v2, 0
	ds_read_b128 v[4:7], v2 offset:1904
	ds_read_b128 v[8:11], v2 offset:1920
	;; [unrolled: 1-line block ×3, first 2 shown]
	v_cmp_lt_u32_e32 vcc, 56, v226
	s_waitcnt vmcnt(14) lgkmcnt(2)
	v_mul_f64 v[30:31], v[4:5], v[0:1]
	v_mul_f64 v[0:1], v[6:7], v[0:1]
	s_waitcnt vmcnt(12) lgkmcnt(1)
	v_mul_f64 v[32:33], v[8:9], v[16:17]
	v_mul_f64 v[16:17], v[10:11], v[16:17]
	s_waitcnt vmcnt(10) lgkmcnt(0)
	v_mul_f64 v[34:35], v[12:13], v[18:19]
	v_mul_f64 v[18:19], v[14:15], v[18:19]
	s_waitcnt vmcnt(8)
	v_fma_f64 v[0:1], v[4:5], v[20:21], -v[0:1]
	v_fmac_f64_e32 v[30:31], v[6:7], v[20:21]
	s_waitcnt vmcnt(6)
	v_fma_f64 v[4:5], v[8:9], v[22:23], -v[16:17]
	v_add_f64 v[0:1], v[0:1], 0
	v_fmac_f64_e32 v[32:33], v[10:11], v[22:23]
	s_waitcnt vmcnt(4)
	v_fma_f64 v[6:7], v[12:13], v[24:25], -v[18:19]
	v_add_f64 v[8:9], v[30:31], 0
	v_add_f64 v[0:1], v[0:1], v[4:5]
	v_fmac_f64_e32 v[34:35], v[14:15], v[24:25]
	v_add_f64 v[8:9], v[8:9], v[32:33]
	v_add_f64 v[0:1], v[0:1], v[6:7]
	v_add_f64 v[4:5], v[8:9], v[34:35]
	s_waitcnt vmcnt(2)
	v_add_f64 v[0:1], v[26:27], -v[0:1]
	s_waitcnt vmcnt(0)
	v_add_f64 v[4:5], v[28:29], -v[4:5]
	buffer_store_dword v0, off, s[0:3], 0 offset:928
	buffer_store_dword v1, off, s[0:3], 0 offset:932
	;; [unrolled: 1-line block ×4, first 2 shown]
	s_and_saveexec_b64 s[4:5], vcc
	s_cbranch_execz .LBB124_279
; %bb.278:
	v_accvgpr_read_b32 v0, a126
	buffer_load_dword v4, v0, s[0:3], 0 offen
	buffer_load_dword v5, v0, s[0:3], 0 offen offset:4
	buffer_load_dword v6, v0, s[0:3], 0 offen offset:8
	;; [unrolled: 1-line block ×3, first 2 shown]
	v_accvgpr_read_b32 v0, a183
	buffer_store_dword v2, off, s[0:3], 0 offset:912
	buffer_store_dword v2, off, s[0:3], 0 offset:916
	;; [unrolled: 1-line block ×4, first 2 shown]
	s_waitcnt vmcnt(4)
	ds_write_b128 v0, v[4:7]
.LBB124_279:
	s_or_b64 exec, exec, s[4:5]
	s_waitcnt lgkmcnt(0)
	; wave barrier
	s_waitcnt lgkmcnt(0)
	buffer_load_dword v0, off, s[0:3], 0 offset:936
	buffer_load_dword v1, off, s[0:3], 0 offset:940
	;; [unrolled: 1-line block ×20, first 2 shown]
	ds_read_b128 v[4:7], v2 offset:1888
	ds_read_b128 v[8:11], v2 offset:1904
	;; [unrolled: 1-line block ×4, first 2 shown]
	v_cmp_lt_u32_e32 vcc, 55, v226
	s_waitcnt vmcnt(18) lgkmcnt(3)
	v_mul_f64 v[2:3], v[4:5], v[0:1]
	v_mul_f64 v[0:1], v[6:7], v[0:1]
	s_waitcnt vmcnt(16) lgkmcnt(2)
	v_mul_f64 v[38:39], v[8:9], v[20:21]
	v_mul_f64 v[20:21], v[10:11], v[20:21]
	;; [unrolled: 3-line block ×4, first 2 shown]
	s_waitcnt vmcnt(10)
	v_fma_f64 v[0:1], v[4:5], v[26:27], -v[0:1]
	v_fmac_f64_e32 v[2:3], v[6:7], v[26:27]
	s_waitcnt vmcnt(8)
	v_fma_f64 v[4:5], v[8:9], v[28:29], -v[20:21]
	v_add_f64 v[0:1], v[0:1], 0
	v_fmac_f64_e32 v[38:39], v[10:11], v[28:29]
	s_waitcnt vmcnt(6)
	v_fma_f64 v[6:7], v[12:13], v[30:31], -v[22:23]
	v_add_f64 v[2:3], v[2:3], 0
	v_add_f64 v[0:1], v[0:1], v[4:5]
	v_fmac_f64_e32 v[40:41], v[14:15], v[30:31]
	s_waitcnt vmcnt(4)
	v_fma_f64 v[8:9], v[16:17], v[32:33], -v[24:25]
	v_add_f64 v[2:3], v[2:3], v[38:39]
	v_add_f64 v[0:1], v[0:1], v[6:7]
	v_fmac_f64_e32 v[42:43], v[18:19], v[32:33]
	v_add_f64 v[2:3], v[2:3], v[40:41]
	v_add_f64 v[0:1], v[0:1], v[8:9]
	;; [unrolled: 1-line block ×3, first 2 shown]
	s_waitcnt vmcnt(2)
	v_add_f64 v[0:1], v[34:35], -v[0:1]
	s_waitcnt vmcnt(0)
	v_add_f64 v[2:3], v[36:37], -v[2:3]
	buffer_store_dword v0, off, s[0:3], 0 offset:912
	buffer_store_dword v1, off, s[0:3], 0 offset:916
	;; [unrolled: 1-line block ×4, first 2 shown]
	s_and_saveexec_b64 s[4:5], vcc
	s_cbranch_execz .LBB124_281
; %bb.280:
	v_accvgpr_read_b32 v0, a127
	buffer_load_dword v2, v0, s[0:3], 0 offen
	buffer_load_dword v3, v0, s[0:3], 0 offen offset:4
	buffer_load_dword v4, v0, s[0:3], 0 offen offset:8
	;; [unrolled: 1-line block ×3, first 2 shown]
	v_mov_b32_e32 v0, 0
	v_accvgpr_read_b32 v1, a183
	buffer_store_dword v0, off, s[0:3], 0 offset:896
	buffer_store_dword v0, off, s[0:3], 0 offset:900
	;; [unrolled: 1-line block ×4, first 2 shown]
	s_waitcnt vmcnt(4)
	ds_write_b128 v1, v[2:5]
.LBB124_281:
	s_or_b64 exec, exec, s[4:5]
	s_waitcnt lgkmcnt(0)
	; wave barrier
	s_waitcnt lgkmcnt(0)
	buffer_load_dword v0, off, s[0:3], 0 offset:920
	buffer_load_dword v1, off, s[0:3], 0 offset:924
	buffer_load_dword v24, off, s[0:3], 0 offset:936
	buffer_load_dword v25, off, s[0:3], 0 offset:940
	buffer_load_dword v26, off, s[0:3], 0 offset:952
	buffer_load_dword v27, off, s[0:3], 0 offset:956
	buffer_load_dword v28, off, s[0:3], 0 offset:984
	buffer_load_dword v30, off, s[0:3], 0 offset:976
	buffer_load_dword v33, off, s[0:3], 0 offset:972
	buffer_load_dword v32, off, s[0:3], 0 offset:968
	buffer_load_dword v29, off, s[0:3], 0 offset:988
	buffer_load_dword v34, off, s[0:3], 0 offset:912
	buffer_load_dword v35, off, s[0:3], 0 offset:916
	buffer_load_dword v36, off, s[0:3], 0 offset:928
	buffer_load_dword v37, off, s[0:3], 0 offset:932
	buffer_load_dword v38, off, s[0:3], 0 offset:944
	buffer_load_dword v39, off, s[0:3], 0 offset:948
	buffer_load_dword v41, off, s[0:3], 0 offset:964
	buffer_load_dword v40, off, s[0:3], 0 offset:960
	buffer_load_dword v31, off, s[0:3], 0 offset:980
	buffer_load_dword v42, off, s[0:3], 0 offset:896
	buffer_load_dword v43, off, s[0:3], 0 offset:900
	buffer_load_dword v44, off, s[0:3], 0 offset:904
	buffer_load_dword v45, off, s[0:3], 0 offset:908
	v_mov_b32_e32 v2, 0
	ds_read_b128 v[4:7], v2 offset:1872
	ds_read_b128 v[8:11], v2 offset:1888
	;; [unrolled: 1-line block ×5, first 2 shown]
	v_cmp_lt_u32_e32 vcc, 54, v226
	s_waitcnt vmcnt(22) lgkmcnt(4)
	v_mul_f64 v[46:47], v[4:5], v[0:1]
	v_mul_f64 v[0:1], v[6:7], v[0:1]
	s_waitcnt vmcnt(20) lgkmcnt(3)
	v_mul_f64 v[48:49], v[8:9], v[24:25]
	v_mul_f64 v[24:25], v[10:11], v[24:25]
	;; [unrolled: 3-line block ×4, first 2 shown]
	s_waitcnt vmcnt(13) lgkmcnt(0)
	v_mul_f64 v[54:55], v[20:21], v[28:29]
	s_waitcnt vmcnt(11)
	v_fma_f64 v[0:1], v[4:5], v[34:35], -v[0:1]
	v_fmac_f64_e32 v[46:47], v[6:7], v[34:35]
	s_waitcnt vmcnt(9)
	v_fma_f64 v[4:5], v[8:9], v[36:37], -v[24:25]
	v_add_f64 v[0:1], v[0:1], 0
	v_fmac_f64_e32 v[48:49], v[10:11], v[36:37]
	s_waitcnt vmcnt(7)
	v_fma_f64 v[6:7], v[12:13], v[38:39], -v[26:27]
	v_add_f64 v[12:13], v[46:47], 0
	v_add_f64 v[0:1], v[0:1], v[4:5]
	v_mul_f64 v[28:29], v[22:23], v[28:29]
	v_fmac_f64_e32 v[50:51], v[14:15], v[38:39]
	s_waitcnt vmcnt(5)
	v_fma_f64 v[8:9], v[16:17], v[40:41], -v[32:33]
	v_add_f64 v[12:13], v[12:13], v[48:49]
	v_add_f64 v[0:1], v[0:1], v[6:7]
	v_fmac_f64_e32 v[52:53], v[18:19], v[40:41]
	s_waitcnt vmcnt(4)
	v_fma_f64 v[10:11], v[20:21], v[30:31], -v[28:29]
	v_add_f64 v[4:5], v[12:13], v[50:51]
	v_add_f64 v[0:1], v[0:1], v[8:9]
	v_fmac_f64_e32 v[54:55], v[22:23], v[30:31]
	v_add_f64 v[4:5], v[4:5], v[52:53]
	v_add_f64 v[0:1], v[0:1], v[10:11]
	;; [unrolled: 1-line block ×3, first 2 shown]
	s_waitcnt vmcnt(2)
	v_add_f64 v[0:1], v[42:43], -v[0:1]
	s_waitcnt vmcnt(0)
	v_add_f64 v[4:5], v[44:45], -v[4:5]
	buffer_store_dword v1, off, s[0:3], 0 offset:900
	buffer_store_dword v0, off, s[0:3], 0 offset:896
	;; [unrolled: 1-line block ×4, first 2 shown]
	s_and_saveexec_b64 s[4:5], vcc
	s_cbranch_execz .LBB124_283
; %bb.282:
	v_accvgpr_read_b32 v0, a128
	buffer_load_dword v4, v0, s[0:3], 0 offen
	buffer_load_dword v5, v0, s[0:3], 0 offen offset:4
	buffer_load_dword v6, v0, s[0:3], 0 offen offset:8
	;; [unrolled: 1-line block ×3, first 2 shown]
	v_accvgpr_read_b32 v0, a183
	buffer_store_dword v2, off, s[0:3], 0 offset:880
	buffer_store_dword v2, off, s[0:3], 0 offset:884
	;; [unrolled: 1-line block ×4, first 2 shown]
	s_waitcnt vmcnt(4)
	ds_write_b128 v0, v[4:7]
.LBB124_283:
	s_or_b64 exec, exec, s[4:5]
	s_waitcnt lgkmcnt(0)
	; wave barrier
	s_waitcnt lgkmcnt(0)
	buffer_load_dword v0, off, s[0:3], 0 offset:904
	buffer_load_dword v1, off, s[0:3], 0 offset:908
	;; [unrolled: 1-line block ×28, first 2 shown]
	ds_read_b128 v[4:7], v2 offset:1856
	ds_read_b128 v[8:11], v2 offset:1872
	;; [unrolled: 1-line block ×6, first 2 shown]
	v_cmp_lt_u32_e32 vcc, 53, v226
	s_waitcnt vmcnt(26) lgkmcnt(5)
	v_mul_f64 v[2:3], v[4:5], v[0:1]
	v_mul_f64 v[0:1], v[6:7], v[0:1]
	s_waitcnt vmcnt(24) lgkmcnt(4)
	v_mul_f64 v[54:55], v[8:9], v[28:29]
	v_mul_f64 v[28:29], v[10:11], v[28:29]
	;; [unrolled: 3-line block ×4, first 2 shown]
	s_waitcnt vmcnt(17)
	v_mul_f64 v[58:59], v[16:17], v[36:37]
	v_mul_f64 v[36:37], v[18:19], v[36:37]
	s_waitcnt vmcnt(15) lgkmcnt(0)
	v_mul_f64 v[62:63], v[24:25], v[38:39]
	v_mul_f64 v[38:39], v[26:27], v[38:39]
	s_waitcnt vmcnt(14)
	v_fmac_f64_e32 v[60:61], v[22:23], v[34:35]
	s_waitcnt vmcnt(12)
	v_fma_f64 v[0:1], v[4:5], v[40:41], -v[0:1]
	v_fmac_f64_e32 v[2:3], v[6:7], v[40:41]
	s_waitcnt vmcnt(10)
	v_fma_f64 v[4:5], v[8:9], v[42:43], -v[28:29]
	v_add_f64 v[0:1], v[0:1], 0
	v_fmac_f64_e32 v[54:55], v[10:11], v[42:43]
	s_waitcnt vmcnt(8)
	v_fma_f64 v[6:7], v[12:13], v[44:45], -v[30:31]
	v_add_f64 v[2:3], v[2:3], 0
	v_add_f64 v[0:1], v[0:1], v[4:5]
	v_fmac_f64_e32 v[56:57], v[14:15], v[44:45]
	s_waitcnt vmcnt(6)
	v_fma_f64 v[8:9], v[16:17], v[46:47], -v[36:37]
	v_add_f64 v[2:3], v[2:3], v[54:55]
	v_add_f64 v[0:1], v[0:1], v[6:7]
	v_fmac_f64_e32 v[58:59], v[18:19], v[46:47]
	v_fma_f64 v[10:11], v[20:21], v[34:35], -v[32:33]
	v_add_f64 v[2:3], v[2:3], v[56:57]
	v_add_f64 v[0:1], v[0:1], v[8:9]
	s_waitcnt vmcnt(4)
	v_fma_f64 v[12:13], v[24:25], v[48:49], -v[38:39]
	v_add_f64 v[2:3], v[2:3], v[58:59]
	v_add_f64 v[0:1], v[0:1], v[10:11]
	v_fmac_f64_e32 v[62:63], v[26:27], v[48:49]
	v_add_f64 v[2:3], v[2:3], v[60:61]
	v_add_f64 v[0:1], v[0:1], v[12:13]
	;; [unrolled: 1-line block ×3, first 2 shown]
	s_waitcnt vmcnt(2)
	v_add_f64 v[0:1], v[50:51], -v[0:1]
	s_waitcnt vmcnt(0)
	v_add_f64 v[2:3], v[52:53], -v[2:3]
	buffer_store_dword v1, off, s[0:3], 0 offset:884
	buffer_store_dword v0, off, s[0:3], 0 offset:880
	buffer_store_dword v3, off, s[0:3], 0 offset:892
	buffer_store_dword v2, off, s[0:3], 0 offset:888
	s_and_saveexec_b64 s[4:5], vcc
	s_cbranch_execz .LBB124_285
; %bb.284:
	v_accvgpr_read_b32 v0, a129
	buffer_load_dword v2, v0, s[0:3], 0 offen
	buffer_load_dword v3, v0, s[0:3], 0 offen offset:4
	buffer_load_dword v4, v0, s[0:3], 0 offen offset:8
	;; [unrolled: 1-line block ×3, first 2 shown]
	v_mov_b32_e32 v0, 0
	v_accvgpr_read_b32 v1, a183
	buffer_store_dword v0, off, s[0:3], 0 offset:864
	buffer_store_dword v0, off, s[0:3], 0 offset:868
	buffer_store_dword v0, off, s[0:3], 0 offset:872
	buffer_store_dword v0, off, s[0:3], 0 offset:876
	s_waitcnt vmcnt(4)
	ds_write_b128 v1, v[2:5]
.LBB124_285:
	s_or_b64 exec, exec, s[4:5]
	v_mov_b32_e32 v58, 0
	s_waitcnt lgkmcnt(0)
	; wave barrier
	s_waitcnt lgkmcnt(0)
	ds_read_b128 v[14:17], v58 offset:1840
	ds_read_b128 v[10:13], v58 offset:1856
	ds_read_b128 v[6:9], v58 offset:1872
	ds_read_b128 v[2:5], v58 offset:1888
	buffer_load_dword v28, off, s[0:3], 0 offset:864
	buffer_load_dword v29, off, s[0:3], 0 offset:868
	;; [unrolled: 1-line block ×20, first 2 shown]
	v_cmp_lt_u32_e32 vcc, 52, v226
	s_waitcnt vmcnt(12) lgkmcnt(3)
	v_mul_f64 v[0:1], v[14:15], v[36:37]
	v_fmac_f64_e32 v[0:1], v[16:17], v[30:31]
	v_add_f64 v[0:1], v[0:1], 0
	v_mul_f64 v[16:17], v[16:17], v[36:37]
	s_waitcnt vmcnt(8) lgkmcnt(2)
	v_mul_f64 v[18:19], v[10:11], v[38:39]
	v_fmac_f64_e32 v[18:19], v[12:13], v[32:33]
	v_add_f64 v[0:1], v[0:1], v[18:19]
	v_fma_f64 v[14:15], v[14:15], v[30:31], -v[16:17]
	s_waitcnt vmcnt(4) lgkmcnt(1)
	v_mul_f64 v[18:19], v[6:7], v[42:43]
	v_fmac_f64_e32 v[18:19], v[8:9], v[34:35]
	v_add_f64 v[0:1], v[0:1], v[18:19]
	s_waitcnt vmcnt(0) lgkmcnt(0)
	v_mul_f64 v[18:19], v[2:3], v[46:47]
	v_fmac_f64_e32 v[18:19], v[4:5], v[44:45]
	v_add_f64 v[0:1], v[0:1], v[18:19]
	ds_read_b128 v[18:21], v58 offset:1904
	buffer_load_dword v41, off, s[0:3], 0 offset:948
	buffer_load_dword v40, off, s[0:3], 0 offset:944
	;; [unrolled: 1-line block ×4, first 2 shown]
	ds_read_b128 v[50:53], v58 offset:1920
	buffer_load_dword v57, off, s[0:3], 0 offset:964
	buffer_load_dword v56, off, s[0:3], 0 offset:960
	;; [unrolled: 1-line block ×4, first 2 shown]
	v_mul_f64 v[12:13], v[12:13], v[38:39]
	v_add_f64 v[14:15], v[14:15], 0
	v_fma_f64 v[10:11], v[10:11], v[32:33], -v[12:13]
	v_mul_f64 v[8:9], v[8:9], v[42:43]
	v_add_f64 v[10:11], v[14:15], v[10:11]
	v_fma_f64 v[6:7], v[6:7], v[34:35], -v[8:9]
	;; [unrolled: 3-line block ×3, first 2 shown]
	v_add_f64 v[2:3], v[6:7], v[2:3]
	s_waitcnt vmcnt(4) lgkmcnt(1)
	v_mul_f64 v[22:23], v[18:19], v[54:55]
	v_fmac_f64_e32 v[22:23], v[20:21], v[40:41]
	v_add_f64 v[0:1], v[0:1], v[22:23]
	s_waitcnt vmcnt(0) lgkmcnt(0)
	v_mul_f64 v[22:23], v[50:51], v[60:61]
	v_fmac_f64_e32 v[22:23], v[52:53], v[56:57]
	v_add_f64 v[0:1], v[0:1], v[22:23]
	ds_read_b128 v[22:25], v58 offset:1936
	buffer_load_dword v49, off, s[0:3], 0 offset:980
	buffer_load_dword v48, off, s[0:3], 0 offset:976
	;; [unrolled: 1-line block ×4, first 2 shown]
	v_mul_f64 v[4:5], v[20:21], v[54:55]
	v_fma_f64 v[4:5], v[18:19], v[40:41], -v[4:5]
	v_add_f64 v[2:3], v[2:3], v[4:5]
	v_mul_f64 v[4:5], v[52:53], v[60:61]
	v_fma_f64 v[4:5], v[50:51], v[56:57], -v[4:5]
	v_add_f64 v[2:3], v[2:3], v[4:5]
	s_waitcnt vmcnt(0) lgkmcnt(0)
	v_mul_f64 v[4:5], v[24:25], v[62:63]
	v_mul_f64 v[64:65], v[22:23], v[62:63]
	v_fma_f64 v[4:5], v[22:23], v[48:49], -v[4:5]
	v_fmac_f64_e32 v[64:65], v[24:25], v[48:49]
	v_add_f64 v[2:3], v[2:3], v[4:5]
	v_add_f64 v[0:1], v[0:1], v[64:65]
	v_add_f64 v[2:3], v[28:29], -v[2:3]
	v_add_f64 v[0:1], v[26:27], -v[0:1]
	buffer_store_dword v3, off, s[0:3], 0 offset:868
	buffer_store_dword v2, off, s[0:3], 0 offset:864
	buffer_store_dword v1, off, s[0:3], 0 offset:876
	buffer_store_dword v0, off, s[0:3], 0 offset:872
	s_and_saveexec_b64 s[4:5], vcc
	s_cbranch_execz .LBB124_287
; %bb.286:
	v_accvgpr_read_b32 v0, a130
	buffer_load_dword v2, v0, s[0:3], 0 offen
	buffer_load_dword v3, v0, s[0:3], 0 offen offset:4
	buffer_load_dword v4, v0, s[0:3], 0 offen offset:8
	;; [unrolled: 1-line block ×3, first 2 shown]
	v_accvgpr_read_b32 v0, a183
	buffer_store_dword v58, off, s[0:3], 0 offset:848
	buffer_store_dword v58, off, s[0:3], 0 offset:852
	;; [unrolled: 1-line block ×4, first 2 shown]
	s_waitcnt vmcnt(4)
	ds_write_b128 v0, v[2:5]
.LBB124_287:
	s_or_b64 exec, exec, s[4:5]
	s_waitcnt lgkmcnt(0)
	; wave barrier
	s_waitcnt lgkmcnt(0)
	ds_read_b128 v[14:17], v58 offset:1824
	ds_read_b128 v[10:13], v58 offset:1840
	ds_read_b128 v[6:9], v58 offset:1856
	ds_read_b128 v[2:5], v58 offset:1872
	buffer_load_dword v36, off, s[0:3], 0 offset:848
	buffer_load_dword v37, off, s[0:3], 0 offset:852
	;; [unrolled: 1-line block ×20, first 2 shown]
	v_cmp_lt_u32_e32 vcc, 51, v226
	s_waitcnt vmcnt(12) lgkmcnt(3)
	v_mul_f64 v[0:1], v[14:15], v[44:45]
	v_fmac_f64_e32 v[0:1], v[16:17], v[38:39]
	v_add_f64 v[0:1], v[0:1], 0
	v_mul_f64 v[16:17], v[16:17], v[44:45]
	s_waitcnt vmcnt(8) lgkmcnt(2)
	v_mul_f64 v[18:19], v[10:11], v[46:47]
	v_fmac_f64_e32 v[18:19], v[12:13], v[40:41]
	v_add_f64 v[0:1], v[0:1], v[18:19]
	v_fma_f64 v[14:15], v[14:15], v[38:39], -v[16:17]
	s_waitcnt vmcnt(4) lgkmcnt(1)
	v_mul_f64 v[18:19], v[6:7], v[50:51]
	v_fmac_f64_e32 v[18:19], v[8:9], v[42:43]
	v_add_f64 v[0:1], v[0:1], v[18:19]
	s_waitcnt vmcnt(0) lgkmcnt(0)
	v_mul_f64 v[18:19], v[2:3], v[54:55]
	v_fmac_f64_e32 v[18:19], v[4:5], v[52:53]
	v_add_f64 v[0:1], v[0:1], v[18:19]
	ds_read_b128 v[18:21], v58 offset:1888
	buffer_load_dword v49, off, s[0:3], 0 offset:932
	buffer_load_dword v48, off, s[0:3], 0 offset:928
	;; [unrolled: 1-line block ×4, first 2 shown]
	ds_read_b128 v[30:33], v58 offset:1904
	buffer_load_dword v61, off, s[0:3], 0 offset:948
	buffer_load_dword v60, off, s[0:3], 0 offset:944
	buffer_load_dword v63, off, s[0:3], 0 offset:956
	buffer_load_dword v62, off, s[0:3], 0 offset:952
	v_mul_f64 v[12:13], v[12:13], v[46:47]
	v_add_f64 v[14:15], v[14:15], 0
	v_fma_f64 v[10:11], v[10:11], v[40:41], -v[12:13]
	v_mul_f64 v[8:9], v[8:9], v[50:51]
	v_add_f64 v[10:11], v[14:15], v[10:11]
	v_fma_f64 v[6:7], v[6:7], v[42:43], -v[8:9]
	;; [unrolled: 3-line block ×3, first 2 shown]
	v_add_f64 v[2:3], v[6:7], v[2:3]
	s_waitcnt vmcnt(4) lgkmcnt(1)
	v_mul_f64 v[22:23], v[18:19], v[64:65]
	v_fmac_f64_e32 v[22:23], v[20:21], v[48:49]
	v_add_f64 v[0:1], v[0:1], v[22:23]
	s_waitcnt vmcnt(0) lgkmcnt(0)
	v_mul_f64 v[22:23], v[30:31], v[62:63]
	v_fmac_f64_e32 v[22:23], v[32:33], v[60:61]
	v_add_f64 v[0:1], v[0:1], v[22:23]
	ds_read_b128 v[22:25], v58 offset:1920
	buffer_load_dword v57, off, s[0:3], 0 offset:964
	buffer_load_dword v56, off, s[0:3], 0 offset:960
	;; [unrolled: 1-line block ×4, first 2 shown]
	v_mul_f64 v[4:5], v[20:21], v[64:65]
	v_fma_f64 v[4:5], v[18:19], v[48:49], -v[4:5]
	v_add_f64 v[2:3], v[2:3], v[4:5]
	v_mul_f64 v[4:5], v[32:33], v[62:63]
	v_fma_f64 v[4:5], v[30:31], v[60:61], -v[4:5]
	v_add_f64 v[2:3], v[2:3], v[4:5]
	s_waitcnt vmcnt(0) lgkmcnt(0)
	v_mul_f64 v[26:27], v[22:23], v[66:67]
	v_fmac_f64_e32 v[26:27], v[24:25], v[56:57]
	v_add_f64 v[0:1], v[0:1], v[26:27]
	ds_read_b128 v[26:29], v58 offset:1936
	buffer_load_dword v59, off, s[0:3], 0 offset:980
	buffer_load_dword v58, off, s[0:3], 0 offset:976
	;; [unrolled: 1-line block ×4, first 2 shown]
	v_mul_f64 v[4:5], v[24:25], v[66:67]
	v_fma_f64 v[4:5], v[22:23], v[56:57], -v[4:5]
	v_add_f64 v[2:3], v[2:3], v[4:5]
	s_waitcnt vmcnt(0) lgkmcnt(0)
	v_mul_f64 v[4:5], v[28:29], v[68:69]
	v_mul_f64 v[70:71], v[26:27], v[68:69]
	v_fma_f64 v[4:5], v[26:27], v[58:59], -v[4:5]
	v_fmac_f64_e32 v[70:71], v[28:29], v[58:59]
	v_add_f64 v[2:3], v[2:3], v[4:5]
	v_add_f64 v[0:1], v[0:1], v[70:71]
	v_add_f64 v[2:3], v[36:37], -v[2:3]
	v_add_f64 v[0:1], v[34:35], -v[0:1]
	buffer_store_dword v3, off, s[0:3], 0 offset:852
	buffer_store_dword v2, off, s[0:3], 0 offset:848
	;; [unrolled: 1-line block ×4, first 2 shown]
	s_and_saveexec_b64 s[4:5], vcc
	s_cbranch_execz .LBB124_289
; %bb.288:
	v_accvgpr_read_b32 v0, a131
	buffer_load_dword v2, v0, s[0:3], 0 offen
	buffer_load_dword v3, v0, s[0:3], 0 offen offset:4
	buffer_load_dword v4, v0, s[0:3], 0 offen offset:8
	;; [unrolled: 1-line block ×3, first 2 shown]
	v_mov_b32_e32 v0, 0
	v_accvgpr_read_b32 v1, a183
	buffer_store_dword v0, off, s[0:3], 0 offset:832
	buffer_store_dword v0, off, s[0:3], 0 offset:836
	;; [unrolled: 1-line block ×4, first 2 shown]
	s_waitcnt vmcnt(4)
	ds_write_b128 v1, v[2:5]
.LBB124_289:
	s_or_b64 exec, exec, s[4:5]
	v_mov_b32_e32 v82, 0
	s_waitcnt lgkmcnt(0)
	; wave barrier
	s_waitcnt lgkmcnt(0)
	ds_read_b128 v[18:21], v82 offset:1808
	ds_read_b128 v[14:17], v82 offset:1824
	;; [unrolled: 1-line block ×4, first 2 shown]
	buffer_load_dword v40, off, s[0:3], 0 offset:832
	buffer_load_dword v41, off, s[0:3], 0 offset:836
	;; [unrolled: 1-line block ×20, first 2 shown]
	v_cmp_lt_u32_e32 vcc, 50, v226
	s_waitcnt vmcnt(12) lgkmcnt(3)
	v_mul_f64 v[0:1], v[18:19], v[56:57]
	v_fmac_f64_e32 v[0:1], v[20:21], v[44:45]
	v_add_f64 v[0:1], v[0:1], 0
	v_mul_f64 v[20:21], v[20:21], v[56:57]
	s_waitcnt vmcnt(8) lgkmcnt(2)
	v_mul_f64 v[6:7], v[14:15], v[54:55]
	v_fmac_f64_e32 v[6:7], v[16:17], v[50:51]
	v_add_f64 v[0:1], v[0:1], v[6:7]
	v_fma_f64 v[18:19], v[18:19], v[44:45], -v[20:21]
	s_waitcnt vmcnt(4) lgkmcnt(1)
	v_mul_f64 v[6:7], v[10:11], v[52:53]
	v_fmac_f64_e32 v[6:7], v[12:13], v[48:49]
	v_add_f64 v[0:1], v[0:1], v[6:7]
	s_waitcnt vmcnt(0) lgkmcnt(0)
	v_mul_f64 v[6:7], v[2:3], v[58:59]
	v_fmac_f64_e32 v[6:7], v[4:5], v[46:47]
	v_add_f64 v[0:1], v[0:1], v[6:7]
	ds_read_b128 v[6:9], v82 offset:1872
	buffer_load_dword v43, off, s[0:3], 0 offset:916
	buffer_load_dword v42, off, s[0:3], 0 offset:912
	;; [unrolled: 1-line block ×4, first 2 shown]
	v_mul_f64 v[16:17], v[16:17], v[54:55]
	v_add_f64 v[18:19], v[18:19], 0
	v_fma_f64 v[14:15], v[14:15], v[50:51], -v[16:17]
	v_mul_f64 v[12:13], v[12:13], v[52:53]
	v_add_f64 v[14:15], v[18:19], v[14:15]
	v_fma_f64 v[10:11], v[10:11], v[48:49], -v[12:13]
	v_mul_f64 v[4:5], v[4:5], v[58:59]
	v_add_f64 v[10:11], v[14:15], v[10:11]
	v_fma_f64 v[2:3], v[2:3], v[46:47], -v[4:5]
	v_add_f64 v[2:3], v[10:11], v[2:3]
	s_waitcnt vmcnt(0) lgkmcnt(0)
	v_mul_f64 v[22:23], v[6:7], v[60:61]
	v_fmac_f64_e32 v[22:23], v[8:9], v[42:43]
	v_add_f64 v[0:1], v[0:1], v[22:23]
	ds_read_b128 v[22:25], v82 offset:1888
	buffer_load_dword v63, off, s[0:3], 0 offset:932
	buffer_load_dword v62, off, s[0:3], 0 offset:928
	buffer_load_dword v65, off, s[0:3], 0 offset:940
	buffer_load_dword v64, off, s[0:3], 0 offset:936
	v_mul_f64 v[4:5], v[8:9], v[60:61]
	v_fma_f64 v[4:5], v[6:7], v[42:43], -v[4:5]
	v_add_f64 v[2:3], v[2:3], v[4:5]
	s_waitcnt vmcnt(0) lgkmcnt(0)
	v_mul_f64 v[26:27], v[22:23], v[64:65]
	v_fmac_f64_e32 v[26:27], v[24:25], v[62:63]
	v_add_f64 v[0:1], v[0:1], v[26:27]
	ds_read_b128 v[26:29], v82 offset:1904
	buffer_load_dword v67, off, s[0:3], 0 offset:948
	buffer_load_dword v66, off, s[0:3], 0 offset:944
	buffer_load_dword v69, off, s[0:3], 0 offset:956
	buffer_load_dword v68, off, s[0:3], 0 offset:952
	v_mul_f64 v[4:5], v[24:25], v[64:65]
	v_fma_f64 v[4:5], v[22:23], v[62:63], -v[4:5]
	;; [unrolled: 12-line block ×4, first 2 shown]
	v_add_f64 v[2:3], v[2:3], v[4:5]
	s_waitcnt vmcnt(0) lgkmcnt(0)
	v_mul_f64 v[4:5], v[36:37], v[76:77]
	v_mul_f64 v[78:79], v[34:35], v[76:77]
	v_fma_f64 v[4:5], v[34:35], v[74:75], -v[4:5]
	v_fmac_f64_e32 v[78:79], v[36:37], v[74:75]
	v_add_f64 v[2:3], v[2:3], v[4:5]
	v_add_f64 v[0:1], v[0:1], v[78:79]
	v_add_f64 v[2:3], v[40:41], -v[2:3]
	v_add_f64 v[0:1], v[38:39], -v[0:1]
	buffer_store_dword v3, off, s[0:3], 0 offset:836
	buffer_store_dword v2, off, s[0:3], 0 offset:832
	;; [unrolled: 1-line block ×4, first 2 shown]
	s_and_saveexec_b64 s[4:5], vcc
	s_cbranch_execz .LBB124_291
; %bb.290:
	v_accvgpr_read_b32 v0, a132
	buffer_load_dword v2, v0, s[0:3], 0 offen
	buffer_load_dword v3, v0, s[0:3], 0 offen offset:4
	buffer_load_dword v4, v0, s[0:3], 0 offen offset:8
	;; [unrolled: 1-line block ×3, first 2 shown]
	v_accvgpr_read_b32 v0, a183
	buffer_store_dword v82, off, s[0:3], 0 offset:816
	buffer_store_dword v82, off, s[0:3], 0 offset:820
	;; [unrolled: 1-line block ×4, first 2 shown]
	s_waitcnt vmcnt(4)
	ds_write_b128 v0, v[2:5]
.LBB124_291:
	s_or_b64 exec, exec, s[4:5]
	s_waitcnt lgkmcnt(0)
	; wave barrier
	s_waitcnt lgkmcnt(0)
	ds_read_b128 v[18:21], v82 offset:1792
	ds_read_b128 v[10:13], v82 offset:1808
	;; [unrolled: 1-line block ×4, first 2 shown]
	buffer_load_dword v44, off, s[0:3], 0 offset:816
	buffer_load_dword v45, off, s[0:3], 0 offset:820
	;; [unrolled: 1-line block ×20, first 2 shown]
	v_cmp_lt_u32_e32 vcc, 49, v226
	s_waitcnt vmcnt(12) lgkmcnt(3)
	v_mul_f64 v[0:1], v[18:19], v[62:63]
	v_fmac_f64_e32 v[0:1], v[20:21], v[58:59]
	v_add_f64 v[0:1], v[0:1], 0
	v_mul_f64 v[20:21], v[20:21], v[62:63]
	s_waitcnt vmcnt(8) lgkmcnt(2)
	v_mul_f64 v[14:15], v[10:11], v[60:61]
	v_fmac_f64_e32 v[14:15], v[12:13], v[56:57]
	v_add_f64 v[0:1], v[0:1], v[14:15]
	v_fma_f64 v[18:19], v[18:19], v[58:59], -v[20:21]
	s_waitcnt vmcnt(4) lgkmcnt(1)
	v_mul_f64 v[14:15], v[6:7], v[48:49]
	v_fmac_f64_e32 v[14:15], v[8:9], v[46:47]
	v_add_f64 v[0:1], v[0:1], v[14:15]
	s_waitcnt vmcnt(0) lgkmcnt(0)
	v_mul_f64 v[14:15], v[2:3], v[52:53]
	v_fmac_f64_e32 v[14:15], v[4:5], v[50:51]
	v_add_f64 v[0:1], v[0:1], v[14:15]
	ds_read_b128 v[14:17], v82 offset:1856
	buffer_load_dword v55, off, s[0:3], 0 offset:900
	buffer_load_dword v54, off, s[0:3], 0 offset:896
	;; [unrolled: 1-line block ×4, first 2 shown]
	v_mul_f64 v[12:13], v[12:13], v[60:61]
	v_add_f64 v[18:19], v[18:19], 0
	v_fma_f64 v[10:11], v[10:11], v[56:57], -v[12:13]
	v_mul_f64 v[8:9], v[8:9], v[48:49]
	v_add_f64 v[10:11], v[18:19], v[10:11]
	v_fma_f64 v[6:7], v[6:7], v[46:47], -v[8:9]
	;; [unrolled: 3-line block ×3, first 2 shown]
	v_add_f64 v[2:3], v[6:7], v[2:3]
	s_waitcnt vmcnt(0) lgkmcnt(0)
	v_mul_f64 v[22:23], v[14:15], v[64:65]
	v_fmac_f64_e32 v[22:23], v[16:17], v[54:55]
	v_add_f64 v[0:1], v[0:1], v[22:23]
	ds_read_b128 v[22:25], v82 offset:1872
	buffer_load_dword v67, off, s[0:3], 0 offset:916
	buffer_load_dword v66, off, s[0:3], 0 offset:912
	buffer_load_dword v69, off, s[0:3], 0 offset:924
	buffer_load_dword v68, off, s[0:3], 0 offset:920
	v_mul_f64 v[4:5], v[16:17], v[64:65]
	v_fma_f64 v[4:5], v[14:15], v[54:55], -v[4:5]
	v_add_f64 v[2:3], v[2:3], v[4:5]
	s_waitcnt vmcnt(0) lgkmcnt(0)
	v_mul_f64 v[26:27], v[22:23], v[68:69]
	v_fmac_f64_e32 v[26:27], v[24:25], v[66:67]
	v_add_f64 v[0:1], v[0:1], v[26:27]
	ds_read_b128 v[26:29], v82 offset:1888
	buffer_load_dword v71, off, s[0:3], 0 offset:932
	buffer_load_dword v70, off, s[0:3], 0 offset:928
	buffer_load_dword v73, off, s[0:3], 0 offset:940
	buffer_load_dword v72, off, s[0:3], 0 offset:936
	v_mul_f64 v[4:5], v[24:25], v[68:69]
	v_fma_f64 v[4:5], v[22:23], v[66:67], -v[4:5]
	;; [unrolled: 12-line block ×5, first 2 shown]
	v_add_f64 v[2:3], v[2:3], v[4:5]
	s_waitcnt vmcnt(0) lgkmcnt(0)
	v_mul_f64 v[4:5], v[40:41], v[84:85]
	v_mul_f64 v[86:87], v[38:39], v[84:85]
	v_fma_f64 v[4:5], v[38:39], v[82:83], -v[4:5]
	v_fmac_f64_e32 v[86:87], v[40:41], v[82:83]
	v_add_f64 v[2:3], v[2:3], v[4:5]
	v_add_f64 v[0:1], v[0:1], v[86:87]
	v_add_f64 v[2:3], v[44:45], -v[2:3]
	v_add_f64 v[0:1], v[42:43], -v[0:1]
	buffer_store_dword v3, off, s[0:3], 0 offset:820
	buffer_store_dword v2, off, s[0:3], 0 offset:816
	;; [unrolled: 1-line block ×4, first 2 shown]
	s_and_saveexec_b64 s[4:5], vcc
	s_cbranch_execz .LBB124_293
; %bb.292:
	v_accvgpr_read_b32 v0, a133
	buffer_load_dword v2, v0, s[0:3], 0 offen
	buffer_load_dword v3, v0, s[0:3], 0 offen offset:4
	buffer_load_dword v4, v0, s[0:3], 0 offen offset:8
	;; [unrolled: 1-line block ×3, first 2 shown]
	v_mov_b32_e32 v0, 0
	v_accvgpr_read_b32 v1, a183
	buffer_store_dword v0, off, s[0:3], 0 offset:800
	buffer_store_dword v0, off, s[0:3], 0 offset:804
	;; [unrolled: 1-line block ×4, first 2 shown]
	s_waitcnt vmcnt(4)
	ds_write_b128 v1, v[2:5]
.LBB124_293:
	s_or_b64 exec, exec, s[4:5]
	v_mov_b32_e32 v96, 0
	s_waitcnt lgkmcnt(0)
	; wave barrier
	s_waitcnt lgkmcnt(0)
	ds_read_b128 v[14:17], v96 offset:1776
	ds_read_b128 v[10:13], v96 offset:1792
	;; [unrolled: 1-line block ×4, first 2 shown]
	buffer_load_dword v48, off, s[0:3], 0 offset:800
	buffer_load_dword v49, off, s[0:3], 0 offset:804
	;; [unrolled: 1-line block ×20, first 2 shown]
	v_cmp_lt_u32_e32 vcc, 48, v226
	s_waitcnt vmcnt(12) lgkmcnt(3)
	v_mul_f64 v[0:1], v[14:15], v[56:57]
	v_fmac_f64_e32 v[0:1], v[16:17], v[50:51]
	v_add_f64 v[0:1], v[0:1], 0
	v_mul_f64 v[16:17], v[16:17], v[56:57]
	s_waitcnt vmcnt(8) lgkmcnt(2)
	v_mul_f64 v[18:19], v[10:11], v[58:59]
	v_fmac_f64_e32 v[18:19], v[12:13], v[52:53]
	v_add_f64 v[0:1], v[0:1], v[18:19]
	v_fma_f64 v[14:15], v[14:15], v[50:51], -v[16:17]
	s_waitcnt vmcnt(4) lgkmcnt(1)
	v_mul_f64 v[18:19], v[6:7], v[60:61]
	v_fmac_f64_e32 v[18:19], v[8:9], v[54:55]
	v_add_f64 v[0:1], v[0:1], v[18:19]
	s_waitcnt vmcnt(0) lgkmcnt(0)
	v_mul_f64 v[18:19], v[2:3], v[64:65]
	v_fmac_f64_e32 v[18:19], v[4:5], v[62:63]
	v_add_f64 v[0:1], v[0:1], v[18:19]
	ds_read_b128 v[18:21], v96 offset:1840
	buffer_load_dword v67, off, s[0:3], 0 offset:884
	buffer_load_dword v66, off, s[0:3], 0 offset:880
	;; [unrolled: 1-line block ×4, first 2 shown]
	v_mul_f64 v[12:13], v[12:13], v[58:59]
	v_add_f64 v[14:15], v[14:15], 0
	v_fma_f64 v[10:11], v[10:11], v[52:53], -v[12:13]
	v_mul_f64 v[8:9], v[8:9], v[60:61]
	v_add_f64 v[10:11], v[14:15], v[10:11]
	v_fma_f64 v[6:7], v[6:7], v[54:55], -v[8:9]
	;; [unrolled: 3-line block ×3, first 2 shown]
	v_add_f64 v[2:3], v[6:7], v[2:3]
	s_waitcnt vmcnt(0) lgkmcnt(0)
	v_mul_f64 v[22:23], v[18:19], v[68:69]
	v_fmac_f64_e32 v[22:23], v[20:21], v[66:67]
	v_add_f64 v[0:1], v[0:1], v[22:23]
	ds_read_b128 v[22:25], v96 offset:1856
	buffer_load_dword v71, off, s[0:3], 0 offset:900
	buffer_load_dword v70, off, s[0:3], 0 offset:896
	buffer_load_dword v73, off, s[0:3], 0 offset:908
	buffer_load_dword v72, off, s[0:3], 0 offset:904
	v_mul_f64 v[4:5], v[20:21], v[68:69]
	v_fma_f64 v[4:5], v[18:19], v[66:67], -v[4:5]
	v_add_f64 v[2:3], v[2:3], v[4:5]
	s_waitcnt vmcnt(0) lgkmcnt(0)
	v_mul_f64 v[26:27], v[22:23], v[72:73]
	v_fmac_f64_e32 v[26:27], v[24:25], v[70:71]
	v_add_f64 v[0:1], v[0:1], v[26:27]
	ds_read_b128 v[26:29], v96 offset:1872
	buffer_load_dword v75, off, s[0:3], 0 offset:916
	buffer_load_dword v74, off, s[0:3], 0 offset:912
	buffer_load_dword v77, off, s[0:3], 0 offset:924
	buffer_load_dword v76, off, s[0:3], 0 offset:920
	v_mul_f64 v[4:5], v[24:25], v[72:73]
	v_fma_f64 v[4:5], v[22:23], v[70:71], -v[4:5]
	v_add_f64 v[2:3], v[2:3], v[4:5]
	s_waitcnt vmcnt(0) lgkmcnt(0)
	v_mul_f64 v[30:31], v[26:27], v[76:77]
	v_fmac_f64_e32 v[30:31], v[28:29], v[74:75]
	v_add_f64 v[0:1], v[0:1], v[30:31]
	ds_read_b128 v[30:33], v96 offset:1888
	buffer_load_dword v79, off, s[0:3], 0 offset:932
	buffer_load_dword v78, off, s[0:3], 0 offset:928
	buffer_load_dword v81, off, s[0:3], 0 offset:940
	buffer_load_dword v80, off, s[0:3], 0 offset:936
	v_mul_f64 v[4:5], v[28:29], v[76:77]
	v_fma_f64 v[4:5], v[26:27], v[74:75], -v[4:5]
	v_add_f64 v[2:3], v[2:3], v[4:5]
	s_waitcnt vmcnt(0) lgkmcnt(0)
	v_mul_f64 v[34:35], v[30:31], v[80:81]
	v_fmac_f64_e32 v[34:35], v[32:33], v[78:79]
	v_add_f64 v[0:1], v[0:1], v[34:35]
	ds_read_b128 v[34:37], v96 offset:1904
	buffer_load_dword v83, off, s[0:3], 0 offset:948
	buffer_load_dword v82, off, s[0:3], 0 offset:944
	buffer_load_dword v85, off, s[0:3], 0 offset:956
	buffer_load_dword v84, off, s[0:3], 0 offset:952
	v_mul_f64 v[4:5], v[32:33], v[80:81]
	v_fma_f64 v[4:5], v[30:31], v[78:79], -v[4:5]
	v_add_f64 v[2:3], v[2:3], v[4:5]
	s_waitcnt vmcnt(0) lgkmcnt(0)
	v_mul_f64 v[38:39], v[34:35], v[84:85]
	v_fmac_f64_e32 v[38:39], v[36:37], v[82:83]
	v_add_f64 v[0:1], v[0:1], v[38:39]
	ds_read_b128 v[38:41], v96 offset:1920
	buffer_load_dword v87, off, s[0:3], 0 offset:964
	buffer_load_dword v86, off, s[0:3], 0 offset:960
	buffer_load_dword v89, off, s[0:3], 0 offset:972
	buffer_load_dword v88, off, s[0:3], 0 offset:968
	v_mul_f64 v[4:5], v[36:37], v[84:85]
	v_fma_f64 v[4:5], v[34:35], v[82:83], -v[4:5]
	v_add_f64 v[2:3], v[2:3], v[4:5]
	s_waitcnt vmcnt(0) lgkmcnt(0)
	v_mul_f64 v[42:43], v[38:39], v[88:89]
	v_fmac_f64_e32 v[42:43], v[40:41], v[86:87]
	v_add_f64 v[94:95], v[0:1], v[42:43]
	ds_read_b128 v[42:45], v96 offset:1936
	buffer_load_dword v91, off, s[0:3], 0 offset:980
	buffer_load_dword v90, off, s[0:3], 0 offset:976
	buffer_load_dword v93, off, s[0:3], 0 offset:988
	buffer_load_dword v92, off, s[0:3], 0 offset:984
	v_mul_f64 v[4:5], v[40:41], v[88:89]
	v_fma_f64 v[4:5], v[38:39], v[86:87], -v[4:5]
	v_add_f64 v[2:3], v[2:3], v[4:5]
	s_waitcnt vmcnt(0) lgkmcnt(0)
	v_mul_f64 v[4:5], v[44:45], v[92:93]
	v_mul_f64 v[0:1], v[42:43], v[92:93]
	v_fma_f64 v[4:5], v[42:43], v[90:91], -v[4:5]
	v_fmac_f64_e32 v[0:1], v[44:45], v[90:91]
	v_add_f64 v[2:3], v[2:3], v[4:5]
	v_add_f64 v[0:1], v[94:95], v[0:1]
	v_add_f64 v[2:3], v[48:49], -v[2:3]
	v_add_f64 v[0:1], v[46:47], -v[0:1]
	buffer_store_dword v3, off, s[0:3], 0 offset:804
	buffer_store_dword v2, off, s[0:3], 0 offset:800
	;; [unrolled: 1-line block ×4, first 2 shown]
	s_and_saveexec_b64 s[4:5], vcc
	s_cbranch_execz .LBB124_295
; %bb.294:
	v_accvgpr_read_b32 v0, a134
	buffer_load_dword v2, v0, s[0:3], 0 offen
	buffer_load_dword v3, v0, s[0:3], 0 offen offset:4
	buffer_load_dword v4, v0, s[0:3], 0 offen offset:8
	;; [unrolled: 1-line block ×3, first 2 shown]
	v_accvgpr_read_b32 v0, a183
	buffer_store_dword v96, off, s[0:3], 0 offset:784
	buffer_store_dword v96, off, s[0:3], 0 offset:788
	;; [unrolled: 1-line block ×4, first 2 shown]
	s_waitcnt vmcnt(4)
	ds_write_b128 v0, v[2:5]
.LBB124_295:
	s_or_b64 exec, exec, s[4:5]
	s_waitcnt lgkmcnt(0)
	; wave barrier
	s_waitcnt lgkmcnt(0)
	ds_read_b128 v[14:17], v96 offset:1760
	ds_read_b128 v[10:13], v96 offset:1776
	;; [unrolled: 1-line block ×4, first 2 shown]
	buffer_load_dword v48, off, s[0:3], 0 offset:784
	buffer_load_dword v49, off, s[0:3], 0 offset:788
	;; [unrolled: 1-line block ×20, first 2 shown]
	v_cmp_lt_u32_e32 vcc, 47, v226
	s_waitcnt vmcnt(12) lgkmcnt(3)
	v_mul_f64 v[0:1], v[14:15], v[56:57]
	v_fmac_f64_e32 v[0:1], v[16:17], v[50:51]
	v_add_f64 v[0:1], v[0:1], 0
	v_mul_f64 v[16:17], v[16:17], v[56:57]
	s_waitcnt vmcnt(8) lgkmcnt(2)
	v_mul_f64 v[18:19], v[10:11], v[58:59]
	v_fmac_f64_e32 v[18:19], v[12:13], v[52:53]
	v_add_f64 v[0:1], v[0:1], v[18:19]
	v_fma_f64 v[14:15], v[14:15], v[50:51], -v[16:17]
	s_waitcnt vmcnt(4) lgkmcnt(1)
	v_mul_f64 v[18:19], v[6:7], v[60:61]
	v_fmac_f64_e32 v[18:19], v[8:9], v[54:55]
	v_add_f64 v[0:1], v[0:1], v[18:19]
	s_waitcnt vmcnt(0) lgkmcnt(0)
	v_mul_f64 v[18:19], v[2:3], v[64:65]
	v_fmac_f64_e32 v[18:19], v[4:5], v[62:63]
	v_add_f64 v[0:1], v[0:1], v[18:19]
	ds_read_b128 v[18:21], v96 offset:1824
	buffer_load_dword v67, off, s[0:3], 0 offset:868
	buffer_load_dword v66, off, s[0:3], 0 offset:864
	;; [unrolled: 1-line block ×4, first 2 shown]
	v_mul_f64 v[12:13], v[12:13], v[58:59]
	v_add_f64 v[14:15], v[14:15], 0
	v_fma_f64 v[10:11], v[10:11], v[52:53], -v[12:13]
	v_mul_f64 v[8:9], v[8:9], v[60:61]
	v_add_f64 v[10:11], v[14:15], v[10:11]
	v_fma_f64 v[6:7], v[6:7], v[54:55], -v[8:9]
	;; [unrolled: 3-line block ×3, first 2 shown]
	v_add_f64 v[2:3], v[6:7], v[2:3]
	s_waitcnt vmcnt(0) lgkmcnt(0)
	v_mul_f64 v[22:23], v[18:19], v[68:69]
	v_fmac_f64_e32 v[22:23], v[20:21], v[66:67]
	v_add_f64 v[0:1], v[0:1], v[22:23]
	ds_read_b128 v[22:25], v96 offset:1840
	buffer_load_dword v71, off, s[0:3], 0 offset:884
	buffer_load_dword v70, off, s[0:3], 0 offset:880
	buffer_load_dword v73, off, s[0:3], 0 offset:892
	buffer_load_dword v72, off, s[0:3], 0 offset:888
	v_mul_f64 v[4:5], v[20:21], v[68:69]
	v_fma_f64 v[4:5], v[18:19], v[66:67], -v[4:5]
	v_add_f64 v[2:3], v[2:3], v[4:5]
	s_waitcnt vmcnt(0) lgkmcnt(0)
	v_mul_f64 v[26:27], v[22:23], v[72:73]
	v_fmac_f64_e32 v[26:27], v[24:25], v[70:71]
	v_add_f64 v[0:1], v[0:1], v[26:27]
	ds_read_b128 v[26:29], v96 offset:1856
	buffer_load_dword v75, off, s[0:3], 0 offset:900
	buffer_load_dword v74, off, s[0:3], 0 offset:896
	buffer_load_dword v77, off, s[0:3], 0 offset:908
	buffer_load_dword v76, off, s[0:3], 0 offset:904
	v_mul_f64 v[4:5], v[24:25], v[72:73]
	v_fma_f64 v[4:5], v[22:23], v[70:71], -v[4:5]
	;; [unrolled: 12-line block ×7, first 2 shown]
	v_add_f64 v[2:3], v[2:3], v[4:5]
	s_waitcnt vmcnt(0) lgkmcnt(0)
	v_mul_f64 v[4:5], v[96:97], v[100:101]
	v_mul_f64 v[102:103], v[94:95], v[100:101]
	v_fma_f64 v[4:5], v[94:95], v[98:99], -v[4:5]
	v_fmac_f64_e32 v[102:103], v[96:97], v[98:99]
	v_add_f64 v[2:3], v[2:3], v[4:5]
	v_add_f64 v[0:1], v[0:1], v[102:103]
	v_add_f64 v[2:3], v[48:49], -v[2:3]
	v_add_f64 v[0:1], v[46:47], -v[0:1]
	buffer_store_dword v3, off, s[0:3], 0 offset:788
	buffer_store_dword v2, off, s[0:3], 0 offset:784
	;; [unrolled: 1-line block ×4, first 2 shown]
	s_and_saveexec_b64 s[4:5], vcc
	s_cbranch_execz .LBB124_297
; %bb.296:
	v_accvgpr_read_b32 v0, a135
	buffer_load_dword v2, v0, s[0:3], 0 offen
	buffer_load_dword v3, v0, s[0:3], 0 offen offset:4
	buffer_load_dword v4, v0, s[0:3], 0 offen offset:8
	;; [unrolled: 1-line block ×3, first 2 shown]
	v_mov_b32_e32 v0, 0
	v_accvgpr_read_b32 v1, a183
	buffer_store_dword v0, off, s[0:3], 0 offset:768
	buffer_store_dword v0, off, s[0:3], 0 offset:772
	;; [unrolled: 1-line block ×4, first 2 shown]
	s_waitcnt vmcnt(4)
	ds_write_b128 v1, v[2:5]
.LBB124_297:
	s_or_b64 exec, exec, s[4:5]
	s_waitcnt lgkmcnt(0)
	; wave barrier
	s_waitcnt lgkmcnt(0)
	buffer_load_dword v2, off, s[0:3], 0 offset:784
	buffer_load_dword v3, off, s[0:3], 0 offset:788
	;; [unrolled: 1-line block ×56, first 2 shown]
	v_mov_b32_e32 v30, 0
	ds_read_b128 v[32:35], v30 offset:1744
	ds_read_b128 v[36:39], v30 offset:1760
	;; [unrolled: 1-line block ×9, first 2 shown]
	v_cmp_lt_u32_e32 vcc, 46, v226
	s_waitcnt vmcnt(52) lgkmcnt(8)
	v_mul_f64 v[64:65], v[32:33], v[6:7]
	v_fmac_f64_e32 v[64:65], v[34:35], v[2:3]
	v_add_f64 v[64:65], v[64:65], 0
	v_mul_f64 v[6:7], v[34:35], v[6:7]
	s_waitcnt vmcnt(48) lgkmcnt(7)
	v_mul_f64 v[66:67], v[36:37], v[8:9]
	v_fmac_f64_e32 v[66:67], v[38:39], v[4:5]
	s_waitcnt vmcnt(46) lgkmcnt(6)
	v_mul_f64 v[68:69], v[40:41], v[10:11]
	v_add_f64 v[64:65], v[64:65], v[66:67]
	s_waitcnt vmcnt(44) lgkmcnt(5)
	v_mul_f64 v[70:71], v[44:45], v[12:13]
	v_fma_f64 v[2:3], v[32:33], v[2:3], -v[6:7]
	v_mul_f64 v[6:7], v[38:39], v[8:9]
	v_add_f64 v[2:3], v[2:3], 0
	v_fma_f64 v[4:5], v[36:37], v[4:5], -v[6:7]
	s_waitcnt vmcnt(39) lgkmcnt(3)
	v_mul_f64 v[74:75], v[52:53], v[18:19]
	v_add_f64 v[2:3], v[2:3], v[4:5]
	s_waitcnt vmcnt(37)
	v_mul_f64 v[72:73], v[48:49], v[20:21]
	v_mul_f64 v[4:5], v[42:43], v[10:11]
	s_waitcnt vmcnt(35)
	v_fmac_f64_e32 v[72:73], v[50:51], v[22:23]
	s_waitcnt lgkmcnt(2)
	v_mul_f64 v[76:77], v[56:57], v[14:15]
	s_waitcnt vmcnt(33)
	v_fmac_f64_e32 v[68:69], v[42:43], v[28:29]
	v_add_f64 v[64:65], v[64:65], v[68:69]
	s_waitcnt vmcnt(31)
	v_fmac_f64_e32 v[70:71], v[46:47], v[26:27]
	v_add_f64 v[64:65], v[64:65], v[70:71]
	;; [unrolled: 3-line block ×3, first 2 shown]
	v_fma_f64 v[4:5], v[40:41], v[28:29], -v[4:5]
	s_waitcnt vmcnt(28)
	v_fmac_f64_e32 v[76:77], v[58:59], v[16:17]
	v_add_f64 v[64:65], v[64:65], v[74:75]
	v_add_f64 v[2:3], v[2:3], v[4:5]
	v_mul_f64 v[4:5], v[46:47], v[12:13]
	v_add_f64 v[68:69], v[64:65], v[76:77]
	ds_read_b128 v[64:67], v30 offset:1872
	s_waitcnt vmcnt(24) lgkmcnt(2)
	v_mul_f64 v[70:71], v[60:61], v[86:87]
	v_fma_f64 v[4:5], v[44:45], v[26:27], -v[4:5]
	s_waitcnt vmcnt(22)
	v_fmac_f64_e32 v[70:71], v[62:63], v[88:89]
	v_add_f64 v[2:3], v[2:3], v[4:5]
	v_mul_f64 v[4:5], v[50:51], v[20:21]
	v_add_f64 v[72:73], v[68:69], v[70:71]
	ds_read_b128 v[68:71], v30 offset:1888
	v_fma_f64 v[4:5], v[48:49], v[22:23], -v[4:5]
	v_add_f64 v[2:3], v[2:3], v[4:5]
	v_mul_f64 v[4:5], v[54:55], v[18:19]
	v_fma_f64 v[4:5], v[52:53], v[24:25], -v[4:5]
	s_waitcnt vmcnt(21) lgkmcnt(1)
	v_mul_f64 v[74:75], v[64:65], v[0:1]
	v_add_f64 v[2:3], v[2:3], v[4:5]
	v_mul_f64 v[4:5], v[58:59], v[14:15]
	s_waitcnt vmcnt(20)
	v_fmac_f64_e32 v[74:75], v[66:67], v[84:85]
	v_fma_f64 v[4:5], v[56:57], v[16:17], -v[4:5]
	v_add_f64 v[76:77], v[72:73], v[74:75]
	ds_read_b128 v[72:75], v30 offset:1904
	s_waitcnt vmcnt(16) lgkmcnt(1)
	v_mul_f64 v[78:79], v[68:69], v[94:95]
	v_add_f64 v[2:3], v[2:3], v[4:5]
	v_mul_f64 v[4:5], v[62:63], v[86:87]
	s_waitcnt vmcnt(14)
	v_fmac_f64_e32 v[78:79], v[70:71], v[96:97]
	v_fma_f64 v[4:5], v[60:61], v[88:89], -v[4:5]
	v_mul_f64 v[0:1], v[66:67], v[0:1]
	v_add_f64 v[110:111], v[76:77], v[78:79]
	ds_read_b128 v[76:79], v30 offset:1920
	v_add_f64 v[2:3], v[2:3], v[4:5]
	v_fma_f64 v[0:1], v[64:65], v[84:85], -v[0:1]
	v_add_f64 v[0:1], v[2:3], v[0:1]
	v_mul_f64 v[2:3], v[70:71], v[94:95]
	v_fma_f64 v[2:3], v[68:69], v[96:97], -v[2:3]
	v_add_f64 v[0:1], v[0:1], v[2:3]
	s_waitcnt vmcnt(13) lgkmcnt(1)
	v_mul_f64 v[2:3], v[74:75], v[90:91]
	v_mul_f64 v[112:113], v[72:73], v[90:91]
	s_waitcnt vmcnt(12)
	v_fma_f64 v[2:3], v[72:73], v[92:93], -v[2:3]
	v_fmac_f64_e32 v[112:113], v[74:75], v[92:93]
	v_add_f64 v[0:1], v[0:1], v[2:3]
	s_waitcnt vmcnt(8) lgkmcnt(0)
	v_mul_f64 v[2:3], v[78:79], v[102:103]
	v_add_f64 v[110:111], v[110:111], v[112:113]
	v_mul_f64 v[112:113], v[76:77], v[102:103]
	s_waitcnt vmcnt(6)
	v_fma_f64 v[2:3], v[76:77], v[104:105], -v[2:3]
	v_fmac_f64_e32 v[112:113], v[78:79], v[104:105]
	v_add_f64 v[0:1], v[0:1], v[2:3]
	s_waitcnt vmcnt(5)
	v_mul_f64 v[2:3], v[82:83], v[98:99]
	v_add_f64 v[110:111], v[110:111], v[112:113]
	v_mul_f64 v[112:113], v[80:81], v[98:99]
	s_waitcnt vmcnt(4)
	v_fma_f64 v[2:3], v[80:81], v[100:101], -v[2:3]
	v_fmac_f64_e32 v[112:113], v[82:83], v[100:101]
	v_add_f64 v[0:1], v[0:1], v[2:3]
	v_add_f64 v[110:111], v[110:111], v[112:113]
	s_waitcnt vmcnt(2)
	v_add_f64 v[0:1], v[106:107], -v[0:1]
	s_waitcnt vmcnt(0)
	v_add_f64 v[2:3], v[108:109], -v[110:111]
	buffer_store_dword v1, off, s[0:3], 0 offset:772
	buffer_store_dword v0, off, s[0:3], 0 offset:768
	;; [unrolled: 1-line block ×4, first 2 shown]
	s_and_saveexec_b64 s[4:5], vcc
	s_cbranch_execz .LBB124_299
; %bb.298:
	v_accvgpr_read_b32 v0, a136
	buffer_load_dword v2, v0, s[0:3], 0 offen
	buffer_load_dword v3, v0, s[0:3], 0 offen offset:4
	buffer_load_dword v4, v0, s[0:3], 0 offen offset:8
	;; [unrolled: 1-line block ×3, first 2 shown]
	v_accvgpr_read_b32 v0, a183
	buffer_store_dword v30, off, s[0:3], 0 offset:752
	buffer_store_dword v30, off, s[0:3], 0 offset:756
	;; [unrolled: 1-line block ×4, first 2 shown]
	s_waitcnt vmcnt(4)
	ds_write_b128 v0, v[2:5]
.LBB124_299:
	s_or_b64 exec, exec, s[4:5]
	s_waitcnt lgkmcnt(0)
	; wave barrier
	s_waitcnt lgkmcnt(0)
	buffer_load_dword v2, off, s[0:3], 0 offset:768
	buffer_load_dword v3, off, s[0:3], 0 offset:772
	;; [unrolled: 1-line block ×60, first 2 shown]
	ds_read_b128 v[32:35], v30 offset:1728
	ds_read_b128 v[36:39], v30 offset:1744
	;; [unrolled: 1-line block ×8, first 2 shown]
	v_cmp_lt_u32_e32 vcc, 45, v226
	ds_read_b128 v[84:87], v30 offset:1936
	s_waitcnt vmcnt(56) lgkmcnt(8)
	v_mul_f64 v[64:65], v[32:33], v[6:7]
	v_fmac_f64_e32 v[64:65], v[34:35], v[2:3]
	v_add_f64 v[64:65], v[64:65], 0
	v_mul_f64 v[6:7], v[34:35], v[6:7]
	s_waitcnt vmcnt(52) lgkmcnt(7)
	v_mul_f64 v[66:67], v[36:37], v[8:9]
	v_fmac_f64_e32 v[66:67], v[38:39], v[4:5]
	s_waitcnt vmcnt(50) lgkmcnt(6)
	v_mul_f64 v[68:69], v[40:41], v[10:11]
	v_add_f64 v[64:65], v[64:65], v[66:67]
	s_waitcnt vmcnt(48) lgkmcnt(4)
	v_mul_f64 v[72:73], v[48:49], v[12:13]
	v_fma_f64 v[2:3], v[32:33], v[2:3], -v[6:7]
	s_waitcnt vmcnt(46)
	v_fmac_f64_e32 v[72:73], v[50:51], v[14:15]
	v_mul_f64 v[6:7], v[38:39], v[8:9]
	s_waitcnt vmcnt(44)
	v_mul_f64 v[70:71], v[44:45], v[16:17]
	v_add_f64 v[2:3], v[2:3], 0
	v_fma_f64 v[4:5], v[36:37], v[4:5], -v[6:7]
	v_add_f64 v[2:3], v[2:3], v[4:5]
	s_waitcnt vmcnt(40) lgkmcnt(3)
	v_mul_f64 v[74:75], v[52:53], v[22:23]
	v_mul_f64 v[4:5], v[42:43], v[10:11]
	s_waitcnt vmcnt(38)
	v_fmac_f64_e32 v[68:69], v[42:43], v[28:29]
	v_add_f64 v[64:65], v[64:65], v[68:69]
	s_waitcnt vmcnt(36)
	v_fmac_f64_e32 v[70:71], v[46:47], v[26:27]
	v_add_f64 v[64:65], v[64:65], v[70:71]
	;; [unrolled: 3-line block ×3, first 2 shown]
	s_waitcnt vmcnt(33) lgkmcnt(2)
	v_mul_f64 v[66:67], v[56:57], v[18:19]
	v_add_f64 v[64:65], v[64:65], v[74:75]
	s_waitcnt vmcnt(32)
	v_fmac_f64_e32 v[66:67], v[58:59], v[20:21]
	v_add_f64 v[68:69], v[64:65], v[66:67]
	ds_read_b128 v[64:67], v30 offset:1856
	v_fma_f64 v[4:5], v[40:41], v[28:29], -v[4:5]
	v_add_f64 v[2:3], v[2:3], v[4:5]
	v_mul_f64 v[4:5], v[46:47], v[16:17]
	s_waitcnt vmcnt(28) lgkmcnt(2)
	v_mul_f64 v[70:71], v[60:61], v[90:91]
	v_fma_f64 v[4:5], v[44:45], v[26:27], -v[4:5]
	s_waitcnt vmcnt(26)
	v_fmac_f64_e32 v[70:71], v[62:63], v[92:93]
	v_add_f64 v[2:3], v[2:3], v[4:5]
	v_mul_f64 v[4:5], v[50:51], v[12:13]
	v_add_f64 v[72:73], v[68:69], v[70:71]
	ds_read_b128 v[68:71], v30 offset:1872
	s_waitcnt vmcnt(25) lgkmcnt(1)
	v_mul_f64 v[74:75], v[64:65], v[0:1]
	v_fma_f64 v[4:5], v[48:49], v[14:15], -v[4:5]
	s_waitcnt vmcnt(24)
	v_fmac_f64_e32 v[74:75], v[66:67], v[88:89]
	v_add_f64 v[2:3], v[2:3], v[4:5]
	v_mul_f64 v[4:5], v[54:55], v[22:23]
	v_add_f64 v[76:77], v[72:73], v[74:75]
	ds_read_b128 v[72:75], v30 offset:1888
	v_fma_f64 v[4:5], v[52:53], v[24:25], -v[4:5]
	v_add_f64 v[2:3], v[2:3], v[4:5]
	v_mul_f64 v[4:5], v[58:59], v[18:19]
	v_fma_f64 v[4:5], v[56:57], v[20:21], -v[4:5]
	s_waitcnt vmcnt(20) lgkmcnt(1)
	v_mul_f64 v[78:79], v[68:69], v[98:99]
	v_add_f64 v[2:3], v[2:3], v[4:5]
	v_mul_f64 v[4:5], v[62:63], v[90:91]
	s_waitcnt vmcnt(18)
	v_fmac_f64_e32 v[78:79], v[70:71], v[100:101]
	v_fma_f64 v[4:5], v[60:61], v[92:93], -v[4:5]
	v_mul_f64 v[0:1], v[66:67], v[0:1]
	v_add_f64 v[80:81], v[76:77], v[78:79]
	ds_read_b128 v[76:79], v30 offset:1904
	s_waitcnt vmcnt(17) lgkmcnt(1)
	v_mul_f64 v[82:83], v[72:73], v[94:95]
	v_add_f64 v[2:3], v[2:3], v[4:5]
	v_fma_f64 v[0:1], v[64:65], v[88:89], -v[0:1]
	s_waitcnt vmcnt(16)
	v_fmac_f64_e32 v[82:83], v[74:75], v[96:97]
	v_add_f64 v[0:1], v[2:3], v[0:1]
	v_mul_f64 v[2:3], v[70:71], v[98:99]
	v_add_f64 v[118:119], v[80:81], v[82:83]
	ds_read_b128 v[80:83], v30 offset:1920
	v_fma_f64 v[2:3], v[68:69], v[100:101], -v[2:3]
	v_add_f64 v[0:1], v[0:1], v[2:3]
	v_mul_f64 v[2:3], v[74:75], v[94:95]
	v_fma_f64 v[2:3], v[72:73], v[96:97], -v[2:3]
	v_add_f64 v[0:1], v[0:1], v[2:3]
	s_waitcnt vmcnt(12) lgkmcnt(1)
	v_mul_f64 v[2:3], v[78:79], v[106:107]
	v_mul_f64 v[120:121], v[76:77], v[106:107]
	s_waitcnt vmcnt(10)
	v_fma_f64 v[2:3], v[76:77], v[108:109], -v[2:3]
	v_fmac_f64_e32 v[120:121], v[78:79], v[108:109]
	v_add_f64 v[0:1], v[0:1], v[2:3]
	s_waitcnt vmcnt(9) lgkmcnt(0)
	v_mul_f64 v[2:3], v[82:83], v[102:103]
	v_add_f64 v[30:31], v[118:119], v[120:121]
	v_mul_f64 v[118:119], v[80:81], v[102:103]
	s_waitcnt vmcnt(8)
	v_fma_f64 v[2:3], v[80:81], v[104:105], -v[2:3]
	v_fmac_f64_e32 v[118:119], v[82:83], v[104:105]
	v_add_f64 v[0:1], v[0:1], v[2:3]
	s_waitcnt vmcnt(6)
	v_mul_f64 v[2:3], v[86:87], v[110:111]
	v_add_f64 v[30:31], v[30:31], v[118:119]
	v_mul_f64 v[118:119], v[84:85], v[110:111]
	s_waitcnt vmcnt(4)
	v_fma_f64 v[2:3], v[84:85], v[112:113], -v[2:3]
	v_fmac_f64_e32 v[118:119], v[86:87], v[112:113]
	v_add_f64 v[0:1], v[0:1], v[2:3]
	v_add_f64 v[30:31], v[30:31], v[118:119]
	s_waitcnt vmcnt(2)
	v_add_f64 v[0:1], v[114:115], -v[0:1]
	s_waitcnt vmcnt(0)
	v_add_f64 v[2:3], v[116:117], -v[30:31]
	buffer_store_dword v1, off, s[0:3], 0 offset:756
	buffer_store_dword v0, off, s[0:3], 0 offset:752
	buffer_store_dword v3, off, s[0:3], 0 offset:764
	buffer_store_dword v2, off, s[0:3], 0 offset:760
	s_and_saveexec_b64 s[4:5], vcc
	s_cbranch_execz .LBB124_301
; %bb.300:
	v_accvgpr_read_b32 v0, a137
	buffer_load_dword v2, v0, s[0:3], 0 offen
	buffer_load_dword v3, v0, s[0:3], 0 offen offset:4
	buffer_load_dword v4, v0, s[0:3], 0 offen offset:8
	;; [unrolled: 1-line block ×3, first 2 shown]
	v_mov_b32_e32 v0, 0
	v_accvgpr_read_b32 v1, a183
	buffer_store_dword v0, off, s[0:3], 0 offset:736
	buffer_store_dword v0, off, s[0:3], 0 offset:740
	;; [unrolled: 1-line block ×4, first 2 shown]
	s_waitcnt vmcnt(4)
	ds_write_b128 v1, v[2:5]
.LBB124_301:
	s_or_b64 exec, exec, s[4:5]
	s_waitcnt lgkmcnt(0)
	; wave barrier
	s_waitcnt lgkmcnt(0)
	buffer_load_dword v2, off, s[0:3], 0 offset:752
	buffer_load_dword v3, off, s[0:3], 0 offset:756
	;; [unrolled: 1-line block ×64, first 2 shown]
	v_mov_b32_e32 v46, 0
	ds_read_b128 v[38:41], v46 offset:1712
	ds_read_b128 v[42:45], v46 offset:1728
	;; [unrolled: 1-line block ×7, first 2 shown]
	v_cmp_lt_u32_e32 vcc, 44, v226
	s_waitcnt vmcnt(60) lgkmcnt(6)
	v_mul_f64 v[64:65], v[38:39], v[4:5]
	v_fmac_f64_e32 v[64:65], v[40:41], v[2:3]
	s_waitcnt vmcnt(58) lgkmcnt(5)
	v_mul_f64 v[66:67], v[42:43], v[6:7]
	v_add_f64 v[64:65], v[64:65], 0
	s_waitcnt vmcnt(56) lgkmcnt(4)
	v_mul_f64 v[68:69], v[48:49], v[8:9]
	v_mul_f64 v[4:5], v[40:41], v[4:5]
	s_waitcnt vmcnt(54) lgkmcnt(2)
	v_mul_f64 v[72:73], v[56:57], v[10:11]
	v_fma_f64 v[2:3], v[38:39], v[2:3], -v[4:5]
	v_mul_f64 v[4:5], v[44:45], v[6:7]
	s_waitcnt vmcnt(51)
	v_mul_f64 v[70:71], v[52:53], v[14:15]
	v_add_f64 v[2:3], v[2:3], 0
	s_waitcnt vmcnt(49)
	v_fmac_f64_e32 v[66:67], v[44:45], v[20:21]
	v_add_f64 v[64:65], v[64:65], v[66:67]
	s_waitcnt vmcnt(47)
	v_fmac_f64_e32 v[68:69], v[50:51], v[18:19]
	v_add_f64 v[64:65], v[64:65], v[68:69]
	s_waitcnt vmcnt(45)
	v_fmac_f64_e32 v[70:71], v[54:55], v[16:17]
	v_add_f64 v[64:65], v[64:65], v[70:71]
	s_waitcnt vmcnt(44)
	v_fmac_f64_e32 v[72:73], v[58:59], v[12:13]
	v_add_f64 v[68:69], v[64:65], v[72:73]
	ds_read_b128 v[64:67], v46 offset:1808
	s_waitcnt vmcnt(40) lgkmcnt(2)
	v_mul_f64 v[70:71], v[60:61], v[26:27]
	v_fma_f64 v[4:5], v[42:43], v[20:21], -v[4:5]
	s_waitcnt vmcnt(38)
	v_fmac_f64_e32 v[70:71], v[62:63], v[28:29]
	v_add_f64 v[72:73], v[68:69], v[70:71]
	ds_read_b128 v[68:71], v46 offset:1824
	s_waitcnt vmcnt(37) lgkmcnt(1)
	v_mul_f64 v[74:75], v[64:65], v[22:23]
	s_waitcnt vmcnt(36)
	v_fmac_f64_e32 v[74:75], v[66:67], v[24:25]
	v_add_f64 v[76:77], v[72:73], v[74:75]
	ds_read_b128 v[72:75], v46 offset:1840
	s_waitcnt vmcnt(32) lgkmcnt(1)
	v_mul_f64 v[78:79], v[68:69], v[34:35]
	v_add_f64 v[2:3], v[2:3], v[4:5]
	v_mul_f64 v[4:5], v[50:51], v[8:9]
	s_waitcnt vmcnt(30)
	v_fmac_f64_e32 v[78:79], v[70:71], v[36:37]
	v_fma_f64 v[4:5], v[48:49], v[18:19], -v[4:5]
	v_add_f64 v[80:81], v[76:77], v[78:79]
	ds_read_b128 v[76:79], v46 offset:1856
	v_add_f64 v[2:3], v[2:3], v[4:5]
	v_mul_f64 v[4:5], v[54:55], v[14:15]
	v_fma_f64 v[4:5], v[52:53], v[16:17], -v[4:5]
	v_add_f64 v[2:3], v[2:3], v[4:5]
	v_mul_f64 v[4:5], v[58:59], v[10:11]
	s_waitcnt vmcnt(29) lgkmcnt(1)
	v_mul_f64 v[82:83], v[72:73], v[30:31]
	v_fma_f64 v[4:5], v[56:57], v[12:13], -v[4:5]
	s_waitcnt vmcnt(28)
	v_fmac_f64_e32 v[82:83], v[74:75], v[32:33]
	v_add_f64 v[2:3], v[2:3], v[4:5]
	v_mul_f64 v[4:5], v[62:63], v[26:27]
	v_add_f64 v[84:85], v[80:81], v[82:83]
	ds_read_b128 v[80:83], v46 offset:1872
	s_waitcnt vmcnt(24) lgkmcnt(1)
	v_mul_f64 v[86:87], v[76:77], v[102:103]
	v_fma_f64 v[4:5], v[60:61], v[28:29], -v[4:5]
	s_waitcnt vmcnt(22)
	v_fmac_f64_e32 v[86:87], v[78:79], v[104:105]
	v_add_f64 v[2:3], v[2:3], v[4:5]
	v_mul_f64 v[4:5], v[66:67], v[22:23]
	v_add_f64 v[88:89], v[84:85], v[86:87]
	ds_read_b128 v[84:87], v46 offset:1888
	v_fma_f64 v[4:5], v[64:65], v[24:25], -v[4:5]
	v_add_f64 v[2:3], v[2:3], v[4:5]
	v_mul_f64 v[4:5], v[70:71], v[34:35]
	v_fma_f64 v[4:5], v[68:69], v[36:37], -v[4:5]
	s_waitcnt vmcnt(21) lgkmcnt(1)
	v_mul_f64 v[90:91], v[80:81], v[0:1]
	v_add_f64 v[2:3], v[2:3], v[4:5]
	v_mul_f64 v[4:5], v[74:75], v[30:31]
	s_waitcnt vmcnt(20)
	v_fmac_f64_e32 v[90:91], v[82:83], v[100:101]
	v_fma_f64 v[4:5], v[72:73], v[32:33], -v[4:5]
	v_add_f64 v[92:93], v[88:89], v[90:91]
	ds_read_b128 v[88:91], v46 offset:1904
	s_waitcnt vmcnt(16) lgkmcnt(1)
	v_mul_f64 v[94:95], v[84:85], v[110:111]
	v_add_f64 v[2:3], v[2:3], v[4:5]
	v_mul_f64 v[4:5], v[78:79], v[102:103]
	s_waitcnt vmcnt(14)
	v_fmac_f64_e32 v[94:95], v[86:87], v[112:113]
	v_fma_f64 v[4:5], v[76:77], v[104:105], -v[4:5]
	v_mul_f64 v[0:1], v[82:83], v[0:1]
	v_add_f64 v[126:127], v[92:93], v[94:95]
	ds_read_b128 v[92:95], v46 offset:1920
	v_add_f64 v[2:3], v[2:3], v[4:5]
	v_fma_f64 v[0:1], v[80:81], v[100:101], -v[0:1]
	v_add_f64 v[0:1], v[2:3], v[0:1]
	v_mul_f64 v[2:3], v[86:87], v[110:111]
	v_fma_f64 v[2:3], v[84:85], v[112:113], -v[2:3]
	v_add_f64 v[0:1], v[0:1], v[2:3]
	s_waitcnt vmcnt(13) lgkmcnt(1)
	v_mul_f64 v[2:3], v[90:91], v[106:107]
	v_mul_f64 v[128:129], v[88:89], v[106:107]
	s_waitcnt vmcnt(12)
	v_fma_f64 v[2:3], v[88:89], v[108:109], -v[2:3]
	v_fmac_f64_e32 v[128:129], v[90:91], v[108:109]
	v_add_f64 v[0:1], v[0:1], v[2:3]
	s_waitcnt vmcnt(8) lgkmcnt(0)
	v_mul_f64 v[2:3], v[94:95], v[118:119]
	v_add_f64 v[126:127], v[126:127], v[128:129]
	v_mul_f64 v[128:129], v[92:93], v[118:119]
	s_waitcnt vmcnt(6)
	v_fma_f64 v[2:3], v[92:93], v[120:121], -v[2:3]
	v_fmac_f64_e32 v[128:129], v[94:95], v[120:121]
	v_add_f64 v[0:1], v[0:1], v[2:3]
	s_waitcnt vmcnt(5)
	v_mul_f64 v[2:3], v[98:99], v[114:115]
	v_add_f64 v[126:127], v[126:127], v[128:129]
	v_mul_f64 v[128:129], v[96:97], v[114:115]
	s_waitcnt vmcnt(4)
	v_fma_f64 v[2:3], v[96:97], v[116:117], -v[2:3]
	v_fmac_f64_e32 v[128:129], v[98:99], v[116:117]
	v_add_f64 v[0:1], v[0:1], v[2:3]
	v_add_f64 v[126:127], v[126:127], v[128:129]
	s_waitcnt vmcnt(2)
	v_add_f64 v[0:1], v[122:123], -v[0:1]
	s_waitcnt vmcnt(0)
	v_add_f64 v[2:3], v[124:125], -v[126:127]
	buffer_store_dword v1, off, s[0:3], 0 offset:740
	buffer_store_dword v0, off, s[0:3], 0 offset:736
	;; [unrolled: 1-line block ×4, first 2 shown]
	s_and_saveexec_b64 s[4:5], vcc
	s_cbranch_execz .LBB124_303
; %bb.302:
	v_accvgpr_read_b32 v0, a138
	buffer_load_dword v2, v0, s[0:3], 0 offen
	buffer_load_dword v3, v0, s[0:3], 0 offen offset:4
	buffer_load_dword v4, v0, s[0:3], 0 offen offset:8
	;; [unrolled: 1-line block ×3, first 2 shown]
	v_accvgpr_read_b32 v0, a183
	buffer_store_dword v46, off, s[0:3], 0 offset:720
	buffer_store_dword v46, off, s[0:3], 0 offset:724
	;; [unrolled: 1-line block ×4, first 2 shown]
	s_waitcnt vmcnt(4)
	ds_write_b128 v0, v[2:5]
.LBB124_303:
	s_or_b64 exec, exec, s[4:5]
	s_waitcnt lgkmcnt(0)
	; wave barrier
	s_waitcnt lgkmcnt(0)
	buffer_load_dword v2, off, s[0:3], 0 offset:736
	buffer_load_dword v3, off, s[0:3], 0 offset:740
	;; [unrolled: 1-line block ×64, first 2 shown]
	ds_read_b128 v[48:51], v46 offset:1696
	ds_read_b128 v[52:55], v46 offset:1712
	;; [unrolled: 1-line block ×4, first 2 shown]
	buffer_load_dword v130, off, s[0:3], 0 offset:720
	buffer_load_dword v131, off, s[0:3], 0 offset:724
	buffer_load_dword v132, off, s[0:3], 0 offset:728
	buffer_load_dword v133, off, s[0:3], 0 offset:732
	v_cmp_lt_u32_e32 vcc, 43, v226
	ds_read_b128 v[108:111], v46 offset:1936
	s_waitcnt vmcnt(62) lgkmcnt(4)
	v_mul_f64 v[64:65], v[48:49], v[4:5]
	v_fmac_f64_e32 v[64:65], v[50:51], v[2:3]
	v_add_f64 v[64:65], v[64:65], 0
	s_waitcnt lgkmcnt(2)
	v_mul_f64 v[68:69], v[56:57], v[6:7]
	v_mul_f64 v[4:5], v[50:51], v[4:5]
	v_fma_f64 v[2:3], v[48:49], v[2:3], -v[4:5]
	s_waitcnt vmcnt(58) lgkmcnt(1)
	v_mul_f64 v[70:71], v[60:61], v[12:13]
	v_add_f64 v[2:3], v[2:3], 0
	s_waitcnt vmcnt(56)
	v_mul_f64 v[66:67], v[52:53], v[18:19]
	v_mul_f64 v[4:5], v[54:55], v[18:19]
	s_waitcnt vmcnt(53)
	v_fmac_f64_e32 v[68:69], v[58:59], v[16:17]
	s_waitcnt vmcnt(52)
	v_fmac_f64_e32 v[66:67], v[54:55], v[20:21]
	v_add_f64 v[72:73], v[64:65], v[66:67]
	ds_read_b128 v[64:67], v46 offset:1760
	v_add_f64 v[68:69], v[72:73], v[68:69]
	s_waitcnt vmcnt(50)
	v_fmac_f64_e32 v[70:71], v[62:63], v[14:15]
	v_add_f64 v[72:73], v[68:69], v[70:71]
	ds_read_b128 v[68:71], v46 offset:1776
	s_waitcnt vmcnt(49) lgkmcnt(1)
	v_mul_f64 v[74:75], v[64:65], v[8:9]
	s_waitcnt vmcnt(48)
	v_fmac_f64_e32 v[74:75], v[66:67], v[10:11]
	v_add_f64 v[76:77], v[72:73], v[74:75]
	ds_read_b128 v[72:75], v46 offset:1792
	s_waitcnt vmcnt(44) lgkmcnt(1)
	v_mul_f64 v[78:79], v[68:69], v[26:27]
	;; [unrolled: 6-line block ×3, first 2 shown]
	s_waitcnt vmcnt(40)
	v_fmac_f64_e32 v[82:83], v[74:75], v[24:25]
	v_add_f64 v[84:85], v[80:81], v[82:83]
	ds_read_b128 v[80:83], v46 offset:1824
	v_fma_f64 v[4:5], v[52:53], v[20:21], -v[4:5]
	s_waitcnt vmcnt(36) lgkmcnt(1)
	v_mul_f64 v[86:87], v[76:77], v[34:35]
	v_add_f64 v[2:3], v[2:3], v[4:5]
	v_mul_f64 v[4:5], v[58:59], v[6:7]
	s_waitcnt vmcnt(34)
	v_fmac_f64_e32 v[86:87], v[78:79], v[36:37]
	v_fma_f64 v[4:5], v[56:57], v[16:17], -v[4:5]
	v_add_f64 v[88:89], v[84:85], v[86:87]
	ds_read_b128 v[84:87], v46 offset:1840
	s_waitcnt vmcnt(33) lgkmcnt(1)
	v_mul_f64 v[90:91], v[80:81], v[30:31]
	v_add_f64 v[2:3], v[2:3], v[4:5]
	v_mul_f64 v[4:5], v[62:63], v[12:13]
	s_waitcnt vmcnt(32)
	v_fmac_f64_e32 v[90:91], v[82:83], v[32:33]
	v_fma_f64 v[4:5], v[60:61], v[14:15], -v[4:5]
	v_add_f64 v[92:93], v[88:89], v[90:91]
	ds_read_b128 v[88:91], v46 offset:1856
	v_add_f64 v[2:3], v[2:3], v[4:5]
	v_mul_f64 v[4:5], v[66:67], v[8:9]
	v_fma_f64 v[4:5], v[64:65], v[10:11], -v[4:5]
	v_add_f64 v[2:3], v[2:3], v[4:5]
	v_mul_f64 v[4:5], v[70:71], v[26:27]
	s_waitcnt vmcnt(28) lgkmcnt(1)
	v_mul_f64 v[94:95], v[84:85], v[42:43]
	v_fma_f64 v[4:5], v[68:69], v[28:29], -v[4:5]
	s_waitcnt vmcnt(26)
	v_fmac_f64_e32 v[94:95], v[86:87], v[44:45]
	v_add_f64 v[2:3], v[2:3], v[4:5]
	v_mul_f64 v[4:5], v[74:75], v[22:23]
	v_add_f64 v[96:97], v[92:93], v[94:95]
	ds_read_b128 v[92:95], v46 offset:1872
	s_waitcnt vmcnt(25) lgkmcnt(1)
	v_mul_f64 v[98:99], v[88:89], v[38:39]
	v_fma_f64 v[4:5], v[72:73], v[24:25], -v[4:5]
	s_waitcnt vmcnt(24)
	v_fmac_f64_e32 v[98:99], v[90:91], v[40:41]
	v_add_f64 v[2:3], v[2:3], v[4:5]
	v_mul_f64 v[4:5], v[78:79], v[34:35]
	v_add_f64 v[100:101], v[96:97], v[98:99]
	ds_read_b128 v[96:99], v46 offset:1888
	v_fma_f64 v[4:5], v[76:77], v[36:37], -v[4:5]
	v_add_f64 v[2:3], v[2:3], v[4:5]
	v_mul_f64 v[4:5], v[82:83], v[30:31]
	v_fma_f64 v[4:5], v[80:81], v[32:33], -v[4:5]
	s_waitcnt vmcnt(20) lgkmcnt(1)
	v_mul_f64 v[102:103], v[92:93], v[114:115]
	v_add_f64 v[2:3], v[2:3], v[4:5]
	v_mul_f64 v[4:5], v[86:87], v[42:43]
	s_waitcnt vmcnt(18)
	v_fmac_f64_e32 v[102:103], v[94:95], v[116:117]
	v_fma_f64 v[4:5], v[84:85], v[44:45], -v[4:5]
	v_add_f64 v[104:105], v[100:101], v[102:103]
	ds_read_b128 v[100:103], v46 offset:1904
	s_waitcnt vmcnt(17) lgkmcnt(1)
	v_mul_f64 v[106:107], v[96:97], v[0:1]
	v_add_f64 v[2:3], v[2:3], v[4:5]
	v_mul_f64 v[4:5], v[90:91], v[38:39]
	s_waitcnt vmcnt(16)
	v_fmac_f64_e32 v[106:107], v[98:99], v[112:113]
	v_fma_f64 v[4:5], v[88:89], v[40:41], -v[4:5]
	v_add_f64 v[134:135], v[104:105], v[106:107]
	ds_read_b128 v[104:107], v46 offset:1920
	v_add_f64 v[2:3], v[2:3], v[4:5]
	v_mul_f64 v[4:5], v[94:95], v[114:115]
	v_fma_f64 v[4:5], v[92:93], v[116:117], -v[4:5]
	v_mul_f64 v[0:1], v[98:99], v[0:1]
	v_add_f64 v[2:3], v[2:3], v[4:5]
	v_fma_f64 v[0:1], v[96:97], v[112:113], -v[0:1]
	v_add_f64 v[0:1], v[2:3], v[0:1]
	s_waitcnt vmcnt(12) lgkmcnt(1)
	v_mul_f64 v[2:3], v[102:103], v[122:123]
	v_mul_f64 v[136:137], v[100:101], v[122:123]
	s_waitcnt vmcnt(10)
	v_fma_f64 v[2:3], v[100:101], v[124:125], -v[2:3]
	v_fmac_f64_e32 v[136:137], v[102:103], v[124:125]
	v_add_f64 v[0:1], v[0:1], v[2:3]
	s_waitcnt vmcnt(9) lgkmcnt(0)
	v_mul_f64 v[2:3], v[106:107], v[118:119]
	v_add_f64 v[46:47], v[134:135], v[136:137]
	v_mul_f64 v[134:135], v[104:105], v[118:119]
	s_waitcnt vmcnt(8)
	v_fma_f64 v[2:3], v[104:105], v[120:121], -v[2:3]
	v_fmac_f64_e32 v[134:135], v[106:107], v[120:121]
	v_add_f64 v[0:1], v[0:1], v[2:3]
	s_waitcnt vmcnt(6)
	v_mul_f64 v[2:3], v[110:111], v[126:127]
	v_add_f64 v[46:47], v[46:47], v[134:135]
	v_mul_f64 v[134:135], v[108:109], v[126:127]
	s_waitcnt vmcnt(4)
	v_fma_f64 v[2:3], v[108:109], v[128:129], -v[2:3]
	v_fmac_f64_e32 v[134:135], v[110:111], v[128:129]
	v_add_f64 v[0:1], v[0:1], v[2:3]
	v_add_f64 v[46:47], v[46:47], v[134:135]
	s_waitcnt vmcnt(2)
	v_add_f64 v[0:1], v[130:131], -v[0:1]
	s_waitcnt vmcnt(0)
	v_add_f64 v[2:3], v[132:133], -v[46:47]
	buffer_store_dword v1, off, s[0:3], 0 offset:724
	buffer_store_dword v0, off, s[0:3], 0 offset:720
	;; [unrolled: 1-line block ×4, first 2 shown]
	s_and_saveexec_b64 s[4:5], vcc
	s_cbranch_execz .LBB124_305
; %bb.304:
	v_accvgpr_read_b32 v0, a139
	buffer_load_dword v2, v0, s[0:3], 0 offen
	buffer_load_dword v3, v0, s[0:3], 0 offen offset:4
	buffer_load_dword v4, v0, s[0:3], 0 offen offset:8
	;; [unrolled: 1-line block ×3, first 2 shown]
	v_mov_b32_e32 v0, 0
	v_accvgpr_read_b32 v1, a183
	buffer_store_dword v0, off, s[0:3], 0 offset:704
	buffer_store_dword v0, off, s[0:3], 0 offset:708
	;; [unrolled: 1-line block ×4, first 2 shown]
	s_waitcnt vmcnt(4)
	ds_write_b128 v1, v[2:5]
.LBB124_305:
	s_or_b64 exec, exec, s[4:5]
	s_waitcnt lgkmcnt(0)
	; wave barrier
	s_waitcnt lgkmcnt(0)
	buffer_load_dword v2, off, s[0:3], 0 offset:720
	buffer_load_dword v3, off, s[0:3], 0 offset:724
	;; [unrolled: 1-line block ×68, first 2 shown]
	v_mov_b32_e32 v52, 0
	buffer_load_dword v138, off, s[0:3], 0 offset:704
	buffer_load_dword v139, off, s[0:3], 0 offset:708
	;; [unrolled: 1-line block ×3, first 2 shown]
	ds_read_b128 v[46:49], v52 offset:1680
	ds_read_b128 v[54:57], v52 offset:1696
	buffer_load_dword v141, off, s[0:3], 0 offset:716
	ds_read_b128 v[58:61], v52 offset:1712
	ds_read_b128 v[62:65], v52 offset:1728
	;; [unrolled: 1-line block ×3, first 2 shown]
	v_cmp_lt_u32_e32 vcc, 42, v226
	s_waitcnt vmcnt(62) lgkmcnt(4)
	v_mul_f64 v[66:67], v[46:47], v[6:7]
	v_fmac_f64_e32 v[66:67], v[48:49], v[2:3]
	v_add_f64 v[66:67], v[66:67], 0
	v_mul_f64 v[6:7], v[48:49], v[6:7]
	s_waitcnt lgkmcnt(3)
	v_mul_f64 v[68:69], v[54:55], v[10:11]
	v_fmac_f64_e32 v[68:69], v[56:57], v[4:5]
	v_add_f64 v[66:67], v[66:67], v[68:69]
	v_fma_f64 v[2:3], v[46:47], v[2:3], -v[6:7]
	s_waitcnt vmcnt(60) lgkmcnt(2)
	v_mul_f64 v[68:69], v[58:59], v[12:13]
	v_fmac_f64_e32 v[68:69], v[60:61], v[8:9]
	v_add_f64 v[70:71], v[66:67], v[68:69]
	ds_read_b128 v[66:69], v52 offset:1744
	s_waitcnt vmcnt(56) lgkmcnt(2)
	v_mul_f64 v[72:73], v[62:63], v[18:19]
	v_mul_f64 v[6:7], v[56:57], v[10:11]
	s_waitcnt vmcnt(54)
	v_fmac_f64_e32 v[72:73], v[64:65], v[20:21]
	v_add_f64 v[74:75], v[70:71], v[72:73]
	ds_read_b128 v[70:73], v52 offset:1760
	s_waitcnt vmcnt(53) lgkmcnt(1)
	v_mul_f64 v[76:77], v[66:67], v[14:15]
	s_waitcnt vmcnt(52)
	v_fmac_f64_e32 v[76:77], v[68:69], v[16:17]
	v_add_f64 v[78:79], v[74:75], v[76:77]
	ds_read_b128 v[74:77], v52 offset:1776
	s_waitcnt vmcnt(48) lgkmcnt(1)
	;; [unrolled: 6-line block ×4, first 2 shown]
	v_mul_f64 v[88:89], v[78:79], v[34:35]
	s_waitcnt vmcnt(38)
	v_fmac_f64_e32 v[88:89], v[80:81], v[36:37]
	v_add_f64 v[90:91], v[86:87], v[88:89]
	ds_read_b128 v[86:89], v52 offset:1824
	v_add_f64 v[2:3], v[2:3], 0
	v_fma_f64 v[4:5], v[54:55], v[4:5], -v[6:7]
	v_add_f64 v[2:3], v[2:3], v[4:5]
	v_mul_f64 v[4:5], v[60:61], v[12:13]
	v_fma_f64 v[4:5], v[58:59], v[8:9], -v[4:5]
	s_waitcnt vmcnt(37) lgkmcnt(1)
	v_mul_f64 v[92:93], v[82:83], v[30:31]
	v_add_f64 v[2:3], v[2:3], v[4:5]
	v_mul_f64 v[4:5], v[64:65], v[18:19]
	s_waitcnt vmcnt(36)
	v_fmac_f64_e32 v[92:93], v[84:85], v[32:33]
	v_fma_f64 v[4:5], v[62:63], v[20:21], -v[4:5]
	v_add_f64 v[94:95], v[90:91], v[92:93]
	ds_read_b128 v[90:93], v52 offset:1840
	s_waitcnt vmcnt(32) lgkmcnt(1)
	v_mul_f64 v[96:97], v[86:87], v[42:43]
	v_add_f64 v[2:3], v[2:3], v[4:5]
	v_mul_f64 v[4:5], v[68:69], v[14:15]
	s_waitcnt vmcnt(30)
	v_fmac_f64_e32 v[96:97], v[88:89], v[44:45]
	v_fma_f64 v[4:5], v[66:67], v[16:17], -v[4:5]
	v_add_f64 v[98:99], v[94:95], v[96:97]
	ds_read_b128 v[94:97], v52 offset:1856
	v_add_f64 v[2:3], v[2:3], v[4:5]
	v_mul_f64 v[4:5], v[72:73], v[26:27]
	v_fma_f64 v[4:5], v[70:71], v[28:29], -v[4:5]
	v_add_f64 v[2:3], v[2:3], v[4:5]
	v_mul_f64 v[4:5], v[76:77], v[22:23]
	s_waitcnt vmcnt(29) lgkmcnt(1)
	v_mul_f64 v[100:101], v[90:91], v[38:39]
	v_fma_f64 v[4:5], v[74:75], v[24:25], -v[4:5]
	s_waitcnt vmcnt(28)
	v_fmac_f64_e32 v[100:101], v[92:93], v[40:41]
	v_add_f64 v[2:3], v[2:3], v[4:5]
	v_mul_f64 v[4:5], v[80:81], v[34:35]
	v_add_f64 v[102:103], v[98:99], v[100:101]
	ds_read_b128 v[98:101], v52 offset:1872
	s_waitcnt vmcnt(24) lgkmcnt(1)
	v_mul_f64 v[104:105], v[94:95], v[118:119]
	v_fma_f64 v[4:5], v[78:79], v[36:37], -v[4:5]
	s_waitcnt vmcnt(22)
	v_fmac_f64_e32 v[104:105], v[96:97], v[120:121]
	v_add_f64 v[2:3], v[2:3], v[4:5]
	v_mul_f64 v[4:5], v[84:85], v[30:31]
	v_add_f64 v[106:107], v[102:103], v[104:105]
	ds_read_b128 v[102:105], v52 offset:1888
	v_fma_f64 v[4:5], v[82:83], v[32:33], -v[4:5]
	v_add_f64 v[2:3], v[2:3], v[4:5]
	v_mul_f64 v[4:5], v[88:89], v[42:43]
	v_fma_f64 v[4:5], v[86:87], v[44:45], -v[4:5]
	s_waitcnt vmcnt(21) lgkmcnt(1)
	v_mul_f64 v[108:109], v[98:99], v[0:1]
	v_add_f64 v[2:3], v[2:3], v[4:5]
	v_mul_f64 v[4:5], v[92:93], v[38:39]
	s_waitcnt vmcnt(20)
	v_fmac_f64_e32 v[108:109], v[100:101], v[50:51]
	v_fma_f64 v[4:5], v[90:91], v[40:41], -v[4:5]
	v_add_f64 v[110:111], v[106:107], v[108:109]
	ds_read_b128 v[106:109], v52 offset:1904
	s_waitcnt vmcnt(16) lgkmcnt(1)
	v_mul_f64 v[112:113], v[102:103], v[126:127]
	v_add_f64 v[2:3], v[2:3], v[4:5]
	v_mul_f64 v[4:5], v[96:97], v[118:119]
	s_waitcnt vmcnt(14)
	v_fmac_f64_e32 v[112:113], v[104:105], v[128:129]
	v_fma_f64 v[4:5], v[94:95], v[120:121], -v[4:5]
	v_mul_f64 v[0:1], v[100:101], v[0:1]
	v_add_f64 v[142:143], v[110:111], v[112:113]
	ds_read_b128 v[110:113], v52 offset:1920
	v_add_f64 v[2:3], v[2:3], v[4:5]
	v_fma_f64 v[0:1], v[98:99], v[50:51], -v[0:1]
	v_add_f64 v[0:1], v[2:3], v[0:1]
	v_mul_f64 v[2:3], v[104:105], v[126:127]
	v_fma_f64 v[2:3], v[102:103], v[128:129], -v[2:3]
	v_add_f64 v[0:1], v[0:1], v[2:3]
	s_waitcnt vmcnt(13) lgkmcnt(1)
	v_mul_f64 v[2:3], v[108:109], v[122:123]
	v_mul_f64 v[144:145], v[106:107], v[122:123]
	s_waitcnt vmcnt(12)
	v_fma_f64 v[2:3], v[106:107], v[124:125], -v[2:3]
	v_fmac_f64_e32 v[144:145], v[108:109], v[124:125]
	v_add_f64 v[0:1], v[0:1], v[2:3]
	s_waitcnt vmcnt(8) lgkmcnt(0)
	v_mul_f64 v[2:3], v[112:113], v[134:135]
	v_add_f64 v[142:143], v[142:143], v[144:145]
	v_mul_f64 v[144:145], v[110:111], v[134:135]
	s_waitcnt vmcnt(6)
	v_fma_f64 v[2:3], v[110:111], v[136:137], -v[2:3]
	v_fmac_f64_e32 v[144:145], v[112:113], v[136:137]
	v_add_f64 v[0:1], v[0:1], v[2:3]
	s_waitcnt vmcnt(5)
	v_mul_f64 v[2:3], v[116:117], v[130:131]
	v_add_f64 v[142:143], v[142:143], v[144:145]
	v_mul_f64 v[144:145], v[114:115], v[130:131]
	s_waitcnt vmcnt(4)
	v_fma_f64 v[2:3], v[114:115], v[132:133], -v[2:3]
	v_fmac_f64_e32 v[144:145], v[116:117], v[132:133]
	v_add_f64 v[0:1], v[0:1], v[2:3]
	v_add_f64 v[142:143], v[142:143], v[144:145]
	s_waitcnt vmcnt(2)
	v_add_f64 v[0:1], v[138:139], -v[0:1]
	s_waitcnt vmcnt(0)
	v_add_f64 v[2:3], v[140:141], -v[142:143]
	buffer_store_dword v1, off, s[0:3], 0 offset:708
	buffer_store_dword v0, off, s[0:3], 0 offset:704
	;; [unrolled: 1-line block ×4, first 2 shown]
	s_and_saveexec_b64 s[4:5], vcc
	s_cbranch_execz .LBB124_307
; %bb.306:
	v_accvgpr_read_b32 v0, a140
	buffer_load_dword v2, v0, s[0:3], 0 offen
	buffer_load_dword v3, v0, s[0:3], 0 offen offset:4
	buffer_load_dword v4, v0, s[0:3], 0 offen offset:8
	;; [unrolled: 1-line block ×3, first 2 shown]
	v_accvgpr_read_b32 v0, a183
	buffer_store_dword v52, off, s[0:3], 0 offset:688
	buffer_store_dword v52, off, s[0:3], 0 offset:692
	;; [unrolled: 1-line block ×4, first 2 shown]
	s_waitcnt vmcnt(4)
	ds_write_b128 v0, v[2:5]
.LBB124_307:
	s_or_b64 exec, exec, s[4:5]
	s_waitcnt lgkmcnt(0)
	; wave barrier
	s_waitcnt lgkmcnt(0)
	buffer_load_dword v2, off, s[0:3], 0 offset:704
	buffer_load_dword v3, off, s[0:3], 0 offset:708
	;; [unrolled: 1-line block ×72, first 2 shown]
	ds_read_b128 v[54:57], v52 offset:1664
	buffer_load_dword v146, off, s[0:3], 0 offset:688
	buffer_load_dword v147, off, s[0:3], 0 offset:692
	;; [unrolled: 1-line block ×4, first 2 shown]
	ds_read_b128 v[58:61], v52 offset:1680
	ds_read_b128 v[62:65], v52 offset:1696
	;; [unrolled: 1-line block ×3, first 2 shown]
	v_cmp_lt_u32_e32 vcc, 41, v226
	ds_read_b128 v[122:125], v52 offset:1936
	s_waitcnt vmcnt(62) lgkmcnt(4)
	v_mul_f64 v[70:71], v[54:55], v[8:9]
	v_fmac_f64_e32 v[70:71], v[56:57], v[2:3]
	v_add_f64 v[70:71], v[70:71], 0
	v_mul_f64 v[8:9], v[56:57], v[8:9]
	s_waitcnt lgkmcnt(3)
	v_mul_f64 v[72:73], v[58:59], v[10:11]
	v_fmac_f64_e32 v[72:73], v[60:61], v[4:5]
	v_add_f64 v[70:71], v[70:71], v[72:73]
	v_fma_f64 v[2:3], v[54:55], v[2:3], -v[8:9]
	s_waitcnt lgkmcnt(2)
	v_mul_f64 v[72:73], v[62:63], v[12:13]
	v_fmac_f64_e32 v[72:73], v[64:65], v[6:7]
	v_add_f64 v[74:75], v[70:71], v[72:73]
	ds_read_b128 v[70:73], v52 offset:1728
	s_waitcnt vmcnt(60) lgkmcnt(2)
	v_mul_f64 v[76:77], v[66:67], v[18:19]
	v_mul_f64 v[8:9], v[60:61], v[10:11]
	s_waitcnt vmcnt(58)
	v_fmac_f64_e32 v[76:77], v[68:69], v[20:21]
	v_add_f64 v[78:79], v[74:75], v[76:77]
	ds_read_b128 v[74:77], v52 offset:1744
	s_waitcnt vmcnt(57) lgkmcnt(1)
	v_mul_f64 v[80:81], v[70:71], v[14:15]
	s_waitcnt vmcnt(56)
	v_fmac_f64_e32 v[80:81], v[72:73], v[16:17]
	v_add_f64 v[82:83], v[78:79], v[80:81]
	ds_read_b128 v[78:81], v52 offset:1760
	s_waitcnt vmcnt(52) lgkmcnt(1)
	;; [unrolled: 6-line block ×4, first 2 shown]
	v_mul_f64 v[92:93], v[82:83], v[34:35]
	s_waitcnt vmcnt(42)
	v_fmac_f64_e32 v[92:93], v[84:85], v[36:37]
	v_add_f64 v[2:3], v[2:3], 0
	v_fma_f64 v[4:5], v[58:59], v[4:5], -v[8:9]
	v_add_f64 v[94:95], v[90:91], v[92:93]
	ds_read_b128 v[90:93], v52 offset:1808
	s_waitcnt vmcnt(41) lgkmcnt(1)
	v_mul_f64 v[96:97], v[86:87], v[30:31]
	v_add_f64 v[2:3], v[2:3], v[4:5]
	v_mul_f64 v[4:5], v[64:65], v[12:13]
	s_waitcnt vmcnt(40)
	v_fmac_f64_e32 v[96:97], v[88:89], v[32:33]
	v_fma_f64 v[4:5], v[62:63], v[6:7], -v[4:5]
	v_add_f64 v[98:99], v[94:95], v[96:97]
	ds_read_b128 v[94:97], v52 offset:1824
	v_add_f64 v[2:3], v[2:3], v[4:5]
	v_mul_f64 v[4:5], v[68:69], v[18:19]
	v_fma_f64 v[4:5], v[66:67], v[20:21], -v[4:5]
	v_add_f64 v[2:3], v[2:3], v[4:5]
	v_mul_f64 v[4:5], v[72:73], v[14:15]
	s_waitcnt vmcnt(36) lgkmcnt(1)
	v_mul_f64 v[100:101], v[90:91], v[42:43]
	v_fma_f64 v[4:5], v[70:71], v[16:17], -v[4:5]
	s_waitcnt vmcnt(34)
	v_fmac_f64_e32 v[100:101], v[92:93], v[44:45]
	v_add_f64 v[2:3], v[2:3], v[4:5]
	v_mul_f64 v[4:5], v[76:77], v[26:27]
	v_add_f64 v[102:103], v[98:99], v[100:101]
	ds_read_b128 v[98:101], v52 offset:1840
	s_waitcnt vmcnt(33) lgkmcnt(1)
	v_mul_f64 v[104:105], v[94:95], v[38:39]
	v_fma_f64 v[4:5], v[74:75], v[28:29], -v[4:5]
	s_waitcnt vmcnt(32)
	v_fmac_f64_e32 v[104:105], v[96:97], v[40:41]
	v_add_f64 v[2:3], v[2:3], v[4:5]
	v_mul_f64 v[4:5], v[80:81], v[22:23]
	v_add_f64 v[106:107], v[102:103], v[104:105]
	ds_read_b128 v[102:105], v52 offset:1856
	v_fma_f64 v[4:5], v[78:79], v[24:25], -v[4:5]
	v_add_f64 v[2:3], v[2:3], v[4:5]
	v_mul_f64 v[4:5], v[84:85], v[34:35]
	v_fma_f64 v[4:5], v[82:83], v[36:37], -v[4:5]
	s_waitcnt vmcnt(28) lgkmcnt(1)
	v_mul_f64 v[108:109], v[98:99], v[50:51]
	v_add_f64 v[2:3], v[2:3], v[4:5]
	v_mul_f64 v[4:5], v[88:89], v[30:31]
	s_waitcnt vmcnt(26)
	v_fmac_f64_e32 v[108:109], v[100:101], v[0:1]
	v_fma_f64 v[4:5], v[86:87], v[32:33], -v[4:5]
	v_add_f64 v[110:111], v[106:107], v[108:109]
	ds_read_b128 v[106:109], v52 offset:1872
	s_waitcnt vmcnt(25) lgkmcnt(1)
	v_mul_f64 v[112:113], v[102:103], v[46:47]
	v_add_f64 v[2:3], v[2:3], v[4:5]
	v_mul_f64 v[4:5], v[92:93], v[42:43]
	s_waitcnt vmcnt(24)
	v_fmac_f64_e32 v[112:113], v[104:105], v[48:49]
	v_fma_f64 v[4:5], v[90:91], v[44:45], -v[4:5]
	v_add_f64 v[114:115], v[110:111], v[112:113]
	ds_read_b128 v[110:113], v52 offset:1888
	v_add_f64 v[2:3], v[2:3], v[4:5]
	v_mul_f64 v[4:5], v[96:97], v[38:39]
	v_fma_f64 v[4:5], v[94:95], v[40:41], -v[4:5]
	v_add_f64 v[2:3], v[2:3], v[4:5]
	v_mul_f64 v[4:5], v[100:101], v[50:51]
	s_waitcnt vmcnt(20) lgkmcnt(1)
	v_mul_f64 v[116:117], v[106:107], v[130:131]
	v_fma_f64 v[0:1], v[98:99], v[0:1], -v[4:5]
	s_waitcnt vmcnt(18)
	v_fmac_f64_e32 v[116:117], v[108:109], v[132:133]
	v_add_f64 v[0:1], v[2:3], v[0:1]
	v_mul_f64 v[2:3], v[104:105], v[46:47]
	v_add_f64 v[118:119], v[114:115], v[116:117]
	ds_read_b128 v[114:117], v52 offset:1904
	s_waitcnt vmcnt(17) lgkmcnt(1)
	v_mul_f64 v[120:121], v[110:111], v[126:127]
	v_fma_f64 v[2:3], v[102:103], v[48:49], -v[2:3]
	s_waitcnt vmcnt(16)
	v_fmac_f64_e32 v[120:121], v[112:113], v[128:129]
	v_add_f64 v[0:1], v[0:1], v[2:3]
	v_mul_f64 v[2:3], v[108:109], v[130:131]
	v_add_f64 v[150:151], v[118:119], v[120:121]
	ds_read_b128 v[118:121], v52 offset:1920
	v_fma_f64 v[2:3], v[106:107], v[132:133], -v[2:3]
	v_add_f64 v[0:1], v[0:1], v[2:3]
	v_mul_f64 v[2:3], v[112:113], v[126:127]
	v_fma_f64 v[2:3], v[110:111], v[128:129], -v[2:3]
	v_add_f64 v[0:1], v[0:1], v[2:3]
	s_waitcnt vmcnt(12) lgkmcnt(1)
	v_mul_f64 v[2:3], v[116:117], v[138:139]
	v_mul_f64 v[152:153], v[114:115], v[138:139]
	s_waitcnt vmcnt(10)
	v_fma_f64 v[2:3], v[114:115], v[140:141], -v[2:3]
	v_fmac_f64_e32 v[152:153], v[116:117], v[140:141]
	v_add_f64 v[0:1], v[0:1], v[2:3]
	s_waitcnt vmcnt(9) lgkmcnt(0)
	v_mul_f64 v[2:3], v[120:121], v[134:135]
	v_add_f64 v[52:53], v[150:151], v[152:153]
	v_mul_f64 v[150:151], v[118:119], v[134:135]
	s_waitcnt vmcnt(8)
	v_fma_f64 v[2:3], v[118:119], v[136:137], -v[2:3]
	v_fmac_f64_e32 v[150:151], v[120:121], v[136:137]
	v_add_f64 v[0:1], v[0:1], v[2:3]
	s_waitcnt vmcnt(6)
	v_mul_f64 v[2:3], v[124:125], v[142:143]
	v_add_f64 v[52:53], v[52:53], v[150:151]
	v_mul_f64 v[150:151], v[122:123], v[142:143]
	s_waitcnt vmcnt(4)
	v_fma_f64 v[2:3], v[122:123], v[144:145], -v[2:3]
	v_fmac_f64_e32 v[150:151], v[124:125], v[144:145]
	v_add_f64 v[0:1], v[0:1], v[2:3]
	v_add_f64 v[52:53], v[52:53], v[150:151]
	s_waitcnt vmcnt(2)
	v_add_f64 v[0:1], v[146:147], -v[0:1]
	s_waitcnt vmcnt(0)
	v_add_f64 v[2:3], v[148:149], -v[52:53]
	buffer_store_dword v1, off, s[0:3], 0 offset:692
	buffer_store_dword v0, off, s[0:3], 0 offset:688
	;; [unrolled: 1-line block ×4, first 2 shown]
	s_and_saveexec_b64 s[4:5], vcc
	s_cbranch_execz .LBB124_309
; %bb.308:
	v_accvgpr_read_b32 v0, a141
	buffer_load_dword v2, v0, s[0:3], 0 offen
	buffer_load_dword v3, v0, s[0:3], 0 offen offset:4
	buffer_load_dword v4, v0, s[0:3], 0 offen offset:8
	;; [unrolled: 1-line block ×3, first 2 shown]
	v_mov_b32_e32 v0, 0
	v_accvgpr_read_b32 v1, a183
	buffer_store_dword v0, off, s[0:3], 0 offset:672
	buffer_store_dword v0, off, s[0:3], 0 offset:676
	;; [unrolled: 1-line block ×4, first 2 shown]
	s_waitcnt vmcnt(4)
	ds_write_b128 v1, v[2:5]
.LBB124_309:
	s_or_b64 exec, exec, s[4:5]
	s_waitcnt lgkmcnt(0)
	; wave barrier
	s_waitcnt lgkmcnt(0)
	buffer_load_dword v2, off, s[0:3], 0 offset:688
	buffer_load_dword v3, off, s[0:3], 0 offset:692
	buffer_load_dword v8, off, s[0:3], 0 offset:696
	buffer_load_dword v9, off, s[0:3], 0 offset:700
	buffer_load_dword v4, off, s[0:3], 0 offset:704
	buffer_load_dword v5, off, s[0:3], 0 offset:708
	buffer_load_dword v10, off, s[0:3], 0 offset:712
	buffer_load_dword v11, off, s[0:3], 0 offset:716
	buffer_load_dword v6, off, s[0:3], 0 offset:720
	buffer_load_dword v7, off, s[0:3], 0 offset:724
	buffer_load_dword v12, off, s[0:3], 0 offset:728
	buffer_load_dword v13, off, s[0:3], 0 offset:732
	buffer_load_dword v15, off, s[0:3], 0 offset:764
	buffer_load_dword v17, off, s[0:3], 0 offset:756
	buffer_load_dword v19, off, s[0:3], 0 offset:748
	buffer_load_dword v18, off, s[0:3], 0 offset:744
	buffer_load_dword v21, off, s[0:3], 0 offset:740
	buffer_load_dword v20, off, s[0:3], 0 offset:736
	buffer_load_dword v14, off, s[0:3], 0 offset:760
	buffer_load_dword v16, off, s[0:3], 0 offset:752
	buffer_load_dword v23, off, s[0:3], 0 offset:796
	buffer_load_dword v25, off, s[0:3], 0 offset:788
	buffer_load_dword v27, off, s[0:3], 0 offset:780
	buffer_load_dword v26, off, s[0:3], 0 offset:776
	buffer_load_dword v29, off, s[0:3], 0 offset:772
	buffer_load_dword v28, off, s[0:3], 0 offset:768
	buffer_load_dword v22, off, s[0:3], 0 offset:792
	buffer_load_dword v24, off, s[0:3], 0 offset:784
	buffer_load_dword v31, off, s[0:3], 0 offset:828
	buffer_load_dword v33, off, s[0:3], 0 offset:820
	buffer_load_dword v35, off, s[0:3], 0 offset:812
	buffer_load_dword v34, off, s[0:3], 0 offset:808
	buffer_load_dword v37, off, s[0:3], 0 offset:804
	buffer_load_dword v36, off, s[0:3], 0 offset:800
	buffer_load_dword v30, off, s[0:3], 0 offset:824
	buffer_load_dword v32, off, s[0:3], 0 offset:816
	buffer_load_dword v39, off, s[0:3], 0 offset:860
	buffer_load_dword v41, off, s[0:3], 0 offset:852
	buffer_load_dword v43, off, s[0:3], 0 offset:844
	buffer_load_dword v42, off, s[0:3], 0 offset:840
	buffer_load_dword v45, off, s[0:3], 0 offset:836
	buffer_load_dword v44, off, s[0:3], 0 offset:832
	buffer_load_dword v38, off, s[0:3], 0 offset:856
	buffer_load_dword v40, off, s[0:3], 0 offset:848
	buffer_load_dword v47, off, s[0:3], 0 offset:892
	buffer_load_dword v49, off, s[0:3], 0 offset:884
	buffer_load_dword v51, off, s[0:3], 0 offset:876
	buffer_load_dword v50, off, s[0:3], 0 offset:872
	buffer_load_dword v53, off, s[0:3], 0 offset:868
	buffer_load_dword v52, off, s[0:3], 0 offset:864
	buffer_load_dword v46, off, s[0:3], 0 offset:888
	buffer_load_dword v48, off, s[0:3], 0 offset:880
	buffer_load_dword v1, off, s[0:3], 0 offset:924
	buffer_load_dword v133, off, s[0:3], 0 offset:916
	buffer_load_dword v135, off, s[0:3], 0 offset:908
	buffer_load_dword v134, off, s[0:3], 0 offset:904
	buffer_load_dword v137, off, s[0:3], 0 offset:900
	buffer_load_dword v136, off, s[0:3], 0 offset:896
	buffer_load_dword v0, off, s[0:3], 0 offset:920
	buffer_load_dword v132, off, s[0:3], 0 offset:912
	buffer_load_dword v139, off, s[0:3], 0 offset:956
	buffer_load_dword v141, off, s[0:3], 0 offset:948
	buffer_load_dword v143, off, s[0:3], 0 offset:940
	buffer_load_dword v142, off, s[0:3], 0 offset:936
	buffer_load_dword v145, off, s[0:3], 0 offset:932
	buffer_load_dword v144, off, s[0:3], 0 offset:928
	buffer_load_dword v138, off, s[0:3], 0 offset:952
	buffer_load_dword v140, off, s[0:3], 0 offset:944
	buffer_load_dword v147, off, s[0:3], 0 offset:988
	buffer_load_dword v149, off, s[0:3], 0 offset:980
	buffer_load_dword v151, off, s[0:3], 0 offset:972
	buffer_load_dword v150, off, s[0:3], 0 offset:968
	buffer_load_dword v153, off, s[0:3], 0 offset:964
	buffer_load_dword v152, off, s[0:3], 0 offset:960
	buffer_load_dword v146, off, s[0:3], 0 offset:984
	buffer_load_dword v148, off, s[0:3], 0 offset:976
	v_mov_b32_e32 v54, 0
	ds_read_b128 v[56:59], v54 offset:1648
	buffer_load_dword v154, off, s[0:3], 0 offset:672
	buffer_load_dword v155, off, s[0:3], 0 offset:676
	buffer_load_dword v156, off, s[0:3], 0 offset:680
	buffer_load_dword v157, off, s[0:3], 0 offset:684
	ds_read_b128 v[60:63], v54 offset:1664
	ds_read_b128 v[64:67], v54 offset:1680
	;; [unrolled: 1-line block ×4, first 2 shown]
	v_cmp_lt_u32_e32 vcc, 40, v226
	s_waitcnt vmcnt(62) lgkmcnt(4)
	v_mul_f64 v[72:73], v[56:57], v[8:9]
	v_fmac_f64_e32 v[72:73], v[58:59], v[2:3]
	v_add_f64 v[72:73], v[72:73], 0
	v_mul_f64 v[8:9], v[58:59], v[8:9]
	s_waitcnt lgkmcnt(3)
	v_mul_f64 v[74:75], v[60:61], v[10:11]
	v_fmac_f64_e32 v[74:75], v[62:63], v[4:5]
	v_add_f64 v[72:73], v[72:73], v[74:75]
	v_fma_f64 v[2:3], v[56:57], v[2:3], -v[8:9]
	s_waitcnt lgkmcnt(2)
	v_mul_f64 v[74:75], v[64:65], v[12:13]
	v_fmac_f64_e32 v[74:75], v[66:67], v[6:7]
	v_add_f64 v[76:77], v[72:73], v[74:75]
	ds_read_b128 v[72:75], v54 offset:1712
	s_waitcnt lgkmcnt(2)
	v_mul_f64 v[78:79], v[68:69], v[18:19]
	v_mul_f64 v[8:9], v[62:63], v[10:11]
	v_fmac_f64_e32 v[78:79], v[70:71], v[20:21]
	v_add_f64 v[80:81], v[76:77], v[78:79]
	ds_read_b128 v[76:79], v54 offset:1728
	s_waitcnt vmcnt(61) lgkmcnt(1)
	v_mul_f64 v[82:83], v[72:73], v[14:15]
	s_waitcnt vmcnt(60)
	v_fmac_f64_e32 v[82:83], v[74:75], v[16:17]
	v_add_f64 v[84:85], v[80:81], v[82:83]
	ds_read_b128 v[80:83], v54 offset:1744
	s_waitcnt vmcnt(56) lgkmcnt(1)
	v_mul_f64 v[86:87], v[76:77], v[26:27]
	s_waitcnt vmcnt(54)
	;; [unrolled: 6-line block ×4, first 2 shown]
	v_fmac_f64_e32 v[94:95], v[86:87], v[36:37]
	v_add_f64 v[96:97], v[92:93], v[94:95]
	ds_read_b128 v[92:95], v54 offset:1792
	s_waitcnt vmcnt(45) lgkmcnt(1)
	v_mul_f64 v[98:99], v[88:89], v[30:31]
	v_add_f64 v[2:3], v[2:3], 0
	v_fma_f64 v[4:5], v[60:61], v[4:5], -v[8:9]
	s_waitcnt vmcnt(44)
	v_fmac_f64_e32 v[98:99], v[90:91], v[32:33]
	v_add_f64 v[2:3], v[2:3], v[4:5]
	v_mul_f64 v[4:5], v[66:67], v[12:13]
	v_add_f64 v[100:101], v[96:97], v[98:99]
	ds_read_b128 v[96:99], v54 offset:1808
	s_waitcnt vmcnt(40) lgkmcnt(1)
	v_mul_f64 v[102:103], v[92:93], v[42:43]
	v_fma_f64 v[4:5], v[64:65], v[6:7], -v[4:5]
	s_waitcnt vmcnt(38)
	v_fmac_f64_e32 v[102:103], v[94:95], v[44:45]
	v_add_f64 v[2:3], v[2:3], v[4:5]
	v_mul_f64 v[4:5], v[70:71], v[18:19]
	v_add_f64 v[104:105], v[100:101], v[102:103]
	ds_read_b128 v[100:103], v54 offset:1824
	v_fma_f64 v[4:5], v[68:69], v[20:21], -v[4:5]
	v_add_f64 v[2:3], v[2:3], v[4:5]
	v_mul_f64 v[4:5], v[74:75], v[14:15]
	v_fma_f64 v[4:5], v[72:73], v[16:17], -v[4:5]
	s_waitcnt vmcnt(37) lgkmcnt(1)
	v_mul_f64 v[106:107], v[96:97], v[38:39]
	v_add_f64 v[2:3], v[2:3], v[4:5]
	v_mul_f64 v[4:5], v[78:79], v[26:27]
	s_waitcnt vmcnt(36)
	v_fmac_f64_e32 v[106:107], v[98:99], v[40:41]
	v_fma_f64 v[4:5], v[76:77], v[28:29], -v[4:5]
	v_add_f64 v[108:109], v[104:105], v[106:107]
	ds_read_b128 v[104:107], v54 offset:1840
	s_waitcnt vmcnt(32) lgkmcnt(1)
	v_mul_f64 v[110:111], v[100:101], v[50:51]
	v_add_f64 v[2:3], v[2:3], v[4:5]
	v_mul_f64 v[4:5], v[82:83], v[22:23]
	s_waitcnt vmcnt(30)
	v_fmac_f64_e32 v[110:111], v[102:103], v[52:53]
	v_fma_f64 v[4:5], v[80:81], v[24:25], -v[4:5]
	v_add_f64 v[112:113], v[108:109], v[110:111]
	ds_read_b128 v[108:111], v54 offset:1856
	v_add_f64 v[2:3], v[2:3], v[4:5]
	v_mul_f64 v[4:5], v[86:87], v[34:35]
	v_fma_f64 v[4:5], v[84:85], v[36:37], -v[4:5]
	v_add_f64 v[2:3], v[2:3], v[4:5]
	v_mul_f64 v[4:5], v[90:91], v[30:31]
	s_waitcnt vmcnt(29) lgkmcnt(1)
	v_mul_f64 v[114:115], v[104:105], v[46:47]
	v_fma_f64 v[4:5], v[88:89], v[32:33], -v[4:5]
	s_waitcnt vmcnt(28)
	v_fmac_f64_e32 v[114:115], v[106:107], v[48:49]
	v_add_f64 v[2:3], v[2:3], v[4:5]
	v_mul_f64 v[4:5], v[94:95], v[42:43]
	v_add_f64 v[116:117], v[112:113], v[114:115]
	ds_read_b128 v[112:115], v54 offset:1872
	s_waitcnt vmcnt(24) lgkmcnt(1)
	v_mul_f64 v[118:119], v[108:109], v[134:135]
	v_fma_f64 v[4:5], v[92:93], v[44:45], -v[4:5]
	s_waitcnt vmcnt(22)
	v_fmac_f64_e32 v[118:119], v[110:111], v[136:137]
	v_add_f64 v[2:3], v[2:3], v[4:5]
	v_mul_f64 v[4:5], v[98:99], v[38:39]
	v_add_f64 v[120:121], v[116:117], v[118:119]
	ds_read_b128 v[116:119], v54 offset:1888
	v_fma_f64 v[4:5], v[96:97], v[40:41], -v[4:5]
	v_add_f64 v[2:3], v[2:3], v[4:5]
	v_mul_f64 v[4:5], v[102:103], v[50:51]
	v_fma_f64 v[4:5], v[100:101], v[52:53], -v[4:5]
	s_waitcnt vmcnt(21) lgkmcnt(1)
	v_mul_f64 v[122:123], v[112:113], v[0:1]
	v_add_f64 v[2:3], v[2:3], v[4:5]
	v_mul_f64 v[4:5], v[106:107], v[46:47]
	s_waitcnt vmcnt(20)
	v_fmac_f64_e32 v[122:123], v[114:115], v[132:133]
	v_fma_f64 v[4:5], v[104:105], v[48:49], -v[4:5]
	v_add_f64 v[124:125], v[120:121], v[122:123]
	ds_read_b128 v[120:123], v54 offset:1904
	s_waitcnt vmcnt(16) lgkmcnt(1)
	v_mul_f64 v[126:127], v[116:117], v[142:143]
	v_add_f64 v[2:3], v[2:3], v[4:5]
	v_mul_f64 v[4:5], v[110:111], v[134:135]
	s_waitcnt vmcnt(14)
	v_fmac_f64_e32 v[126:127], v[118:119], v[144:145]
	v_fma_f64 v[4:5], v[108:109], v[136:137], -v[4:5]
	v_mul_f64 v[0:1], v[114:115], v[0:1]
	v_add_f64 v[158:159], v[124:125], v[126:127]
	ds_read_b128 v[124:127], v54 offset:1920
	v_add_f64 v[2:3], v[2:3], v[4:5]
	v_fma_f64 v[0:1], v[112:113], v[132:133], -v[0:1]
	v_add_f64 v[0:1], v[2:3], v[0:1]
	v_mul_f64 v[2:3], v[118:119], v[142:143]
	v_fma_f64 v[2:3], v[116:117], v[144:145], -v[2:3]
	v_add_f64 v[0:1], v[0:1], v[2:3]
	s_waitcnt vmcnt(13) lgkmcnt(1)
	v_mul_f64 v[2:3], v[122:123], v[138:139]
	v_mul_f64 v[160:161], v[120:121], v[138:139]
	s_waitcnt vmcnt(12)
	v_fma_f64 v[2:3], v[120:121], v[140:141], -v[2:3]
	v_fmac_f64_e32 v[160:161], v[122:123], v[140:141]
	v_add_f64 v[0:1], v[0:1], v[2:3]
	s_waitcnt vmcnt(8) lgkmcnt(0)
	v_mul_f64 v[2:3], v[126:127], v[150:151]
	v_add_f64 v[158:159], v[158:159], v[160:161]
	v_mul_f64 v[160:161], v[124:125], v[150:151]
	s_waitcnt vmcnt(6)
	v_fma_f64 v[2:3], v[124:125], v[152:153], -v[2:3]
	v_fmac_f64_e32 v[160:161], v[126:127], v[152:153]
	v_add_f64 v[0:1], v[0:1], v[2:3]
	s_waitcnt vmcnt(5)
	v_mul_f64 v[2:3], v[130:131], v[146:147]
	v_add_f64 v[158:159], v[158:159], v[160:161]
	v_mul_f64 v[160:161], v[128:129], v[146:147]
	s_waitcnt vmcnt(4)
	v_fma_f64 v[2:3], v[128:129], v[148:149], -v[2:3]
	v_fmac_f64_e32 v[160:161], v[130:131], v[148:149]
	v_add_f64 v[0:1], v[0:1], v[2:3]
	v_add_f64 v[158:159], v[158:159], v[160:161]
	s_waitcnt vmcnt(2)
	v_add_f64 v[0:1], v[154:155], -v[0:1]
	s_waitcnt vmcnt(0)
	v_add_f64 v[2:3], v[156:157], -v[158:159]
	buffer_store_dword v1, off, s[0:3], 0 offset:676
	buffer_store_dword v0, off, s[0:3], 0 offset:672
	;; [unrolled: 1-line block ×4, first 2 shown]
	s_and_saveexec_b64 s[4:5], vcc
	s_cbranch_execz .LBB124_311
; %bb.310:
	v_accvgpr_read_b32 v0, a142
	buffer_load_dword v2, v0, s[0:3], 0 offen
	buffer_load_dword v3, v0, s[0:3], 0 offen offset:4
	buffer_load_dword v4, v0, s[0:3], 0 offen offset:8
	;; [unrolled: 1-line block ×3, first 2 shown]
	v_accvgpr_read_b32 v0, a183
	buffer_store_dword v54, off, s[0:3], 0 offset:656
	buffer_store_dword v54, off, s[0:3], 0 offset:660
	;; [unrolled: 1-line block ×4, first 2 shown]
	s_waitcnt vmcnt(4)
	ds_write_b128 v0, v[2:5]
.LBB124_311:
	s_or_b64 exec, exec, s[4:5]
	s_waitcnt lgkmcnt(0)
	; wave barrier
	s_waitcnt lgkmcnt(0)
	buffer_load_dword v2, off, s[0:3], 0 offset:672
	buffer_load_dword v3, off, s[0:3], 0 offset:676
	;; [unrolled: 1-line block ×76, first 2 shown]
	ds_read_b128 v[56:59], v54 offset:1632
	buffer_load_dword v159, off, s[0:3], 0 offset:988
	buffer_load_dword v158, off, s[0:3], 0 offset:984
	;; [unrolled: 1-line block ×8, first 2 shown]
	ds_read_b128 v[60:63], v54 offset:1648
	ds_read_b128 v[64:67], v54 offset:1664
	;; [unrolled: 1-line block ×3, first 2 shown]
	v_cmp_lt_u32_e32 vcc, 39, v226
	ds_read_b128 v[132:135], v54 offset:1936
	s_waitcnt vmcnt(62) lgkmcnt(4)
	v_mul_f64 v[72:73], v[56:57], v[8:9]
	v_fmac_f64_e32 v[72:73], v[58:59], v[2:3]
	v_add_f64 v[72:73], v[72:73], 0
	v_mul_f64 v[8:9], v[58:59], v[8:9]
	s_waitcnt lgkmcnt(3)
	v_mul_f64 v[74:75], v[60:61], v[10:11]
	v_fmac_f64_e32 v[74:75], v[62:63], v[4:5]
	v_add_f64 v[72:73], v[72:73], v[74:75]
	v_fma_f64 v[2:3], v[56:57], v[2:3], -v[8:9]
	s_waitcnt lgkmcnt(2)
	v_mul_f64 v[74:75], v[64:65], v[12:13]
	v_fmac_f64_e32 v[74:75], v[66:67], v[6:7]
	v_add_f64 v[76:77], v[72:73], v[74:75]
	ds_read_b128 v[72:75], v54 offset:1696
	v_mul_f64 v[8:9], v[62:63], v[10:11]
	v_add_f64 v[2:3], v[2:3], 0
	s_waitcnt lgkmcnt(2)
	v_mul_f64 v[78:79], v[68:69], v[18:19]
	v_fma_f64 v[4:5], v[60:61], v[4:5], -v[8:9]
	v_fmac_f64_e32 v[78:79], v[70:71], v[20:21]
	v_add_f64 v[80:81], v[76:77], v[78:79]
	ds_read_b128 v[76:79], v54 offset:1712
	s_waitcnt lgkmcnt(1)
	v_mul_f64 v[82:83], v[72:73], v[14:15]
	v_fmac_f64_e32 v[82:83], v[74:75], v[16:17]
	v_add_f64 v[84:85], v[80:81], v[82:83]
	ds_read_b128 v[80:83], v54 offset:1728
	s_waitcnt vmcnt(58) lgkmcnt(1)
	v_mul_f64 v[86:87], v[76:77], v[26:27]
	s_waitcnt vmcnt(56)
	v_fmac_f64_e32 v[86:87], v[78:79], v[28:29]
	v_add_f64 v[88:89], v[84:85], v[86:87]
	ds_read_b128 v[84:87], v54 offset:1744
	s_waitcnt lgkmcnt(1)
	v_mul_f64 v[90:91], v[80:81], v[22:23]
	v_fmac_f64_e32 v[90:91], v[82:83], v[24:25]
	v_add_f64 v[92:93], v[88:89], v[90:91]
	ds_read_b128 v[88:91], v54 offset:1760
	s_waitcnt vmcnt(50) lgkmcnt(1)
	v_mul_f64 v[94:95], v[84:85], v[34:35]
	s_waitcnt vmcnt(48)
	v_fmac_f64_e32 v[94:95], v[86:87], v[36:37]
	v_add_f64 v[96:97], v[92:93], v[94:95]
	ds_read_b128 v[92:95], v54 offset:1776
	s_waitcnt lgkmcnt(1)
	v_mul_f64 v[98:99], v[88:89], v[30:31]
	v_fmac_f64_e32 v[98:99], v[90:91], v[32:33]
	v_add_f64 v[100:101], v[96:97], v[98:99]
	ds_read_b128 v[96:99], v54 offset:1792
	v_add_f64 v[2:3], v[2:3], v[4:5]
	v_mul_f64 v[4:5], v[66:67], v[12:13]
	s_waitcnt vmcnt(42) lgkmcnt(1)
	v_mul_f64 v[102:103], v[92:93], v[42:43]
	v_fma_f64 v[4:5], v[64:65], v[6:7], -v[4:5]
	s_waitcnt vmcnt(40)
	v_fmac_f64_e32 v[102:103], v[94:95], v[44:45]
	v_add_f64 v[2:3], v[2:3], v[4:5]
	v_mul_f64 v[4:5], v[70:71], v[18:19]
	v_add_f64 v[104:105], v[100:101], v[102:103]
	ds_read_b128 v[100:103], v54 offset:1808
	s_waitcnt lgkmcnt(1)
	v_mul_f64 v[106:107], v[96:97], v[38:39]
	v_fma_f64 v[4:5], v[68:69], v[20:21], -v[4:5]
	v_fmac_f64_e32 v[106:107], v[98:99], v[40:41]
	v_add_f64 v[2:3], v[2:3], v[4:5]
	v_mul_f64 v[4:5], v[74:75], v[14:15]
	v_add_f64 v[108:109], v[104:105], v[106:107]
	ds_read_b128 v[104:107], v54 offset:1824
	v_fma_f64 v[4:5], v[72:73], v[16:17], -v[4:5]
	v_add_f64 v[2:3], v[2:3], v[4:5]
	v_mul_f64 v[4:5], v[78:79], v[26:27]
	v_fma_f64 v[4:5], v[76:77], v[28:29], -v[4:5]
	s_waitcnt vmcnt(34) lgkmcnt(1)
	v_mul_f64 v[110:111], v[100:101], v[50:51]
	v_add_f64 v[2:3], v[2:3], v[4:5]
	v_mul_f64 v[4:5], v[82:83], v[22:23]
	s_waitcnt vmcnt(32)
	v_fmac_f64_e32 v[110:111], v[102:103], v[52:53]
	v_fma_f64 v[4:5], v[80:81], v[24:25], -v[4:5]
	v_add_f64 v[112:113], v[108:109], v[110:111]
	ds_read_b128 v[108:111], v54 offset:1840
	s_waitcnt lgkmcnt(1)
	v_mul_f64 v[114:115], v[104:105], v[46:47]
	v_add_f64 v[2:3], v[2:3], v[4:5]
	v_mul_f64 v[4:5], v[86:87], v[34:35]
	v_fmac_f64_e32 v[114:115], v[106:107], v[48:49]
	v_fma_f64 v[4:5], v[84:85], v[36:37], -v[4:5]
	v_add_f64 v[116:117], v[112:113], v[114:115]
	ds_read_b128 v[112:115], v54 offset:1856
	v_add_f64 v[2:3], v[2:3], v[4:5]
	v_mul_f64 v[4:5], v[90:91], v[30:31]
	v_fma_f64 v[4:5], v[88:89], v[32:33], -v[4:5]
	v_add_f64 v[2:3], v[2:3], v[4:5]
	v_mul_f64 v[4:5], v[94:95], v[42:43]
	s_waitcnt vmcnt(26) lgkmcnt(1)
	v_mul_f64 v[118:119], v[108:109], v[138:139]
	v_fma_f64 v[4:5], v[92:93], v[44:45], -v[4:5]
	s_waitcnt vmcnt(24)
	v_fmac_f64_e32 v[118:119], v[110:111], v[140:141]
	v_add_f64 v[2:3], v[2:3], v[4:5]
	v_mul_f64 v[4:5], v[98:99], v[38:39]
	v_add_f64 v[120:121], v[116:117], v[118:119]
	ds_read_b128 v[116:119], v54 offset:1872
	s_waitcnt lgkmcnt(1)
	v_mul_f64 v[122:123], v[112:113], v[0:1]
	v_fma_f64 v[4:5], v[96:97], v[40:41], -v[4:5]
	v_fmac_f64_e32 v[122:123], v[114:115], v[136:137]
	v_add_f64 v[2:3], v[2:3], v[4:5]
	v_mul_f64 v[4:5], v[102:103], v[50:51]
	v_add_f64 v[124:125], v[120:121], v[122:123]
	ds_read_b128 v[120:123], v54 offset:1888
	v_fma_f64 v[4:5], v[100:101], v[52:53], -v[4:5]
	v_add_f64 v[2:3], v[2:3], v[4:5]
	v_mul_f64 v[4:5], v[106:107], v[46:47]
	v_fma_f64 v[4:5], v[104:105], v[48:49], -v[4:5]
	s_waitcnt vmcnt(18) lgkmcnt(1)
	v_mul_f64 v[126:127], v[116:117], v[146:147]
	v_add_f64 v[2:3], v[2:3], v[4:5]
	v_mul_f64 v[4:5], v[110:111], v[138:139]
	s_waitcnt vmcnt(16)
	v_fmac_f64_e32 v[126:127], v[118:119], v[148:149]
	v_fma_f64 v[4:5], v[108:109], v[140:141], -v[4:5]
	v_mul_f64 v[0:1], v[114:115], v[0:1]
	v_add_f64 v[128:129], v[124:125], v[126:127]
	ds_read_b128 v[124:127], v54 offset:1904
	s_waitcnt lgkmcnt(1)
	v_mul_f64 v[130:131], v[120:121], v[142:143]
	v_add_f64 v[2:3], v[2:3], v[4:5]
	v_fma_f64 v[0:1], v[112:113], v[136:137], -v[0:1]
	v_fmac_f64_e32 v[130:131], v[122:123], v[144:145]
	v_add_f64 v[0:1], v[2:3], v[0:1]
	v_mul_f64 v[2:3], v[118:119], v[146:147]
	v_add_f64 v[166:167], v[128:129], v[130:131]
	ds_read_b128 v[128:131], v54 offset:1920
	v_fma_f64 v[2:3], v[116:117], v[148:149], -v[2:3]
	v_add_f64 v[0:1], v[0:1], v[2:3]
	v_mul_f64 v[2:3], v[122:123], v[142:143]
	v_fma_f64 v[2:3], v[120:121], v[144:145], -v[2:3]
	v_add_f64 v[0:1], v[0:1], v[2:3]
	s_waitcnt vmcnt(10) lgkmcnt(1)
	v_mul_f64 v[2:3], v[126:127], v[154:155]
	v_mul_f64 v[168:169], v[124:125], v[154:155]
	s_waitcnt vmcnt(8)
	v_fma_f64 v[2:3], v[124:125], v[156:157], -v[2:3]
	v_fmac_f64_e32 v[168:169], v[126:127], v[156:157]
	v_add_f64 v[0:1], v[0:1], v[2:3]
	s_waitcnt lgkmcnt(0)
	v_mul_f64 v[2:3], v[130:131], v[150:151]
	v_add_f64 v[54:55], v[166:167], v[168:169]
	v_mul_f64 v[166:167], v[128:129], v[150:151]
	v_fma_f64 v[2:3], v[128:129], v[152:153], -v[2:3]
	v_fmac_f64_e32 v[166:167], v[130:131], v[152:153]
	v_add_f64 v[0:1], v[0:1], v[2:3]
	s_waitcnt vmcnt(6)
	v_mul_f64 v[2:3], v[134:135], v[158:159]
	v_add_f64 v[54:55], v[54:55], v[166:167]
	v_mul_f64 v[166:167], v[132:133], v[158:159]
	s_waitcnt vmcnt(4)
	v_fma_f64 v[2:3], v[132:133], v[160:161], -v[2:3]
	v_fmac_f64_e32 v[166:167], v[134:135], v[160:161]
	v_add_f64 v[0:1], v[0:1], v[2:3]
	v_add_f64 v[54:55], v[54:55], v[166:167]
	s_waitcnt vmcnt(2)
	v_add_f64 v[0:1], v[162:163], -v[0:1]
	s_waitcnt vmcnt(0)
	v_add_f64 v[2:3], v[164:165], -v[54:55]
	buffer_store_dword v1, off, s[0:3], 0 offset:660
	buffer_store_dword v0, off, s[0:3], 0 offset:656
	;; [unrolled: 1-line block ×4, first 2 shown]
	s_and_saveexec_b64 s[4:5], vcc
	s_cbranch_execz .LBB124_313
; %bb.312:
	v_accvgpr_read_b32 v0, a143
	buffer_load_dword v2, v0, s[0:3], 0 offen
	buffer_load_dword v3, v0, s[0:3], 0 offen offset:4
	buffer_load_dword v4, v0, s[0:3], 0 offen offset:8
	;; [unrolled: 1-line block ×3, first 2 shown]
	v_mov_b32_e32 v0, 0
	v_accvgpr_read_b32 v1, a183
	buffer_store_dword v0, off, s[0:3], 0 offset:640
	buffer_store_dword v0, off, s[0:3], 0 offset:644
	;; [unrolled: 1-line block ×4, first 2 shown]
	s_waitcnt vmcnt(4)
	ds_write_b128 v1, v[2:5]
.LBB124_313:
	s_or_b64 exec, exec, s[4:5]
	s_waitcnt lgkmcnt(0)
	; wave barrier
	s_waitcnt lgkmcnt(0)
	buffer_load_dword v4, off, s[0:3], 0 offset:640
	buffer_load_dword v5, off, s[0:3], 0 offset:644
	;; [unrolled: 1-line block ×84, first 2 shown]
	v_mov_b32_e32 v86, 0
	ds_read_b128 v[66:69], v86 offset:1616
	buffer_load_dword v171, off, s[0:3], 0 offset:988
	buffer_load_dword v170, off, s[0:3], 0 offset:984
	buffer_load_dword v173, off, s[0:3], 0 offset:980
	buffer_load_dword v172, off, s[0:3], 0 offset:976
	ds_read_b128 v[70:73], v86 offset:1632
	ds_read_b128 v[74:77], v86 offset:1648
	;; [unrolled: 1-line block ×4, first 2 shown]
	v_cmp_lt_u32_e32 vcc, 38, v226
	s_waitcnt vmcnt(62) lgkmcnt(4)
	v_mul_f64 v[82:83], v[66:67], v[12:13]
	v_fmac_f64_e32 v[82:83], v[68:69], v[6:7]
	s_waitcnt lgkmcnt(3)
	v_mul_f64 v[84:85], v[70:71], v[14:15]
	v_add_f64 v[82:83], v[82:83], 0
	v_fmac_f64_e32 v[84:85], v[72:73], v[8:9]
	v_add_f64 v[82:83], v[82:83], v[84:85]
	s_waitcnt lgkmcnt(2)
	v_mul_f64 v[84:85], v[74:75], v[16:17]
	v_fmac_f64_e32 v[84:85], v[76:77], v[10:11]
	v_add_f64 v[88:89], v[82:83], v[84:85]
	ds_read_b128 v[82:85], v86 offset:1680
	v_mul_f64 v[12:13], v[68:69], v[12:13]
	s_waitcnt lgkmcnt(2)
	v_mul_f64 v[90:91], v[78:79], v[22:23]
	v_fma_f64 v[6:7], v[66:67], v[6:7], -v[12:13]
	v_fmac_f64_e32 v[90:91], v[80:81], v[24:25]
	v_add_f64 v[92:93], v[88:89], v[90:91]
	ds_read_b128 v[88:91], v86 offset:1696
	s_waitcnt lgkmcnt(1)
	v_mul_f64 v[94:95], v[82:83], v[18:19]
	v_fmac_f64_e32 v[94:95], v[84:85], v[20:21]
	v_add_f64 v[96:97], v[92:93], v[94:95]
	ds_read_b128 v[92:95], v86 offset:1712
	s_waitcnt vmcnt(58) lgkmcnt(1)
	v_mul_f64 v[98:99], v[88:89], v[30:31]
	s_waitcnt vmcnt(56)
	v_fmac_f64_e32 v[98:99], v[90:91], v[32:33]
	v_add_f64 v[100:101], v[96:97], v[98:99]
	ds_read_b128 v[96:99], v86 offset:1728
	s_waitcnt lgkmcnt(1)
	v_mul_f64 v[102:103], v[92:93], v[26:27]
	v_fmac_f64_e32 v[102:103], v[94:95], v[28:29]
	v_add_f64 v[104:105], v[100:101], v[102:103]
	ds_read_b128 v[100:103], v86 offset:1744
	s_waitcnt vmcnt(50) lgkmcnt(1)
	v_mul_f64 v[106:107], v[96:97], v[38:39]
	s_waitcnt vmcnt(48)
	v_fmac_f64_e32 v[106:107], v[98:99], v[40:41]
	v_add_f64 v[108:109], v[104:105], v[106:107]
	ds_read_b128 v[104:107], v86 offset:1760
	s_waitcnt lgkmcnt(1)
	v_mul_f64 v[110:111], v[100:101], v[34:35]
	v_fmac_f64_e32 v[110:111], v[102:103], v[36:37]
	v_add_f64 v[112:113], v[108:109], v[110:111]
	ds_read_b128 v[108:111], v86 offset:1776
	s_waitcnt vmcnt(42) lgkmcnt(1)
	v_mul_f64 v[114:115], v[104:105], v[46:47]
	v_mul_f64 v[12:13], v[72:73], v[14:15]
	s_waitcnt vmcnt(40)
	v_fmac_f64_e32 v[114:115], v[106:107], v[48:49]
	v_add_f64 v[6:7], v[6:7], 0
	v_fma_f64 v[8:9], v[70:71], v[8:9], -v[12:13]
	v_add_f64 v[116:117], v[112:113], v[114:115]
	ds_read_b128 v[112:115], v86 offset:1792
	v_add_f64 v[6:7], v[6:7], v[8:9]
	v_mul_f64 v[8:9], v[76:77], v[16:17]
	v_fma_f64 v[8:9], v[74:75], v[10:11], -v[8:9]
	v_add_f64 v[6:7], v[6:7], v[8:9]
	v_mul_f64 v[8:9], v[80:81], v[22:23]
	s_waitcnt lgkmcnt(1)
	v_mul_f64 v[118:119], v[108:109], v[42:43]
	v_fma_f64 v[8:9], v[78:79], v[24:25], -v[8:9]
	v_fmac_f64_e32 v[118:119], v[110:111], v[44:45]
	v_add_f64 v[6:7], v[6:7], v[8:9]
	v_mul_f64 v[8:9], v[84:85], v[18:19]
	v_add_f64 v[120:121], v[116:117], v[118:119]
	ds_read_b128 v[116:119], v86 offset:1808
	s_waitcnt vmcnt(34) lgkmcnt(1)
	v_mul_f64 v[122:123], v[112:113], v[54:55]
	v_fma_f64 v[8:9], v[82:83], v[20:21], -v[8:9]
	s_waitcnt vmcnt(32)
	v_fmac_f64_e32 v[122:123], v[114:115], v[56:57]
	v_add_f64 v[6:7], v[6:7], v[8:9]
	v_mul_f64 v[8:9], v[90:91], v[30:31]
	v_add_f64 v[124:125], v[120:121], v[122:123]
	ds_read_b128 v[120:123], v86 offset:1824
	v_fma_f64 v[8:9], v[88:89], v[32:33], -v[8:9]
	v_add_f64 v[6:7], v[6:7], v[8:9]
	v_mul_f64 v[8:9], v[94:95], v[26:27]
	v_fma_f64 v[8:9], v[92:93], v[28:29], -v[8:9]
	s_waitcnt lgkmcnt(1)
	v_mul_f64 v[126:127], v[116:117], v[50:51]
	v_add_f64 v[6:7], v[6:7], v[8:9]
	v_mul_f64 v[8:9], v[98:99], v[38:39]
	v_fmac_f64_e32 v[126:127], v[118:119], v[52:53]
	v_fma_f64 v[8:9], v[96:97], v[40:41], -v[8:9]
	v_add_f64 v[128:129], v[124:125], v[126:127]
	ds_read_b128 v[124:127], v86 offset:1840
	s_waitcnt vmcnt(26) lgkmcnt(1)
	v_mul_f64 v[130:131], v[120:121], v[62:63]
	v_add_f64 v[6:7], v[6:7], v[8:9]
	v_mul_f64 v[8:9], v[102:103], v[34:35]
	s_waitcnt vmcnt(24)
	v_fmac_f64_e32 v[130:131], v[122:123], v[64:65]
	v_fma_f64 v[8:9], v[100:101], v[36:37], -v[8:9]
	v_add_f64 v[132:133], v[128:129], v[130:131]
	ds_read_b128 v[128:131], v86 offset:1856
	v_add_f64 v[6:7], v[6:7], v[8:9]
	v_mul_f64 v[8:9], v[106:107], v[46:47]
	v_fma_f64 v[8:9], v[104:105], v[48:49], -v[8:9]
	v_add_f64 v[6:7], v[6:7], v[8:9]
	v_mul_f64 v[8:9], v[110:111], v[42:43]
	s_waitcnt lgkmcnt(1)
	v_mul_f64 v[134:135], v[124:125], v[58:59]
	v_fma_f64 v[8:9], v[108:109], v[44:45], -v[8:9]
	v_fmac_f64_e32 v[134:135], v[126:127], v[60:61]
	v_add_f64 v[6:7], v[6:7], v[8:9]
	v_mul_f64 v[8:9], v[114:115], v[54:55]
	v_add_f64 v[136:137], v[132:133], v[134:135]
	ds_read_b128 v[132:135], v86 offset:1872
	s_waitcnt vmcnt(18) lgkmcnt(1)
	v_mul_f64 v[138:139], v[128:129], v[150:151]
	v_fma_f64 v[8:9], v[112:113], v[56:57], -v[8:9]
	s_waitcnt vmcnt(16)
	v_fmac_f64_e32 v[138:139], v[130:131], v[156:157]
	v_add_f64 v[6:7], v[6:7], v[8:9]
	v_mul_f64 v[8:9], v[118:119], v[50:51]
	v_add_f64 v[140:141], v[136:137], v[138:139]
	ds_read_b128 v[136:139], v86 offset:1888
	v_fma_f64 v[8:9], v[116:117], v[52:53], -v[8:9]
	v_add_f64 v[6:7], v[6:7], v[8:9]
	v_mul_f64 v[8:9], v[122:123], v[62:63]
	v_fma_f64 v[8:9], v[120:121], v[64:65], -v[8:9]
	s_waitcnt lgkmcnt(1)
	v_mul_f64 v[142:143], v[132:133], v[0:1]
	v_add_f64 v[6:7], v[6:7], v[8:9]
	v_mul_f64 v[8:9], v[126:127], v[58:59]
	v_fmac_f64_e32 v[142:143], v[134:135], v[148:149]
	v_fma_f64 v[8:9], v[124:125], v[60:61], -v[8:9]
	v_add_f64 v[144:145], v[140:141], v[142:143]
	ds_read_b128 v[140:143], v86 offset:1904
	s_waitcnt vmcnt(10) lgkmcnt(1)
	v_mul_f64 v[146:147], v[136:137], v[162:163]
	v_add_f64 v[6:7], v[6:7], v[8:9]
	v_mul_f64 v[8:9], v[130:131], v[150:151]
	s_waitcnt vmcnt(8)
	v_fmac_f64_e32 v[146:147], v[138:139], v[164:165]
	v_fma_f64 v[8:9], v[128:129], v[156:157], -v[8:9]
	v_mul_f64 v[0:1], v[134:135], v[0:1]
	v_add_f64 v[174:175], v[144:145], v[146:147]
	ds_read_b128 v[144:147], v86 offset:1920
	v_add_f64 v[6:7], v[6:7], v[8:9]
	v_fma_f64 v[0:1], v[132:133], v[148:149], -v[0:1]
	v_add_f64 v[0:1], v[6:7], v[0:1]
	v_mul_f64 v[6:7], v[138:139], v[162:163]
	v_fma_f64 v[6:7], v[136:137], v[164:165], -v[6:7]
	v_add_f64 v[0:1], v[0:1], v[6:7]
	s_waitcnt lgkmcnt(1)
	v_mul_f64 v[6:7], v[142:143], v[158:159]
	v_mul_f64 v[176:177], v[140:141], v[158:159]
	v_fma_f64 v[6:7], v[140:141], v[160:161], -v[6:7]
	v_fmac_f64_e32 v[176:177], v[142:143], v[160:161]
	v_add_f64 v[0:1], v[0:1], v[6:7]
	s_waitcnt vmcnt(6) lgkmcnt(0)
	v_mul_f64 v[6:7], v[146:147], v[166:167]
	v_add_f64 v[174:175], v[174:175], v[176:177]
	v_mul_f64 v[176:177], v[144:145], v[166:167]
	s_waitcnt vmcnt(4)
	v_fma_f64 v[6:7], v[144:145], v[168:169], -v[6:7]
	v_fmac_f64_e32 v[176:177], v[146:147], v[168:169]
	v_add_f64 v[0:1], v[0:1], v[6:7]
	s_waitcnt vmcnt(2)
	v_mul_f64 v[6:7], v[154:155], v[170:171]
	v_add_f64 v[174:175], v[174:175], v[176:177]
	v_mul_f64 v[176:177], v[152:153], v[170:171]
	s_waitcnt vmcnt(0)
	v_fma_f64 v[6:7], v[152:153], v[172:173], -v[6:7]
	v_fmac_f64_e32 v[176:177], v[154:155], v[172:173]
	v_add_f64 v[0:1], v[0:1], v[6:7]
	v_add_f64 v[174:175], v[174:175], v[176:177]
	v_add_f64 v[0:1], v[4:5], -v[0:1]
	v_add_f64 v[2:3], v[2:3], -v[174:175]
	buffer_store_dword v1, off, s[0:3], 0 offset:644
	buffer_store_dword v0, off, s[0:3], 0 offset:640
	;; [unrolled: 1-line block ×4, first 2 shown]
	s_and_saveexec_b64 s[4:5], vcc
	s_cbranch_execz .LBB124_315
; %bb.314:
	v_accvgpr_read_b32 v0, a144
	buffer_load_dword v2, v0, s[0:3], 0 offen
	buffer_load_dword v3, v0, s[0:3], 0 offen offset:4
	buffer_load_dword v4, v0, s[0:3], 0 offen offset:8
	;; [unrolled: 1-line block ×3, first 2 shown]
	v_accvgpr_read_b32 v0, a183
	buffer_store_dword v86, off, s[0:3], 0 offset:624
	buffer_store_dword v86, off, s[0:3], 0 offset:628
	;; [unrolled: 1-line block ×4, first 2 shown]
	s_waitcnt vmcnt(4)
	ds_write_b128 v0, v[2:5]
.LBB124_315:
	s_or_b64 exec, exec, s[4:5]
	s_waitcnt lgkmcnt(0)
	; wave barrier
	s_waitcnt lgkmcnt(0)
	ds_read_b128 v[14:17], v86 offset:1600
	ds_read_b128 v[10:13], v86 offset:1616
	;; [unrolled: 1-line block ×4, first 2 shown]
	buffer_load_dword v20, off, s[0:3], 0 offset:624
	buffer_load_dword v21, off, s[0:3], 0 offset:628
	buffer_load_dword v18, off, s[0:3], 0 offset:632
	buffer_load_dword v19, off, s[0:3], 0 offset:636
	buffer_load_dword v22, off, s[0:3], 0 offset:640
	buffer_load_dword v23, off, s[0:3], 0 offset:644
	buffer_load_dword v28, off, s[0:3], 0 offset:648
	buffer_load_dword v29, off, s[0:3], 0 offset:652
	buffer_load_dword v24, off, s[0:3], 0 offset:656
	buffer_load_dword v25, off, s[0:3], 0 offset:660
	buffer_load_dword v30, off, s[0:3], 0 offset:664
	buffer_load_dword v31, off, s[0:3], 0 offset:668
	buffer_load_dword v26, off, s[0:3], 0 offset:672
	buffer_load_dword v27, off, s[0:3], 0 offset:676
	buffer_load_dword v32, off, s[0:3], 0 offset:680
	buffer_load_dword v33, off, s[0:3], 0 offset:684
	buffer_load_dword v35, off, s[0:3], 0 offset:716
	buffer_load_dword v34, off, s[0:3], 0 offset:712
	buffer_load_dword v37, off, s[0:3], 0 offset:708
	buffer_load_dword v36, off, s[0:3], 0 offset:704
	buffer_load_dword v39, off, s[0:3], 0 offset:700
	buffer_load_dword v38, off, s[0:3], 0 offset:696
	buffer_load_dword v41, off, s[0:3], 0 offset:692
	buffer_load_dword v40, off, s[0:3], 0 offset:688
	buffer_load_dword v43, off, s[0:3], 0 offset:748
	buffer_load_dword v42, off, s[0:3], 0 offset:744
	buffer_load_dword v45, off, s[0:3], 0 offset:740
	buffer_load_dword v44, off, s[0:3], 0 offset:736
	buffer_load_dword v47, off, s[0:3], 0 offset:732
	buffer_load_dword v46, off, s[0:3], 0 offset:728
	buffer_load_dword v49, off, s[0:3], 0 offset:724
	buffer_load_dword v48, off, s[0:3], 0 offset:720
	buffer_load_dword v51, off, s[0:3], 0 offset:780
	buffer_load_dword v50, off, s[0:3], 0 offset:776
	buffer_load_dword v53, off, s[0:3], 0 offset:772
	buffer_load_dword v52, off, s[0:3], 0 offset:768
	buffer_load_dword v55, off, s[0:3], 0 offset:764
	buffer_load_dword v54, off, s[0:3], 0 offset:760
	buffer_load_dword v57, off, s[0:3], 0 offset:756
	buffer_load_dword v56, off, s[0:3], 0 offset:752
	buffer_load_dword v59, off, s[0:3], 0 offset:812
	buffer_load_dword v58, off, s[0:3], 0 offset:808
	buffer_load_dword v61, off, s[0:3], 0 offset:804
	buffer_load_dword v60, off, s[0:3], 0 offset:800
	buffer_load_dword v63, off, s[0:3], 0 offset:796
	buffer_load_dword v62, off, s[0:3], 0 offset:792
	buffer_load_dword v65, off, s[0:3], 0 offset:788
	buffer_load_dword v64, off, s[0:3], 0 offset:784
	buffer_load_dword v67, off, s[0:3], 0 offset:844
	buffer_load_dword v66, off, s[0:3], 0 offset:840
	buffer_load_dword v69, off, s[0:3], 0 offset:836
	buffer_load_dword v68, off, s[0:3], 0 offset:832
	buffer_load_dword v71, off, s[0:3], 0 offset:828
	buffer_load_dword v70, off, s[0:3], 0 offset:824
	buffer_load_dword v73, off, s[0:3], 0 offset:820
	buffer_load_dword v72, off, s[0:3], 0 offset:816
	buffer_load_dword v75, off, s[0:3], 0 offset:876
	buffer_load_dword v74, off, s[0:3], 0 offset:872
	buffer_load_dword v77, off, s[0:3], 0 offset:868
	buffer_load_dword v76, off, s[0:3], 0 offset:864
	buffer_load_dword v79, off, s[0:3], 0 offset:860
	buffer_load_dword v78, off, s[0:3], 0 offset:856
	buffer_load_dword v81, off, s[0:3], 0 offset:852
	buffer_load_dword v80, off, s[0:3], 0 offset:848
	buffer_load_dword v83, off, s[0:3], 0 offset:908
	buffer_load_dword v82, off, s[0:3], 0 offset:904
	buffer_load_dword v85, off, s[0:3], 0 offset:900
	buffer_load_dword v84, off, s[0:3], 0 offset:896
	buffer_load_dword v1, off, s[0:3], 0 offset:892
	buffer_load_dword v0, off, s[0:3], 0 offset:888
	buffer_load_dword v149, off, s[0:3], 0 offset:884
	buffer_load_dword v148, off, s[0:3], 0 offset:880
	buffer_load_dword v151, off, s[0:3], 0 offset:940
	buffer_load_dword v150, off, s[0:3], 0 offset:936
	buffer_load_dword v165, off, s[0:3], 0 offset:932
	buffer_load_dword v164, off, s[0:3], 0 offset:928
	buffer_load_dword v167, off, s[0:3], 0 offset:924
	buffer_load_dword v166, off, s[0:3], 0 offset:920
	buffer_load_dword v169, off, s[0:3], 0 offset:916
	buffer_load_dword v168, off, s[0:3], 0 offset:912
	buffer_load_dword v171, off, s[0:3], 0 offset:972
	buffer_load_dword v170, off, s[0:3], 0 offset:968
	buffer_load_dword v173, off, s[0:3], 0 offset:964
	buffer_load_dword v172, off, s[0:3], 0 offset:960
	buffer_load_dword v175, off, s[0:3], 0 offset:956
	buffer_load_dword v174, off, s[0:3], 0 offset:952
	buffer_load_dword v177, off, s[0:3], 0 offset:948
	buffer_load_dword v176, off, s[0:3], 0 offset:944
	buffer_load_dword v179, off, s[0:3], 0 offset:988
	buffer_load_dword v178, off, s[0:3], 0 offset:984
	buffer_load_dword v181, off, s[0:3], 0 offset:980
	buffer_load_dword v180, off, s[0:3], 0 offset:976
	s_waitcnt vmcnt(62) lgkmcnt(3)
	v_mul_f64 v[88:89], v[14:15], v[28:29]
	v_fmac_f64_e32 v[88:89], v[16:17], v[22:23]
	s_waitcnt lgkmcnt(2)
	v_mul_f64 v[90:91], v[10:11], v[30:31]
	v_add_f64 v[88:89], v[88:89], 0
	v_fmac_f64_e32 v[90:91], v[12:13], v[24:25]
	v_add_f64 v[88:89], v[88:89], v[90:91]
	s_waitcnt lgkmcnt(1)
	v_mul_f64 v[90:91], v[6:7], v[32:33]
	v_fmac_f64_e32 v[90:91], v[8:9], v[26:27]
	v_add_f64 v[92:93], v[88:89], v[90:91]
	ds_read_b128 v[88:91], v86 offset:1664
	v_mul_f64 v[16:17], v[16:17], v[28:29]
	v_fma_f64 v[14:15], v[14:15], v[22:23], -v[16:17]
	s_waitcnt lgkmcnt(1)
	v_mul_f64 v[94:95], v[2:3], v[38:39]
	v_mul_f64 v[12:13], v[12:13], v[30:31]
	v_fmac_f64_e32 v[94:95], v[4:5], v[40:41]
	v_add_f64 v[96:97], v[92:93], v[94:95]
	ds_read_b128 v[92:95], v86 offset:1680
	s_waitcnt lgkmcnt(1)
	v_mul_f64 v[98:99], v[88:89], v[34:35]
	v_fmac_f64_e32 v[98:99], v[90:91], v[36:37]
	v_add_f64 v[100:101], v[96:97], v[98:99]
	ds_read_b128 v[96:99], v86 offset:1696
	s_waitcnt lgkmcnt(1)
	v_mul_f64 v[102:103], v[92:93], v[46:47]
	s_waitcnt vmcnt(60)
	v_fmac_f64_e32 v[102:103], v[94:95], v[48:49]
	v_add_f64 v[104:105], v[100:101], v[102:103]
	ds_read_b128 v[100:103], v86 offset:1712
	s_waitcnt lgkmcnt(1)
	v_mul_f64 v[106:107], v[96:97], v[42:43]
	v_fmac_f64_e32 v[106:107], v[98:99], v[44:45]
	v_add_f64 v[108:109], v[104:105], v[106:107]
	ds_read_b128 v[104:107], v86 offset:1728
	s_waitcnt vmcnt(54) lgkmcnt(1)
	v_mul_f64 v[110:111], v[100:101], v[54:55]
	s_waitcnt vmcnt(52)
	v_fmac_f64_e32 v[110:111], v[102:103], v[56:57]
	v_add_f64 v[112:113], v[108:109], v[110:111]
	ds_read_b128 v[108:111], v86 offset:1744
	s_waitcnt lgkmcnt(1)
	v_mul_f64 v[114:115], v[104:105], v[50:51]
	v_fmac_f64_e32 v[114:115], v[106:107], v[52:53]
	v_add_f64 v[116:117], v[112:113], v[114:115]
	ds_read_b128 v[112:115], v86 offset:1760
	s_waitcnt vmcnt(46) lgkmcnt(1)
	v_mul_f64 v[118:119], v[108:109], v[62:63]
	s_waitcnt vmcnt(44)
	v_fmac_f64_e32 v[118:119], v[110:111], v[64:65]
	v_add_f64 v[120:121], v[116:117], v[118:119]
	ds_read_b128 v[116:119], v86 offset:1776
	s_waitcnt lgkmcnt(1)
	v_mul_f64 v[122:123], v[112:113], v[58:59]
	v_fmac_f64_e32 v[122:123], v[114:115], v[60:61]
	v_add_f64 v[124:125], v[120:121], v[122:123]
	ds_read_b128 v[120:123], v86 offset:1792
	v_add_f64 v[14:15], v[14:15], 0
	v_fma_f64 v[10:11], v[10:11], v[24:25], -v[12:13]
	v_mul_f64 v[8:9], v[8:9], v[32:33]
	v_add_f64 v[10:11], v[14:15], v[10:11]
	v_fma_f64 v[6:7], v[6:7], v[26:27], -v[8:9]
	v_mul_f64 v[4:5], v[4:5], v[38:39]
	;; [unrolled: 3-line block ×3, first 2 shown]
	s_waitcnt vmcnt(38) lgkmcnt(1)
	v_mul_f64 v[126:127], v[116:117], v[70:71]
	v_add_f64 v[2:3], v[6:7], v[2:3]
	v_fma_f64 v[4:5], v[88:89], v[36:37], -v[4:5]
	s_waitcnt vmcnt(36)
	v_fmac_f64_e32 v[126:127], v[118:119], v[72:73]
	v_add_f64 v[2:3], v[2:3], v[4:5]
	v_mul_f64 v[4:5], v[94:95], v[46:47]
	v_add_f64 v[128:129], v[124:125], v[126:127]
	ds_read_b128 v[124:127], v86 offset:1808
	s_waitcnt lgkmcnt(1)
	v_mul_f64 v[130:131], v[120:121], v[66:67]
	v_fma_f64 v[4:5], v[92:93], v[48:49], -v[4:5]
	v_fmac_f64_e32 v[130:131], v[122:123], v[68:69]
	v_add_f64 v[2:3], v[2:3], v[4:5]
	v_mul_f64 v[4:5], v[98:99], v[42:43]
	v_add_f64 v[132:133], v[128:129], v[130:131]
	ds_read_b128 v[128:131], v86 offset:1824
	v_fma_f64 v[4:5], v[96:97], v[44:45], -v[4:5]
	v_add_f64 v[2:3], v[2:3], v[4:5]
	v_mul_f64 v[4:5], v[102:103], v[54:55]
	v_fma_f64 v[4:5], v[100:101], v[56:57], -v[4:5]
	s_waitcnt vmcnt(30) lgkmcnt(1)
	v_mul_f64 v[134:135], v[124:125], v[78:79]
	v_add_f64 v[2:3], v[2:3], v[4:5]
	v_mul_f64 v[4:5], v[106:107], v[50:51]
	s_waitcnt vmcnt(28)
	v_fmac_f64_e32 v[134:135], v[126:127], v[80:81]
	v_fma_f64 v[4:5], v[104:105], v[52:53], -v[4:5]
	v_add_f64 v[136:137], v[132:133], v[134:135]
	ds_read_b128 v[132:135], v86 offset:1840
	s_waitcnt lgkmcnt(1)
	v_mul_f64 v[138:139], v[128:129], v[74:75]
	v_add_f64 v[2:3], v[2:3], v[4:5]
	v_mul_f64 v[4:5], v[110:111], v[62:63]
	v_fmac_f64_e32 v[138:139], v[130:131], v[76:77]
	v_fma_f64 v[4:5], v[108:109], v[64:65], -v[4:5]
	v_add_f64 v[140:141], v[136:137], v[138:139]
	ds_read_b128 v[136:139], v86 offset:1856
	v_add_f64 v[2:3], v[2:3], v[4:5]
	v_mul_f64 v[4:5], v[114:115], v[58:59]
	v_fma_f64 v[4:5], v[112:113], v[60:61], -v[4:5]
	v_add_f64 v[2:3], v[2:3], v[4:5]
	v_mul_f64 v[4:5], v[118:119], v[70:71]
	s_waitcnt vmcnt(22) lgkmcnt(1)
	v_mul_f64 v[142:143], v[132:133], v[0:1]
	v_fma_f64 v[4:5], v[116:117], v[72:73], -v[4:5]
	s_waitcnt vmcnt(20)
	v_fmac_f64_e32 v[142:143], v[134:135], v[148:149]
	v_add_f64 v[2:3], v[2:3], v[4:5]
	v_mul_f64 v[4:5], v[122:123], v[66:67]
	v_add_f64 v[144:145], v[140:141], v[142:143]
	ds_read_b128 v[140:143], v86 offset:1872
	s_waitcnt lgkmcnt(1)
	v_mul_f64 v[146:147], v[136:137], v[82:83]
	v_fma_f64 v[4:5], v[120:121], v[68:69], -v[4:5]
	v_fmac_f64_e32 v[146:147], v[138:139], v[84:85]
	v_add_f64 v[2:3], v[2:3], v[4:5]
	v_mul_f64 v[4:5], v[126:127], v[78:79]
	v_add_f64 v[152:153], v[144:145], v[146:147]
	ds_read_b128 v[144:147], v86 offset:1888
	v_fma_f64 v[4:5], v[124:125], v[80:81], -v[4:5]
	v_add_f64 v[2:3], v[2:3], v[4:5]
	v_mul_f64 v[4:5], v[130:131], v[74:75]
	v_fma_f64 v[4:5], v[128:129], v[76:77], -v[4:5]
	v_mul_f64 v[0:1], v[134:135], v[0:1]
	s_waitcnt vmcnt(14) lgkmcnt(1)
	v_mul_f64 v[154:155], v[140:141], v[166:167]
	v_add_f64 v[2:3], v[2:3], v[4:5]
	v_fma_f64 v[0:1], v[132:133], v[148:149], -v[0:1]
	s_waitcnt vmcnt(12)
	v_fmac_f64_e32 v[154:155], v[142:143], v[168:169]
	v_add_f64 v[0:1], v[2:3], v[0:1]
	v_mul_f64 v[2:3], v[138:139], v[82:83]
	v_add_f64 v[156:157], v[152:153], v[154:155]
	ds_read_b128 v[152:155], v86 offset:1904
	s_waitcnt lgkmcnt(1)
	v_mul_f64 v[158:159], v[144:145], v[150:151]
	v_fma_f64 v[2:3], v[136:137], v[84:85], -v[2:3]
	v_fmac_f64_e32 v[158:159], v[146:147], v[164:165]
	v_add_f64 v[0:1], v[0:1], v[2:3]
	v_mul_f64 v[2:3], v[142:143], v[166:167]
	v_add_f64 v[182:183], v[156:157], v[158:159]
	ds_read_b128 v[156:159], v86 offset:1920
	ds_read_b128 v[160:163], v86 offset:1936
	v_fma_f64 v[2:3], v[140:141], v[168:169], -v[2:3]
	v_add_f64 v[0:1], v[0:1], v[2:3]
	v_mul_f64 v[2:3], v[146:147], v[150:151]
	v_fma_f64 v[2:3], v[144:145], v[164:165], -v[2:3]
	v_add_f64 v[0:1], v[0:1], v[2:3]
	s_waitcnt vmcnt(6) lgkmcnt(2)
	v_mul_f64 v[2:3], v[154:155], v[174:175]
	v_mul_f64 v[184:185], v[152:153], v[174:175]
	s_waitcnt vmcnt(4)
	v_fma_f64 v[2:3], v[152:153], v[176:177], -v[2:3]
	v_fmac_f64_e32 v[184:185], v[154:155], v[176:177]
	v_add_f64 v[0:1], v[0:1], v[2:3]
	s_waitcnt lgkmcnt(1)
	v_mul_f64 v[2:3], v[158:159], v[170:171]
	v_add_f64 v[86:87], v[182:183], v[184:185]
	v_mul_f64 v[182:183], v[156:157], v[170:171]
	v_fma_f64 v[2:3], v[156:157], v[172:173], -v[2:3]
	v_fmac_f64_e32 v[182:183], v[158:159], v[172:173]
	v_add_f64 v[0:1], v[0:1], v[2:3]
	s_waitcnt vmcnt(2) lgkmcnt(0)
	v_mul_f64 v[2:3], v[162:163], v[178:179]
	v_add_f64 v[86:87], v[86:87], v[182:183]
	v_mul_f64 v[182:183], v[160:161], v[178:179]
	s_waitcnt vmcnt(0)
	v_fma_f64 v[2:3], v[160:161], v[180:181], -v[2:3]
	v_fmac_f64_e32 v[182:183], v[162:163], v[180:181]
	v_add_f64 v[0:1], v[0:1], v[2:3]
	v_add_f64 v[86:87], v[86:87], v[182:183]
	v_add_f64 v[0:1], v[20:21], -v[0:1]
	v_cmp_lt_u32_e32 vcc, 37, v226
	v_add_f64 v[2:3], v[18:19], -v[86:87]
	buffer_store_dword v1, off, s[0:3], 0 offset:628
	buffer_store_dword v0, off, s[0:3], 0 offset:624
	buffer_store_dword v3, off, s[0:3], 0 offset:636
	buffer_store_dword v2, off, s[0:3], 0 offset:632
	s_and_saveexec_b64 s[4:5], vcc
	s_cbranch_execz .LBB124_317
; %bb.316:
	v_accvgpr_read_b32 v0, a145
	buffer_load_dword v2, v0, s[0:3], 0 offen
	buffer_load_dword v3, v0, s[0:3], 0 offen offset:4
	buffer_load_dword v4, v0, s[0:3], 0 offen offset:8
	;; [unrolled: 1-line block ×3, first 2 shown]
	v_mov_b32_e32 v0, 0
	v_accvgpr_read_b32 v1, a183
	buffer_store_dword v0, off, s[0:3], 0 offset:608
	buffer_store_dword v0, off, s[0:3], 0 offset:612
	;; [unrolled: 1-line block ×4, first 2 shown]
	s_waitcnt vmcnt(4)
	ds_write_b128 v1, v[2:5]
.LBB124_317:
	s_or_b64 exec, exec, s[4:5]
	s_waitcnt lgkmcnt(0)
	; wave barrier
	s_waitcnt lgkmcnt(0)
	buffer_load_dword v9, off, s[0:3], 0 offset:636
	buffer_load_dword v6, off, s[0:3], 0 offset:648
	;; [unrolled: 1-line block ×64, first 2 shown]
	v_mov_b32_e32 v98, 0
	ds_read_b128 v[74:77], v98 offset:1584
	ds_read_b128 v[78:81], v98 offset:1600
	buffer_load_dword v67, off, s[0:3], 0 offset:892
	buffer_load_dword v66, off, s[0:3], 0 offset:888
	;; [unrolled: 1-line block ×8, first 2 shown]
	ds_read_b128 v[82:85], v98 offset:1616
	ds_read_b128 v[86:89], v98 offset:1632
	buffer_load_dword v149, off, s[0:3], 0 offset:924
	buffer_load_dword v148, off, s[0:3], 0 offset:920
	;; [unrolled: 1-line block ×24, first 2 shown]
	ds_read_b128 v[168:171], v98 offset:1936
	v_cmp_lt_u32_e32 vcc, 36, v226
	s_waitcnt vmcnt(62) lgkmcnt(1)
	v_mul_f64 v[94:95], v[86:87], v[22:23]
	v_fmac_f64_e32 v[94:95], v[88:89], v[24:25]
	v_mul_f64 v[90:91], v[78:79], v[6:7]
	v_mul_f64 v[0:1], v[74:75], v[8:9]
	;; [unrolled: 1-line block ×3, first 2 shown]
	v_fmac_f64_e32 v[0:1], v[76:77], v[10:11]
	v_add_f64 v[0:1], v[0:1], 0
	v_fma_f64 v[8:9], v[74:75], v[10:11], -v[8:9]
	v_mul_f64 v[6:7], v[80:81], v[6:7]
	v_add_f64 v[8:9], v[8:9], 0
	v_fmac_f64_e32 v[90:91], v[80:81], v[14:15]
	v_add_f64 v[0:1], v[0:1], v[90:91]
	v_mul_f64 v[90:91], v[82:83], v[16:17]
	v_fmac_f64_e32 v[90:91], v[84:85], v[12:13]
	v_add_f64 v[0:1], v[0:1], v[90:91]
	ds_read_b128 v[90:93], v98 offset:1648
	v_add_f64 v[0:1], v[0:1], v[94:95]
	ds_read_b128 v[94:97], v98 offset:1664
	v_fma_f64 v[6:7], v[78:79], v[14:15], -v[6:7]
	v_add_f64 v[6:7], v[8:9], v[6:7]
	s_waitcnt lgkmcnt(1)
	v_mul_f64 v[100:101], v[90:91], v[18:19]
	v_fmac_f64_e32 v[100:101], v[92:93], v[20:21]
	v_add_f64 v[0:1], v[0:1], v[100:101]
	ds_read_b128 v[100:103], v98 offset:1680
	s_waitcnt lgkmcnt(1)
	v_mul_f64 v[104:105], v[94:95], v[30:31]
	v_fmac_f64_e32 v[104:105], v[96:97], v[32:33]
	v_add_f64 v[0:1], v[0:1], v[104:105]
	ds_read_b128 v[104:107], v98 offset:1696
	;; [unrolled: 5-line block ×3, first 2 shown]
	s_waitcnt vmcnt(58) lgkmcnt(1)
	v_mul_f64 v[112:113], v[104:105], v[38:39]
	s_waitcnt vmcnt(56)
	v_fmac_f64_e32 v[112:113], v[106:107], v[40:41]
	v_add_f64 v[0:1], v[0:1], v[112:113]
	ds_read_b128 v[112:115], v98 offset:1728
	s_waitcnt lgkmcnt(1)
	v_mul_f64 v[116:117], v[108:109], v[34:35]
	v_fmac_f64_e32 v[116:117], v[110:111], v[36:37]
	v_add_f64 v[0:1], v[0:1], v[116:117]
	ds_read_b128 v[116:119], v98 offset:1744
	s_waitcnt vmcnt(50) lgkmcnt(1)
	v_mul_f64 v[120:121], v[112:113], v[46:47]
	s_waitcnt vmcnt(48)
	v_fmac_f64_e32 v[120:121], v[114:115], v[48:49]
	v_add_f64 v[0:1], v[0:1], v[120:121]
	ds_read_b128 v[120:123], v98 offset:1760
	v_mul_f64 v[8:9], v[84:85], v[16:17]
	s_waitcnt lgkmcnt(1)
	v_mul_f64 v[124:125], v[116:117], v[42:43]
	v_fma_f64 v[8:9], v[82:83], v[12:13], -v[8:9]
	v_fmac_f64_e32 v[124:125], v[118:119], v[44:45]
	v_add_f64 v[6:7], v[6:7], v[8:9]
	v_mul_f64 v[8:9], v[88:89], v[22:23]
	v_add_f64 v[0:1], v[0:1], v[124:125]
	ds_read_b128 v[124:127], v98 offset:1776
	s_waitcnt vmcnt(42) lgkmcnt(1)
	v_mul_f64 v[128:129], v[120:121], v[54:55]
	v_fma_f64 v[8:9], v[86:87], v[24:25], -v[8:9]
	s_waitcnt vmcnt(40)
	v_fmac_f64_e32 v[128:129], v[122:123], v[56:57]
	v_add_f64 v[6:7], v[6:7], v[8:9]
	v_mul_f64 v[8:9], v[92:93], v[18:19]
	v_add_f64 v[0:1], v[0:1], v[128:129]
	ds_read_b128 v[128:131], v98 offset:1792
	v_fma_f64 v[8:9], v[90:91], v[20:21], -v[8:9]
	v_add_f64 v[6:7], v[6:7], v[8:9]
	v_mul_f64 v[8:9], v[96:97], v[30:31]
	v_fma_f64 v[8:9], v[94:95], v[32:33], -v[8:9]
	s_waitcnt lgkmcnt(1)
	v_mul_f64 v[132:133], v[124:125], v[50:51]
	v_add_f64 v[6:7], v[6:7], v[8:9]
	v_mul_f64 v[8:9], v[102:103], v[26:27]
	v_fmac_f64_e32 v[132:133], v[126:127], v[52:53]
	v_fma_f64 v[8:9], v[100:101], v[28:29], -v[8:9]
	v_add_f64 v[0:1], v[0:1], v[132:133]
	ds_read_b128 v[132:135], v98 offset:1808
	s_waitcnt vmcnt(34) lgkmcnt(1)
	v_mul_f64 v[136:137], v[128:129], v[62:63]
	v_add_f64 v[6:7], v[6:7], v[8:9]
	v_mul_f64 v[8:9], v[106:107], v[38:39]
	s_waitcnt vmcnt(32)
	v_fmac_f64_e32 v[136:137], v[130:131], v[64:65]
	v_fma_f64 v[8:9], v[104:105], v[40:41], -v[8:9]
	v_add_f64 v[0:1], v[0:1], v[136:137]
	ds_read_b128 v[136:139], v98 offset:1824
	v_add_f64 v[6:7], v[6:7], v[8:9]
	v_mul_f64 v[8:9], v[110:111], v[34:35]
	v_fma_f64 v[8:9], v[108:109], v[36:37], -v[8:9]
	v_add_f64 v[6:7], v[6:7], v[8:9]
	v_mul_f64 v[8:9], v[114:115], v[46:47]
	s_waitcnt lgkmcnt(1)
	v_mul_f64 v[140:141], v[132:133], v[58:59]
	v_fma_f64 v[8:9], v[112:113], v[48:49], -v[8:9]
	v_fmac_f64_e32 v[140:141], v[134:135], v[60:61]
	v_add_f64 v[6:7], v[6:7], v[8:9]
	v_mul_f64 v[8:9], v[118:119], v[42:43]
	v_add_f64 v[0:1], v[0:1], v[140:141]
	ds_read_b128 v[140:143], v98 offset:1840
	s_waitcnt vmcnt(26) lgkmcnt(1)
	v_mul_f64 v[144:145], v[136:137], v[70:71]
	v_fma_f64 v[8:9], v[116:117], v[44:45], -v[8:9]
	s_waitcnt vmcnt(24)
	v_fmac_f64_e32 v[144:145], v[138:139], v[72:73]
	v_add_f64 v[6:7], v[6:7], v[8:9]
	v_mul_f64 v[8:9], v[122:123], v[54:55]
	v_add_f64 v[0:1], v[0:1], v[144:145]
	ds_read_b128 v[144:147], v98 offset:1856
	v_fma_f64 v[8:9], v[120:121], v[56:57], -v[8:9]
	v_add_f64 v[6:7], v[6:7], v[8:9]
	v_mul_f64 v[8:9], v[126:127], v[50:51]
	v_fma_f64 v[8:9], v[124:125], v[52:53], -v[8:9]
	s_waitcnt lgkmcnt(1)
	v_mul_f64 v[152:153], v[140:141], v[66:67]
	v_add_f64 v[6:7], v[6:7], v[8:9]
	v_mul_f64 v[8:9], v[130:131], v[62:63]
	v_fmac_f64_e32 v[152:153], v[142:143], v[68:69]
	v_fma_f64 v[8:9], v[128:129], v[64:65], -v[8:9]
	v_add_f64 v[0:1], v[0:1], v[152:153]
	ds_read_b128 v[152:155], v98 offset:1872
	s_waitcnt vmcnt(18) lgkmcnt(1)
	v_mul_f64 v[156:157], v[144:145], v[172:173]
	v_add_f64 v[6:7], v[6:7], v[8:9]
	v_mul_f64 v[8:9], v[134:135], v[58:59]
	s_waitcnt vmcnt(16)
	v_fmac_f64_e32 v[156:157], v[146:147], v[174:175]
	v_fma_f64 v[8:9], v[132:133], v[60:61], -v[8:9]
	v_add_f64 v[0:1], v[0:1], v[156:157]
	ds_read_b128 v[156:159], v98 offset:1888
	v_add_f64 v[6:7], v[6:7], v[8:9]
	v_mul_f64 v[8:9], v[138:139], v[70:71]
	v_fma_f64 v[8:9], v[136:137], v[72:73], -v[8:9]
	v_add_f64 v[6:7], v[6:7], v[8:9]
	v_mul_f64 v[8:9], v[142:143], v[66:67]
	s_waitcnt lgkmcnt(1)
	v_mul_f64 v[160:161], v[152:153], v[148:149]
	v_fma_f64 v[8:9], v[140:141], v[68:69], -v[8:9]
	v_fmac_f64_e32 v[160:161], v[154:155], v[150:151]
	v_add_f64 v[6:7], v[6:7], v[8:9]
	v_mul_f64 v[8:9], v[146:147], v[172:173]
	v_add_f64 v[0:1], v[0:1], v[160:161]
	ds_read_b128 v[160:163], v98 offset:1904
	s_waitcnt vmcnt(10) lgkmcnt(1)
	v_mul_f64 v[164:165], v[156:157], v[180:181]
	v_fma_f64 v[8:9], v[144:145], v[174:175], -v[8:9]
	s_waitcnt vmcnt(8)
	v_fmac_f64_e32 v[164:165], v[158:159], v[182:183]
	v_add_f64 v[6:7], v[6:7], v[8:9]
	v_mul_f64 v[8:9], v[154:155], v[148:149]
	v_add_f64 v[0:1], v[0:1], v[164:165]
	ds_read_b128 v[164:167], v98 offset:1920
	v_fma_f64 v[8:9], v[152:153], v[150:151], -v[8:9]
	v_add_f64 v[6:7], v[6:7], v[8:9]
	v_mul_f64 v[8:9], v[158:159], v[180:181]
	v_fma_f64 v[8:9], v[156:157], v[182:183], -v[8:9]
	v_add_f64 v[6:7], v[6:7], v[8:9]
	s_waitcnt lgkmcnt(1)
	v_mul_f64 v[8:9], v[162:163], v[176:177]
	v_mul_f64 v[192:193], v[160:161], v[176:177]
	v_fma_f64 v[8:9], v[160:161], v[178:179], -v[8:9]
	v_fmac_f64_e32 v[192:193], v[162:163], v[178:179]
	v_add_f64 v[6:7], v[6:7], v[8:9]
	s_waitcnt vmcnt(2) lgkmcnt(0)
	v_mul_f64 v[8:9], v[166:167], v[188:189]
	v_add_f64 v[0:1], v[0:1], v[192:193]
	v_mul_f64 v[192:193], v[164:165], v[188:189]
	s_waitcnt vmcnt(0)
	v_fma_f64 v[8:9], v[164:165], v[190:191], -v[8:9]
	v_fmac_f64_e32 v[192:193], v[166:167], v[190:191]
	v_add_f64 v[6:7], v[6:7], v[8:9]
	v_mul_f64 v[8:9], v[170:171], v[184:185]
	v_add_f64 v[0:1], v[0:1], v[192:193]
	v_mul_f64 v[192:193], v[168:169], v[184:185]
	v_fma_f64 v[8:9], v[168:169], v[186:187], -v[8:9]
	v_fmac_f64_e32 v[192:193], v[170:171], v[186:187]
	v_add_f64 v[6:7], v[6:7], v[8:9]
	v_add_f64 v[0:1], v[0:1], v[192:193]
	v_add_f64 v[4:5], v[4:5], -v[6:7]
	v_add_f64 v[0:1], v[2:3], -v[0:1]
	buffer_store_dword v5, off, s[0:3], 0 offset:612
	buffer_store_dword v4, off, s[0:3], 0 offset:608
	;; [unrolled: 1-line block ×4, first 2 shown]
	s_and_saveexec_b64 s[4:5], vcc
	s_cbranch_execz .LBB124_319
; %bb.318:
	v_accvgpr_read_b32 v0, a146
	buffer_load_dword v2, v0, s[0:3], 0 offen
	buffer_load_dword v3, v0, s[0:3], 0 offen offset:4
	buffer_load_dword v4, v0, s[0:3], 0 offen offset:8
	buffer_load_dword v5, v0, s[0:3], 0 offen offset:12
	v_accvgpr_read_b32 v0, a183
	buffer_store_dword v98, off, s[0:3], 0 offset:592
	buffer_store_dword v98, off, s[0:3], 0 offset:596
	;; [unrolled: 1-line block ×4, first 2 shown]
	s_waitcnt vmcnt(4)
	ds_write_b128 v0, v[2:5]
.LBB124_319:
	s_or_b64 exec, exec, s[4:5]
	s_waitcnt lgkmcnt(0)
	; wave barrier
	s_waitcnt lgkmcnt(0)
	buffer_load_dword v22, off, s[0:3], 0 offset:608
	buffer_load_dword v23, off, s[0:3], 0 offset:612
	;; [unrolled: 1-line block ×16, first 2 shown]
	ds_read_b128 v[2:5], v98 offset:1568
	ds_read_b128 v[6:9], v98 offset:1584
	;; [unrolled: 1-line block ×4, first 2 shown]
	buffer_load_dword v35, off, s[0:3], 0 offset:684
	buffer_load_dword v34, off, s[0:3], 0 offset:680
	;; [unrolled: 1-line block ×48, first 2 shown]
	v_cmp_lt_u32_e32 vcc, 35, v226
	s_waitcnt vmcnt(42) lgkmcnt(0)
	v_mul_f64 v[104:105], v[14:15], v[38:39]
	s_waitcnt vmcnt(40)
	v_fmac_f64_e32 v[104:105], v[16:17], v[40:41]
	v_mul_f64 v[0:1], v[2:3], v[24:25]
	v_fmac_f64_e32 v[0:1], v[4:5], v[22:23]
	v_add_f64 v[0:1], v[0:1], 0
	v_mul_f64 v[4:5], v[4:5], v[24:25]
	v_mul_f64 v[82:83], v[6:7], v[32:33]
	v_fma_f64 v[2:3], v[2:3], v[22:23], -v[4:5]
	v_mul_f64 v[100:101], v[10:11], v[26:27]
	v_fmac_f64_e32 v[100:101], v[12:13], v[30:31]
	v_fmac_f64_e32 v[82:83], v[8:9], v[28:29]
	v_add_f64 v[0:1], v[0:1], v[82:83]
	buffer_load_dword v83, off, s[0:3], 0 offset:876
	buffer_load_dword v82, off, s[0:3], 0 offset:872
	;; [unrolled: 1-line block ×32, first 2 shown]
	v_add_f64 v[0:1], v[0:1], v[100:101]
	ds_read_b128 v[100:103], v98 offset:1632
	buffer_load_dword v197, off, s[0:3], 0 offset:988
	buffer_load_dword v196, off, s[0:3], 0 offset:984
	;; [unrolled: 1-line block ×4, first 2 shown]
	v_add_f64 v[0:1], v[0:1], v[104:105]
	ds_read_b128 v[104:107], v98 offset:1648
	v_mul_f64 v[4:5], v[8:9], v[32:33]
	s_waitcnt lgkmcnt(1)
	v_mul_f64 v[108:109], v[100:101], v[34:35]
	v_fmac_f64_e32 v[108:109], v[102:103], v[36:37]
	v_add_f64 v[0:1], v[0:1], v[108:109]
	ds_read_b128 v[108:111], v98 offset:1664
	s_waitcnt vmcnt(62) lgkmcnt(1)
	v_mul_f64 v[112:113], v[104:105], v[46:47]
	v_fmac_f64_e32 v[112:113], v[106:107], v[48:49]
	v_add_f64 v[0:1], v[0:1], v[112:113]
	ds_read_b128 v[112:115], v98 offset:1680
	s_waitcnt lgkmcnt(1)
	v_mul_f64 v[116:117], v[108:109], v[42:43]
	v_fmac_f64_e32 v[116:117], v[110:111], v[44:45]
	v_add_f64 v[0:1], v[0:1], v[116:117]
	ds_read_b128 v[116:119], v98 offset:1696
	s_waitcnt lgkmcnt(1)
	v_mul_f64 v[120:121], v[112:113], v[54:55]
	s_waitcnt vmcnt(60)
	v_fmac_f64_e32 v[120:121], v[114:115], v[56:57]
	v_add_f64 v[0:1], v[0:1], v[120:121]
	ds_read_b128 v[120:123], v98 offset:1712
	s_waitcnt lgkmcnt(1)
	v_mul_f64 v[124:125], v[116:117], v[50:51]
	v_fmac_f64_e32 v[124:125], v[118:119], v[52:53]
	v_add_f64 v[0:1], v[0:1], v[124:125]
	ds_read_b128 v[124:127], v98 offset:1728
	s_waitcnt vmcnt(54) lgkmcnt(1)
	v_mul_f64 v[128:129], v[120:121], v[62:63]
	s_waitcnt vmcnt(52)
	v_fmac_f64_e32 v[128:129], v[122:123], v[64:65]
	v_add_f64 v[0:1], v[0:1], v[128:129]
	ds_read_b128 v[128:131], v98 offset:1744
	s_waitcnt lgkmcnt(1)
	v_mul_f64 v[132:133], v[124:125], v[58:59]
	v_fmac_f64_e32 v[132:133], v[126:127], v[60:61]
	v_add_f64 v[2:3], v[2:3], 0
	v_fma_f64 v[4:5], v[6:7], v[28:29], -v[4:5]
	v_add_f64 v[0:1], v[0:1], v[132:133]
	ds_read_b128 v[132:135], v98 offset:1760
	v_add_f64 v[2:3], v[2:3], v[4:5]
	v_mul_f64 v[4:5], v[12:13], v[26:27]
	v_fma_f64 v[4:5], v[10:11], v[30:31], -v[4:5]
	v_add_f64 v[2:3], v[2:3], v[4:5]
	v_mul_f64 v[4:5], v[16:17], v[38:39]
	s_waitcnt vmcnt(46) lgkmcnt(1)
	v_mul_f64 v[136:137], v[128:129], v[70:71]
	v_fma_f64 v[4:5], v[14:15], v[40:41], -v[4:5]
	s_waitcnt vmcnt(44)
	v_fmac_f64_e32 v[136:137], v[130:131], v[72:73]
	v_add_f64 v[2:3], v[2:3], v[4:5]
	v_mul_f64 v[4:5], v[102:103], v[34:35]
	v_add_f64 v[0:1], v[0:1], v[136:137]
	ds_read_b128 v[136:139], v98 offset:1776
	s_waitcnt lgkmcnt(1)
	v_mul_f64 v[140:141], v[132:133], v[66:67]
	v_fma_f64 v[4:5], v[100:101], v[36:37], -v[4:5]
	v_fmac_f64_e32 v[140:141], v[134:135], v[68:69]
	v_add_f64 v[2:3], v[2:3], v[4:5]
	v_mul_f64 v[4:5], v[106:107], v[46:47]
	v_add_f64 v[0:1], v[0:1], v[140:141]
	ds_read_b128 v[140:143], v98 offset:1792
	v_fma_f64 v[4:5], v[104:105], v[48:49], -v[4:5]
	v_add_f64 v[2:3], v[2:3], v[4:5]
	v_mul_f64 v[4:5], v[110:111], v[42:43]
	v_fma_f64 v[4:5], v[108:109], v[44:45], -v[4:5]
	s_waitcnt vmcnt(38) lgkmcnt(1)
	v_mul_f64 v[144:145], v[136:137], v[78:79]
	v_add_f64 v[2:3], v[2:3], v[4:5]
	v_mul_f64 v[4:5], v[114:115], v[54:55]
	s_waitcnt vmcnt(36)
	v_fmac_f64_e32 v[144:145], v[138:139], v[80:81]
	v_fma_f64 v[4:5], v[112:113], v[56:57], -v[4:5]
	v_add_f64 v[0:1], v[0:1], v[144:145]
	ds_read_b128 v[144:147], v98 offset:1808
	s_waitcnt lgkmcnt(1)
	v_mul_f64 v[152:153], v[140:141], v[74:75]
	v_add_f64 v[2:3], v[2:3], v[4:5]
	v_mul_f64 v[4:5], v[118:119], v[50:51]
	v_fmac_f64_e32 v[152:153], v[142:143], v[76:77]
	v_fma_f64 v[4:5], v[116:117], v[52:53], -v[4:5]
	v_add_f64 v[0:1], v[0:1], v[152:153]
	ds_read_b128 v[152:155], v98 offset:1824
	v_add_f64 v[2:3], v[2:3], v[4:5]
	v_mul_f64 v[4:5], v[122:123], v[62:63]
	v_fma_f64 v[4:5], v[120:121], v[64:65], -v[4:5]
	v_add_f64 v[2:3], v[2:3], v[4:5]
	v_mul_f64 v[4:5], v[126:127], v[58:59]
	s_waitcnt vmcnt(30) lgkmcnt(1)
	v_mul_f64 v[156:157], v[144:145], v[86:87]
	v_fma_f64 v[4:5], v[124:125], v[60:61], -v[4:5]
	s_waitcnt vmcnt(28)
	v_fmac_f64_e32 v[156:157], v[146:147], v[88:89]
	v_add_f64 v[2:3], v[2:3], v[4:5]
	v_mul_f64 v[4:5], v[130:131], v[70:71]
	v_add_f64 v[0:1], v[0:1], v[156:157]
	ds_read_b128 v[156:159], v98 offset:1840
	s_waitcnt lgkmcnt(1)
	v_mul_f64 v[160:161], v[152:153], v[82:83]
	v_fma_f64 v[4:5], v[128:129], v[72:73], -v[4:5]
	v_fmac_f64_e32 v[160:161], v[154:155], v[84:85]
	v_add_f64 v[2:3], v[2:3], v[4:5]
	v_mul_f64 v[4:5], v[134:135], v[66:67]
	v_add_f64 v[0:1], v[0:1], v[160:161]
	ds_read_b128 v[160:163], v98 offset:1856
	v_fma_f64 v[4:5], v[132:133], v[68:69], -v[4:5]
	v_add_f64 v[2:3], v[2:3], v[4:5]
	v_mul_f64 v[4:5], v[138:139], v[78:79]
	v_fma_f64 v[4:5], v[136:137], v[80:81], -v[4:5]
	s_waitcnt vmcnt(22) lgkmcnt(1)
	v_mul_f64 v[164:165], v[156:157], v[94:95]
	v_add_f64 v[2:3], v[2:3], v[4:5]
	v_mul_f64 v[4:5], v[142:143], v[74:75]
	s_waitcnt vmcnt(20)
	v_fmac_f64_e32 v[164:165], v[158:159], v[96:97]
	v_fma_f64 v[4:5], v[140:141], v[76:77], -v[4:5]
	v_add_f64 v[0:1], v[0:1], v[164:165]
	ds_read_b128 v[164:167], v98 offset:1872
	s_waitcnt lgkmcnt(1)
	v_mul_f64 v[168:169], v[160:161], v[90:91]
	v_add_f64 v[2:3], v[2:3], v[4:5]
	v_mul_f64 v[4:5], v[146:147], v[86:87]
	v_fmac_f64_e32 v[168:169], v[162:163], v[92:93]
	v_fma_f64 v[4:5], v[144:145], v[88:89], -v[4:5]
	v_add_f64 v[0:1], v[0:1], v[168:169]
	ds_read_b128 v[168:171], v98 offset:1888
	v_add_f64 v[2:3], v[2:3], v[4:5]
	v_mul_f64 v[4:5], v[154:155], v[82:83]
	v_fma_f64 v[4:5], v[152:153], v[84:85], -v[4:5]
	v_add_f64 v[2:3], v[2:3], v[4:5]
	v_mul_f64 v[4:5], v[158:159], v[94:95]
	s_waitcnt vmcnt(14) lgkmcnt(1)
	v_mul_f64 v[172:173], v[164:165], v[184:185]
	v_fma_f64 v[4:5], v[156:157], v[96:97], -v[4:5]
	s_waitcnt vmcnt(12)
	v_fmac_f64_e32 v[172:173], v[166:167], v[186:187]
	v_add_f64 v[2:3], v[2:3], v[4:5]
	v_mul_f64 v[4:5], v[162:163], v[90:91]
	v_add_f64 v[0:1], v[0:1], v[172:173]
	ds_read_b128 v[172:175], v98 offset:1904
	s_waitcnt lgkmcnt(1)
	v_mul_f64 v[176:177], v[168:169], v[148:149]
	v_fma_f64 v[4:5], v[160:161], v[92:93], -v[4:5]
	v_fmac_f64_e32 v[176:177], v[170:171], v[150:151]
	v_add_f64 v[2:3], v[2:3], v[4:5]
	v_mul_f64 v[4:5], v[166:167], v[184:185]
	v_add_f64 v[0:1], v[0:1], v[176:177]
	ds_read_b128 v[176:179], v98 offset:1920
	v_fma_f64 v[4:5], v[164:165], v[186:187], -v[4:5]
	v_add_f64 v[2:3], v[2:3], v[4:5]
	v_mul_f64 v[4:5], v[170:171], v[148:149]
	ds_read_b128 v[180:183], v98 offset:1936
	v_fma_f64 v[4:5], v[168:169], v[150:151], -v[4:5]
	v_add_f64 v[2:3], v[2:3], v[4:5]
	s_waitcnt vmcnt(6) lgkmcnt(2)
	v_mul_f64 v[4:5], v[174:175], v[192:193]
	s_waitcnt vmcnt(4)
	v_fma_f64 v[4:5], v[172:173], v[194:195], -v[4:5]
	v_mul_f64 v[200:201], v[172:173], v[192:193]
	v_add_f64 v[2:3], v[2:3], v[4:5]
	s_waitcnt lgkmcnt(1)
	v_mul_f64 v[4:5], v[178:179], v[188:189]
	v_fmac_f64_e32 v[200:201], v[174:175], v[194:195]
	v_mul_f64 v[98:99], v[176:177], v[188:189]
	v_fma_f64 v[4:5], v[176:177], v[190:191], -v[4:5]
	v_add_f64 v[0:1], v[0:1], v[200:201]
	v_fmac_f64_e32 v[98:99], v[178:179], v[190:191]
	v_add_f64 v[2:3], v[2:3], v[4:5]
	s_waitcnt vmcnt(2) lgkmcnt(0)
	v_mul_f64 v[4:5], v[182:183], v[196:197]
	v_add_f64 v[0:1], v[0:1], v[98:99]
	v_mul_f64 v[98:99], v[180:181], v[196:197]
	s_waitcnt vmcnt(0)
	v_fma_f64 v[4:5], v[180:181], v[198:199], -v[4:5]
	v_fmac_f64_e32 v[98:99], v[182:183], v[198:199]
	v_add_f64 v[2:3], v[2:3], v[4:5]
	v_add_f64 v[0:1], v[0:1], v[98:99]
	v_add_f64 v[2:3], v[20:21], -v[2:3]
	v_add_f64 v[0:1], v[18:19], -v[0:1]
	buffer_store_dword v3, off, s[0:3], 0 offset:596
	buffer_store_dword v2, off, s[0:3], 0 offset:592
	;; [unrolled: 1-line block ×4, first 2 shown]
	s_and_saveexec_b64 s[4:5], vcc
	s_cbranch_execz .LBB124_321
; %bb.320:
	v_accvgpr_read_b32 v0, a147
	buffer_load_dword v2, v0, s[0:3], 0 offen
	buffer_load_dword v3, v0, s[0:3], 0 offen offset:4
	buffer_load_dword v4, v0, s[0:3], 0 offen offset:8
	;; [unrolled: 1-line block ×3, first 2 shown]
	v_mov_b32_e32 v0, 0
	v_accvgpr_read_b32 v1, a183
	buffer_store_dword v0, off, s[0:3], 0 offset:576
	buffer_store_dword v0, off, s[0:3], 0 offset:580
	;; [unrolled: 1-line block ×4, first 2 shown]
	s_waitcnt vmcnt(4)
	ds_write_b128 v1, v[2:5]
.LBB124_321:
	s_or_b64 exec, exec, s[4:5]
	s_waitcnt lgkmcnt(0)
	; wave barrier
	s_waitcnt lgkmcnt(0)
	buffer_load_dword v22, off, s[0:3], 0 offset:592
	buffer_load_dword v23, off, s[0:3], 0 offset:596
	;; [unrolled: 1-line block ×64, first 2 shown]
	v_mov_b32_e32 v114, 0
	ds_read_b128 v[18:21], v114 offset:1552
	ds_read_b128 v[14:17], v114 offset:1568
	;; [unrolled: 1-line block ×5, first 2 shown]
	v_cmp_lt_u32_e32 vcc, 34, v226
	s_waitcnt vmcnt(60) lgkmcnt(4)
	v_mul_f64 v[0:1], v[18:19], v[26:27]
	v_fmac_f64_e32 v[0:1], v[20:21], v[22:23]
	v_add_f64 v[0:1], v[0:1], 0
	v_mul_f64 v[20:21], v[20:21], v[26:27]
	s_waitcnt vmcnt(56) lgkmcnt(3)
	v_mul_f64 v[86:87], v[14:15], v[28:29]
	v_fmac_f64_e32 v[86:87], v[16:17], v[24:25]
	s_waitcnt vmcnt(54) lgkmcnt(2)
	v_mul_f64 v[88:89], v[10:11], v[30:31]
	v_add_f64 v[0:1], v[0:1], v[86:87]
	v_fma_f64 v[18:19], v[18:19], v[22:23], -v[20:21]
	v_mul_f64 v[16:17], v[16:17], v[28:29]
	s_waitcnt vmcnt(50) lgkmcnt(1)
	v_mul_f64 v[102:103], v[6:7], v[40:41]
	v_add_f64 v[18:19], v[18:19], 0
	s_waitcnt vmcnt(48)
	v_fmac_f64_e32 v[88:89], v[12:13], v[44:45]
	v_add_f64 v[0:1], v[0:1], v[88:89]
	buffer_load_dword v87, off, s[0:3], 0 offset:860
	buffer_load_dword v86, off, s[0:3], 0 offset:856
	;; [unrolled: 1-line block ×40, first 2 shown]
	s_waitcnt vmcnt(62)
	v_fmac_f64_e32 v[102:103], v[8:9], v[42:43]
	v_add_f64 v[0:1], v[0:1], v[102:103]
	ds_read_b128 v[102:105], v114 offset:1632
	s_waitcnt lgkmcnt(1)
	v_mul_f64 v[106:107], v[2:3], v[36:37]
	v_fmac_f64_e32 v[106:107], v[4:5], v[38:39]
	v_add_f64 v[0:1], v[0:1], v[106:107]
	ds_read_b128 v[106:109], v114 offset:1648
	s_waitcnt lgkmcnt(1)
	v_mul_f64 v[110:111], v[102:103], v[50:51]
	;; [unrolled: 5-line block ×5, first 2 shown]
	v_fmac_f64_e32 v[124:125], v[118:119], v[56:57]
	v_add_f64 v[0:1], v[0:1], v[124:125]
	ds_read_b128 v[124:127], v114 offset:1712
	s_waitcnt vmcnt(58) lgkmcnt(1)
	v_mul_f64 v[128:129], v[120:121], v[66:67]
	s_waitcnt vmcnt(56)
	v_fmac_f64_e32 v[128:129], v[122:123], v[68:69]
	v_add_f64 v[0:1], v[0:1], v[128:129]
	ds_read_b128 v[128:131], v114 offset:1728
	s_waitcnt lgkmcnt(1)
	v_mul_f64 v[132:133], v[124:125], v[62:63]
	v_fmac_f64_e32 v[132:133], v[126:127], v[64:65]
	v_add_f64 v[0:1], v[0:1], v[132:133]
	ds_read_b128 v[132:135], v114 offset:1744
	s_waitcnt vmcnt(50) lgkmcnt(1)
	v_mul_f64 v[136:137], v[128:129], v[74:75]
	s_waitcnt vmcnt(48)
	v_fmac_f64_e32 v[136:137], v[130:131], v[76:77]
	v_add_f64 v[0:1], v[0:1], v[136:137]
	ds_read_b128 v[136:139], v114 offset:1760
	v_fma_f64 v[14:15], v[14:15], v[24:25], -v[16:17]
	v_mul_f64 v[12:13], v[12:13], v[30:31]
	v_add_f64 v[14:15], v[18:19], v[14:15]
	v_fma_f64 v[10:11], v[10:11], v[44:45], -v[12:13]
	v_mul_f64 v[8:9], v[8:9], v[40:41]
	s_waitcnt lgkmcnt(1)
	v_mul_f64 v[140:141], v[132:133], v[70:71]
	v_add_f64 v[10:11], v[14:15], v[10:11]
	v_fma_f64 v[6:7], v[6:7], v[42:43], -v[8:9]
	v_mul_f64 v[4:5], v[4:5], v[36:37]
	v_fmac_f64_e32 v[140:141], v[134:135], v[72:73]
	v_add_f64 v[6:7], v[10:11], v[6:7]
	v_fma_f64 v[2:3], v[2:3], v[38:39], -v[4:5]
	v_mul_f64 v[4:5], v[104:105], v[50:51]
	v_add_f64 v[0:1], v[0:1], v[140:141]
	ds_read_b128 v[140:143], v114 offset:1776
	s_waitcnt vmcnt(42) lgkmcnt(1)
	v_mul_f64 v[144:145], v[136:137], v[82:83]
	v_add_f64 v[2:3], v[6:7], v[2:3]
	v_fma_f64 v[4:5], v[102:103], v[52:53], -v[4:5]
	s_waitcnt vmcnt(40)
	v_fmac_f64_e32 v[144:145], v[138:139], v[84:85]
	v_add_f64 v[2:3], v[2:3], v[4:5]
	v_mul_f64 v[4:5], v[108:109], v[46:47]
	v_add_f64 v[0:1], v[0:1], v[144:145]
	ds_read_b128 v[144:147], v114 offset:1792
	v_fma_f64 v[4:5], v[106:107], v[48:49], -v[4:5]
	v_add_f64 v[2:3], v[2:3], v[4:5]
	v_mul_f64 v[4:5], v[112:113], v[58:59]
	v_fma_f64 v[4:5], v[110:111], v[60:61], -v[4:5]
	s_waitcnt lgkmcnt(1)
	v_mul_f64 v[152:153], v[140:141], v[78:79]
	v_add_f64 v[2:3], v[2:3], v[4:5]
	v_mul_f64 v[4:5], v[118:119], v[54:55]
	v_fmac_f64_e32 v[152:153], v[142:143], v[80:81]
	v_fma_f64 v[4:5], v[116:117], v[56:57], -v[4:5]
	v_add_f64 v[0:1], v[0:1], v[152:153]
	ds_read_b128 v[152:155], v114 offset:1808
	s_waitcnt vmcnt(34) lgkmcnt(1)
	v_mul_f64 v[156:157], v[144:145], v[90:91]
	v_add_f64 v[2:3], v[2:3], v[4:5]
	v_mul_f64 v[4:5], v[122:123], v[66:67]
	s_waitcnt vmcnt(32)
	v_fmac_f64_e32 v[156:157], v[146:147], v[92:93]
	v_fma_f64 v[4:5], v[120:121], v[68:69], -v[4:5]
	v_add_f64 v[0:1], v[0:1], v[156:157]
	ds_read_b128 v[156:159], v114 offset:1824
	v_add_f64 v[2:3], v[2:3], v[4:5]
	v_mul_f64 v[4:5], v[126:127], v[62:63]
	v_fma_f64 v[4:5], v[124:125], v[64:65], -v[4:5]
	v_add_f64 v[2:3], v[2:3], v[4:5]
	v_mul_f64 v[4:5], v[130:131], v[74:75]
	s_waitcnt lgkmcnt(1)
	v_mul_f64 v[160:161], v[152:153], v[86:87]
	v_fma_f64 v[4:5], v[128:129], v[76:77], -v[4:5]
	v_fmac_f64_e32 v[160:161], v[154:155], v[88:89]
	v_add_f64 v[2:3], v[2:3], v[4:5]
	v_mul_f64 v[4:5], v[134:135], v[70:71]
	v_add_f64 v[0:1], v[0:1], v[160:161]
	ds_read_b128 v[160:163], v114 offset:1840
	s_waitcnt vmcnt(26) lgkmcnt(1)
	v_mul_f64 v[164:165], v[156:157], v[98:99]
	v_fma_f64 v[4:5], v[132:133], v[72:73], -v[4:5]
	s_waitcnt vmcnt(24)
	v_fmac_f64_e32 v[164:165], v[158:159], v[100:101]
	v_add_f64 v[2:3], v[2:3], v[4:5]
	v_mul_f64 v[4:5], v[138:139], v[82:83]
	v_add_f64 v[0:1], v[0:1], v[164:165]
	ds_read_b128 v[164:167], v114 offset:1856
	v_fma_f64 v[4:5], v[136:137], v[84:85], -v[4:5]
	v_add_f64 v[2:3], v[2:3], v[4:5]
	v_mul_f64 v[4:5], v[142:143], v[78:79]
	v_fma_f64 v[4:5], v[140:141], v[80:81], -v[4:5]
	s_waitcnt lgkmcnt(1)
	v_mul_f64 v[168:169], v[160:161], v[94:95]
	v_add_f64 v[2:3], v[2:3], v[4:5]
	v_mul_f64 v[4:5], v[146:147], v[90:91]
	v_fmac_f64_e32 v[168:169], v[162:163], v[96:97]
	v_fma_f64 v[4:5], v[144:145], v[92:93], -v[4:5]
	v_add_f64 v[0:1], v[0:1], v[168:169]
	ds_read_b128 v[168:171], v114 offset:1872
	s_waitcnt vmcnt(18) lgkmcnt(1)
	v_mul_f64 v[172:173], v[164:165], v[188:189]
	v_add_f64 v[2:3], v[2:3], v[4:5]
	v_mul_f64 v[4:5], v[154:155], v[86:87]
	s_waitcnt vmcnt(16)
	v_fmac_f64_e32 v[172:173], v[166:167], v[190:191]
	v_fma_f64 v[4:5], v[152:153], v[88:89], -v[4:5]
	v_add_f64 v[0:1], v[0:1], v[172:173]
	ds_read_b128 v[172:175], v114 offset:1888
	v_add_f64 v[2:3], v[2:3], v[4:5]
	v_mul_f64 v[4:5], v[158:159], v[98:99]
	v_fma_f64 v[4:5], v[156:157], v[100:101], -v[4:5]
	v_add_f64 v[2:3], v[2:3], v[4:5]
	v_mul_f64 v[4:5], v[162:163], v[94:95]
	s_waitcnt lgkmcnt(1)
	v_mul_f64 v[176:177], v[168:169], v[148:149]
	v_fma_f64 v[4:5], v[160:161], v[96:97], -v[4:5]
	v_fmac_f64_e32 v[176:177], v[170:171], v[150:151]
	v_add_f64 v[2:3], v[2:3], v[4:5]
	v_mul_f64 v[4:5], v[166:167], v[188:189]
	v_add_f64 v[0:1], v[0:1], v[176:177]
	ds_read_b128 v[176:179], v114 offset:1904
	s_waitcnt vmcnt(10) lgkmcnt(1)
	v_mul_f64 v[180:181], v[172:173], v[196:197]
	v_fma_f64 v[4:5], v[164:165], v[190:191], -v[4:5]
	s_waitcnt vmcnt(8)
	v_fmac_f64_e32 v[180:181], v[174:175], v[198:199]
	v_add_f64 v[2:3], v[2:3], v[4:5]
	v_mul_f64 v[4:5], v[170:171], v[148:149]
	v_add_f64 v[0:1], v[0:1], v[180:181]
	ds_read_b128 v[180:183], v114 offset:1920
	ds_read_b128 v[184:187], v114 offset:1936
	v_fma_f64 v[4:5], v[168:169], v[150:151], -v[4:5]
	v_add_f64 v[2:3], v[2:3], v[4:5]
	v_mul_f64 v[4:5], v[174:175], v[196:197]
	v_fma_f64 v[4:5], v[172:173], v[198:199], -v[4:5]
	v_add_f64 v[2:3], v[2:3], v[4:5]
	s_waitcnt lgkmcnt(2)
	v_mul_f64 v[4:5], v[178:179], v[192:193]
	v_mul_f64 v[208:209], v[176:177], v[192:193]
	v_fma_f64 v[4:5], v[176:177], v[194:195], -v[4:5]
	v_fmac_f64_e32 v[208:209], v[178:179], v[194:195]
	v_add_f64 v[2:3], v[2:3], v[4:5]
	s_waitcnt vmcnt(2) lgkmcnt(1)
	v_mul_f64 v[4:5], v[182:183], v[204:205]
	v_add_f64 v[0:1], v[0:1], v[208:209]
	v_mul_f64 v[208:209], v[180:181], v[204:205]
	s_waitcnt vmcnt(0)
	v_fma_f64 v[4:5], v[180:181], v[206:207], -v[4:5]
	v_fmac_f64_e32 v[208:209], v[182:183], v[206:207]
	v_add_f64 v[2:3], v[2:3], v[4:5]
	s_waitcnt lgkmcnt(0)
	v_mul_f64 v[4:5], v[186:187], v[200:201]
	v_add_f64 v[0:1], v[0:1], v[208:209]
	v_mul_f64 v[208:209], v[184:185], v[200:201]
	v_fma_f64 v[4:5], v[184:185], v[202:203], -v[4:5]
	v_fmac_f64_e32 v[208:209], v[186:187], v[202:203]
	v_add_f64 v[2:3], v[2:3], v[4:5]
	v_add_f64 v[0:1], v[0:1], v[208:209]
	v_add_f64 v[2:3], v[34:35], -v[2:3]
	v_add_f64 v[0:1], v[32:33], -v[0:1]
	buffer_store_dword v3, off, s[0:3], 0 offset:580
	buffer_store_dword v2, off, s[0:3], 0 offset:576
	;; [unrolled: 1-line block ×4, first 2 shown]
	s_and_saveexec_b64 s[4:5], vcc
	s_cbranch_execz .LBB124_323
; %bb.322:
	v_accvgpr_read_b32 v0, a148
	buffer_load_dword v2, v0, s[0:3], 0 offen
	buffer_load_dword v3, v0, s[0:3], 0 offen offset:4
	buffer_load_dword v4, v0, s[0:3], 0 offen offset:8
	;; [unrolled: 1-line block ×3, first 2 shown]
	v_accvgpr_read_b32 v0, a183
	buffer_store_dword v114, off, s[0:3], 0 offset:560
	buffer_store_dword v114, off, s[0:3], 0 offset:564
	;; [unrolled: 1-line block ×4, first 2 shown]
	s_waitcnt vmcnt(4)
	ds_write_b128 v0, v[2:5]
.LBB124_323:
	s_or_b64 exec, exec, s[4:5]
	s_waitcnt lgkmcnt(0)
	; wave barrier
	s_waitcnt lgkmcnt(0)
	buffer_load_dword v26, off, s[0:3], 0 offset:576
	buffer_load_dword v27, off, s[0:3], 0 offset:580
	;; [unrolled: 1-line block ×24, first 2 shown]
	ds_read_b128 v[22:25], v114 offset:1536
	ds_read_b128 v[18:21], v114 offset:1552
	;; [unrolled: 1-line block ×6, first 2 shown]
	buffer_load_dword v51, off, s[0:3], 0 offset:684
	buffer_load_dword v50, off, s[0:3], 0 offset:680
	;; [unrolled: 1-line block ×40, first 2 shown]
	v_cmp_lt_u32_e32 vcc, 33, v226
	s_waitcnt vmcnt(34) lgkmcnt(0)
	v_mul_f64 v[120:121], v[14:15], v[54:55]
	s_waitcnt vmcnt(32)
	v_fmac_f64_e32 v[120:121], v[16:17], v[56:57]
	v_mul_f64 v[0:1], v[22:23], v[28:29]
	v_fmac_f64_e32 v[0:1], v[24:25], v[26:27]
	v_mul_f64 v[90:91], v[18:19], v[30:31]
	v_add_f64 v[0:1], v[0:1], 0
	v_mul_f64 v[92:93], v[10:11], v[32:33]
	v_mul_f64 v[24:25], v[24:25], v[28:29]
	;; [unrolled: 1-line block ×3, first 2 shown]
	v_fma_f64 v[22:23], v[22:23], v[26:27], -v[24:25]
	v_add_f64 v[22:23], v[22:23], 0
	v_mul_f64 v[94:95], v[6:7], v[42:43]
	v_fmac_f64_e32 v[90:91], v[20:21], v[48:49]
	v_add_f64 v[0:1], v[0:1], v[90:91]
	v_fmac_f64_e32 v[92:93], v[12:13], v[46:47]
	v_add_f64 v[0:1], v[0:1], v[92:93]
	v_fmac_f64_e32 v[94:95], v[8:9], v[44:45]
	v_add_f64 v[0:1], v[0:1], v[94:95]
	buffer_load_dword v91, off, s[0:3], 0 offset:844
	buffer_load_dword v90, off, s[0:3], 0 offset:840
	;; [unrolled: 1-line block ×40, first 2 shown]
	v_fmac_f64_e32 v[116:117], v[4:5], v[40:41]
	v_add_f64 v[0:1], v[0:1], v[116:117]
	ds_read_b128 v[116:119], v114 offset:1632
	buffer_load_dword v213, off, s[0:3], 0 offset:988
	buffer_load_dword v212, off, s[0:3], 0 offset:984
	;; [unrolled: 1-line block ×4, first 2 shown]
	v_add_f64 v[0:1], v[0:1], v[120:121]
	ds_read_b128 v[120:123], v114 offset:1648
	v_mul_f64 v[20:21], v[20:21], v[30:31]
	s_waitcnt lgkmcnt(1)
	v_mul_f64 v[124:125], v[116:117], v[50:51]
	v_fmac_f64_e32 v[124:125], v[118:119], v[52:53]
	v_add_f64 v[0:1], v[0:1], v[124:125]
	ds_read_b128 v[124:127], v114 offset:1664
	s_waitcnt vmcnt(62) lgkmcnt(1)
	v_mul_f64 v[128:129], v[120:121], v[62:63]
	v_fmac_f64_e32 v[128:129], v[122:123], v[64:65]
	v_add_f64 v[0:1], v[0:1], v[128:129]
	ds_read_b128 v[128:131], v114 offset:1680
	s_waitcnt lgkmcnt(1)
	v_mul_f64 v[132:133], v[124:125], v[58:59]
	v_fmac_f64_e32 v[132:133], v[126:127], v[60:61]
	v_add_f64 v[0:1], v[0:1], v[132:133]
	ds_read_b128 v[132:135], v114 offset:1696
	s_waitcnt lgkmcnt(1)
	v_mul_f64 v[136:137], v[128:129], v[70:71]
	s_waitcnt vmcnt(60)
	v_fmac_f64_e32 v[136:137], v[130:131], v[72:73]
	v_add_f64 v[0:1], v[0:1], v[136:137]
	ds_read_b128 v[136:139], v114 offset:1712
	s_waitcnt lgkmcnt(1)
	v_mul_f64 v[140:141], v[132:133], v[66:67]
	v_fmac_f64_e32 v[140:141], v[134:135], v[68:69]
	v_add_f64 v[0:1], v[0:1], v[140:141]
	ds_read_b128 v[140:143], v114 offset:1728
	s_waitcnt vmcnt(54) lgkmcnt(1)
	v_mul_f64 v[144:145], v[136:137], v[78:79]
	s_waitcnt vmcnt(52)
	v_fmac_f64_e32 v[144:145], v[138:139], v[80:81]
	v_add_f64 v[0:1], v[0:1], v[144:145]
	ds_read_b128 v[144:147], v114 offset:1744
	s_waitcnt lgkmcnt(1)
	v_mul_f64 v[152:153], v[140:141], v[74:75]
	v_fmac_f64_e32 v[152:153], v[142:143], v[76:77]
	v_fma_f64 v[18:19], v[18:19], v[48:49], -v[20:21]
	v_mul_f64 v[12:13], v[12:13], v[32:33]
	v_add_f64 v[0:1], v[0:1], v[152:153]
	ds_read_b128 v[152:155], v114 offset:1760
	v_add_f64 v[18:19], v[22:23], v[18:19]
	v_fma_f64 v[10:11], v[10:11], v[46:47], -v[12:13]
	v_mul_f64 v[8:9], v[8:9], v[42:43]
	v_add_f64 v[10:11], v[18:19], v[10:11]
	v_fma_f64 v[6:7], v[6:7], v[44:45], -v[8:9]
	v_mul_f64 v[4:5], v[4:5], v[38:39]
	;; [unrolled: 3-line block ×3, first 2 shown]
	s_waitcnt vmcnt(46) lgkmcnt(1)
	v_mul_f64 v[156:157], v[144:145], v[86:87]
	v_add_f64 v[2:3], v[6:7], v[2:3]
	v_fma_f64 v[4:5], v[14:15], v[56:57], -v[4:5]
	s_waitcnt vmcnt(44)
	v_fmac_f64_e32 v[156:157], v[146:147], v[88:89]
	v_add_f64 v[2:3], v[2:3], v[4:5]
	v_mul_f64 v[4:5], v[118:119], v[50:51]
	v_add_f64 v[0:1], v[0:1], v[156:157]
	ds_read_b128 v[156:159], v114 offset:1776
	s_waitcnt lgkmcnt(1)
	v_mul_f64 v[160:161], v[152:153], v[82:83]
	v_fma_f64 v[4:5], v[116:117], v[52:53], -v[4:5]
	v_fmac_f64_e32 v[160:161], v[154:155], v[84:85]
	v_add_f64 v[2:3], v[2:3], v[4:5]
	v_mul_f64 v[4:5], v[122:123], v[62:63]
	v_add_f64 v[0:1], v[0:1], v[160:161]
	ds_read_b128 v[160:163], v114 offset:1792
	v_fma_f64 v[4:5], v[120:121], v[64:65], -v[4:5]
	v_add_f64 v[2:3], v[2:3], v[4:5]
	v_mul_f64 v[4:5], v[126:127], v[58:59]
	v_fma_f64 v[4:5], v[124:125], v[60:61], -v[4:5]
	s_waitcnt vmcnt(38) lgkmcnt(1)
	v_mul_f64 v[164:165], v[156:157], v[94:95]
	v_add_f64 v[2:3], v[2:3], v[4:5]
	v_mul_f64 v[4:5], v[130:131], v[70:71]
	s_waitcnt vmcnt(36)
	v_fmac_f64_e32 v[164:165], v[158:159], v[96:97]
	v_fma_f64 v[4:5], v[128:129], v[72:73], -v[4:5]
	v_add_f64 v[0:1], v[0:1], v[164:165]
	ds_read_b128 v[164:167], v114 offset:1808
	s_waitcnt lgkmcnt(1)
	v_mul_f64 v[168:169], v[160:161], v[90:91]
	v_add_f64 v[2:3], v[2:3], v[4:5]
	v_mul_f64 v[4:5], v[134:135], v[66:67]
	v_fmac_f64_e32 v[168:169], v[162:163], v[92:93]
	v_fma_f64 v[4:5], v[132:133], v[68:69], -v[4:5]
	v_add_f64 v[0:1], v[0:1], v[168:169]
	ds_read_b128 v[168:171], v114 offset:1824
	v_add_f64 v[2:3], v[2:3], v[4:5]
	v_mul_f64 v[4:5], v[138:139], v[78:79]
	v_fma_f64 v[4:5], v[136:137], v[80:81], -v[4:5]
	v_add_f64 v[2:3], v[2:3], v[4:5]
	v_mul_f64 v[4:5], v[142:143], v[74:75]
	s_waitcnt vmcnt(30) lgkmcnt(1)
	v_mul_f64 v[172:173], v[164:165], v[102:103]
	v_fma_f64 v[4:5], v[140:141], v[76:77], -v[4:5]
	s_waitcnt vmcnt(28)
	v_fmac_f64_e32 v[172:173], v[166:167], v[104:105]
	v_add_f64 v[2:3], v[2:3], v[4:5]
	v_mul_f64 v[4:5], v[146:147], v[86:87]
	v_add_f64 v[0:1], v[0:1], v[172:173]
	ds_read_b128 v[172:175], v114 offset:1840
	s_waitcnt lgkmcnt(1)
	v_mul_f64 v[176:177], v[168:169], v[98:99]
	v_fma_f64 v[4:5], v[144:145], v[88:89], -v[4:5]
	v_fmac_f64_e32 v[176:177], v[170:171], v[100:101]
	v_add_f64 v[2:3], v[2:3], v[4:5]
	v_mul_f64 v[4:5], v[154:155], v[82:83]
	v_add_f64 v[0:1], v[0:1], v[176:177]
	ds_read_b128 v[176:179], v114 offset:1856
	v_fma_f64 v[4:5], v[152:153], v[84:85], -v[4:5]
	v_add_f64 v[2:3], v[2:3], v[4:5]
	v_mul_f64 v[4:5], v[158:159], v[94:95]
	v_fma_f64 v[4:5], v[156:157], v[96:97], -v[4:5]
	s_waitcnt vmcnt(22) lgkmcnt(1)
	v_mul_f64 v[180:181], v[172:173], v[110:111]
	v_add_f64 v[2:3], v[2:3], v[4:5]
	v_mul_f64 v[4:5], v[162:163], v[90:91]
	s_waitcnt vmcnt(20)
	v_fmac_f64_e32 v[180:181], v[174:175], v[112:113]
	v_fma_f64 v[4:5], v[160:161], v[92:93], -v[4:5]
	v_add_f64 v[0:1], v[0:1], v[180:181]
	ds_read_b128 v[180:183], v114 offset:1872
	s_waitcnt lgkmcnt(1)
	v_mul_f64 v[184:185], v[176:177], v[106:107]
	v_add_f64 v[2:3], v[2:3], v[4:5]
	v_mul_f64 v[4:5], v[166:167], v[102:103]
	v_fmac_f64_e32 v[184:185], v[178:179], v[108:109]
	v_fma_f64 v[4:5], v[164:165], v[104:105], -v[4:5]
	v_add_f64 v[0:1], v[0:1], v[184:185]
	ds_read_b128 v[184:187], v114 offset:1888
	v_add_f64 v[2:3], v[2:3], v[4:5]
	v_mul_f64 v[4:5], v[170:171], v[98:99]
	v_fma_f64 v[4:5], v[168:169], v[100:101], -v[4:5]
	v_add_f64 v[2:3], v[2:3], v[4:5]
	v_mul_f64 v[4:5], v[174:175], v[110:111]
	s_waitcnt vmcnt(14) lgkmcnt(1)
	v_mul_f64 v[188:189], v[180:181], v[200:201]
	v_fma_f64 v[4:5], v[172:173], v[112:113], -v[4:5]
	s_waitcnt vmcnt(12)
	v_fmac_f64_e32 v[188:189], v[182:183], v[202:203]
	v_add_f64 v[2:3], v[2:3], v[4:5]
	v_mul_f64 v[4:5], v[178:179], v[106:107]
	v_add_f64 v[0:1], v[0:1], v[188:189]
	ds_read_b128 v[188:191], v114 offset:1904
	s_waitcnt lgkmcnt(1)
	v_mul_f64 v[192:193], v[184:185], v[148:149]
	v_fma_f64 v[4:5], v[176:177], v[108:109], -v[4:5]
	v_fmac_f64_e32 v[192:193], v[186:187], v[150:151]
	v_add_f64 v[2:3], v[2:3], v[4:5]
	v_mul_f64 v[4:5], v[182:183], v[200:201]
	v_add_f64 v[0:1], v[0:1], v[192:193]
	ds_read_b128 v[192:195], v114 offset:1920
	v_fma_f64 v[4:5], v[180:181], v[202:203], -v[4:5]
	v_add_f64 v[2:3], v[2:3], v[4:5]
	v_mul_f64 v[4:5], v[186:187], v[148:149]
	ds_read_b128 v[196:199], v114 offset:1936
	v_fma_f64 v[4:5], v[184:185], v[150:151], -v[4:5]
	v_add_f64 v[2:3], v[2:3], v[4:5]
	s_waitcnt vmcnt(6) lgkmcnt(2)
	v_mul_f64 v[4:5], v[190:191], v[208:209]
	s_waitcnt vmcnt(4)
	v_fma_f64 v[4:5], v[188:189], v[210:211], -v[4:5]
	v_mul_f64 v[216:217], v[188:189], v[208:209]
	v_add_f64 v[2:3], v[2:3], v[4:5]
	s_waitcnt lgkmcnt(1)
	v_mul_f64 v[4:5], v[194:195], v[204:205]
	v_fmac_f64_e32 v[216:217], v[190:191], v[210:211]
	v_mul_f64 v[114:115], v[192:193], v[204:205]
	v_fma_f64 v[4:5], v[192:193], v[206:207], -v[4:5]
	v_add_f64 v[0:1], v[0:1], v[216:217]
	v_fmac_f64_e32 v[114:115], v[194:195], v[206:207]
	v_add_f64 v[2:3], v[2:3], v[4:5]
	s_waitcnt vmcnt(2) lgkmcnt(0)
	v_mul_f64 v[4:5], v[198:199], v[212:213]
	v_add_f64 v[0:1], v[0:1], v[114:115]
	v_mul_f64 v[114:115], v[196:197], v[212:213]
	s_waitcnt vmcnt(0)
	v_fma_f64 v[4:5], v[196:197], v[214:215], -v[4:5]
	v_fmac_f64_e32 v[114:115], v[198:199], v[214:215]
	v_add_f64 v[2:3], v[2:3], v[4:5]
	v_add_f64 v[0:1], v[0:1], v[114:115]
	v_add_f64 v[2:3], v[36:37], -v[2:3]
	v_add_f64 v[0:1], v[34:35], -v[0:1]
	buffer_store_dword v3, off, s[0:3], 0 offset:564
	buffer_store_dword v2, off, s[0:3], 0 offset:560
	;; [unrolled: 1-line block ×4, first 2 shown]
	s_and_saveexec_b64 s[4:5], vcc
	s_cbranch_execz .LBB124_325
; %bb.324:
	v_accvgpr_read_b32 v0, a149
	buffer_load_dword v2, v0, s[0:3], 0 offen
	buffer_load_dword v3, v0, s[0:3], 0 offen offset:4
	buffer_load_dword v4, v0, s[0:3], 0 offen offset:8
	;; [unrolled: 1-line block ×3, first 2 shown]
	v_mov_b32_e32 v0, 0
	v_accvgpr_read_b32 v1, a183
	buffer_store_dword v0, off, s[0:3], 0 offset:544
	buffer_store_dword v0, off, s[0:3], 0 offset:548
	;; [unrolled: 1-line block ×4, first 2 shown]
	s_waitcnt vmcnt(4)
	ds_write_b128 v1, v[2:5]
.LBB124_325:
	s_or_b64 exec, exec, s[4:5]
	s_waitcnt lgkmcnt(0)
	; wave barrier
	s_waitcnt lgkmcnt(0)
	buffer_load_dword v30, off, s[0:3], 0 offset:560
	buffer_load_dword v31, off, s[0:3], 0 offset:564
	;; [unrolled: 1-line block ×56, first 2 shown]
	v_mov_b32_e32 v134, 0
	ds_read_b128 v[26:29], v134 offset:1520
	ds_read_b128 v[22:25], v134 offset:1536
	;; [unrolled: 1-line block ×7, first 2 shown]
	v_accvgpr_write_b32 a182, v226
	v_cmp_lt_u32_e32 vcc, 32, v226
	s_waitcnt vmcnt(52) lgkmcnt(6)
	v_mul_f64 v[0:1], v[26:27], v[34:35]
	v_fmac_f64_e32 v[0:1], v[28:29], v[30:31]
	v_add_f64 v[0:1], v[0:1], 0
	v_mul_f64 v[28:29], v[28:29], v[34:35]
	s_waitcnt vmcnt(48) lgkmcnt(5)
	v_mul_f64 v[86:87], v[22:23], v[36:37]
	v_fmac_f64_e32 v[86:87], v[24:25], v[32:33]
	s_waitcnt vmcnt(46) lgkmcnt(4)
	v_mul_f64 v[88:89], v[18:19], v[38:39]
	v_add_f64 v[0:1], v[0:1], v[86:87]
	s_waitcnt vmcnt(44) lgkmcnt(2)
	v_mul_f64 v[92:93], v[10:11], v[40:41]
	v_fma_f64 v[26:27], v[26:27], v[30:31], -v[28:29]
	s_waitcnt vmcnt(42)
	v_fmac_f64_e32 v[92:93], v[12:13], v[42:43]
	v_mul_f64 v[24:25], v[24:25], v[36:37]
	s_waitcnt vmcnt(40)
	v_mul_f64 v[90:91], v[14:15], v[48:49]
	v_add_f64 v[26:27], v[26:27], 0
	v_fma_f64 v[22:23], v[22:23], v[32:33], -v[24:25]
	v_add_f64 v[22:23], v[26:27], v[22:23]
	s_waitcnt vmcnt(36) lgkmcnt(1)
	v_mul_f64 v[110:111], v[6:7], v[54:55]
	v_mul_f64 v[12:13], v[12:13], v[40:41]
	s_waitcnt vmcnt(34)
	v_fmac_f64_e32 v[88:89], v[20:21], v[60:61]
	v_add_f64 v[0:1], v[0:1], v[88:89]
	s_waitcnt vmcnt(32)
	v_fmac_f64_e32 v[90:91], v[16:17], v[58:59]
	v_add_f64 v[0:1], v[0:1], v[90:91]
	v_add_f64 v[116:117], v[0:1], v[92:93]
	buffer_load_dword v87, off, s[0:3], 0 offset:796
	buffer_load_dword v86, off, s[0:3], 0 offset:792
	;; [unrolled: 1-line block ×56, first 2 shown]
	ds_read_b128 v[124:127], v134 offset:1632
	ds_read_b128 v[128:131], v134 offset:1648
	v_mul_f64 v[20:21], v[20:21], v[38:39]
	v_fma_f64 v[18:19], v[18:19], v[60:61], -v[20:21]
	v_mul_f64 v[16:17], v[16:17], v[48:49]
	s_waitcnt vmcnt(62)
	v_fmac_f64_e32 v[110:111], v[8:9], v[56:57]
	v_add_f64 v[18:19], v[22:23], v[18:19]
	v_fma_f64 v[14:15], v[14:15], v[58:59], -v[16:17]
	v_add_f64 v[110:111], v[116:117], v[110:111]
	s_waitcnt lgkmcnt(2)
	v_mul_f64 v[116:117], v[2:3], v[50:51]
	v_add_f64 v[14:15], v[18:19], v[14:15]
	v_fma_f64 v[10:11], v[10:11], v[42:43], -v[12:13]
	v_mul_f64 v[8:9], v[8:9], v[54:55]
	v_fmac_f64_e32 v[116:117], v[4:5], v[52:53]
	ds_read_b128 v[136:139], v134 offset:1664
	ds_read_b128 v[140:143], v134 offset:1680
	v_add_f64 v[10:11], v[14:15], v[10:11]
	v_fma_f64 v[6:7], v[6:7], v[56:57], -v[8:9]
	v_mul_f64 v[4:5], v[4:5], v[50:51]
	v_add_f64 v[110:111], v[110:111], v[116:117]
	s_waitcnt lgkmcnt(3)
	v_mul_f64 v[116:117], v[124:125], v[66:67]
	v_add_f64 v[6:7], v[10:11], v[6:7]
	v_fma_f64 v[2:3], v[2:3], v[52:53], -v[4:5]
	v_mul_f64 v[4:5], v[126:127], v[66:67]
	v_fmac_f64_e32 v[116:117], v[126:127], v[68:69]
	v_add_f64 v[2:3], v[6:7], v[2:3]
	v_fma_f64 v[4:5], v[124:125], v[68:69], -v[4:5]
	v_add_f64 v[110:111], v[110:111], v[116:117]
	s_waitcnt lgkmcnt(2)
	v_mul_f64 v[116:117], v[128:129], v[62:63]
	v_add_f64 v[2:3], v[2:3], v[4:5]
	v_mul_f64 v[4:5], v[130:131], v[62:63]
	v_fmac_f64_e32 v[116:117], v[130:131], v[64:65]
	ds_read_b128 v[144:147], v134 offset:1696
	ds_read_b128 v[152:155], v134 offset:1712
	v_fma_f64 v[4:5], v[128:129], v[64:65], -v[4:5]
	v_add_f64 v[110:111], v[110:111], v[116:117]
	s_waitcnt lgkmcnt(3)
	v_mul_f64 v[116:117], v[136:137], v[74:75]
	v_add_f64 v[2:3], v[2:3], v[4:5]
	v_mul_f64 v[4:5], v[138:139], v[74:75]
	v_fmac_f64_e32 v[116:117], v[138:139], v[76:77]
	v_fma_f64 v[4:5], v[136:137], v[76:77], -v[4:5]
	v_add_f64 v[110:111], v[110:111], v[116:117]
	s_waitcnt lgkmcnt(2)
	v_mul_f64 v[116:117], v[140:141], v[70:71]
	v_add_f64 v[2:3], v[2:3], v[4:5]
	v_mul_f64 v[4:5], v[142:143], v[70:71]
	v_fmac_f64_e32 v[116:117], v[142:143], v[72:73]
	ds_read_b128 v[156:159], v134 offset:1728
	ds_read_b128 v[160:163], v134 offset:1744
	v_fma_f64 v[4:5], v[140:141], v[72:73], -v[4:5]
	v_add_f64 v[110:111], v[110:111], v[116:117]
	s_waitcnt vmcnt(58) lgkmcnt(3)
	v_mul_f64 v[116:117], v[144:145], v[82:83]
	v_add_f64 v[2:3], v[2:3], v[4:5]
	v_mul_f64 v[4:5], v[146:147], v[82:83]
	s_waitcnt vmcnt(56)
	v_fmac_f64_e32 v[116:117], v[146:147], v[84:85]
	v_fma_f64 v[4:5], v[144:145], v[84:85], -v[4:5]
	v_add_f64 v[110:111], v[110:111], v[116:117]
	s_waitcnt lgkmcnt(2)
	v_mul_f64 v[116:117], v[152:153], v[78:79]
	v_add_f64 v[2:3], v[2:3], v[4:5]
	v_mul_f64 v[4:5], v[154:155], v[78:79]
	v_fmac_f64_e32 v[116:117], v[154:155], v[80:81]
	ds_read_b128 v[164:167], v134 offset:1760
	ds_read_b128 v[168:171], v134 offset:1776
	v_fma_f64 v[4:5], v[152:153], v[80:81], -v[4:5]
	v_add_f64 v[110:111], v[110:111], v[116:117]
	s_waitcnt vmcnt(50) lgkmcnt(3)
	v_mul_f64 v[116:117], v[156:157], v[90:91]
	v_add_f64 v[2:3], v[2:3], v[4:5]
	v_mul_f64 v[4:5], v[158:159], v[90:91]
	s_waitcnt vmcnt(48)
	;; [unrolled: 17-line block ×7, first 2 shown]
	v_fma_f64 v[2:3], v[196:197], v[216:217], -v[2:3]
	v_fmac_f64_e32 v[116:117], v[198:199], v[216:217]
	v_add_f64 v[0:1], v[0:1], v[2:3]
	s_waitcnt lgkmcnt(2)
	v_mul_f64 v[2:3], v[202:203], v[150:151]
	v_add_f64 v[110:111], v[110:111], v[116:117]
	v_mul_f64 v[116:117], v[200:201], v[150:151]
	v_fma_f64 v[2:3], v[200:201], v[212:213], -v[2:3]
	v_fmac_f64_e32 v[116:117], v[202:203], v[212:213]
	v_add_f64 v[0:1], v[0:1], v[2:3]
	s_waitcnt vmcnt(2) lgkmcnt(1)
	v_mul_f64 v[2:3], v[206:207], v[222:223]
	v_add_f64 v[110:111], v[110:111], v[116:117]
	v_mul_f64 v[116:117], v[204:205], v[222:223]
	s_waitcnt vmcnt(0)
	v_fma_f64 v[2:3], v[204:205], v[224:225], -v[2:3]
	v_fmac_f64_e32 v[116:117], v[206:207], v[224:225]
	v_add_f64 v[0:1], v[0:1], v[2:3]
	s_waitcnt lgkmcnt(0)
	v_mul_f64 v[2:3], v[210:211], v[218:219]
	v_add_f64 v[110:111], v[110:111], v[116:117]
	v_mul_f64 v[116:117], v[208:209], v[218:219]
	v_fma_f64 v[2:3], v[208:209], v[220:221], -v[2:3]
	v_fmac_f64_e32 v[116:117], v[210:211], v[220:221]
	v_add_f64 v[0:1], v[0:1], v[2:3]
	v_add_f64 v[110:111], v[110:111], v[116:117]
	v_add_f64 v[0:1], v[46:47], -v[0:1]
	v_add_f64 v[2:3], v[44:45], -v[110:111]
	buffer_store_dword v1, off, s[0:3], 0 offset:548
	buffer_store_dword v0, off, s[0:3], 0 offset:544
	;; [unrolled: 1-line block ×4, first 2 shown]
	s_and_saveexec_b64 s[4:5], vcc
	s_cbranch_execz .LBB124_327
; %bb.326:
	v_accvgpr_read_b32 v0, a150
	buffer_load_dword v2, v0, s[0:3], 0 offen
	buffer_load_dword v3, v0, s[0:3], 0 offen offset:4
	buffer_load_dword v4, v0, s[0:3], 0 offen offset:8
	;; [unrolled: 1-line block ×3, first 2 shown]
	v_accvgpr_read_b32 v0, a183
	buffer_store_dword v134, off, s[0:3], 0 offset:528
	buffer_store_dword v134, off, s[0:3], 0 offset:532
	;; [unrolled: 1-line block ×4, first 2 shown]
	s_waitcnt vmcnt(4)
	ds_write_b128 v0, v[2:5]
.LBB124_327:
	s_or_b64 exec, exec, s[4:5]
	s_waitcnt lgkmcnt(0)
	; wave barrier
	s_waitcnt lgkmcnt(0)
	buffer_load_dword v34, off, s[0:3], 0 offset:544
	buffer_load_dword v35, off, s[0:3], 0 offset:548
	;; [unrolled: 1-line block ×32, first 2 shown]
	ds_read_b128 v[30:33], v134 offset:1504
	ds_read_b128 v[26:29], v134 offset:1520
	ds_read_b128 v[22:25], v134 offset:1536
	ds_read_b128 v[18:21], v134 offset:1552
	ds_read_b128 v[10:13], v134 offset:1568
	ds_read_b128 v[6:9], v134 offset:1584
	ds_read_b128 v[2:5], v134 offset:1600
	ds_read_b128 v[14:17], v134 offset:1616
	buffer_load_dword v67, off, s[0:3], 0 offset:684
	buffer_load_dword v66, off, s[0:3], 0 offset:680
	;; [unrolled: 1-line block ×24, first 2 shown]
	s_waitcnt vmcnt(52) lgkmcnt(7)
	v_mul_f64 v[0:1], v[30:31], v[38:39]
	v_fmac_f64_e32 v[0:1], v[32:33], v[34:35]
	v_add_f64 v[0:1], v[0:1], 0
	v_mul_f64 v[32:33], v[32:33], v[38:39]
	s_waitcnt vmcnt(48) lgkmcnt(6)
	v_mul_f64 v[90:91], v[26:27], v[40:41]
	v_fmac_f64_e32 v[90:91], v[28:29], v[36:37]
	s_waitcnt vmcnt(46) lgkmcnt(5)
	v_mul_f64 v[92:93], v[22:23], v[42:43]
	v_add_f64 v[0:1], v[0:1], v[90:91]
	s_waitcnt vmcnt(44) lgkmcnt(4)
	v_mul_f64 v[94:95], v[18:19], v[48:49]
	v_fma_f64 v[30:31], v[30:31], v[34:35], -v[32:33]
	s_waitcnt vmcnt(42) lgkmcnt(1)
	v_mul_f64 v[122:123], v[2:3], v[50:51]
	v_mul_f64 v[28:29], v[28:29], v[40:41]
	s_waitcnt vmcnt(18) lgkmcnt(0)
	v_mul_f64 v[138:139], v[14:15], v[70:71]
	v_mul_f64 v[98:99], v[6:7], v[54:55]
	s_waitcnt vmcnt(16)
	v_fmac_f64_e32 v[138:139], v[16:17], v[72:73]
	v_mul_f64 v[96:97], v[10:11], v[56:57]
	v_add_f64 v[30:31], v[30:31], 0
	v_fmac_f64_e32 v[96:97], v[12:13], v[58:59]
	v_fma_f64 v[26:27], v[26:27], v[36:37], -v[28:29]
	v_fmac_f64_e32 v[92:93], v[24:25], v[64:65]
	v_add_f64 v[0:1], v[0:1], v[92:93]
	v_fmac_f64_e32 v[94:95], v[20:21], v[62:63]
	v_add_f64 v[0:1], v[0:1], v[94:95]
	;; [unrolled: 2-line block ×3, first 2 shown]
	v_add_f64 v[124:125], v[0:1], v[98:99]
	buffer_load_dword v91, off, s[0:3], 0 offset:780
	buffer_load_dword v90, off, s[0:3], 0 offset:776
	;; [unrolled: 1-line block ×56, first 2 shown]
	v_fmac_f64_e32 v[122:123], v[4:5], v[52:53]
	v_add_f64 v[136:137], v[124:125], v[122:123]
	ds_read_b128 v[122:125], v134 offset:1632
	buffer_load_dword v227, off, s[0:3], 0 offset:988
	buffer_load_dword v226, off, s[0:3], 0 offset:984
	;; [unrolled: 1-line block ×4, first 2 shown]
	v_add_f64 v[140:141], v[136:137], v[138:139]
	ds_read_b128 v[136:139], v134 offset:1648
	v_mul_f64 v[24:25], v[24:25], v[42:43]
	s_waitcnt lgkmcnt(1)
	v_mul_f64 v[142:143], v[122:123], v[66:67]
	v_fmac_f64_e32 v[142:143], v[124:125], v[68:69]
	v_add_f64 v[144:145], v[140:141], v[142:143]
	ds_read_b128 v[140:143], v134 offset:1664
	s_waitcnt vmcnt(62) lgkmcnt(1)
	v_mul_f64 v[146:147], v[136:137], v[78:79]
	v_fmac_f64_e32 v[146:147], v[138:139], v[80:81]
	v_add_f64 v[152:153], v[144:145], v[146:147]
	ds_read_b128 v[144:147], v134 offset:1680
	s_waitcnt lgkmcnt(1)
	v_mul_f64 v[154:155], v[140:141], v[74:75]
	v_fmac_f64_e32 v[154:155], v[142:143], v[76:77]
	v_add_f64 v[156:157], v[152:153], v[154:155]
	ds_read_b128 v[152:155], v134 offset:1696
	s_waitcnt lgkmcnt(1)
	v_mul_f64 v[158:159], v[144:145], v[86:87]
	s_waitcnt vmcnt(60)
	v_fmac_f64_e32 v[158:159], v[146:147], v[88:89]
	v_add_f64 v[160:161], v[156:157], v[158:159]
	ds_read_b128 v[156:159], v134 offset:1712
	s_waitcnt lgkmcnt(1)
	v_mul_f64 v[162:163], v[152:153], v[82:83]
	v_fmac_f64_e32 v[162:163], v[154:155], v[84:85]
	v_add_f64 v[164:165], v[160:161], v[162:163]
	ds_read_b128 v[160:163], v134 offset:1728
	v_add_f64 v[26:27], v[30:31], v[26:27]
	v_fma_f64 v[22:23], v[22:23], v[64:65], -v[24:25]
	s_waitcnt vmcnt(54) lgkmcnt(1)
	v_mul_f64 v[166:167], v[156:157], v[94:95]
	v_mul_f64 v[20:21], v[20:21], v[48:49]
	s_waitcnt vmcnt(52)
	v_fmac_f64_e32 v[166:167], v[158:159], v[96:97]
	v_add_f64 v[168:169], v[164:165], v[166:167]
	ds_read_b128 v[164:167], v134 offset:1744
	s_waitcnt lgkmcnt(1)
	v_mul_f64 v[170:171], v[160:161], v[90:91]
	v_fmac_f64_e32 v[170:171], v[162:163], v[92:93]
	v_add_f64 v[172:173], v[168:169], v[170:171]
	ds_read_b128 v[168:171], v134 offset:1760
	v_add_f64 v[22:23], v[26:27], v[22:23]
	v_fma_f64 v[18:19], v[18:19], v[62:63], -v[20:21]
	v_mul_f64 v[12:13], v[12:13], v[56:57]
	v_add_f64 v[18:19], v[22:23], v[18:19]
	v_fma_f64 v[10:11], v[10:11], v[58:59], -v[12:13]
	v_mul_f64 v[8:9], v[8:9], v[54:55]
	;; [unrolled: 3-line block ×3, first 2 shown]
	s_waitcnt vmcnt(46) lgkmcnt(1)
	v_mul_f64 v[174:175], v[164:165], v[102:103]
	v_add_f64 v[6:7], v[10:11], v[6:7]
	v_fma_f64 v[2:3], v[2:3], v[52:53], -v[4:5]
	v_mul_f64 v[4:5], v[16:17], v[70:71]
	s_waitcnt vmcnt(44)
	v_fmac_f64_e32 v[174:175], v[166:167], v[104:105]
	v_add_f64 v[2:3], v[6:7], v[2:3]
	v_fma_f64 v[4:5], v[14:15], v[72:73], -v[4:5]
	v_add_f64 v[176:177], v[172:173], v[174:175]
	ds_read_b128 v[172:175], v134 offset:1776
	s_waitcnt lgkmcnt(1)
	v_mul_f64 v[178:179], v[168:169], v[98:99]
	v_add_f64 v[2:3], v[2:3], v[4:5]
	v_mul_f64 v[4:5], v[124:125], v[66:67]
	v_fmac_f64_e32 v[178:179], v[170:171], v[100:101]
	v_fma_f64 v[4:5], v[122:123], v[68:69], -v[4:5]
	v_add_f64 v[180:181], v[176:177], v[178:179]
	ds_read_b128 v[176:179], v134 offset:1792
	v_add_f64 v[2:3], v[2:3], v[4:5]
	v_mul_f64 v[4:5], v[138:139], v[78:79]
	v_fma_f64 v[4:5], v[136:137], v[80:81], -v[4:5]
	v_add_f64 v[2:3], v[2:3], v[4:5]
	v_mul_f64 v[4:5], v[142:143], v[74:75]
	s_waitcnt vmcnt(38) lgkmcnt(1)
	v_mul_f64 v[182:183], v[172:173], v[110:111]
	v_fma_f64 v[4:5], v[140:141], v[76:77], -v[4:5]
	s_waitcnt vmcnt(36)
	v_fmac_f64_e32 v[182:183], v[174:175], v[112:113]
	v_add_f64 v[2:3], v[2:3], v[4:5]
	v_mul_f64 v[4:5], v[146:147], v[86:87]
	v_add_f64 v[184:185], v[180:181], v[182:183]
	ds_read_b128 v[180:183], v134 offset:1808
	s_waitcnt lgkmcnt(1)
	v_mul_f64 v[186:187], v[176:177], v[106:107]
	v_fma_f64 v[4:5], v[144:145], v[88:89], -v[4:5]
	v_fmac_f64_e32 v[186:187], v[178:179], v[108:109]
	v_add_f64 v[2:3], v[2:3], v[4:5]
	v_mul_f64 v[4:5], v[154:155], v[82:83]
	v_add_f64 v[188:189], v[184:185], v[186:187]
	ds_read_b128 v[184:187], v134 offset:1824
	v_fma_f64 v[4:5], v[152:153], v[84:85], -v[4:5]
	v_add_f64 v[2:3], v[2:3], v[4:5]
	v_mul_f64 v[4:5], v[158:159], v[94:95]
	v_fma_f64 v[4:5], v[156:157], v[96:97], -v[4:5]
	s_waitcnt vmcnt(30) lgkmcnt(1)
	v_mul_f64 v[190:191], v[180:181], v[118:119]
	v_add_f64 v[2:3], v[2:3], v[4:5]
	v_mul_f64 v[4:5], v[162:163], v[90:91]
	s_waitcnt vmcnt(28)
	v_fmac_f64_e32 v[190:191], v[182:183], v[120:121]
	v_fma_f64 v[4:5], v[160:161], v[92:93], -v[4:5]
	v_add_f64 v[192:193], v[188:189], v[190:191]
	ds_read_b128 v[188:191], v134 offset:1840
	s_waitcnt lgkmcnt(1)
	v_mul_f64 v[194:195], v[184:185], v[114:115]
	v_add_f64 v[2:3], v[2:3], v[4:5]
	v_mul_f64 v[4:5], v[166:167], v[102:103]
	v_fmac_f64_e32 v[194:195], v[186:187], v[116:117]
	v_fma_f64 v[4:5], v[164:165], v[104:105], -v[4:5]
	v_add_f64 v[196:197], v[192:193], v[194:195]
	ds_read_b128 v[192:195], v134 offset:1856
	v_add_f64 v[2:3], v[2:3], v[4:5]
	v_mul_f64 v[4:5], v[170:171], v[98:99]
	v_fma_f64 v[4:5], v[168:169], v[100:101], -v[4:5]
	v_add_f64 v[2:3], v[2:3], v[4:5]
	v_mul_f64 v[4:5], v[174:175], v[110:111]
	s_waitcnt vmcnt(22) lgkmcnt(1)
	v_mul_f64 v[198:199], v[188:189], v[130:131]
	v_fma_f64 v[4:5], v[172:173], v[112:113], -v[4:5]
	s_waitcnt vmcnt(20)
	v_fmac_f64_e32 v[198:199], v[190:191], v[132:133]
	v_add_f64 v[2:3], v[2:3], v[4:5]
	v_mul_f64 v[4:5], v[178:179], v[106:107]
	v_add_f64 v[200:201], v[196:197], v[198:199]
	ds_read_b128 v[196:199], v134 offset:1872
	s_waitcnt lgkmcnt(1)
	v_mul_f64 v[202:203], v[192:193], v[126:127]
	v_fma_f64 v[4:5], v[176:177], v[108:109], -v[4:5]
	v_fmac_f64_e32 v[202:203], v[194:195], v[128:129]
	v_add_f64 v[2:3], v[2:3], v[4:5]
	v_mul_f64 v[4:5], v[182:183], v[118:119]
	v_add_f64 v[204:205], v[200:201], v[202:203]
	ds_read_b128 v[200:203], v134 offset:1888
	v_fma_f64 v[4:5], v[180:181], v[120:121], -v[4:5]
	v_add_f64 v[2:3], v[2:3], v[4:5]
	v_mul_f64 v[4:5], v[186:187], v[114:115]
	v_fma_f64 v[4:5], v[184:185], v[116:117], -v[4:5]
	s_waitcnt vmcnt(14) lgkmcnt(1)
	v_mul_f64 v[206:207], v[196:197], v[150:151]
	v_add_f64 v[2:3], v[2:3], v[4:5]
	v_mul_f64 v[4:5], v[190:191], v[130:131]
	s_waitcnt vmcnt(12)
	v_fmac_f64_e32 v[206:207], v[198:199], v[216:217]
	v_fma_f64 v[4:5], v[188:189], v[132:133], -v[4:5]
	v_add_f64 v[208:209], v[204:205], v[206:207]
	ds_read_b128 v[204:207], v134 offset:1904
	s_waitcnt lgkmcnt(1)
	v_mul_f64 v[210:211], v[200:201], v[0:1]
	v_add_f64 v[2:3], v[2:3], v[4:5]
	v_mul_f64 v[4:5], v[194:195], v[126:127]
	v_fmac_f64_e32 v[210:211], v[202:203], v[148:149]
	v_fma_f64 v[4:5], v[192:193], v[128:129], -v[4:5]
	v_add_f64 v[230:231], v[208:209], v[210:211]
	ds_read_b128 v[208:211], v134 offset:1920
	v_add_f64 v[2:3], v[2:3], v[4:5]
	v_mul_f64 v[4:5], v[198:199], v[150:151]
	v_fma_f64 v[4:5], v[196:197], v[216:217], -v[4:5]
	v_mul_f64 v[0:1], v[202:203], v[0:1]
	ds_read_b128 v[212:215], v134 offset:1936
	v_add_f64 v[2:3], v[2:3], v[4:5]
	v_fma_f64 v[0:1], v[200:201], v[148:149], -v[0:1]
	v_add_f64 v[0:1], v[2:3], v[0:1]
	s_waitcnt vmcnt(6) lgkmcnt(2)
	v_mul_f64 v[2:3], v[206:207], v[222:223]
	v_mul_f64 v[232:233], v[204:205], v[222:223]
	s_waitcnt vmcnt(4)
	v_fma_f64 v[2:3], v[204:205], v[224:225], -v[2:3]
	v_fmac_f64_e32 v[232:233], v[206:207], v[224:225]
	v_add_f64 v[0:1], v[0:1], v[2:3]
	s_waitcnt lgkmcnt(1)
	v_mul_f64 v[2:3], v[210:211], v[218:219]
	v_add_f64 v[134:135], v[230:231], v[232:233]
	v_mul_f64 v[230:231], v[208:209], v[218:219]
	v_fma_f64 v[2:3], v[208:209], v[220:221], -v[2:3]
	v_fmac_f64_e32 v[230:231], v[210:211], v[220:221]
	v_add_f64 v[0:1], v[0:1], v[2:3]
	s_waitcnt vmcnt(2) lgkmcnt(0)
	v_mul_f64 v[2:3], v[214:215], v[226:227]
	v_add_f64 v[134:135], v[134:135], v[230:231]
	v_mul_f64 v[230:231], v[212:213], v[226:227]
	s_waitcnt vmcnt(0)
	v_fma_f64 v[2:3], v[212:213], v[228:229], -v[2:3]
	v_fmac_f64_e32 v[230:231], v[214:215], v[228:229]
	v_add_f64 v[0:1], v[0:1], v[2:3]
	v_add_f64 v[134:135], v[134:135], v[230:231]
	v_add_f64 v[0:1], v[46:47], -v[0:1]
	v_add_f64 v[2:3], v[44:45], -v[134:135]
	buffer_store_dword v1, off, s[0:3], 0 offset:532
	buffer_store_dword v0, off, s[0:3], 0 offset:528
	;; [unrolled: 1-line block ×4, first 2 shown]
	v_accvgpr_read_b32 v0, a182
	v_cmp_lt_u32_e32 vcc, 31, v0
	s_and_saveexec_b64 s[4:5], vcc
	s_cbranch_execz .LBB124_329
; %bb.328:
	v_accvgpr_read_b32 v0, a151
	buffer_load_dword v2, v0, s[0:3], 0 offen
	buffer_load_dword v3, v0, s[0:3], 0 offen offset:4
	buffer_load_dword v4, v0, s[0:3], 0 offen offset:8
	;; [unrolled: 1-line block ×3, first 2 shown]
	v_mov_b32_e32 v0, 0
	v_accvgpr_read_b32 v1, a183
	buffer_store_dword v0, off, s[0:3], 0 offset:512
	buffer_store_dword v0, off, s[0:3], 0 offset:516
	;; [unrolled: 1-line block ×4, first 2 shown]
	s_waitcnt vmcnt(4)
	ds_write_b128 v1, v[2:5]
.LBB124_329:
	s_or_b64 exec, exec, s[4:5]
	s_waitcnt lgkmcnt(0)
	; wave barrier
	s_waitcnt lgkmcnt(0)
	buffer_load_dword v38, off, s[0:3], 0 offset:528
	buffer_load_dword v39, off, s[0:3], 0 offset:532
	;; [unrolled: 1-line block ×48, first 2 shown]
	v_mov_b32_e32 v152, 0
	ds_read_b128 v[34:37], v152 offset:1488
	ds_read_b128 v[30:33], v152 offset:1504
	;; [unrolled: 1-line block ×9, first 2 shown]
	s_waitcnt vmcnt(44) lgkmcnt(8)
	v_mul_f64 v[0:1], v[34:35], v[42:43]
	v_fmac_f64_e32 v[0:1], v[36:37], v[38:39]
	v_add_f64 v[0:1], v[0:1], 0
	v_mul_f64 v[36:37], v[36:37], v[42:43]
	s_waitcnt vmcnt(40) lgkmcnt(7)
	v_mul_f64 v[86:87], v[30:31], v[44:45]
	v_fmac_f64_e32 v[86:87], v[32:33], v[40:41]
	s_waitcnt vmcnt(38) lgkmcnt(6)
	v_mul_f64 v[88:89], v[26:27], v[46:47]
	v_add_f64 v[0:1], v[0:1], v[86:87]
	s_waitcnt vmcnt(36) lgkmcnt(4)
	v_mul_f64 v[92:93], v[18:19], v[48:49]
	v_fma_f64 v[34:35], v[34:35], v[38:39], -v[36:37]
	s_waitcnt vmcnt(34)
	v_fmac_f64_e32 v[92:93], v[20:21], v[50:51]
	v_mul_f64 v[32:33], v[32:33], v[44:45]
	s_waitcnt vmcnt(32)
	v_mul_f64 v[90:91], v[22:23], v[52:53]
	v_add_f64 v[34:35], v[34:35], 0
	s_waitcnt vmcnt(30) lgkmcnt(2)
	v_mul_f64 v[96:97], v[10:11], v[54:55]
	v_fma_f64 v[30:31], v[30:31], v[40:41], -v[32:33]
	s_waitcnt vmcnt(28)
	v_fmac_f64_e32 v[96:97], v[12:13], v[56:57]
	v_add_f64 v[30:31], v[34:35], v[30:31]
	s_waitcnt vmcnt(26)
	v_mul_f64 v[94:95], v[14:15], v[58:59]
	v_mul_f64 v[20:21], v[20:21], v[48:49]
	v_fma_f64 v[18:19], v[18:19], v[50:51], -v[20:21]
	v_mul_f64 v[12:13], v[12:13], v[54:55]
	s_waitcnt vmcnt(22) lgkmcnt(1)
	v_mul_f64 v[110:111], v[6:7], v[68:69]
	v_fma_f64 v[10:11], v[10:11], v[56:57], -v[12:13]
	s_waitcnt vmcnt(20)
	v_fmac_f64_e32 v[88:89], v[28:29], v[76:77]
	v_add_f64 v[0:1], v[0:1], v[88:89]
	s_waitcnt vmcnt(18)
	v_fmac_f64_e32 v[90:91], v[24:25], v[74:75]
	v_add_f64 v[0:1], v[0:1], v[90:91]
	;; [unrolled: 3-line block ×3, first 2 shown]
	v_add_f64 v[0:1], v[0:1], v[94:95]
	v_add_f64 v[112:113], v[0:1], v[96:97]
	buffer_load_dword v87, off, s[0:3], 0 offset:732
	buffer_load_dword v86, off, s[0:3], 0 offset:728
	;; [unrolled: 1-line block ×72, first 2 shown]
	s_waitcnt vmcnt(62)
	v_fmac_f64_e32 v[110:111], v[8:9], v[70:71]
	v_add_f64 v[142:143], v[112:113], v[110:111]
	ds_read_b128 v[110:113], v152 offset:1632
	s_waitcnt lgkmcnt(1)
	v_mul_f64 v[144:145], v[2:3], v[64:65]
	v_fmac_f64_e32 v[144:145], v[4:5], v[66:67]
	v_add_f64 v[146:147], v[142:143], v[144:145]
	ds_read_b128 v[142:145], v152 offset:1648
	s_waitcnt lgkmcnt(1)
	v_mul_f64 v[148:149], v[110:111], v[82:83]
	;; [unrolled: 5-line block ×5, first 2 shown]
	v_fmac_f64_e32 v[164:165], v[156:157], v[88:89]
	v_add_f64 v[166:167], v[162:163], v[164:165]
	ds_read_b128 v[162:165], v152 offset:1712
	s_waitcnt vmcnt(58) lgkmcnt(1)
	v_mul_f64 v[168:169], v[158:159], v[98:99]
	s_waitcnt vmcnt(56)
	v_fmac_f64_e32 v[168:169], v[160:161], v[100:101]
	v_add_f64 v[170:171], v[166:167], v[168:169]
	ds_read_b128 v[166:169], v152 offset:1728
	s_waitcnt lgkmcnt(1)
	v_mul_f64 v[172:173], v[162:163], v[94:95]
	v_fmac_f64_e32 v[172:173], v[164:165], v[96:97]
	v_add_f64 v[174:175], v[170:171], v[172:173]
	ds_read_b128 v[170:173], v152 offset:1744
	s_waitcnt vmcnt(50) lgkmcnt(1)
	v_mul_f64 v[176:177], v[166:167], v[106:107]
	v_mul_f64 v[28:29], v[28:29], v[46:47]
	s_waitcnt vmcnt(48)
	v_fmac_f64_e32 v[176:177], v[168:169], v[108:109]
	v_fma_f64 v[26:27], v[26:27], v[76:77], -v[28:29]
	v_mul_f64 v[24:25], v[24:25], v[52:53]
	v_add_f64 v[178:179], v[174:175], v[176:177]
	ds_read_b128 v[174:177], v152 offset:1760
	v_add_f64 v[26:27], v[30:31], v[26:27]
	v_fma_f64 v[22:23], v[22:23], v[74:75], -v[24:25]
	v_add_f64 v[22:23], v[26:27], v[22:23]
	v_mul_f64 v[16:17], v[16:17], v[58:59]
	v_add_f64 v[18:19], v[22:23], v[18:19]
	v_fma_f64 v[14:15], v[14:15], v[72:73], -v[16:17]
	s_waitcnt lgkmcnt(1)
	v_mul_f64 v[180:181], v[170:171], v[102:103]
	v_add_f64 v[14:15], v[18:19], v[14:15]
	v_mul_f64 v[8:9], v[8:9], v[68:69]
	v_fmac_f64_e32 v[180:181], v[172:173], v[104:105]
	v_add_f64 v[10:11], v[14:15], v[10:11]
	v_fma_f64 v[6:7], v[6:7], v[70:71], -v[8:9]
	v_mul_f64 v[4:5], v[4:5], v[64:65]
	v_add_f64 v[182:183], v[178:179], v[180:181]
	ds_read_b128 v[178:181], v152 offset:1776
	s_waitcnt vmcnt(42) lgkmcnt(1)
	v_mul_f64 v[184:185], v[174:175], v[118:119]
	v_add_f64 v[6:7], v[10:11], v[6:7]
	v_fma_f64 v[2:3], v[2:3], v[66:67], -v[4:5]
	v_mul_f64 v[4:5], v[112:113], v[82:83]
	s_waitcnt vmcnt(40)
	v_fmac_f64_e32 v[184:185], v[176:177], v[120:121]
	v_add_f64 v[2:3], v[6:7], v[2:3]
	v_fma_f64 v[4:5], v[110:111], v[84:85], -v[4:5]
	v_add_f64 v[186:187], v[182:183], v[184:185]
	ds_read_b128 v[182:185], v152 offset:1792
	v_add_f64 v[2:3], v[2:3], v[4:5]
	v_mul_f64 v[4:5], v[144:145], v[78:79]
	v_fma_f64 v[4:5], v[142:143], v[80:81], -v[4:5]
	v_add_f64 v[2:3], v[2:3], v[4:5]
	v_mul_f64 v[4:5], v[148:149], v[90:91]
	s_waitcnt lgkmcnt(1)
	v_mul_f64 v[188:189], v[178:179], v[114:115]
	v_fma_f64 v[4:5], v[146:147], v[92:93], -v[4:5]
	v_fmac_f64_e32 v[188:189], v[180:181], v[116:117]
	v_add_f64 v[2:3], v[2:3], v[4:5]
	v_mul_f64 v[4:5], v[156:157], v[86:87]
	v_add_f64 v[190:191], v[186:187], v[188:189]
	ds_read_b128 v[186:189], v152 offset:1808
	s_waitcnt vmcnt(34) lgkmcnt(1)
	v_mul_f64 v[192:193], v[182:183], v[126:127]
	v_fma_f64 v[4:5], v[154:155], v[88:89], -v[4:5]
	s_waitcnt vmcnt(32)
	v_fmac_f64_e32 v[192:193], v[184:185], v[128:129]
	v_add_f64 v[2:3], v[2:3], v[4:5]
	v_mul_f64 v[4:5], v[160:161], v[98:99]
	v_add_f64 v[194:195], v[190:191], v[192:193]
	ds_read_b128 v[190:193], v152 offset:1824
	v_fma_f64 v[4:5], v[158:159], v[100:101], -v[4:5]
	v_add_f64 v[2:3], v[2:3], v[4:5]
	v_mul_f64 v[4:5], v[164:165], v[94:95]
	v_fma_f64 v[4:5], v[162:163], v[96:97], -v[4:5]
	s_waitcnt lgkmcnt(1)
	v_mul_f64 v[196:197], v[186:187], v[122:123]
	v_add_f64 v[2:3], v[2:3], v[4:5]
	v_mul_f64 v[4:5], v[168:169], v[106:107]
	v_fmac_f64_e32 v[196:197], v[188:189], v[124:125]
	v_fma_f64 v[4:5], v[166:167], v[108:109], -v[4:5]
	v_add_f64 v[198:199], v[194:195], v[196:197]
	ds_read_b128 v[194:197], v152 offset:1840
	s_waitcnt vmcnt(26) lgkmcnt(1)
	v_mul_f64 v[200:201], v[190:191], v[134:135]
	v_add_f64 v[2:3], v[2:3], v[4:5]
	v_mul_f64 v[4:5], v[172:173], v[102:103]
	s_waitcnt vmcnt(24)
	v_fmac_f64_e32 v[200:201], v[192:193], v[136:137]
	v_fma_f64 v[4:5], v[170:171], v[104:105], -v[4:5]
	v_add_f64 v[202:203], v[198:199], v[200:201]
	ds_read_b128 v[198:201], v152 offset:1856
	v_add_f64 v[2:3], v[2:3], v[4:5]
	v_mul_f64 v[4:5], v[176:177], v[118:119]
	v_fma_f64 v[4:5], v[174:175], v[120:121], -v[4:5]
	v_add_f64 v[2:3], v[2:3], v[4:5]
	v_mul_f64 v[4:5], v[180:181], v[114:115]
	s_waitcnt lgkmcnt(1)
	v_mul_f64 v[204:205], v[194:195], v[130:131]
	v_fma_f64 v[4:5], v[178:179], v[116:117], -v[4:5]
	v_fmac_f64_e32 v[204:205], v[196:197], v[132:133]
	v_add_f64 v[2:3], v[2:3], v[4:5]
	v_mul_f64 v[4:5], v[184:185], v[126:127]
	v_add_f64 v[206:207], v[202:203], v[204:205]
	ds_read_b128 v[202:205], v152 offset:1872
	s_waitcnt vmcnt(18) lgkmcnt(1)
	v_mul_f64 v[208:209], v[198:199], v[0:1]
	v_fma_f64 v[4:5], v[182:183], v[128:129], -v[4:5]
	s_waitcnt vmcnt(16)
	v_fmac_f64_e32 v[208:209], v[200:201], v[150:151]
	v_add_f64 v[2:3], v[2:3], v[4:5]
	v_mul_f64 v[4:5], v[188:189], v[122:123]
	v_add_f64 v[210:211], v[206:207], v[208:209]
	ds_read_b128 v[206:209], v152 offset:1888
	v_fma_f64 v[4:5], v[186:187], v[124:125], -v[4:5]
	v_add_f64 v[2:3], v[2:3], v[4:5]
	v_mul_f64 v[4:5], v[192:193], v[134:135]
	v_fma_f64 v[4:5], v[190:191], v[136:137], -v[4:5]
	s_waitcnt lgkmcnt(1)
	v_mul_f64 v[212:213], v[202:203], v[138:139]
	v_add_f64 v[2:3], v[2:3], v[4:5]
	v_mul_f64 v[4:5], v[196:197], v[130:131]
	v_fmac_f64_e32 v[212:213], v[204:205], v[140:141]
	v_fma_f64 v[4:5], v[194:195], v[132:133], -v[4:5]
	v_mul_f64 v[0:1], v[200:201], v[0:1]
	v_add_f64 v[214:215], v[210:211], v[212:213]
	ds_read_b128 v[210:213], v152 offset:1904
	s_waitcnt vmcnt(10) lgkmcnt(1)
	v_mul_f64 v[216:217], v[206:207], v[226:227]
	v_add_f64 v[2:3], v[2:3], v[4:5]
	v_fma_f64 v[0:1], v[198:199], v[150:151], -v[0:1]
	s_waitcnt vmcnt(8)
	v_fmac_f64_e32 v[216:217], v[208:209], v[228:229]
	v_add_f64 v[0:1], v[2:3], v[0:1]
	v_mul_f64 v[2:3], v[204:205], v[138:139]
	v_add_f64 v[238:239], v[214:215], v[216:217]
	ds_read_b128 v[214:217], v152 offset:1920
	ds_read_b128 v[218:221], v152 offset:1936
	v_fma_f64 v[2:3], v[202:203], v[140:141], -v[2:3]
	v_add_f64 v[0:1], v[0:1], v[2:3]
	v_mul_f64 v[2:3], v[208:209], v[226:227]
	v_fma_f64 v[2:3], v[206:207], v[228:229], -v[2:3]
	v_add_f64 v[0:1], v[0:1], v[2:3]
	s_waitcnt lgkmcnt(2)
	v_mul_f64 v[2:3], v[212:213], v[222:223]
	v_mul_f64 v[240:241], v[210:211], v[222:223]
	v_fma_f64 v[2:3], v[210:211], v[224:225], -v[2:3]
	v_fmac_f64_e32 v[240:241], v[212:213], v[224:225]
	v_add_f64 v[0:1], v[0:1], v[2:3]
	s_waitcnt vmcnt(2) lgkmcnt(1)
	v_mul_f64 v[2:3], v[216:217], v[234:235]
	v_add_f64 v[238:239], v[238:239], v[240:241]
	v_mul_f64 v[240:241], v[214:215], v[234:235]
	s_waitcnt vmcnt(0)
	v_fma_f64 v[2:3], v[214:215], v[236:237], -v[2:3]
	v_fmac_f64_e32 v[240:241], v[216:217], v[236:237]
	v_add_f64 v[0:1], v[0:1], v[2:3]
	s_waitcnt lgkmcnt(0)
	v_mul_f64 v[2:3], v[220:221], v[230:231]
	v_add_f64 v[238:239], v[238:239], v[240:241]
	v_mul_f64 v[240:241], v[218:219], v[230:231]
	v_fma_f64 v[2:3], v[218:219], v[232:233], -v[2:3]
	v_fmac_f64_e32 v[240:241], v[220:221], v[232:233]
	v_add_f64 v[0:1], v[0:1], v[2:3]
	v_add_f64 v[238:239], v[238:239], v[240:241]
	v_add_f64 v[0:1], v[62:63], -v[0:1]
	v_add_f64 v[2:3], v[60:61], -v[238:239]
	buffer_store_dword v1, off, s[0:3], 0 offset:516
	buffer_store_dword v0, off, s[0:3], 0 offset:512
	;; [unrolled: 1-line block ×4, first 2 shown]
	v_accvgpr_read_b32 v0, a182
	v_cmp_lt_u32_e32 vcc, 30, v0
	s_and_saveexec_b64 s[4:5], vcc
	s_cbranch_execz .LBB124_331
; %bb.330:
	v_accvgpr_read_b32 v0, a152
	buffer_load_dword v2, v0, s[0:3], 0 offen
	buffer_load_dword v3, v0, s[0:3], 0 offen offset:4
	buffer_load_dword v4, v0, s[0:3], 0 offen offset:8
	buffer_load_dword v5, v0, s[0:3], 0 offen offset:12
	v_accvgpr_read_b32 v0, a183
	buffer_store_dword v152, off, s[0:3], 0 offset:496
	buffer_store_dword v152, off, s[0:3], 0 offset:500
	;; [unrolled: 1-line block ×4, first 2 shown]
	s_waitcnt vmcnt(4)
	ds_write_b128 v0, v[2:5]
.LBB124_331:
	s_or_b64 exec, exec, s[4:5]
	s_waitcnt lgkmcnt(0)
	; wave barrier
	s_waitcnt lgkmcnt(0)
	buffer_load_dword v48, off, s[0:3], 0 offset:512
	buffer_load_dword v49, off, s[0:3], 0 offset:516
	;; [unrolled: 1-line block ×40, first 2 shown]
	ds_read_b128 v[38:41], v152 offset:1472
	ds_read_b128 v[34:37], v152 offset:1488
	;; [unrolled: 1-line block ×10, first 2 shown]
	buffer_load_dword v83, off, s[0:3], 0 offset:684
	buffer_load_dword v82, off, s[0:3], 0 offset:680
	;; [unrolled: 1-line block ×8, first 2 shown]
	s_waitcnt vmcnt(44) lgkmcnt(9)
	v_mul_f64 v[0:1], v[38:39], v[50:51]
	v_fmac_f64_e32 v[0:1], v[40:41], v[48:49]
	v_add_f64 v[0:1], v[0:1], 0
	v_mul_f64 v[40:41], v[40:41], v[50:51]
	s_waitcnt vmcnt(40) lgkmcnt(8)
	v_mul_f64 v[90:91], v[34:35], v[44:45]
	v_fmac_f64_e32 v[90:91], v[36:37], v[42:43]
	s_waitcnt vmcnt(38) lgkmcnt(7)
	v_mul_f64 v[92:93], v[30:31], v[46:47]
	v_add_f64 v[0:1], v[0:1], v[90:91]
	s_waitcnt vmcnt(36) lgkmcnt(5)
	v_mul_f64 v[96:97], v[22:23], v[52:53]
	v_mul_f64 v[36:37], v[36:37], v[44:45]
	s_waitcnt vmcnt(34)
	v_fmac_f64_e32 v[96:97], v[24:25], v[54:55]
	v_fma_f64 v[34:35], v[34:35], v[42:43], -v[36:37]
	s_waitcnt vmcnt(32)
	v_mul_f64 v[94:95], v[26:27], v[56:57]
	v_mul_f64 v[24:25], v[24:25], v[52:53]
	s_waitcnt vmcnt(30) lgkmcnt(4)
	v_mul_f64 v[98:99], v[18:19], v[62:63]
	v_fma_f64 v[22:23], v[22:23], v[54:55], -v[24:25]
	s_waitcnt vmcnt(28) lgkmcnt(1)
	v_mul_f64 v[122:123], v[2:3], v[64:65]
	s_waitcnt vmcnt(25)
	v_mul_f64 v[102:103], v[6:7], v[68:69]
	s_waitcnt vmcnt(23)
	v_mul_f64 v[100:101], v[10:11], v[70:71]
	s_waitcnt vmcnt(21)
	v_fmac_f64_e32 v[100:101], v[12:13], v[72:73]
	v_mul_f64 v[12:13], v[12:13], v[70:71]
	s_waitcnt vmcnt(19)
	v_fmac_f64_e32 v[92:93], v[32:33], v[80:81]
	v_add_f64 v[0:1], v[0:1], v[92:93]
	s_waitcnt vmcnt(17)
	v_fmac_f64_e32 v[94:95], v[28:29], v[78:79]
	v_add_f64 v[0:1], v[0:1], v[94:95]
	;; [unrolled: 3-line block ×3, first 2 shown]
	v_add_f64 v[0:1], v[0:1], v[98:99]
	s_waitcnt vmcnt(13)
	v_fmac_f64_e32 v[102:103], v[8:9], v[74:75]
	v_add_f64 v[0:1], v[0:1], v[100:101]
	v_add_f64 v[124:125], v[0:1], v[102:103]
	buffer_load_dword v91, off, s[0:3], 0 offset:716
	buffer_load_dword v90, off, s[0:3], 0 offset:712
	;; [unrolled: 1-line block ×72, first 2 shown]
	s_waitcnt vmcnt(62)
	v_fmac_f64_e32 v[122:123], v[4:5], v[66:67]
	v_add_f64 v[154:155], v[124:125], v[122:123]
	ds_read_b128 v[122:125], v152 offset:1632
	buffer_load_dword v235, off, s[0:3], 0 offset:988
	buffer_load_dword v234, off, s[0:3], 0 offset:984
	;; [unrolled: 1-line block ×4, first 2 shown]
	s_waitcnt lgkmcnt(1)
	v_mul_f64 v[156:157], v[14:15], v[86:87]
	v_fmac_f64_e32 v[156:157], v[16:17], v[88:89]
	v_add_f64 v[158:159], v[154:155], v[156:157]
	ds_read_b128 v[154:157], v152 offset:1648
	s_waitcnt lgkmcnt(1)
	v_mul_f64 v[160:161], v[122:123], v[82:83]
	v_fmac_f64_e32 v[160:161], v[124:125], v[84:85]
	v_add_f64 v[162:163], v[158:159], v[160:161]
	ds_read_b128 v[158:161], v152 offset:1664
	v_mul_f64 v[32:33], v[32:33], v[46:47]
	s_waitcnt lgkmcnt(1)
	v_mul_f64 v[164:165], v[154:155], v[94:95]
	v_fma_f64 v[30:31], v[30:31], v[80:81], -v[32:33]
	v_fmac_f64_e32 v[164:165], v[156:157], v[96:97]
	v_add_f64 v[166:167], v[162:163], v[164:165]
	ds_read_b128 v[162:165], v152 offset:1680
	s_waitcnt lgkmcnt(1)
	v_mul_f64 v[168:169], v[158:159], v[90:91]
	v_fmac_f64_e32 v[168:169], v[160:161], v[92:93]
	v_add_f64 v[170:171], v[166:167], v[168:169]
	ds_read_b128 v[166:169], v152 offset:1696
	s_waitcnt vmcnt(62) lgkmcnt(1)
	v_mul_f64 v[172:173], v[162:163], v[102:103]
	s_waitcnt vmcnt(60)
	v_fmac_f64_e32 v[172:173], v[164:165], v[104:105]
	v_add_f64 v[174:175], v[170:171], v[172:173]
	ds_read_b128 v[170:173], v152 offset:1712
	s_waitcnt lgkmcnt(1)
	v_mul_f64 v[176:177], v[166:167], v[98:99]
	v_fmac_f64_e32 v[176:177], v[168:169], v[100:101]
	v_add_f64 v[178:179], v[174:175], v[176:177]
	ds_read_b128 v[174:177], v152 offset:1728
	s_waitcnt vmcnt(54) lgkmcnt(1)
	v_mul_f64 v[180:181], v[170:171], v[110:111]
	s_waitcnt vmcnt(52)
	;; [unrolled: 11-line block ×7, first 2 shown]
	v_fmac_f64_e32 v[220:221], v[212:213], v[224:225]
	v_add_f64 v[238:239], v[218:219], v[220:221]
	ds_read_b128 v[218:221], v152 offset:1904
	s_waitcnt lgkmcnt(1)
	v_mul_f64 v[240:241], v[214:215], v[0:1]
	v_fmac_f64_e32 v[240:241], v[216:217], v[150:151]
	v_add_f64 v[238:239], v[238:239], v[240:241]
	v_fma_f64 v[240:241], v[38:39], v[48:49], -v[40:41]
	ds_read_b128 v[38:41], v152 offset:1920
	ds_read_b128 v[48:51], v152 offset:1936
	s_waitcnt vmcnt(6) lgkmcnt(2)
	v_mul_f64 v[242:243], v[218:219], v[230:231]
	s_waitcnt vmcnt(4)
	v_fmac_f64_e32 v[242:243], v[220:221], v[232:233]
	v_add_f64 v[152:153], v[238:239], v[242:243]
	s_waitcnt lgkmcnt(1)
	v_mul_f64 v[238:239], v[38:39], v[226:227]
	v_fmac_f64_e32 v[238:239], v[40:41], v[228:229]
	v_add_f64 v[152:153], v[152:153], v[238:239]
	s_waitcnt vmcnt(2) lgkmcnt(0)
	v_mul_f64 v[238:239], v[48:49], v[234:235]
	s_waitcnt vmcnt(0)
	v_fmac_f64_e32 v[238:239], v[50:51], v[236:237]
	v_add_f64 v[152:153], v[152:153], v[238:239]
	v_add_f64 v[238:239], v[240:241], 0
	;; [unrolled: 1-line block ×3, first 2 shown]
	v_mul_f64 v[28:29], v[28:29], v[56:57]
	v_add_f64 v[30:31], v[34:35], v[30:31]
	v_fma_f64 v[26:27], v[26:27], v[78:79], -v[28:29]
	v_add_f64 v[26:27], v[30:31], v[26:27]
	v_mul_f64 v[20:21], v[20:21], v[62:63]
	v_add_f64 v[22:23], v[26:27], v[22:23]
	v_fma_f64 v[18:19], v[18:19], v[76:77], -v[20:21]
	v_add_f64 v[18:19], v[22:23], v[18:19]
	v_fma_f64 v[10:11], v[10:11], v[72:73], -v[12:13]
	v_mul_f64 v[8:9], v[8:9], v[68:69]
	v_add_f64 v[10:11], v[18:19], v[10:11]
	v_fma_f64 v[6:7], v[6:7], v[74:75], -v[8:9]
	v_mul_f64 v[4:5], v[4:5], v[64:65]
	;; [unrolled: 3-line block ×3, first 2 shown]
	v_add_f64 v[2:3], v[6:7], v[2:3]
	v_fma_f64 v[4:5], v[14:15], v[88:89], -v[4:5]
	v_add_f64 v[2:3], v[2:3], v[4:5]
	v_mul_f64 v[4:5], v[124:125], v[82:83]
	v_fma_f64 v[4:5], v[122:123], v[84:85], -v[4:5]
	v_add_f64 v[2:3], v[2:3], v[4:5]
	v_mul_f64 v[4:5], v[156:157], v[94:95]
	v_fma_f64 v[4:5], v[154:155], v[96:97], -v[4:5]
	v_add_f64 v[2:3], v[2:3], v[4:5]
	v_mul_f64 v[4:5], v[160:161], v[90:91]
	v_fma_f64 v[4:5], v[158:159], v[92:93], -v[4:5]
	v_add_f64 v[2:3], v[2:3], v[4:5]
	v_mul_f64 v[4:5], v[164:165], v[102:103]
	v_fma_f64 v[4:5], v[162:163], v[104:105], -v[4:5]
	v_add_f64 v[2:3], v[2:3], v[4:5]
	v_mul_f64 v[4:5], v[168:169], v[98:99]
	v_fma_f64 v[4:5], v[166:167], v[100:101], -v[4:5]
	v_add_f64 v[2:3], v[2:3], v[4:5]
	v_mul_f64 v[4:5], v[172:173], v[110:111]
	v_fma_f64 v[4:5], v[170:171], v[112:113], -v[4:5]
	v_add_f64 v[2:3], v[2:3], v[4:5]
	v_mul_f64 v[4:5], v[176:177], v[106:107]
	v_fma_f64 v[4:5], v[174:175], v[108:109], -v[4:5]
	v_add_f64 v[2:3], v[2:3], v[4:5]
	v_mul_f64 v[4:5], v[180:181], v[118:119]
	v_fma_f64 v[4:5], v[178:179], v[120:121], -v[4:5]
	v_add_f64 v[2:3], v[2:3], v[4:5]
	v_mul_f64 v[4:5], v[184:185], v[114:115]
	v_fma_f64 v[4:5], v[182:183], v[116:117], -v[4:5]
	v_add_f64 v[2:3], v[2:3], v[4:5]
	v_mul_f64 v[4:5], v[188:189], v[130:131]
	v_fma_f64 v[4:5], v[186:187], v[132:133], -v[4:5]
	v_add_f64 v[2:3], v[2:3], v[4:5]
	v_mul_f64 v[4:5], v[192:193], v[126:127]
	v_fma_f64 v[4:5], v[190:191], v[128:129], -v[4:5]
	v_add_f64 v[2:3], v[2:3], v[4:5]
	v_mul_f64 v[4:5], v[196:197], v[138:139]
	v_fma_f64 v[4:5], v[194:195], v[140:141], -v[4:5]
	v_add_f64 v[2:3], v[2:3], v[4:5]
	v_mul_f64 v[4:5], v[200:201], v[134:135]
	v_fma_f64 v[4:5], v[198:199], v[136:137], -v[4:5]
	v_add_f64 v[2:3], v[2:3], v[4:5]
	v_mul_f64 v[4:5], v[204:205], v[146:147]
	v_fma_f64 v[4:5], v[202:203], v[148:149], -v[4:5]
	v_add_f64 v[2:3], v[2:3], v[4:5]
	v_mul_f64 v[4:5], v[208:209], v[142:143]
	v_fma_f64 v[4:5], v[206:207], v[144:145], -v[4:5]
	v_add_f64 v[2:3], v[2:3], v[4:5]
	v_mul_f64 v[4:5], v[212:213], v[222:223]
	v_fma_f64 v[4:5], v[210:211], v[224:225], -v[4:5]
	v_mul_f64 v[0:1], v[216:217], v[0:1]
	v_add_f64 v[2:3], v[2:3], v[4:5]
	v_fma_f64 v[0:1], v[214:215], v[150:151], -v[0:1]
	v_add_f64 v[0:1], v[2:3], v[0:1]
	v_mul_f64 v[2:3], v[220:221], v[230:231]
	v_fma_f64 v[2:3], v[218:219], v[232:233], -v[2:3]
	v_add_f64 v[0:1], v[0:1], v[2:3]
	v_mul_f64 v[2:3], v[40:41], v[226:227]
	;; [unrolled: 3-line block ×3, first 2 shown]
	v_fma_f64 v[2:3], v[48:49], v[236:237], -v[2:3]
	v_add_f64 v[0:1], v[0:1], v[2:3]
	v_accvgpr_read_b32 v233, a182
	v_add_f64 v[0:1], v[60:61], -v[0:1]
	v_cmp_lt_u32_e32 vcc, 29, v233
	v_add_f64 v[2:3], v[58:59], -v[152:153]
	buffer_store_dword v1, off, s[0:3], 0 offset:500
	buffer_store_dword v0, off, s[0:3], 0 offset:496
	;; [unrolled: 1-line block ×4, first 2 shown]
	s_and_saveexec_b64 s[4:5], vcc
	s_cbranch_execz .LBB124_333
; %bb.332:
	v_accvgpr_read_b32 v0, a153
	buffer_load_dword v2, v0, s[0:3], 0 offen
	buffer_load_dword v3, v0, s[0:3], 0 offen offset:4
	buffer_load_dword v4, v0, s[0:3], 0 offen offset:8
	;; [unrolled: 1-line block ×3, first 2 shown]
	v_mov_b32_e32 v0, 0
	v_accvgpr_read_b32 v1, a183
	buffer_store_dword v0, off, s[0:3], 0 offset:480
	buffer_store_dword v0, off, s[0:3], 0 offset:484
	;; [unrolled: 1-line block ×4, first 2 shown]
	s_waitcnt vmcnt(4)
	ds_write_b128 v1, v[2:5]
.LBB124_333:
	s_or_b64 exec, exec, s[4:5]
	s_waitcnt lgkmcnt(0)
	; wave barrier
	s_waitcnt lgkmcnt(0)
	buffer_load_dword v106, off, s[0:3], 0 offset:496
	buffer_load_dword v107, off, s[0:3], 0 offset:500
	;; [unrolled: 1-line block ×49, first 2 shown]
	v_mov_b32_e32 v232, 0
	ds_read_b128 v[110:113], v232 offset:1456
	ds_read_b128 v[234:237], v232 offset:1472
	;; [unrolled: 1-line block ×10, first 2 shown]
	buffer_load_dword v160, off, s[0:3], 0 offset:688
	buffer_load_dword v175, off, s[0:3], 0 offset:684
	;; [unrolled: 1-line block ×69, first 2 shown]
	v_cmp_lt_u32_e32 vcc, 28, v233
	s_waitcnt vmcnt(62) lgkmcnt(9)
	v_mul_f64 v[0:1], v[110:111], v[108:109]
	v_fmac_f64_e32 v[0:1], v[112:113], v[106:107]
	v_add_f64 v[0:1], v[0:1], 0
	v_mul_f64 v[108:109], v[112:113], v[108:109]
	s_waitcnt lgkmcnt(8)
	v_mul_f64 v[34:35], v[234:235], v[116:117]
	v_fmac_f64_e32 v[34:35], v[236:237], v[114:115]
	s_waitcnt lgkmcnt(7)
	v_mul_f64 v[36:37], v[30:31], v[118:119]
	v_add_f64 v[0:1], v[0:1], v[34:35]
	s_waitcnt lgkmcnt(5)
	v_mul_f64 v[40:41], v[22:23], v[120:121]
	v_mul_f64 v[116:117], v[236:237], v[116:117]
	v_fmac_f64_e32 v[40:41], v[24:25], v[122:123]
	v_fma_f64 v[248:249], v[110:111], v[106:107], -v[108:109]
	v_mul_f64 v[38:39], v[26:27], v[124:125]
	v_fma_f64 v[250:251], v[234:235], v[114:115], -v[116:117]
	s_waitcnt lgkmcnt(3)
	v_mul_f64 v[44:45], v[14:15], v[126:127]
	v_mul_f64 v[24:25], v[24:25], v[120:121]
	v_fmac_f64_e32 v[44:45], v[16:17], v[128:129]
	v_fma_f64 v[22:23], v[22:23], v[122:123], -v[24:25]
	v_mul_f64 v[42:43], v[18:19], v[130:131]
	v_mul_f64 v[16:17], v[16:17], v[126:127]
	s_waitcnt lgkmcnt(1)
	v_mul_f64 v[48:49], v[6:7], v[132:133]
	v_fma_f64 v[14:15], v[14:15], v[128:129], -v[16:17]
	v_fmac_f64_e32 v[48:49], v[8:9], v[134:135]
	v_mul_f64 v[8:9], v[8:9], v[132:133]
	v_mul_f64 v[46:47], v[10:11], v[140:141]
	v_fma_f64 v[6:7], v[6:7], v[134:135], -v[8:9]
	s_waitcnt lgkmcnt(0)
	v_mul_f64 v[50:51], v[2:3], v[136:137]
	v_fmac_f64_e32 v[36:37], v[32:33], v[154:155]
	v_add_f64 v[0:1], v[0:1], v[36:37]
	v_fmac_f64_e32 v[38:39], v[28:29], v[152:153]
	v_add_f64 v[0:1], v[0:1], v[38:39]
	v_add_f64 v[0:1], v[0:1], v[40:41]
	ds_read_b128 v[38:41], v232 offset:1616
	ds_read_b128 v[34:37], v232 offset:1632
	buffer_load_dword v223, off, s[0:3], 0 offset:988
	buffer_load_dword v222, off, s[0:3], 0 offset:984
	;; [unrolled: 1-line block ×8, first 2 shown]
	v_fmac_f64_e32 v[42:43], v[20:21], v[148:149]
	v_add_f64 v[0:1], v[0:1], v[42:43]
	v_fmac_f64_e32 v[46:47], v[12:13], v[146:147]
	v_add_f64 v[0:1], v[0:1], v[44:45]
	v_add_f64 v[0:1], v[0:1], v[46:47]
	v_fmac_f64_e32 v[50:51], v[4:5], v[144:145]
	v_add_f64 v[0:1], v[0:1], v[48:49]
	s_waitcnt lgkmcnt(1)
	v_mul_f64 v[42:43], v[38:39], v[142:143]
	v_add_f64 v[0:1], v[0:1], v[50:51]
	v_fmac_f64_e32 v[42:43], v[40:41], v[156:157]
	v_add_f64 v[0:1], v[0:1], v[42:43]
	ds_read_b128 v[42:45], v232 offset:1648
	s_waitcnt lgkmcnt(1)
	v_mul_f64 v[46:47], v[34:35], v[174:175]
	v_fmac_f64_e32 v[46:47], v[36:37], v[178:179]
	v_add_f64 v[0:1], v[0:1], v[46:47]
	ds_read_b128 v[46:49], v232 offset:1664
	s_waitcnt lgkmcnt(1)
	v_mul_f64 v[50:51], v[42:43], v[158:159]
	v_fmac_f64_e32 v[50:51], v[44:45], v[160:161]
	v_add_f64 v[0:1], v[0:1], v[50:51]
	ds_read_b128 v[50:53], v232 offset:1680
	s_waitcnt vmcnt(62) lgkmcnt(1)
	v_mul_f64 v[54:55], v[46:47], v[182:183]
	v_fmac_f64_e32 v[54:55], v[48:49], v[186:187]
	v_add_f64 v[0:1], v[0:1], v[54:55]
	ds_read_b128 v[54:57], v232 offset:1696
	s_waitcnt lgkmcnt(1)
	v_mul_f64 v[58:59], v[50:51], v[162:163]
	v_fmac_f64_e32 v[58:59], v[52:53], v[164:165]
	v_add_f64 v[0:1], v[0:1], v[58:59]
	ds_read_b128 v[58:61], v232 offset:1712
	s_waitcnt vmcnt(58) lgkmcnt(1)
	v_mul_f64 v[62:63], v[54:55], v[190:191]
	s_waitcnt vmcnt(56)
	v_fmac_f64_e32 v[62:63], v[56:57], v[194:195]
	v_add_f64 v[0:1], v[0:1], v[62:63]
	ds_read_b128 v[62:65], v232 offset:1728
	s_waitcnt lgkmcnt(1)
	v_mul_f64 v[66:67], v[58:59], v[166:167]
	v_fmac_f64_e32 v[66:67], v[60:61], v[168:169]
	v_add_f64 v[0:1], v[0:1], v[66:67]
	ds_read_b128 v[66:69], v232 offset:1744
	s_waitcnt vmcnt(50) lgkmcnt(1)
	v_mul_f64 v[70:71], v[62:63], v[198:199]
	s_waitcnt vmcnt(48)
	;; [unrolled: 11-line block ×5, first 2 shown]
	v_fmac_f64_e32 v[94:95], v[88:89], v[220:221]
	v_add_f64 v[0:1], v[0:1], v[94:95]
	ds_read_b128 v[94:97], v232 offset:1856
	s_waitcnt lgkmcnt(1)
	v_mul_f64 v[98:99], v[90:91], v[192:193]
	v_fmac_f64_e32 v[98:99], v[92:93], v[196:197]
	v_add_f64 v[0:1], v[0:1], v[98:99]
	ds_read_b128 v[98:101], v232 offset:1872
	ds_read_b128 v[102:105], v232 offset:1888
	;; [unrolled: 1-line block ×5, first 2 shown]
	buffer_load_dword v252, off, s[0:3], 0 offset:488
	buffer_load_dword v253, off, s[0:3], 0 offset:492
	s_waitcnt vmcnt(20) lgkmcnt(5)
	v_mul_f64 v[150:151], v[94:95], v[224:225]
	s_waitcnt vmcnt(18)
	v_fmac_f64_e32 v[150:151], v[96:97], v[228:229]
	v_add_f64 v[0:1], v[0:1], v[150:151]
	s_waitcnt lgkmcnt(4)
	v_mul_f64 v[150:151], v[98:99], v[200:201]
	v_fmac_f64_e32 v[150:151], v[100:101], v[204:205]
	v_add_f64 v[0:1], v[0:1], v[150:151]
	s_waitcnt vmcnt(12) lgkmcnt(3)
	v_mul_f64 v[150:151], v[102:103], v[230:231]
	s_waitcnt vmcnt(10)
	v_fmac_f64_e32 v[150:151], v[104:105], v[240:241]
	v_add_f64 v[0:1], v[0:1], v[150:151]
	s_waitcnt lgkmcnt(2)
	v_mul_f64 v[150:151], v[110:111], v[208:209]
	v_fmac_f64_e32 v[150:151], v[112:113], v[212:213]
	v_add_f64 v[0:1], v[0:1], v[150:151]
	;; [unrolled: 9-line block ×3, first 2 shown]
	v_add_f64 v[0:1], v[248:249], 0
	v_mul_f64 v[32:33], v[32:33], v[118:119]
	v_add_f64 v[0:1], v[0:1], v[250:251]
	v_fma_f64 v[30:31], v[30:31], v[154:155], -v[32:33]
	v_mul_f64 v[28:29], v[28:29], v[124:125]
	v_add_f64 v[0:1], v[0:1], v[30:31]
	v_fma_f64 v[26:27], v[26:27], v[152:153], -v[28:29]
	v_add_f64 v[0:1], v[0:1], v[26:27]
	v_mul_f64 v[20:21], v[20:21], v[130:131]
	v_add_f64 v[0:1], v[0:1], v[22:23]
	v_fma_f64 v[18:19], v[18:19], v[148:149], -v[20:21]
	v_add_f64 v[0:1], v[0:1], v[18:19]
	v_mul_f64 v[12:13], v[12:13], v[140:141]
	v_add_f64 v[0:1], v[0:1], v[14:15]
	v_fma_f64 v[10:11], v[10:11], v[146:147], -v[12:13]
	v_add_f64 v[0:1], v[0:1], v[10:11]
	v_mul_f64 v[4:5], v[4:5], v[136:137]
	v_add_f64 v[0:1], v[0:1], v[6:7]
	v_fma_f64 v[2:3], v[2:3], v[144:145], -v[4:5]
	v_add_f64 v[0:1], v[0:1], v[2:3]
	v_mul_f64 v[2:3], v[40:41], v[142:143]
	v_fma_f64 v[2:3], v[38:39], v[156:157], -v[2:3]
	v_add_f64 v[0:1], v[0:1], v[2:3]
	v_mul_f64 v[2:3], v[36:37], v[174:175]
	v_fma_f64 v[2:3], v[34:35], v[178:179], -v[2:3]
	v_add_f64 v[0:1], v[0:1], v[2:3]
	;; [unrolled: 3-line block ×21, first 2 shown]
	v_add_f64 v[0:1], v[138:139], -v[0:1]
	s_waitcnt vmcnt(0)
	v_add_f64 v[2:3], v[252:253], -v[246:247]
	buffer_store_dword v1, off, s[0:3], 0 offset:484
	buffer_store_dword v0, off, s[0:3], 0 offset:480
	buffer_store_dword v3, off, s[0:3], 0 offset:492
	buffer_store_dword v2, off, s[0:3], 0 offset:488
	s_and_saveexec_b64 s[4:5], vcc
	s_cbranch_execz .LBB124_335
; %bb.334:
	v_accvgpr_read_b32 v0, a154
	buffer_load_dword v2, v0, s[0:3], 0 offen
	buffer_load_dword v3, v0, s[0:3], 0 offen offset:4
	buffer_load_dword v4, v0, s[0:3], 0 offen offset:8
	;; [unrolled: 1-line block ×3, first 2 shown]
	v_accvgpr_read_b32 v0, a183
	buffer_store_dword v232, off, s[0:3], 0 offset:464
	buffer_store_dword v232, off, s[0:3], 0 offset:468
	;; [unrolled: 1-line block ×4, first 2 shown]
	s_waitcnt vmcnt(4)
	ds_write_b128 v0, v[2:5]
.LBB124_335:
	s_or_b64 exec, exec, s[4:5]
	s_waitcnt lgkmcnt(0)
	; wave barrier
	s_waitcnt lgkmcnt(0)
	buffer_load_dword v112, off, s[0:3], 0 offset:480
	buffer_load_dword v113, off, s[0:3], 0 offset:484
	;; [unrolled: 1-line block ×36, first 2 shown]
	ds_read_b128 v[102:105], v232 offset:1440
	ds_read_b128 v[106:109], v232 offset:1456
	;; [unrolled: 1-line block ×9, first 2 shown]
	buffer_load_dword v143, off, s[0:3], 0 offset:652
	buffer_load_dword v142, off, s[0:3], 0 offset:648
	;; [unrolled: 1-line block ×78, first 2 shown]
	v_cmp_lt_u32_e32 vcc, 27, v233
	s_waitcnt vmcnt(62) lgkmcnt(8)
	v_mul_f64 v[0:1], v[102:103], v[246:247]
	v_fmac_f64_e32 v[0:1], v[104:105], v[112:113]
	v_add_f64 v[0:1], v[0:1], 0
	v_mul_f64 v[104:105], v[104:105], v[246:247]
	s_waitcnt lgkmcnt(7)
	v_mul_f64 v[26:27], v[106:107], v[248:249]
	v_fmac_f64_e32 v[26:27], v[108:109], v[110:111]
	s_waitcnt lgkmcnt(6)
	v_mul_f64 v[28:29], v[114:115], v[244:245]
	v_add_f64 v[0:1], v[0:1], v[26:27]
	s_waitcnt lgkmcnt(4)
	v_mul_f64 v[32:33], v[18:19], v[118:119]
	v_fma_f64 v[246:247], v[102:103], v[112:113], -v[104:105]
	v_fmac_f64_e32 v[32:33], v[20:21], v[120:121]
	v_mul_f64 v[108:109], v[108:109], v[248:249]
	v_mul_f64 v[30:31], v[22:23], v[122:123]
	v_fma_f64 v[248:249], v[106:107], v[110:111], -v[108:109]
	s_waitcnt lgkmcnt(2)
	v_mul_f64 v[36:37], v[10:11], v[124:125]
	v_mul_f64 v[20:21], v[20:21], v[118:119]
	v_fmac_f64_e32 v[36:37], v[12:13], v[126:127]
	v_fma_f64 v[18:19], v[18:19], v[120:121], -v[20:21]
	v_mul_f64 v[34:35], v[14:15], v[130:131]
	v_mul_f64 v[12:13], v[12:13], v[124:125]
	s_waitcnt lgkmcnt(1)
	v_mul_f64 v[38:39], v[6:7], v[128:129]
	v_fma_f64 v[10:11], v[10:11], v[126:127], -v[12:13]
	v_fmac_f64_e32 v[28:29], v[116:117], v[250:251]
	v_add_f64 v[0:1], v[0:1], v[28:29]
	v_fmac_f64_e32 v[30:31], v[24:25], v[138:139]
	v_add_f64 v[0:1], v[0:1], v[30:31]
	;; [unrolled: 2-line block ×3, first 2 shown]
	v_add_f64 v[0:1], v[0:1], v[34:35]
	v_fmac_f64_e32 v[38:39], v[8:9], v[134:135]
	v_add_f64 v[0:1], v[0:1], v[36:37]
	v_add_f64 v[0:1], v[0:1], v[38:39]
	s_waitcnt lgkmcnt(0)
	v_mul_f64 v[30:31], v[2:3], v[132:133]
	v_fmac_f64_e32 v[30:31], v[4:5], v[140:141]
	ds_read_b128 v[26:29], v232 offset:1584
	v_add_f64 v[0:1], v[0:1], v[30:31]
	ds_read_b128 v[30:33], v232 offset:1600
	buffer_load_dword v223, off, s[0:3], 0 offset:916
	buffer_load_dword v222, off, s[0:3], 0 offset:912
	v_mul_f64 v[116:117], v[116:117], v[244:245]
	s_waitcnt lgkmcnt(1)
	v_mul_f64 v[34:35], v[26:27], v[146:147]
	v_fmac_f64_e32 v[34:35], v[28:29], v[148:149]
	v_add_f64 v[0:1], v[0:1], v[34:35]
	ds_read_b128 v[34:37], v232 offset:1616
	s_waitcnt lgkmcnt(1)
	v_mul_f64 v[38:39], v[30:31], v[142:143]
	v_fmac_f64_e32 v[38:39], v[32:33], v[144:145]
	v_add_f64 v[0:1], v[0:1], v[38:39]
	ds_read_b128 v[38:41], v232 offset:1632
	;; [unrolled: 5-line block ×4, first 2 shown]
	buffer_load_dword v225, off, s[0:3], 0 offset:972
	buffer_load_dword v227, off, s[0:3], 0 offset:956
	;; [unrolled: 1-line block ×12, first 2 shown]
	s_waitcnt vmcnt(62) lgkmcnt(1)
	v_mul_f64 v[50:51], v[42:43], v[176:177]
	v_fmac_f64_e32 v[50:51], v[44:45], v[180:181]
	v_add_f64 v[0:1], v[0:1], v[50:51]
	ds_read_b128 v[50:53], v232 offset:1680
	s_waitcnt lgkmcnt(1)
	v_mul_f64 v[54:55], v[46:47], v[156:157]
	v_fmac_f64_e32 v[54:55], v[48:49], v[158:159]
	v_add_f64 v[0:1], v[0:1], v[54:55]
	ds_read_b128 v[54:57], v232 offset:1696
	s_waitcnt lgkmcnt(1)
	v_mul_f64 v[58:59], v[50:51], v[184:185]
	s_waitcnt vmcnt(60)
	v_fmac_f64_e32 v[58:59], v[52:53], v[188:189]
	v_add_f64 v[0:1], v[0:1], v[58:59]
	ds_read_b128 v[58:61], v232 offset:1712
	s_waitcnt lgkmcnt(1)
	v_mul_f64 v[62:63], v[54:55], v[164:165]
	v_fmac_f64_e32 v[62:63], v[56:57], v[166:167]
	v_add_f64 v[0:1], v[0:1], v[62:63]
	ds_read_b128 v[62:65], v232 offset:1728
	s_waitcnt vmcnt(54) lgkmcnt(1)
	v_mul_f64 v[66:67], v[58:59], v[192:193]
	s_waitcnt vmcnt(52)
	v_fmac_f64_e32 v[66:67], v[60:61], v[196:197]
	v_add_f64 v[0:1], v[0:1], v[66:67]
	ds_read_b128 v[66:69], v232 offset:1744
	s_waitcnt lgkmcnt(1)
	v_mul_f64 v[70:71], v[62:63], v[168:169]
	v_fmac_f64_e32 v[70:71], v[64:65], v[170:171]
	v_add_f64 v[0:1], v[0:1], v[70:71]
	ds_read_b128 v[70:73], v232 offset:1760
	s_waitcnt vmcnt(46) lgkmcnt(1)
	;; [unrolled: 11-line block ×4, first 2 shown]
	v_mul_f64 v[90:91], v[82:83], v[212:213]
	s_waitcnt vmcnt(28)
	v_fmac_f64_e32 v[90:91], v[84:85], v[214:215]
	v_add_f64 v[0:1], v[0:1], v[90:91]
	ds_read_b128 v[90:93], v232 offset:1840
	ds_read_b128 v[94:97], v232 offset:1856
	s_waitcnt lgkmcnt(2)
	v_mul_f64 v[98:99], v[86:87], v[186:187]
	v_fmac_f64_e32 v[98:99], v[88:89], v[190:191]
	v_add_f64 v[0:1], v[0:1], v[98:99]
	s_waitcnt vmcnt(22) lgkmcnt(1)
	v_mul_f64 v[98:99], v[90:91], v[216:217]
	s_waitcnt vmcnt(20)
	v_fmac_f64_e32 v[98:99], v[92:93], v[218:219]
	v_add_f64 v[0:1], v[0:1], v[98:99]
	s_waitcnt lgkmcnt(0)
	v_mul_f64 v[98:99], v[94:95], v[194:195]
	v_fmac_f64_e32 v[98:99], v[96:97], v[198:199]
	v_add_f64 v[0:1], v[0:1], v[98:99]
	ds_read_b128 v[98:101], v232 offset:1872
	ds_read_b128 v[102:105], v232 offset:1888
	;; [unrolled: 1-line block ×3, first 2 shown]
	v_fma_f64 v[250:251], v[114:115], v[250:251], -v[116:117]
	ds_read_b128 v[114:117], v232 offset:1936
	s_waitcnt vmcnt(14) lgkmcnt(3)
	v_mul_f64 v[112:113], v[98:99], v[220:221]
	s_waitcnt lgkmcnt(2)
	v_mul_f64 v[110:111], v[102:103], v[202:203]
	s_waitcnt vmcnt(12)
	v_fmac_f64_e32 v[112:113], v[100:101], v[222:223]
	v_add_f64 v[0:1], v[0:1], v[112:113]
	v_fmac_f64_e32 v[110:111], v[104:105], v[206:207]
	v_add_f64 v[0:1], v[0:1], v[110:111]
	ds_read_b128 v[110:113], v232 offset:1920
	buffer_load_dword v254, off, s[0:3], 0 offset:464
	buffer_load_dword v255, off, s[0:3], 0 offset:468
	buffer_load_dword v252, off, s[0:3], 0 offset:472
	buffer_load_dword v253, off, s[0:3], 0 offset:476
	v_mul_f64 v[24:25], v[24:25], v[122:123]
	v_fma_f64 v[22:23], v[22:23], v[138:139], -v[24:25]
	v_mul_f64 v[16:17], v[16:17], v[130:131]
	s_waitcnt vmcnt(13) lgkmcnt(2)
	v_mul_f64 v[150:151], v[106:107], v[226:227]
	v_fma_f64 v[14:15], v[14:15], v[136:137], -v[16:17]
	s_waitcnt vmcnt(11)
	v_fmac_f64_e32 v[150:151], v[108:109], v[240:241]
	v_add_f64 v[0:1], v[0:1], v[150:151]
	s_waitcnt vmcnt(10) lgkmcnt(0)
	v_mul_f64 v[150:151], v[110:111], v[224:225]
	s_waitcnt vmcnt(8)
	v_fmac_f64_e32 v[150:151], v[112:113], v[230:231]
	v_add_f64 v[0:1], v[0:1], v[150:151]
	s_waitcnt vmcnt(6)
	v_mul_f64 v[150:151], v[114:115], v[228:229]
	v_mul_f64 v[8:9], v[8:9], v[128:129]
	s_waitcnt vmcnt(4)
	v_fmac_f64_e32 v[150:151], v[116:117], v[242:243]
	v_add_f64 v[244:245], v[0:1], v[150:151]
	v_add_f64 v[0:1], v[246:247], 0
	;; [unrolled: 1-line block ×8, first 2 shown]
	v_fma_f64 v[6:7], v[6:7], v[134:135], -v[8:9]
	v_mul_f64 v[4:5], v[4:5], v[132:133]
	v_add_f64 v[0:1], v[0:1], v[6:7]
	v_fma_f64 v[2:3], v[2:3], v[140:141], -v[4:5]
	v_add_f64 v[0:1], v[0:1], v[2:3]
	v_mul_f64 v[2:3], v[28:29], v[146:147]
	v_fma_f64 v[2:3], v[26:27], v[148:149], -v[2:3]
	v_add_f64 v[0:1], v[0:1], v[2:3]
	v_mul_f64 v[2:3], v[32:33], v[142:143]
	;; [unrolled: 3-line block ×23, first 2 shown]
	v_fma_f64 v[2:3], v[114:115], v[242:243], -v[2:3]
	v_add_f64 v[0:1], v[0:1], v[2:3]
	s_waitcnt vmcnt(2)
	v_add_f64 v[0:1], v[254:255], -v[0:1]
	s_waitcnt vmcnt(0)
	v_add_f64 v[2:3], v[252:253], -v[244:245]
	buffer_store_dword v1, off, s[0:3], 0 offset:468
	buffer_store_dword v0, off, s[0:3], 0 offset:464
	;; [unrolled: 1-line block ×4, first 2 shown]
	s_and_saveexec_b64 s[4:5], vcc
	s_cbranch_execz .LBB124_337
; %bb.336:
	v_accvgpr_read_b32 v0, a155
	buffer_load_dword v2, v0, s[0:3], 0 offen
	buffer_load_dword v3, v0, s[0:3], 0 offen offset:4
	buffer_load_dword v4, v0, s[0:3], 0 offen offset:8
	;; [unrolled: 1-line block ×3, first 2 shown]
	v_mov_b32_e32 v0, 0
	v_accvgpr_read_b32 v1, a183
	buffer_store_dword v0, off, s[0:3], 0 offset:448
	buffer_store_dword v0, off, s[0:3], 0 offset:452
	;; [unrolled: 1-line block ×4, first 2 shown]
	s_waitcnt vmcnt(4)
	ds_write_b128 v1, v[2:5]
.LBB124_337:
	s_or_b64 exec, exec, s[4:5]
	s_waitcnt lgkmcnt(0)
	; wave barrier
	s_waitcnt lgkmcnt(0)
	buffer_load_dword v94, off, s[0:3], 0 offset:464
	buffer_load_dword v95, off, s[0:3], 0 offset:468
	;; [unrolled: 1-line block ×52, first 2 shown]
	v_mov_b32_e32 v232, 0
	ds_read_b128 v[102:105], v232 offset:1424
	ds_read_b128 v[114:117], v232 offset:1440
	;; [unrolled: 1-line block ×10, first 2 shown]
	v_cmp_lt_u32_e32 vcc, 26, v233
	s_waitcnt vmcnt(48) lgkmcnt(9)
	v_mul_f64 v[0:1], v[102:103], v[96:97]
	v_fmac_f64_e32 v[0:1], v[104:105], v[94:95]
	v_add_f64 v[0:1], v[0:1], 0
	v_mul_f64 v[96:97], v[104:105], v[96:97]
	s_waitcnt vmcnt(44) lgkmcnt(8)
	v_mul_f64 v[26:27], v[114:115], v[100:101]
	v_fmac_f64_e32 v[26:27], v[116:117], v[98:99]
	s_waitcnt vmcnt(42) lgkmcnt(7)
	v_mul_f64 v[28:29], v[234:235], v[106:107]
	v_add_f64 v[0:1], v[0:1], v[26:27]
	s_waitcnt vmcnt(40) lgkmcnt(5)
	v_mul_f64 v[32:33], v[22:23], v[120:121]
	v_fma_f64 v[150:151], v[102:103], v[94:95], -v[96:97]
	s_waitcnt vmcnt(38)
	v_fmac_f64_e32 v[32:33], v[24:25], v[124:125]
	v_mul_f64 v[100:101], v[116:117], v[100:101]
	s_waitcnt vmcnt(36)
	v_mul_f64 v[30:31], v[244:245], v[110:111]
	v_fma_f64 v[238:239], v[114:115], v[98:99], -v[100:101]
	s_waitcnt vmcnt(34) lgkmcnt(3)
	v_mul_f64 v[36:37], v[14:15], v[118:119]
	v_mul_f64 v[106:107], v[236:237], v[106:107]
	s_waitcnt vmcnt(32)
	v_fmac_f64_e32 v[36:37], v[16:17], v[122:123]
	v_mul_f64 v[110:111], v[246:247], v[110:111]
	s_waitcnt vmcnt(30)
	v_mul_f64 v[34:35], v[18:19], v[130:131]
	v_mul_f64 v[24:25], v[24:25], v[120:121]
	v_fma_f64 v[22:23], v[22:23], v[124:125], -v[24:25]
	s_waitcnt vmcnt(27) lgkmcnt(2)
	v_mul_f64 v[38:39], v[10:11], v[128:129]
	s_waitcnt vmcnt(26) lgkmcnt(1)
	v_mul_f64 v[40:41], v[6:7], v[126:127]
	v_mul_f64 v[16:17], v[16:17], v[118:119]
	s_waitcnt vmcnt(24)
	v_fmac_f64_e32 v[28:29], v[236:237], v[108:109]
	v_add_f64 v[0:1], v[0:1], v[28:29]
	s_waitcnt vmcnt(22)
	v_fmac_f64_e32 v[30:31], v[246:247], v[112:113]
	v_add_f64 v[0:1], v[0:1], v[30:31]
	v_add_f64 v[0:1], v[0:1], v[32:33]
	ds_read_b128 v[26:29], v232 offset:1584
	ds_read_b128 v[30:33], v232 offset:1600
	buffer_load_dword v157, off, s[0:3], 0 offset:700
	buffer_load_dword v156, off, s[0:3], 0 offset:696
	;; [unrolled: 1-line block ×56, first 2 shown]
	s_waitcnt vmcnt(62)
	v_fmac_f64_e32 v[34:35], v[20:21], v[134:135]
	v_add_f64 v[0:1], v[0:1], v[34:35]
	v_fmac_f64_e32 v[38:39], v[12:13], v[132:133]
	v_add_f64 v[0:1], v[0:1], v[36:37]
	v_add_f64 v[0:1], v[0:1], v[38:39]
	v_fmac_f64_e32 v[40:41], v[8:9], v[138:139]
	s_waitcnt lgkmcnt(2)
	v_mul_f64 v[34:35], v[2:3], v[142:143]
	v_add_f64 v[0:1], v[0:1], v[40:41]
	v_fmac_f64_e32 v[34:35], v[4:5], v[144:145]
	v_add_f64 v[0:1], v[0:1], v[34:35]
	s_waitcnt lgkmcnt(1)
	v_mul_f64 v[34:35], v[26:27], v[136:137]
	v_fmac_f64_e32 v[34:35], v[28:29], v[140:141]
	v_add_f64 v[0:1], v[0:1], v[34:35]
	s_waitcnt lgkmcnt(0)
	v_mul_f64 v[34:35], v[30:31], v[146:147]
	s_waitcnt vmcnt(60)
	v_fmac_f64_e32 v[34:35], v[32:33], v[152:153]
	v_add_f64 v[0:1], v[0:1], v[34:35]
	ds_read_b128 v[34:37], v232 offset:1616
	buffer_load_dword v201, off, s[0:3], 0 offset:924
	buffer_load_dword v200, off, s[0:3], 0 offset:920
	;; [unrolled: 1-line block ×16, first 2 shown]
	ds_read_b128 v[38:41], v232 offset:1632
	buffer_load_dword v223, off, s[0:3], 0 offset:988
	buffer_load_dword v222, off, s[0:3], 0 offset:984
	;; [unrolled: 1-line block ×8, first 2 shown]
	ds_read_b128 v[98:101], v232 offset:1872
	s_waitcnt vmcnt(62) lgkmcnt(2)
	v_mul_f64 v[42:43], v[34:35], v[148:149]
	v_fmac_f64_e32 v[42:43], v[36:37], v[154:155]
	v_add_f64 v[0:1], v[0:1], v[42:43]
	ds_read_b128 v[42:45], v232 offset:1648
	v_fma_f64 v[248:249], v[234:235], v[108:109], -v[106:107]
	ds_read_b128 v[106:109], v232 offset:1904
	v_fma_f64 v[246:247], v[244:245], v[112:113], -v[110:111]
	v_mul_f64 v[20:21], v[20:21], v[130:131]
	s_waitcnt lgkmcnt(3)
	v_mul_f64 v[46:47], v[38:39], v[172:173]
	v_fma_f64 v[18:19], v[18:19], v[134:135], -v[20:21]
	v_fmac_f64_e32 v[46:47], v[40:41], v[176:177]
	v_add_f64 v[0:1], v[0:1], v[46:47]
	ds_read_b128 v[46:49], v232 offset:1664
	s_waitcnt lgkmcnt(2)
	v_mul_f64 v[50:51], v[42:43], v[156:157]
	v_fmac_f64_e32 v[50:51], v[44:45], v[158:159]
	v_add_f64 v[0:1], v[0:1], v[50:51]
	ds_read_b128 v[50:53], v232 offset:1680
	s_waitcnt lgkmcnt(1)
	v_mul_f64 v[54:55], v[46:47], v[180:181]
	;; [unrolled: 5-line block ×3, first 2 shown]
	v_fmac_f64_e32 v[58:59], v[52:53], v[162:163]
	v_add_f64 v[0:1], v[0:1], v[58:59]
	ds_read_b128 v[58:61], v232 offset:1712
	s_waitcnt vmcnt(58) lgkmcnt(1)
	v_mul_f64 v[62:63], v[54:55], v[188:189]
	s_waitcnt vmcnt(56)
	v_fmac_f64_e32 v[62:63], v[56:57], v[192:193]
	v_add_f64 v[0:1], v[0:1], v[62:63]
	ds_read_b128 v[62:65], v232 offset:1728
	s_waitcnt lgkmcnt(1)
	v_mul_f64 v[66:67], v[58:59], v[164:165]
	v_fmac_f64_e32 v[66:67], v[60:61], v[166:167]
	v_add_f64 v[0:1], v[0:1], v[66:67]
	ds_read_b128 v[66:69], v232 offset:1744
	s_waitcnt vmcnt(50) lgkmcnt(1)
	v_mul_f64 v[70:71], v[62:63], v[196:197]
	s_waitcnt vmcnt(48)
	v_fmac_f64_e32 v[70:71], v[64:65], v[198:199]
	v_add_f64 v[0:1], v[0:1], v[70:71]
	ds_read_b128 v[70:73], v232 offset:1760
	s_waitcnt lgkmcnt(1)
	v_mul_f64 v[74:75], v[66:67], v[168:169]
	;; [unrolled: 11-line block ×3, first 2 shown]
	v_fmac_f64_e32 v[82:83], v[76:77], v[178:179]
	v_add_f64 v[0:1], v[0:1], v[82:83]
	ds_read_b128 v[82:85], v232 offset:1808
	ds_read_b128 v[86:89], v232 offset:1824
	s_waitcnt vmcnt(34) lgkmcnt(2)
	v_mul_f64 v[90:91], v[78:79], v[210:211]
	s_waitcnt vmcnt(32)
	v_fmac_f64_e32 v[90:91], v[80:81], v[216:217]
	v_add_f64 v[0:1], v[0:1], v[90:91]
	s_waitcnt lgkmcnt(1)
	v_mul_f64 v[90:91], v[82:83], v[182:183]
	v_fmac_f64_e32 v[90:91], v[84:85], v[186:187]
	v_add_f64 v[0:1], v[0:1], v[90:91]
	s_waitcnt vmcnt(27) lgkmcnt(0)
	v_mul_f64 v[90:91], v[86:87], v[214:215]
	s_waitcnt vmcnt(25)
	v_fmac_f64_e32 v[90:91], v[88:89], v[218:219]
	v_add_f64 v[0:1], v[0:1], v[90:91]
	ds_read_b128 v[90:93], v232 offset:1840
	ds_read_b128 v[94:97], v232 offset:1856
	v_fma_f64 v[14:15], v[14:15], v[122:123], -v[16:17]
	v_mul_f64 v[12:13], v[12:13], v[128:129]
	v_fma_f64 v[10:11], v[10:11], v[132:133], -v[12:13]
	s_waitcnt lgkmcnt(1)
	v_mul_f64 v[102:103], v[90:91], v[190:191]
	s_waitcnt vmcnt(24)
	v_fmac_f64_e32 v[102:103], v[92:93], v[194:195]
	v_add_f64 v[0:1], v[0:1], v[102:103]
	s_waitcnt vmcnt(18) lgkmcnt(0)
	v_mul_f64 v[102:103], v[94:95], v[220:221]
	s_waitcnt vmcnt(16)
	v_fmac_f64_e32 v[102:103], v[96:97], v[224:225]
	v_add_f64 v[0:1], v[0:1], v[102:103]
	v_mul_f64 v[102:103], v[98:99], v[200:201]
	v_fmac_f64_e32 v[102:103], v[100:101], v[204:205]
	v_add_f64 v[0:1], v[0:1], v[102:103]
	ds_read_b128 v[102:105], v232 offset:1888
	ds_read_b128 v[110:113], v232 offset:1920
	v_mul_f64 v[8:9], v[8:9], v[126:127]
	v_fma_f64 v[6:7], v[6:7], v[138:139], -v[8:9]
	v_mul_f64 v[4:5], v[4:5], v[142:143]
	s_waitcnt vmcnt(10) lgkmcnt(1)
	v_mul_f64 v[114:115], v[102:103], v[228:229]
	s_waitcnt vmcnt(8)
	v_fmac_f64_e32 v[114:115], v[104:105], v[230:231]
	v_add_f64 v[0:1], v[0:1], v[114:115]
	v_mul_f64 v[114:115], v[106:107], v[208:209]
	v_fmac_f64_e32 v[114:115], v[108:109], v[212:213]
	v_add_f64 v[0:1], v[0:1], v[114:115]
	s_waitcnt vmcnt(2) lgkmcnt(0)
	v_mul_f64 v[114:115], v[110:111], v[240:241]
	s_waitcnt vmcnt(0)
	v_fmac_f64_e32 v[114:115], v[112:113], v[242:243]
	v_add_f64 v[0:1], v[0:1], v[114:115]
	ds_read_b128 v[114:117], v232 offset:1936
	buffer_load_dword v252, off, s[0:3], 0 offset:448
	buffer_load_dword v253, off, s[0:3], 0 offset:452
	v_fma_f64 v[2:3], v[2:3], v[144:145], -v[4:5]
	s_waitcnt lgkmcnt(0)
	v_mul_f64 v[234:235], v[114:115], v[222:223]
	v_fmac_f64_e32 v[234:235], v[116:117], v[226:227]
	v_add_f64 v[244:245], v[0:1], v[234:235]
	v_add_f64 v[0:1], v[150:151], 0
	;; [unrolled: 1-line block ×4, first 2 shown]
	buffer_load_dword v248, off, s[0:3], 0 offset:456
	buffer_load_dword v249, off, s[0:3], 0 offset:460
	v_add_f64 v[0:1], v[0:1], v[246:247]
	v_add_f64 v[0:1], v[0:1], v[22:23]
	;; [unrolled: 1-line block ×7, first 2 shown]
	v_mul_f64 v[2:3], v[28:29], v[136:137]
	v_fma_f64 v[2:3], v[26:27], v[140:141], -v[2:3]
	v_add_f64 v[0:1], v[0:1], v[2:3]
	v_mul_f64 v[2:3], v[32:33], v[146:147]
	v_fma_f64 v[2:3], v[30:31], v[152:153], -v[2:3]
	v_add_f64 v[0:1], v[0:1], v[2:3]
	;; [unrolled: 3-line block ×23, first 2 shown]
	s_waitcnt vmcnt(2)
	v_add_f64 v[0:1], v[252:253], -v[0:1]
	s_waitcnt vmcnt(0)
	v_add_f64 v[2:3], v[248:249], -v[244:245]
	buffer_store_dword v1, off, s[0:3], 0 offset:452
	buffer_store_dword v0, off, s[0:3], 0 offset:448
	;; [unrolled: 1-line block ×4, first 2 shown]
	s_and_saveexec_b64 s[4:5], vcc
	s_cbranch_execz .LBB124_339
; %bb.338:
	v_accvgpr_read_b32 v0, a156
	buffer_load_dword v2, v0, s[0:3], 0 offen
	buffer_load_dword v3, v0, s[0:3], 0 offen offset:4
	buffer_load_dword v4, v0, s[0:3], 0 offen offset:8
	;; [unrolled: 1-line block ×3, first 2 shown]
	v_accvgpr_read_b32 v0, a183
	buffer_store_dword v232, off, s[0:3], 0 offset:432
	buffer_store_dword v232, off, s[0:3], 0 offset:436
	;; [unrolled: 1-line block ×4, first 2 shown]
	s_waitcnt vmcnt(4)
	ds_write_b128 v0, v[2:5]
.LBB124_339:
	s_or_b64 exec, exec, s[4:5]
	s_waitcnt lgkmcnt(0)
	; wave barrier
	s_waitcnt lgkmcnt(0)
	buffer_load_dword v86, off, s[0:3], 0 offset:448
	buffer_load_dword v87, off, s[0:3], 0 offset:452
	;; [unrolled: 1-line block ×42, first 2 shown]
	ds_read_b128 v[94:97], v232 offset:1408
	ds_read_b128 v[106:109], v232 offset:1424
	;; [unrolled: 1-line block ×10, first 2 shown]
	buffer_load_dword v145, off, s[0:3], 0 offset:596
	buffer_load_dword v144, off, s[0:3], 0 offset:592
	ds_read_b128 v[6:9], v232 offset:1568
	buffer_load_dword v141, off, s[0:3], 0 offset:652
	buffer_load_dword v140, off, s[0:3], 0 offset:648
	;; [unrolled: 1-line block ×80, first 2 shown]
	s_waitcnt vmcnt(62) lgkmcnt(10)
	v_mul_f64 v[0:1], v[94:95], v[88:89]
	v_fmac_f64_e32 v[0:1], v[96:97], v[86:87]
	v_add_f64 v[0:1], v[0:1], 0
	v_mul_f64 v[88:89], v[96:97], v[88:89]
	s_waitcnt lgkmcnt(9)
	v_mul_f64 v[26:27], v[106:107], v[92:93]
	v_fmac_f64_e32 v[26:27], v[108:109], v[90:91]
	s_waitcnt lgkmcnt(8)
	v_mul_f64 v[28:29], v[114:115], v[98:99]
	v_add_f64 v[0:1], v[0:1], v[26:27]
	s_waitcnt lgkmcnt(6)
	v_mul_f64 v[32:33], v[248:249], v[110:111]
	v_fma_f64 v[150:151], v[94:95], v[86:87], -v[88:89]
	v_fmac_f64_e32 v[32:33], v[250:251], v[112:113]
	v_mul_f64 v[92:93], v[108:109], v[92:93]
	v_mul_f64 v[30:31], v[234:235], v[102:103]
	v_fma_f64 v[238:239], v[106:107], v[90:91], -v[92:93]
	s_waitcnt lgkmcnt(4)
	v_mul_f64 v[36:37], v[18:19], v[118:119]
	v_mul_f64 v[98:99], v[116:117], v[98:99]
	v_fmac_f64_e32 v[36:37], v[20:21], v[120:121]
	v_mul_f64 v[102:103], v[236:237], v[102:103]
	v_mul_f64 v[34:35], v[22:23], v[122:123]
	;; [unrolled: 1-line block ×3, first 2 shown]
	s_waitcnt lgkmcnt(2)
	v_mul_f64 v[40:41], v[10:11], v[124:125]
	v_fma_f64 v[248:249], v[248:249], v[112:113], -v[110:111]
	v_mul_f64 v[20:21], v[20:21], v[118:119]
	v_mul_f64 v[38:39], v[14:15], v[130:131]
	v_fma_f64 v[18:19], v[18:19], v[120:121], -v[20:21]
	s_waitcnt lgkmcnt(1)
	v_mul_f64 v[42:43], v[2:3], v[128:129]
	v_fmac_f64_e32 v[28:29], v[116:117], v[100:101]
	v_add_f64 v[0:1], v[0:1], v[28:29]
	v_fmac_f64_e32 v[30:31], v[236:237], v[104:105]
	v_add_f64 v[0:1], v[0:1], v[30:31]
	v_fmac_f64_e32 v[34:35], v[24:25], v[134:135]
	v_add_f64 v[0:1], v[0:1], v[32:33]
	v_add_f64 v[0:1], v[0:1], v[34:35]
	ds_read_b128 v[26:29], v232 offset:1584
	v_fmac_f64_e32 v[38:39], v[16:17], v[132:133]
	v_add_f64 v[0:1], v[0:1], v[36:37]
	v_fmac_f64_e32 v[40:41], v[12:13], v[126:127]
	v_add_f64 v[0:1], v[0:1], v[38:39]
	v_add_f64 v[0:1], v[0:1], v[40:41]
	v_fmac_f64_e32 v[42:43], v[4:5], v[144:145]
	s_waitcnt lgkmcnt(1)
	v_mul_f64 v[30:31], v[6:7], v[136:137]
	v_add_f64 v[0:1], v[0:1], v[42:43]
	v_fmac_f64_e32 v[30:31], v[8:9], v[138:139]
	v_add_f64 v[0:1], v[0:1], v[30:31]
	ds_read_b128 v[30:33], v232 offset:1600
	s_waitcnt lgkmcnt(1)
	v_mul_f64 v[34:35], v[26:27], v[146:147]
	v_fmac_f64_e32 v[34:35], v[28:29], v[164:165]
	v_add_f64 v[0:1], v[0:1], v[34:35]
	ds_read_b128 v[34:37], v232 offset:1616
	s_waitcnt lgkmcnt(1)
	v_mul_f64 v[38:39], v[30:31], v[140:141]
	;; [unrolled: 5-line block ×4, first 2 shown]
	v_fmac_f64_e32 v[46:47], v[40:41], v[152:153]
	v_add_f64 v[0:1], v[0:1], v[46:47]
	ds_read_b128 v[46:49], v232 offset:1664
	s_waitcnt vmcnt(58) lgkmcnt(1)
	v_mul_f64 v[50:51], v[42:43], v[176:177]
	s_waitcnt vmcnt(56)
	v_fmac_f64_e32 v[50:51], v[44:45], v[180:181]
	v_add_f64 v[0:1], v[0:1], v[50:51]
	ds_read_b128 v[50:53], v232 offset:1680
	buffer_load_dword v224, off, s[0:3], 0 offset:968
	buffer_load_dword v229, off, s[0:3], 0 offset:956
	;; [unrolled: 1-line block ×8, first 2 shown]
	s_waitcnt lgkmcnt(1)
	v_mul_f64 v[54:55], v[46:47], v[154:155]
	v_fmac_f64_e32 v[54:55], v[48:49], v[156:157]
	v_add_f64 v[0:1], v[0:1], v[54:55]
	ds_read_b128 v[54:57], v232 offset:1696
	buffer_load_dword v241, off, s[0:3], 0 offset:988
	buffer_load_dword v240, off, s[0:3], 0 offset:984
	;; [unrolled: 1-line block ×4, first 2 shown]
	s_waitcnt vmcnt(62) lgkmcnt(1)
	v_mul_f64 v[58:59], v[50:51], v[184:185]
	s_waitcnt vmcnt(60)
	v_fmac_f64_e32 v[58:59], v[52:53], v[188:189]
	v_add_f64 v[0:1], v[0:1], v[58:59]
	ds_read_b128 v[58:61], v232 offset:1712
	s_waitcnt lgkmcnt(1)
	v_mul_f64 v[62:63], v[54:55], v[158:159]
	v_fmac_f64_e32 v[62:63], v[56:57], v[160:161]
	v_add_f64 v[0:1], v[0:1], v[62:63]
	ds_read_b128 v[62:65], v232 offset:1728
	s_waitcnt vmcnt(54) lgkmcnt(1)
	v_mul_f64 v[66:67], v[58:59], v[192:193]
	s_waitcnt vmcnt(52)
	v_fmac_f64_e32 v[66:67], v[60:61], v[196:197]
	v_add_f64 v[0:1], v[0:1], v[66:67]
	ds_read_b128 v[66:69], v232 offset:1744
	s_waitcnt lgkmcnt(1)
	v_mul_f64 v[70:71], v[62:63], v[162:163]
	v_fmac_f64_e32 v[70:71], v[64:65], v[166:167]
	v_add_f64 v[0:1], v[0:1], v[70:71]
	ds_read_b128 v[70:73], v232 offset:1760
	s_waitcnt vmcnt(46) lgkmcnt(1)
	v_mul_f64 v[74:75], v[66:67], v[200:201]
	s_waitcnt vmcnt(44)
	v_fmac_f64_e32 v[74:75], v[68:69], v[204:205]
	v_add_f64 v[0:1], v[0:1], v[74:75]
	ds_read_b128 v[74:77], v232 offset:1776
	ds_read_b128 v[78:81], v232 offset:1792
	s_waitcnt lgkmcnt(2)
	v_mul_f64 v[82:83], v[70:71], v[170:171]
	v_fmac_f64_e32 v[82:83], v[72:73], v[174:175]
	v_add_f64 v[0:1], v[0:1], v[82:83]
	s_waitcnt vmcnt(38) lgkmcnt(1)
	v_mul_f64 v[82:83], v[74:75], v[208:209]
	s_waitcnt vmcnt(36)
	v_fmac_f64_e32 v[82:83], v[76:77], v[210:211]
	v_add_f64 v[0:1], v[0:1], v[82:83]
	s_waitcnt lgkmcnt(0)
	v_mul_f64 v[82:83], v[78:79], v[178:179]
	v_fmac_f64_e32 v[82:83], v[80:81], v[182:183]
	v_add_f64 v[0:1], v[0:1], v[82:83]
	ds_read_b128 v[82:85], v232 offset:1808
	ds_read_b128 v[86:89], v232 offset:1824
	;; [unrolled: 1-line block ×3, first 2 shown]
	v_fma_f64 v[252:253], v[114:115], v[100:101], -v[98:99]
	ds_read_b128 v[98:101], v232 offset:1872
	s_waitcnt vmcnt(30) lgkmcnt(3)
	v_mul_f64 v[94:95], v[82:83], v[212:213]
	s_waitcnt vmcnt(28)
	v_fmac_f64_e32 v[94:95], v[84:85], v[214:215]
	v_add_f64 v[0:1], v[0:1], v[94:95]
	s_waitcnt lgkmcnt(2)
	v_mul_f64 v[94:95], v[86:87], v[186:187]
	v_fmac_f64_e32 v[94:95], v[88:89], v[190:191]
	v_add_f64 v[0:1], v[0:1], v[94:95]
	ds_read_b128 v[94:97], v232 offset:1856
	s_waitcnt vmcnt(22) lgkmcnt(2)
	v_mul_f64 v[106:107], v[90:91], v[216:217]
	s_waitcnt vmcnt(20)
	v_fmac_f64_e32 v[106:107], v[92:93], v[218:219]
	v_add_f64 v[0:1], v[0:1], v[106:107]
	v_fma_f64 v[246:247], v[234:235], v[104:105], -v[102:103]
	s_waitcnt lgkmcnt(0)
	v_mul_f64 v[106:107], v[94:95], v[194:195]
	v_fmac_f64_e32 v[106:107], v[96:97], v[198:199]
	v_add_f64 v[0:1], v[0:1], v[106:107]
	ds_read_b128 v[106:109], v232 offset:1888
	ds_read_b128 v[102:105], v232 offset:1904
	;; [unrolled: 1-line block ×3, first 2 shown]
	s_waitcnt vmcnt(14)
	v_mul_f64 v[114:115], v[98:99], v[220:221]
	s_waitcnt vmcnt(12)
	v_fmac_f64_e32 v[114:115], v[100:101], v[222:223]
	v_add_f64 v[0:1], v[0:1], v[114:115]
	s_waitcnt lgkmcnt(2)
	v_mul_f64 v[114:115], v[106:107], v[202:203]
	v_fmac_f64_e32 v[114:115], v[108:109], v[206:207]
	v_add_f64 v[0:1], v[0:1], v[114:115]
	v_mul_f64 v[24:25], v[24:25], v[122:123]
	v_fma_f64 v[22:23], v[22:23], v[134:135], -v[24:25]
	v_mul_f64 v[16:17], v[16:17], v[130:131]
	v_fma_f64 v[14:15], v[14:15], v[132:133], -v[16:17]
	;; [unrolled: 2-line block ×4, first 2 shown]
	s_waitcnt vmcnt(9) lgkmcnt(1)
	v_mul_f64 v[114:115], v[102:103], v[228:229]
	s_waitcnt vmcnt(7)
	v_fmac_f64_e32 v[114:115], v[104:105], v[230:231]
	v_add_f64 v[0:1], v[0:1], v[114:115]
	s_waitcnt vmcnt(5) lgkmcnt(0)
	v_mul_f64 v[114:115], v[110:111], v[224:225]
	s_waitcnt vmcnt(4)
	v_fmac_f64_e32 v[114:115], v[112:113], v[226:227]
	v_add_f64 v[0:1], v[0:1], v[114:115]
	ds_read_b128 v[114:117], v232 offset:1936
	s_waitcnt vmcnt(2) lgkmcnt(0)
	v_mul_f64 v[232:233], v[114:115], v[240:241]
	s_waitcnt vmcnt(0)
	v_fmac_f64_e32 v[232:233], v[116:117], v[242:243]
	v_add_f64 v[244:245], v[0:1], v[232:233]
	v_add_f64 v[0:1], v[150:151], 0
	;; [unrolled: 1-line block ×4, first 2 shown]
	buffer_load_dword v254, off, s[0:3], 0 offset:432
	buffer_load_dword v255, off, s[0:3], 0 offset:436
	;; [unrolled: 1-line block ×4, first 2 shown]
	v_add_f64 v[0:1], v[250:251], v[246:247]
	v_add_f64 v[0:1], v[0:1], v[248:249]
	v_add_f64 v[0:1], v[0:1], v[22:23]
	v_add_f64 v[0:1], v[0:1], v[18:19]
	v_add_f64 v[0:1], v[0:1], v[14:15]
	v_add_f64 v[0:1], v[0:1], v[10:11]
	v_add_f64 v[0:1], v[0:1], v[2:3]
	v_mul_f64 v[2:3], v[8:9], v[136:137]
	v_fma_f64 v[2:3], v[6:7], v[138:139], -v[2:3]
	v_add_f64 v[0:1], v[0:1], v[2:3]
	v_mul_f64 v[2:3], v[28:29], v[146:147]
	v_fma_f64 v[2:3], v[26:27], v[164:165], -v[2:3]
	v_add_f64 v[0:1], v[0:1], v[2:3]
	v_mul_f64 v[2:3], v[32:33], v[140:141]
	v_fma_f64 v[2:3], v[30:31], v[142:143], -v[2:3]
	v_add_f64 v[0:1], v[0:1], v[2:3]
	v_mul_f64 v[2:3], v[36:37], v[168:169]
	v_fma_f64 v[2:3], v[34:35], v[172:173], -v[2:3]
	v_add_f64 v[0:1], v[0:1], v[2:3]
	v_mul_f64 v[2:3], v[40:41], v[148:149]
	v_fma_f64 v[2:3], v[38:39], v[152:153], -v[2:3]
	v_add_f64 v[0:1], v[0:1], v[2:3]
	v_mul_f64 v[2:3], v[44:45], v[176:177]
	v_fma_f64 v[2:3], v[42:43], v[180:181], -v[2:3]
	v_add_f64 v[0:1], v[0:1], v[2:3]
	v_mul_f64 v[2:3], v[48:49], v[154:155]
	v_fma_f64 v[2:3], v[46:47], v[156:157], -v[2:3]
	v_add_f64 v[0:1], v[0:1], v[2:3]
	v_mul_f64 v[2:3], v[52:53], v[184:185]
	v_fma_f64 v[2:3], v[50:51], v[188:189], -v[2:3]
	v_add_f64 v[0:1], v[0:1], v[2:3]
	v_mul_f64 v[2:3], v[56:57], v[158:159]
	v_fma_f64 v[2:3], v[54:55], v[160:161], -v[2:3]
	v_add_f64 v[0:1], v[0:1], v[2:3]
	v_mul_f64 v[2:3], v[60:61], v[192:193]
	v_fma_f64 v[2:3], v[58:59], v[196:197], -v[2:3]
	v_add_f64 v[0:1], v[0:1], v[2:3]
	v_mul_f64 v[2:3], v[64:65], v[162:163]
	v_fma_f64 v[2:3], v[62:63], v[166:167], -v[2:3]
	v_add_f64 v[0:1], v[0:1], v[2:3]
	v_mul_f64 v[2:3], v[68:69], v[200:201]
	v_fma_f64 v[2:3], v[66:67], v[204:205], -v[2:3]
	v_add_f64 v[0:1], v[0:1], v[2:3]
	v_mul_f64 v[2:3], v[72:73], v[170:171]
	v_fma_f64 v[2:3], v[70:71], v[174:175], -v[2:3]
	v_add_f64 v[0:1], v[0:1], v[2:3]
	v_mul_f64 v[2:3], v[76:77], v[208:209]
	v_fma_f64 v[2:3], v[74:75], v[210:211], -v[2:3]
	v_add_f64 v[0:1], v[0:1], v[2:3]
	v_mul_f64 v[2:3], v[80:81], v[178:179]
	v_fma_f64 v[2:3], v[78:79], v[182:183], -v[2:3]
	v_add_f64 v[0:1], v[0:1], v[2:3]
	v_mul_f64 v[2:3], v[84:85], v[212:213]
	v_fma_f64 v[2:3], v[82:83], v[214:215], -v[2:3]
	v_add_f64 v[0:1], v[0:1], v[2:3]
	v_mul_f64 v[2:3], v[88:89], v[186:187]
	v_fma_f64 v[2:3], v[86:87], v[190:191], -v[2:3]
	v_add_f64 v[0:1], v[0:1], v[2:3]
	v_mul_f64 v[2:3], v[92:93], v[216:217]
	v_fma_f64 v[2:3], v[90:91], v[218:219], -v[2:3]
	v_add_f64 v[0:1], v[0:1], v[2:3]
	v_mul_f64 v[2:3], v[96:97], v[194:195]
	v_fma_f64 v[2:3], v[94:95], v[198:199], -v[2:3]
	v_add_f64 v[0:1], v[0:1], v[2:3]
	v_mul_f64 v[2:3], v[100:101], v[220:221]
	v_fma_f64 v[2:3], v[98:99], v[222:223], -v[2:3]
	v_add_f64 v[0:1], v[0:1], v[2:3]
	v_mul_f64 v[2:3], v[108:109], v[202:203]
	v_fma_f64 v[2:3], v[106:107], v[206:207], -v[2:3]
	v_add_f64 v[0:1], v[0:1], v[2:3]
	v_mul_f64 v[2:3], v[104:105], v[228:229]
	v_fma_f64 v[2:3], v[102:103], v[230:231], -v[2:3]
	v_add_f64 v[0:1], v[0:1], v[2:3]
	v_mul_f64 v[2:3], v[112:113], v[224:225]
	v_fma_f64 v[2:3], v[110:111], v[226:227], -v[2:3]
	v_add_f64 v[0:1], v[0:1], v[2:3]
	v_mul_f64 v[2:3], v[116:117], v[240:241]
	v_fma_f64 v[2:3], v[114:115], v[242:243], -v[2:3]
	v_add_f64 v[0:1], v[0:1], v[2:3]
	v_accvgpr_read_b32 v233, a182
	s_waitcnt vmcnt(2)
	v_add_f64 v[0:1], v[254:255], -v[0:1]
	v_cmp_lt_u32_e32 vcc, 25, v233
	s_waitcnt vmcnt(0)
	v_add_f64 v[2:3], v[252:253], -v[244:245]
	buffer_store_dword v1, off, s[0:3], 0 offset:436
	buffer_store_dword v0, off, s[0:3], 0 offset:432
	;; [unrolled: 1-line block ×4, first 2 shown]
	s_and_saveexec_b64 s[4:5], vcc
	s_cbranch_execz .LBB124_341
; %bb.340:
	v_accvgpr_read_b32 v0, a157
	buffer_load_dword v2, v0, s[0:3], 0 offen
	buffer_load_dword v3, v0, s[0:3], 0 offen offset:4
	buffer_load_dword v4, v0, s[0:3], 0 offen offset:8
	;; [unrolled: 1-line block ×3, first 2 shown]
	v_mov_b32_e32 v0, 0
	v_accvgpr_read_b32 v1, a183
	buffer_store_dword v0, off, s[0:3], 0 offset:416
	buffer_store_dword v0, off, s[0:3], 0 offset:420
	;; [unrolled: 1-line block ×4, first 2 shown]
	s_waitcnt vmcnt(4)
	ds_write_b128 v1, v[2:5]
.LBB124_341:
	s_or_b64 exec, exec, s[4:5]
	s_waitcnt lgkmcnt(0)
	; wave barrier
	s_waitcnt lgkmcnt(0)
	buffer_load_dword v82, off, s[0:3], 0 offset:432
	buffer_load_dword v83, off, s[0:3], 0 offset:436
	;; [unrolled: 1-line block ×54, first 2 shown]
	v_mov_b32_e32 v232, 0
	ds_read_b128 v[90:93], v232 offset:1392
	ds_read_b128 v[106:109], v232 offset:1408
	;; [unrolled: 1-line block ×9, first 2 shown]
	buffer_load_dword v149, off, s[0:3], 0 offset:660
	buffer_load_dword v148, off, s[0:3], 0 offset:656
	;; [unrolled: 1-line block ×62, first 2 shown]
	v_cmp_lt_u32_e32 vcc, 24, v233
	s_waitcnt vmcnt(62) lgkmcnt(8)
	v_mul_f64 v[0:1], v[90:91], v[84:85]
	v_fmac_f64_e32 v[0:1], v[92:93], v[82:83]
	v_add_f64 v[0:1], v[0:1], 0
	v_mul_f64 v[84:85], v[92:93], v[84:85]
	s_waitcnt lgkmcnt(7)
	v_mul_f64 v[14:15], v[106:107], v[88:89]
	v_fmac_f64_e32 v[14:15], v[108:109], v[86:87]
	s_waitcnt lgkmcnt(6)
	v_mul_f64 v[16:17], v[114:115], v[94:95]
	v_add_f64 v[0:1], v[0:1], v[14:15]
	s_waitcnt lgkmcnt(4)
	v_mul_f64 v[20:21], v[242:243], v[102:103]
	v_fma_f64 v[150:151], v[90:91], v[82:83], -v[84:85]
	v_fmac_f64_e32 v[20:21], v[244:245], v[104:105]
	v_mul_f64 v[88:89], v[108:109], v[88:89]
	v_mul_f64 v[18:19], v[234:235], v[98:99]
	v_fma_f64 v[238:239], v[106:107], v[86:87], -v[88:89]
	s_waitcnt lgkmcnt(2)
	v_mul_f64 v[24:25], v[10:11], v[118:119]
	v_mul_f64 v[94:95], v[116:117], v[94:95]
	v_fmac_f64_e32 v[24:25], v[12:13], v[120:121]
	v_mul_f64 v[98:99], v[236:237], v[98:99]
	v_mul_f64 v[22:23], v[246:247], v[110:111]
	v_mul_f64 v[102:103], v[244:245], v[102:103]
	s_waitcnt lgkmcnt(1)
	v_mul_f64 v[26:27], v[6:7], v[122:123]
	v_mul_f64 v[110:111], v[248:249], v[110:111]
	v_fmac_f64_e32 v[16:17], v[116:117], v[96:97]
	v_add_f64 v[0:1], v[0:1], v[16:17]
	v_fmac_f64_e32 v[18:19], v[236:237], v[100:101]
	v_add_f64 v[0:1], v[0:1], v[18:19]
	ds_read_b128 v[14:17], v232 offset:1536
	v_fmac_f64_e32 v[22:23], v[248:249], v[112:113]
	v_add_f64 v[0:1], v[0:1], v[20:21]
	v_add_f64 v[0:1], v[0:1], v[22:23]
	v_fmac_f64_e32 v[26:27], v[8:9], v[126:127]
	v_add_f64 v[0:1], v[0:1], v[24:25]
	s_waitcnt lgkmcnt(1)
	v_mul_f64 v[18:19], v[2:3], v[124:125]
	v_add_f64 v[0:1], v[0:1], v[26:27]
	v_fmac_f64_e32 v[18:19], v[4:5], v[128:129]
	v_add_f64 v[0:1], v[0:1], v[18:19]
	ds_read_b128 v[18:21], v232 offset:1552
	s_waitcnt lgkmcnt(1)
	v_mul_f64 v[22:23], v[14:15], v[134:135]
	v_fmac_f64_e32 v[22:23], v[16:17], v[136:137]
	v_add_f64 v[0:1], v[0:1], v[22:23]
	ds_read_b128 v[22:25], v232 offset:1568
	s_waitcnt lgkmcnt(1)
	v_mul_f64 v[26:27], v[18:19], v[130:131]
	;; [unrolled: 5-line block ×4, first 2 shown]
	v_fmac_f64_e32 v[34:35], v[28:29], v[140:141]
	v_add_f64 v[0:1], v[0:1], v[34:35]
	ds_read_b128 v[34:37], v232 offset:1616
	s_waitcnt vmcnt(58) lgkmcnt(1)
	v_mul_f64 v[38:39], v[30:31], v[164:165]
	s_waitcnt vmcnt(56)
	v_fmac_f64_e32 v[38:39], v[32:33], v[168:169]
	v_add_f64 v[0:1], v[0:1], v[38:39]
	ds_read_b128 v[38:41], v232 offset:1632
	s_waitcnt lgkmcnt(1)
	v_mul_f64 v[42:43], v[34:35], v[142:143]
	v_fmac_f64_e32 v[42:43], v[36:37], v[148:149]
	v_add_f64 v[0:1], v[0:1], v[42:43]
	ds_read_b128 v[42:45], v232 offset:1648
	s_waitcnt vmcnt(50) lgkmcnt(1)
	v_mul_f64 v[46:47], v[38:39], v[172:173]
	s_waitcnt vmcnt(48)
	v_fmac_f64_e32 v[46:47], v[40:41], v[176:177]
	v_add_f64 v[0:1], v[0:1], v[46:47]
	ds_read_b128 v[46:49], v232 offset:1664
	buffer_load_dword v213, off, s[0:3], 0 offset:908
	buffer_load_dword v212, off, s[0:3], 0 offset:904
	;; [unrolled: 1-line block ×8, first 2 shown]
	s_waitcnt lgkmcnt(1)
	v_mul_f64 v[50:51], v[42:43], v[152:153]
	v_fmac_f64_e32 v[50:51], v[44:45], v[154:155]
	v_add_f64 v[0:1], v[0:1], v[50:51]
	ds_read_b128 v[50:53], v232 offset:1680
	s_waitcnt vmcnt(50) lgkmcnt(1)
	v_mul_f64 v[54:55], v[46:47], v[180:181]
	s_waitcnt vmcnt(48)
	v_fmac_f64_e32 v[54:55], v[48:49], v[184:185]
	buffer_load_dword v217, off, s[0:3], 0 offset:956
	buffer_load_dword v223, off, s[0:3], 0 offset:940
	;; [unrolled: 1-line block ×12, first 2 shown]
	v_add_f64 v[0:1], v[0:1], v[54:55]
	ds_read_b128 v[54:57], v232 offset:1696
	s_waitcnt lgkmcnt(1)
	v_mul_f64 v[58:59], v[50:51], v[156:157]
	v_fmac_f64_e32 v[58:59], v[52:53], v[158:159]
	v_add_f64 v[0:1], v[0:1], v[58:59]
	ds_read_b128 v[58:61], v232 offset:1712
	s_waitcnt vmcnt(54) lgkmcnt(1)
	v_mul_f64 v[62:63], v[54:55], v[188:189]
	s_waitcnt vmcnt(52)
	v_fmac_f64_e32 v[62:63], v[56:57], v[192:193]
	v_add_f64 v[0:1], v[0:1], v[62:63]
	ds_read_b128 v[62:65], v232 offset:1728
	s_waitcnt lgkmcnt(1)
	v_mul_f64 v[66:67], v[58:59], v[160:161]
	v_fmac_f64_e32 v[66:67], v[60:61], v[162:163]
	v_add_f64 v[0:1], v[0:1], v[66:67]
	ds_read_b128 v[66:69], v232 offset:1744
	s_waitcnt vmcnt(46) lgkmcnt(1)
	v_mul_f64 v[70:71], v[62:63], v[196:197]
	s_waitcnt vmcnt(44)
	v_fmac_f64_e32 v[70:71], v[64:65], v[198:199]
	v_add_f64 v[0:1], v[0:1], v[70:71]
	ds_read_b128 v[70:73], v232 offset:1760
	ds_read_b128 v[74:77], v232 offset:1776
	s_waitcnt lgkmcnt(2)
	v_mul_f64 v[78:79], v[66:67], v[166:167]
	v_fmac_f64_e32 v[78:79], v[68:69], v[170:171]
	v_add_f64 v[0:1], v[0:1], v[78:79]
	s_waitcnt vmcnt(38) lgkmcnt(1)
	v_mul_f64 v[78:79], v[70:71], v[200:201]
	s_waitcnt vmcnt(36)
	v_fmac_f64_e32 v[78:79], v[72:73], v[202:203]
	v_add_f64 v[0:1], v[0:1], v[78:79]
	s_waitcnt lgkmcnt(0)
	v_mul_f64 v[78:79], v[74:75], v[174:175]
	v_fmac_f64_e32 v[78:79], v[76:77], v[178:179]
	v_add_f64 v[0:1], v[0:1], v[78:79]
	ds_read_b128 v[78:81], v232 offset:1792
	ds_read_b128 v[82:85], v232 offset:1808
	;; [unrolled: 1-line block ×3, first 2 shown]
	v_fma_f64 v[252:253], v[114:115], v[96:97], -v[94:95]
	ds_read_b128 v[94:97], v232 offset:1856
	s_waitcnt vmcnt(30) lgkmcnt(3)
	v_mul_f64 v[90:91], v[78:79], v[204:205]
	s_waitcnt vmcnt(28)
	v_fmac_f64_e32 v[90:91], v[80:81], v[206:207]
	v_add_f64 v[0:1], v[0:1], v[90:91]
	s_waitcnt lgkmcnt(2)
	v_mul_f64 v[90:91], v[82:83], v[182:183]
	v_fmac_f64_e32 v[90:91], v[84:85], v[186:187]
	v_add_f64 v[0:1], v[0:1], v[90:91]
	s_waitcnt vmcnt(22) lgkmcnt(1)
	v_mul_f64 v[90:91], v[86:87], v[208:209]
	s_waitcnt vmcnt(20)
	v_fmac_f64_e32 v[90:91], v[88:89], v[210:211]
	v_add_f64 v[0:1], v[0:1], v[90:91]
	ds_read_b128 v[90:93], v232 offset:1840
	v_fma_f64 v[234:235], v[234:235], v[100:101], -v[98:99]
	ds_read_b128 v[98:101], v232 offset:1872
	buffer_load_dword v240, off, s[0:3], 0 offset:984
	v_fma_f64 v[236:237], v[242:243], v[104:105], -v[102:103]
	s_waitcnt lgkmcnt(1)
	v_mul_f64 v[106:107], v[90:91], v[190:191]
	v_fmac_f64_e32 v[106:107], v[92:93], v[194:195]
	v_add_f64 v[0:1], v[0:1], v[106:107]
	ds_read_b128 v[102:105], v232 offset:1888
	v_fma_f64 v[250:251], v[246:247], v[112:113], -v[110:111]
	ds_read_b128 v[110:113], v232 offset:1920
	v_mul_f64 v[12:13], v[12:13], v[118:119]
	v_fma_f64 v[10:11], v[10:11], v[120:121], -v[12:13]
	v_mul_f64 v[8:9], v[8:9], v[122:123]
	v_fma_f64 v[6:7], v[6:7], v[126:127], -v[8:9]
	;; [unrolled: 2-line block ×3, first 2 shown]
	s_waitcnt vmcnt(19)
	v_mul_f64 v[106:107], v[94:95], v[212:213]
	s_waitcnt vmcnt(17)
	v_fmac_f64_e32 v[106:107], v[96:97], v[214:215]
	v_add_f64 v[0:1], v[0:1], v[106:107]
	s_waitcnt vmcnt(15) lgkmcnt(2)
	v_mul_f64 v[106:107], v[98:99], v[218:219]
	s_waitcnt vmcnt(13)
	v_fmac_f64_e32 v[106:107], v[100:101], v[220:221]
	v_add_f64 v[0:1], v[0:1], v[106:107]
	ds_read_b128 v[106:109], v232 offset:1904
	buffer_load_dword v244, off, s[0:3], 0 offset:976
	buffer_load_dword v241, off, s[0:3], 0 offset:988
	;; [unrolled: 1-line block ×3, first 2 shown]
	s_waitcnt vmcnt(13) lgkmcnt(2)
	v_mul_f64 v[114:115], v[102:103], v[222:223]
	s_waitcnt vmcnt(11)
	v_fmac_f64_e32 v[114:115], v[104:105], v[228:229]
	v_add_f64 v[0:1], v[0:1], v[114:115]
	s_waitcnt vmcnt(10) lgkmcnt(0)
	v_mul_f64 v[114:115], v[106:107], v[216:217]
	s_waitcnt vmcnt(8)
	v_fmac_f64_e32 v[114:115], v[108:109], v[226:227]
	v_add_f64 v[0:1], v[0:1], v[114:115]
	s_waitcnt vmcnt(6)
	v_mul_f64 v[114:115], v[110:111], v[224:225]
	s_waitcnt vmcnt(4)
	v_fmac_f64_e32 v[114:115], v[112:113], v[230:231]
	v_add_f64 v[0:1], v[0:1], v[114:115]
	ds_read_b128 v[114:117], v232 offset:1936
	buffer_load_dword v248, off, s[0:3], 0 offset:416
	buffer_load_dword v249, off, s[0:3], 0 offset:420
	;; [unrolled: 1-line block ×4, first 2 shown]
	s_waitcnt vmcnt(5) lgkmcnt(0)
	v_mul_f64 v[242:243], v[114:115], v[240:241]
	s_waitcnt vmcnt(4)
	v_fmac_f64_e32 v[242:243], v[116:117], v[244:245]
	v_add_f64 v[242:243], v[0:1], v[242:243]
	v_add_f64 v[0:1], v[150:151], 0
	;; [unrolled: 1-line block ×10, first 2 shown]
	v_mul_f64 v[2:3], v[16:17], v[134:135]
	v_fma_f64 v[2:3], v[14:15], v[136:137], -v[2:3]
	v_add_f64 v[0:1], v[0:1], v[2:3]
	v_mul_f64 v[2:3], v[20:21], v[130:131]
	v_fma_f64 v[2:3], v[18:19], v[132:133], -v[2:3]
	v_add_f64 v[0:1], v[0:1], v[2:3]
	;; [unrolled: 3-line block ×26, first 2 shown]
	s_waitcnt vmcnt(2)
	v_add_f64 v[0:1], v[248:249], -v[0:1]
	s_waitcnt vmcnt(0)
	v_add_f64 v[2:3], v[246:247], -v[242:243]
	buffer_store_dword v1, off, s[0:3], 0 offset:420
	buffer_store_dword v0, off, s[0:3], 0 offset:416
	;; [unrolled: 1-line block ×4, first 2 shown]
	s_and_saveexec_b64 s[4:5], vcc
	s_cbranch_execz .LBB124_343
; %bb.342:
	v_accvgpr_read_b32 v0, a158
	buffer_load_dword v2, v0, s[0:3], 0 offen
	buffer_load_dword v3, v0, s[0:3], 0 offen offset:4
	buffer_load_dword v4, v0, s[0:3], 0 offen offset:8
	;; [unrolled: 1-line block ×3, first 2 shown]
	v_accvgpr_read_b32 v0, a183
	buffer_store_dword v232, off, s[0:3], 0 offset:400
	buffer_store_dword v232, off, s[0:3], 0 offset:404
	;; [unrolled: 1-line block ×4, first 2 shown]
	s_waitcnt vmcnt(4)
	ds_write_b128 v0, v[2:5]
.LBB124_343:
	s_or_b64 exec, exec, s[4:5]
	s_waitcnt lgkmcnt(0)
	; wave barrier
	s_waitcnt lgkmcnt(0)
	buffer_load_dword v84, off, s[0:3], 0 offset:416
	buffer_load_dword v85, off, s[0:3], 0 offset:420
	;; [unrolled: 1-line block ×34, first 2 shown]
	ds_read_b128 v[74:77], v232 offset:1376
	ds_read_b128 v[78:81], v232 offset:1392
	;; [unrolled: 1-line block ×8, first 2 shown]
	buffer_load_dword v125, off, s[0:3], 0 offset:532
	buffer_load_dword v124, off, s[0:3], 0 offset:528
	ds_read_b128 v[6:9], v232 offset:1504
	buffer_load_dword v127, off, s[0:3], 0 offset:588
	buffer_load_dword v126, off, s[0:3], 0 offset:584
	;; [unrolled: 1-line block ×80, first 2 shown]
	s_waitcnt vmcnt(62) lgkmcnt(8)
	v_mul_f64 v[0:1], v[74:75], v[106:107]
	v_fmac_f64_e32 v[0:1], v[76:77], v[84:85]
	v_add_f64 v[0:1], v[0:1], 0
	v_mul_f64 v[76:77], v[76:77], v[106:107]
	s_waitcnt lgkmcnt(7)
	v_mul_f64 v[10:11], v[78:79], v[96:97]
	v_fmac_f64_e32 v[10:11], v[80:81], v[82:83]
	s_waitcnt lgkmcnt(6)
	v_mul_f64 v[12:13], v[86:87], v[94:95]
	v_add_f64 v[0:1], v[0:1], v[10:11]
	s_waitcnt lgkmcnt(4)
	v_mul_f64 v[16:17], v[98:99], v[108:109]
	v_fma_f64 v[150:151], v[74:75], v[84:85], -v[76:77]
	v_fmac_f64_e32 v[16:17], v[100:101], v[114:115]
	v_mul_f64 v[80:81], v[80:81], v[96:97]
	v_mul_f64 v[14:15], v[90:91], v[116:117]
	v_fma_f64 v[234:235], v[78:79], v[82:83], -v[80:81]
	s_waitcnt lgkmcnt(2)
	v_mul_f64 v[20:21], v[110:111], v[240:241]
	v_mul_f64 v[100:101], v[100:101], v[108:109]
	;; [unrolled: 1-line block ×3, first 2 shown]
	s_waitcnt lgkmcnt(1)
	v_mul_f64 v[22:23], v[2:3], v[118:119]
	v_fmac_f64_e32 v[12:13], v[88:89], v[250:251]
	v_add_f64 v[0:1], v[0:1], v[12:13]
	v_fmac_f64_e32 v[14:15], v[92:93], v[248:249]
	v_add_f64 v[0:1], v[0:1], v[14:15]
	;; [unrolled: 2-line block ×4, first 2 shown]
	v_add_f64 v[0:1], v[0:1], v[20:21]
	s_waitcnt lgkmcnt(0)
	v_mul_f64 v[14:15], v[6:7], v[120:121]
	ds_read_b128 v[10:13], v232 offset:1520
	v_fmac_f64_e32 v[22:23], v[4:5], v[124:125]
	v_add_f64 v[0:1], v[0:1], v[22:23]
	v_fmac_f64_e32 v[14:15], v[8:9], v[122:123]
	v_add_f64 v[0:1], v[0:1], v[14:15]
	ds_read_b128 v[14:17], v232 offset:1536
	s_waitcnt lgkmcnt(1)
	v_mul_f64 v[18:19], v[10:11], v[130:131]
	v_fmac_f64_e32 v[18:19], v[12:13], v[132:133]
	v_add_f64 v[0:1], v[0:1], v[18:19]
	ds_read_b128 v[18:21], v232 offset:1552
	s_waitcnt lgkmcnt(1)
	v_mul_f64 v[22:23], v[14:15], v[126:127]
	;; [unrolled: 5-line block ×4, first 2 shown]
	v_fmac_f64_e32 v[30:31], v[24:25], v[136:137]
	v_add_f64 v[0:1], v[0:1], v[30:31]
	ds_read_b128 v[30:33], v232 offset:1600
	s_waitcnt vmcnt(58) lgkmcnt(1)
	v_mul_f64 v[34:35], v[26:27], v[160:161]
	s_waitcnt vmcnt(56)
	v_fmac_f64_e32 v[34:35], v[28:29], v[164:165]
	v_add_f64 v[0:1], v[0:1], v[34:35]
	ds_read_b128 v[34:37], v232 offset:1616
	s_waitcnt lgkmcnt(1)
	v_mul_f64 v[38:39], v[30:31], v[138:139]
	v_fmac_f64_e32 v[38:39], v[32:33], v[140:141]
	v_add_f64 v[0:1], v[0:1], v[38:39]
	ds_read_b128 v[38:41], v232 offset:1632
	s_waitcnt vmcnt(50) lgkmcnt(1)
	v_mul_f64 v[42:43], v[34:35], v[168:169]
	s_waitcnt vmcnt(48)
	v_fmac_f64_e32 v[42:43], v[36:37], v[172:173]
	v_add_f64 v[0:1], v[0:1], v[42:43]
	ds_read_b128 v[42:45], v232 offset:1648
	s_waitcnt lgkmcnt(1)
	v_mul_f64 v[46:47], v[38:39], v[146:147]
	v_fmac_f64_e32 v[46:47], v[40:41], v[148:149]
	v_add_f64 v[0:1], v[0:1], v[46:47]
	ds_read_b128 v[46:49], v232 offset:1664
	buffer_load_dword v209, off, s[0:3], 0 offset:908
	buffer_load_dword v211, off, s[0:3], 0 offset:892
	;; [unrolled: 1-line block ×12, first 2 shown]
	s_waitcnt vmcnt(54) lgkmcnt(1)
	v_mul_f64 v[50:51], v[42:43], v[176:177]
	s_waitcnt vmcnt(52)
	v_fmac_f64_e32 v[50:51], v[44:45], v[180:181]
	v_add_f64 v[0:1], v[0:1], v[50:51]
	ds_read_b128 v[50:53], v232 offset:1680
	s_waitcnt lgkmcnt(1)
	v_mul_f64 v[54:55], v[46:47], v[152:153]
	v_fmac_f64_e32 v[54:55], v[48:49], v[154:155]
	buffer_load_dword v223, off, s[0:3], 0 offset:940
	buffer_load_dword v222, off, s[0:3], 0 offset:936
	;; [unrolled: 1-line block ×12, first 2 shown]
	v_add_f64 v[0:1], v[0:1], v[54:55]
	ds_read_b128 v[54:57], v232 offset:1696
	s_waitcnt vmcnt(58) lgkmcnt(1)
	v_mul_f64 v[58:59], v[50:51], v[184:185]
	s_waitcnt vmcnt(56)
	v_fmac_f64_e32 v[58:59], v[52:53], v[188:189]
	v_add_f64 v[0:1], v[0:1], v[58:59]
	ds_read_b128 v[58:61], v232 offset:1712
	s_waitcnt lgkmcnt(1)
	v_mul_f64 v[62:63], v[54:55], v[156:157]
	v_fmac_f64_e32 v[62:63], v[56:57], v[158:159]
	v_add_f64 v[0:1], v[0:1], v[62:63]
	ds_read_b128 v[62:65], v232 offset:1728
	ds_read_b128 v[66:69], v232 offset:1744
	s_waitcnt vmcnt(50) lgkmcnt(2)
	v_mul_f64 v[70:71], v[58:59], v[192:193]
	s_waitcnt vmcnt(48)
	v_fmac_f64_e32 v[70:71], v[60:61], v[194:195]
	v_add_f64 v[0:1], v[0:1], v[70:71]
	s_waitcnt lgkmcnt(1)
	v_mul_f64 v[70:71], v[62:63], v[162:163]
	v_fmac_f64_e32 v[70:71], v[64:65], v[166:167]
	v_add_f64 v[0:1], v[0:1], v[70:71]
	s_waitcnt vmcnt(42) lgkmcnt(0)
	v_mul_f64 v[70:71], v[66:67], v[196:197]
	s_waitcnt vmcnt(40)
	v_fmac_f64_e32 v[70:71], v[68:69], v[198:199]
	v_add_f64 v[0:1], v[0:1], v[70:71]
	ds_read_b128 v[70:73], v232 offset:1760
	ds_read_b128 v[74:77], v232 offset:1776
	;; [unrolled: 1-line block ×3, first 2 shown]
	v_mul_f64 v[88:89], v[88:89], v[94:95]
	v_fma_f64 v[236:237], v[86:87], v[250:251], -v[88:89]
	ds_read_b128 v[86:89], v232 offset:1824
	s_waitcnt lgkmcnt(3)
	v_mul_f64 v[84:85], v[70:71], v[170:171]
	v_fmac_f64_e32 v[84:85], v[72:73], v[174:175]
	s_waitcnt vmcnt(34) lgkmcnt(2)
	v_mul_f64 v[82:83], v[74:75], v[200:201]
	v_add_f64 v[0:1], v[0:1], v[84:85]
	s_waitcnt vmcnt(32)
	v_fmac_f64_e32 v[82:83], v[76:77], v[202:203]
	v_add_f64 v[0:1], v[0:1], v[82:83]
	s_waitcnt lgkmcnt(1)
	v_mul_f64 v[82:83], v[78:79], v[178:179]
	v_fmac_f64_e32 v[82:83], v[80:81], v[182:183]
	v_add_f64 v[0:1], v[0:1], v[82:83]
	ds_read_b128 v[82:85], v232 offset:1808
	v_mul_f64 v[92:93], v[92:93], v[116:117]
	v_fma_f64 v[238:239], v[90:91], v[248:249], -v[92:93]
	ds_read_b128 v[90:93], v232 offset:1840
	v_fma_f64 v[248:249], v[98:99], v[114:115], -v[100:101]
	s_waitcnt vmcnt(26) lgkmcnt(1)
	v_mul_f64 v[94:95], v[82:83], v[204:205]
	s_waitcnt vmcnt(24)
	v_fmac_f64_e32 v[94:95], v[84:85], v[206:207]
	v_add_f64 v[0:1], v[0:1], v[94:95]
	v_mul_f64 v[94:95], v[86:87], v[186:187]
	v_fmac_f64_e32 v[94:95], v[88:89], v[190:191]
	v_add_f64 v[0:1], v[0:1], v[94:95]
	ds_read_b128 v[94:97], v232 offset:1856
	ds_read_b128 v[98:101], v232 offset:1872
	v_mul_f64 v[104:105], v[104:105], v[244:245]
	v_mul_f64 v[112:113], v[112:113], v[240:241]
	v_fma_f64 v[250:251], v[102:103], v[246:247], -v[104:105]
	v_fma_f64 v[252:253], v[110:111], v[242:243], -v[112:113]
	ds_read_b128 v[110:113], v232 offset:1920
	v_mul_f64 v[4:5], v[4:5], v[118:119]
	v_fma_f64 v[2:3], v[2:3], v[124:125], -v[4:5]
	ds_read_b128 v[102:105], v232 offset:1904
	s_waitcnt vmcnt(21) lgkmcnt(4)
	v_mul_f64 v[106:107], v[90:91], v[210:211]
	s_waitcnt vmcnt(19)
	v_fmac_f64_e32 v[106:107], v[92:93], v[216:217]
	v_add_f64 v[0:1], v[0:1], v[106:107]
	s_waitcnt vmcnt(18) lgkmcnt(3)
	v_mul_f64 v[106:107], v[94:95], v[208:209]
	s_waitcnt vmcnt(16)
	v_fmac_f64_e32 v[106:107], v[96:97], v[214:215]
	v_add_f64 v[0:1], v[0:1], v[106:107]
	ds_read_b128 v[106:109], v232 offset:1888
	buffer_load_dword v243, off, s[0:3], 0 offset:988
	buffer_load_dword v242, off, s[0:3], 0 offset:984
	;; [unrolled: 1-line block ×4, first 2 shown]
	s_waitcnt vmcnt(18) lgkmcnt(3)
	v_mul_f64 v[114:115], v[98:99], v[212:213]
	s_waitcnt vmcnt(16)
	v_fmac_f64_e32 v[114:115], v[100:101], v[218:219]
	v_add_f64 v[0:1], v[0:1], v[114:115]
	s_waitcnt vmcnt(14) lgkmcnt(0)
	v_mul_f64 v[114:115], v[106:107], v[222:223]
	s_waitcnt vmcnt(12)
	v_fmac_f64_e32 v[114:115], v[108:109], v[224:225]
	v_add_f64 v[0:1], v[0:1], v[114:115]
	s_waitcnt vmcnt(9)
	v_mul_f64 v[114:115], v[102:103], v[228:229]
	s_waitcnt vmcnt(7)
	v_fmac_f64_e32 v[114:115], v[104:105], v[230:231]
	v_add_f64 v[0:1], v[0:1], v[114:115]
	s_waitcnt vmcnt(5)
	v_mul_f64 v[114:115], v[110:111], v[220:221]
	s_waitcnt vmcnt(4)
	v_fmac_f64_e32 v[114:115], v[112:113], v[226:227]
	v_add_f64 v[0:1], v[0:1], v[114:115]
	ds_read_b128 v[114:117], v232 offset:1936
	s_waitcnt vmcnt(2) lgkmcnt(0)
	v_mul_f64 v[232:233], v[114:115], v[242:243]
	s_waitcnt vmcnt(0)
	v_fmac_f64_e32 v[232:233], v[116:117], v[244:245]
	v_add_f64 v[240:241], v[0:1], v[232:233]
	v_add_f64 v[0:1], v[150:151], 0
	;; [unrolled: 1-line block ×6, first 2 shown]
	buffer_load_dword v248, off, s[0:3], 0 offset:400
	buffer_load_dword v249, off, s[0:3], 0 offset:404
	;; [unrolled: 1-line block ×4, first 2 shown]
	v_add_f64 v[0:1], v[254:255], v[250:251]
	v_add_f64 v[0:1], v[0:1], v[252:253]
	;; [unrolled: 1-line block ×3, first 2 shown]
	v_mul_f64 v[2:3], v[8:9], v[120:121]
	v_fma_f64 v[2:3], v[6:7], v[122:123], -v[2:3]
	v_add_f64 v[0:1], v[0:1], v[2:3]
	v_mul_f64 v[2:3], v[12:13], v[130:131]
	v_fma_f64 v[2:3], v[10:11], v[132:133], -v[2:3]
	v_add_f64 v[0:1], v[0:1], v[2:3]
	;; [unrolled: 3-line block ×28, first 2 shown]
	v_accvgpr_read_b32 v233, a182
	s_waitcnt vmcnt(2)
	v_add_f64 v[0:1], v[248:249], -v[0:1]
	v_cmp_lt_u32_e32 vcc, 23, v233
	s_waitcnt vmcnt(0)
	v_add_f64 v[2:3], v[246:247], -v[240:241]
	buffer_store_dword v1, off, s[0:3], 0 offset:404
	buffer_store_dword v0, off, s[0:3], 0 offset:400
	;; [unrolled: 1-line block ×4, first 2 shown]
	s_and_saveexec_b64 s[4:5], vcc
	s_cbranch_execz .LBB124_345
; %bb.344:
	v_accvgpr_read_b32 v0, a159
	buffer_load_dword v2, v0, s[0:3], 0 offen
	buffer_load_dword v3, v0, s[0:3], 0 offen offset:4
	buffer_load_dword v4, v0, s[0:3], 0 offen offset:8
	;; [unrolled: 1-line block ×3, first 2 shown]
	v_mov_b32_e32 v0, 0
	v_accvgpr_read_b32 v1, a183
	buffer_store_dword v0, off, s[0:3], 0 offset:384
	buffer_store_dword v0, off, s[0:3], 0 offset:388
	buffer_store_dword v0, off, s[0:3], 0 offset:392
	buffer_store_dword v0, off, s[0:3], 0 offset:396
	s_waitcnt vmcnt(4)
	ds_write_b128 v1, v[2:5]
.LBB124_345:
	s_or_b64 exec, exec, s[4:5]
	s_waitcnt lgkmcnt(0)
	; wave barrier
	s_waitcnt lgkmcnt(0)
	buffer_load_dword v66, off, s[0:3], 0 offset:400
	buffer_load_dword v67, off, s[0:3], 0 offset:404
	;; [unrolled: 1-line block ×55, first 2 shown]
	v_mov_b32_e32 v232, 0
	ds_read_b128 v[74:77], v232 offset:1360
	ds_read_b128 v[86:89], v232 offset:1376
	;; [unrolled: 1-line block ×9, first 2 shown]
	buffer_load_dword v136, off, s[0:3], 0 offset:624
	buffer_load_dword v157, off, s[0:3], 0 offset:620
	;; [unrolled: 1-line block ×61, first 2 shown]
	v_cmp_lt_u32_e32 vcc, 22, v233
	s_waitcnt vmcnt(62) lgkmcnt(8)
	v_mul_f64 v[0:1], v[74:75], v[68:69]
	v_fmac_f64_e32 v[0:1], v[76:77], v[66:67]
	v_add_f64 v[0:1], v[0:1], 0
	v_mul_f64 v[68:69], v[76:77], v[68:69]
	s_waitcnt lgkmcnt(7)
	v_mul_f64 v[6:7], v[86:87], v[72:73]
	v_fmac_f64_e32 v[6:7], v[88:89], v[70:71]
	s_waitcnt lgkmcnt(6)
	v_mul_f64 v[8:9], v[98:99], v[78:79]
	v_add_f64 v[0:1], v[0:1], v[6:7]
	s_waitcnt lgkmcnt(4)
	v_mul_f64 v[12:13], v[114:115], v[90:91]
	v_fma_f64 v[150:151], v[74:75], v[66:67], -v[68:69]
	v_fmac_f64_e32 v[12:13], v[116:117], v[92:93]
	v_mul_f64 v[72:73], v[88:89], v[72:73]
	v_mul_f64 v[10:11], v[110:111], v[82:83]
	v_fma_f64 v[246:247], v[86:87], v[70:71], -v[72:73]
	s_waitcnt lgkmcnt(2)
	v_mul_f64 v[16:17], v[238:239], v[102:103]
	v_mul_f64 v[78:79], v[100:101], v[78:79]
	;; [unrolled: 1-line block ×5, first 2 shown]
	s_waitcnt lgkmcnt(1)
	v_mul_f64 v[18:19], v[242:243], v[106:107]
	v_fmac_f64_e32 v[18:19], v[244:245], v[108:109]
	v_fmac_f64_e32 v[8:9], v[100:101], v[80:81]
	v_add_f64 v[0:1], v[0:1], v[8:9]
	v_fmac_f64_e32 v[10:11], v[112:113], v[84:85]
	v_add_f64 v[0:1], v[0:1], v[10:11]
	;; [unrolled: 2-line block ×3, first 2 shown]
	ds_read_b128 v[6:9], v232 offset:1504
	v_fmac_f64_e32 v[16:17], v[240:241], v[104:105]
	v_add_f64 v[0:1], v[0:1], v[14:15]
	v_add_f64 v[0:1], v[0:1], v[16:17]
	s_waitcnt lgkmcnt(1)
	v_mul_f64 v[10:11], v[2:3], v[118:119]
	v_add_f64 v[0:1], v[0:1], v[18:19]
	v_fmac_f64_e32 v[10:11], v[4:5], v[120:121]
	v_add_f64 v[0:1], v[0:1], v[10:11]
	ds_read_b128 v[10:13], v232 offset:1520
	s_waitcnt lgkmcnt(1)
	v_mul_f64 v[14:15], v[6:7], v[126:127]
	v_fmac_f64_e32 v[14:15], v[8:9], v[128:129]
	v_add_f64 v[0:1], v[0:1], v[14:15]
	ds_read_b128 v[14:17], v232 offset:1536
	s_waitcnt lgkmcnt(1)
	v_mul_f64 v[18:19], v[10:11], v[122:123]
	;; [unrolled: 5-line block ×4, first 2 shown]
	v_fmac_f64_e32 v[26:27], v[20:21], v[132:133]
	v_add_f64 v[0:1], v[0:1], v[26:27]
	ds_read_b128 v[26:29], v232 offset:1584
	s_waitcnt vmcnt(58) lgkmcnt(1)
	v_mul_f64 v[30:31], v[22:23], v[156:157]
	s_waitcnt vmcnt(56)
	v_fmac_f64_e32 v[30:31], v[24:25], v[160:161]
	v_add_f64 v[0:1], v[0:1], v[30:31]
	ds_read_b128 v[30:33], v232 offset:1600
	s_waitcnt lgkmcnt(1)
	v_mul_f64 v[34:35], v[26:27], v[134:135]
	v_fmac_f64_e32 v[34:35], v[28:29], v[136:137]
	v_add_f64 v[0:1], v[0:1], v[34:35]
	ds_read_b128 v[34:37], v232 offset:1616
	s_waitcnt vmcnt(50) lgkmcnt(1)
	v_mul_f64 v[38:39], v[30:31], v[164:165]
	s_waitcnt vmcnt(48)
	v_fmac_f64_e32 v[38:39], v[32:33], v[168:169]
	v_add_f64 v[0:1], v[0:1], v[38:39]
	ds_read_b128 v[38:41], v232 offset:1632
	s_waitcnt lgkmcnt(1)
	v_mul_f64 v[42:43], v[34:35], v[142:143]
	v_fmac_f64_e32 v[42:43], v[36:37], v[144:145]
	v_add_f64 v[0:1], v[0:1], v[42:43]
	ds_read_b128 v[42:45], v232 offset:1648
	s_waitcnt vmcnt(42) lgkmcnt(1)
	v_mul_f64 v[46:47], v[38:39], v[172:173]
	s_waitcnt vmcnt(40)
	v_fmac_f64_e32 v[46:47], v[40:41], v[176:177]
	v_add_f64 v[0:1], v[0:1], v[46:47]
	ds_read_b128 v[46:49], v232 offset:1664
	buffer_load_dword v205, off, s[0:3], 0 offset:876
	buffer_load_dword v204, off, s[0:3], 0 offset:872
	;; [unrolled: 1-line block ×4, first 2 shown]
	s_waitcnt lgkmcnt(1)
	v_mul_f64 v[50:51], v[42:43], v[146:147]
	v_fmac_f64_e32 v[50:51], v[44:45], v[148:149]
	v_add_f64 v[0:1], v[0:1], v[50:51]
	ds_read_b128 v[50:53], v232 offset:1680
	buffer_load_dword v209, off, s[0:3], 0 offset:892
	buffer_load_dword v208, off, s[0:3], 0 offset:888
	;; [unrolled: 1-line block ×8, first 2 shown]
	s_waitcnt vmcnt(46) lgkmcnt(1)
	v_mul_f64 v[54:55], v[46:47], v[180:181]
	s_waitcnt vmcnt(44)
	v_fmac_f64_e32 v[54:55], v[48:49], v[184:185]
	v_add_f64 v[0:1], v[0:1], v[54:55]
	ds_read_b128 v[54:57], v232 offset:1696
	buffer_load_dword v219, off, s[0:3], 0 offset:924
	buffer_load_dword v218, off, s[0:3], 0 offset:920
	;; [unrolled: 1-line block ×12, first 2 shown]
	s_waitcnt lgkmcnt(1)
	v_mul_f64 v[58:59], v[50:51], v[152:153]
	v_fmac_f64_e32 v[58:59], v[52:53], v[154:155]
	v_add_f64 v[0:1], v[0:1], v[58:59]
	ds_read_b128 v[58:61], v232 offset:1712
	s_waitcnt vmcnt(50) lgkmcnt(1)
	v_mul_f64 v[62:63], v[54:55], v[188:189]
	s_waitcnt vmcnt(48)
	v_fmac_f64_e32 v[62:63], v[56:57], v[190:191]
	v_add_f64 v[0:1], v[0:1], v[62:63]
	buffer_load_dword v229, off, s[0:3], 0 offset:972
	buffer_load_dword v228, off, s[0:3], 0 offset:968
	buffer_load_dword v231, off, s[0:3], 0 offset:964
	buffer_load_dword v230, off, s[0:3], 0 offset:960
	s_waitcnt lgkmcnt(0)
	v_mul_f64 v[62:63], v[58:59], v[158:159]
	v_fmac_f64_e32 v[62:63], v[60:61], v[162:163]
	v_add_f64 v[0:1], v[0:1], v[62:63]
	ds_read_b128 v[62:65], v232 offset:1728
	ds_read_b128 v[66:69], v232 offset:1744
	;; [unrolled: 1-line block ×3, first 2 shown]
	v_fma_f64 v[248:249], v[98:99], v[80:81], -v[78:79]
	ds_read_b128 v[78:81], v232 offset:1792
	s_waitcnt vmcnt(46) lgkmcnt(3)
	v_mul_f64 v[74:75], v[62:63], v[192:193]
	s_waitcnt vmcnt(44)
	v_fmac_f64_e32 v[74:75], v[64:65], v[194:195]
	v_add_f64 v[0:1], v[0:1], v[74:75]
	s_waitcnt lgkmcnt(2)
	v_mul_f64 v[74:75], v[66:67], v[166:167]
	v_fmac_f64_e32 v[74:75], v[68:69], v[170:171]
	v_add_f64 v[0:1], v[0:1], v[74:75]
	ds_read_b128 v[74:77], v232 offset:1776
	s_waitcnt vmcnt(38) lgkmcnt(2)
	v_mul_f64 v[86:87], v[70:71], v[196:197]
	s_waitcnt vmcnt(36)
	v_fmac_f64_e32 v[86:87], v[72:73], v[198:199]
	v_fma_f64 v[252:253], v[110:111], v[84:85], -v[82:83]
	ds_read_b128 v[82:85], v232 offset:1808
	v_add_f64 v[0:1], v[0:1], v[86:87]
	s_waitcnt lgkmcnt(1)
	v_mul_f64 v[86:87], v[74:75], v[174:175]
	v_fmac_f64_e32 v[86:87], v[76:77], v[178:179]
	v_add_f64 v[0:1], v[0:1], v[86:87]
	s_waitcnt vmcnt(30)
	v_mul_f64 v[86:87], v[78:79], v[200:201]
	s_waitcnt vmcnt(28)
	v_fmac_f64_e32 v[86:87], v[80:81], v[202:203]
	v_add_f64 v[0:1], v[0:1], v[86:87]
	s_waitcnt lgkmcnt(0)
	v_mul_f64 v[86:87], v[82:83], v[182:183]
	v_fmac_f64_e32 v[86:87], v[84:85], v[186:187]
	v_add_f64 v[0:1], v[0:1], v[86:87]
	ds_read_b128 v[86:89], v232 offset:1824
	v_fma_f64 v[254:255], v[114:115], v[92:93], -v[90:91]
	ds_read_b128 v[90:93], v232 offset:1840
	v_mul_f64 v[94:95], v[236:237], v[94:95]
	v_fma_f64 v[234:235], v[234:235], v[96:97], -v[94:95]
	ds_read_b128 v[94:97], v232 offset:1856
	v_mul_f64 v[102:103], v[240:241], v[102:103]
	;; [unrolled: 3-line block ×3, first 2 shown]
	v_fma_f64 v[250:251], v[242:243], v[108:109], -v[106:107]
	v_mul_f64 v[4:5], v[4:5], v[118:119]
	v_fma_f64 v[2:3], v[2:3], v[120:121], -v[4:5]
	ds_read_b128 v[106:109], v232 offset:1904
	s_waitcnt vmcnt(26) lgkmcnt(4)
	v_mul_f64 v[98:99], v[86:87], v[204:205]
	s_waitcnt vmcnt(24)
	v_fmac_f64_e32 v[98:99], v[88:89], v[206:207]
	v_add_f64 v[0:1], v[0:1], v[98:99]
	s_waitcnt vmcnt(22) lgkmcnt(3)
	v_mul_f64 v[98:99], v[90:91], v[208:209]
	s_waitcnt vmcnt(20)
	v_fmac_f64_e32 v[98:99], v[92:93], v[212:213]
	v_add_f64 v[0:1], v[0:1], v[98:99]
	;; [unrolled: 5-line block ×3, first 2 shown]
	ds_read_b128 v[98:101], v232 offset:1872
	s_waitcnt vmcnt(14) lgkmcnt(0)
	v_mul_f64 v[110:111], v[98:99], v[218:219]
	s_waitcnt vmcnt(12)
	v_fmac_f64_e32 v[110:111], v[100:101], v[220:221]
	v_add_f64 v[0:1], v[0:1], v[110:111]
	s_waitcnt vmcnt(9)
	v_mul_f64 v[110:111], v[102:103], v[224:225]
	s_waitcnt vmcnt(7)
	v_fmac_f64_e32 v[110:111], v[104:105], v[226:227]
	v_add_f64 v[0:1], v[0:1], v[110:111]
	s_waitcnt vmcnt(5)
	v_mul_f64 v[110:111], v[106:107], v[216:217]
	s_waitcnt vmcnt(4)
	v_fmac_f64_e32 v[110:111], v[108:109], v[222:223]
	v_add_f64 v[0:1], v[0:1], v[110:111]
	ds_read_b128 v[110:113], v232 offset:1920
	buffer_load_dword v242, off, s[0:3], 0 offset:984
	buffer_load_dword v243, off, s[0:3], 0 offset:988
	;; [unrolled: 1-line block ×4, first 2 shown]
	s_waitcnt vmcnt(6) lgkmcnt(0)
	v_mul_f64 v[114:115], v[110:111], v[228:229]
	s_waitcnt vmcnt(4)
	v_fmac_f64_e32 v[114:115], v[112:113], v[230:231]
	v_add_f64 v[0:1], v[0:1], v[114:115]
	ds_read_b128 v[114:117], v232 offset:1936
	s_waitcnt vmcnt(2) lgkmcnt(0)
	v_mul_f64 v[238:239], v[114:115], v[242:243]
	s_waitcnt vmcnt(0)
	v_fmac_f64_e32 v[238:239], v[116:117], v[244:245]
	v_add_f64 v[240:241], v[0:1], v[238:239]
	v_add_f64 v[0:1], v[150:151], 0
	;; [unrolled: 1-line block ×4, first 2 shown]
	buffer_load_dword v248, off, s[0:3], 0 offset:384
	buffer_load_dword v249, off, s[0:3], 0 offset:388
	;; [unrolled: 1-line block ×4, first 2 shown]
	v_add_f64 v[0:1], v[0:1], v[252:253]
	v_add_f64 v[0:1], v[0:1], v[254:255]
	;; [unrolled: 1-line block ×6, first 2 shown]
	v_mul_f64 v[2:3], v[8:9], v[126:127]
	v_fma_f64 v[2:3], v[6:7], v[128:129], -v[2:3]
	v_add_f64 v[0:1], v[0:1], v[2:3]
	v_mul_f64 v[2:3], v[12:13], v[122:123]
	v_fma_f64 v[2:3], v[10:11], v[124:125], -v[2:3]
	v_add_f64 v[0:1], v[0:1], v[2:3]
	;; [unrolled: 3-line block ×28, first 2 shown]
	s_waitcnt vmcnt(2)
	v_add_f64 v[0:1], v[248:249], -v[0:1]
	s_waitcnt vmcnt(0)
	v_add_f64 v[2:3], v[246:247], -v[240:241]
	buffer_store_dword v1, off, s[0:3], 0 offset:388
	buffer_store_dword v0, off, s[0:3], 0 offset:384
	buffer_store_dword v3, off, s[0:3], 0 offset:396
	buffer_store_dword v2, off, s[0:3], 0 offset:392
	s_and_saveexec_b64 s[4:5], vcc
	s_cbranch_execz .LBB124_347
; %bb.346:
	v_accvgpr_read_b32 v0, a160
	buffer_load_dword v2, v0, s[0:3], 0 offen
	buffer_load_dword v3, v0, s[0:3], 0 offen offset:4
	buffer_load_dword v4, v0, s[0:3], 0 offen offset:8
	;; [unrolled: 1-line block ×3, first 2 shown]
	v_accvgpr_read_b32 v0, a183
	buffer_store_dword v232, off, s[0:3], 0 offset:368
	buffer_store_dword v232, off, s[0:3], 0 offset:372
	;; [unrolled: 1-line block ×4, first 2 shown]
	s_waitcnt vmcnt(4)
	ds_write_b128 v0, v[2:5]
.LBB124_347:
	s_or_b64 exec, exec, s[4:5]
	s_waitcnt lgkmcnt(0)
	; wave barrier
	s_waitcnt lgkmcnt(0)
	buffer_load_dword v66, off, s[0:3], 0 offset:384
	buffer_load_dword v67, off, s[0:3], 0 offset:388
	;; [unrolled: 1-line block ×42, first 2 shown]
	ds_read_b128 v[78:81], v232 offset:1344
	ds_read_b128 v[90:93], v232 offset:1360
	;; [unrolled: 1-line block ×10, first 2 shown]
	buffer_load_dword v129, off, s[0:3], 0 offset:532
	buffer_load_dword v128, off, s[0:3], 0 offset:528
	ds_read_b128 v[6:9], v232 offset:1504
	buffer_load_dword v125, off, s[0:3], 0 offset:588
	buffer_load_dword v124, off, s[0:3], 0 offset:584
	;; [unrolled: 1-line block ×80, first 2 shown]
	s_waitcnt vmcnt(62) lgkmcnt(9)
	v_mul_f64 v[10:11], v[90:91], v[64:65]
	v_fmac_f64_e32 v[10:11], v[92:93], v[62:63]
	s_waitcnt lgkmcnt(8)
	v_mul_f64 v[12:13], v[102:103], v[70:71]
	v_mul_f64 v[64:65], v[92:93], v[64:65]
	s_waitcnt lgkmcnt(6)
	v_mul_f64 v[16:17], v[114:115], v[82:83]
	v_fma_f64 v[254:255], v[90:91], v[62:63], -v[64:65]
	v_fmac_f64_e32 v[16:17], v[116:117], v[84:85]
	v_mul_f64 v[70:71], v[104:105], v[70:71]
	v_mul_f64 v[14:15], v[110:111], v[74:75]
	v_mul_f64 v[74:75], v[112:113], v[74:75]
	s_waitcnt lgkmcnt(4)
	v_mul_f64 v[20:21], v[238:239], v[94:95]
	v_mul_f64 v[82:83], v[116:117], v[82:83]
	v_fmac_f64_e32 v[20:21], v[240:241], v[96:97]
	v_mul_f64 v[94:95], v[240:241], v[94:95]
	v_mul_f64 v[18:19], v[234:235], v[86:87]
	;; [unrolled: 1-line block ×3, first 2 shown]
	s_waitcnt lgkmcnt(2)
	v_mul_f64 v[24:25], v[246:247], v[106:107]
	v_fma_f64 v[238:239], v[238:239], v[96:97], -v[94:95]
	v_mul_f64 v[106:107], v[248:249], v[106:107]
	v_mul_f64 v[22:23], v[242:243], v[98:99]
	s_waitcnt lgkmcnt(1)
	v_mul_f64 v[26:27], v[118:119], v[4:5]
	v_fmac_f64_e32 v[12:13], v[104:105], v[72:73]
	v_fma_f64 v[250:251], v[102:103], v[72:73], -v[70:71]
	v_fmac_f64_e32 v[14:15], v[112:113], v[76:77]
	v_fma_f64 v[252:253], v[110:111], v[76:77], -v[74:75]
	;; [unrolled: 2-line block ×3, first 2 shown]
	v_fmac_f64_e32 v[22:23], v[244:245], v[100:101]
	v_fmac_f64_e32 v[24:25], v[248:249], v[108:109]
	v_fma_f64 v[234:235], v[246:247], v[108:109], -v[106:107]
	v_pk_mov_b32 v[2:3], v[0:1], v[0:1] op_sel:[0,1]
	v_mul_f64 v[0:1], v[78:79], v[68:69]
	v_fmac_f64_e32 v[0:1], v[80:81], v[66:67]
	v_add_f64 v[0:1], v[0:1], 0
	v_add_f64 v[0:1], v[0:1], v[10:11]
	;; [unrolled: 1-line block ×8, first 2 shown]
	ds_read_b128 v[10:13], v232 offset:1520
	v_add_f64 v[0:1], v[0:1], v[24:25]
	v_fmac_f64_e32 v[26:27], v[120:121], v[128:129]
	s_waitcnt lgkmcnt(1)
	v_mul_f64 v[14:15], v[6:7], v[2:3]
	v_add_f64 v[0:1], v[0:1], v[26:27]
	v_fmac_f64_e32 v[14:15], v[8:9], v[122:123]
	v_add_f64 v[0:1], v[0:1], v[14:15]
	ds_read_b128 v[14:17], v232 offset:1536
	s_waitcnt lgkmcnt(1)
	v_mul_f64 v[18:19], v[10:11], v[130:131]
	v_fmac_f64_e32 v[18:19], v[12:13], v[146:147]
	v_add_f64 v[0:1], v[0:1], v[18:19]
	ds_read_b128 v[18:21], v232 offset:1552
	s_waitcnt lgkmcnt(1)
	v_mul_f64 v[22:23], v[14:15], v[124:125]
	;; [unrolled: 5-line block ×4, first 2 shown]
	v_fmac_f64_e32 v[30:31], v[24:25], v[134:135]
	v_add_f64 v[0:1], v[0:1], v[30:31]
	ds_read_b128 v[30:33], v232 offset:1600
	s_waitcnt vmcnt(58) lgkmcnt(1)
	v_mul_f64 v[34:35], v[26:27], v[160:161]
	s_waitcnt vmcnt(56)
	v_fmac_f64_e32 v[34:35], v[28:29], v[164:165]
	v_add_f64 v[0:1], v[0:1], v[34:35]
	ds_read_b128 v[34:37], v232 offset:1616
	s_waitcnt lgkmcnt(1)
	v_mul_f64 v[38:39], v[30:31], v[136:137]
	v_fmac_f64_e32 v[38:39], v[32:33], v[138:139]
	v_add_f64 v[0:1], v[0:1], v[38:39]
	ds_read_b128 v[38:41], v232 offset:1632
	s_waitcnt vmcnt(50) lgkmcnt(1)
	v_mul_f64 v[42:43], v[34:35], v[168:169]
	s_waitcnt vmcnt(48)
	v_fmac_f64_e32 v[42:43], v[36:37], v[172:173]
	v_add_f64 v[0:1], v[0:1], v[42:43]
	ds_read_b128 v[42:45], v232 offset:1648
	s_waitcnt lgkmcnt(1)
	v_mul_f64 v[46:47], v[38:39], v[140:141]
	v_fmac_f64_e32 v[46:47], v[40:41], v[142:143]
	v_add_f64 v[0:1], v[0:1], v[46:47]
	ds_read_b128 v[46:49], v232 offset:1664
	s_waitcnt vmcnt(42) lgkmcnt(1)
	v_mul_f64 v[50:51], v[42:43], v[176:177]
	s_waitcnt vmcnt(40)
	v_fmac_f64_e32 v[50:51], v[44:45], v[180:181]
	v_add_f64 v[0:1], v[0:1], v[50:51]
	ds_read_b128 v[50:53], v232 offset:1680
	buffer_load_dword v209, off, s[0:3], 0 offset:892
	buffer_load_dword v208, off, s[0:3], 0 offset:888
	buffer_load_dword v211, off, s[0:3], 0 offset:884
	buffer_load_dword v210, off, s[0:3], 0 offset:880
	s_waitcnt lgkmcnt(1)
	v_mul_f64 v[54:55], v[46:47], v[144:145]
	v_fmac_f64_e32 v[54:55], v[48:49], v[148:149]
	v_add_f64 v[0:1], v[0:1], v[54:55]
	ds_read_b128 v[54:57], v232 offset:1696
	buffer_load_dword v214, off, s[0:3], 0 offset:904
	buffer_load_dword v216, off, s[0:3], 0 offset:896
	;; [unrolled: 1-line block ×16, first 2 shown]
	s_waitcnt vmcnt(54) lgkmcnt(1)
	v_mul_f64 v[58:59], v[50:51], v[184:185]
	s_waitcnt vmcnt(52)
	v_fmac_f64_e32 v[58:59], v[52:53], v[188:189]
	v_add_f64 v[0:1], v[0:1], v[58:59]
	ds_read_b128 v[58:61], v232 offset:1712
	buffer_load_dword v228, off, s[0:3], 0 offset:968
	buffer_load_dword v230, off, s[0:3], 0 offset:960
	;; [unrolled: 1-line block ×4, first 2 shown]
	v_mul_f64 v[68:69], v[80:81], v[68:69]
	ds_read_b128 v[62:65], v232 offset:1728
	ds_read_b128 v[70:73], v232 offset:1760
	v_fma_f64 v[150:151], v[78:79], v[66:67], -v[68:69]
	s_waitcnt lgkmcnt(3)
	v_mul_f64 v[66:67], v[54:55], v[154:155]
	v_fmac_f64_e32 v[66:67], v[56:57], v[158:159]
	v_add_f64 v[0:1], v[0:1], v[66:67]
	s_waitcnt vmcnt(50) lgkmcnt(2)
	v_mul_f64 v[66:67], v[58:59], v[192:193]
	s_waitcnt vmcnt(48)
	v_fmac_f64_e32 v[66:67], v[60:61], v[194:195]
	v_add_f64 v[0:1], v[0:1], v[66:67]
	s_waitcnt lgkmcnt(1)
	v_mul_f64 v[66:67], v[62:63], v[162:163]
	v_fmac_f64_e32 v[66:67], v[64:65], v[166:167]
	v_add_f64 v[0:1], v[0:1], v[66:67]
	ds_read_b128 v[66:69], v232 offset:1744
	ds_read_b128 v[74:77], v232 offset:1776
	v_accvgpr_write_b32 a185, v3
	v_accvgpr_write_b32 a184, v2
	v_fma_f64 v[2:3], v[114:115], v[84:85], -v[82:83]
	s_waitcnt vmcnt(42) lgkmcnt(1)
	v_mul_f64 v[78:79], v[66:67], v[196:197]
	s_waitcnt vmcnt(40)
	v_fmac_f64_e32 v[78:79], v[68:69], v[198:199]
	v_add_f64 v[0:1], v[0:1], v[78:79]
	v_mul_f64 v[78:79], v[70:71], v[170:171]
	v_fmac_f64_e32 v[78:79], v[72:73], v[174:175]
	v_add_f64 v[0:1], v[0:1], v[78:79]
	ds_read_b128 v[78:81], v232 offset:1792
	ds_read_b128 v[82:85], v232 offset:1808
	s_waitcnt vmcnt(34) lgkmcnt(2)
	v_mul_f64 v[90:91], v[74:75], v[200:201]
	s_waitcnt vmcnt(32)
	v_fmac_f64_e32 v[90:91], v[76:77], v[202:203]
	ds_read_b128 v[86:89], v232 offset:1824
	ds_read_b128 v[94:97], v232 offset:1856
	v_add_f64 v[0:1], v[0:1], v[90:91]
	s_waitcnt lgkmcnt(3)
	v_mul_f64 v[90:91], v[78:79], v[178:179]
	v_fmac_f64_e32 v[90:91], v[80:81], v[182:183]
	v_add_f64 v[0:1], v[0:1], v[90:91]
	s_waitcnt vmcnt(26) lgkmcnt(2)
	v_mul_f64 v[90:91], v[82:83], v[204:205]
	s_waitcnt vmcnt(24)
	v_fmac_f64_e32 v[90:91], v[84:85], v[206:207]
	v_add_f64 v[0:1], v[0:1], v[90:91]
	s_waitcnt lgkmcnt(1)
	v_mul_f64 v[90:91], v[86:87], v[186:187]
	v_fmac_f64_e32 v[90:91], v[88:89], v[190:191]
	v_add_f64 v[0:1], v[0:1], v[90:91]
	ds_read_b128 v[90:93], v232 offset:1840
	ds_read_b128 v[106:109], v232 offset:1904
	v_add_f64 v[150:151], v[150:151], 0
	v_add_f64 v[150:151], v[150:151], v[254:255]
	;; [unrolled: 1-line block ×7, first 2 shown]
	v_mul_f64 v[2:3], v[120:121], v[4:5]
	v_fma_f64 v[2:3], v[118:119], v[128:129], -v[2:3]
	s_waitcnt vmcnt(22) lgkmcnt(1)
	v_mul_f64 v[102:103], v[90:91], v[208:209]
	s_waitcnt vmcnt(20)
	v_fmac_f64_e32 v[102:103], v[92:93], v[210:211]
	v_add_f64 v[102:103], v[0:1], v[102:103]
	v_mul_f64 v[0:1], v[244:245], v[98:99]
	v_fma_f64 v[0:1], v[242:243], v[100:101], -v[0:1]
	ds_read_b128 v[98:101], v232 offset:1872
	s_waitcnt vmcnt(17)
	v_mul_f64 v[104:105], v[94:95], v[214:215]
	s_waitcnt vmcnt(16)
	v_fmac_f64_e32 v[104:105], v[96:97], v[216:217]
	v_add_f64 v[110:111], v[102:103], v[104:105]
	ds_read_b128 v[102:105], v232 offset:1888
	s_waitcnt vmcnt(13) lgkmcnt(1)
	v_mul_f64 v[112:113], v[98:99], v[218:219]
	s_waitcnt vmcnt(11)
	v_fmac_f64_e32 v[112:113], v[100:101], v[224:225]
	v_add_f64 v[110:111], v[110:111], v[112:113]
	v_add_f64 v[0:1], v[254:255], v[0:1]
	s_waitcnt vmcnt(10) lgkmcnt(0)
	v_mul_f64 v[112:113], v[102:103], v[212:213]
	s_waitcnt vmcnt(8)
	v_fmac_f64_e32 v[112:113], v[104:105], v[222:223]
	v_add_f64 v[110:111], v[110:111], v[112:113]
	s_waitcnt vmcnt(6)
	v_mul_f64 v[112:113], v[106:107], v[220:221]
	s_waitcnt vmcnt(4)
	v_fmac_f64_e32 v[112:113], v[108:109], v[226:227]
	v_add_f64 v[114:115], v[110:111], v[112:113]
	ds_read_b128 v[110:113], v232 offset:1920
	buffer_load_dword v243, off, s[0:3], 0 offset:988
	buffer_load_dword v242, off, s[0:3], 0 offset:984
	;; [unrolled: 1-line block ×4, first 2 shown]
	v_add_f64 v[0:1], v[0:1], v[234:235]
	v_add_f64 v[0:1], v[0:1], v[2:3]
	v_accvgpr_read_b32 v2, a184
	s_waitcnt vmcnt(5) lgkmcnt(0)
	v_mul_f64 v[116:117], v[110:111], v[228:229]
	s_waitcnt vmcnt(4)
	v_fmac_f64_e32 v[116:117], v[112:113], v[230:231]
	v_add_f64 v[240:241], v[114:115], v[116:117]
	ds_read_b128 v[114:117], v232 offset:1936
	buffer_load_dword v248, off, s[0:3], 0 offset:368
	buffer_load_dword v249, off, s[0:3], 0 offset:372
	;; [unrolled: 1-line block ×4, first 2 shown]
	v_accvgpr_read_b32 v3, a185
	v_mul_f64 v[2:3], v[8:9], v[2:3]
	v_fma_f64 v[2:3], v[6:7], v[122:123], -v[2:3]
	v_add_f64 v[0:1], v[0:1], v[2:3]
	v_mul_f64 v[2:3], v[12:13], v[130:131]
	v_fma_f64 v[2:3], v[10:11], v[146:147], -v[2:3]
	v_add_f64 v[0:1], v[0:1], v[2:3]
	;; [unrolled: 3-line block ×26, first 2 shown]
	v_mul_f64 v[2:3], v[112:113], v[228:229]
	v_fma_f64 v[2:3], v[110:111], v[230:231], -v[2:3]
	s_waitcnt vmcnt(6) lgkmcnt(0)
	v_mul_f64 v[232:233], v[114:115], v[242:243]
	v_add_f64 v[0:1], v[0:1], v[2:3]
	v_mul_f64 v[2:3], v[116:117], v[242:243]
	s_waitcnt vmcnt(4)
	v_fmac_f64_e32 v[232:233], v[116:117], v[244:245]
	v_fma_f64 v[2:3], v[114:115], v[244:245], -v[2:3]
	v_add_f64 v[240:241], v[240:241], v[232:233]
	v_add_f64 v[0:1], v[0:1], v[2:3]
	v_accvgpr_read_b32 v233, a182
	s_waitcnt vmcnt(2)
	v_add_f64 v[0:1], v[248:249], -v[0:1]
	v_cmp_lt_u32_e32 vcc, 21, v233
	s_waitcnt vmcnt(0)
	v_add_f64 v[2:3], v[246:247], -v[240:241]
	buffer_store_dword v1, off, s[0:3], 0 offset:372
	buffer_store_dword v0, off, s[0:3], 0 offset:368
	buffer_store_dword v3, off, s[0:3], 0 offset:380
	buffer_store_dword v2, off, s[0:3], 0 offset:376
	s_and_saveexec_b64 s[4:5], vcc
	s_cbranch_execz .LBB124_349
; %bb.348:
	v_accvgpr_read_b32 v0, a161
	buffer_load_dword v2, v0, s[0:3], 0 offen
	buffer_load_dword v3, v0, s[0:3], 0 offen offset:4
	buffer_load_dword v4, v0, s[0:3], 0 offen offset:8
	;; [unrolled: 1-line block ×3, first 2 shown]
	v_mov_b32_e32 v0, 0
	v_accvgpr_read_b32 v1, a183
	buffer_store_dword v0, off, s[0:3], 0 offset:352
	buffer_store_dword v0, off, s[0:3], 0 offset:356
	;; [unrolled: 1-line block ×4, first 2 shown]
	s_waitcnt vmcnt(4)
	ds_write_b128 v1, v[2:5]
.LBB124_349:
	s_or_b64 exec, exec, s[4:5]
	s_waitcnt lgkmcnt(0)
	; wave barrier
	s_waitcnt lgkmcnt(0)
	buffer_load_dword v54, off, s[0:3], 0 offset:368
	buffer_load_dword v55, off, s[0:3], 0 offset:372
	;; [unrolled: 1-line block ×49, first 2 shown]
	v_mov_b32_e32 v232, 0
	ds_read_b128 v[62:65], v232 offset:1328
	ds_read_b128 v[74:77], v232 offset:1344
	;; [unrolled: 1-line block ×11, first 2 shown]
	buffer_load_dword v126, off, s[0:3], 0 offset:552
	buffer_load_dword v143, off, s[0:3], 0 offset:548
	;; [unrolled: 1-line block ×75, first 2 shown]
	v_cmp_lt_u32_e32 vcc, 20, v233
	s_waitcnt vmcnt(62) lgkmcnt(9)
	v_mul_f64 v[6:7], v[74:75], v[60:61]
	v_fmac_f64_e32 v[6:7], v[76:77], v[58:59]
	s_waitcnt lgkmcnt(8)
	v_mul_f64 v[8:9], v[86:87], v[66:67]
	v_mul_f64 v[60:61], v[76:77], v[60:61]
	s_waitcnt lgkmcnt(6)
	v_mul_f64 v[12:13], v[110:111], v[78:79]
	v_fma_f64 v[246:247], v[74:75], v[58:59], -v[60:61]
	v_fmac_f64_e32 v[12:13], v[112:113], v[80:81]
	v_mul_f64 v[66:67], v[88:89], v[66:67]
	v_mul_f64 v[10:11], v[98:99], v[70:71]
	;; [unrolled: 1-line block ×3, first 2 shown]
	s_waitcnt lgkmcnt(4)
	v_mul_f64 v[16:17], v[228:229], v[90:91]
	v_mul_f64 v[78:79], v[112:113], v[78:79]
	v_fmac_f64_e32 v[16:17], v[230:231], v[92:93]
	v_fma_f64 v[254:255], v[110:111], v[80:81], -v[78:79]
	v_mul_f64 v[14:15], v[114:115], v[82:83]
	v_mul_f64 v[82:83], v[116:117], v[82:83]
	s_waitcnt lgkmcnt(2)
	v_mul_f64 v[20:21], v[238:239], v[102:103]
	v_mul_f64 v[90:91], v[230:231], v[90:91]
	;; [unrolled: 1-line block ×5, first 2 shown]
	s_waitcnt lgkmcnt(1)
	v_mul_f64 v[22:23], v[242:243], v[106:107]
	v_fmac_f64_e32 v[8:9], v[88:89], v[68:69]
	v_fma_f64 v[248:249], v[86:87], v[68:69], -v[66:67]
	v_fmac_f64_e32 v[10:11], v[100:101], v[72:73]
	v_fma_f64 v[252:253], v[98:99], v[72:73], -v[70:71]
	;; [unrolled: 2-line block ×3, first 2 shown]
	v_fmac_f64_e32 v[18:19], v[236:237], v[96:97]
	v_fmac_f64_e32 v[20:21], v[240:241], v[104:105]
	;; [unrolled: 1-line block ×3, first 2 shown]
	v_fma_f64 v[234:235], v[234:235], v[96:97], -v[94:95]
	v_pk_mov_b32 v[2:3], v[0:1], v[0:1] op_sel:[0,1]
	v_mul_f64 v[0:1], v[62:63], v[56:57]
	v_fmac_f64_e32 v[0:1], v[64:65], v[54:55]
	v_add_f64 v[0:1], v[0:1], 0
	v_add_f64 v[0:1], v[0:1], v[6:7]
	;; [unrolled: 1-line block ×9, first 2 shown]
	ds_read_b128 v[6:9], v232 offset:1504
	s_waitcnt lgkmcnt(1)
	v_mul_f64 v[10:11], v[118:119], v[4:5]
	v_add_f64 v[0:1], v[0:1], v[22:23]
	v_fmac_f64_e32 v[10:11], v[120:121], v[2:3]
	v_add_f64 v[0:1], v[0:1], v[10:11]
	ds_read_b128 v[10:13], v232 offset:1520
	s_waitcnt lgkmcnt(1)
	v_mul_f64 v[14:15], v[6:7], v[126:127]
	v_fmac_f64_e32 v[14:15], v[8:9], v[142:143]
	v_add_f64 v[0:1], v[0:1], v[14:15]
	ds_read_b128 v[14:17], v232 offset:1536
	s_waitcnt lgkmcnt(1)
	v_mul_f64 v[18:19], v[10:11], v[122:123]
	;; [unrolled: 5-line block ×4, first 2 shown]
	v_fmac_f64_e32 v[26:27], v[20:21], v[130:131]
	v_add_f64 v[0:1], v[0:1], v[26:27]
	ds_read_b128 v[26:29], v232 offset:1584
	s_waitcnt vmcnt(58) lgkmcnt(1)
	v_mul_f64 v[30:31], v[22:23], v[156:157]
	s_waitcnt vmcnt(56)
	v_fmac_f64_e32 v[30:31], v[24:25], v[160:161]
	v_add_f64 v[0:1], v[0:1], v[30:31]
	ds_read_b128 v[30:33], v232 offset:1600
	s_waitcnt lgkmcnt(1)
	v_mul_f64 v[34:35], v[26:27], v[132:133]
	v_fmac_f64_e32 v[34:35], v[28:29], v[134:135]
	v_add_f64 v[0:1], v[0:1], v[34:35]
	ds_read_b128 v[34:37], v232 offset:1616
	s_waitcnt vmcnt(50) lgkmcnt(1)
	v_mul_f64 v[38:39], v[30:31], v[164:165]
	s_waitcnt vmcnt(48)
	v_fmac_f64_e32 v[38:39], v[32:33], v[168:169]
	v_add_f64 v[0:1], v[0:1], v[38:39]
	ds_read_b128 v[38:41], v232 offset:1632
	s_waitcnt lgkmcnt(1)
	v_mul_f64 v[42:43], v[34:35], v[136:137]
	;; [unrolled: 11-line block ×3, first 2 shown]
	buffer_load_dword v205, off, s[0:3], 0 offset:876
	buffer_load_dword v204, off, s[0:3], 0 offset:872
	;; [unrolled: 1-line block ×4, first 2 shown]
	v_fmac_f64_e32 v[50:51], v[44:45], v[144:145]
	v_add_f64 v[0:1], v[0:1], v[50:51]
	ds_read_b128 v[50:53], v232 offset:1680
	buffer_load_dword v208, off, s[0:3], 0 offset:888
	buffer_load_dword v210, off, s[0:3], 0 offset:880
	buffer_load_dword v209, off, s[0:3], 0 offset:892
	buffer_load_dword v211, off, s[0:3], 0 offset:884
	buffer_load_dword v215, off, s[0:3], 0 offset:908
	buffer_load_dword v214, off, s[0:3], 0 offset:904
	buffer_load_dword v219, off, s[0:3], 0 offset:900
	buffer_load_dword v218, off, s[0:3], 0 offset:896
	buffer_load_dword v217, off, s[0:3], 0 offset:924
	buffer_load_dword v216, off, s[0:3], 0 offset:920
	buffer_load_dword v221, off, s[0:3], 0 offset:916
	buffer_load_dword v220, off, s[0:3], 0 offset:912
	s_waitcnt vmcnt(50) lgkmcnt(1)
	v_mul_f64 v[150:151], v[46:47], v[180:181]
	s_waitcnt vmcnt(48)
	v_fmac_f64_e32 v[150:151], v[48:49], v[184:185]
	v_mul_f64 v[56:57], v[64:65], v[56:57]
	v_add_f64 v[0:1], v[0:1], v[150:151]
	buffer_load_dword v212, off, s[0:3], 0 offset:952
	buffer_load_dword v225, off, s[0:3], 0 offset:940
	;; [unrolled: 1-line block ×8, first 2 shown]
	v_fma_f64 v[150:151], v[62:63], v[54:55], -v[56:57]
	ds_read_b128 v[54:57], v232 offset:1696
	ds_read_b128 v[58:61], v232 offset:1712
	s_waitcnt lgkmcnt(2)
	v_mul_f64 v[62:63], v[50:51], v[148:149]
	v_fmac_f64_e32 v[62:63], v[52:53], v[154:155]
	v_add_f64 v[0:1], v[0:1], v[62:63]
	s_waitcnt vmcnt(50) lgkmcnt(1)
	v_mul_f64 v[62:63], v[54:55], v[188:189]
	s_waitcnt vmcnt(48)
	v_fmac_f64_e32 v[62:63], v[56:57], v[190:191]
	v_add_f64 v[0:1], v[0:1], v[62:63]
	s_waitcnt lgkmcnt(0)
	v_mul_f64 v[62:63], v[58:59], v[158:159]
	v_fmac_f64_e32 v[62:63], v[60:61], v[162:163]
	v_add_f64 v[0:1], v[0:1], v[62:63]
	ds_read_b128 v[62:65], v232 offset:1728
	ds_read_b128 v[66:69], v232 offset:1744
	;; [unrolled: 1-line block ×5, first 2 shown]
	s_waitcnt vmcnt(42) lgkmcnt(4)
	v_mul_f64 v[74:75], v[62:63], v[192:193]
	s_waitcnt vmcnt(40)
	v_fmac_f64_e32 v[74:75], v[64:65], v[194:195]
	v_add_f64 v[0:1], v[0:1], v[74:75]
	s_waitcnt lgkmcnt(3)
	v_mul_f64 v[74:75], v[66:67], v[166:167]
	v_fmac_f64_e32 v[74:75], v[68:69], v[170:171]
	v_add_f64 v[0:1], v[0:1], v[74:75]
	ds_read_b128 v[74:77], v232 offset:1776
	s_waitcnt vmcnt(34) lgkmcnt(3)
	v_mul_f64 v[86:87], v[70:71], v[196:197]
	s_waitcnt vmcnt(32)
	v_fmac_f64_e32 v[86:87], v[72:73], v[198:199]
	v_add_f64 v[0:1], v[0:1], v[86:87]
	v_accvgpr_write_b32 a185, v3
	s_waitcnt lgkmcnt(0)
	v_mul_f64 v[86:87], v[74:75], v[174:175]
	v_fmac_f64_e32 v[86:87], v[76:77], v[178:179]
	v_add_f64 v[0:1], v[0:1], v[86:87]
	s_waitcnt vmcnt(26)
	v_mul_f64 v[86:87], v[78:79], v[200:201]
	s_waitcnt vmcnt(24)
	v_fmac_f64_e32 v[86:87], v[80:81], v[202:203]
	v_add_f64 v[0:1], v[0:1], v[86:87]
	v_mul_f64 v[86:87], v[82:83], v[182:183]
	v_fmac_f64_e32 v[86:87], v[84:85], v[186:187]
	v_add_f64 v[0:1], v[0:1], v[86:87]
	ds_read_b128 v[86:89], v232 offset:1824
	v_accvgpr_write_b32 a184, v2
	v_fma_f64 v[2:3], v[228:229], v[92:93], -v[90:91]
	ds_read_b128 v[90:93], v232 offset:1840
	ds_read_b128 v[94:97], v232 offset:1856
	v_fma_f64 v[236:237], v[238:239], v[104:105], -v[102:103]
	ds_read_b128 v[102:105], v232 offset:1888
	v_add_f64 v[150:151], v[150:151], 0
	v_add_f64 v[150:151], v[150:151], v[246:247]
	;; [unrolled: 1-line block ×9, first 2 shown]
	v_mul_f64 v[2:3], v[120:121], v[4:5]
	v_accvgpr_read_b32 v4, a184
	v_accvgpr_read_b32 v5, a185
	v_fma_f64 v[2:3], v[118:119], v[4:5], -v[2:3]
	s_waitcnt vmcnt(22) lgkmcnt(3)
	v_mul_f64 v[98:99], v[86:87], v[204:205]
	s_waitcnt vmcnt(20)
	v_fmac_f64_e32 v[98:99], v[88:89], v[206:207]
	v_add_f64 v[0:1], v[0:1], v[98:99]
	s_waitcnt vmcnt(17) lgkmcnt(2)
	v_mul_f64 v[98:99], v[90:91], v[208:209]
	s_waitcnt vmcnt(16)
	v_fmac_f64_e32 v[98:99], v[92:93], v[210:211]
	v_add_f64 v[0:1], v[0:1], v[98:99]
	ds_read_b128 v[98:101], v232 offset:1872
	s_waitcnt vmcnt(14) lgkmcnt(2)
	v_mul_f64 v[110:111], v[94:95], v[214:215]
	s_waitcnt vmcnt(12)
	v_fmac_f64_e32 v[110:111], v[96:97], v[218:219]
	v_add_f64 v[110:111], v[0:1], v[110:111]
	v_mul_f64 v[0:1], v[244:245], v[106:107]
	v_fma_f64 v[0:1], v[242:243], v[108:109], -v[0:1]
	ds_read_b128 v[106:109], v232 offset:1904
	buffer_load_dword v229, off, s[0:3], 0 offset:972
	buffer_load_dword v228, off, s[0:3], 0 offset:968
	;; [unrolled: 1-line block ×4, first 2 shown]
	s_waitcnt vmcnt(14) lgkmcnt(1)
	v_mul_f64 v[112:113], v[98:99], v[216:217]
	s_waitcnt vmcnt(12)
	v_fmac_f64_e32 v[112:113], v[100:101], v[220:221]
	v_add_f64 v[110:111], v[110:111], v[112:113]
	s_waitcnt vmcnt(9)
	v_mul_f64 v[112:113], v[102:103], v[224:225]
	s_waitcnt vmcnt(7)
	v_fmac_f64_e32 v[112:113], v[104:105], v[226:227]
	v_add_f64 v[110:111], v[110:111], v[112:113]
	s_waitcnt vmcnt(5) lgkmcnt(0)
	v_mul_f64 v[112:113], v[106:107], v[212:213]
	s_waitcnt vmcnt(4)
	v_fmac_f64_e32 v[112:113], v[108:109], v[222:223]
	v_add_f64 v[114:115], v[110:111], v[112:113]
	ds_read_b128 v[110:113], v232 offset:1920
	buffer_load_dword v242, off, s[0:3], 0 offset:984
	buffer_load_dword v243, off, s[0:3], 0 offset:988
	;; [unrolled: 1-line block ×4, first 2 shown]
	v_add_f64 v[0:1], v[252:253], v[0:1]
	v_add_f64 v[0:1], v[0:1], v[2:3]
	v_mul_f64 v[2:3], v[8:9], v[126:127]
	v_fma_f64 v[2:3], v[6:7], v[142:143], -v[2:3]
	v_add_f64 v[0:1], v[0:1], v[2:3]
	v_mul_f64 v[2:3], v[12:13], v[122:123]
	v_fma_f64 v[2:3], v[10:11], v[124:125], -v[2:3]
	;; [unrolled: 3-line block ×21, first 2 shown]
	v_add_f64 v[0:1], v[0:1], v[2:3]
	v_mul_f64 v[2:3], v[92:93], v[208:209]
	s_waitcnt vmcnt(6) lgkmcnt(0)
	v_mul_f64 v[116:117], v[110:111], v[228:229]
	v_fma_f64 v[2:3], v[90:91], v[210:211], -v[2:3]
	s_waitcnt vmcnt(4)
	v_fmac_f64_e32 v[116:117], v[112:113], v[230:231]
	v_add_f64 v[238:239], v[114:115], v[116:117]
	ds_read_b128 v[114:117], v232 offset:1936
	buffer_load_dword v248, off, s[0:3], 0 offset:352
	buffer_load_dword v249, off, s[0:3], 0 offset:356
	;; [unrolled: 1-line block ×4, first 2 shown]
	v_add_f64 v[0:1], v[0:1], v[2:3]
	v_mul_f64 v[2:3], v[96:97], v[214:215]
	v_fma_f64 v[2:3], v[94:95], v[218:219], -v[2:3]
	v_add_f64 v[0:1], v[0:1], v[2:3]
	v_mul_f64 v[2:3], v[100:101], v[216:217]
	v_fma_f64 v[2:3], v[98:99], v[220:221], -v[2:3]
	;; [unrolled: 3-line block ×5, first 2 shown]
	v_add_f64 v[0:1], v[0:1], v[2:3]
	s_waitcnt vmcnt(6) lgkmcnt(0)
	v_mul_f64 v[2:3], v[116:117], v[242:243]
	v_mul_f64 v[240:241], v[114:115], v[242:243]
	s_waitcnt vmcnt(4)
	v_fma_f64 v[2:3], v[114:115], v[244:245], -v[2:3]
	v_fmac_f64_e32 v[240:241], v[116:117], v[244:245]
	v_add_f64 v[0:1], v[0:1], v[2:3]
	v_add_f64 v[240:241], v[238:239], v[240:241]
	s_waitcnt vmcnt(2)
	v_add_f64 v[0:1], v[248:249], -v[0:1]
	s_waitcnt vmcnt(0)
	v_add_f64 v[2:3], v[246:247], -v[240:241]
	buffer_store_dword v1, off, s[0:3], 0 offset:356
	buffer_store_dword v0, off, s[0:3], 0 offset:352
	;; [unrolled: 1-line block ×4, first 2 shown]
	s_and_saveexec_b64 s[4:5], vcc
	s_cbranch_execz .LBB124_351
; %bb.350:
	v_accvgpr_read_b32 v0, a162
	buffer_load_dword v2, v0, s[0:3], 0 offen
	buffer_load_dword v3, v0, s[0:3], 0 offen offset:4
	buffer_load_dword v4, v0, s[0:3], 0 offen offset:8
	;; [unrolled: 1-line block ×3, first 2 shown]
	v_accvgpr_read_b32 v0, a183
	buffer_store_dword v232, off, s[0:3], 0 offset:336
	buffer_store_dword v232, off, s[0:3], 0 offset:340
	;; [unrolled: 1-line block ×4, first 2 shown]
	s_waitcnt vmcnt(4)
	ds_write_b128 v0, v[2:5]
.LBB124_351:
	s_or_b64 exec, exec, s[4:5]
	s_waitcnt lgkmcnt(0)
	; wave barrier
	s_waitcnt lgkmcnt(0)
	buffer_load_dword v56, off, s[0:3], 0 offset:352
	buffer_load_dword v57, off, s[0:3], 0 offset:356
	;; [unrolled: 1-line block ×42, first 2 shown]
	ds_read_b128 v[78:81], v232 offset:1312
	ds_read_b128 v[90:93], v232 offset:1328
	;; [unrolled: 1-line block ×10, first 2 shown]
	buffer_load_dword v1, off, s[0:3], 0 offset:500
	buffer_load_dword v0, off, s[0:3], 0 offset:496
	ds_read_b128 v[106:109], v232 offset:1472
	buffer_load_dword v3, off, s[0:3], 0 offset:556
	buffer_load_dword v2, off, s[0:3], 0 offset:552
	v_cmp_lt_u32_e32 vcc, 19, v233
	s_waitcnt vmcnt(38) lgkmcnt(9)
	v_mul_f64 v[4:5], v[90:91], v[62:63]
	v_fmac_f64_e32 v[4:5], v[92:93], v[54:55]
	s_waitcnt vmcnt(36) lgkmcnt(8)
	v_mul_f64 v[6:7], v[114:115], v[58:59]
	v_mul_f64 v[58:59], v[116:117], v[58:59]
	s_waitcnt vmcnt(34) lgkmcnt(6)
	v_mul_f64 v[10:11], v[234:235], v[70:71]
	v_mul_f64 v[70:71], v[236:237], v[70:71]
	s_waitcnt vmcnt(32)
	v_fmac_f64_e32 v[10:11], v[236:237], v[72:73]
	s_waitcnt vmcnt(30)
	v_mul_f64 v[8:9], v[228:229], v[64:65]
	s_waitcnt vmcnt(28) lgkmcnt(4)
	v_mul_f64 v[14:15], v[242:243], v[82:83]
	v_mul_f64 v[82:83], v[244:245], v[82:83]
	s_waitcnt vmcnt(26)
	v_fmac_f64_e32 v[14:15], v[244:245], v[84:85]
	s_waitcnt vmcnt(24)
	v_mul_f64 v[12:13], v[238:239], v[74:75]
	v_mul_f64 v[74:75], v[240:241], v[74:75]
	s_waitcnt vmcnt(22) lgkmcnt(2)
	v_mul_f64 v[18:19], v[250:251], v[94:95]
	v_mul_f64 v[94:95], v[252:253], v[94:95]
	s_waitcnt vmcnt(19)
	v_mul_f64 v[16:17], v[246:247], v[86:87]
	v_mul_f64 v[86:87], v[248:249], v[86:87]
	s_waitcnt vmcnt(17) lgkmcnt(1)
	v_mul_f64 v[20:21], v[98:99], v[102:103]
	s_waitcnt vmcnt(15)
	v_fmac_f64_e32 v[6:7], v[116:117], v[68:69]
	s_waitcnt vmcnt(13)
	v_fmac_f64_e32 v[8:9], v[230:231], v[66:67]
	;; [unrolled: 2-line block ×3, first 2 shown]
	v_fma_f64 v[238:239], v[238:239], v[76:77], -v[74:75]
	s_waitcnt vmcnt(9)
	v_fmac_f64_e32 v[16:17], v[248:249], v[88:89]
	s_waitcnt vmcnt(8)
	v_fmac_f64_e32 v[18:19], v[252:253], v[96:97]
	v_fma_f64 v[240:241], v[242:243], v[84:85], -v[82:83]
	v_fma_f64 v[246:247], v[246:247], v[88:89], -v[86:87]
	v_fma_f64 v[248:249], v[250:251], v[96:97], -v[94:95]
	s_waitcnt vmcnt(2)
	v_fmac_f64_e32 v[20:21], v[100:101], v[0:1]
	v_mul_f64 v[100:101], v[100:101], v[102:103]
	s_waitcnt vmcnt(0)
	v_pk_mov_b32 v[22:23], v[2:3], v[2:3] op_sel:[0,1]
	buffer_load_dword v3, off, s[0:3], 0 offset:548
	buffer_load_dword v2, off, s[0:3], 0 offset:544
	;; [unrolled: 1-line block ×78, first 2 shown]
	ds_read_b128 v[118:121], v232 offset:1488
	v_accvgpr_write_b32 a185, v23
	v_accvgpr_write_b32 a184, v22
	v_fma_f64 v[250:251], v[98:99], v[0:1], -v[100:101]
	s_waitcnt vmcnt(62)
	v_pk_mov_b32 v[24:25], v[2:3], v[2:3] op_sel:[0,1]
	v_mul_f64 v[2:3], v[78:79], v[60:61]
	v_fmac_f64_e32 v[2:3], v[80:81], v[56:57]
	v_add_f64 v[2:3], v[2:3], 0
	v_add_f64 v[2:3], v[2:3], v[4:5]
	;; [unrolled: 1-line block ×9, first 2 shown]
	s_waitcnt lgkmcnt(1)
	v_mul_f64 v[8:9], v[106:107], v[110:111]
	v_add_f64 v[6:7], v[2:3], v[20:21]
	v_fmac_f64_e32 v[8:9], v[108:109], v[112:113]
	v_add_f64 v[10:11], v[6:7], v[8:9]
	ds_read_b128 v[6:9], v232 offset:1504
	s_waitcnt lgkmcnt(1)
	v_mul_f64 v[12:13], v[118:119], v[122:123]
	v_fmac_f64_e32 v[12:13], v[120:121], v[138:139]
	v_add_f64 v[14:15], v[10:11], v[12:13]
	ds_read_b128 v[10:13], v232 offset:1520
	s_waitcnt lgkmcnt(1)
	v_mul_f64 v[16:17], v[6:7], v[22:23]
	;; [unrolled: 5-line block ×3, first 2 shown]
	v_fmac_f64_e32 v[20:21], v[12:13], v[146:147]
	v_add_f64 v[22:23], v[18:19], v[20:21]
	ds_read_b128 v[18:21], v232 offset:1552
	v_accvgpr_write_b32 a187, v25
	v_accvgpr_write_b32 a186, v24
	s_waitcnt lgkmcnt(1)
	v_mul_f64 v[24:25], v[14:15], v[124:125]
	v_fmac_f64_e32 v[24:25], v[16:17], v[126:127]
	v_add_f64 v[26:27], v[22:23], v[24:25]
	ds_read_b128 v[22:25], v232 offset:1568
	s_waitcnt vmcnt(58) lgkmcnt(1)
	v_mul_f64 v[28:29], v[18:19], v[152:153]
	s_waitcnt vmcnt(56)
	v_fmac_f64_e32 v[28:29], v[20:21], v[156:157]
	v_add_f64 v[30:31], v[26:27], v[28:29]
	ds_read_b128 v[26:29], v232 offset:1584
	s_waitcnt lgkmcnt(1)
	v_mul_f64 v[32:33], v[22:23], v[128:129]
	v_fmac_f64_e32 v[32:33], v[24:25], v[130:131]
	v_add_f64 v[34:35], v[30:31], v[32:33]
	ds_read_b128 v[30:33], v232 offset:1600
	s_waitcnt vmcnt(50) lgkmcnt(1)
	v_mul_f64 v[36:37], v[26:27], v[160:161]
	s_waitcnt vmcnt(48)
	v_fmac_f64_e32 v[36:37], v[28:29], v[164:165]
	v_add_f64 v[38:39], v[34:35], v[36:37]
	ds_read_b128 v[34:37], v232 offset:1616
	;; [unrolled: 11-line block ×4, first 2 shown]
	buffer_load_dword v200, off, s[0:3], 0 offset:872
	buffer_load_dword v205, off, s[0:3], 0 offset:860
	;; [unrolled: 1-line block ×16, first 2 shown]
	s_waitcnt lgkmcnt(1)
	v_mul_f64 v[150:151], v[46:47], v[144:145]
	v_fmac_f64_e32 v[150:151], v[48:49], v[148:149]
	v_mul_f64 v[60:61], v[80:81], v[60:61]
	v_add_f64 v[104:105], v[104:105], v[150:151]
	s_waitcnt vmcnt(42) lgkmcnt(0)
	v_mul_f64 v[150:151], v[50:51], v[184:185]
	v_fma_f64 v[254:255], v[78:79], v[56:57], -v[60:61]
	v_mul_f64 v[56:57], v[92:93], v[62:63]
	v_fma_f64 v[2:3], v[90:91], v[54:55], -v[56:57]
	buffer_load_dword v212, off, s[0:3], 0 offset:936
	buffer_load_dword v221, off, s[0:3], 0 offset:924
	buffer_load_dword v220, off, s[0:3], 0 offset:920
	buffer_load_dword v225, off, s[0:3], 0 offset:916
	buffer_load_dword v224, off, s[0:3], 0 offset:912
	buffer_load_dword v218, off, s[0:3], 0 offset:928
	buffer_load_dword v213, off, s[0:3], 0 offset:940
	buffer_load_dword v219, off, s[0:3], 0 offset:932
	buffer_load_dword v223, off, s[0:3], 0 offset:956
	buffer_load_dword v222, off, s[0:3], 0 offset:952
	buffer_load_dword v227, off, s[0:3], 0 offset:948
	buffer_load_dword v226, off, s[0:3], 0 offset:944
	s_waitcnt vmcnt(52)
	v_fmac_f64_e32 v[150:151], v[52:53], v[186:187]
	ds_read_b128 v[54:57], v232 offset:1696
	v_add_f64 v[4:5], v[104:105], v[150:151]
	v_fma_f64 v[150:151], v[114:115], v[68:69], -v[58:59]
	ds_read_b128 v[58:61], v232 offset:1712
	v_mul_f64 v[62:63], v[230:231], v[64:65]
	v_fma_f64 v[78:79], v[228:229], v[66:67], -v[62:63]
	ds_read_b128 v[62:65], v232 offset:1728
	s_waitcnt lgkmcnt(2)
	v_mul_f64 v[68:69], v[54:55], v[154:155]
	v_fmac_f64_e32 v[68:69], v[56:57], v[158:159]
	s_waitcnt vmcnt(46) lgkmcnt(1)
	v_mul_f64 v[66:67], v[58:59], v[188:189]
	v_add_f64 v[4:5], v[4:5], v[68:69]
	s_waitcnt vmcnt(44)
	v_fmac_f64_e32 v[66:67], v[60:61], v[190:191]
	v_add_f64 v[4:5], v[4:5], v[66:67]
	v_fma_f64 v[80:81], v[234:235], v[72:73], -v[70:71]
	ds_read_b128 v[70:73], v232 offset:1760
	s_waitcnt lgkmcnt(1)
	v_mul_f64 v[66:67], v[62:63], v[162:163]
	v_fmac_f64_e32 v[66:67], v[64:65], v[166:167]
	v_add_f64 v[4:5], v[4:5], v[66:67]
	ds_read_b128 v[66:69], v232 offset:1744
	ds_read_b128 v[74:77], v232 offset:1776
	;; [unrolled: 1-line block ×6, first 2 shown]
	s_waitcnt vmcnt(38) lgkmcnt(5)
	v_mul_f64 v[90:91], v[66:67], v[192:193]
	s_waitcnt vmcnt(36)
	v_fmac_f64_e32 v[90:91], v[68:69], v[194:195]
	v_add_f64 v[4:5], v[4:5], v[90:91]
	v_mul_f64 v[90:91], v[70:71], v[170:171]
	v_fmac_f64_e32 v[90:91], v[72:73], v[174:175]
	v_add_f64 v[4:5], v[4:5], v[90:91]
	s_waitcnt vmcnt(30) lgkmcnt(4)
	v_mul_f64 v[90:91], v[74:75], v[196:197]
	s_waitcnt vmcnt(28)
	v_fmac_f64_e32 v[90:91], v[76:77], v[198:199]
	v_add_f64 v[4:5], v[4:5], v[90:91]
	s_waitcnt lgkmcnt(3)
	v_mul_f64 v[90:91], v[234:235], v[178:179]
	v_fmac_f64_e32 v[90:91], v[236:237], v[182:183]
	v_add_f64 v[4:5], v[4:5], v[90:91]
	ds_read_b128 v[98:101], v232 offset:1872
	s_waitcnt vmcnt(25) lgkmcnt(3)
	v_mul_f64 v[90:91], v[82:83], v[204:205]
	s_waitcnt vmcnt(23)
	v_fmac_f64_e32 v[90:91], v[84:85], v[206:207]
	v_add_f64 v[4:5], v[4:5], v[90:91]
	s_waitcnt vmcnt(21) lgkmcnt(2)
	v_mul_f64 v[90:91], v[86:87], v[200:201]
	s_waitcnt vmcnt(20)
	v_fmac_f64_e32 v[90:91], v[88:89], v[202:203]
	v_add_f64 v[4:5], v[4:5], v[90:91]
	ds_read_b128 v[90:93], v232 offset:1840
	s_waitcnt vmcnt(18) lgkmcnt(0)
	v_mul_f64 v[104:105], v[90:91], v[208:209]
	s_waitcnt vmcnt(16)
	v_fmac_f64_e32 v[104:105], v[92:93], v[210:211]
	v_add_f64 v[0:1], v[4:5], v[104:105]
	s_waitcnt vmcnt(14)
	v_mul_f64 v[4:5], v[94:95], v[214:215]
	s_waitcnt vmcnt(12)
	v_fmac_f64_e32 v[4:5], v[96:97], v[216:217]
	v_add_f64 v[0:1], v[0:1], v[4:5]
	v_mul_f64 v[4:5], v[108:109], v[110:111]
	ds_read_b128 v[102:105], v232 offset:1888
	v_fma_f64 v[252:253], v[106:107], v[112:113], -v[4:5]
	ds_read_b128 v[106:109], v232 offset:1904
	buffer_load_dword v228, off, s[0:3], 0 offset:968
	buffer_load_dword v229, off, s[0:3], 0 offset:972
	;; [unrolled: 1-line block ×4, first 2 shown]
	ds_read_b128 v[110:113], v232 offset:1920
	buffer_load_dword v243, off, s[0:3], 0 offset:988
	buffer_load_dword v242, off, s[0:3], 0 offset:984
	;; [unrolled: 1-line block ×4, first 2 shown]
	s_waitcnt vmcnt(17)
	v_mul_f64 v[4:5], v[98:99], v[220:221]
	s_waitcnt vmcnt(15)
	v_fmac_f64_e32 v[4:5], v[100:101], v[224:225]
	v_add_f64 v[0:1], v[0:1], v[4:5]
	s_waitcnt vmcnt(13) lgkmcnt(2)
	v_mul_f64 v[4:5], v[102:103], v[212:213]
	s_waitcnt vmcnt(12)
	v_fmac_f64_e32 v[4:5], v[104:105], v[218:219]
	ds_read_b128 v[114:117], v232 offset:1936
	v_add_f64 v[0:1], v[0:1], v[4:5]
	s_waitcnt vmcnt(10) lgkmcnt(2)
	v_mul_f64 v[4:5], v[106:107], v[222:223]
	s_waitcnt vmcnt(8)
	v_fmac_f64_e32 v[4:5], v[108:109], v[226:227]
	v_add_f64 v[0:1], v[0:1], v[4:5]
	s_waitcnt vmcnt(6) lgkmcnt(1)
	v_mul_f64 v[4:5], v[110:111], v[228:229]
	s_waitcnt vmcnt(4)
	v_fmac_f64_e32 v[4:5], v[112:113], v[230:231]
	;; [unrolled: 5-line block ×3, first 2 shown]
	v_add_f64 v[0:1], v[0:1], v[4:5]
	v_add_f64 v[4:5], v[254:255], 0
	;; [unrolled: 1-line block ×10, first 2 shown]
	buffer_load_dword v248, off, s[0:3], 0 offset:336
	buffer_load_dword v249, off, s[0:3], 0 offset:340
	;; [unrolled: 1-line block ×4, first 2 shown]
	v_add_f64 v[2:3], v[254:255], v[250:251]
	v_mul_f64 v[4:5], v[120:121], v[122:123]
	v_add_f64 v[2:3], v[2:3], v[252:253]
	v_fma_f64 v[4:5], v[118:119], v[138:139], -v[4:5]
	v_add_f64 v[2:3], v[2:3], v[4:5]
	v_accvgpr_read_b32 v4, a184
	v_accvgpr_read_b32 v5, a185
	v_mul_f64 v[4:5], v[8:9], v[4:5]
	v_accvgpr_read_b32 v8, a186
	v_accvgpr_read_b32 v9, a187
	v_fma_f64 v[4:5], v[6:7], v[8:9], -v[4:5]
	v_add_f64 v[2:3], v[2:3], v[4:5]
	v_mul_f64 v[4:5], v[12:13], v[142:143]
	v_fma_f64 v[4:5], v[10:11], v[146:147], -v[4:5]
	v_add_f64 v[2:3], v[2:3], v[4:5]
	v_mul_f64 v[4:5], v[16:17], v[124:125]
	;; [unrolled: 3-line block ×27, first 2 shown]
	v_fma_f64 v[4:5], v[114:115], v[244:245], -v[4:5]
	v_add_f64 v[2:3], v[2:3], v[4:5]
	s_waitcnt vmcnt(2)
	v_add_f64 v[2:3], v[248:249], -v[2:3]
	s_waitcnt vmcnt(0)
	v_add_f64 v[0:1], v[246:247], -v[0:1]
	buffer_store_dword v3, off, s[0:3], 0 offset:340
	buffer_store_dword v2, off, s[0:3], 0 offset:336
	;; [unrolled: 1-line block ×4, first 2 shown]
	s_and_saveexec_b64 s[4:5], vcc
	s_cbranch_execz .LBB124_353
; %bb.352:
	v_accvgpr_read_b32 v0, a163
	buffer_load_dword v2, v0, s[0:3], 0 offen
	buffer_load_dword v3, v0, s[0:3], 0 offen offset:4
	buffer_load_dword v4, v0, s[0:3], 0 offen offset:8
	;; [unrolled: 1-line block ×3, first 2 shown]
	v_mov_b32_e32 v0, 0
	v_accvgpr_read_b32 v1, a183
	buffer_store_dword v0, off, s[0:3], 0 offset:320
	buffer_store_dword v0, off, s[0:3], 0 offset:324
	;; [unrolled: 1-line block ×4, first 2 shown]
	s_waitcnt vmcnt(4)
	ds_write_b128 v1, v[2:5]
.LBB124_353:
	s_or_b64 exec, exec, s[4:5]
	s_waitcnt lgkmcnt(0)
	; wave barrier
	s_waitcnt lgkmcnt(0)
	buffer_load_dword v54, off, s[0:3], 0 offset:336
	buffer_load_dword v55, off, s[0:3], 0 offset:340
	;; [unrolled: 1-line block ×46, first 2 shown]
	v_mov_b32_e32 v232, 0
	v_cmp_lt_u32_e32 vcc, 18, v233
	s_waitcnt vmcnt(0)
	v_pk_mov_b32 v[20:21], v[0:1], v[0:1] op_sel:[0,1]
	buffer_load_dword v1, off, s[0:3], 0 offset:532
	buffer_load_dword v0, off, s[0:3], 0 offset:528
	;; [unrolled: 1-line block ×3, first 2 shown]
	ds_read_b128 v[94:97], v232 offset:1296
	ds_read_b128 v[108:111], v232 offset:1312
	;; [unrolled: 1-line block ×11, first 2 shown]
	buffer_load_dword v106, off, s[0:3], 0 offset:520
	buffer_load_dword v151, off, s[0:3], 0 offset:516
	;; [unrolled: 1-line block ×75, first 2 shown]
	s_waitcnt lgkmcnt(9)
	v_mul_f64 v[2:3], v[108:109], v[62:63]
	s_waitcnt lgkmcnt(8)
	v_mul_f64 v[4:5], v[112:113], v[60:61]
	v_fmac_f64_e32 v[2:3], v[110:111], v[58:59]
	s_waitcnt lgkmcnt(7)
	v_mul_f64 v[6:7], v[224:225], v[68:69]
	v_fmac_f64_e32 v[4:5], v[114:115], v[84:85]
	s_waitcnt lgkmcnt(6)
	v_mul_f64 v[8:9], v[228:229], v[64:65]
	v_fmac_f64_e32 v[6:7], v[226:227], v[82:83]
	s_waitcnt lgkmcnt(5)
	v_mul_f64 v[10:11], v[234:235], v[70:71]
	v_fmac_f64_e32 v[8:9], v[230:231], v[66:67]
	s_waitcnt lgkmcnt(4)
	v_mul_f64 v[12:13], v[238:239], v[74:75]
	v_fmac_f64_e32 v[10:11], v[236:237], v[72:73]
	ds_read_b128 v[116:119], v232 offset:1472
	ds_read_b128 v[120:123], v232 offset:1488
	s_waitcnt lgkmcnt(5)
	v_mul_f64 v[14:15], v[242:243], v[78:79]
	v_fmac_f64_e32 v[12:13], v[240:241], v[76:77]
	s_waitcnt lgkmcnt(4)
	v_mul_f64 v[16:17], v[246:247], v[86:87]
	v_fmac_f64_e32 v[14:15], v[244:245], v[80:81]
	;; [unrolled: 3-line block ×3, first 2 shown]
	v_fmac_f64_e32 v[18:19], v[252:253], v[92:93]
	v_accvgpr_write_b32 a185, v21
	v_accvgpr_write_b32 a184, v20
	v_mul_f64 v[62:63], v[110:111], v[62:63]
	v_mul_f64 v[74:75], v[240:241], v[74:75]
	v_fma_f64 v[238:239], v[238:239], v[76:77], -v[74:75]
	v_mul_f64 v[78:79], v[244:245], v[78:79]
	v_fma_f64 v[240:241], v[242:243], v[80:81], -v[78:79]
	;; [unrolled: 2-line block ×4, first 2 shown]
	s_waitcnt vmcnt(62)
	v_pk_mov_b32 v[22:23], v[0:1], v[0:1] op_sel:[0,1]
	v_mul_f64 v[0:1], v[94:95], v[56:57]
	v_fmac_f64_e32 v[0:1], v[96:97], v[54:55]
	v_add_f64 v[0:1], v[0:1], 0
	v_add_f64 v[0:1], v[0:1], v[2:3]
	;; [unrolled: 1-line block ×9, first 2 shown]
	s_waitcnt lgkmcnt(2)
	v_mul_f64 v[2:3], v[98:99], v[102:103]
	v_add_f64 v[0:1], v[0:1], v[18:19]
	v_fmac_f64_e32 v[2:3], v[100:101], v[104:105]
	s_waitcnt lgkmcnt(1)
	v_mul_f64 v[6:7], v[116:117], v[106:107]
	v_add_f64 v[0:1], v[0:1], v[2:3]
	v_fmac_f64_e32 v[6:7], v[118:119], v[150:151]
	s_waitcnt lgkmcnt(0)
	v_mul_f64 v[10:11], v[120:121], v[20:21]
	v_add_f64 v[0:1], v[0:1], v[6:7]
	ds_read_b128 v[6:9], v232 offset:1504
	v_fmac_f64_e32 v[10:11], v[122:123], v[22:23]
	v_add_f64 v[0:1], v[0:1], v[10:11]
	ds_read_b128 v[10:13], v232 offset:1520
	v_accvgpr_write_b32 a187, v23
	s_waitcnt lgkmcnt(1)
	v_mul_f64 v[14:15], v[6:7], v[138:139]
	v_fmac_f64_e32 v[14:15], v[8:9], v[142:143]
	v_add_f64 v[0:1], v[0:1], v[14:15]
	s_waitcnt lgkmcnt(0)
	v_mul_f64 v[18:19], v[10:11], v[254:255]
	ds_read_b128 v[14:17], v232 offset:1536
	v_fmac_f64_e32 v[18:19], v[12:13], v[124:125]
	v_add_f64 v[0:1], v[0:1], v[18:19]
	ds_read_b128 v[18:21], v232 offset:1552
	v_accvgpr_write_b32 a186, v22
	s_waitcnt vmcnt(58) lgkmcnt(1)
	v_mul_f64 v[22:23], v[14:15], v[146:147]
	s_waitcnt vmcnt(56)
	v_fmac_f64_e32 v[22:23], v[16:17], v[152:153]
	v_add_f64 v[0:1], v[0:1], v[22:23]
	s_waitcnt lgkmcnt(0)
	v_mul_f64 v[26:27], v[18:19], v[126:127]
	ds_read_b128 v[22:25], v232 offset:1568
	v_fmac_f64_e32 v[26:27], v[20:21], v[128:129]
	v_add_f64 v[0:1], v[0:1], v[26:27]
	ds_read_b128 v[26:29], v232 offset:1584
	v_mul_f64 v[56:57], v[96:97], v[56:57]
	s_waitcnt vmcnt(50) lgkmcnt(1)
	v_mul_f64 v[30:31], v[22:23], v[156:157]
	s_waitcnt vmcnt(48)
	v_fmac_f64_e32 v[30:31], v[24:25], v[160:161]
	v_add_f64 v[0:1], v[0:1], v[30:31]
	s_waitcnt lgkmcnt(0)
	v_mul_f64 v[34:35], v[26:27], v[130:131]
	ds_read_b128 v[30:33], v232 offset:1600
	v_fmac_f64_e32 v[34:35], v[28:29], v[132:133]
	v_add_f64 v[0:1], v[0:1], v[34:35]
	ds_read_b128 v[34:37], v232 offset:1616
	v_fma_f64 v[4:5], v[94:95], v[54:55], -v[56:57]
	s_waitcnt vmcnt(42) lgkmcnt(1)
	v_mul_f64 v[38:39], v[30:31], v[164:165]
	s_waitcnt vmcnt(40)
	v_fmac_f64_e32 v[38:39], v[32:33], v[168:169]
	v_add_f64 v[0:1], v[0:1], v[38:39]
	s_waitcnt lgkmcnt(0)
	v_mul_f64 v[42:43], v[34:35], v[134:135]
	ds_read_b128 v[38:41], v232 offset:1632
	v_fmac_f64_e32 v[42:43], v[36:37], v[136:137]
	v_add_f64 v[0:1], v[0:1], v[42:43]
	ds_read_b128 v[42:45], v232 offset:1648
	v_fma_f64 v[96:97], v[108:109], v[58:59], -v[62:63]
	s_waitcnt vmcnt(34) lgkmcnt(1)
	v_mul_f64 v[46:47], v[38:39], v[172:173]
	s_waitcnt vmcnt(32)
	v_fmac_f64_e32 v[46:47], v[40:41], v[176:177]
	v_add_f64 v[0:1], v[0:1], v[46:47]
	s_waitcnt lgkmcnt(0)
	v_mul_f64 v[50:51], v[42:43], v[140:141]
	v_fmac_f64_e32 v[50:51], v[44:45], v[144:145]
	ds_read_b128 v[46:49], v232 offset:1664
	v_add_f64 v[0:1], v[0:1], v[50:51]
	ds_read_b128 v[50:53], v232 offset:1680
	buffer_load_dword v197, off, s[0:3], 0 offset:844
	buffer_load_dword v196, off, s[0:3], 0 offset:840
	;; [unrolled: 1-line block ×8, first 2 shown]
	s_waitcnt vmcnt(34) lgkmcnt(1)
	v_mul_f64 v[200:201], v[46:47], v[180:181]
	s_waitcnt vmcnt(32)
	v_fmac_f64_e32 v[200:201], v[48:49], v[182:183]
	v_add_f64 v[0:1], v[0:1], v[200:201]
	buffer_load_dword v201, off, s[0:3], 0 offset:892
	buffer_load_dword v207, off, s[0:3], 0 offset:876
	;; [unrolled: 1-line block ×8, first 2 shown]
	ds_read_b128 v[54:57], v232 offset:1696
	buffer_load_dword v213, off, s[0:3], 0 offset:908
	buffer_load_dword v212, off, s[0:3], 0 offset:904
	;; [unrolled: 1-line block ×12, first 2 shown]
	s_waitcnt lgkmcnt(1)
	v_mul_f64 v[94:95], v[50:51], v[148:149]
	v_mul_f64 v[58:59], v[114:115], v[60:61]
	v_fma_f64 v[2:3], v[112:113], v[84:85], -v[58:59]
	v_fmac_f64_e32 v[94:95], v[52:53], v[154:155]
	v_mul_f64 v[58:59], v[226:227], v[68:69]
	v_add_f64 v[0:1], v[0:1], v[94:95]
	v_fma_f64 v[94:95], v[224:225], v[82:83], -v[58:59]
	buffer_load_dword v224, off, s[0:3], 0 offset:952
	buffer_load_dword v226, off, s[0:3], 0 offset:944
	;; [unrolled: 1-line block ×4, first 2 shown]
	s_waitcnt vmcnt(50) lgkmcnt(0)
	v_mul_f64 v[58:59], v[54:55], v[184:185]
	s_waitcnt vmcnt(48)
	v_fmac_f64_e32 v[58:59], v[56:57], v[186:187]
	v_add_f64 v[0:1], v[0:1], v[58:59]
	ds_read_b128 v[58:61], v232 offset:1712
	v_mul_f64 v[62:63], v[230:231], v[64:65]
	v_fma_f64 v[228:229], v[228:229], v[66:67], -v[62:63]
	ds_read_b128 v[62:65], v232 offset:1728
	v_mul_f64 v[66:67], v[236:237], v[70:71]
	v_fma_f64 v[230:231], v[234:235], v[72:73], -v[66:67]
	ds_read_b128 v[66:69], v232 offset:1744
	ds_read_b128 v[74:77], v232 offset:1776
	s_waitcnt lgkmcnt(3)
	v_mul_f64 v[82:83], v[58:59], v[158:159]
	v_fmac_f64_e32 v[82:83], v[60:61], v[162:163]
	s_waitcnt vmcnt(42) lgkmcnt(2)
	v_mul_f64 v[70:71], v[62:63], v[188:189]
	v_add_f64 v[0:1], v[0:1], v[82:83]
	s_waitcnt vmcnt(40)
	v_fmac_f64_e32 v[70:71], v[64:65], v[190:191]
	v_add_f64 v[0:1], v[0:1], v[70:71]
	s_waitcnt lgkmcnt(1)
	v_mul_f64 v[70:71], v[66:67], v[166:167]
	v_fmac_f64_e32 v[70:71], v[68:69], v[170:171]
	v_add_f64 v[0:1], v[0:1], v[70:71]
	ds_read_b128 v[70:73], v232 offset:1760
	ds_read_b128 v[78:81], v232 offset:1792
	ds_read_b128 v[90:93], v232 offset:1840
	ds_read_b128 v[234:237], v232 offset:1856
	v_mul_f64 v[100:101], v[100:101], v[102:103]
	s_waitcnt vmcnt(34) lgkmcnt(3)
	v_mul_f64 v[82:83], v[70:71], v[192:193]
	s_waitcnt vmcnt(32)
	v_fmac_f64_e32 v[82:83], v[72:73], v[194:195]
	v_add_f64 v[0:1], v[0:1], v[82:83]
	v_mul_f64 v[82:83], v[74:75], v[174:175]
	v_fmac_f64_e32 v[82:83], v[76:77], v[178:179]
	v_add_f64 v[0:1], v[0:1], v[82:83]
	v_mul_f64 v[102:103], v[118:119], v[106:107]
	v_fma_f64 v[252:253], v[98:99], v[104:105], -v[100:101]
	ds_read_b128 v[98:101], v232 offset:1872
	v_fma_f64 v[102:103], v[116:117], v[150:151], -v[102:103]
	v_accvgpr_write_b32 a189, v103
	v_accvgpr_write_b32 a188, v102
	ds_read_b128 v[102:105], v232 offset:1888
	v_add_f64 v[4:5], v[4:5], 0
	v_add_f64 v[4:5], v[4:5], v[96:97]
	ds_read_b128 v[86:89], v232 offset:1824
	v_add_f64 v[2:3], v[4:5], v[2:3]
	v_add_f64 v[2:3], v[2:3], v[94:95]
	;; [unrolled: 1-line block ×8, first 2 shown]
	v_accvgpr_read_b32 v4, a184
	v_add_f64 v[252:253], v[2:3], v[252:253]
	v_accvgpr_read_b32 v2, a188
	v_accvgpr_read_b32 v5, a185
	;; [unrolled: 1-line block ×4, first 2 shown]
	v_mul_f64 v[4:5], v[122:123], v[4:5]
	v_accvgpr_read_b32 v95, a187
	v_add_f64 v[2:3], v[252:253], v[2:3]
	v_fma_f64 v[4:5], v[120:121], v[94:95], -v[4:5]
	v_add_f64 v[2:3], v[2:3], v[4:5]
	v_mul_f64 v[4:5], v[8:9], v[138:139]
	s_waitcnt vmcnt(30) lgkmcnt(5)
	v_mul_f64 v[82:83], v[78:79], v[196:197]
	v_fma_f64 v[4:5], v[6:7], v[142:143], -v[4:5]
	s_waitcnt vmcnt(28)
	v_fmac_f64_e32 v[82:83], v[80:81], v[198:199]
	v_add_f64 v[0:1], v[0:1], v[82:83]
	ds_read_b128 v[82:85], v232 offset:1808
	s_waitcnt vmcnt(9) lgkmcnt(3)
	v_mul_f64 v[106:107], v[98:99], v[216:217]
	s_waitcnt vmcnt(8)
	v_fmac_f64_e32 v[106:107], v[100:101], v[218:219]
	v_add_f64 v[2:3], v[2:3], v[4:5]
	v_mul_f64 v[4:5], v[12:13], v[254:255]
	s_waitcnt lgkmcnt(0)
	v_mul_f64 v[108:109], v[82:83], v[202:203]
	v_fmac_f64_e32 v[108:109], v[84:85], v[204:205]
	v_add_f64 v[0:1], v[0:1], v[108:109]
	v_mul_f64 v[108:109], v[86:87], v[206:207]
	v_fmac_f64_e32 v[108:109], v[88:89], v[210:211]
	v_add_f64 v[0:1], v[0:1], v[108:109]
	;; [unrolled: 3-line block ×4, first 2 shown]
	v_add_f64 v[0:1], v[0:1], v[106:107]
	s_waitcnt vmcnt(6)
	v_mul_f64 v[106:107], v[102:103], v[220:221]
	s_waitcnt vmcnt(4)
	v_fmac_f64_e32 v[106:107], v[104:105], v[222:223]
	v_add_f64 v[0:1], v[0:1], v[106:107]
	ds_read_b128 v[106:109], v232 offset:1904
	v_fma_f64 v[4:5], v[10:11], v[124:125], -v[4:5]
	v_add_f64 v[2:3], v[2:3], v[4:5]
	v_mul_f64 v[4:5], v[16:17], v[146:147]
	v_fma_f64 v[4:5], v[14:15], v[152:153], -v[4:5]
	s_waitcnt vmcnt(1) lgkmcnt(0)
	v_mul_f64 v[110:111], v[106:107], v[224:225]
	s_waitcnt vmcnt(0)
	v_fmac_f64_e32 v[110:111], v[108:109], v[226:227]
	v_add_f64 v[114:115], v[0:1], v[110:111]
	buffer_load_dword v1, off, s[0:3], 0 offset:972
	buffer_load_dword v0, off, s[0:3], 0 offset:968
	;; [unrolled: 1-line block ×4, first 2 shown]
	ds_read_b128 v[110:113], v232 offset:1920
	buffer_load_dword v242, off, s[0:3], 0 offset:984
	buffer_load_dword v243, off, s[0:3], 0 offset:988
	;; [unrolled: 1-line block ×4, first 2 shown]
	v_add_f64 v[2:3], v[2:3], v[4:5]
	v_mul_f64 v[4:5], v[20:21], v[126:127]
	v_fma_f64 v[4:5], v[18:19], v[128:129], -v[4:5]
	v_add_f64 v[2:3], v[2:3], v[4:5]
	v_mul_f64 v[4:5], v[24:25], v[156:157]
	v_fma_f64 v[4:5], v[22:23], v[160:161], -v[4:5]
	v_add_f64 v[2:3], v[2:3], v[4:5]
	v_mul_f64 v[4:5], v[28:29], v[130:131]
	v_fma_f64 v[4:5], v[26:27], v[132:133], -v[4:5]
	v_add_f64 v[2:3], v[2:3], v[4:5]
	v_mul_f64 v[4:5], v[32:33], v[164:165]
	v_fma_f64 v[4:5], v[30:31], v[168:169], -v[4:5]
	v_add_f64 v[2:3], v[2:3], v[4:5]
	v_mul_f64 v[4:5], v[36:37], v[134:135]
	v_fma_f64 v[4:5], v[34:35], v[136:137], -v[4:5]
	v_add_f64 v[2:3], v[2:3], v[4:5]
	v_mul_f64 v[4:5], v[40:41], v[172:173]
	v_fma_f64 v[4:5], v[38:39], v[176:177], -v[4:5]
	v_add_f64 v[2:3], v[2:3], v[4:5]
	v_mul_f64 v[4:5], v[44:45], v[140:141]
	v_fma_f64 v[4:5], v[42:43], v[144:145], -v[4:5]
	v_add_f64 v[2:3], v[2:3], v[4:5]
	v_mul_f64 v[4:5], v[48:49], v[180:181]
	v_fma_f64 v[4:5], v[46:47], v[182:183], -v[4:5]
	v_add_f64 v[2:3], v[2:3], v[4:5]
	v_mul_f64 v[4:5], v[52:53], v[148:149]
	v_fma_f64 v[4:5], v[50:51], v[154:155], -v[4:5]
	v_add_f64 v[2:3], v[2:3], v[4:5]
	v_mul_f64 v[4:5], v[56:57], v[184:185]
	v_fma_f64 v[4:5], v[54:55], v[186:187], -v[4:5]
	v_add_f64 v[2:3], v[2:3], v[4:5]
	v_mul_f64 v[4:5], v[60:61], v[158:159]
	v_fma_f64 v[4:5], v[58:59], v[162:163], -v[4:5]
	v_add_f64 v[2:3], v[2:3], v[4:5]
	v_mul_f64 v[4:5], v[64:65], v[188:189]
	v_fma_f64 v[4:5], v[62:63], v[190:191], -v[4:5]
	v_add_f64 v[2:3], v[2:3], v[4:5]
	v_mul_f64 v[4:5], v[68:69], v[166:167]
	v_fma_f64 v[4:5], v[66:67], v[170:171], -v[4:5]
	v_add_f64 v[2:3], v[2:3], v[4:5]
	v_mul_f64 v[4:5], v[72:73], v[192:193]
	v_fma_f64 v[4:5], v[70:71], v[194:195], -v[4:5]
	v_add_f64 v[2:3], v[2:3], v[4:5]
	v_mul_f64 v[4:5], v[76:77], v[174:175]
	v_fma_f64 v[4:5], v[74:75], v[178:179], -v[4:5]
	v_add_f64 v[2:3], v[2:3], v[4:5]
	v_mul_f64 v[4:5], v[80:81], v[196:197]
	v_fma_f64 v[4:5], v[78:79], v[198:199], -v[4:5]
	v_add_f64 v[2:3], v[2:3], v[4:5]
	v_mul_f64 v[4:5], v[84:85], v[202:203]
	v_fma_f64 v[4:5], v[82:83], v[204:205], -v[4:5]
	v_add_f64 v[2:3], v[2:3], v[4:5]
	v_mul_f64 v[4:5], v[88:89], v[206:207]
	v_fma_f64 v[4:5], v[86:87], v[210:211], -v[4:5]
	v_add_f64 v[2:3], v[2:3], v[4:5]
	v_mul_f64 v[4:5], v[92:93], v[200:201]
	v_fma_f64 v[4:5], v[90:91], v[208:209], -v[4:5]
	v_add_f64 v[2:3], v[2:3], v[4:5]
	v_mul_f64 v[4:5], v[236:237], v[212:213]
	v_fma_f64 v[4:5], v[234:235], v[214:215], -v[4:5]
	v_add_f64 v[2:3], v[2:3], v[4:5]
	v_mul_f64 v[4:5], v[100:101], v[216:217]
	v_fma_f64 v[4:5], v[98:99], v[218:219], -v[4:5]
	v_add_f64 v[2:3], v[2:3], v[4:5]
	v_mul_f64 v[4:5], v[104:105], v[220:221]
	v_fma_f64 v[4:5], v[102:103], v[222:223], -v[4:5]
	v_add_f64 v[2:3], v[2:3], v[4:5]
	v_mul_f64 v[4:5], v[108:109], v[224:225]
	v_fma_f64 v[4:5], v[106:107], v[226:227], -v[4:5]
	v_add_f64 v[2:3], v[2:3], v[4:5]
	s_waitcnt vmcnt(6) lgkmcnt(0)
	v_mul_f64 v[116:117], v[110:111], v[0:1]
	v_mul_f64 v[0:1], v[112:113], v[0:1]
	s_waitcnt vmcnt(4)
	v_fmac_f64_e32 v[116:117], v[112:113], v[118:119]
	v_add_f64 v[150:151], v[114:115], v[116:117]
	ds_read_b128 v[114:117], v232 offset:1936
	buffer_load_dword v248, off, s[0:3], 0 offset:320
	buffer_load_dword v249, off, s[0:3], 0 offset:324
	;; [unrolled: 1-line block ×4, first 2 shown]
	v_fma_f64 v[0:1], v[110:111], v[118:119], -v[0:1]
	v_add_f64 v[0:1], v[2:3], v[0:1]
	s_waitcnt vmcnt(6) lgkmcnt(0)
	v_mul_f64 v[2:3], v[116:117], v[242:243]
	v_mul_f64 v[250:251], v[114:115], v[242:243]
	s_waitcnt vmcnt(4)
	v_fma_f64 v[2:3], v[114:115], v[244:245], -v[2:3]
	v_fmac_f64_e32 v[250:251], v[116:117], v[244:245]
	v_add_f64 v[0:1], v[0:1], v[2:3]
	v_add_f64 v[150:151], v[150:151], v[250:251]
	s_waitcnt vmcnt(2)
	v_add_f64 v[0:1], v[248:249], -v[0:1]
	s_waitcnt vmcnt(0)
	v_add_f64 v[2:3], v[246:247], -v[150:151]
	buffer_store_dword v1, off, s[0:3], 0 offset:324
	buffer_store_dword v0, off, s[0:3], 0 offset:320
	;; [unrolled: 1-line block ×4, first 2 shown]
	s_and_saveexec_b64 s[4:5], vcc
	s_cbranch_execz .LBB124_355
; %bb.354:
	v_accvgpr_read_b32 v0, a164
	buffer_load_dword v2, v0, s[0:3], 0 offen
	buffer_load_dword v3, v0, s[0:3], 0 offen offset:4
	buffer_load_dword v4, v0, s[0:3], 0 offen offset:8
	;; [unrolled: 1-line block ×3, first 2 shown]
	v_accvgpr_read_b32 v0, a183
	buffer_store_dword v232, off, s[0:3], 0 offset:304
	buffer_store_dword v232, off, s[0:3], 0 offset:308
	;; [unrolled: 1-line block ×4, first 2 shown]
	s_waitcnt vmcnt(4)
	ds_write_b128 v0, v[2:5]
.LBB124_355:
	s_or_b64 exec, exec, s[4:5]
	s_waitcnt lgkmcnt(0)
	; wave barrier
	s_waitcnt lgkmcnt(0)
	buffer_load_dword v58, off, s[0:3], 0 offset:320
	buffer_load_dword v59, off, s[0:3], 0 offset:324
	;; [unrolled: 1-line block ×42, first 2 shown]
	ds_read_b128 v[110:113], v232 offset:1280
	ds_read_b128 v[114:117], v232 offset:1296
	ds_read_b128 v[212:215], v232 offset:1312
	ds_read_b128 v[216:219], v232 offset:1328
	ds_read_b128 v[224:227], v232 offset:1344
	ds_read_b128 v[228:231], v232 offset:1360
	ds_read_b128 v[234:237], v232 offset:1376
	ds_read_b128 v[238:241], v232 offset:1392
	ds_read_b128 v[242:245], v232 offset:1408
	ds_read_b128 v[82:85], v232 offset:1424
	buffer_load_dword v1, off, s[0:3], 0 offset:468
	buffer_load_dword v0, off, s[0:3], 0 offset:464
	ds_read_b128 v[90:93], v232 offset:1440
	buffer_load_dword v105, off, s[0:3], 0 offset:524
	buffer_load_dword v104, off, s[0:3], 0 offset:520
	;; [unrolled: 1-line block ×6, first 2 shown]
	s_waitcnt vmcnt(46) lgkmcnt(10)
	v_mul_f64 v[2:3], v[110:111], v[60:61]
	v_fmac_f64_e32 v[2:3], v[112:113], v[58:59]
	v_add_f64 v[2:3], v[2:3], 0
	v_mul_f64 v[60:61], v[112:113], v[60:61]
	s_waitcnt vmcnt(42) lgkmcnt(9)
	v_mul_f64 v[4:5], v[114:115], v[62:63]
	v_fmac_f64_e32 v[4:5], v[116:117], v[56:57]
	v_add_f64 v[2:3], v[2:3], v[4:5]
	buffer_load_dword v151, off, s[0:3], 0 offset:500
	buffer_load_dword v150, off, s[0:3], 0 offset:496
	;; [unrolled: 1-line block ×4, first 2 shown]
	s_waitcnt vmcnt(44) lgkmcnt(8)
	v_mul_f64 v[6:7], v[212:213], v[220:221]
	s_waitcnt vmcnt(42) lgkmcnt(6)
	v_mul_f64 v[10:11], v[224:225], v[64:65]
	s_waitcnt vmcnt(40)
	v_fmac_f64_e32 v[10:11], v[226:227], v[66:67]
	s_waitcnt vmcnt(38)
	v_mul_f64 v[8:9], v[216:217], v[68:69]
	s_waitcnt vmcnt(36) lgkmcnt(4)
	v_mul_f64 v[14:15], v[234:235], v[70:71]
	s_waitcnt vmcnt(34)
	v_fmac_f64_e32 v[14:15], v[236:237], v[72:73]
	s_waitcnt vmcnt(32)
	v_mul_f64 v[12:13], v[228:229], v[74:75]
	s_waitcnt vmcnt(30) lgkmcnt(2)
	v_mul_f64 v[18:19], v[242:243], v[78:79]
	v_mul_f64 v[78:79], v[244:245], v[78:79]
	s_waitcnt vmcnt(27)
	v_mul_f64 v[16:17], v[238:239], v[76:77]
	s_waitcnt vmcnt(25) lgkmcnt(1)
	v_mul_f64 v[20:21], v[82:83], v[86:87]
	s_waitcnt vmcnt(23)
	v_fmac_f64_e32 v[6:7], v[214:215], v[100:101]
	v_add_f64 v[2:3], v[2:3], v[6:7]
	s_waitcnt vmcnt(21)
	v_fmac_f64_e32 v[8:9], v[218:219], v[98:99]
	v_add_f64 v[2:3], v[2:3], v[8:9]
	;; [unrolled: 3-line block ×3, first 2 shown]
	v_add_f64 v[2:3], v[2:3], v[12:13]
	s_waitcnt vmcnt(17)
	v_fmac_f64_e32 v[16:17], v[240:241], v[88:89]
	v_add_f64 v[2:3], v[2:3], v[14:15]
	s_waitcnt vmcnt(16)
	v_fmac_f64_e32 v[18:19], v[244:245], v[80:81]
	v_add_f64 v[2:3], v[2:3], v[16:17]
	v_add_f64 v[2:3], v[2:3], v[18:19]
	s_waitcnt vmcnt(10)
	v_fmac_f64_e32 v[20:21], v[84:85], v[0:1]
	v_add_f64 v[2:3], v[2:3], v[20:21]
	v_mul_f64 v[84:85], v[84:85], v[86:87]
	s_waitcnt vmcnt(0)
	v_pk_mov_b32 v[18:19], v[4:5], v[4:5] op_sel:[0,1]
	buffer_load_dword v5, off, s[0:3], 0 offset:548
	buffer_load_dword v4, off, s[0:3], 0 offset:544
	v_accvgpr_write_b32 a185, v19
	v_accvgpr_write_b32 a184, v18
	s_waitcnt vmcnt(0)
	v_pk_mov_b32 v[22:23], v[4:5], v[4:5] op_sel:[0,1]
	buffer_load_dword v135, off, s[0:3], 0 offset:540
	buffer_load_dword v134, off, s[0:3], 0 offset:536
	;; [unrolled: 1-line block ×6, first 2 shown]
	v_accvgpr_write_b32 a187, v23
	v_accvgpr_write_b32 a186, v22
	s_waitcnt vmcnt(0)
	v_pk_mov_b32 v[26:27], v[4:5], v[4:5] op_sel:[0,1]
	buffer_load_dword v5, off, s[0:3], 0 offset:580
	buffer_load_dword v4, off, s[0:3], 0 offset:576
	;; [unrolled: 1-line block ×62, first 2 shown]
	ds_read_b128 v[246:249], v232 offset:1456
	ds_read_b128 v[252:255], v232 offset:1472
	;; [unrolled: 1-line block ×4, first 2 shown]
	v_accvgpr_write_b32 a189, v27
	v_accvgpr_write_b32 a188, v26
	s_waitcnt lgkmcnt(2)
	v_mul_f64 v[8:9], v[252:253], v[104:105]
	v_fmac_f64_e32 v[8:9], v[254:255], v[106:107]
	s_waitcnt lgkmcnt(1)
	v_mul_f64 v[12:13], v[118:119], v[134:135]
	v_fmac_f64_e32 v[12:13], v[120:121], v[138:139]
	;; [unrolled: 3-line block ×3, first 2 shown]
	s_waitcnt vmcnt(60)
	v_pk_mov_b32 v[28:29], v[4:5], v[4:5] op_sel:[0,1]
	v_mul_f64 v[4:5], v[90:91], v[96:97]
	v_fmac_f64_e32 v[4:5], v[92:93], v[102:103]
	v_add_f64 v[2:3], v[2:3], v[4:5]
	v_mul_f64 v[4:5], v[246:247], v[108:109]
	v_fmac_f64_e32 v[4:5], v[248:249], v[150:151]
	v_add_f64 v[6:7], v[2:3], v[4:5]
	v_add_f64 v[10:11], v[6:7], v[8:9]
	;; [unrolled: 1-line block ×3, first 2 shown]
	ds_read_b128 v[10:13], v232 offset:1520
	v_add_f64 v[18:19], v[14:15], v[16:17]
	ds_read_b128 v[14:17], v232 offset:1536
	v_accvgpr_write_b32 a191, v29
	v_accvgpr_write_b32 a190, v28
	s_waitcnt vmcnt(58) lgkmcnt(1)
	v_mul_f64 v[20:21], v[10:11], v[142:143]
	s_waitcnt vmcnt(56)
	v_fmac_f64_e32 v[20:21], v[12:13], v[146:147]
	v_add_f64 v[22:23], v[18:19], v[20:21]
	ds_read_b128 v[18:21], v232 offset:1552
	s_waitcnt lgkmcnt(1)
	v_mul_f64 v[24:25], v[14:15], v[26:27]
	v_fmac_f64_e32 v[24:25], v[16:17], v[28:29]
	v_add_f64 v[26:27], v[22:23], v[24:25]
	ds_read_b128 v[22:25], v232 offset:1568
	s_waitcnt vmcnt(50) lgkmcnt(1)
	v_mul_f64 v[28:29], v[18:19], v[152:153]
	s_waitcnt vmcnt(48)
	v_fmac_f64_e32 v[28:29], v[20:21], v[156:157]
	v_add_f64 v[30:31], v[26:27], v[28:29]
	ds_read_b128 v[26:29], v232 offset:1584
	s_waitcnt lgkmcnt(1)
	v_mul_f64 v[32:33], v[22:23], v[126:127]
	v_fmac_f64_e32 v[32:33], v[24:25], v[128:129]
	v_add_f64 v[34:35], v[30:31], v[32:33]
	ds_read_b128 v[30:33], v232 offset:1600
	s_waitcnt vmcnt(42) lgkmcnt(1)
	v_mul_f64 v[36:37], v[26:27], v[160:161]
	s_waitcnt vmcnt(40)
	v_fmac_f64_e32 v[36:37], v[28:29], v[164:165]
	v_add_f64 v[38:39], v[34:35], v[36:37]
	ds_read_b128 v[34:37], v232 offset:1616
	s_waitcnt lgkmcnt(1)
	v_mul_f64 v[40:41], v[30:31], v[130:131]
	v_fmac_f64_e32 v[40:41], v[32:33], v[132:133]
	v_add_f64 v[42:43], v[38:39], v[40:41]
	ds_read_b128 v[38:41], v232 offset:1632
	s_waitcnt vmcnt(34) lgkmcnt(1)
	v_mul_f64 v[44:45], v[34:35], v[168:169]
	s_waitcnt vmcnt(32)
	v_fmac_f64_e32 v[44:45], v[36:37], v[172:173]
	v_add_f64 v[46:47], v[42:43], v[44:45]
	ds_read_b128 v[42:45], v232 offset:1648
	s_waitcnt lgkmcnt(1)
	v_mul_f64 v[48:49], v[38:39], v[136:137]
	v_fmac_f64_e32 v[48:49], v[40:41], v[140:141]
	v_add_f64 v[50:51], v[46:47], v[48:49]
	ds_read_b128 v[46:49], v232 offset:1664
	s_waitcnt vmcnt(26) lgkmcnt(1)
	v_mul_f64 v[52:53], v[42:43], v[176:177]
	s_waitcnt vmcnt(24)
	v_fmac_f64_e32 v[52:53], v[44:45], v[178:179]
	v_add_f64 v[250:251], v[50:51], v[52:53]
	ds_read_b128 v[50:53], v232 offset:1680
	buffer_load_dword v125, off, s[0:3], 0 offset:828
	buffer_load_dword v124, off, s[0:3], 0 offset:824
	;; [unrolled: 1-line block ×20, first 2 shown]
	v_mul_f64 v[4:5], v[116:117], v[62:63]
	v_fma_f64 v[6:7], v[114:115], v[56:57], -v[4:5]
	v_mul_f64 v[56:57], v[214:215], v[220:221]
	v_fma_f64 v[100:101], v[212:213], v[100:101], -v[56:57]
	v_mul_f64 v[56:57], v[218:219], v[68:69]
	v_fma_f64 v[98:99], v[216:217], v[98:99], -v[56:57]
	buffer_load_dword v214, off, s[0:3], 0 offset:904
	buffer_load_dword v216, off, s[0:3], 0 offset:896
	buffer_load_dword v215, off, s[0:3], 0 offset:908
	buffer_load_dword v217, off, s[0:3], 0 offset:900
	buffer_load_dword v212, off, s[0:3], 0 offset:936
	buffer_load_dword v221, off, s[0:3], 0 offset:924
	buffer_load_dword v220, off, s[0:3], 0 offset:920
	buffer_load_dword v223, off, s[0:3], 0 offset:916
	buffer_load_dword v222, off, s[0:3], 0 offset:912
	buffer_load_dword v218, off, s[0:3], 0 offset:928
	buffer_load_dword v213, off, s[0:3], 0 offset:940
	buffer_load_dword v219, off, s[0:3], 0 offset:932
	s_waitcnt lgkmcnt(1)
	v_mul_f64 v[54:55], v[46:47], v[144:145]
	v_fmac_f64_e32 v[54:55], v[48:49], v[148:149]
	v_fma_f64 v[8:9], v[110:111], v[58:59], -v[60:61]
	v_add_f64 v[58:59], v[250:251], v[54:55]
	v_mul_f64 v[54:55], v[226:227], v[64:65]
	v_fma_f64 v[250:251], v[224:225], v[66:67], -v[54:55]
	buffer_load_dword v225, off, s[0:3], 0 offset:956
	buffer_load_dword v224, off, s[0:3], 0 offset:952
	;; [unrolled: 1-line block ×4, first 2 shown]
	s_waitcnt vmcnt(54) lgkmcnt(0)
	v_mul_f64 v[60:61], v[50:51], v[180:181]
	ds_read_b128 v[54:57], v232 offset:1696
	s_waitcnt vmcnt(52)
	v_fmac_f64_e32 v[60:61], v[52:53], v[182:183]
	v_add_f64 v[62:63], v[58:59], v[60:61]
	v_mul_f64 v[58:59], v[230:231], v[74:75]
	v_fma_f64 v[228:229], v[228:229], v[94:95], -v[58:59]
	ds_read_b128 v[58:61], v232 offset:1712
	s_waitcnt lgkmcnt(1)
	v_mul_f64 v[64:65], v[54:55], v[154:155]
	v_fmac_f64_e32 v[64:65], v[56:57], v[158:159]
	v_add_f64 v[74:75], v[62:63], v[64:65]
	ds_read_b128 v[62:65], v232 offset:1728
	v_mul_f64 v[66:67], v[236:237], v[70:71]
	s_waitcnt vmcnt(46) lgkmcnt(1)
	v_mul_f64 v[70:71], v[58:59], v[184:185]
	v_fma_f64 v[230:231], v[234:235], v[72:73], -v[66:67]
	ds_read_b128 v[66:69], v232 offset:1744
	s_waitcnt vmcnt(44)
	v_fmac_f64_e32 v[70:71], v[60:61], v[186:187]
	v_add_f64 v[74:75], v[74:75], v[70:71]
	v_mul_f64 v[70:71], v[240:241], v[76:77]
	v_fma_f64 v[240:241], v[238:239], v[88:89], -v[70:71]
	ds_read_b128 v[70:73], v232 offset:1760
	s_waitcnt lgkmcnt(2)
	v_mul_f64 v[94:95], v[62:63], v[162:163]
	v_fmac_f64_e32 v[94:95], v[64:65], v[166:167]
	s_waitcnt vmcnt(38) lgkmcnt(1)
	v_mul_f64 v[76:77], v[66:67], v[188:189]
	v_add_f64 v[74:75], v[74:75], v[94:95]
	s_waitcnt vmcnt(36)
	v_fmac_f64_e32 v[76:77], v[68:69], v[190:191]
	v_add_f64 v[74:75], v[74:75], v[76:77]
	v_fma_f64 v[4:5], v[242:243], v[80:81], -v[78:79]
	ds_read_b128 v[78:81], v232 offset:1792
	s_waitcnt lgkmcnt(1)
	v_mul_f64 v[76:77], v[70:71], v[170:171]
	v_fmac_f64_e32 v[76:77], v[72:73], v[174:175]
	v_add_f64 v[88:89], v[74:75], v[76:77]
	ds_read_b128 v[74:77], v232 offset:1776
	v_fma_f64 v[2:3], v[82:83], v[0:1], -v[84:85]
	ds_read_b128 v[82:85], v232 offset:1808
	v_mul_f64 v[92:93], v[92:93], v[96:97]
	v_fma_f64 v[0:1], v[90:91], v[102:103], -v[92:93]
	v_mul_f64 v[102:103], v[248:249], v[108:109]
	ds_read_b128 v[234:237], v232 offset:1856
	v_fma_f64 v[102:103], v[246:247], v[150:151], -v[102:103]
	v_accvgpr_write_b32 a193, v103
	v_accvgpr_write_b32 a192, v102
	v_mul_f64 v[102:103], v[254:255], v[104:105]
	v_fma_f64 v[252:253], v[252:253], v[106:107], -v[102:103]
	ds_read_b128 v[102:105], v232 offset:1888
	v_add_f64 v[8:9], v[8:9], 0
	v_add_f64 v[6:7], v[8:9], v[6:7]
	v_add_f64 v[6:7], v[6:7], v[100:101]
	v_add_f64 v[6:7], v[6:7], v[98:99]
	v_add_f64 v[6:7], v[6:7], v[250:251]
	ds_read_b128 v[90:93], v232 offset:1840
	v_add_f64 v[6:7], v[6:7], v[228:229]
	v_add_f64 v[6:7], v[6:7], v[230:231]
	;; [unrolled: 1-line block ×6, first 2 shown]
	s_waitcnt vmcnt(25) lgkmcnt(3)
	v_mul_f64 v[96:97], v[82:83], v[202:203]
	v_accvgpr_read_b32 v0, a192
	s_waitcnt vmcnt(23)
	v_fmac_f64_e32 v[96:97], v[84:85], v[208:209]
	v_accvgpr_read_b32 v1, a193
	v_mul_f64 v[94:95], v[74:75], v[124:125]
	v_add_f64 v[0:1], v[254:255], v[0:1]
	v_fmac_f64_e32 v[94:95], v[76:77], v[122:123]
	v_mul_f64 v[86:87], v[78:79], v[198:199]
	v_add_f64 v[88:89], v[88:89], v[94:95]
	v_fmac_f64_e32 v[86:87], v[80:81], v[200:201]
	v_add_f64 v[94:95], v[88:89], v[86:87]
	ds_read_b128 v[86:89], v232 offset:1824
	v_add_f64 v[94:95], v[94:95], v[96:97]
	v_mul_f64 v[2:3], v[120:121], v[134:135]
	v_add_f64 v[0:1], v[0:1], v[252:253]
	v_fma_f64 v[2:3], v[118:119], v[138:139], -v[2:3]
	s_waitcnt vmcnt(22) lgkmcnt(0)
	v_mul_f64 v[96:97], v[86:87], v[196:197]
	s_waitcnt vmcnt(20)
	v_fmac_f64_e32 v[96:97], v[88:89], v[206:207]
	v_add_f64 v[94:95], v[94:95], v[96:97]
	s_waitcnt vmcnt(18)
	v_mul_f64 v[96:97], v[90:91], v[204:205]
	s_waitcnt vmcnt(16)
	v_fmac_f64_e32 v[96:97], v[92:93], v[210:211]
	v_add_f64 v[108:109], v[94:95], v[96:97]
	ds_read_b128 v[94:97], v232 offset:1872
	s_waitcnt vmcnt(13)
	v_mul_f64 v[106:107], v[234:235], v[214:215]
	s_waitcnt vmcnt(12)
	v_fmac_f64_e32 v[106:107], v[236:237], v[216:217]
	v_add_f64 v[106:107], v[108:109], v[106:107]
	v_add_f64 v[0:1], v[0:1], v[2:3]
	s_waitcnt vmcnt(9) lgkmcnt(0)
	v_mul_f64 v[108:109], v[94:95], v[220:221]
	s_waitcnt vmcnt(7)
	v_fmac_f64_e32 v[108:109], v[96:97], v[222:223]
	v_add_f64 v[106:107], v[106:107], v[108:109]
	s_waitcnt vmcnt(5)
	v_mul_f64 v[108:109], v[102:103], v[212:213]
	s_waitcnt vmcnt(4)
	v_fmac_f64_e32 v[108:109], v[104:105], v[218:219]
	v_add_f64 v[110:111], v[106:107], v[108:109]
	ds_read_b128 v[106:109], v232 offset:1904
	buffer_load_dword v150, off, s[0:3], 0 offset:968
	buffer_load_dword v151, off, s[0:3], 0 offset:972
	;; [unrolled: 1-line block ×4, first 2 shown]
	v_accvgpr_read_b32 v2, a184
	v_accvgpr_read_b32 v3, a185
	;; [unrolled: 1-line block ×3, first 2 shown]
	s_waitcnt vmcnt(6) lgkmcnt(0)
	v_mul_f64 v[112:113], v[106:107], v[224:225]
	s_waitcnt vmcnt(4)
	v_fmac_f64_e32 v[112:113], v[108:109], v[226:227]
	v_add_f64 v[114:115], v[110:111], v[112:113]
	ds_read_b128 v[110:113], v232 offset:1920
	buffer_load_dword v243, off, s[0:3], 0 offset:988
	buffer_load_dword v242, off, s[0:3], 0 offset:984
	;; [unrolled: 1-line block ×4, first 2 shown]
	v_mul_f64 v[2:3], v[194:195], v[2:3]
	v_accvgpr_read_b32 v5, a187
	v_fma_f64 v[2:3], v[192:193], v[4:5], -v[2:3]
	v_add_f64 v[0:1], v[0:1], v[2:3]
	v_mul_f64 v[2:3], v[12:13], v[142:143]
	v_fma_f64 v[2:3], v[10:11], v[146:147], -v[2:3]
	v_add_f64 v[0:1], v[0:1], v[2:3]
	v_accvgpr_read_b32 v2, a188
	v_accvgpr_read_b32 v3, a189
	v_accvgpr_read_b32 v4, a190
	v_mul_f64 v[2:3], v[16:17], v[2:3]
	v_accvgpr_read_b32 v5, a191
	v_fma_f64 v[2:3], v[14:15], v[4:5], -v[2:3]
	v_add_f64 v[0:1], v[0:1], v[2:3]
	v_mul_f64 v[2:3], v[20:21], v[152:153]
	v_fma_f64 v[2:3], v[18:19], v[156:157], -v[2:3]
	v_add_f64 v[0:1], v[0:1], v[2:3]
	v_mul_f64 v[2:3], v[24:25], v[126:127]
	;; [unrolled: 3-line block ×19, first 2 shown]
	s_waitcnt vmcnt(6) lgkmcnt(0)
	v_mul_f64 v[116:117], v[110:111], v[150:151]
	v_fma_f64 v[2:3], v[90:91], v[210:211], -v[2:3]
	s_waitcnt vmcnt(4)
	v_fmac_f64_e32 v[116:117], v[112:113], v[238:239]
	v_add_f64 v[246:247], v[114:115], v[116:117]
	ds_read_b128 v[114:117], v232 offset:1936
	v_add_f64 v[0:1], v[0:1], v[2:3]
	v_mul_f64 v[2:3], v[236:237], v[214:215]
	v_fma_f64 v[2:3], v[234:235], v[216:217], -v[2:3]
	v_add_f64 v[0:1], v[0:1], v[2:3]
	s_waitcnt vmcnt(2) lgkmcnt(0)
	v_mul_f64 v[232:233], v[114:115], v[242:243]
	s_waitcnt vmcnt(0)
	v_fmac_f64_e32 v[232:233], v[116:117], v[244:245]
	v_add_f64 v[232:233], v[246:247], v[232:233]
	buffer_load_dword v248, off, s[0:3], 0 offset:304
	buffer_load_dword v249, off, s[0:3], 0 offset:308
	;; [unrolled: 1-line block ×4, first 2 shown]
	v_mul_f64 v[2:3], v[96:97], v[220:221]
	v_fma_f64 v[2:3], v[94:95], v[222:223], -v[2:3]
	v_add_f64 v[0:1], v[0:1], v[2:3]
	v_mul_f64 v[2:3], v[104:105], v[212:213]
	v_fma_f64 v[2:3], v[102:103], v[218:219], -v[2:3]
	v_add_f64 v[0:1], v[0:1], v[2:3]
	;; [unrolled: 3-line block ×5, first 2 shown]
	s_waitcnt vmcnt(2)
	v_add_f64 v[0:1], v[248:249], -v[0:1]
	s_waitcnt vmcnt(0)
	v_add_f64 v[2:3], v[246:247], -v[232:233]
	buffer_store_dword v1, off, s[0:3], 0 offset:308
	buffer_store_dword v0, off, s[0:3], 0 offset:304
	;; [unrolled: 1-line block ×4, first 2 shown]
	v_accvgpr_read_b32 v0, a182
	v_cmp_lt_u32_e32 vcc, 17, v0
	s_and_saveexec_b64 s[4:5], vcc
	s_cbranch_execz .LBB124_357
; %bb.356:
	v_accvgpr_read_b32 v0, a165
	buffer_load_dword v2, v0, s[0:3], 0 offen
	buffer_load_dword v3, v0, s[0:3], 0 offen offset:4
	buffer_load_dword v4, v0, s[0:3], 0 offen offset:8
	;; [unrolled: 1-line block ×3, first 2 shown]
	v_mov_b32_e32 v0, 0
	v_accvgpr_read_b32 v1, a183
	buffer_store_dword v0, off, s[0:3], 0 offset:288
	buffer_store_dword v0, off, s[0:3], 0 offset:292
	;; [unrolled: 1-line block ×4, first 2 shown]
	s_waitcnt vmcnt(4)
	ds_write_b128 v1, v[2:5]
.LBB124_357:
	s_or_b64 exec, exec, s[4:5]
	s_waitcnt lgkmcnt(0)
	; wave barrier
	s_waitcnt lgkmcnt(0)
	buffer_load_dword v50, off, s[0:3], 0 offset:304
	buffer_load_dword v51, off, s[0:3], 0 offset:308
	;; [unrolled: 1-line block ×54, first 2 shown]
	v_mov_b32_e32 v236, 0
	ds_read_b128 v[102:105], v236 offset:1264
	ds_read_b128 v[106:109], v236 offset:1280
	;; [unrolled: 1-line block ×9, first 2 shown]
	s_waitcnt vmcnt(46) lgkmcnt(7)
	v_mul_f64 v[2:3], v[106:107], v[58:59]
	v_fmac_f64_e32 v[2:3], v[108:109], v[52:53]
	s_waitcnt vmcnt(44) lgkmcnt(6)
	v_mul_f64 v[4:5], v[110:111], v[54:55]
	s_waitcnt vmcnt(42) lgkmcnt(4)
	v_mul_f64 v[8:9], v[208:209], v[62:63]
	s_waitcnt vmcnt(40)
	v_fmac_f64_e32 v[8:9], v[210:211], v[60:61]
	s_waitcnt vmcnt(38)
	v_mul_f64 v[6:7], v[114:115], v[64:65]
	s_waitcnt vmcnt(36) lgkmcnt(2)
	v_mul_f64 v[12:13], v[228:229], v[66:67]
	s_waitcnt vmcnt(34)
	v_fmac_f64_e32 v[12:13], v[230:231], v[70:71]
	s_waitcnt vmcnt(32)
	;; [unrolled: 6-line block ×3, first 2 shown]
	v_fmac_f64_e32 v[6:7], v[116:117], v[212:213]
	s_waitcnt vmcnt(24)
	v_fmac_f64_e32 v[10:11], v[226:227], v[78:79]
	s_waitcnt vmcnt(22)
	;; [unrolled: 2-line block ×3, first 2 shown]
	v_pk_mov_b32 v[16:17], v[0:1], v[0:1] op_sel:[0,1]
	v_mul_f64 v[0:1], v[102:103], v[56:57]
	v_fmac_f64_e32 v[0:1], v[104:105], v[50:51]
	v_add_f64 v[0:1], v[0:1], 0
	v_add_f64 v[0:1], v[0:1], v[2:3]
	;; [unrolled: 1-line block ×7, first 2 shown]
	buffer_load_dword v1, off, s[0:3], 0 offset:532
	buffer_load_dword v0, off, s[0:3], 0 offset:528
	v_add_f64 v[2:3], v[2:3], v[14:15]
	v_accvgpr_write_b32 a185, v17
	v_accvgpr_write_b32 a184, v16
	v_mul_f64 v[56:57], v[104:105], v[56:57]
	s_waitcnt vmcnt(0)
	v_pk_mov_b32 v[18:19], v[0:1], v[0:1] op_sel:[0,1]
	buffer_load_dword v181, off, s[0:3], 0 offset:524
	buffer_load_dword v180, off, s[0:3], 0 offset:520
	;; [unrolled: 1-line block ×6, first 2 shown]
	v_accvgpr_write_b32 a187, v19
	v_accvgpr_write_b32 a186, v18
	s_waitcnt vmcnt(0)
	v_pk_mov_b32 v[22:23], v[4:5], v[4:5] op_sel:[0,1]
	buffer_load_dword v5, off, s[0:3], 0 offset:564
	buffer_load_dword v4, off, s[0:3], 0 offset:560
	;; [unrolled: 1-line block ×54, first 2 shown]
	ds_read_b128 v[242:245], v236 offset:1408
	ds_read_b128 v[246:249], v236 offset:1424
	;; [unrolled: 1-line block ×7, first 2 shown]
	v_accvgpr_write_b32 a189, v23
	v_accvgpr_write_b32 a188, v22
	s_waitcnt lgkmcnt(2)
	v_mul_f64 v[8:9], v[80:81], v[180:181]
	v_fmac_f64_e32 v[8:9], v[82:83], v[0:1]
	s_waitcnt lgkmcnt(1)
	v_mul_f64 v[12:13], v[126:127], v[16:17]
	v_fmac_f64_e32 v[12:13], v[128:129], v[18:19]
	s_waitcnt vmcnt(52)
	v_pk_mov_b32 v[24:25], v[4:5], v[4:5] op_sel:[0,1]
	v_mul_f64 v[4:5], v[238:239], v[74:75]
	v_fmac_f64_e32 v[4:5], v[240:241], v[84:85]
	v_add_f64 v[2:3], v[2:3], v[4:5]
	v_mul_f64 v[4:5], v[242:243], v[90:91]
	v_fmac_f64_e32 v[4:5], v[244:245], v[92:93]
	v_add_f64 v[2:3], v[2:3], v[4:5]
	;; [unrolled: 3-line block ×5, first 2 shown]
	v_add_f64 v[10:11], v[6:7], v[8:9]
	v_add_f64 v[14:15], v[10:11], v[12:13]
	ds_read_b128 v[10:13], v236 offset:1520
	s_waitcnt vmcnt(50) lgkmcnt(1)
	v_mul_f64 v[16:17], v[122:123], v[138:139]
	s_waitcnt vmcnt(48)
	v_fmac_f64_e32 v[16:17], v[124:125], v[142:143]
	v_add_f64 v[18:19], v[14:15], v[16:17]
	ds_read_b128 v[14:17], v236 offset:1536
	s_waitcnt lgkmcnt(1)
	v_mul_f64 v[20:21], v[10:11], v[22:23]
	v_fmac_f64_e32 v[20:21], v[12:13], v[24:25]
	v_add_f64 v[22:23], v[18:19], v[20:21]
	ds_read_b128 v[18:21], v236 offset:1552
	v_accvgpr_write_b32 a191, v25
	v_accvgpr_write_b32 a190, v24
	s_waitcnt vmcnt(42) lgkmcnt(1)
	v_mul_f64 v[24:25], v[14:15], v[146:147]
	s_waitcnt vmcnt(40)
	v_fmac_f64_e32 v[24:25], v[16:17], v[152:153]
	s_waitcnt lgkmcnt(0)
	v_mul_f64 v[28:29], v[18:19], v[254:255]
	v_add_f64 v[26:27], v[22:23], v[24:25]
	ds_read_b128 v[22:25], v236 offset:1568
	v_fmac_f64_e32 v[28:29], v[20:21], v[150:151]
	v_add_f64 v[30:31], v[26:27], v[28:29]
	ds_read_b128 v[26:29], v236 offset:1584
	v_fma_f64 v[6:7], v[102:103], v[50:51], -v[56:57]
	s_waitcnt vmcnt(34) lgkmcnt(1)
	v_mul_f64 v[32:33], v[22:23], v[156:157]
	s_waitcnt vmcnt(32)
	v_fmac_f64_e32 v[32:33], v[24:25], v[160:161]
	v_add_f64 v[34:35], v[30:31], v[32:33]
	s_waitcnt lgkmcnt(0)
	v_mul_f64 v[36:37], v[26:27], v[130:131]
	ds_read_b128 v[30:33], v236 offset:1600
	v_fmac_f64_e32 v[36:37], v[28:29], v[132:133]
	v_add_f64 v[38:39], v[34:35], v[36:37]
	ds_read_b128 v[34:37], v236 offset:1616
	v_mul_f64 v[50:51], v[108:109], v[58:59]
	s_waitcnt vmcnt(26) lgkmcnt(1)
	v_mul_f64 v[40:41], v[30:31], v[164:165]
	s_waitcnt vmcnt(24)
	v_fmac_f64_e32 v[40:41], v[32:33], v[166:167]
	v_add_f64 v[42:43], v[38:39], v[40:41]
	s_waitcnt lgkmcnt(0)
	v_mul_f64 v[44:45], v[34:35], v[134:135]
	v_fmac_f64_e32 v[44:45], v[36:37], v[136:137]
	ds_read_b128 v[38:41], v236 offset:1632
	v_add_f64 v[46:47], v[42:43], v[44:45]
	ds_read_b128 v[42:45], v236 offset:1648
	buffer_load_dword v9, off, s[0:3], 0 offset:796
	buffer_load_dword v183, off, s[0:3], 0 offset:780
	;; [unrolled: 1-line block ×8, first 2 shown]
	v_fma_f64 v[102:103], v[106:107], v[52:53], -v[50:51]
	s_waitcnt vmcnt(26) lgkmcnt(1)
	v_mul_f64 v[48:49], v[38:39], v[168:169]
	s_waitcnt vmcnt(24)
	v_fmac_f64_e32 v[48:49], v[40:41], v[170:171]
	v_add_f64 v[192:193], v[46:47], v[48:49]
	ds_read_b128 v[46:49], v236 offset:1664
	buffer_load_dword v189, off, s[0:3], 0 offset:812
	buffer_load_dword v188, off, s[0:3], 0 offset:808
	;; [unrolled: 1-line block ×4, first 2 shown]
	s_waitcnt lgkmcnt(1)
	v_mul_f64 v[194:195], v[42:43], v[140:141]
	v_fmac_f64_e32 v[194:195], v[44:45], v[144:145]
	v_add_f64 v[2:3], v[192:193], v[194:195]
	buffer_load_dword v193, off, s[0:3], 0 offset:828
	buffer_load_dword v192, off, s[0:3], 0 offset:824
	;; [unrolled: 1-line block ×12, first 2 shown]
	v_mul_f64 v[50:51], v[112:113], v[54:55]
	v_fma_f64 v[104:105], v[110:111], v[204:205], -v[50:51]
	buffer_load_dword v205, off, s[0:3], 0 offset:876
	buffer_load_dword v204, off, s[0:3], 0 offset:872
	;; [unrolled: 1-line block ×4, first 2 shown]
	v_mul_f64 v[50:51], v[116:117], v[64:65]
	v_fma_f64 v[106:107], v[114:115], v[212:213], -v[50:51]
	v_mul_f64 v[50:51], v[210:211], v[62:63]
	buffer_load_dword v211, off, s[0:3], 0 offset:892
	buffer_load_dword v210, off, s[0:3], 0 offset:888
	buffer_load_dword v213, off, s[0:3], 0 offset:884
	buffer_load_dword v212, off, s[0:3], 0 offset:880
	v_fma_f64 v[108:109], v[208:209], v[60:61], -v[50:51]
	buffer_load_dword v209, off, s[0:3], 0 offset:924
	buffer_load_dword v215, off, s[0:3], 0 offset:908
	;; [unrolled: 1-line block ×12, first 2 shown]
	ds_read_b128 v[50:53], v236 offset:1680
	v_mul_f64 v[54:55], v[226:227], v[76:77]
	v_fma_f64 v[78:79], v[224:225], v[78:79], -v[54:55]
	ds_read_b128 v[54:57], v236 offset:1696
	s_waitcnt vmcnt(54) lgkmcnt(2)
	v_mul_f64 v[58:59], v[46:47], v[172:173]
	s_waitcnt vmcnt(52)
	v_fmac_f64_e32 v[58:59], v[48:49], v[174:175]
	v_add_f64 v[2:3], v[2:3], v[58:59]
	s_waitcnt lgkmcnt(1)
	v_mul_f64 v[58:59], v[50:51], v[148:149]
	v_fmac_f64_e32 v[58:59], v[52:53], v[154:155]
	v_add_f64 v[2:3], v[2:3], v[58:59]
	s_waitcnt vmcnt(46) lgkmcnt(0)
	v_mul_f64 v[58:59], v[54:55], v[176:177]
	s_waitcnt vmcnt(44)
	v_fmac_f64_e32 v[58:59], v[56:57], v[178:179]
	v_add_f64 v[2:3], v[2:3], v[58:59]
	ds_read_b128 v[58:61], v236 offset:1712
	v_mul_f64 v[62:63], v[230:231], v[66:67]
	v_fma_f64 v[226:227], v[228:229], v[70:71], -v[62:63]
	ds_read_b128 v[62:65], v236 offset:1728
	v_mul_f64 v[66:67], v[234:235], v[68:69]
	v_fma_f64 v[228:229], v[232:233], v[72:73], -v[66:67]
	ds_read_b128 v[66:69], v236 offset:1744
	s_waitcnt lgkmcnt(2)
	v_mul_f64 v[70:71], v[58:59], v[158:159]
	v_fmac_f64_e32 v[70:71], v[60:61], v[162:163]
	v_add_f64 v[2:3], v[2:3], v[70:71]
	v_mul_f64 v[74:75], v[240:241], v[74:75]
	v_fma_f64 v[84:85], v[238:239], v[84:85], -v[74:75]
	ds_read_b128 v[74:77], v236 offset:1776
	v_mul_f64 v[90:91], v[244:245], v[90:91]
	ds_read_b128 v[238:241], v236 offset:1808
	v_fma_f64 v[4:5], v[242:243], v[92:93], -v[90:91]
	v_mul_f64 v[86:87], v[248:249], v[86:87]
	v_fma_f64 v[246:247], v[246:247], v[88:89], -v[86:87]
	ds_read_b128 v[86:89], v236 offset:1824
	v_mul_f64 v[94:95], v[120:121], v[94:95]
	buffer_load_dword v224, off, s[0:3], 0 offset:952
	v_add_f64 v[6:7], v[6:7], 0
	v_add_f64 v[6:7], v[6:7], v[102:103]
	;; [unrolled: 1-line block ×3, first 2 shown]
	ds_read_b128 v[232:235], v236 offset:1792
	v_add_f64 v[6:7], v[6:7], v[106:107]
	v_add_f64 v[6:7], v[6:7], v[108:109]
	;; [unrolled: 1-line block ×8, first 2 shown]
	v_accvgpr_read_b32 v6, a184
	v_accvgpr_read_b32 v7, a185
	v_accvgpr_read_b32 v78, a186
	v_mul_f64 v[6:7], v[128:129], v[6:7]
	v_accvgpr_read_b32 v79, a187
	v_fma_f64 v[6:7], v[126:127], v[78:79], -v[6:7]
	s_waitcnt vmcnt(42) lgkmcnt(5)
	v_mul_f64 v[70:71], v[62:63], v[182:183]
	s_waitcnt vmcnt(40)
	v_fmac_f64_e32 v[70:71], v[64:65], v[186:187]
	v_add_f64 v[2:3], v[2:3], v[70:71]
	s_waitcnt vmcnt(39) lgkmcnt(4)
	v_mul_f64 v[70:71], v[66:67], v[8:9]
	s_waitcnt vmcnt(37)
	v_fmac_f64_e32 v[70:71], v[68:69], v[184:185]
	v_add_f64 v[2:3], v[2:3], v[70:71]
	ds_read_b128 v[70:73], v236 offset:1760
	s_waitcnt vmcnt(31) lgkmcnt(4)
	v_mul_f64 v[90:91], v[74:75], v[192:193]
	s_waitcnt vmcnt(29)
	v_fmac_f64_e32 v[90:91], v[76:77], v[196:197]
	s_waitcnt lgkmcnt(0)
	v_mul_f64 v[110:111], v[70:71], v[188:189]
	v_fmac_f64_e32 v[110:111], v[72:73], v[190:191]
	v_add_f64 v[2:3], v[2:3], v[110:111]
	v_add_f64 v[2:3], v[2:3], v[90:91]
	s_waitcnt vmcnt(27)
	v_mul_f64 v[90:91], v[232:233], v[194:195]
	s_waitcnt vmcnt(25)
	v_fmac_f64_e32 v[90:91], v[234:235], v[198:199]
	v_add_f64 v[2:3], v[2:3], v[90:91]
	s_waitcnt vmcnt(22)
	v_mul_f64 v[90:91], v[238:239], v[200:201]
	s_waitcnt vmcnt(21)
	v_fmac_f64_e32 v[90:91], v[240:241], v[202:203]
	v_add_f64 v[2:3], v[2:3], v[90:91]
	v_mul_f64 v[90:91], v[252:253], v[98:99]
	v_fma_f64 v[248:249], v[250:251], v[100:101], -v[90:91]
	ds_read_b128 v[90:93], v236 offset:1840
	s_waitcnt vmcnt(19)
	v_mul_f64 v[98:99], v[86:87], v[204:205]
	s_waitcnt vmcnt(17)
	v_fmac_f64_e32 v[98:99], v[88:89], v[206:207]
	v_add_f64 v[2:3], v[2:3], v[98:99]
	v_fma_f64 v[252:253], v[118:119], v[96:97], -v[94:95]
	ds_read_b128 v[94:97], v236 offset:1856
	s_waitcnt vmcnt(15) lgkmcnt(1)
	v_mul_f64 v[98:99], v[90:91], v[210:211]
	s_waitcnt vmcnt(13)
	v_fmac_f64_e32 v[98:99], v[92:93], v[212:213]
	v_add_f64 v[110:111], v[2:3], v[98:99]
	v_mul_f64 v[2:3], v[82:83], v[180:181]
	ds_read_b128 v[98:101], v236 offset:1872
	v_fma_f64 v[0:1], v[80:81], v[0:1], -v[2:3]
	v_accvgpr_write_b32 a193, v1
	v_accvgpr_write_b32 a192, v0
	ds_read_b128 v[0:3], v236 offset:1888
	buffer_load_dword v118, off, s[0:3], 0 offset:944
	buffer_load_dword v225, off, s[0:3], 0 offset:956
	;; [unrolled: 1-line block ×3, first 2 shown]
	s_waitcnt vmcnt(13) lgkmcnt(2)
	v_mul_f64 v[80:81], v[94:95], v[214:215]
	s_waitcnt vmcnt(11)
	v_fmac_f64_e32 v[80:81], v[96:97], v[220:221]
	s_waitcnt vmcnt(10) lgkmcnt(1)
	v_mul_f64 v[82:83], v[98:99], v[208:209]
	v_add_f64 v[80:81], v[110:111], v[80:81]
	s_waitcnt vmcnt(8)
	v_fmac_f64_e32 v[82:83], v[100:101], v[218:219]
	v_add_f64 v[80:81], v[80:81], v[82:83]
	s_waitcnt vmcnt(6) lgkmcnt(0)
	v_mul_f64 v[82:83], v[0:1], v[216:217]
	s_waitcnt vmcnt(4)
	v_fmac_f64_e32 v[82:83], v[2:3], v[222:223]
	v_add_f64 v[110:111], v[80:81], v[82:83]
	ds_read_b128 v[80:83], v236 offset:1904
	buffer_load_dword v121, off, s[0:3], 0 offset:972
	buffer_load_dword v120, off, s[0:3], 0 offset:968
	;; [unrolled: 1-line block ×4, first 2 shown]
	v_add_f64 v[4:5], v[4:5], v[248:249]
	v_add_f64 v[252:253], v[4:5], v[252:253]
	v_accvgpr_read_b32 v4, a192
	v_accvgpr_read_b32 v5, a193
	v_add_f64 v[4:5], v[252:253], v[4:5]
	v_add_f64 v[4:5], v[4:5], v[6:7]
	v_mul_f64 v[6:7], v[124:125], v[138:139]
	v_fma_f64 v[6:7], v[122:123], v[142:143], -v[6:7]
	v_add_f64 v[4:5], v[4:5], v[6:7]
	v_accvgpr_read_b32 v6, a188
	v_accvgpr_read_b32 v7, a189
	v_mul_f64 v[6:7], v[12:13], v[6:7]
	v_accvgpr_read_b32 v12, a190
	v_accvgpr_read_b32 v13, a191
	v_fma_f64 v[6:7], v[10:11], v[12:13], -v[6:7]
	v_add_f64 v[4:5], v[4:5], v[6:7]
	v_mul_f64 v[6:7], v[16:17], v[146:147]
	v_fma_f64 v[6:7], v[14:15], v[152:153], -v[6:7]
	v_add_f64 v[4:5], v[4:5], v[6:7]
	v_mul_f64 v[6:7], v[20:21], v[254:255]
	;; [unrolled: 3-line block ×17, first 2 shown]
	v_fma_f64 v[6:7], v[232:233], v[198:199], -v[6:7]
	v_add_f64 v[4:5], v[4:5], v[6:7]
	s_waitcnt vmcnt(5) lgkmcnt(0)
	v_mul_f64 v[112:113], v[80:81], v[224:225]
	s_waitcnt vmcnt(4)
	v_fmac_f64_e32 v[112:113], v[82:83], v[118:119]
	v_add_f64 v[114:115], v[110:111], v[112:113]
	ds_read_b128 v[110:113], v236 offset:1920
	buffer_load_dword v242, off, s[0:3], 0 offset:984
	buffer_load_dword v243, off, s[0:3], 0 offset:988
	;; [unrolled: 1-line block ×4, first 2 shown]
	v_mul_f64 v[6:7], v[240:241], v[200:201]
	v_fma_f64 v[6:7], v[238:239], v[202:203], -v[6:7]
	v_add_f64 v[4:5], v[4:5], v[6:7]
	v_mul_f64 v[6:7], v[88:89], v[204:205]
	v_fma_f64 v[6:7], v[86:87], v[206:207], -v[6:7]
	s_waitcnt vmcnt(6) lgkmcnt(0)
	v_mul_f64 v[116:117], v[110:111], v[120:121]
	v_add_f64 v[4:5], v[4:5], v[6:7]
	s_waitcnt vmcnt(4)
	v_fmac_f64_e32 v[116:117], v[112:113], v[230:231]
	v_add_f64 v[180:181], v[114:115], v[116:117]
	ds_read_b128 v[114:117], v236 offset:1936
	buffer_load_dword v248, off, s[0:3], 0 offset:288
	buffer_load_dword v249, off, s[0:3], 0 offset:292
	;; [unrolled: 1-line block ×4, first 2 shown]
	v_mul_f64 v[6:7], v[92:93], v[210:211]
	v_fma_f64 v[6:7], v[90:91], v[212:213], -v[6:7]
	v_add_f64 v[4:5], v[4:5], v[6:7]
	v_mul_f64 v[6:7], v[96:97], v[214:215]
	v_fma_f64 v[6:7], v[94:95], v[220:221], -v[6:7]
	v_add_f64 v[4:5], v[4:5], v[6:7]
	v_mul_f64 v[6:7], v[100:101], v[208:209]
	v_fma_f64 v[6:7], v[98:99], v[218:219], -v[6:7]
	v_mul_f64 v[2:3], v[2:3], v[216:217]
	v_add_f64 v[4:5], v[4:5], v[6:7]
	v_fma_f64 v[0:1], v[0:1], v[222:223], -v[2:3]
	v_mul_f64 v[2:3], v[82:83], v[224:225]
	v_add_f64 v[0:1], v[4:5], v[0:1]
	v_fma_f64 v[2:3], v[80:81], v[118:119], -v[2:3]
	v_add_f64 v[0:1], v[0:1], v[2:3]
	v_mul_f64 v[2:3], v[112:113], v[120:121]
	v_fma_f64 v[2:3], v[110:111], v[230:231], -v[2:3]
	v_add_f64 v[0:1], v[0:1], v[2:3]
	s_waitcnt vmcnt(6) lgkmcnt(0)
	v_mul_f64 v[2:3], v[116:117], v[242:243]
	v_mul_f64 v[250:251], v[114:115], v[242:243]
	s_waitcnt vmcnt(4)
	v_fma_f64 v[2:3], v[114:115], v[244:245], -v[2:3]
	v_fmac_f64_e32 v[250:251], v[116:117], v[244:245]
	v_add_f64 v[0:1], v[0:1], v[2:3]
	v_add_f64 v[180:181], v[180:181], v[250:251]
	s_waitcnt vmcnt(2)
	v_add_f64 v[0:1], v[248:249], -v[0:1]
	s_waitcnt vmcnt(0)
	v_add_f64 v[2:3], v[246:247], -v[180:181]
	buffer_store_dword v1, off, s[0:3], 0 offset:292
	buffer_store_dword v0, off, s[0:3], 0 offset:288
	;; [unrolled: 1-line block ×4, first 2 shown]
	v_accvgpr_read_b32 v0, a182
	v_cmp_lt_u32_e32 vcc, 16, v0
	s_and_saveexec_b64 s[4:5], vcc
	s_cbranch_execz .LBB124_359
; %bb.358:
	v_accvgpr_read_b32 v0, a166
	buffer_load_dword v2, v0, s[0:3], 0 offen
	buffer_load_dword v3, v0, s[0:3], 0 offen offset:4
	buffer_load_dword v4, v0, s[0:3], 0 offen offset:8
	;; [unrolled: 1-line block ×3, first 2 shown]
	v_accvgpr_read_b32 v0, a183
	buffer_store_dword v236, off, s[0:3], 0 offset:272
	buffer_store_dword v236, off, s[0:3], 0 offset:276
	;; [unrolled: 1-line block ×4, first 2 shown]
	s_waitcnt vmcnt(4)
	ds_write_b128 v0, v[2:5]
.LBB124_359:
	s_or_b64 exec, exec, s[4:5]
	s_waitcnt lgkmcnt(0)
	; wave barrier
	s_waitcnt lgkmcnt(0)
	buffer_load_dword v186, off, s[0:3], 0 offset:288
	buffer_load_dword v187, off, s[0:3], 0 offset:292
	;; [unrolled: 1-line block ×36, first 2 shown]
	ds_read_b128 v[82:85], v236 offset:1248
	ds_read_b128 v[78:81], v236 offset:1264
	;; [unrolled: 1-line block ×9, first 2 shown]
	buffer_load_dword v227, off, s[0:3], 0 offset:460
	buffer_load_dword v226, off, s[0:3], 0 offset:456
	;; [unrolled: 1-line block ×19, first 2 shown]
	s_waitcnt vmcnt(51) lgkmcnt(8)
	v_mul_f64 v[0:1], v[82:83], v[194:195]
	v_fmac_f64_e32 v[0:1], v[84:85], v[186:187]
	v_add_f64 v[0:1], v[0:1], 0
	v_mul_f64 v[84:85], v[84:85], v[194:195]
	s_waitcnt vmcnt(47) lgkmcnt(7)
	v_mul_f64 v[2:3], v[78:79], v[198:199]
	v_fmac_f64_e32 v[2:3], v[80:81], v[196:197]
	v_add_f64 v[0:1], v[0:1], v[2:3]
	buffer_load_dword v244, off, s[0:3], 0 offset:512
	buffer_load_dword v255, off, s[0:3], 0 offset:508
	;; [unrolled: 1-line block ×7, first 2 shown]
	s_waitcnt vmcnt(52) lgkmcnt(6)
	v_mul_f64 v[4:5], v[74:75], v[202:203]
	s_waitcnt vmcnt(50) lgkmcnt(4)
	v_mul_f64 v[8:9], v[62:63], v[212:213]
	s_waitcnt vmcnt(48)
	v_fmac_f64_e32 v[8:9], v[64:65], v[214:215]
	v_mul_f64 v[80:81], v[80:81], v[198:199]
	s_waitcnt vmcnt(46)
	v_mul_f64 v[6:7], v[70:71], v[204:205]
	v_mul_f64 v[64:65], v[64:65], v[212:213]
	s_waitcnt vmcnt(44) lgkmcnt(2)
	v_mul_f64 v[12:13], v[54:55], v[104:105]
	v_fma_f64 v[212:213], v[62:63], v[214:215], -v[64:65]
	s_waitcnt vmcnt(42)
	v_fmac_f64_e32 v[12:13], v[56:57], v[108:109]
	v_mul_f64 v[56:57], v[56:57], v[104:105]
	s_waitcnt vmcnt(40)
	v_mul_f64 v[10:11], v[50:51], v[112:113]
	s_waitcnt vmcnt(38) lgkmcnt(1)
	v_mul_f64 v[14:15], v[58:59], v[106:107]
	s_waitcnt vmcnt(36)
	v_fmac_f64_e32 v[4:5], v[76:77], v[200:201]
	v_add_f64 v[0:1], v[0:1], v[4:5]
	s_waitcnt vmcnt(34)
	v_fmac_f64_e32 v[6:7], v[72:73], v[116:117]
	v_add_f64 v[0:1], v[0:1], v[6:7]
	v_add_f64 v[0:1], v[0:1], v[8:9]
	s_waitcnt vmcnt(32)
	v_fmac_f64_e32 v[10:11], v[52:53], v[114:115]
	v_add_f64 v[0:1], v[0:1], v[10:11]
	;; [unrolled: 4-line block ×3, first 2 shown]
	v_mul_f64 v[76:77], v[76:77], v[202:203]
	v_mul_f64 v[72:73], v[72:73], v[204:205]
	;; [unrolled: 1-line block ×4, first 2 shown]
	v_fma_f64 v[116:117], v[70:71], v[116:117], -v[72:73]
	s_waitcnt vmcnt(0)
	v_pk_mov_b32 v[4:5], v[2:3], v[2:3] op_sel:[0,1]
	buffer_load_dword v3, off, s[0:3], 0 offset:548
	buffer_load_dword v2, off, s[0:3], 0 offset:544
	v_accvgpr_write_b32 a185, v5
	v_accvgpr_write_b32 a184, v4
	s_waitcnt vmcnt(0)
	v_pk_mov_b32 v[8:9], v[2:3], v[2:3] op_sel:[0,1]
	buffer_load_dword v239, off, s[0:3], 0 offset:540
	buffer_load_dword v238, off, s[0:3], 0 offset:536
	;; [unrolled: 1-line block ×6, first 2 shown]
	v_accvgpr_write_b32 a187, v9
	v_accvgpr_write_b32 a186, v8
	s_waitcnt vmcnt(0)
	v_pk_mov_b32 v[12:13], v[2:3], v[2:3] op_sel:[0,1]
	buffer_load_dword v3, off, s[0:3], 0 offset:580
	buffer_load_dword v2, off, s[0:3], 0 offset:576
	v_accvgpr_write_b32 a189, v13
	v_accvgpr_write_b32 a188, v12
	s_waitcnt vmcnt(0)
	v_pk_mov_b32 v[24:25], v[2:3], v[2:3] op_sel:[0,1]
	buffer_load_dword v143, off, s[0:3], 0 offset:572
	buffer_load_dword v142, off, s[0:3], 0 offset:568
	;; [unrolled: 1-line block ×6, first 2 shown]
	v_accvgpr_write_b32 a191, v25
	v_accvgpr_write_b32 a190, v24
	s_waitcnt vmcnt(0)
	v_pk_mov_b32 v[32:33], v[2:3], v[2:3] op_sel:[0,1]
	buffer_load_dword v3, off, s[0:3], 0 offset:612
	buffer_load_dword v2, off, s[0:3], 0 offset:608
	v_accvgpr_write_b32 a193, v33
	v_accvgpr_write_b32 a192, v32
	s_waitcnt vmcnt(0)
	v_pk_mov_b32 v[34:35], v[2:3], v[2:3] op_sel:[0,1]
	buffer_load_dword v153, off, s[0:3], 0 offset:604
	buffer_load_dword v152, off, s[0:3], 0 offset:600
	;; [unrolled: 1-line block ×36, first 2 shown]
	ds_read_b128 v[250:253], v236 offset:1392
	ds_read_b128 v[118:121], v236 offset:1408
	;; [unrolled: 1-line block ×9, first 2 shown]
	v_accvgpr_write_b32 a195, v35
	s_waitcnt lgkmcnt(3)
	v_mul_f64 v[6:7], v[98:99], v[242:243]
	v_fmac_f64_e32 v[6:7], v[100:101], v[244:245]
	s_waitcnt lgkmcnt(2)
	v_mul_f64 v[10:11], v[130:131], v[238:239]
	v_fmac_f64_e32 v[10:11], v[132:133], v[138:139]
	;; [unrolled: 3-line block ×3, first 2 shown]
	v_accvgpr_write_b32 a194, v34
	v_fma_f64 v[8:9], v[54:55], v[108:109], -v[56:57]
	v_mul_f64 v[70:71], v[252:253], v[230:231]
	v_mul_f64 v[100:101], v[100:101], v[242:243]
	s_waitcnt vmcnt(30)
	v_pk_mov_b32 v[40:41], v[2:3], v[2:3] op_sel:[0,1]
	v_mul_f64 v[2:3], v[66:67], v[102:103]
	v_fmac_f64_e32 v[2:3], v[68:69], v[224:225]
	v_add_f64 v[0:1], v[0:1], v[2:3]
	v_mul_f64 v[2:3], v[250:251], v[230:231]
	v_fmac_f64_e32 v[2:3], v[252:253], v[240:241]
	v_add_f64 v[0:1], v[0:1], v[2:3]
	;; [unrolled: 3-line block ×6, first 2 shown]
	v_add_f64 v[0:1], v[0:1], v[6:7]
	v_add_f64 v[0:1], v[0:1], v[10:11]
	;; [unrolled: 1-line block ×3, first 2 shown]
	ds_read_b128 v[14:17], v236 offset:1536
	s_waitcnt lgkmcnt(1)
	v_mul_f64 v[18:19], v[134:135], v[142:143]
	v_fmac_f64_e32 v[18:19], v[136:137], v[146:147]
	v_add_f64 v[0:1], v[0:1], v[18:19]
	ds_read_b128 v[18:21], v236 offset:1552
	s_waitcnt lgkmcnt(1)
	v_mul_f64 v[22:23], v[14:15], v[12:13]
	v_fmac_f64_e32 v[22:23], v[16:17], v[24:25]
	v_add_f64 v[0:1], v[0:1], v[22:23]
	;; [unrolled: 5-line block ×4, first 2 shown]
	ds_read_b128 v[30:33], v236 offset:1600
	s_waitcnt vmcnt(26) lgkmcnt(1)
	v_mul_f64 v[34:35], v[26:27], v[160:161]
	s_waitcnt vmcnt(24)
	v_fmac_f64_e32 v[34:35], v[28:29], v[162:163]
	v_add_f64 v[0:1], v[0:1], v[34:35]
	ds_read_b128 v[34:37], v236 offset:1616
	s_waitcnt lgkmcnt(1)
	v_mul_f64 v[38:39], v[30:31], v[40:41]
	v_accvgpr_write_b32 a197, v41
	v_fmac_f64_e32 v[38:39], v[32:33], v[150:151]
	v_accvgpr_write_b32 a196, v40
	v_add_f64 v[0:1], v[0:1], v[38:39]
	ds_read_b128 v[38:41], v236 offset:1632
	s_waitcnt vmcnt(18) lgkmcnt(1)
	v_mul_f64 v[42:43], v[34:35], v[164:165]
	s_waitcnt vmcnt(16)
	v_fmac_f64_e32 v[42:43], v[36:37], v[166:167]
	v_add_f64 v[46:47], v[0:1], v[42:43]
	ds_read_b128 v[42:45], v236 offset:1648
	buffer_load_dword v123, off, s[0:3], 0 offset:764
	buffer_load_dword v122, off, s[0:3], 0 offset:760
	;; [unrolled: 1-line block ×4, first 2 shown]
	s_waitcnt lgkmcnt(1)
	v_mul_f64 v[48:49], v[38:39], v[124:125]
	v_fmac_f64_e32 v[48:49], v[40:41], v[140:141]
	v_add_f64 v[180:181], v[46:47], v[48:49]
	ds_read_b128 v[46:49], v236 offset:1664
	buffer_load_dword v183, off, s[0:3], 0 offset:780
	buffer_load_dword v182, off, s[0:3], 0 offset:776
	;; [unrolled: 1-line block ×4, first 2 shown]
	s_waitcnt vmcnt(18) lgkmcnt(1)
	v_mul_f64 v[188:189], v[42:43], v[168:169]
	s_waitcnt vmcnt(16)
	v_fmac_f64_e32 v[188:189], v[44:45], v[170:171]
	v_add_f64 v[0:1], v[180:181], v[188:189]
	buffer_load_dword v181, off, s[0:3], 0 offset:812
	buffer_load_dword v189, off, s[0:3], 0 offset:796
	;; [unrolled: 1-line block ×8, first 2 shown]
	v_fma_f64 v[12:13], v[82:83], v[186:187], -v[84:85]
	buffer_load_dword v186, off, s[0:3], 0 offset:840
	buffer_load_dword v195, off, s[0:3], 0 offset:828
	;; [unrolled: 1-line block ×5, first 2 shown]
	v_fma_f64 v[82:83], v[78:79], v[196:197], -v[80:81]
	buffer_load_dword v196, off, s[0:3], 0 offset:832
	buffer_load_dword v187, off, s[0:3], 0 offset:844
	;; [unrolled: 1-line block ×3, first 2 shown]
	v_fma_f64 v[84:85], v[74:75], v[200:201], -v[76:77]
	buffer_load_dword v201, off, s[0:3], 0 offset:876
	buffer_load_dword v203, off, s[0:3], 0 offset:860
	;; [unrolled: 1-line block ×12, first 2 shown]
	v_fma_f64 v[10:11], v[50:51], v[114:115], -v[52:53]
	buffer_load_dword v215, off, s[0:3], 0 offset:908
	buffer_load_dword v214, off, s[0:3], 0 offset:904
	;; [unrolled: 1-line block ×12, first 2 shown]
	s_waitcnt lgkmcnt(0)
	v_mul_f64 v[50:51], v[46:47], v[144:145]
	v_fmac_f64_e32 v[50:51], v[48:49], v[148:149]
	v_add_f64 v[0:1], v[0:1], v[50:51]
	ds_read_b128 v[50:53], v236 offset:1680
	ds_read_b128 v[54:57], v236 offset:1696
	v_fma_f64 v[6:7], v[58:59], v[110:111], -v[60:61]
	ds_read_b128 v[58:61], v236 offset:1712
	v_mul_f64 v[68:69], v[68:69], v[102:103]
	s_waitcnt vmcnt(50) lgkmcnt(2)
	v_mul_f64 v[62:63], v[50:51], v[172:173]
	s_waitcnt vmcnt(48)
	v_fmac_f64_e32 v[62:63], v[52:53], v[174:175]
	v_add_f64 v[0:1], v[0:1], v[62:63]
	s_waitcnt lgkmcnt(1)
	v_mul_f64 v[62:63], v[54:55], v[154:155]
	v_fmac_f64_e32 v[62:63], v[56:57], v[158:159]
	v_add_f64 v[0:1], v[0:1], v[62:63]
	v_fma_f64 v[224:225], v[66:67], v[224:225], -v[68:69]
	ds_read_b128 v[66:69], v236 offset:1744
	v_fma_f64 v[240:241], v[250:251], v[240:241], -v[70:71]
	v_mul_f64 v[78:79], v[120:121], v[226:227]
	v_fma_f64 v[4:5], v[118:119], v[228:229], -v[78:79]
	v_mul_f64 v[88:89], v[88:89], v[232:233]
	v_fma_f64 v[2:3], v[86:87], v[234:235], -v[88:89]
	ds_read_b128 v[232:235], v236 offset:1808
	v_mul_f64 v[92:93], v[92:93], v[246:247]
	v_fma_f64 v[246:247], v[90:91], v[248:249], -v[92:93]
	ds_read_b128 v[90:93], v236 offset:1840
	ds_read_b128 v[118:121], v236 offset:1856
	v_mul_f64 v[96:97], v[96:97], v[254:255]
	v_fma_f64 v[250:251], v[94:95], v[176:177], -v[96:97]
	ds_read_b128 v[94:97], v236 offset:1872
	v_fma_f64 v[252:253], v[98:99], v[244:245], -v[100:101]
	v_add_f64 v[12:13], v[12:13], 0
	v_add_f64 v[12:13], v[12:13], v[82:83]
	;; [unrolled: 1-line block ×8, first 2 shown]
	ds_read_b128 v[70:73], v236 offset:1760
	v_add_f64 v[6:7], v[6:7], v[224:225]
	v_add_f64 v[6:7], v[6:7], v[240:241]
	;; [unrolled: 1-line block ×6, first 2 shown]
	v_mul_f64 v[4:5], v[132:133], v[238:239]
	v_add_f64 v[2:3], v[2:3], v[252:253]
	v_fma_f64 v[4:5], v[130:131], v[138:139], -v[4:5]
	v_add_f64 v[2:3], v[2:3], v[4:5]
	ds_read_b128 v[78:81], v236 offset:1792
	v_accvgpr_read_b32 v4, a184
	v_accvgpr_read_b32 v5, a185
	;; [unrolled: 1-line block ×3, first 2 shown]
	v_mul_f64 v[4:5], v[128:129], v[4:5]
	v_accvgpr_read_b32 v7, a187
	v_fma_f64 v[4:5], v[126:127], v[6:7], -v[4:5]
	v_add_f64 v[2:3], v[2:3], v[4:5]
	v_mul_f64 v[4:5], v[136:137], v[142:143]
	v_fma_f64 v[4:5], v[134:135], v[146:147], -v[4:5]
	s_waitcnt vmcnt(46) lgkmcnt(7)
	v_mul_f64 v[62:63], v[58:59], v[122:123]
	v_add_f64 v[2:3], v[2:3], v[4:5]
	s_waitcnt vmcnt(44)
	v_fmac_f64_e32 v[62:63], v[60:61], v[178:179]
	v_add_f64 v[0:1], v[0:1], v[62:63]
	ds_read_b128 v[62:65], v236 offset:1728
	v_accvgpr_read_b32 v4, a188
	v_accvgpr_read_b32 v5, a189
	;; [unrolled: 1-line block ×3, first 2 shown]
	v_mul_f64 v[4:5], v[16:17], v[4:5]
	s_waitcnt vmcnt(42) lgkmcnt(0)
	v_mul_f64 v[74:75], v[62:63], v[182:183]
	s_waitcnt vmcnt(40)
	v_fmac_f64_e32 v[74:75], v[64:65], v[184:185]
	v_add_f64 v[0:1], v[0:1], v[74:75]
	s_waitcnt vmcnt(37)
	v_mul_f64 v[74:75], v[66:67], v[188:189]
	s_waitcnt vmcnt(35)
	v_fmac_f64_e32 v[74:75], v[68:69], v[192:193]
	v_add_f64 v[0:1], v[0:1], v[74:75]
	s_waitcnt vmcnt(34)
	v_mul_f64 v[74:75], v[70:71], v[180:181]
	s_waitcnt vmcnt(32)
	v_fmac_f64_e32 v[74:75], v[72:73], v[190:191]
	v_add_f64 v[0:1], v[0:1], v[74:75]
	ds_read_b128 v[74:77], v236 offset:1776
	s_waitcnt vmcnt(25)
	v_mul_f64 v[86:87], v[78:79], v[186:187]
	s_waitcnt vmcnt(24)
	v_fmac_f64_e32 v[86:87], v[80:81], v[196:197]
	s_waitcnt vmcnt(10)
	v_mul_f64 v[98:99], v[118:119], v[214:215]
	s_waitcnt vmcnt(8)
	v_fmac_f64_e32 v[98:99], v[120:121], v[216:217]
	s_waitcnt lgkmcnt(0)
	v_mul_f64 v[102:103], v[74:75], v[194:195]
	v_fmac_f64_e32 v[102:103], v[76:77], v[198:199]
	v_add_f64 v[0:1], v[0:1], v[102:103]
	v_add_f64 v[0:1], v[0:1], v[86:87]
	ds_read_b128 v[86:89], v236 offset:1824
	v_mul_f64 v[102:103], v[232:233], v[202:203]
	v_fmac_f64_e32 v[102:103], v[234:235], v[208:209]
	v_add_f64 v[0:1], v[0:1], v[102:103]
	v_accvgpr_read_b32 v7, a191
	s_waitcnt lgkmcnt(0)
	v_mul_f64 v[102:103], v[86:87], v[200:201]
	v_fmac_f64_e32 v[102:103], v[88:89], v[206:207]
	v_add_f64 v[0:1], v[0:1], v[102:103]
	v_mul_f64 v[102:103], v[90:91], v[204:205]
	v_fmac_f64_e32 v[102:103], v[92:93], v[210:211]
	v_add_f64 v[0:1], v[0:1], v[102:103]
	ds_read_b128 v[102:105], v236 offset:1888
	v_add_f64 v[0:1], v[0:1], v[98:99]
	s_waitcnt vmcnt(5)
	v_mul_f64 v[98:99], v[94:95], v[220:221]
	s_waitcnt vmcnt(3)
	v_fmac_f64_e32 v[98:99], v[96:97], v[222:223]
	v_add_f64 v[0:1], v[0:1], v[98:99]
	s_waitcnt vmcnt(1) lgkmcnt(0)
	v_mul_f64 v[98:99], v[102:103], v[114:115]
	s_waitcnt vmcnt(0)
	v_fmac_f64_e32 v[98:99], v[104:105], v[218:219]
	v_add_f64 v[98:99], v[0:1], v[98:99]
	buffer_load_dword v1, off, s[0:3], 0 offset:956
	buffer_load_dword v0, off, s[0:3], 0 offset:952
	buffer_load_dword v227, off, s[0:3], 0 offset:948
	buffer_load_dword v226, off, s[0:3], 0 offset:944
	ds_read_b128 v[106:109], v236 offset:1904
	buffer_load_dword v228, off, s[0:3], 0 offset:968
	buffer_load_dword v229, off, s[0:3], 0 offset:972
	;; [unrolled: 1-line block ×4, first 2 shown]
	ds_read_b128 v[110:113], v236 offset:1920
	buffer_load_dword v243, off, s[0:3], 0 offset:988
	buffer_load_dword v242, off, s[0:3], 0 offset:984
	;; [unrolled: 1-line block ×4, first 2 shown]
	v_fma_f64 v[4:5], v[14:15], v[6:7], -v[4:5]
	v_add_f64 v[2:3], v[2:3], v[4:5]
	v_mul_f64 v[4:5], v[20:21], v[152:153]
	v_fma_f64 v[4:5], v[18:19], v[156:157], -v[4:5]
	v_add_f64 v[2:3], v[2:3], v[4:5]
	v_accvgpr_read_b32 v4, a192
	v_accvgpr_read_b32 v5, a193
	;; [unrolled: 1-line block ×3, first 2 shown]
	v_mul_f64 v[4:5], v[24:25], v[4:5]
	v_accvgpr_read_b32 v7, a195
	v_fma_f64 v[4:5], v[22:23], v[6:7], -v[4:5]
	v_add_f64 v[2:3], v[2:3], v[4:5]
	v_mul_f64 v[4:5], v[28:29], v[160:161]
	v_fma_f64 v[4:5], v[26:27], v[162:163], -v[4:5]
	v_add_f64 v[2:3], v[2:3], v[4:5]
	v_accvgpr_read_b32 v4, a196
	v_accvgpr_read_b32 v5, a197
	v_mul_f64 v[4:5], v[32:33], v[4:5]
	v_fma_f64 v[4:5], v[30:31], v[150:151], -v[4:5]
	v_add_f64 v[2:3], v[2:3], v[4:5]
	v_mul_f64 v[4:5], v[36:37], v[164:165]
	v_fma_f64 v[4:5], v[34:35], v[166:167], -v[4:5]
	v_add_f64 v[2:3], v[2:3], v[4:5]
	;; [unrolled: 3-line block ×18, first 2 shown]
	v_mul_f64 v[4:5], v[104:105], v[114:115]
	v_fma_f64 v[4:5], v[102:103], v[218:219], -v[4:5]
	s_waitcnt vmcnt(10) lgkmcnt(1)
	v_mul_f64 v[100:101], v[106:107], v[0:1]
	v_mul_f64 v[0:1], v[108:109], v[0:1]
	s_waitcnt vmcnt(8)
	v_fmac_f64_e32 v[100:101], v[108:109], v[226:227]
	v_add_f64 v[98:99], v[98:99], v[100:101]
	s_waitcnt vmcnt(6) lgkmcnt(0)
	v_mul_f64 v[100:101], v[110:111], v[228:229]
	s_waitcnt vmcnt(4)
	v_fmac_f64_e32 v[100:101], v[112:113], v[230:231]
	v_add_f64 v[176:177], v[98:99], v[100:101]
	ds_read_b128 v[98:101], v236 offset:1936
	buffer_load_dword v248, off, s[0:3], 0 offset:272
	buffer_load_dword v249, off, s[0:3], 0 offset:276
	;; [unrolled: 1-line block ×4, first 2 shown]
	v_add_f64 v[2:3], v[2:3], v[4:5]
	v_fma_f64 v[0:1], v[106:107], v[226:227], -v[0:1]
	v_add_f64 v[0:1], v[2:3], v[0:1]
	v_mul_f64 v[2:3], v[112:113], v[228:229]
	v_fma_f64 v[2:3], v[110:111], v[230:231], -v[2:3]
	v_add_f64 v[0:1], v[0:1], v[2:3]
	s_waitcnt vmcnt(6) lgkmcnt(0)
	v_mul_f64 v[2:3], v[100:101], v[242:243]
	v_mul_f64 v[236:237], v[98:99], v[242:243]
	s_waitcnt vmcnt(4)
	v_fma_f64 v[2:3], v[98:99], v[244:245], -v[2:3]
	v_fmac_f64_e32 v[236:237], v[100:101], v[244:245]
	v_add_f64 v[0:1], v[0:1], v[2:3]
	v_accvgpr_read_b32 v233, a182
	v_add_f64 v[176:177], v[176:177], v[236:237]
	v_cmp_lt_u32_e32 vcc, 15, v233
	s_waitcnt vmcnt(2)
	v_add_f64 v[0:1], v[248:249], -v[0:1]
	s_waitcnt vmcnt(0)
	v_add_f64 v[2:3], v[246:247], -v[176:177]
	buffer_store_dword v1, off, s[0:3], 0 offset:276
	buffer_store_dword v0, off, s[0:3], 0 offset:272
	;; [unrolled: 1-line block ×4, first 2 shown]
	s_and_saveexec_b64 s[4:5], vcc
	s_cbranch_execz .LBB124_361
; %bb.360:
	v_accvgpr_read_b32 v0, a167
	buffer_load_dword v2, v0, s[0:3], 0 offen
	buffer_load_dword v3, v0, s[0:3], 0 offen offset:4
	buffer_load_dword v4, v0, s[0:3], 0 offen offset:8
	;; [unrolled: 1-line block ×3, first 2 shown]
	v_mov_b32_e32 v0, 0
	v_accvgpr_read_b32 v1, a183
	buffer_store_dword v0, off, s[0:3], 0 offset:256
	buffer_store_dword v0, off, s[0:3], 0 offset:260
	;; [unrolled: 1-line block ×4, first 2 shown]
	s_waitcnt vmcnt(4)
	ds_write_b128 v1, v[2:5]
.LBB124_361:
	s_or_b64 exec, exec, s[4:5]
	s_waitcnt lgkmcnt(0)
	; wave barrier
	s_waitcnt lgkmcnt(0)
	buffer_load_dword v56, off, s[0:3], 0 offset:272
	buffer_load_dword v57, off, s[0:3], 0 offset:276
	;; [unrolled: 1-line block ×36, first 2 shown]
	v_mov_b32_e32 v232, 0
	buffer_load_dword v87, off, s[0:3], 0 offset:444
	buffer_load_dword v86, off, s[0:3], 0 offset:440
	;; [unrolled: 1-line block ×18, first 2 shown]
	ds_read_b128 v[110:113], v232 offset:1232
	ds_read_b128 v[114:117], v232 offset:1248
	;; [unrolled: 1-line block ×9, first 2 shown]
	v_cmp_lt_u32_e32 vcc, 14, v233
	s_waitcnt vmcnt(50) lgkmcnt(8)
	v_mul_f64 v[0:1], v[110:111], v[58:59]
	v_fmac_f64_e32 v[0:1], v[112:113], v[56:57]
	v_add_f64 v[0:1], v[0:1], 0
	v_mul_f64 v[58:59], v[112:113], v[58:59]
	s_waitcnt vmcnt(46) lgkmcnt(7)
	v_mul_f64 v[2:3], v[114:115], v[54:55]
	v_fmac_f64_e32 v[2:3], v[116:117], v[52:53]
	s_waitcnt vmcnt(44) lgkmcnt(6)
	v_mul_f64 v[4:5], v[196:197], v[50:51]
	v_add_f64 v[0:1], v[0:1], v[2:3]
	s_waitcnt vmcnt(42) lgkmcnt(4)
	v_mul_f64 v[8:9], v[204:205], v[60:61]
	v_mul_f64 v[50:51], v[198:199], v[50:51]
	s_waitcnt vmcnt(40)
	v_fmac_f64_e32 v[8:9], v[206:207], v[62:63]
	v_mul_f64 v[54:55], v[116:117], v[54:55]
	s_waitcnt vmcnt(38)
	v_mul_f64 v[6:7], v[200:201], v[64:65]
	s_waitcnt vmcnt(36) lgkmcnt(2)
	v_mul_f64 v[12:13], v[214:215], v[74:75]
	s_waitcnt vmcnt(34)
	v_fmac_f64_e32 v[12:13], v[216:217], v[72:73]
	s_waitcnt vmcnt(32)
	v_mul_f64 v[10:11], v[208:209], v[76:77]
	s_waitcnt vmcnt(30) lgkmcnt(1)
	v_mul_f64 v[14:15], v[220:221], v[68:69]
	s_waitcnt vmcnt(28)
	v_fmac_f64_e32 v[4:5], v[198:199], v[82:83]
	v_add_f64 v[0:1], v[0:1], v[4:5]
	s_waitcnt vmcnt(26)
	v_fmac_f64_e32 v[6:7], v[202:203], v[80:81]
	v_add_f64 v[0:1], v[0:1], v[6:7]
	;; [unrolled: 3-line block ×3, first 2 shown]
	v_add_f64 v[0:1], v[0:1], v[10:11]
	v_add_f64 v[2:3], v[0:1], v[12:13]
	buffer_load_dword v105, off, s[0:3], 0 offset:500
	buffer_load_dword v104, off, s[0:3], 0 offset:496
	;; [unrolled: 1-line block ×8, first 2 shown]
	s_waitcnt vmcnt(30)
	v_fmac_f64_e32 v[14:15], v[222:223], v[70:71]
	s_waitcnt vmcnt(26) lgkmcnt(0)
	v_mul_f64 v[6:7], v[224:225], v[66:67]
	v_add_f64 v[2:3], v[2:3], v[14:15]
	v_fmac_f64_e32 v[6:7], v[226:227], v[84:85]
	v_add_f64 v[2:3], v[2:3], v[6:7]
	v_fma_f64 v[112:113], v[196:197], v[82:83], -v[50:51]
	v_mul_f64 v[50:51], v[202:203], v[64:65]
	v_fma_f64 v[80:81], v[200:201], v[80:81], -v[50:51]
	v_mul_f64 v[50:51], v[206:207], v[60:61]
	v_fma_f64 v[212:213], v[204:205], v[62:63], -v[50:51]
	s_waitcnt vmcnt(0)
	v_pk_mov_b32 v[8:9], v[4:5], v[4:5] op_sel:[0,1]
	buffer_load_dword v5, off, s[0:3], 0 offset:532
	buffer_load_dword v4, off, s[0:3], 0 offset:528
	v_accvgpr_write_b32 a185, v9
	v_accvgpr_write_b32 a184, v8
	s_waitcnt vmcnt(0)
	v_pk_mov_b32 v[12:13], v[4:5], v[4:5] op_sel:[0,1]
	buffer_load_dword v107, off, s[0:3], 0 offset:524
	buffer_load_dword v106, off, s[0:3], 0 offset:520
	;; [unrolled: 1-line block ×6, first 2 shown]
	v_accvgpr_write_b32 a187, v13
	v_accvgpr_write_b32 a186, v12
	s_waitcnt vmcnt(0)
	v_pk_mov_b32 v[20:21], v[4:5], v[4:5] op_sel:[0,1]
	buffer_load_dword v5, off, s[0:3], 0 offset:564
	buffer_load_dword v4, off, s[0:3], 0 offset:560
	v_accvgpr_write_b32 a189, v21
	v_accvgpr_write_b32 a188, v20
	s_waitcnt vmcnt(0)
	v_pk_mov_b32 v[22:23], v[4:5], v[4:5] op_sel:[0,1]
	buffer_load_dword v139, off, s[0:3], 0 offset:556
	buffer_load_dword v138, off, s[0:3], 0 offset:552
	;; [unrolled: 1-line block ×6, first 2 shown]
	v_accvgpr_write_b32 a191, v23
	v_accvgpr_write_b32 a190, v22
	s_waitcnt vmcnt(0)
	v_pk_mov_b32 v[28:29], v[4:5], v[4:5] op_sel:[0,1]
	buffer_load_dword v5, off, s[0:3], 0 offset:596
	buffer_load_dword v4, off, s[0:3], 0 offset:592
	v_accvgpr_write_b32 a193, v29
	v_accvgpr_write_b32 a192, v28
	s_waitcnt vmcnt(0)
	v_pk_mov_b32 v[30:31], v[4:5], v[4:5] op_sel:[0,1]
	buffer_load_dword v147, off, s[0:3], 0 offset:588
	buffer_load_dword v146, off, s[0:3], 0 offset:584
	;; [unrolled: 1-line block ×36, first 2 shown]
	ds_read_b128 v[228:231], v232 offset:1376
	ds_read_b128 v[234:237], v232 offset:1392
	;; [unrolled: 1-line block ×6, first 2 shown]
	s_waitcnt lgkmcnt(5)
	v_mul_f64 v[6:7], v[228:229], v[90:91]
	v_fmac_f64_e32 v[6:7], v[230:231], v[92:93]
	v_add_f64 v[2:3], v[2:3], v[6:7]
	s_waitcnt lgkmcnt(4)
	v_mul_f64 v[6:7], v[234:235], v[86:87]
	v_fmac_f64_e32 v[6:7], v[236:237], v[88:89]
	v_add_f64 v[2:3], v[2:3], v[6:7]
	;; [unrolled: 4-line block ×3, first 2 shown]
	s_waitcnt lgkmcnt(2)
	v_mul_f64 v[6:7], v[242:243], v[96:97]
	v_fmac_f64_e32 v[6:7], v[244:245], v[98:99]
	ds_read_b128 v[118:121], v232 offset:1472
	ds_read_b128 v[122:125], v232 offset:1488
	v_add_f64 v[2:3], v[2:3], v[6:7]
	s_waitcnt lgkmcnt(3)
	v_mul_f64 v[6:7], v[246:247], v[172:173]
	v_fmac_f64_e32 v[6:7], v[248:249], v[0:1]
	ds_read_b128 v[126:129], v232 offset:1504
	ds_read_b128 v[130:133], v232 offset:1520
	v_add_f64 v[2:3], v[2:3], v[6:7]
	s_waitcnt lgkmcnt(4)
	v_mul_f64 v[6:7], v[250:251], v[94:95]
	v_fmac_f64_e32 v[6:7], v[252:253], v[104:105]
	v_add_f64 v[2:3], v[2:3], v[6:7]
	s_waitcnt lgkmcnt(3)
	v_mul_f64 v[6:7], v[118:119], v[106:107]
	ds_read_b128 v[134:137], v232 offset:1536
	v_fmac_f64_e32 v[6:7], v[120:121], v[108:109]
	s_waitcnt lgkmcnt(3)
	v_mul_f64 v[10:11], v[122:123], v[8:9]
	v_add_f64 v[2:3], v[2:3], v[6:7]
	v_fmac_f64_e32 v[10:11], v[124:125], v[12:13]
	s_waitcnt lgkmcnt(2)
	v_mul_f64 v[14:15], v[126:127], v[138:139]
	v_add_f64 v[2:3], v[2:3], v[10:11]
	;; [unrolled: 4-line block ×3, first 2 shown]
	v_fmac_f64_e32 v[18:19], v[132:133], v[22:23]
	v_add_f64 v[2:3], v[2:3], v[18:19]
	ds_read_b128 v[18:21], v232 offset:1552
	v_accvgpr_write_b32 a195, v31
	v_accvgpr_write_b32 a194, v30
	v_fma_f64 v[12:13], v[110:111], v[56:57], -v[58:59]
	s_waitcnt vmcnt(34) lgkmcnt(1)
	v_mul_f64 v[22:23], v[134:135], v[146:147]
	s_waitcnt lgkmcnt(0)
	v_mul_f64 v[26:27], v[18:19], v[28:29]
	s_waitcnt vmcnt(32)
	v_fmac_f64_e32 v[22:23], v[136:137], v[152:153]
	v_add_f64 v[2:3], v[2:3], v[22:23]
	ds_read_b128 v[22:25], v232 offset:1568
	v_fmac_f64_e32 v[26:27], v[20:21], v[30:31]
	v_add_f64 v[2:3], v[2:3], v[26:27]
	ds_read_b128 v[26:29], v232 offset:1584
	v_fma_f64 v[110:111], v[114:115], v[52:53], -v[54:55]
	s_waitcnt vmcnt(26) lgkmcnt(1)
	v_mul_f64 v[30:31], v[22:23], v[156:157]
	s_waitcnt vmcnt(24)
	v_fmac_f64_e32 v[30:31], v[24:25], v[158:159]
	v_add_f64 v[2:3], v[2:3], v[30:31]
	ds_read_b128 v[30:33], v232 offset:1600
	s_waitcnt lgkmcnt(1)
	v_mul_f64 v[34:35], v[26:27], v[4:5]
	v_fmac_f64_e32 v[34:35], v[28:29], v[254:255]
	v_add_f64 v[2:3], v[2:3], v[34:35]
	ds_read_b128 v[34:37], v232 offset:1616
	s_waitcnt vmcnt(18) lgkmcnt(1)
	v_mul_f64 v[38:39], v[30:31], v[160:161]
	s_waitcnt vmcnt(16)
	v_fmac_f64_e32 v[38:39], v[32:33], v[162:163]
	v_add_f64 v[2:3], v[2:3], v[38:39]
	ds_read_b128 v[38:41], v232 offset:1632
	s_waitcnt lgkmcnt(1)
	v_mul_f64 v[42:43], v[34:35], v[16:17]
	v_fmac_f64_e32 v[42:43], v[36:37], v[150:151]
	v_add_f64 v[2:3], v[2:3], v[42:43]
	ds_read_b128 v[42:45], v232 offset:1648
	s_waitcnt vmcnt(10) lgkmcnt(1)
	v_mul_f64 v[46:47], v[38:39], v[164:165]
	s_waitcnt vmcnt(8)
	v_fmac_f64_e32 v[46:47], v[40:41], v[166:167]
	v_add_f64 v[174:175], v[2:3], v[46:47]
	ds_read_b128 v[46:49], v232 offset:1664
	buffer_load_dword v15, off, s[0:3], 0 offset:748
	buffer_load_dword v14, off, s[0:3], 0 offset:744
	buffer_load_dword v177, off, s[0:3], 0 offset:740
	buffer_load_dword v176, off, s[0:3], 0 offset:736
	s_waitcnt lgkmcnt(1)
	v_mul_f64 v[178:179], v[42:43], v[140:141]
	v_fmac_f64_e32 v[178:179], v[44:45], v[144:145]
	v_add_f64 v[2:3], v[174:175], v[178:179]
	buffer_load_dword v179, off, s[0:3], 0 offset:764
	buffer_load_dword v178, off, s[0:3], 0 offset:760
	;; [unrolled: 1-line block ×32, first 2 shown]
	ds_read_b128 v[50:53], v232 offset:1680
	v_mul_f64 v[54:55], v[210:211], v[76:77]
	v_fma_f64 v[114:115], v[208:209], v[78:79], -v[54:55]
	v_mul_f64 v[54:55], v[216:217], v[74:75]
	v_fma_f64 v[10:11], v[214:215], v[72:73], -v[54:55]
	s_waitcnt vmcnt(38) lgkmcnt(1)
	v_mul_f64 v[54:55], v[46:47], v[168:169]
	s_waitcnt vmcnt(36)
	v_fmac_f64_e32 v[54:55], v[48:49], v[170:171]
	v_add_f64 v[2:3], v[2:3], v[54:55]
	s_waitcnt lgkmcnt(0)
	v_mul_f64 v[54:55], v[50:51], v[148:149]
	v_mul_f64 v[56:57], v[222:223], v[68:69]
	v_fmac_f64_e32 v[54:55], v[52:53], v[154:155]
	buffer_load_dword v211, off, s[0:3], 0 offset:892
	buffer_load_dword v210, off, s[0:3], 0 offset:888
	;; [unrolled: 1-line block ×12, first 2 shown]
	v_fma_f64 v[8:9], v[220:221], v[70:71], -v[56:57]
	buffer_load_dword v221, off, s[0:3], 0 offset:940
	buffer_load_dword v220, off, s[0:3], 0 offset:936
	;; [unrolled: 1-line block ×4, first 2 shown]
	v_add_f64 v[2:3], v[2:3], v[54:55]
	ds_read_b128 v[54:57], v232 offset:1696
	v_mul_f64 v[58:59], v[226:227], v[66:67]
	v_fma_f64 v[224:225], v[224:225], v[84:85], -v[58:59]
	ds_read_b128 v[58:61], v232 offset:1712
	v_mul_f64 v[70:71], v[236:237], v[86:87]
	v_accvgpr_write_b32 a197, v5
	v_accvgpr_write_b32 a196, v4
	v_mul_f64 v[86:87], v[248:249], v[172:173]
	v_fma_f64 v[246:247], v[246:247], v[0:1], -v[86:87]
	v_add_f64 v[12:13], v[12:13], 0
	v_add_f64 v[12:13], v[12:13], v[110:111]
	;; [unrolled: 1-line block ×9, first 2 shown]
	s_waitcnt vmcnt(50) lgkmcnt(1)
	v_mul_f64 v[62:63], v[54:55], v[14:15]
	s_waitcnt vmcnt(48)
	v_fmac_f64_e32 v[62:63], v[56:57], v[176:177]
	v_add_f64 v[2:3], v[2:3], v[62:63]
	v_mul_f64 v[62:63], v[230:231], v[90:91]
	v_fma_f64 v[226:227], v[228:229], v[92:93], -v[62:63]
	ds_read_b128 v[62:65], v232 offset:1728
	s_waitcnt vmcnt(46) lgkmcnt(1)
	v_mul_f64 v[66:67], v[58:59], v[178:179]
	s_waitcnt vmcnt(44)
	v_fmac_f64_e32 v[66:67], v[60:61], v[180:181]
	v_add_f64 v[2:3], v[2:3], v[66:67]
	ds_read_b128 v[66:69], v232 offset:1744
	s_waitcnt vmcnt(41) lgkmcnt(1)
	v_mul_f64 v[74:75], v[62:63], v[184:185]
	v_fma_f64 v[228:229], v[234:235], v[88:89], -v[70:71]
	s_waitcnt vmcnt(39)
	v_fmac_f64_e32 v[74:75], v[64:65], v[188:189]
	ds_read_b128 v[70:73], v232 offset:1760
	v_add_f64 v[2:3], v[2:3], v[74:75]
	v_mul_f64 v[74:75], v[240:241], v[100:101]
	v_fma_f64 v[6:7], v[238:239], v[102:103], -v[74:75]
	ds_read_b128 v[74:77], v232 offset:1776
	s_waitcnt vmcnt(38) lgkmcnt(2)
	v_mul_f64 v[82:83], v[66:67], v[174:175]
	s_waitcnt vmcnt(36)
	v_fmac_f64_e32 v[82:83], v[68:69], v[186:187]
	v_add_f64 v[2:3], v[2:3], v[82:83]
	s_waitcnt vmcnt(33) lgkmcnt(1)
	v_mul_f64 v[82:83], v[70:71], v[192:193]
	s_waitcnt vmcnt(31)
	v_fmac_f64_e32 v[82:83], v[72:73], v[194:195]
	v_add_f64 v[2:3], v[2:3], v[82:83]
	s_waitcnt vmcnt(29) lgkmcnt(0)
	v_mul_f64 v[82:83], v[74:75], v[182:183]
	s_waitcnt vmcnt(28)
	v_fmac_f64_e32 v[82:83], v[76:77], v[190:191]
	ds_read_b128 v[234:237], v232 offset:1792
	v_add_f64 v[2:3], v[2:3], v[82:83]
	v_mul_f64 v[82:83], v[244:245], v[96:97]
	v_fma_f64 v[4:5], v[242:243], v[98:99], -v[82:83]
	ds_read_b128 v[82:85], v232 offset:1808
	ds_read_b128 v[86:89], v232 offset:1824
	s_waitcnt vmcnt(26) lgkmcnt(2)
	v_mul_f64 v[90:91], v[234:235], v[196:197]
	s_waitcnt vmcnt(24)
	v_fmac_f64_e32 v[90:91], v[236:237], v[198:199]
	v_add_f64 v[0:1], v[2:3], v[90:91]
	ds_read_b128 v[90:93], v232 offset:1840
	s_waitcnt vmcnt(22) lgkmcnt(2)
	v_mul_f64 v[2:3], v[82:83], v[200:201]
	s_waitcnt vmcnt(20)
	v_fmac_f64_e32 v[2:3], v[84:85], v[204:205]
	v_add_f64 v[0:1], v[0:1], v[2:3]
	s_waitcnt vmcnt(18) lgkmcnt(1)
	v_mul_f64 v[2:3], v[86:87], v[202:203]
	s_waitcnt vmcnt(16)
	v_fmac_f64_e32 v[2:3], v[88:89], v[206:207]
	v_add_f64 v[0:1], v[0:1], v[2:3]
	v_mul_f64 v[2:3], v[252:253], v[94:95]
	v_mul_f64 v[98:99], v[120:121], v[106:107]
	v_fma_f64 v[252:253], v[250:251], v[104:105], -v[2:3]
	ds_read_b128 v[94:97], v232 offset:1856
	v_fma_f64 v[250:251], v[118:119], v[108:109], -v[98:99]
	ds_read_b128 v[98:101], v232 offset:1872
	ds_read_b128 v[102:105], v232 offset:1888
	buffer_load_dword v120, off, s[0:3], 0 offset:952
	buffer_load_dword v121, off, s[0:3], 0 offset:956
	;; [unrolled: 1-line block ×4, first 2 shown]
	s_waitcnt vmcnt(18) lgkmcnt(3)
	v_mul_f64 v[2:3], v[90:91], v[210:211]
	s_waitcnt vmcnt(16)
	v_fmac_f64_e32 v[2:3], v[92:93], v[78:79]
	v_add_f64 v[0:1], v[0:1], v[2:3]
	s_waitcnt vmcnt(13) lgkmcnt(2)
	v_mul_f64 v[2:3], v[94:95], v[216:217]
	s_waitcnt vmcnt(11)
	v_fmac_f64_e32 v[2:3], v[96:97], v[218:219]
	ds_read_b128 v[106:109], v232 offset:1904
	buffer_load_dword v239, off, s[0:3], 0 offset:972
	buffer_load_dword v238, off, s[0:3], 0 offset:968
	;; [unrolled: 1-line block ×4, first 2 shown]
	v_add_f64 v[0:1], v[0:1], v[2:3]
	s_waitcnt vmcnt(13) lgkmcnt(2)
	v_mul_f64 v[2:3], v[98:99], v[208:209]
	s_waitcnt vmcnt(12)
	v_fmac_f64_e32 v[2:3], v[100:101], v[214:215]
	v_add_f64 v[0:1], v[0:1], v[2:3]
	s_waitcnt vmcnt(10) lgkmcnt(1)
	v_mul_f64 v[2:3], v[102:103], v[220:221]
	s_waitcnt vmcnt(8)
	v_fmac_f64_e32 v[2:3], v[104:105], v[222:223]
	v_add_f64 v[0:1], v[0:1], v[2:3]
	v_add_f64 v[8:9], v[8:9], v[226:227]
	v_add_f64 v[8:9], v[8:9], v[228:229]
	v_add_f64 v[6:7], v[8:9], v[6:7]
	v_add_f64 v[4:5], v[6:7], v[4:5]
	v_add_f64 v[4:5], v[4:5], v[246:247]
	v_accvgpr_read_b32 v6, a184
	v_accvgpr_read_b32 v7, a185
	;; [unrolled: 1-line block ×3, first 2 shown]
	v_add_f64 v[252:253], v[4:5], v[252:253]
	v_mul_f64 v[6:7], v[124:125], v[6:7]
	v_accvgpr_read_b32 v9, a187
	v_add_f64 v[4:5], v[252:253], v[250:251]
	v_fma_f64 v[6:7], v[122:123], v[8:9], -v[6:7]
	v_add_f64 v[4:5], v[4:5], v[6:7]
	v_mul_f64 v[6:7], v[128:129], v[138:139]
	v_fma_f64 v[6:7], v[126:127], v[142:143], -v[6:7]
	v_add_f64 v[4:5], v[4:5], v[6:7]
	v_accvgpr_read_b32 v6, a188
	v_accvgpr_read_b32 v7, a189
	;; [unrolled: 1-line block ×3, first 2 shown]
	v_mul_f64 v[6:7], v[132:133], v[6:7]
	v_accvgpr_read_b32 v9, a191
	v_fma_f64 v[6:7], v[130:131], v[8:9], -v[6:7]
	v_add_f64 v[4:5], v[4:5], v[6:7]
	v_mul_f64 v[6:7], v[136:137], v[146:147]
	v_fma_f64 v[6:7], v[134:135], v[152:153], -v[6:7]
	v_add_f64 v[4:5], v[4:5], v[6:7]
	v_accvgpr_read_b32 v6, a192
	v_accvgpr_read_b32 v7, a193
	;; [unrolled: 1-line block ×3, first 2 shown]
	v_mul_f64 v[6:7], v[20:21], v[6:7]
	v_accvgpr_read_b32 v9, a195
	v_fma_f64 v[6:7], v[18:19], v[8:9], -v[6:7]
	v_add_f64 v[4:5], v[4:5], v[6:7]
	v_mul_f64 v[6:7], v[24:25], v[156:157]
	v_fma_f64 v[6:7], v[22:23], v[158:159], -v[6:7]
	v_add_f64 v[4:5], v[4:5], v[6:7]
	v_accvgpr_read_b32 v6, a196
	v_accvgpr_read_b32 v7, a197
	v_mul_f64 v[6:7], v[28:29], v[6:7]
	v_fma_f64 v[6:7], v[26:27], v[254:255], -v[6:7]
	v_add_f64 v[4:5], v[4:5], v[6:7]
	v_mul_f64 v[6:7], v[32:33], v[160:161]
	v_fma_f64 v[6:7], v[30:31], v[162:163], -v[6:7]
	v_add_f64 v[4:5], v[4:5], v[6:7]
	;; [unrolled: 3-line block ×8, first 2 shown]
	s_waitcnt vmcnt(6) lgkmcnt(0)
	v_mul_f64 v[2:3], v[106:107], v[120:121]
	v_mul_f64 v[6:7], v[60:61], v[178:179]
	s_waitcnt vmcnt(4)
	v_fmac_f64_e32 v[2:3], v[108:109], v[172:173]
	v_add_f64 v[116:117], v[0:1], v[2:3]
	ds_read_b128 v[0:3], v232 offset:1920
	buffer_load_dword v242, off, s[0:3], 0 offset:984
	buffer_load_dword v243, off, s[0:3], 0 offset:988
	;; [unrolled: 1-line block ×4, first 2 shown]
	v_fma_f64 v[6:7], v[58:59], v[180:181], -v[6:7]
	v_add_f64 v[4:5], v[4:5], v[6:7]
	v_mul_f64 v[6:7], v[64:65], v[184:185]
	s_waitcnt vmcnt(6) lgkmcnt(0)
	v_mul_f64 v[118:119], v[0:1], v[238:239]
	s_waitcnt vmcnt(4)
	v_fmac_f64_e32 v[118:119], v[2:3], v[230:231]
	v_add_f64 v[240:241], v[116:117], v[118:119]
	ds_read_b128 v[116:119], v232 offset:1936
	v_fma_f64 v[6:7], v[62:63], v[188:189], -v[6:7]
	v_add_f64 v[4:5], v[4:5], v[6:7]
	v_mul_f64 v[6:7], v[68:69], v[174:175]
	v_fma_f64 v[6:7], v[66:67], v[186:187], -v[6:7]
	v_add_f64 v[4:5], v[4:5], v[6:7]
	v_mul_f64 v[6:7], v[72:73], v[192:193]
	;; [unrolled: 3-line block ×11, first 2 shown]
	v_fma_f64 v[6:7], v[106:107], v[172:173], -v[6:7]
	v_mul_f64 v[2:3], v[2:3], v[238:239]
	v_add_f64 v[4:5], v[4:5], v[6:7]
	v_fma_f64 v[0:1], v[0:1], v[230:231], -v[2:3]
	v_add_f64 v[0:1], v[4:5], v[0:1]
	s_waitcnt vmcnt(2) lgkmcnt(0)
	v_mul_f64 v[248:249], v[116:117], v[242:243]
	v_mul_f64 v[2:3], v[118:119], v[242:243]
	s_waitcnt vmcnt(0)
	v_fmac_f64_e32 v[248:249], v[118:119], v[244:245]
	v_add_f64 v[240:241], v[240:241], v[248:249]
	buffer_load_dword v248, off, s[0:3], 0 offset:256
	buffer_load_dword v249, off, s[0:3], 0 offset:260
	;; [unrolled: 1-line block ×4, first 2 shown]
	v_fma_f64 v[2:3], v[116:117], v[244:245], -v[2:3]
	v_add_f64 v[0:1], v[0:1], v[2:3]
	s_waitcnt vmcnt(2)
	v_add_f64 v[0:1], v[248:249], -v[0:1]
	s_waitcnt vmcnt(0)
	v_add_f64 v[2:3], v[246:247], -v[240:241]
	buffer_store_dword v1, off, s[0:3], 0 offset:260
	buffer_store_dword v0, off, s[0:3], 0 offset:256
	;; [unrolled: 1-line block ×4, first 2 shown]
	s_and_saveexec_b64 s[4:5], vcc
	s_cbranch_execz .LBB124_363
; %bb.362:
	v_accvgpr_read_b32 v0, a168
	buffer_load_dword v2, v0, s[0:3], 0 offen
	buffer_load_dword v3, v0, s[0:3], 0 offen offset:4
	buffer_load_dword v4, v0, s[0:3], 0 offen offset:8
	;; [unrolled: 1-line block ×3, first 2 shown]
	v_accvgpr_read_b32 v0, a183
	buffer_store_dword v232, off, s[0:3], 0 offset:240
	buffer_store_dword v232, off, s[0:3], 0 offset:244
	;; [unrolled: 1-line block ×4, first 2 shown]
	s_waitcnt vmcnt(4)
	ds_write_b128 v0, v[2:5]
.LBB124_363:
	s_or_b64 exec, exec, s[4:5]
	s_waitcnt lgkmcnt(0)
	; wave barrier
	s_waitcnt lgkmcnt(0)
	buffer_load_dword v60, off, s[0:3], 0 offset:256
	buffer_load_dword v61, off, s[0:3], 0 offset:260
	;; [unrolled: 1-line block ×42, first 2 shown]
	ds_read_b128 v[114:117], v232 offset:1216
	ds_read_b128 v[182:185], v232 offset:1232
	;; [unrolled: 1-line block ×10, first 2 shown]
	buffer_load_dword v1, off, s[0:3], 0 offset:404
	buffer_load_dword v0, off, s[0:3], 0 offset:400
	ds_read_b128 v[62:65], v232 offset:1376
	buffer_load_dword v101, off, s[0:3], 0 offset:460
	buffer_load_dword v100, off, s[0:3], 0 offset:456
	buffer_load_dword v103, off, s[0:3], 0 offset:452
	buffer_load_dword v102, off, s[0:3], 0 offset:448
	buffer_load_dword v105, off, s[0:3], 0 offset:444
	buffer_load_dword v104, off, s[0:3], 0 offset:440
	s_waitcnt vmcnt(46) lgkmcnt(10)
	v_mul_f64 v[2:3], v[114:115], v[66:67]
	v_fmac_f64_e32 v[2:3], v[116:117], v[60:61]
	v_add_f64 v[2:3], v[2:3], 0
	s_waitcnt vmcnt(42) lgkmcnt(9)
	v_mul_f64 v[4:5], v[182:183], v[58:59]
	v_fmac_f64_e32 v[4:5], v[184:185], v[50:51]
	v_add_f64 v[2:3], v[2:3], v[4:5]
	buffer_load_dword v151, off, s[0:3], 0 offset:436
	buffer_load_dword v150, off, s[0:3], 0 offset:432
	;; [unrolled: 1-line block ×20, first 2 shown]
	s_waitcnt vmcnt(60) lgkmcnt(8)
	v_mul_f64 v[6:7], v[186:187], v[52:53]
	s_waitcnt vmcnt(58) lgkmcnt(6)
	v_mul_f64 v[10:11], v[200:201], v[68:69]
	s_waitcnt vmcnt(56)
	v_fmac_f64_e32 v[10:11], v[202:203], v[70:71]
	v_mul_f64 v[58:59], v[184:185], v[58:59]
	s_waitcnt vmcnt(54)
	v_mul_f64 v[8:9], v[194:195], v[72:73]
	v_fma_f64 v[58:59], v[182:183], v[50:51], -v[58:59]
	s_waitcnt vmcnt(52) lgkmcnt(4)
	v_mul_f64 v[14:15], v[208:209], v[74:75]
	v_mul_f64 v[50:51], v[188:189], v[52:53]
	s_waitcnt vmcnt(50)
	v_fmac_f64_e32 v[14:15], v[210:211], v[76:77]
	s_waitcnt vmcnt(48)
	v_mul_f64 v[12:13], v[204:205], v[216:217]
	s_waitcnt vmcnt(46) lgkmcnt(2)
	v_mul_f64 v[18:19], v[220:221], v[82:83]
	s_waitcnt vmcnt(43)
	v_mul_f64 v[16:17], v[212:213], v[86:87]
	s_waitcnt vmcnt(41) lgkmcnt(1)
	v_mul_f64 v[20:21], v[54:55], v[80:81]
	s_waitcnt vmcnt(39)
	v_fmac_f64_e32 v[6:7], v[188:189], v[96:97]
	v_add_f64 v[2:3], v[2:3], v[6:7]
	s_waitcnt vmcnt(37)
	v_fmac_f64_e32 v[8:9], v[196:197], v[92:93]
	v_add_f64 v[2:3], v[2:3], v[8:9]
	;; [unrolled: 3-line block ×3, first 2 shown]
	v_add_f64 v[2:3], v[2:3], v[12:13]
	s_waitcnt vmcnt(33)
	v_fmac_f64_e32 v[16:17], v[214:215], v[88:89]
	v_add_f64 v[2:3], v[2:3], v[14:15]
	s_waitcnt vmcnt(32)
	v_fmac_f64_e32 v[18:19], v[222:223], v[84:85]
	v_add_f64 v[2:3], v[2:3], v[16:17]
	v_add_f64 v[2:3], v[2:3], v[18:19]
	s_waitcnt vmcnt(26)
	v_fmac_f64_e32 v[20:21], v[56:57], v[0:1]
	v_add_f64 v[2:3], v[2:3], v[20:21]
	v_mul_f64 v[56:57], v[56:57], v[80:81]
	s_waitcnt vmcnt(0)
	v_pk_mov_b32 v[18:19], v[4:5], v[4:5] op_sel:[0,1]
	buffer_load_dword v5, off, s[0:3], 0 offset:548
	buffer_load_dword v4, off, s[0:3], 0 offset:544
	v_accvgpr_write_b32 a187, v19
	v_accvgpr_write_b32 a186, v18
	s_waitcnt vmcnt(0)
	v_pk_mov_b32 v[22:23], v[4:5], v[4:5] op_sel:[0,1]
	buffer_load_dword v5, off, s[0:3], 0 offset:540
	buffer_load_dword v4, off, s[0:3], 0 offset:536
	v_accvgpr_write_b32 a189, v23
	v_accvgpr_write_b32 a188, v22
	s_waitcnt vmcnt(0)
	v_pk_mov_b32 v[14:15], v[4:5], v[4:5] op_sel:[0,1]
	buffer_load_dword v139, off, s[0:3], 0 offset:532
	buffer_load_dword v138, off, s[0:3], 0 offset:528
	buffer_load_dword v5, off, s[0:3], 0 offset:588
	buffer_load_dword v4, off, s[0:3], 0 offset:584
	v_accvgpr_write_b32 a185, v15
	v_accvgpr_write_b32 a184, v14
	s_waitcnt vmcnt(0)
	v_pk_mov_b32 v[26:27], v[4:5], v[4:5] op_sel:[0,1]
	buffer_load_dword v5, off, s[0:3], 0 offset:580
	buffer_load_dword v4, off, s[0:3], 0 offset:576
	v_accvgpr_write_b32 a191, v27
	v_accvgpr_write_b32 a190, v26
	s_waitcnt vmcnt(0)
	v_pk_mov_b32 v[28:29], v[4:5], v[4:5] op_sel:[0,1]
	buffer_load_dword v143, off, s[0:3], 0 offset:572
	buffer_load_dword v142, off, s[0:3], 0 offset:568
	buffer_load_dword v147, off, s[0:3], 0 offset:564
	buffer_load_dword v146, off, s[0:3], 0 offset:560
	buffer_load_dword v5, off, s[0:3], 0 offset:620
	buffer_load_dword v4, off, s[0:3], 0 offset:616
	v_accvgpr_write_b32 a193, v29
	v_accvgpr_write_b32 a192, v28
	s_waitcnt vmcnt(0)
	v_pk_mov_b32 v[34:35], v[4:5], v[4:5] op_sel:[0,1]
	buffer_load_dword v5, off, s[0:3], 0 offset:612
	buffer_load_dword v4, off, s[0:3], 0 offset:608
	v_accvgpr_write_b32 a195, v35
	v_accvgpr_write_b32 a194, v34
	s_waitcnt vmcnt(0)
	v_pk_mov_b32 v[36:37], v[4:5], v[4:5] op_sel:[0,1]
	buffer_load_dword v153, off, s[0:3], 0 offset:604
	buffer_load_dword v152, off, s[0:3], 0 offset:600
	;; [unrolled: 16-line block ×3, first 2 shown]
	buffer_load_dword v163, off, s[0:3], 0 offset:628
	buffer_load_dword v162, off, s[0:3], 0 offset:624
	;; [unrolled: 1-line block ×26, first 2 shown]
	ds_read_b128 v[224:227], v232 offset:1392
	ds_read_b128 v[228:231], v232 offset:1408
	;; [unrolled: 1-line block ×10, first 2 shown]
	s_waitcnt lgkmcnt(4)
	v_mul_f64 v[8:9], v[246:247], v[106:107]
	v_fmac_f64_e32 v[8:9], v[248:249], v[108:109]
	s_waitcnt lgkmcnt(3)
	v_mul_f64 v[12:13], v[134:135], v[14:15]
	v_fmac_f64_e32 v[12:13], v[136:137], v[138:139]
	;; [unrolled: 3-line block ×4, first 2 shown]
	ds_read_b128 v[118:121], v232 offset:1552
	s_waitcnt lgkmcnt(1)
	v_mul_f64 v[24:25], v[122:123], v[26:27]
	v_fmac_f64_e32 v[24:25], v[124:125], v[28:29]
	v_accvgpr_write_b32 a201, v45
	v_accvgpr_write_b32 a200, v44
	s_waitcnt vmcnt(22)
	v_pk_mov_b32 v[176:177], v[4:5], v[4:5] op_sel:[0,1]
	v_mul_f64 v[4:5], v[62:63], v[94:95]
	v_fmac_f64_e32 v[4:5], v[64:65], v[98:99]
	v_add_f64 v[2:3], v[2:3], v[4:5]
	v_mul_f64 v[4:5], v[224:225], v[104:105]
	v_fmac_f64_e32 v[4:5], v[226:227], v[150:151]
	v_add_f64 v[2:3], v[2:3], v[4:5]
	;; [unrolled: 3-line block ×6, first 2 shown]
	v_add_f64 v[10:11], v[6:7], v[8:9]
	v_add_f64 v[14:15], v[10:11], v[12:13]
	;; [unrolled: 1-line block ×5, first 2 shown]
	ds_read_b128 v[22:25], v232 offset:1568
	s_waitcnt lgkmcnt(1)
	v_mul_f64 v[28:29], v[118:119], v[152:153]
	v_fmac_f64_e32 v[28:29], v[120:121], v[156:157]
	v_add_f64 v[30:31], v[26:27], v[28:29]
	ds_read_b128 v[26:29], v232 offset:1584
	s_waitcnt lgkmcnt(1)
	v_mul_f64 v[32:33], v[22:23], v[34:35]
	v_fmac_f64_e32 v[32:33], v[24:25], v[36:37]
	v_add_f64 v[34:35], v[30:31], v[32:33]
	;; [unrolled: 5-line block ×4, first 2 shown]
	ds_read_b128 v[38:41], v232 offset:1632
	ds_read_b128 v[42:45], v232 offset:1648
	s_waitcnt vmcnt(18) lgkmcnt(2)
	v_mul_f64 v[48:49], v[34:35], v[164:165]
	s_waitcnt vmcnt(16)
	v_fmac_f64_e32 v[48:49], v[36:37], v[166:167]
	v_add_f64 v[46:47], v[46:47], v[48:49]
	s_waitcnt lgkmcnt(1)
	v_mul_f64 v[48:49], v[38:39], v[176:177]
	v_fmac_f64_e32 v[48:49], v[40:41], v[140:141]
	v_add_f64 v[46:47], v[46:47], v[48:49]
	s_waitcnt vmcnt(10) lgkmcnt(0)
	v_mul_f64 v[48:49], v[42:43], v[168:169]
	v_accvgpr_write_b32 a203, v177
	s_waitcnt vmcnt(8)
	v_fmac_f64_e32 v[48:49], v[44:45], v[170:171]
	v_accvgpr_write_b32 a202, v176
	v_add_f64 v[2:3], v[46:47], v[48:49]
	ds_read_b128 v[46:49], v232 offset:1664
	buffer_load_dword v177, off, s[0:3], 0 offset:764
	buffer_load_dword v176, off, s[0:3], 0 offset:760
	;; [unrolled: 1-line block ×8, first 2 shown]
	v_mul_f64 v[4:5], v[116:117], v[66:67]
	v_fma_f64 v[16:17], v[114:115], v[60:61], -v[4:5]
	v_fma_f64 v[60:61], v[186:187], v[96:97], -v[50:51]
	buffer_load_dword v187, off, s[0:3], 0 offset:796
	buffer_load_dword v186, off, s[0:3], 0 offset:792
	;; [unrolled: 1-line block ×8, first 2 shown]
	v_mul_f64 v[50:51], v[196:197], v[72:73]
	v_fma_f64 v[92:93], v[194:195], v[92:93], -v[50:51]
	buffer_load_dword v184, off, s[0:3], 0 offset:840
	buffer_load_dword v197, off, s[0:3], 0 offset:828
	;; [unrolled: 1-line block ×8, first 2 shown]
	v_mul_f64 v[50:51], v[202:203], v[68:69]
	v_fma_f64 v[200:201], v[200:201], v[70:71], -v[50:51]
	v_mul_f64 v[50:51], v[206:207], v[216:217]
	v_fma_f64 v[10:11], v[204:205], v[90:91], -v[50:51]
	buffer_load_dword v91, off, s[0:3], 0 offset:860
	buffer_load_dword v90, off, s[0:3], 0 offset:856
	buffer_load_dword v203, off, s[0:3], 0 offset:852
	buffer_load_dword v202, off, s[0:3], 0 offset:848
	v_mul_f64 v[8:9], v[210:211], v[74:75]
	v_fma_f64 v[8:9], v[208:209], v[76:77], -v[8:9]
	buffer_load_dword v206, off, s[0:3], 0 offset:872
	buffer_load_dword v208, off, s[0:3], 0 offset:864
	buffer_load_dword v207, off, s[0:3], 0 offset:876
	buffer_load_dword v209, off, s[0:3], 0 offset:868
	;; [unrolled: 6-line block ×3, first 2 shown]
	buffer_load_dword v216, off, s[0:3], 0 offset:880
	buffer_load_dword v204, off, s[0:3], 0 offset:904
	;; [unrolled: 1-line block ×8, first 2 shown]
	v_mul_f64 v[12:13], v[222:223], v[82:83]
	ds_read_b128 v[50:53], v232 offset:1680
	v_fma_f64 v[12:13], v[220:221], v[84:85], -v[12:13]
	buffer_load_dword v220, off, s[0:3], 0 offset:936
	buffer_load_dword v222, off, s[0:3], 0 offset:928
	;; [unrolled: 1-line block ×4, first 2 shown]
	v_fma_f64 v[4:5], v[54:55], v[0:1], -v[56:57]
	ds_read_b128 v[54:57], v232 offset:1696
	ds_read_b128 v[18:21], v232 offset:1712
	s_waitcnt lgkmcnt(3)
	v_mul_f64 v[66:67], v[46:47], v[144:145]
	v_mul_f64 v[64:65], v[64:65], v[94:95]
	v_fmac_f64_e32 v[66:67], v[48:49], v[148:149]
	s_waitcnt vmcnt(50) lgkmcnt(2)
	v_mul_f64 v[14:15], v[50:51], v[172:173]
	v_fma_f64 v[0:1], v[62:63], v[98:99], -v[64:65]
	ds_read_b128 v[62:65], v232 offset:1728
	v_add_f64 v[2:3], v[2:3], v[66:67]
	ds_read_b128 v[66:69], v232 offset:1744
	s_waitcnt vmcnt(48)
	v_fmac_f64_e32 v[14:15], v[52:53], v[174:175]
	v_add_f64 v[2:3], v[2:3], v[14:15]
	s_waitcnt lgkmcnt(3)
	v_mul_f64 v[14:15], v[54:55], v[154:155]
	v_fmac_f64_e32 v[14:15], v[56:57], v[158:159]
	v_add_f64 v[2:3], v[2:3], v[14:15]
	v_mul_f64 v[74:75], v[230:231], v[100:101]
	v_mul_f64 v[82:83], v[236:237], v[250:251]
	v_fma_f64 v[250:251], v[234:235], v[252:253], -v[82:83]
	ds_read_b128 v[234:237], v232 offset:1792
	ds_read_b128 v[82:85], v232 offset:1808
	;; [unrolled: 1-line block ×3, first 2 shown]
	v_mul_f64 v[98:99], v[248:249], v[106:107]
	v_fma_f64 v[252:253], v[246:247], v[108:109], -v[98:99]
	v_add_f64 v[16:17], v[16:17], 0
	v_add_f64 v[16:17], v[16:17], v[58:59]
	;; [unrolled: 1-line block ×11, first 2 shown]
	v_accvgpr_read_b32 v4, a188
	v_accvgpr_read_b32 v5, a189
	ds_read_b128 v[98:101], v232 offset:1872
	s_waitcnt vmcnt(46) lgkmcnt(6)
	v_mul_f64 v[14:15], v[18:19], v[176:177]
	s_waitcnt vmcnt(44)
	v_fmac_f64_e32 v[14:15], v[20:21], v[180:181]
	s_waitcnt vmcnt(41) lgkmcnt(5)
	v_mul_f64 v[70:71], v[62:63], v[178:179]
	v_add_f64 v[2:3], v[2:3], v[14:15]
	s_waitcnt vmcnt(40)
	v_fmac_f64_e32 v[70:71], v[64:65], v[182:183]
	v_add_f64 v[2:3], v[2:3], v[70:71]
	ds_read_b128 v[70:73], v232 offset:1760
	v_mul_f64 v[14:15], v[226:227], v[104:105]
	v_fma_f64 v[14:15], v[224:225], v[150:151], -v[14:15]
	v_fma_f64 v[150:151], v[228:229], v[102:103], -v[74:75]
	ds_read_b128 v[74:77], v232 offset:1776
	s_waitcnt vmcnt(38) lgkmcnt(6)
	v_mul_f64 v[80:81], v[66:67], v[186:187]
	s_waitcnt vmcnt(36)
	v_fmac_f64_e32 v[80:81], v[68:69], v[190:191]
	v_add_f64 v[2:3], v[2:3], v[80:81]
	s_waitcnt vmcnt(34) lgkmcnt(1)
	v_mul_f64 v[80:81], v[70:71], v[188:189]
	s_waitcnt vmcnt(32)
	v_fmac_f64_e32 v[80:81], v[72:73], v[192:193]
	v_add_f64 v[2:3], v[2:3], v[80:81]
	;; [unrolled: 5-line block ×3, first 2 shown]
	s_waitcnt vmcnt(25)
	v_mul_f64 v[80:81], v[234:235], v[184:185]
	s_waitcnt vmcnt(24)
	v_fmac_f64_e32 v[80:81], v[236:237], v[194:195]
	v_add_f64 v[2:3], v[2:3], v[80:81]
	v_mul_f64 v[80:81], v[240:241], v[110:111]
	v_fma_f64 v[238:239], v[238:239], v[112:113], -v[80:81]
	s_waitcnt vmcnt(22)
	v_mul_f64 v[80:81], v[82:83], v[90:91]
	s_waitcnt vmcnt(20)
	v_fmac_f64_e32 v[80:81], v[84:85], v[202:203]
	v_add_f64 v[94:95], v[2:3], v[80:81]
	v_mul_f64 v[2:3], v[244:245], v[254:255]
	v_fma_f64 v[2:3], v[242:243], v[78:79], -v[2:3]
	ds_read_b128 v[78:81], v232 offset:1840
	s_waitcnt vmcnt(17)
	v_mul_f64 v[96:97], v[86:87], v[206:207]
	s_waitcnt vmcnt(16)
	v_fmac_f64_e32 v[96:97], v[88:89], v[208:209]
	v_add_f64 v[102:103], v[94:95], v[96:97]
	ds_read_b128 v[94:97], v232 offset:1856
	s_waitcnt vmcnt(13) lgkmcnt(1)
	v_mul_f64 v[104:105], v[78:79], v[210:211]
	s_waitcnt vmcnt(11)
	v_fmac_f64_e32 v[104:105], v[80:81], v[216:217]
	v_add_f64 v[102:103], v[102:103], v[104:105]
	v_add_f64 v[0:1], v[0:1], v[14:15]
	s_waitcnt vmcnt(10) lgkmcnt(0)
	v_mul_f64 v[104:105], v[94:95], v[204:205]
	s_waitcnt vmcnt(8)
	v_fmac_f64_e32 v[104:105], v[96:97], v[214:215]
	v_add_f64 v[102:103], v[102:103], v[104:105]
	s_waitcnt vmcnt(6)
	v_mul_f64 v[104:105], v[98:99], v[212:213]
	s_waitcnt vmcnt(4)
	v_fmac_f64_e32 v[104:105], v[100:101], v[218:219]
	v_add_f64 v[106:107], v[102:103], v[104:105]
	ds_read_b128 v[102:105], v232 offset:1888
	buffer_load_dword v225, off, s[0:3], 0 offset:956
	buffer_load_dword v224, off, s[0:3], 0 offset:952
	;; [unrolled: 1-line block ×4, first 2 shown]
	v_add_f64 v[0:1], v[0:1], v[150:151]
	v_add_f64 v[0:1], v[0:1], v[250:251]
	;; [unrolled: 1-line block ×3, first 2 shown]
	s_waitcnt vmcnt(5) lgkmcnt(0)
	v_mul_f64 v[108:109], v[102:103], v[220:221]
	s_waitcnt vmcnt(4)
	v_fmac_f64_e32 v[108:109], v[104:105], v[222:223]
	v_add_f64 v[110:111], v[106:107], v[108:109]
	ds_read_b128 v[106:109], v232 offset:1904
	buffer_load_dword v228, off, s[0:3], 0 offset:968
	buffer_load_dword v229, off, s[0:3], 0 offset:972
	;; [unrolled: 1-line block ×4, first 2 shown]
	v_add_f64 v[0:1], v[254:255], v[2:3]
	v_accvgpr_read_b32 v2, a184
	v_accvgpr_read_b32 v3, a185
	v_mul_f64 v[2:3], v[136:137], v[2:3]
	v_add_f64 v[0:1], v[0:1], v[252:253]
	v_fma_f64 v[2:3], v[134:135], v[138:139], -v[2:3]
	v_add_f64 v[0:1], v[0:1], v[2:3]
	v_accvgpr_read_b32 v2, a186
	v_accvgpr_read_b32 v3, a187
	v_mul_f64 v[2:3], v[132:133], v[2:3]
	v_fma_f64 v[2:3], v[130:131], v[4:5], -v[2:3]
	v_add_f64 v[0:1], v[0:1], v[2:3]
	v_mul_f64 v[2:3], v[128:129], v[142:143]
	v_fma_f64 v[2:3], v[126:127], v[146:147], -v[2:3]
	v_add_f64 v[0:1], v[0:1], v[2:3]
	v_accvgpr_read_b32 v2, a190
	v_accvgpr_read_b32 v3, a191
	v_accvgpr_read_b32 v4, a192
	v_mul_f64 v[2:3], v[124:125], v[2:3]
	v_accvgpr_read_b32 v5, a193
	v_fma_f64 v[2:3], v[122:123], v[4:5], -v[2:3]
	v_add_f64 v[0:1], v[0:1], v[2:3]
	v_mul_f64 v[2:3], v[120:121], v[152:153]
	v_fma_f64 v[2:3], v[118:119], v[156:157], -v[2:3]
	v_add_f64 v[0:1], v[0:1], v[2:3]
	v_accvgpr_read_b32 v2, a194
	v_accvgpr_read_b32 v3, a195
	v_accvgpr_read_b32 v4, a196
	v_mul_f64 v[2:3], v[24:25], v[2:3]
	v_accvgpr_read_b32 v5, a197
	;; [unrolled: 10-line block ×3, first 2 shown]
	v_fma_f64 v[2:3], v[30:31], v[4:5], -v[2:3]
	v_add_f64 v[0:1], v[0:1], v[2:3]
	v_mul_f64 v[2:3], v[36:37], v[164:165]
	v_fma_f64 v[2:3], v[34:35], v[166:167], -v[2:3]
	v_add_f64 v[0:1], v[0:1], v[2:3]
	v_accvgpr_read_b32 v2, a202
	v_accvgpr_read_b32 v3, a203
	v_mul_f64 v[2:3], v[40:41], v[2:3]
	v_fma_f64 v[2:3], v[38:39], v[140:141], -v[2:3]
	v_add_f64 v[0:1], v[0:1], v[2:3]
	v_mul_f64 v[2:3], v[44:45], v[168:169]
	v_fma_f64 v[2:3], v[42:43], v[170:171], -v[2:3]
	v_add_f64 v[0:1], v[0:1], v[2:3]
	;; [unrolled: 3-line block ×7, first 2 shown]
	v_mul_f64 v[2:3], v[68:69], v[186:187]
	s_waitcnt vmcnt(6) lgkmcnt(0)
	v_mul_f64 v[112:113], v[106:107], v[224:225]
	v_fma_f64 v[2:3], v[66:67], v[190:191], -v[2:3]
	s_waitcnt vmcnt(4)
	v_fmac_f64_e32 v[112:113], v[108:109], v[226:227]
	v_add_f64 v[114:115], v[110:111], v[112:113]
	ds_read_b128 v[110:113], v232 offset:1920
	buffer_load_dword v243, off, s[0:3], 0 offset:988
	buffer_load_dword v242, off, s[0:3], 0 offset:984
	buffer_load_dword v245, off, s[0:3], 0 offset:980
	buffer_load_dword v244, off, s[0:3], 0 offset:976
	v_add_f64 v[0:1], v[0:1], v[2:3]
	v_mul_f64 v[2:3], v[72:73], v[188:189]
	v_fma_f64 v[2:3], v[70:71], v[192:193], -v[2:3]
	s_waitcnt vmcnt(6) lgkmcnt(0)
	v_mul_f64 v[116:117], v[110:111], v[228:229]
	s_waitcnt vmcnt(4)
	v_fmac_f64_e32 v[116:117], v[112:113], v[230:231]
	v_add_f64 v[240:241], v[114:115], v[116:117]
	ds_read_b128 v[114:117], v232 offset:1936
	buffer_load_dword v248, off, s[0:3], 0 offset:240
	buffer_load_dword v249, off, s[0:3], 0 offset:244
	;; [unrolled: 1-line block ×4, first 2 shown]
	v_add_f64 v[0:1], v[0:1], v[2:3]
	v_mul_f64 v[2:3], v[76:77], v[196:197]
	v_fma_f64 v[2:3], v[74:75], v[198:199], -v[2:3]
	v_add_f64 v[0:1], v[0:1], v[2:3]
	v_mul_f64 v[2:3], v[236:237], v[184:185]
	v_fma_f64 v[2:3], v[234:235], v[194:195], -v[2:3]
	;; [unrolled: 3-line block ×10, first 2 shown]
	v_add_f64 v[0:1], v[0:1], v[2:3]
	s_waitcnt vmcnt(6) lgkmcnt(0)
	v_mul_f64 v[232:233], v[114:115], v[242:243]
	v_mul_f64 v[2:3], v[116:117], v[242:243]
	s_waitcnt vmcnt(4)
	v_fmac_f64_e32 v[232:233], v[116:117], v[244:245]
	v_fma_f64 v[2:3], v[114:115], v[244:245], -v[2:3]
	v_add_f64 v[240:241], v[240:241], v[232:233]
	v_add_f64 v[0:1], v[0:1], v[2:3]
	v_accvgpr_read_b32 v233, a182
	v_cmp_lt_u32_e32 vcc, 13, v233
	s_waitcnt vmcnt(2)
	v_add_f64 v[0:1], v[248:249], -v[0:1]
	s_waitcnt vmcnt(0)
	v_add_f64 v[2:3], v[246:247], -v[240:241]
	buffer_store_dword v1, off, s[0:3], 0 offset:244
	buffer_store_dword v0, off, s[0:3], 0 offset:240
	;; [unrolled: 1-line block ×4, first 2 shown]
	s_and_saveexec_b64 s[4:5], vcc
	s_cbranch_execz .LBB124_365
; %bb.364:
	v_accvgpr_read_b32 v0, a169
	buffer_load_dword v2, v0, s[0:3], 0 offen
	buffer_load_dword v3, v0, s[0:3], 0 offen offset:4
	buffer_load_dword v4, v0, s[0:3], 0 offen offset:8
	;; [unrolled: 1-line block ×3, first 2 shown]
	v_mov_b32_e32 v0, 0
	v_accvgpr_read_b32 v1, a183
	buffer_store_dword v0, off, s[0:3], 0 offset:224
	buffer_store_dword v0, off, s[0:3], 0 offset:228
	;; [unrolled: 1-line block ×4, first 2 shown]
	s_waitcnt vmcnt(4)
	ds_write_b128 v1, v[2:5]
.LBB124_365:
	s_or_b64 exec, exec, s[4:5]
	s_waitcnt lgkmcnt(0)
	; wave barrier
	s_waitcnt lgkmcnt(0)
	buffer_load_dword v48, off, s[0:3], 0 offset:240
	buffer_load_dword v49, off, s[0:3], 0 offset:244
	;; [unrolled: 1-line block ×42, first 2 shown]
	v_mov_b32_e32 v232, 0
	buffer_load_dword v99, off, s[0:3], 0 offset:388
	buffer_load_dword v98, off, s[0:3], 0 offset:384
	;; [unrolled: 1-line block ×7, first 2 shown]
	ds_read_b128 v[112:115], v232 offset:1200
	ds_read_b128 v[172:175], v232 offset:1216
	;; [unrolled: 1-line block ×11, first 2 shown]
	v_cmp_lt_u32_e32 vcc, 12, v233
	s_waitcnt vmcnt(45) lgkmcnt(10)
	v_mul_f64 v[0:1], v[112:113], v[52:53]
	v_fmac_f64_e32 v[0:1], v[114:115], v[48:49]
	v_add_f64 v[0:1], v[0:1], 0
	s_waitcnt vmcnt(41) lgkmcnt(9)
	v_mul_f64 v[2:3], v[172:173], v[54:55]
	v_fmac_f64_e32 v[2:3], v[174:175], v[50:51]
	s_waitcnt vmcnt(39) lgkmcnt(8)
	v_mul_f64 v[4:5], v[180:181], v[46:47]
	v_add_f64 v[0:1], v[0:1], v[2:3]
	s_waitcnt vmcnt(37) lgkmcnt(6)
	v_mul_f64 v[8:9], v[190:191], v[62:63]
	v_mul_f64 v[46:47], v[182:183], v[46:47]
	s_waitcnt vmcnt(35)
	v_fmac_f64_e32 v[8:9], v[192:193], v[56:57]
	s_waitcnt vmcnt(33)
	v_mul_f64 v[6:7], v[184:185], v[64:65]
	s_waitcnt vmcnt(31) lgkmcnt(4)
	v_mul_f64 v[12:13], v[200:201], v[66:67]
	s_waitcnt vmcnt(29)
	v_fmac_f64_e32 v[12:13], v[202:203], v[68:69]
	s_waitcnt vmcnt(27)
	v_mul_f64 v[10:11], v[196:197], v[70:71]
	s_waitcnt vmcnt(25) lgkmcnt(2)
	v_mul_f64 v[16:17], v[214:215], v[76:77]
	s_waitcnt vmcnt(22)
	v_mul_f64 v[14:15], v[204:205], v[78:79]
	s_waitcnt vmcnt(20) lgkmcnt(1)
	v_mul_f64 v[18:19], v[220:221], v[72:73]
	s_waitcnt vmcnt(18)
	v_fmac_f64_e32 v[4:5], v[182:183], v[90:91]
	v_add_f64 v[0:1], v[0:1], v[4:5]
	s_waitcnt vmcnt(16)
	v_fmac_f64_e32 v[6:7], v[186:187], v[88:89]
	v_add_f64 v[0:1], v[0:1], v[6:7]
	;; [unrolled: 3-line block ×3, first 2 shown]
	v_add_f64 v[0:1], v[0:1], v[10:11]
	s_waitcnt vmcnt(12)
	v_fmac_f64_e32 v[14:15], v[206:207], v[80:81]
	v_add_f64 v[0:1], v[0:1], v[12:13]
	s_waitcnt vmcnt(11)
	v_fmac_f64_e32 v[16:17], v[216:217], v[74:75]
	v_add_f64 v[0:1], v[0:1], v[14:15]
	v_add_f64 v[2:3], v[0:1], v[16:17]
	buffer_load_dword v96, off, s[0:3], 0 offset:424
	buffer_load_dword v117, off, s[0:3], 0 offset:420
	;; [unrolled: 1-line block ×21, first 2 shown]
	s_waitcnt vmcnt(26)
	v_fmac_f64_e32 v[18:19], v[222:223], v[98:99]
	v_add_f64 v[2:3], v[2:3], v[18:19]
	v_fma_f64 v[90:91], v[180:181], v[90:91], -v[46:47]
	v_mul_f64 v[46:47], v[186:187], v[64:65]
	s_waitcnt vmcnt(0)
	v_pk_mov_b32 v[8:9], v[4:5], v[4:5] op_sel:[0,1]
	buffer_load_dword v5, off, s[0:3], 0 offset:532
	buffer_load_dword v4, off, s[0:3], 0 offset:528
	v_accvgpr_write_b32 a185, v9
	v_accvgpr_write_b32 a184, v8
	s_waitcnt vmcnt(0)
	v_pk_mov_b32 v[12:13], v[4:5], v[4:5] op_sel:[0,1]
	buffer_load_dword v105, off, s[0:3], 0 offset:524
	buffer_load_dword v104, off, s[0:3], 0 offset:520
	buffer_load_dword v107, off, s[0:3], 0 offset:516
	buffer_load_dword v106, off, s[0:3], 0 offset:512
	buffer_load_dword v5, off, s[0:3], 0 offset:572
	buffer_load_dword v4, off, s[0:3], 0 offset:568
	v_accvgpr_write_b32 a187, v13
	v_accvgpr_write_b32 a186, v12
	s_waitcnt vmcnt(0)
	v_pk_mov_b32 v[16:17], v[4:5], v[4:5] op_sel:[0,1]
	buffer_load_dword v5, off, s[0:3], 0 offset:564
	buffer_load_dword v4, off, s[0:3], 0 offset:560
	v_accvgpr_write_b32 a189, v17
	v_accvgpr_write_b32 a188, v16
	s_waitcnt vmcnt(0)
	v_pk_mov_b32 v[22:23], v[4:5], v[4:5] op_sel:[0,1]
	buffer_load_dword v139, off, s[0:3], 0 offset:556
	buffer_load_dword v138, off, s[0:3], 0 offset:552
	buffer_load_dword v143, off, s[0:3], 0 offset:548
	buffer_load_dword v142, off, s[0:3], 0 offset:544
	buffer_load_dword v5, off, s[0:3], 0 offset:604
	buffer_load_dword v4, off, s[0:3], 0 offset:600
	v_accvgpr_write_b32 a191, v23
	v_accvgpr_write_b32 a190, v22
	;; [unrolled: 16-line block ×3, first 2 shown]
	s_waitcnt vmcnt(0)
	v_pk_mov_b32 v[36:37], v[4:5], v[4:5] op_sel:[0,1]
	buffer_load_dword v5, off, s[0:3], 0 offset:628
	buffer_load_dword v4, off, s[0:3], 0 offset:624
	;; [unrolled: 1-line block ×30, first 2 shown]
	ds_read_b128 v[224:227], v232 offset:1376
	ds_read_b128 v[228:231], v232 offset:1392
	;; [unrolled: 1-line block ×12, first 2 shown]
	s_waitcnt lgkmcnt(4)
	v_mul_f64 v[10:11], v[118:119], v[8:9]
	v_fmac_f64_e32 v[10:11], v[120:121], v[12:13]
	s_waitcnt lgkmcnt(3)
	v_mul_f64 v[14:15], v[122:123], v[138:139]
	v_fmac_f64_e32 v[14:15], v[124:125], v[142:143]
	;; [unrolled: 3-line block ×5, first 2 shown]
	v_accvgpr_write_b32 a197, v37
	v_accvgpr_write_b32 a196, v36
	s_waitcnt vmcnt(28)
	v_accvgpr_write_b32 a199, v5
	v_accvgpr_write_b32 a198, v4
	s_waitcnt vmcnt(20)
	v_pk_mov_b32 v[44:45], v[6:7], v[6:7] op_sel:[0,1]
	v_mul_f64 v[6:7], v[58:59], v[84:85]
	v_fmac_f64_e32 v[6:7], v[60:61], v[86:87]
	v_add_f64 v[2:3], v[2:3], v[6:7]
	v_mul_f64 v[6:7], v[224:225], v[96:97]
	v_fmac_f64_e32 v[6:7], v[226:227], v[116:117]
	v_add_f64 v[2:3], v[2:3], v[6:7]
	v_mul_f64 v[6:7], v[228:229], v[92:93]
	v_fmac_f64_e32 v[6:7], v[230:231], v[94:95]
	v_add_f64 v[2:3], v[2:3], v[6:7]
	v_mul_f64 v[6:7], v[234:235], v[150:151]
	v_fmac_f64_e32 v[6:7], v[236:237], v[254:255]
	v_add_f64 v[2:3], v[2:3], v[6:7]
	v_mul_f64 v[6:7], v[238:239], v[108:109]
	v_fmac_f64_e32 v[6:7], v[240:241], v[110:111]
	v_add_f64 v[2:3], v[2:3], v[6:7]
	v_mul_f64 v[6:7], v[242:243], v[176:177]
	v_fmac_f64_e32 v[6:7], v[244:245], v[0:1]
	v_add_f64 v[2:3], v[2:3], v[6:7]
	v_mul_f64 v[6:7], v[246:247], v[100:101]
	v_fmac_f64_e32 v[6:7], v[248:249], v[102:103]
	v_add_f64 v[2:3], v[2:3], v[6:7]
	v_mul_f64 v[6:7], v[250:251], v[104:105]
	v_fmac_f64_e32 v[6:7], v[252:253], v[106:107]
	v_add_f64 v[2:3], v[2:3], v[6:7]
	v_add_f64 v[2:3], v[2:3], v[10:11]
	v_add_f64 v[2:3], v[2:3], v[14:15]
	;; [unrolled: 1-line block ×4, first 2 shown]
	ds_read_b128 v[22:25], v232 offset:1568
	v_add_f64 v[2:3], v[2:3], v[26:27]
	ds_read_b128 v[26:29], v232 offset:1584
	v_accvgpr_write_b32 a201, v45
	v_mul_f64 v[6:7], v[174:175], v[54:55]
	s_waitcnt lgkmcnt(1)
	v_mul_f64 v[30:31], v[22:23], v[156:157]
	v_fmac_f64_e32 v[30:31], v[24:25], v[158:159]
	s_waitcnt lgkmcnt(0)
	v_mul_f64 v[34:35], v[26:27], v[36:37]
	v_add_f64 v[2:3], v[2:3], v[30:31]
	ds_read_b128 v[30:33], v232 offset:1600
	v_fmac_f64_e32 v[34:35], v[28:29], v[4:5]
	v_add_f64 v[2:3], v[2:3], v[34:35]
	ds_read_b128 v[34:37], v232 offset:1616
	v_mul_f64 v[4:5], v[114:115], v[52:53]
	s_waitcnt vmcnt(18) lgkmcnt(1)
	v_mul_f64 v[38:39], v[30:31], v[160:161]
	s_waitcnt vmcnt(16)
	v_fmac_f64_e32 v[38:39], v[32:33], v[162:163]
	v_add_f64 v[2:3], v[2:3], v[38:39]
	s_waitcnt lgkmcnt(0)
	v_mul_f64 v[42:43], v[34:35], v[20:21]
	v_fmac_f64_e32 v[42:43], v[36:37], v[44:45]
	ds_read_b128 v[38:41], v232 offset:1632
	v_accvgpr_write_b32 a200, v44
	v_add_f64 v[2:3], v[2:3], v[42:43]
	ds_read_b128 v[42:45], v232 offset:1648
	v_fma_f64 v[16:17], v[112:113], v[48:49], -v[4:5]
	v_fma_f64 v[112:113], v[172:173], v[50:51], -v[6:7]
	buffer_load_dword v173, off, s[0:3], 0 offset:748
	buffer_load_dword v172, off, s[0:3], 0 offset:744
	;; [unrolled: 1-line block ×8, first 2 shown]
	v_fma_f64 v[14:15], v[184:185], v[88:89], -v[46:47]
	buffer_load_dword v181, off, s[0:3], 0 offset:796
	buffer_load_dword v185, off, s[0:3], 0 offset:780
	;; [unrolled: 1-line block ×8, first 2 shown]
	v_mul_f64 v[46:47], v[192:193], v[62:63]
	v_fma_f64 v[12:13], v[190:191], v[56:57], -v[46:47]
	buffer_load_dword v182, off, s[0:3], 0 offset:824
	buffer_load_dword v193, off, s[0:3], 0 offset:812
	;; [unrolled: 1-line block ×8, first 2 shown]
	v_mul_f64 v[50:51], v[198:199], v[70:71]
	ds_read_b128 v[46:49], v232 offset:1664
	v_fma_f64 v[10:11], v[196:197], v[82:83], -v[50:51]
	buffer_load_dword v197, off, s[0:3], 0 offset:844
	buffer_load_dword v196, off, s[0:3], 0 offset:840
	;; [unrolled: 1-line block ×4, first 2 shown]
	v_mul_f64 v[50:51], v[202:203], v[66:67]
	v_fma_f64 v[8:9], v[200:201], v[68:69], -v[50:51]
	buffer_load_dword v200, off, s[0:3], 0 offset:856
	buffer_load_dword v202, off, s[0:3], 0 offset:848
	;; [unrolled: 1-line block ×4, first 2 shown]
	v_mul_f64 v[50:51], v[206:207], v[78:79]
	buffer_load_dword v207, off, s[0:3], 0 offset:876
	buffer_load_dword v206, off, s[0:3], 0 offset:872
	;; [unrolled: 1-line block ×8, first 2 shown]
	s_waitcnt vmcnt(50) lgkmcnt(2)
	v_mul_f64 v[52:53], v[38:39], v[164:165]
	v_fma_f64 v[6:7], v[204:205], v[80:81], -v[50:51]
	v_mul_f64 v[50:51], v[216:217], v[76:77]
	s_waitcnt vmcnt(48)
	v_fmac_f64_e32 v[52:53], v[40:41], v[166:167]
	v_fma_f64 v[4:5], v[214:215], v[74:75], -v[50:51]
	v_mul_f64 v[50:51], v[222:223], v[72:73]
	buffer_load_dword v204, off, s[0:3], 0 offset:920
	buffer_load_dword v217, off, s[0:3], 0 offset:908
	;; [unrolled: 1-line block ×8, first 2 shown]
	v_add_f64 v[2:3], v[2:3], v[52:53]
	v_fma_f64 v[220:221], v[220:221], v[98:99], -v[50:51]
	ds_read_b128 v[50:53], v232 offset:1680
	s_waitcnt lgkmcnt(2)
	v_mul_f64 v[54:55], v[42:43], v[140:141]
	v_fmac_f64_e32 v[54:55], v[44:45], v[144:145]
	v_add_f64 v[2:3], v[2:3], v[54:55]
	s_waitcnt vmcnt(50) lgkmcnt(1)
	v_mul_f64 v[54:55], v[46:47], v[168:169]
	s_waitcnt vmcnt(48)
	v_fmac_f64_e32 v[54:55], v[48:49], v[170:171]
	v_mul_f64 v[60:61], v[60:61], v[84:85]
	v_add_f64 v[2:3], v[2:3], v[54:55]
	v_fma_f64 v[222:223], v[58:59], v[86:87], -v[60:61]
	ds_read_b128 v[58:61], v232 offset:1712
	s_waitcnt lgkmcnt(1)
	v_mul_f64 v[54:55], v[50:51], v[148:149]
	v_fmac_f64_e32 v[54:55], v[52:53], v[154:155]
	v_add_f64 v[2:3], v[2:3], v[54:55]
	ds_read_b128 v[54:57], v232 offset:1696
	v_mul_f64 v[70:71], v[230:231], v[92:93]
	v_fma_f64 v[92:93], v[228:229], v[94:95], -v[70:71]
	ds_read_b128 v[70:73], v232 offset:1760
	v_mul_f64 v[82:83], v[240:241], v[108:109]
	v_fma_f64 v[238:239], v[238:239], v[110:111], -v[82:83]
	v_add_f64 v[16:17], v[16:17], 0
	v_add_f64 v[16:17], v[16:17], v[112:113]
	;; [unrolled: 1-line block ×10, first 2 shown]
	ds_read_b128 v[82:85], v232 offset:1808
	v_add_f64 v[4:5], v[4:5], v[222:223]
	s_waitcnt vmcnt(46) lgkmcnt(2)
	v_mul_f64 v[62:63], v[54:55], v[172:173]
	s_waitcnt vmcnt(44)
	v_fmac_f64_e32 v[62:63], v[56:57], v[178:179]
	v_add_f64 v[2:3], v[2:3], v[62:63]
	v_mul_f64 v[62:63], v[226:227], v[96:97]
	v_fma_f64 v[224:225], v[224:225], v[116:117], -v[62:63]
	ds_read_b128 v[62:65], v232 offset:1728
	s_waitcnt vmcnt(41)
	v_mul_f64 v[66:67], v[58:59], v[174:175]
	s_waitcnt vmcnt(40)
	v_fmac_f64_e32 v[66:67], v[60:61], v[18:19]
	v_add_f64 v[2:3], v[2:3], v[66:67]
	ds_read_b128 v[66:69], v232 offset:1744
	s_waitcnt vmcnt(37) lgkmcnt(1)
	v_mul_f64 v[74:75], v[62:63], v[184:185]
	s_waitcnt vmcnt(35)
	v_fmac_f64_e32 v[74:75], v[64:65], v[186:187]
	v_add_f64 v[2:3], v[2:3], v[74:75]
	v_mul_f64 v[74:75], v[236:237], v[150:151]
	v_fma_f64 v[254:255], v[234:235], v[254:255], -v[74:75]
	ds_read_b128 v[74:77], v232 offset:1776
	s_waitcnt vmcnt(34) lgkmcnt(1)
	v_mul_f64 v[78:79], v[66:67], v[180:181]
	s_waitcnt vmcnt(32)
	v_fmac_f64_e32 v[78:79], v[68:69], v[188:189]
	v_add_f64 v[2:3], v[2:3], v[78:79]
	s_waitcnt vmcnt(29)
	v_mul_f64 v[78:79], v[70:71], v[192:193]
	s_waitcnt vmcnt(27)
	v_fmac_f64_e32 v[78:79], v[72:73], v[194:195]
	v_add_f64 v[2:3], v[2:3], v[78:79]
	s_waitcnt vmcnt(25) lgkmcnt(0)
	v_mul_f64 v[78:79], v[74:75], v[182:183]
	s_waitcnt vmcnt(24)
	v_fmac_f64_e32 v[78:79], v[76:77], v[190:191]
	v_add_f64 v[2:3], v[2:3], v[78:79]
	ds_read_b128 v[78:81], v232 offset:1792
	ds_read_b128 v[234:237], v232 offset:1840
	s_waitcnt vmcnt(17)
	v_mul_f64 v[94:95], v[82:83], v[200:201]
	s_waitcnt vmcnt(16)
	v_fmac_f64_e32 v[94:95], v[84:85], v[202:203]
	v_add_f64 v[4:5], v[4:5], v[224:225]
	s_waitcnt lgkmcnt(1)
	v_mul_f64 v[86:87], v[78:79], v[196:197]
	v_fmac_f64_e32 v[86:87], v[80:81], v[198:199]
	v_add_f64 v[2:3], v[2:3], v[86:87]
	v_mul_f64 v[86:87], v[244:245], v[176:177]
	v_fma_f64 v[0:1], v[242:243], v[0:1], -v[86:87]
	ds_read_b128 v[86:89], v232 offset:1824
	v_add_f64 v[2:3], v[2:3], v[94:95]
	v_mul_f64 v[94:95], v[248:249], v[100:101]
	v_fma_f64 v[246:247], v[246:247], v[102:103], -v[94:95]
	ds_read_b128 v[94:97], v232 offset:1856
	s_waitcnt vmcnt(14) lgkmcnt(1)
	v_mul_f64 v[98:99], v[86:87], v[206:207]
	s_waitcnt vmcnt(12)
	v_fmac_f64_e32 v[98:99], v[88:89], v[210:211]
	v_add_f64 v[102:103], v[2:3], v[98:99]
	ds_read_b128 v[98:101], v232 offset:1872
	buffer_load_dword v177, off, s[0:3], 0 offset:940
	buffer_load_dword v176, off, s[0:3], 0 offset:936
	;; [unrolled: 1-line block ×4, first 2 shown]
	s_waitcnt vmcnt(14)
	v_mul_f64 v[108:109], v[234:235], v[208:209]
	s_waitcnt vmcnt(12)
	v_fmac_f64_e32 v[108:109], v[236:237], v[212:213]
	v_mul_f64 v[2:3], v[252:253], v[104:105]
	s_waitcnt vmcnt(9) lgkmcnt(1)
	v_mul_f64 v[104:105], v[94:95], v[216:217]
	v_add_f64 v[102:103], v[102:103], v[108:109]
	s_waitcnt vmcnt(7)
	v_fmac_f64_e32 v[104:105], v[96:97], v[218:219]
	v_add_f64 v[102:103], v[102:103], v[104:105]
	s_waitcnt vmcnt(5) lgkmcnt(0)
	v_mul_f64 v[104:105], v[98:99], v[204:205]
	s_waitcnt vmcnt(4)
	v_fmac_f64_e32 v[104:105], v[100:101], v[214:215]
	v_fma_f64 v[2:3], v[250:251], v[106:107], -v[2:3]
	v_add_f64 v[106:107], v[102:103], v[104:105]
	ds_read_b128 v[102:105], v232 offset:1888
	buffer_load_dword v150, off, s[0:3], 0 offset:952
	buffer_load_dword v151, off, s[0:3], 0 offset:956
	;; [unrolled: 1-line block ×4, first 2 shown]
	v_add_f64 v[4:5], v[4:5], v[92:93]
	v_add_f64 v[4:5], v[4:5], v[254:255]
	;; [unrolled: 1-line block ×6, first 2 shown]
	v_accvgpr_read_b32 v2, a184
	v_accvgpr_read_b32 v3, a185
	v_accvgpr_read_b32 v4, a186
	v_mul_f64 v[2:3], v[120:121], v[2:3]
	v_accvgpr_read_b32 v5, a187
	v_fma_f64 v[2:3], v[118:119], v[4:5], -v[2:3]
	v_add_f64 v[0:1], v[0:1], v[2:3]
	v_mul_f64 v[2:3], v[124:125], v[138:139]
	v_fma_f64 v[2:3], v[122:123], v[142:143], -v[2:3]
	v_add_f64 v[0:1], v[0:1], v[2:3]
	v_accvgpr_read_b32 v2, a188
	v_accvgpr_read_b32 v3, a189
	v_accvgpr_read_b32 v4, a190
	v_mul_f64 v[2:3], v[128:129], v[2:3]
	v_accvgpr_read_b32 v5, a191
	v_fma_f64 v[2:3], v[126:127], v[4:5], -v[2:3]
	v_add_f64 v[0:1], v[0:1], v[2:3]
	v_mul_f64 v[2:3], v[132:133], v[146:147]
	v_fma_f64 v[2:3], v[130:131], v[152:153], -v[2:3]
	v_add_f64 v[0:1], v[0:1], v[2:3]
	;; [unrolled: 10-line block ×3, first 2 shown]
	v_accvgpr_read_b32 v2, a196
	v_accvgpr_read_b32 v3, a197
	;; [unrolled: 1-line block ×3, first 2 shown]
	v_mul_f64 v[2:3], v[28:29], v[2:3]
	v_accvgpr_read_b32 v5, a199
	v_fma_f64 v[2:3], v[26:27], v[4:5], -v[2:3]
	v_add_f64 v[0:1], v[0:1], v[2:3]
	v_mul_f64 v[2:3], v[32:33], v[160:161]
	v_fma_f64 v[2:3], v[30:31], v[162:163], -v[2:3]
	v_accvgpr_read_b32 v4, a200
	v_add_f64 v[0:1], v[0:1], v[2:3]
	v_mul_f64 v[2:3], v[36:37], v[20:21]
	v_accvgpr_read_b32 v5, a201
	v_fma_f64 v[2:3], v[34:35], v[4:5], -v[2:3]
	v_add_f64 v[0:1], v[0:1], v[2:3]
	v_mul_f64 v[2:3], v[40:41], v[164:165]
	v_fma_f64 v[2:3], v[38:39], v[166:167], -v[2:3]
	v_add_f64 v[0:1], v[0:1], v[2:3]
	v_mul_f64 v[2:3], v[44:45], v[140:141]
	v_fma_f64 v[2:3], v[42:43], v[144:145], -v[2:3]
	v_add_f64 v[0:1], v[0:1], v[2:3]
	v_mul_f64 v[2:3], v[48:49], v[168:169]
	v_fma_f64 v[2:3], v[46:47], v[170:171], -v[2:3]
	v_add_f64 v[0:1], v[0:1], v[2:3]
	v_mul_f64 v[2:3], v[52:53], v[148:149]
	v_fma_f64 v[2:3], v[50:51], v[154:155], -v[2:3]
	v_add_f64 v[0:1], v[0:1], v[2:3]
	v_mul_f64 v[2:3], v[56:57], v[172:173]
	s_waitcnt vmcnt(6) lgkmcnt(0)
	v_mul_f64 v[108:109], v[102:103], v[176:177]
	v_fma_f64 v[2:3], v[54:55], v[178:179], -v[2:3]
	s_waitcnt vmcnt(4)
	v_fmac_f64_e32 v[108:109], v[104:105], v[110:111]
	v_add_f64 v[114:115], v[106:107], v[108:109]
	ds_read_b128 v[106:109], v232 offset:1904
	buffer_load_dword v229, off, s[0:3], 0 offset:972
	buffer_load_dword v228, off, s[0:3], 0 offset:968
	;; [unrolled: 1-line block ×4, first 2 shown]
	ds_read_b128 v[250:253], v232 offset:1920
	buffer_load_dword v242, off, s[0:3], 0 offset:984
	buffer_load_dword v243, off, s[0:3], 0 offset:988
	;; [unrolled: 1-line block ×4, first 2 shown]
	v_add_f64 v[0:1], v[0:1], v[2:3]
	v_mul_f64 v[2:3], v[60:61], v[174:175]
	v_fma_f64 v[2:3], v[58:59], v[18:19], -v[2:3]
	v_add_f64 v[0:1], v[0:1], v[2:3]
	v_mul_f64 v[2:3], v[64:65], v[184:185]
	s_waitcnt vmcnt(10) lgkmcnt(1)
	v_mul_f64 v[116:117], v[106:107], v[150:151]
	v_fma_f64 v[2:3], v[62:63], v[186:187], -v[2:3]
	s_waitcnt vmcnt(8)
	v_fmac_f64_e32 v[116:117], v[108:109], v[226:227]
	v_add_f64 v[114:115], v[114:115], v[116:117]
	v_add_f64 v[0:1], v[0:1], v[2:3]
	v_mul_f64 v[2:3], v[68:69], v[180:181]
	v_fma_f64 v[2:3], v[66:67], v[188:189], -v[2:3]
	v_add_f64 v[0:1], v[0:1], v[2:3]
	v_mul_f64 v[2:3], v[72:73], v[192:193]
	v_fma_f64 v[2:3], v[70:71], v[194:195], -v[2:3]
	;; [unrolled: 3-line block ×11, first 2 shown]
	v_add_f64 v[0:1], v[0:1], v[2:3]
	s_waitcnt vmcnt(6) lgkmcnt(0)
	v_mul_f64 v[116:117], v[250:251], v[228:229]
	v_mul_f64 v[2:3], v[252:253], v[228:229]
	s_waitcnt vmcnt(4)
	v_fmac_f64_e32 v[116:117], v[252:253], v[230:231]
	v_add_f64 v[240:241], v[114:115], v[116:117]
	ds_read_b128 v[114:117], v232 offset:1936
	v_fma_f64 v[2:3], v[250:251], v[230:231], -v[2:3]
	v_add_f64 v[0:1], v[0:1], v[2:3]
	s_waitcnt vmcnt(2) lgkmcnt(0)
	v_mul_f64 v[248:249], v[114:115], v[242:243]
	s_waitcnt vmcnt(0)
	v_fmac_f64_e32 v[248:249], v[116:117], v[244:245]
	v_add_f64 v[240:241], v[240:241], v[248:249]
	buffer_load_dword v248, off, s[0:3], 0 offset:224
	buffer_load_dword v249, off, s[0:3], 0 offset:228
	buffer_load_dword v246, off, s[0:3], 0 offset:232
	buffer_load_dword v247, off, s[0:3], 0 offset:236
	v_mul_f64 v[2:3], v[116:117], v[242:243]
	v_fma_f64 v[2:3], v[114:115], v[244:245], -v[2:3]
	v_add_f64 v[0:1], v[0:1], v[2:3]
	s_waitcnt vmcnt(2)
	v_add_f64 v[0:1], v[248:249], -v[0:1]
	s_waitcnt vmcnt(0)
	v_add_f64 v[2:3], v[246:247], -v[240:241]
	buffer_store_dword v1, off, s[0:3], 0 offset:228
	buffer_store_dword v0, off, s[0:3], 0 offset:224
	;; [unrolled: 1-line block ×4, first 2 shown]
	s_and_saveexec_b64 s[4:5], vcc
	s_cbranch_execz .LBB124_367
; %bb.366:
	v_accvgpr_read_b32 v0, a170
	buffer_load_dword v2, v0, s[0:3], 0 offen
	buffer_load_dword v3, v0, s[0:3], 0 offen offset:4
	buffer_load_dword v4, v0, s[0:3], 0 offen offset:8
	;; [unrolled: 1-line block ×3, first 2 shown]
	v_accvgpr_read_b32 v0, a183
	buffer_store_dword v232, off, s[0:3], 0 offset:208
	buffer_store_dword v232, off, s[0:3], 0 offset:212
	;; [unrolled: 1-line block ×4, first 2 shown]
	s_waitcnt vmcnt(4)
	ds_write_b128 v0, v[2:5]
.LBB124_367:
	s_or_b64 exec, exec, s[4:5]
	s_waitcnt lgkmcnt(0)
	; wave barrier
	s_waitcnt lgkmcnt(0)
	buffer_load_dword v42, off, s[0:3], 0 offset:224
	buffer_load_dword v43, off, s[0:3], 0 offset:228
	;; [unrolled: 1-line block ×42, first 2 shown]
	ds_read_b128 v[110:113], v232 offset:1184
	ds_read_b128 v[114:117], v232 offset:1200
	;; [unrolled: 1-line block ×10, first 2 shown]
	buffer_load_dword v1, off, s[0:3], 0 offset:372
	buffer_load_dword v0, off, s[0:3], 0 offset:368
	ds_read_b128 v[50:53], v232 offset:1344
	buffer_load_dword v89, off, s[0:3], 0 offset:428
	buffer_load_dword v88, off, s[0:3], 0 offset:424
	;; [unrolled: 1-line block ×8, first 2 shown]
	s_waitcnt vmcnt(48) lgkmcnt(10)
	v_mul_f64 v[2:3], v[110:111], v[48:49]
	v_fmac_f64_e32 v[2:3], v[112:113], v[42:43]
	v_add_f64 v[2:3], v[2:3], 0
	v_mul_f64 v[48:49], v[112:113], v[48:49]
	s_waitcnt vmcnt(44) lgkmcnt(9)
	v_mul_f64 v[4:5], v[114:115], v[54:55]
	v_fmac_f64_e32 v[4:5], v[116:117], v[44:45]
	s_waitcnt vmcnt(42) lgkmcnt(8)
	v_mul_f64 v[6:7], v[176:177], v[46:47]
	v_add_f64 v[2:3], v[2:3], v[4:5]
	s_waitcnt vmcnt(40) lgkmcnt(6)
	v_mul_f64 v[10:11], v[188:189], v[58:59]
	v_mul_f64 v[46:47], v[178:179], v[46:47]
	s_waitcnt vmcnt(38)
	v_fmac_f64_e32 v[10:11], v[190:191], v[56:57]
	s_waitcnt vmcnt(36)
	v_mul_f64 v[8:9], v[180:181], v[60:61]
	s_waitcnt vmcnt(34) lgkmcnt(4)
	v_mul_f64 v[14:15], v[196:197], v[62:63]
	s_waitcnt vmcnt(32)
	v_fmac_f64_e32 v[14:15], v[198:199], v[64:65]
	s_waitcnt vmcnt(30)
	v_mul_f64 v[12:13], v[192:193], v[66:67]
	s_waitcnt vmcnt(28) lgkmcnt(2)
	v_mul_f64 v[18:19], v[204:205], v[68:69]
	s_waitcnt vmcnt(25)
	v_mul_f64 v[16:17], v[200:201], v[208:209]
	s_waitcnt vmcnt(23) lgkmcnt(1)
	v_mul_f64 v[20:21], v[210:211], v[72:73]
	s_waitcnt vmcnt(21)
	v_fmac_f64_e32 v[6:7], v[178:179], v[82:83]
	v_add_f64 v[2:3], v[2:3], v[6:7]
	s_waitcnt vmcnt(19)
	v_fmac_f64_e32 v[8:9], v[182:183], v[80:81]
	v_add_f64 v[2:3], v[2:3], v[8:9]
	;; [unrolled: 3-line block ×3, first 2 shown]
	v_add_f64 v[2:3], v[2:3], v[12:13]
	s_waitcnt vmcnt(15)
	v_fmac_f64_e32 v[16:17], v[202:203], v[76:77]
	v_add_f64 v[2:3], v[2:3], v[14:15]
	s_waitcnt vmcnt(14)
	v_fmac_f64_e32 v[18:19], v[206:207], v[70:71]
	v_add_f64 v[2:3], v[2:3], v[16:17]
	v_add_f64 v[6:7], v[2:3], v[18:19]
	buffer_load_dword v107, off, s[0:3], 0 offset:460
	buffer_load_dword v106, off, s[0:3], 0 offset:456
	;; [unrolled: 1-line block ×26, first 2 shown]
	s_waitcnt vmcnt(34)
	v_fmac_f64_e32 v[20:21], v[212:213], v[0:1]
	v_add_f64 v[6:7], v[6:7], v[20:21]
	v_fma_f64 v[216:217], v[176:177], v[82:83], -v[46:47]
	v_mul_f64 v[46:47], v[182:183], v[60:61]
	v_fma_f64 v[80:81], v[180:181], v[80:81], -v[46:47]
	v_mul_f64 v[46:47], v[190:191], v[58:59]
	;; [unrolled: 2-line block ×3, first 2 shown]
	s_waitcnt vmcnt(0)
	v_pk_mov_b32 v[18:19], v[4:5], v[4:5] op_sel:[0,1]
	buffer_load_dword v5, off, s[0:3], 0 offset:548
	buffer_load_dword v9, off, s[0:3], 0 offset:540
	;; [unrolled: 1-line block ×3, first 2 shown]
	v_accvgpr_write_b32 a189, v19
	v_accvgpr_write_b32 a188, v18
	s_waitcnt vmcnt(0)
	v_pk_mov_b32 v[14:15], v[8:9], v[8:9] op_sel:[0,1]
	buffer_load_dword v9, off, s[0:3], 0 offset:532
	buffer_load_dword v8, off, s[0:3], 0 offset:528
	;; [unrolled: 1-line block ×3, first 2 shown]
	v_accvgpr_write_b32 a185, v15
	v_accvgpr_write_b32 a184, v14
	s_waitcnt vmcnt(1)
	v_pk_mov_b32 v[16:17], v[8:9], v[8:9] op_sel:[0,1]
	s_waitcnt vmcnt(0)
	v_pk_mov_b32 v[22:23], v[4:5], v[4:5] op_sel:[0,1]
	buffer_load_dword v5, off, s[0:3], 0 offset:588
	buffer_load_dword v4, off, s[0:3], 0 offset:584
	v_accvgpr_write_b32 a187, v17
	v_accvgpr_write_b32 a186, v16
	;; [unrolled: 1-line block ×4, first 2 shown]
	s_waitcnt vmcnt(0)
	v_pk_mov_b32 v[26:27], v[4:5], v[4:5] op_sel:[0,1]
	buffer_load_dword v5, off, s[0:3], 0 offset:580
	buffer_load_dword v9, off, s[0:3], 0 offset:572
	;; [unrolled: 1-line block ×6, first 2 shown]
	v_accvgpr_write_b32 a195, v27
	v_accvgpr_write_b32 a194, v26
	s_waitcnt vmcnt(3)
	v_pk_mov_b32 v[24:25], v[8:9], v[8:9] op_sel:[0,1]
	s_waitcnt vmcnt(0)
	v_pk_mov_b32 v[28:29], v[4:5], v[4:5] op_sel:[0,1]
	buffer_load_dword v5, off, s[0:3], 0 offset:620
	buffer_load_dword v4, off, s[0:3], 0 offset:616
	s_waitcnt lgkmcnt(0)
	v_mul_f64 v[8:9], v[50:51], v[84:85]
	v_fmac_f64_e32 v[8:9], v[52:53], v[86:87]
	v_add_f64 v[6:7], v[6:7], v[8:9]
	v_accvgpr_write_b32 a193, v25
	v_accvgpr_write_b32 a192, v24
	;; [unrolled: 1-line block ×4, first 2 shown]
	s_waitcnt vmcnt(0)
	v_pk_mov_b32 v[34:35], v[4:5], v[4:5] op_sel:[0,1]
	buffer_load_dword v5, off, s[0:3], 0 offset:612
	buffer_load_dword v149, off, s[0:3], 0 offset:604
	;; [unrolled: 1-line block ×6, first 2 shown]
	v_accvgpr_write_b32 a199, v35
	v_accvgpr_write_b32 a198, v34
	s_waitcnt vmcnt(0)
	v_pk_mov_b32 v[36:37], v[4:5], v[4:5] op_sel:[0,1]
	buffer_load_dword v5, off, s[0:3], 0 offset:652
	buffer_load_dword v4, off, s[0:3], 0 offset:648
	v_accvgpr_write_b32 a201, v37
	v_accvgpr_write_b32 a200, v36
	s_waitcnt vmcnt(0)
	v_pk_mov_b32 v[38:39], v[4:5], v[4:5] op_sel:[0,1]
	buffer_load_dword v5, off, s[0:3], 0 offset:644
	buffer_load_dword v155, off, s[0:3], 0 offset:636
	;; [unrolled: 1-line block ×6, first 2 shown]
	v_accvgpr_write_b32 a203, v39
	v_accvgpr_write_b32 a202, v38
	s_waitcnt vmcnt(0)
	v_pk_mov_b32 v[40:41], v[4:5], v[4:5] op_sel:[0,1]
	buffer_load_dword v5, off, s[0:3], 0 offset:684
	buffer_load_dword v4, off, s[0:3], 0 offset:680
	buffer_load_dword v143, off, s[0:3], 0 offset:676
	buffer_load_dword v159, off, s[0:3], 0 offset:668
	buffer_load_dword v158, off, s[0:3], 0 offset:664
	buffer_load_dword v163, off, s[0:3], 0 offset:660
	buffer_load_dword v162, off, s[0:3], 0 offset:656
	buffer_load_dword v142, off, s[0:3], 0 offset:672
	buffer_load_dword v147, off, s[0:3], 0 offset:716
	buffer_load_dword v146, off, s[0:3], 0 offset:712
	buffer_load_dword v161, off, s[0:3], 0 offset:700
	buffer_load_dword v160, off, s[0:3], 0 offset:696
	buffer_load_dword v165, off, s[0:3], 0 offset:692
	buffer_load_dword v164, off, s[0:3], 0 offset:688
	ds_read_b128 v[220:223], v232 offset:1360
	ds_read_b128 v[224:227], v232 offset:1376
	;; [unrolled: 1-line block ×6, first 2 shown]
	s_waitcnt lgkmcnt(5)
	v_mul_f64 v[8:9], v[220:221], v[96:97]
	v_fmac_f64_e32 v[8:9], v[222:223], v[150:151]
	v_add_f64 v[6:7], v[6:7], v[8:9]
	s_waitcnt lgkmcnt(4)
	v_mul_f64 v[8:9], v[224:225], v[88:89]
	v_fmac_f64_e32 v[8:9], v[226:227], v[90:91]
	v_add_f64 v[6:7], v[6:7], v[8:9]
	;; [unrolled: 4-line block ×3, first 2 shown]
	s_waitcnt lgkmcnt(2)
	v_mul_f64 v[8:9], v[234:235], v[106:107]
	v_fmac_f64_e32 v[8:9], v[236:237], v[108:109]
	ds_read_b128 v[246:249], v232 offset:1456
	ds_read_b128 v[252:255], v232 offset:1472
	v_add_f64 v[6:7], v[6:7], v[8:9]
	s_waitcnt lgkmcnt(3)
	v_mul_f64 v[8:9], v[238:239], v[2:3]
	v_fmac_f64_e32 v[8:9], v[240:241], v[74:75]
	v_add_f64 v[6:7], v[6:7], v[8:9]
	s_waitcnt lgkmcnt(2)
	v_mul_f64 v[8:9], v[242:243], v[92:93]
	ds_read_b128 v[138:141], v232 offset:1488
	ds_read_b128 v[134:137], v232 offset:1504
	v_fmac_f64_e32 v[8:9], v[244:245], v[94:95]
	v_add_f64 v[6:7], v[6:7], v[8:9]
	s_waitcnt lgkmcnt(3)
	v_mul_f64 v[8:9], v[246:247], v[102:103]
	ds_read_b128 v[130:133], v232 offset:1520
	ds_read_b128 v[126:129], v232 offset:1536
	;; [unrolled: 6-line block ×3, first 2 shown]
	v_fmac_f64_e32 v[8:9], v[254:255], v[100:101]
	s_waitcnt lgkmcnt(5)
	v_mul_f64 v[12:13], v[138:139], v[14:15]
	v_add_f64 v[10:11], v[6:7], v[8:9]
	v_fmac_f64_e32 v[12:13], v[140:141], v[16:17]
	s_waitcnt lgkmcnt(4)
	v_mul_f64 v[16:17], v[134:135], v[18:19]
	v_add_f64 v[14:15], v[10:11], v[12:13]
	;; [unrolled: 4-line block ×5, first 2 shown]
	v_fmac_f64_e32 v[28:29], v[124:125], v[152:153]
	v_add_f64 v[30:31], v[26:27], v[28:29]
	ds_read_b128 v[26:29], v232 offset:1584
	s_waitcnt lgkmcnt(1)
	v_mul_f64 v[32:33], v[118:119], v[34:35]
	v_fmac_f64_e32 v[32:33], v[120:121], v[36:37]
	v_add_f64 v[34:35], v[30:31], v[32:33]
	ds_read_b128 v[30:33], v232 offset:1600
	s_waitcnt lgkmcnt(1)
	v_mul_f64 v[36:37], v[26:27], v[154:155]
	;; [unrolled: 5-line block ×3, first 2 shown]
	v_accvgpr_write_b32 a205, v41
	v_fmac_f64_e32 v[168:169], v[32:33], v[40:41]
	v_accvgpr_write_b32 a204, v40
	ds_read_b128 v[38:41], v232 offset:1632
	v_add_f64 v[166:167], v[166:167], v[168:169]
	s_waitcnt vmcnt(12)
	v_accvgpr_write_b32 a207, v5
	v_accvgpr_write_b32 a206, v4
	s_waitcnt vmcnt(9) lgkmcnt(1)
	v_mul_f64 v[168:169], v[34:35], v[158:159]
	v_mul_f64 v[8:9], v[116:117], v[54:55]
	s_waitcnt vmcnt(7)
	v_fmac_f64_e32 v[168:169], v[36:37], v[162:163]
	v_add_f64 v[166:167], v[166:167], v[168:169]
	s_waitcnt lgkmcnt(0)
	v_mul_f64 v[168:169], v[38:39], v[4:5]
	s_waitcnt vmcnt(6)
	v_fmac_f64_e32 v[168:169], v[40:41], v[142:143]
	v_add_f64 v[4:5], v[166:167], v[168:169]
	buffer_load_dword v169, off, s[0:3], 0 offset:708
	buffer_load_dword v168, off, s[0:3], 0 offset:704
	;; [unrolled: 1-line block ×10, first 2 shown]
	v_fma_f64 v[18:19], v[110:111], v[42:43], -v[48:49]
	v_fma_f64 v[14:15], v[114:115], v[44:45], -v[8:9]
	ds_read_b128 v[42:45], v232 offset:1648
	buffer_load_dword v177, off, s[0:3], 0 offset:764
	buffer_load_dword v176, off, s[0:3], 0 offset:760
	;; [unrolled: 1-line block ×13, first 2 shown]
	v_fma_f64 v[10:11], v[192:193], v[78:79], -v[46:47]
	buffer_load_dword v192, off, s[0:3], 0 offset:800
	buffer_load_dword v189, off, s[0:3], 0 offset:812
	;; [unrolled: 1-line block ×3, first 2 shown]
	v_mul_f64 v[12:13], v[198:199], v[62:63]
	v_fma_f64 v[12:13], v[196:197], v[64:65], -v[12:13]
	buffer_load_dword v78, off, s[0:3], 0 offset:840
	buffer_load_dword v197, off, s[0:3], 0 offset:828
	;; [unrolled: 1-line block ×8, first 2 shown]
	v_mul_f64 v[48:49], v[202:203], v[208:209]
	v_fma_f64 v[8:9], v[200:201], v[76:77], -v[48:49]
	buffer_load_dword v201, off, s[0:3], 0 offset:860
	buffer_load_dword v200, off, s[0:3], 0 offset:856
	;; [unrolled: 1-line block ×4, first 2 shown]
	v_mul_f64 v[16:17], v[206:207], v[68:69]
	buffer_load_dword v207, off, s[0:3], 0 offset:876
	buffer_load_dword v206, off, s[0:3], 0 offset:872
	;; [unrolled: 1-line block ×4, first 2 shown]
	v_mul_f64 v[48:49], v[212:213], v[72:73]
	v_fma_f64 v[16:17], v[204:205], v[70:71], -v[16:17]
	v_fma_f64 v[6:7], v[210:211], v[0:1], -v[48:49]
	buffer_load_dword v204, off, s[0:3], 0 offset:904
	buffer_load_dword v213, off, s[0:3], 0 offset:892
	;; [unrolled: 1-line block ×12, first 2 shown]
	s_waitcnt vmcnt(56) lgkmcnt(0)
	v_mul_f64 v[46:47], v[42:43], v[160:161]
	s_waitcnt vmcnt(54)
	v_fmac_f64_e32 v[46:47], v[44:45], v[164:165]
	v_add_f64 v[4:5], v[4:5], v[46:47]
	ds_read_b128 v[46:49], v232 offset:1664
	v_mul_f64 v[20:21], v[52:53], v[84:85]
	v_fma_f64 v[20:21], v[50:51], v[86:87], -v[20:21]
	ds_read_b128 v[50:53], v232 offset:1680
	v_mul_f64 v[54:55], v[222:223], v[96:97]
	v_fma_f64 v[150:151], v[220:221], v[150:151], -v[54:55]
	ds_read_b128 v[54:57], v232 offset:1696
	s_waitcnt lgkmcnt(2)
	v_mul_f64 v[58:59], v[46:47], v[146:147]
	v_mul_f64 v[62:63], v[226:227], v[88:89]
	v_fma_f64 v[220:221], v[224:225], v[90:91], -v[62:63]
	ds_read_b128 v[62:65], v232 offset:1728
	v_mul_f64 v[66:67], v[230:231], v[250:251]
	v_fma_f64 v[214:215], v[228:229], v[214:215], -v[66:67]
	v_mul_f64 v[2:3], v[240:241], v[2:3]
	v_fma_f64 v[240:241], v[238:239], v[74:75], -v[2:3]
	;; [unrolled: 2-line block ×4, first 2 shown]
	ds_read_b128 v[94:97], v232 offset:1856
	v_add_f64 v[18:19], v[18:19], 0
	v_add_f64 v[14:15], v[18:19], v[14:15]
	;; [unrolled: 1-line block ×14, first 2 shown]
	v_accvgpr_read_b32 v8, a186
	v_accvgpr_read_b32 v9, a187
	ds_read_b128 v[66:69], v232 offset:1744
	ds_read_b128 v[86:89], v232 offset:1824
	;; [unrolled: 1-line block ×3, first 2 shown]
	s_waitcnt vmcnt(52)
	v_fmac_f64_e32 v[58:59], v[48:49], v[168:169]
	v_add_f64 v[4:5], v[4:5], v[58:59]
	s_waitcnt vmcnt(49) lgkmcnt(6)
	v_mul_f64 v[58:59], v[50:51], v[172:173]
	s_waitcnt vmcnt(47)
	v_fmac_f64_e32 v[58:59], v[52:53], v[174:175]
	v_add_f64 v[4:5], v[4:5], v[58:59]
	s_waitcnt vmcnt(45) lgkmcnt(5)
	v_mul_f64 v[58:59], v[54:55], v[166:167]
	s_waitcnt vmcnt(44)
	v_fmac_f64_e32 v[58:59], v[56:57], v[170:171]
	v_add_f64 v[4:5], v[4:5], v[58:59]
	ds_read_b128 v[58:61], v232 offset:1712
	s_waitcnt vmcnt(42) lgkmcnt(0)
	v_mul_f64 v[70:71], v[58:59], v[176:177]
	s_waitcnt vmcnt(40)
	v_fmac_f64_e32 v[70:71], v[60:61], v[178:179]
	v_add_f64 v[4:5], v[4:5], v[70:71]
	s_waitcnt vmcnt(38)
	v_mul_f64 v[70:71], v[62:63], v[180:181]
	s_waitcnt vmcnt(36)
	v_fmac_f64_e32 v[70:71], v[64:65], v[184:185]
	v_add_f64 v[4:5], v[4:5], v[70:71]
	s_waitcnt vmcnt(34)
	v_mul_f64 v[70:71], v[66:67], v[182:183]
	s_waitcnt vmcnt(32)
	v_fmac_f64_e32 v[70:71], v[68:69], v[186:187]
	v_add_f64 v[82:83], v[4:5], v[70:71]
	ds_read_b128 v[70:73], v232 offset:1760
	v_mul_f64 v[4:5], v[236:237], v[106:107]
	v_fma_f64 v[250:251], v[234:235], v[108:109], -v[4:5]
	ds_read_b128 v[234:237], v232 offset:1776
	ds_read_b128 v[2:5], v232 offset:1792
	s_waitcnt vmcnt(29) lgkmcnt(2)
	v_mul_f64 v[84:85], v[70:71], v[188:189]
	s_waitcnt vmcnt(28)
	v_fmac_f64_e32 v[84:85], v[72:73], v[192:193]
	v_add_f64 v[74:75], v[82:83], v[84:85]
	s_waitcnt vmcnt(25) lgkmcnt(1)
	v_mul_f64 v[82:83], v[234:235], v[196:197]
	s_waitcnt vmcnt(23)
	v_fmac_f64_e32 v[82:83], v[236:237], v[198:199]
	v_add_f64 v[74:75], v[74:75], v[82:83]
	;; [unrolled: 5-line block ×3, first 2 shown]
	ds_read_b128 v[82:85], v232 offset:1808
	v_add_f64 v[6:7], v[6:7], v[250:251]
	v_add_f64 v[6:7], v[6:7], v[240:241]
	v_mul_f64 v[4:5], v[4:5], v[78:79]
	v_fma_f64 v[2:3], v[2:3], v[194:195], -v[4:5]
	s_waitcnt vmcnt(18) lgkmcnt(0)
	v_mul_f64 v[24:25], v[82:83], v[200:201]
	s_waitcnt vmcnt(16)
	v_fmac_f64_e32 v[24:25], v[84:85], v[202:203]
	v_add_f64 v[24:25], v[74:75], v[24:25]
	s_waitcnt vmcnt(14)
	v_mul_f64 v[74:75], v[86:87], v[206:207]
	s_waitcnt vmcnt(12)
	v_fmac_f64_e32 v[74:75], v[88:89], v[208:209]
	v_add_f64 v[24:25], v[24:25], v[74:75]
	v_mul_f64 v[74:75], v[254:255], v[98:99]
	v_fma_f64 v[252:253], v[252:253], v[100:101], -v[74:75]
	ds_read_b128 v[98:101], v232 offset:1872
	s_waitcnt vmcnt(9)
	v_mul_f64 v[74:75], v[90:91], v[212:213]
	s_waitcnt vmcnt(7)
	v_fmac_f64_e32 v[74:75], v[92:93], v[76:77]
	v_add_f64 v[24:25], v[24:25], v[74:75]
	s_waitcnt vmcnt(5)
	v_mul_f64 v[74:75], v[94:95], v[204:205]
	s_waitcnt vmcnt(4)
	v_fmac_f64_e32 v[74:75], v[96:97], v[210:211]
	v_add_f64 v[24:25], v[24:25], v[74:75]
	s_waitcnt vmcnt(2) lgkmcnt(0)
	v_mul_f64 v[74:75], v[98:99], v[22:23]
	s_waitcnt vmcnt(0)
	v_fmac_f64_e32 v[74:75], v[100:101], v[218:219]
	v_add_f64 v[24:25], v[24:25], v[74:75]
	buffer_load_dword v74, off, s[0:3], 0 offset:936
	buffer_load_dword v75, off, s[0:3], 0 offset:940
	;; [unrolled: 1-line block ×4, first 2 shown]
	ds_read_b128 v[102:105], v232 offset:1888
	buffer_load_dword v225, off, s[0:3], 0 offset:956
	buffer_load_dword v224, off, s[0:3], 0 offset:952
	;; [unrolled: 1-line block ×4, first 2 shown]
	v_add_f64 v[254:255], v[6:7], v[0:1]
	v_accvgpr_read_b32 v6, a184
	v_accvgpr_read_b32 v7, a185
	v_add_f64 v[0:1], v[254:255], v[238:239]
	v_mul_f64 v[6:7], v[140:141], v[6:7]
	v_add_f64 v[0:1], v[0:1], v[252:253]
	v_fma_f64 v[6:7], v[138:139], v[8:9], -v[6:7]
	v_add_f64 v[0:1], v[0:1], v[6:7]
	v_accvgpr_read_b32 v6, a188
	v_accvgpr_read_b32 v7, a189
	;; [unrolled: 1-line block ×3, first 2 shown]
	v_mul_f64 v[6:7], v[136:137], v[6:7]
	v_accvgpr_read_b32 v9, a191
	v_fma_f64 v[6:7], v[134:135], v[8:9], -v[6:7]
	v_add_f64 v[0:1], v[0:1], v[6:7]
	v_accvgpr_read_b32 v6, a192
	v_accvgpr_read_b32 v7, a193
	v_mul_f64 v[6:7], v[132:133], v[6:7]
	v_fma_f64 v[6:7], v[130:131], v[144:145], -v[6:7]
	v_add_f64 v[0:1], v[0:1], v[6:7]
	v_accvgpr_read_b32 v6, a194
	v_accvgpr_read_b32 v7, a195
	v_accvgpr_read_b32 v8, a196
	v_mul_f64 v[6:7], v[128:129], v[6:7]
	v_accvgpr_read_b32 v9, a197
	v_fma_f64 v[6:7], v[126:127], v[8:9], -v[6:7]
	v_add_f64 v[0:1], v[0:1], v[6:7]
	v_mul_f64 v[6:7], v[124:125], v[148:149]
	v_fma_f64 v[6:7], v[122:123], v[152:153], -v[6:7]
	v_add_f64 v[0:1], v[0:1], v[6:7]
	v_accvgpr_read_b32 v6, a198
	v_accvgpr_read_b32 v7, a199
	v_accvgpr_read_b32 v8, a200
	v_mul_f64 v[6:7], v[120:121], v[6:7]
	v_accvgpr_read_b32 v9, a201
	v_fma_f64 v[6:7], v[118:119], v[8:9], -v[6:7]
	v_add_f64 v[0:1], v[0:1], v[6:7]
	;; [unrolled: 10-line block ×3, first 2 shown]
	v_mul_f64 v[6:7], v[36:37], v[158:159]
	v_fma_f64 v[6:7], v[34:35], v[162:163], -v[6:7]
	v_add_f64 v[0:1], v[0:1], v[6:7]
	v_accvgpr_read_b32 v6, a206
	v_accvgpr_read_b32 v7, a207
	v_mul_f64 v[6:7], v[40:41], v[6:7]
	v_fma_f64 v[6:7], v[38:39], v[142:143], -v[6:7]
	v_add_f64 v[0:1], v[0:1], v[6:7]
	v_mul_f64 v[6:7], v[44:45], v[160:161]
	v_fma_f64 v[6:7], v[42:43], v[164:165], -v[6:7]
	v_add_f64 v[0:1], v[0:1], v[6:7]
	;; [unrolled: 3-line block ×7, first 2 shown]
	v_mul_f64 v[6:7], v[68:69], v[182:183]
	v_fma_f64 v[6:7], v[66:67], v[186:187], -v[6:7]
	s_waitcnt vmcnt(6) lgkmcnt(0)
	v_mul_f64 v[106:107], v[102:103], v[74:75]
	v_add_f64 v[0:1], v[0:1], v[6:7]
	s_waitcnt vmcnt(4)
	v_fmac_f64_e32 v[106:107], v[104:105], v[222:223]
	v_add_f64 v[24:25], v[24:25], v[106:107]
	ds_read_b128 v[106:109], v232 offset:1904
	buffer_load_dword v228, off, s[0:3], 0 offset:968
	buffer_load_dword v229, off, s[0:3], 0 offset:972
	;; [unrolled: 1-line block ×4, first 2 shown]
	v_mul_f64 v[6:7], v[72:73], v[188:189]
	v_fma_f64 v[6:7], v[70:71], v[192:193], -v[6:7]
	v_add_f64 v[0:1], v[0:1], v[6:7]
	s_waitcnt vmcnt(6) lgkmcnt(0)
	v_mul_f64 v[110:111], v[106:107], v[224:225]
	s_waitcnt vmcnt(4)
	v_fmac_f64_e32 v[110:111], v[108:109], v[226:227]
	v_add_f64 v[24:25], v[24:25], v[110:111]
	ds_read_b128 v[110:113], v232 offset:1920
	buffer_load_dword v243, off, s[0:3], 0 offset:988
	buffer_load_dword v242, off, s[0:3], 0 offset:984
	;; [unrolled: 1-line block ×4, first 2 shown]
	v_mul_f64 v[6:7], v[236:237], v[196:197]
	v_fma_f64 v[6:7], v[234:235], v[198:199], -v[6:7]
	v_add_f64 v[0:1], v[0:1], v[6:7]
	v_add_f64 v[0:1], v[0:1], v[2:3]
	v_mul_f64 v[2:3], v[84:85], v[200:201]
	v_fma_f64 v[2:3], v[82:83], v[202:203], -v[2:3]
	v_add_f64 v[0:1], v[0:1], v[2:3]
	v_mul_f64 v[2:3], v[88:89], v[206:207]
	v_fma_f64 v[2:3], v[86:87], v[208:209], -v[2:3]
	;; [unrolled: 3-line block ×7, first 2 shown]
	v_add_f64 v[0:1], v[0:1], v[2:3]
	s_waitcnt vmcnt(6) lgkmcnt(0)
	v_mul_f64 v[114:115], v[110:111], v[228:229]
	v_mul_f64 v[2:3], v[112:113], v[228:229]
	s_waitcnt vmcnt(4)
	v_fmac_f64_e32 v[114:115], v[112:113], v[230:231]
	v_add_f64 v[24:25], v[24:25], v[114:115]
	ds_read_b128 v[114:117], v232 offset:1936
	buffer_load_dword v248, off, s[0:3], 0 offset:208
	buffer_load_dword v249, off, s[0:3], 0 offset:212
	;; [unrolled: 1-line block ×4, first 2 shown]
	v_fma_f64 v[2:3], v[110:111], v[230:231], -v[2:3]
	v_add_f64 v[0:1], v[0:1], v[2:3]
	s_waitcnt vmcnt(6) lgkmcnt(0)
	v_mul_f64 v[232:233], v[114:115], v[242:243]
	s_waitcnt vmcnt(4)
	v_fmac_f64_e32 v[232:233], v[116:117], v[244:245]
	v_mul_f64 v[2:3], v[116:117], v[242:243]
	v_add_f64 v[232:233], v[24:25], v[232:233]
	v_fma_f64 v[2:3], v[114:115], v[244:245], -v[2:3]
	v_add_f64 v[0:1], v[0:1], v[2:3]
	s_waitcnt vmcnt(2)
	v_add_f64 v[0:1], v[248:249], -v[0:1]
	s_waitcnt vmcnt(0)
	v_add_f64 v[2:3], v[246:247], -v[232:233]
	v_accvgpr_read_b32 v233, a182
	v_cmp_lt_u32_e32 vcc, 11, v233
	buffer_store_dword v1, off, s[0:3], 0 offset:212
	buffer_store_dword v0, off, s[0:3], 0 offset:208
	;; [unrolled: 1-line block ×4, first 2 shown]
	s_and_saveexec_b64 s[4:5], vcc
	s_cbranch_execz .LBB124_369
; %bb.368:
	v_accvgpr_read_b32 v0, a171
	buffer_load_dword v2, v0, s[0:3], 0 offen
	buffer_load_dword v3, v0, s[0:3], 0 offen offset:4
	buffer_load_dword v4, v0, s[0:3], 0 offen offset:8
	;; [unrolled: 1-line block ×3, first 2 shown]
	v_mov_b32_e32 v0, 0
	v_accvgpr_read_b32 v1, a183
	buffer_store_dword v0, off, s[0:3], 0 offset:192
	buffer_store_dword v0, off, s[0:3], 0 offset:196
	;; [unrolled: 1-line block ×4, first 2 shown]
	s_waitcnt vmcnt(4)
	ds_write_b128 v1, v[2:5]
.LBB124_369:
	s_or_b64 exec, exec, s[4:5]
	s_waitcnt lgkmcnt(0)
	; wave barrier
	s_waitcnt lgkmcnt(0)
	buffer_load_dword v38, off, s[0:3], 0 offset:208
	buffer_load_dword v39, off, s[0:3], 0 offset:212
	;; [unrolled: 1-line block ×42, first 2 shown]
	v_mov_b32_e32 v232, 0
	buffer_load_dword v99, off, s[0:3], 0 offset:356
	buffer_load_dword v98, off, s[0:3], 0 offset:352
	;; [unrolled: 1-line block ×7, first 2 shown]
	ds_read_b128 v[108:111], v232 offset:1168
	ds_read_b128 v[112:115], v232 offset:1184
	;; [unrolled: 1-line block ×11, first 2 shown]
	v_cmp_lt_u32_e32 vcc, 10, v233
	s_waitcnt vmcnt(45) lgkmcnt(10)
	v_mul_f64 v[0:1], v[108:109], v[40:41]
	v_fmac_f64_e32 v[0:1], v[110:111], v[38:39]
	v_add_f64 v[0:1], v[0:1], 0
	v_mul_f64 v[40:41], v[110:111], v[40:41]
	s_waitcnt vmcnt(41) lgkmcnt(9)
	v_mul_f64 v[2:3], v[112:113], v[46:47]
	v_fmac_f64_e32 v[2:3], v[114:115], v[44:45]
	s_waitcnt vmcnt(39) lgkmcnt(8)
	v_mul_f64 v[4:5], v[172:173], v[42:43]
	v_add_f64 v[0:1], v[0:1], v[2:3]
	s_waitcnt vmcnt(37) lgkmcnt(6)
	v_mul_f64 v[8:9], v[182:183], v[48:49]
	v_mul_f64 v[42:43], v[174:175], v[42:43]
	s_waitcnt vmcnt(35)
	v_fmac_f64_e32 v[8:9], v[184:185], v[50:51]
	s_waitcnt vmcnt(33)
	v_mul_f64 v[6:7], v[176:177], v[52:53]
	s_waitcnt vmcnt(31) lgkmcnt(4)
	v_mul_f64 v[12:13], v[192:193], v[56:57]
	s_waitcnt vmcnt(29)
	v_fmac_f64_e32 v[12:13], v[194:195], v[54:55]
	s_waitcnt vmcnt(27)
	v_mul_f64 v[10:11], v[186:187], v[58:59]
	s_waitcnt vmcnt(25) lgkmcnt(2)
	v_mul_f64 v[16:17], v[200:201], v[64:65]
	s_waitcnt vmcnt(22)
	v_mul_f64 v[14:15], v[196:197], v[66:67]
	s_waitcnt vmcnt(20) lgkmcnt(1)
	v_mul_f64 v[18:19], v[204:205], v[60:61]
	s_waitcnt vmcnt(18)
	v_fmac_f64_e32 v[4:5], v[174:175], v[74:75]
	v_add_f64 v[0:1], v[0:1], v[4:5]
	s_waitcnt vmcnt(16)
	v_fmac_f64_e32 v[6:7], v[178:179], v[72:73]
	v_add_f64 v[0:1], v[0:1], v[6:7]
	;; [unrolled: 3-line block ×3, first 2 shown]
	v_add_f64 v[0:1], v[0:1], v[10:11]
	s_waitcnt vmcnt(12)
	v_fmac_f64_e32 v[14:15], v[198:199], v[68:69]
	v_add_f64 v[0:1], v[0:1], v[12:13]
	s_waitcnt vmcnt(11)
	v_fmac_f64_e32 v[16:17], v[202:203], v[62:63]
	v_add_f64 v[0:1], v[0:1], v[14:15]
	v_add_f64 v[2:3], v[0:1], v[16:17]
	buffer_load_dword v84, off, s[0:3], 0 offset:392
	buffer_load_dword v117, off, s[0:3], 0 offset:388
	;; [unrolled: 1-line block ×29, first 2 shown]
	s_waitcnt vmcnt(34)
	v_fmac_f64_e32 v[18:19], v[206:207], v[98:99]
	s_waitcnt lgkmcnt(0)
	v_mul_f64 v[6:7], v[208:209], v[76:77]
	v_add_f64 v[2:3], v[2:3], v[18:19]
	v_fmac_f64_e32 v[6:7], v[210:211], v[82:83]
	v_add_f64 v[2:3], v[2:3], v[6:7]
	v_fma_f64 v[74:75], v[172:173], v[74:75], -v[42:43]
	v_mul_f64 v[42:43], v[178:179], v[52:53]
	v_fma_f64 v[212:213], v[176:177], v[72:73], -v[42:43]
	v_mul_f64 v[52:53], v[206:207], v[60:61]
	s_waitcnt vmcnt(0)
	v_pk_mov_b32 v[8:9], v[4:5], v[4:5] op_sel:[0,1]
	buffer_load_dword v5, off, s[0:3], 0 offset:532
	buffer_load_dword v4, off, s[0:3], 0 offset:528
	v_accvgpr_write_b32 a185, v9
	v_accvgpr_write_b32 a184, v8
	s_waitcnt vmcnt(0)
	v_pk_mov_b32 v[12:13], v[4:5], v[4:5] op_sel:[0,1]
	buffer_load_dword v95, off, s[0:3], 0 offset:524
	buffer_load_dword v94, off, s[0:3], 0 offset:520
	;; [unrolled: 1-line block ×6, first 2 shown]
	v_accvgpr_write_b32 a187, v13
	v_accvgpr_write_b32 a186, v12
	s_waitcnt vmcnt(0)
	v_pk_mov_b32 v[16:17], v[4:5], v[4:5] op_sel:[0,1]
	buffer_load_dword v5, off, s[0:3], 0 offset:564
	buffer_load_dword v4, off, s[0:3], 0 offset:560
	v_accvgpr_write_b32 a191, v17
	v_accvgpr_write_b32 a190, v16
	s_waitcnt vmcnt(0)
	v_pk_mov_b32 v[20:21], v[4:5], v[4:5] op_sel:[0,1]
	buffer_load_dword v5, off, s[0:3], 0 offset:556
	buffer_load_dword v4, off, s[0:3], 0 offset:552
	;; [unrolled: 6-line block ×3, first 2 shown]
	buffer_load_dword v5, off, s[0:3], 0 offset:604
	buffer_load_dword v4, off, s[0:3], 0 offset:600
	v_accvgpr_write_b32 a189, v23
	v_accvgpr_write_b32 a188, v22
	s_waitcnt vmcnt(0)
	v_pk_mov_b32 v[24:25], v[4:5], v[4:5] op_sel:[0,1]
	buffer_load_dword v5, off, s[0:3], 0 offset:596
	buffer_load_dword v4, off, s[0:3], 0 offset:592
	v_accvgpr_write_b32 a195, v25
	v_accvgpr_write_b32 a194, v24
	s_waitcnt vmcnt(0)
	v_pk_mov_b32 v[28:29], v[4:5], v[4:5] op_sel:[0,1]
	buffer_load_dword v147, off, s[0:3], 0 offset:588
	buffer_load_dword v146, off, s[0:3], 0 offset:584
	buffer_load_dword v149, off, s[0:3], 0 offset:580
	buffer_load_dword v148, off, s[0:3], 0 offset:576
	buffer_load_dword v5, off, s[0:3], 0 offset:636
	buffer_load_dword v4, off, s[0:3], 0 offset:632
	v_accvgpr_write_b32 a197, v29
	v_accvgpr_write_b32 a196, v28
	s_waitcnt vmcnt(0)
	v_pk_mov_b32 v[36:37], v[4:5], v[4:5] op_sel:[0,1]
	buffer_load_dword v5, off, s[0:3], 0 offset:628
	buffer_load_dword v4, off, s[0:3], 0 offset:624
	v_accvgpr_write_b32 a199, v37
	v_accvgpr_write_b32 a198, v36
	s_waitcnt vmcnt(0)
	v_pk_mov_b32 v[166:167], v[4:5], v[4:5] op_sel:[0,1]
	buffer_load_dword v153, off, s[0:3], 0 offset:620
	buffer_load_dword v152, off, s[0:3], 0 offset:616
	buffer_load_dword v155, off, s[0:3], 0 offset:612
	buffer_load_dword v154, off, s[0:3], 0 offset:608
	;; [unrolled: 16-line block ×3, first 2 shown]
	buffer_load_dword v5, off, s[0:3], 0 offset:700
	buffer_load_dword v4, off, s[0:3], 0 offset:696
	;; [unrolled: 1-line block ×8, first 2 shown]
	ds_read_b128 v[216:219], v232 offset:1344
	ds_read_b128 v[220:223], v232 offset:1360
	;; [unrolled: 1-line block ×6, first 2 shown]
	s_waitcnt lgkmcnt(5)
	v_mul_f64 v[6:7], v[216:217], v[84:85]
	v_fmac_f64_e32 v[6:7], v[218:219], v[116:117]
	v_add_f64 v[2:3], v[2:3], v[6:7]
	s_waitcnt lgkmcnt(4)
	v_mul_f64 v[6:7], v[220:221], v[78:79]
	v_fmac_f64_e32 v[6:7], v[222:223], v[80:81]
	v_add_f64 v[2:3], v[2:3], v[6:7]
	;; [unrolled: 4-line block ×3, first 2 shown]
	s_waitcnt lgkmcnt(2)
	v_mul_f64 v[6:7], v[228:229], v[104:105]
	v_fmac_f64_e32 v[6:7], v[230:231], v[106:107]
	ds_read_b128 v[242:245], v232 offset:1440
	ds_read_b128 v[246:249], v232 offset:1456
	v_add_f64 v[2:3], v[2:3], v[6:7]
	s_waitcnt lgkmcnt(3)
	v_mul_f64 v[6:7], v[234:235], v[164:165]
	v_fmac_f64_e32 v[6:7], v[236:237], v[0:1]
	v_add_f64 v[2:3], v[2:3], v[6:7]
	s_waitcnt lgkmcnt(2)
	v_mul_f64 v[6:7], v[238:239], v[86:87]
	v_fmac_f64_e32 v[6:7], v[240:241], v[88:89]
	ds_read_b128 v[250:253], v232 offset:1472
	ds_read_b128 v[118:121], v232 offset:1488
	v_add_f64 v[2:3], v[2:3], v[6:7]
	s_waitcnt lgkmcnt(3)
	v_mul_f64 v[6:7], v[242:243], v[100:101]
	v_fmac_f64_e32 v[6:7], v[244:245], v[102:103]
	ds_read_b128 v[122:125], v232 offset:1504
	ds_read_b128 v[126:129], v232 offset:1520
	;; [unrolled: 6-line block ×3, first 2 shown]
	v_add_f64 v[2:3], v[2:3], v[6:7]
	s_waitcnt lgkmcnt(5)
	v_mul_f64 v[6:7], v[250:251], v[94:95]
	v_fmac_f64_e32 v[6:7], v[252:253], v[96:97]
	s_waitcnt lgkmcnt(4)
	v_mul_f64 v[10:11], v[118:119], v[8:9]
	v_add_f64 v[2:3], v[2:3], v[6:7]
	v_fmac_f64_e32 v[10:11], v[120:121], v[12:13]
	s_waitcnt lgkmcnt(3)
	v_mul_f64 v[14:15], v[122:123], v[22:23]
	v_add_f64 v[2:3], v[2:3], v[10:11]
	;; [unrolled: 4-line block ×5, first 2 shown]
	ds_read_b128 v[138:141], v232 offset:1568
	v_fmac_f64_e32 v[26:27], v[136:137], v[28:29]
	v_add_f64 v[2:3], v[2:3], v[26:27]
	ds_read_b128 v[26:29], v232 offset:1584
	v_fma_f64 v[22:23], v[108:109], v[38:39], -v[40:41]
	s_waitcnt lgkmcnt(1)
	v_mul_f64 v[30:31], v[138:139], v[152:153]
	v_fmac_f64_e32 v[30:31], v[140:141], v[154:155]
	v_add_f64 v[2:3], v[2:3], v[30:31]
	s_waitcnt lgkmcnt(0)
	v_mul_f64 v[34:35], v[26:27], v[36:37]
	ds_read_b128 v[30:33], v232 offset:1600
	v_fmac_f64_e32 v[34:35], v[28:29], v[166:167]
	v_add_f64 v[2:3], v[2:3], v[34:35]
	ds_read_b128 v[34:37], v232 offset:1616
	ds_read_b128 v[38:41], v232 offset:1632
	buffer_load_dword v25, off, s[0:3], 0 offset:716
	buffer_load_dword v24, off, s[0:3], 0 offset:712
	;; [unrolled: 1-line block ×4, first 2 shown]
	s_waitcnt vmcnt(14) lgkmcnt(2)
	v_mul_f64 v[108:109], v[30:31], v[156:157]
	v_accvgpr_write_b32 a205, v171
	s_waitcnt vmcnt(12)
	v_fmac_f64_e32 v[108:109], v[32:33], v[158:159]
	v_add_f64 v[2:3], v[2:3], v[108:109]
	s_waitcnt lgkmcnt(1)
	v_mul_f64 v[108:109], v[34:35], v[168:169]
	v_fmac_f64_e32 v[108:109], v[36:37], v[170:171]
	v_accvgpr_write_b32 a204, v170
	buffer_load_dword v168, off, s[0:3], 0 offset:728
	buffer_load_dword v170, off, s[0:3], 0 offset:720
	;; [unrolled: 1-line block ×12, first 2 shown]
	v_add_f64 v[108:109], v[2:3], v[108:109]
	v_mul_f64 v[2:3], v[114:115], v[46:47]
	v_mul_f64 v[46:47], v[184:185], v[48:49]
	v_fma_f64 v[20:21], v[112:113], v[44:45], -v[2:3]
	ds_read_b128 v[42:45], v232 offset:1648
	v_fma_f64 v[18:19], v[182:183], v[50:51], -v[46:47]
	buffer_load_dword v176, off, s[0:3], 0 offset:792
	buffer_load_dword v183, off, s[0:3], 0 offset:780
	;; [unrolled: 1-line block ×5, first 2 shown]
	v_mul_f64 v[46:47], v[188:189], v[58:59]
	v_fma_f64 v[16:17], v[186:187], v[70:71], -v[46:47]
	buffer_load_dword v186, off, s[0:3], 0 offset:784
	buffer_load_dword v177, off, s[0:3], 0 offset:796
	;; [unrolled: 1-line block ×7, first 2 shown]
	v_mul_f64 v[46:47], v[194:195], v[56:57]
	v_fma_f64 v[14:15], v[192:193], v[54:55], -v[46:47]
	v_mul_f64 v[46:47], v[198:199], v[66:67]
	v_fma_f64 v[12:13], v[196:197], v[68:69], -v[46:47]
	buffer_load_dword v194, off, s[0:3], 0 offset:824
	buffer_load_dword v196, off, s[0:3], 0 offset:816
	buffer_load_dword v195, off, s[0:3], 0 offset:828
	buffer_load_dword v197, off, s[0:3], 0 offset:820
	v_mul_f64 v[46:47], v[202:203], v[64:65]
	v_fma_f64 v[10:11], v[200:201], v[62:63], -v[46:47]
	buffer_load_dword v193, off, s[0:3], 0 offset:860
	buffer_load_dword v199, off, s[0:3], 0 offset:844
	;; [unrolled: 1-line block ×8, first 2 shown]
	ds_read_b128 v[46:49], v232 offset:1664
	v_fma_f64 v[8:9], v[204:205], v[98:99], -v[52:53]
	buffer_load_dword v205, off, s[0:3], 0 offset:876
	buffer_load_dword v204, off, s[0:3], 0 offset:872
	buffer_load_dword v207, off, s[0:3], 0 offset:868
	buffer_load_dword v206, off, s[0:3], 0 offset:864
	v_mul_f64 v[52:53], v[210:211], v[76:77]
	v_fma_f64 v[6:7], v[208:209], v[82:83], -v[52:53]
	buffer_load_dword v208, off, s[0:3], 0 offset:888
	buffer_load_dword v210, off, s[0:3], 0 offset:880
	buffer_load_dword v209, off, s[0:3], 0 offset:892
	buffer_load_dword v211, off, s[0:3], 0 offset:884
	buffer_load_dword v77, off, s[0:3], 0 offset:908
	buffer_load_dword v76, off, s[0:3], 0 offset:904
	buffer_load_dword v215, off, s[0:3], 0 offset:900
	buffer_load_dword v214, off, s[0:3], 0 offset:896
	s_waitcnt vmcnt(58)
	v_accvgpr_write_b32 a207, v5
	v_mul_f64 v[52:53], v[218:219], v[84:85]
	s_waitcnt lgkmcnt(1)
	v_mul_f64 v[50:51], v[42:43], v[4:5]
	v_accvgpr_write_b32 a206, v4
	v_fma_f64 v[4:5], v[216:217], v[116:117], -v[52:53]
	buffer_load_dword v216, off, s[0:3], 0 offset:920
	buffer_load_dword v218, off, s[0:3], 0 offset:912
	;; [unrolled: 1-line block ×4, first 2 shown]
	s_waitcnt vmcnt(58)
	v_mul_f64 v[110:111], v[38:39], v[160:161]
	s_waitcnt vmcnt(56)
	v_fmac_f64_e32 v[110:111], v[40:41], v[162:163]
	v_add_f64 v[108:109], v[108:109], v[110:111]
	v_fmac_f64_e32 v[50:51], v[44:45], v[144:145]
	v_add_f64 v[50:51], v[108:109], v[50:51]
	v_mul_f64 v[54:55], v[222:223], v[78:79]
	v_fma_f64 v[220:221], v[220:221], v[80:81], -v[54:55]
	ds_read_b128 v[54:57], v232 offset:1696
	v_mul_f64 v[58:59], v[226:227], v[150:151]
	v_fma_f64 v[150:151], v[224:225], v[254:255], -v[58:59]
	ds_read_b128 v[58:61], v232 offset:1712
	v_mul_f64 v[66:67], v[230:231], v[104:105]
	v_fma_f64 v[254:255], v[228:229], v[106:107], -v[66:67]
	ds_read_b128 v[66:69], v232 offset:1744
	v_mul_f64 v[70:71], v[236:237], v[164:165]
	v_fma_f64 v[164:165], v[234:235], v[0:1], -v[70:71]
	ds_read_b128 v[234:237], v232 offset:1776
	v_mul_f64 v[82:83], v[244:245], v[100:101]
	v_fma_f64 v[2:3], v[242:243], v[102:103], -v[82:83]
	ds_read_b128 v[82:85], v232 offset:1808
	v_mul_f64 v[90:91], v[248:249], v[90:91]
	v_fma_f64 v[246:247], v[246:247], v[92:93], -v[90:91]
	ds_read_b128 v[90:93], v232 offset:1840
	v_mul_f64 v[94:95], v[252:253], v[94:95]
	v_fma_f64 v[250:251], v[250:251], v[96:97], -v[94:95]
	v_add_f64 v[22:23], v[22:23], 0
	v_add_f64 v[20:21], v[22:23], v[20:21]
	;; [unrolled: 1-line block ×7, first 2 shown]
	ds_read_b128 v[70:73], v232 offset:1760
	v_add_f64 v[12:13], v[14:15], v[12:13]
	v_add_f64 v[10:11], v[12:13], v[10:11]
	v_add_f64 v[8:9], v[10:11], v[8:9]
	v_add_f64 v[6:7], v[8:9], v[6:7]
	s_waitcnt vmcnt(54) lgkmcnt(7)
	v_mul_f64 v[52:53], v[46:47], v[24:25]
	v_add_f64 v[4:5], v[6:7], v[4:5]
	s_waitcnt vmcnt(52)
	v_fmac_f64_e32 v[52:53], v[48:49], v[166:167]
	v_add_f64 v[62:63], v[50:51], v[52:53]
	ds_read_b128 v[50:53], v232 offset:1680
	v_add_f64 v[4:5], v[4:5], v[220:221]
	v_add_f64 v[4:5], v[4:5], v[150:151]
	v_add_f64 v[4:5], v[4:5], v[254:255]
	v_add_f64 v[4:5], v[4:5], v[164:165]
	s_waitcnt vmcnt(49) lgkmcnt(0)
	v_mul_f64 v[64:65], v[50:51], v[168:169]
	s_waitcnt vmcnt(48)
	v_fmac_f64_e32 v[64:65], v[52:53], v[170:171]
	v_add_f64 v[62:63], v[62:63], v[64:65]
	s_waitcnt vmcnt(45)
	v_mul_f64 v[64:65], v[54:55], v[174:175]
	s_waitcnt vmcnt(43)
	v_fmac_f64_e32 v[64:65], v[56:57], v[180:181]
	v_add_f64 v[62:63], v[62:63], v[64:65]
	s_waitcnt vmcnt(42)
	v_mul_f64 v[64:65], v[58:59], v[172:173]
	s_waitcnt vmcnt(40)
	v_fmac_f64_e32 v[64:65], v[60:61], v[178:179]
	v_add_f64 v[78:79], v[62:63], v[64:65]
	ds_read_b128 v[62:65], v232 offset:1728
	ds_read_b128 v[94:97], v232 offset:1856
	v_accvgpr_read_b32 v6, a186
	v_accvgpr_read_b32 v7, a187
	s_waitcnt vmcnt(37) lgkmcnt(1)
	v_mul_f64 v[80:81], v[62:63], v[182:183]
	s_waitcnt vmcnt(35)
	v_fmac_f64_e32 v[80:81], v[64:65], v[184:185]
	v_add_f64 v[0:1], v[78:79], v[80:81]
	s_waitcnt vmcnt(33)
	v_mul_f64 v[78:79], v[66:67], v[176:177]
	s_waitcnt vmcnt(32)
	v_fmac_f64_e32 v[78:79], v[68:69], v[186:187]
	v_add_f64 v[0:1], v[0:1], v[78:79]
	s_waitcnt vmcnt(30)
	v_mul_f64 v[78:79], v[70:71], v[188:189]
	s_waitcnt vmcnt(28)
	v_fmac_f64_e32 v[78:79], v[72:73], v[190:191]
	v_add_f64 v[0:1], v[0:1], v[78:79]
	v_mul_f64 v[78:79], v[240:241], v[86:87]
	v_fma_f64 v[238:239], v[238:239], v[88:89], -v[78:79]
	ds_read_b128 v[78:81], v232 offset:1792
	s_waitcnt vmcnt(25)
	v_mul_f64 v[86:87], v[234:235], v[194:195]
	s_waitcnt vmcnt(24)
	v_fmac_f64_e32 v[86:87], v[236:237], v[196:197]
	v_add_f64 v[0:1], v[0:1], v[86:87]
	v_add_f64 v[4:5], v[4:5], v[238:239]
	s_waitcnt vmcnt(21) lgkmcnt(0)
	v_mul_f64 v[86:87], v[78:79], v[198:199]
	s_waitcnt vmcnt(19)
	v_fmac_f64_e32 v[86:87], v[80:81], v[202:203]
	v_add_f64 v[0:1], v[0:1], v[86:87]
	s_waitcnt vmcnt(18)
	v_mul_f64 v[86:87], v[82:83], v[192:193]
	s_waitcnt vmcnt(16)
	v_fmac_f64_e32 v[86:87], v[84:85], v[200:201]
	v_add_f64 v[0:1], v[0:1], v[86:87]
	ds_read_b128 v[86:89], v232 offset:1824
	v_add_f64 v[2:3], v[4:5], v[2:3]
	v_add_f64 v[252:253], v[2:3], v[246:247]
	v_accvgpr_read_b32 v4, a184
	v_accvgpr_read_b32 v5, a185
	s_waitcnt vmcnt(14) lgkmcnt(0)
	v_mul_f64 v[98:99], v[86:87], v[204:205]
	s_waitcnt vmcnt(12)
	v_fmac_f64_e32 v[98:99], v[88:89], v[206:207]
	v_add_f64 v[0:1], v[0:1], v[98:99]
	s_waitcnt vmcnt(9)
	v_mul_f64 v[98:99], v[90:91], v[208:209]
	s_waitcnt vmcnt(8)
	v_fmac_f64_e32 v[98:99], v[92:93], v[210:211]
	v_add_f64 v[0:1], v[0:1], v[98:99]
	s_waitcnt vmcnt(6)
	v_mul_f64 v[98:99], v[94:95], v[76:77]
	s_waitcnt vmcnt(4)
	v_fmac_f64_e32 v[98:99], v[96:97], v[214:215]
	v_add_f64 v[0:1], v[0:1], v[98:99]
	ds_read_b128 v[98:101], v232 offset:1872
	v_mul_f64 v[4:5], v[120:121], v[4:5]
	v_add_f64 v[2:3], v[252:253], v[250:251]
	v_fma_f64 v[4:5], v[118:119], v[6:7], -v[4:5]
	v_add_f64 v[2:3], v[2:3], v[4:5]
	s_waitcnt vmcnt(1) lgkmcnt(0)
	v_mul_f64 v[102:103], v[98:99], v[216:217]
	s_waitcnt vmcnt(0)
	v_fmac_f64_e32 v[102:103], v[100:101], v[218:219]
	v_add_f64 v[106:107], v[0:1], v[102:103]
	buffer_load_dword v1, off, s[0:3], 0 offset:940
	buffer_load_dword v0, off, s[0:3], 0 offset:936
	;; [unrolled: 1-line block ×4, first 2 shown]
	ds_read_b128 v[102:105], v232 offset:1888
	buffer_load_dword v224, off, s[0:3], 0 offset:952
	buffer_load_dword v225, off, s[0:3], 0 offset:956
	;; [unrolled: 1-line block ×4, first 2 shown]
	v_accvgpr_read_b32 v4, a188
	v_accvgpr_read_b32 v5, a189
	v_mul_f64 v[4:5], v[124:125], v[4:5]
	v_fma_f64 v[4:5], v[122:123], v[142:143], -v[4:5]
	v_add_f64 v[2:3], v[2:3], v[4:5]
	v_accvgpr_read_b32 v4, a190
	v_accvgpr_read_b32 v5, a191
	v_accvgpr_read_b32 v6, a192
	v_mul_f64 v[4:5], v[128:129], v[4:5]
	v_accvgpr_read_b32 v7, a193
	v_fma_f64 v[4:5], v[126:127], v[6:7], -v[4:5]
	v_add_f64 v[2:3], v[2:3], v[4:5]
	v_mul_f64 v[4:5], v[132:133], v[146:147]
	v_fma_f64 v[4:5], v[130:131], v[148:149], -v[4:5]
	v_add_f64 v[2:3], v[2:3], v[4:5]
	v_accvgpr_read_b32 v4, a194
	v_accvgpr_read_b32 v5, a195
	v_accvgpr_read_b32 v6, a196
	v_mul_f64 v[4:5], v[136:137], v[4:5]
	v_accvgpr_read_b32 v7, a197
	v_fma_f64 v[4:5], v[134:135], v[6:7], -v[4:5]
	v_add_f64 v[2:3], v[2:3], v[4:5]
	;; [unrolled: 10-line block ×4, first 2 shown]
	v_mul_f64 v[4:5], v[40:41], v[160:161]
	v_fma_f64 v[4:5], v[38:39], v[162:163], -v[4:5]
	v_add_f64 v[2:3], v[2:3], v[4:5]
	v_accvgpr_read_b32 v4, a206
	v_accvgpr_read_b32 v5, a207
	v_mul_f64 v[4:5], v[44:45], v[4:5]
	v_fma_f64 v[4:5], v[42:43], v[144:145], -v[4:5]
	v_add_f64 v[2:3], v[2:3], v[4:5]
	v_mul_f64 v[4:5], v[48:49], v[24:25]
	v_fma_f64 v[4:5], v[46:47], v[166:167], -v[4:5]
	v_add_f64 v[2:3], v[2:3], v[4:5]
	;; [unrolled: 3-line block ×9, first 2 shown]
	v_mul_f64 v[4:5], v[80:81], v[198:199]
	s_waitcnt vmcnt(6) lgkmcnt(0)
	v_mul_f64 v[108:109], v[102:103], v[0:1]
	v_fma_f64 v[4:5], v[78:79], v[202:203], -v[4:5]
	s_waitcnt vmcnt(4)
	v_fmac_f64_e32 v[108:109], v[104:105], v[222:223]
	v_add_f64 v[110:111], v[106:107], v[108:109]
	ds_read_b128 v[106:109], v232 offset:1904
	buffer_load_dword v229, off, s[0:3], 0 offset:972
	buffer_load_dword v228, off, s[0:3], 0 offset:968
	;; [unrolled: 1-line block ×4, first 2 shown]
	v_add_f64 v[2:3], v[2:3], v[4:5]
	v_mul_f64 v[4:5], v[84:85], v[192:193]
	v_fma_f64 v[4:5], v[82:83], v[200:201], -v[4:5]
	s_waitcnt vmcnt(6) lgkmcnt(0)
	v_mul_f64 v[112:113], v[106:107], v[224:225]
	s_waitcnt vmcnt(4)
	v_fmac_f64_e32 v[112:113], v[108:109], v[226:227]
	v_add_f64 v[114:115], v[110:111], v[112:113]
	ds_read_b128 v[110:113], v232 offset:1920
	buffer_load_dword v242, off, s[0:3], 0 offset:984
	buffer_load_dword v243, off, s[0:3], 0 offset:988
	;; [unrolled: 1-line block ×4, first 2 shown]
	v_add_f64 v[2:3], v[2:3], v[4:5]
	v_mul_f64 v[4:5], v[88:89], v[204:205]
	v_fma_f64 v[4:5], v[86:87], v[206:207], -v[4:5]
	v_add_f64 v[2:3], v[2:3], v[4:5]
	v_mul_f64 v[4:5], v[92:93], v[208:209]
	v_fma_f64 v[4:5], v[90:91], v[210:211], -v[4:5]
	;; [unrolled: 3-line block ×4, first 2 shown]
	v_mul_f64 v[0:1], v[104:105], v[0:1]
	v_add_f64 v[2:3], v[2:3], v[4:5]
	v_fma_f64 v[0:1], v[102:103], v[222:223], -v[0:1]
	v_add_f64 v[0:1], v[2:3], v[0:1]
	v_mul_f64 v[2:3], v[108:109], v[224:225]
	v_fma_f64 v[2:3], v[106:107], v[226:227], -v[2:3]
	v_add_f64 v[0:1], v[0:1], v[2:3]
	s_waitcnt vmcnt(6) lgkmcnt(0)
	v_mul_f64 v[116:117], v[110:111], v[228:229]
	v_mul_f64 v[2:3], v[112:113], v[228:229]
	s_waitcnt vmcnt(4)
	v_fmac_f64_e32 v[116:117], v[112:113], v[230:231]
	v_add_f64 v[240:241], v[114:115], v[116:117]
	ds_read_b128 v[114:117], v232 offset:1936
	v_fma_f64 v[2:3], v[110:111], v[230:231], -v[2:3]
	v_add_f64 v[0:1], v[0:1], v[2:3]
	s_waitcnt vmcnt(2) lgkmcnt(0)
	v_mul_f64 v[248:249], v[114:115], v[242:243]
	s_waitcnt vmcnt(0)
	v_fmac_f64_e32 v[248:249], v[116:117], v[244:245]
	v_add_f64 v[240:241], v[240:241], v[248:249]
	buffer_load_dword v248, off, s[0:3], 0 offset:192
	buffer_load_dword v249, off, s[0:3], 0 offset:196
	;; [unrolled: 1-line block ×4, first 2 shown]
	v_mul_f64 v[2:3], v[116:117], v[242:243]
	v_fma_f64 v[2:3], v[114:115], v[244:245], -v[2:3]
	v_add_f64 v[0:1], v[0:1], v[2:3]
	s_waitcnt vmcnt(2)
	v_add_f64 v[0:1], v[248:249], -v[0:1]
	s_waitcnt vmcnt(0)
	v_add_f64 v[2:3], v[246:247], -v[240:241]
	buffer_store_dword v1, off, s[0:3], 0 offset:196
	buffer_store_dword v0, off, s[0:3], 0 offset:192
	;; [unrolled: 1-line block ×4, first 2 shown]
	s_and_saveexec_b64 s[4:5], vcc
	s_cbranch_execz .LBB124_371
; %bb.370:
	v_accvgpr_read_b32 v0, a172
	buffer_load_dword v2, v0, s[0:3], 0 offen
	buffer_load_dword v3, v0, s[0:3], 0 offen offset:4
	buffer_load_dword v4, v0, s[0:3], 0 offen offset:8
	;; [unrolled: 1-line block ×3, first 2 shown]
	v_accvgpr_read_b32 v0, a183
	buffer_store_dword v232, off, s[0:3], 0 offset:176
	buffer_store_dword v232, off, s[0:3], 0 offset:180
	;; [unrolled: 1-line block ×4, first 2 shown]
	s_waitcnt vmcnt(4)
	ds_write_b128 v0, v[2:5]
.LBB124_371:
	s_or_b64 exec, exec, s[4:5]
	s_waitcnt lgkmcnt(0)
	; wave barrier
	s_waitcnt lgkmcnt(0)
	buffer_load_dword v34, off, s[0:3], 0 offset:192
	buffer_load_dword v35, off, s[0:3], 0 offset:196
	;; [unrolled: 1-line block ×42, first 2 shown]
	ds_read_b128 v[42:45], v232 offset:1152
	ds_read_b128 v[108:111], v232 offset:1168
	ds_read_b128 v[112:115], v232 offset:1184
	ds_read_b128 v[168:171], v232 offset:1200
	ds_read_b128 v[172:175], v232 offset:1216
	ds_read_b128 v[180:183], v232 offset:1232
	ds_read_b128 v[184:187], v232 offset:1248
	ds_read_b128 v[188:191], v232 offset:1264
	ds_read_b128 v[192:195], v232 offset:1280
	ds_read_b128 v[196:199], v232 offset:1296
	buffer_load_dword v1, off, s[0:3], 0 offset:340
	buffer_load_dword v0, off, s[0:3], 0 offset:336
	ds_read_b128 v[46:49], v232 offset:1312
	buffer_load_dword v85, off, s[0:3], 0 offset:396
	buffer_load_dword v84, off, s[0:3], 0 offset:392
	;; [unrolled: 1-line block ×6, first 2 shown]
	s_waitcnt vmcnt(46) lgkmcnt(10)
	v_mul_f64 v[2:3], v[42:43], v[36:37]
	v_fmac_f64_e32 v[2:3], v[44:45], v[34:35]
	v_add_f64 v[2:3], v[2:3], 0
	v_mul_f64 v[36:37], v[44:45], v[36:37]
	s_waitcnt vmcnt(42) lgkmcnt(9)
	v_mul_f64 v[4:5], v[108:109], v[40:41]
	v_fmac_f64_e32 v[4:5], v[110:111], v[38:39]
	s_waitcnt vmcnt(40) lgkmcnt(8)
	v_mul_f64 v[6:7], v[112:113], v[160:161]
	v_add_f64 v[2:3], v[2:3], v[4:5]
	s_waitcnt vmcnt(38) lgkmcnt(6)
	v_mul_f64 v[10:11], v[172:173], v[52:53]
	v_mul_f64 v[52:53], v[174:175], v[52:53]
	s_waitcnt vmcnt(36)
	v_fmac_f64_e32 v[10:11], v[174:175], v[54:55]
	s_waitcnt vmcnt(34)
	v_mul_f64 v[8:9], v[168:169], v[56:57]
	v_mul_f64 v[56:57], v[170:171], v[56:57]
	s_waitcnt vmcnt(32) lgkmcnt(4)
	v_mul_f64 v[14:15], v[184:185], v[58:59]
	s_waitcnt vmcnt(30)
	v_fmac_f64_e32 v[14:15], v[186:187], v[60:61]
	s_waitcnt vmcnt(28)
	v_mul_f64 v[12:13], v[180:181], v[202:203]
	s_waitcnt vmcnt(26) lgkmcnt(2)
	v_mul_f64 v[18:19], v[192:193], v[64:65]
	s_waitcnt vmcnt(23)
	v_mul_f64 v[16:17], v[188:189], v[70:71]
	s_waitcnt vmcnt(21) lgkmcnt(1)
	v_mul_f64 v[20:21], v[196:197], v[68:69]
	s_waitcnt vmcnt(19)
	v_fmac_f64_e32 v[6:7], v[114:115], v[78:79]
	v_add_f64 v[2:3], v[2:3], v[6:7]
	s_waitcnt vmcnt(17)
	v_fmac_f64_e32 v[8:9], v[170:171], v[76:77]
	v_add_f64 v[2:3], v[2:3], v[8:9]
	;; [unrolled: 3-line block ×3, first 2 shown]
	v_add_f64 v[2:3], v[2:3], v[12:13]
	s_waitcnt vmcnt(13)
	v_fmac_f64_e32 v[16:17], v[190:191], v[72:73]
	v_add_f64 v[2:3], v[2:3], v[14:15]
	s_waitcnt vmcnt(12)
	v_fmac_f64_e32 v[18:19], v[194:195], v[66:67]
	v_add_f64 v[2:3], v[2:3], v[16:17]
	v_add_f64 v[6:7], v[2:3], v[18:19]
	buffer_load_dword v151, off, s[0:3], 0 offset:372
	buffer_load_dword v150, off, s[0:3], 0 offset:368
	;; [unrolled: 1-line block ×36, first 2 shown]
	s_waitcnt vmcnt(42)
	v_fmac_f64_e32 v[20:21], v[198:199], v[0:1]
	s_waitcnt lgkmcnt(0)
	v_mul_f64 v[8:9], v[46:47], v[80:81]
	v_add_f64 v[6:7], v[6:7], v[20:21]
	v_fmac_f64_e32 v[8:9], v[48:49], v[82:83]
	v_add_f64 v[6:7], v[6:7], v[8:9]
	v_fma_f64 v[210:211], v[168:169], v[76:77], -v[56:57]
	v_fma_f64 v[76:77], v[172:173], v[54:55], -v[52:53]
	v_mul_f64 v[52:53], v[182:183], v[202:203]
	v_fma_f64 v[74:75], v[180:181], v[74:75], -v[52:53]
	v_mul_f64 v[52:53], v[186:187], v[58:59]
	s_waitcnt vmcnt(0)
	v_pk_mov_b32 v[18:19], v[4:5], v[4:5] op_sel:[0,1]
	buffer_load_dword v5, off, s[0:3], 0 offset:548
	buffer_load_dword v4, off, s[0:3], 0 offset:544
	v_accvgpr_write_b32 a189, v19
	v_accvgpr_write_b32 a188, v18
	s_waitcnt vmcnt(0)
	v_pk_mov_b32 v[22:23], v[4:5], v[4:5] op_sel:[0,1]
	buffer_load_dword v5, off, s[0:3], 0 offset:540
	buffer_load_dword v4, off, s[0:3], 0 offset:536
	v_accvgpr_write_b32 a191, v23
	v_accvgpr_write_b32 a190, v22
	;; [unrolled: 6-line block ×9, first 2 shown]
	s_waitcnt vmcnt(0)
	v_pk_mov_b32 v[164:165], v[4:5], v[4:5] op_sel:[0,1]
	buffer_load_dword v147, off, s[0:3], 0 offset:604
	buffer_load_dword v146, off, s[0:3], 0 offset:600
	;; [unrolled: 1-line block ×6, first 2 shown]
	v_accvgpr_write_b32 a203, v165
	v_accvgpr_write_b32 a202, v164
	s_waitcnt vmcnt(0)
	v_pk_mov_b32 v[166:167], v[4:5], v[4:5] op_sel:[0,1]
	buffer_load_dword v5, off, s[0:3], 0 offset:644
	buffer_load_dword v4, off, s[0:3], 0 offset:640
	v_accvgpr_write_b32 a205, v167
	v_accvgpr_write_b32 a204, v166
	s_waitcnt vmcnt(0)
	v_pk_mov_b32 v[176:177], v[4:5], v[4:5] op_sel:[0,1]
	buffer_load_dword v153, off, s[0:3], 0 offset:636
	buffer_load_dword v152, off, s[0:3], 0 offset:632
	buffer_load_dword v155, off, s[0:3], 0 offset:628
	buffer_load_dword v154, off, s[0:3], 0 offset:624
	buffer_load_dword v5, off, s[0:3], 0 offset:684
	buffer_load_dword v4, off, s[0:3], 0 offset:680
	v_accvgpr_write_b32 a207, v177
	v_accvgpr_write_b32 a206, v176
	s_waitcnt vmcnt(0)
	v_pk_mov_b32 v[212:213], v[4:5], v[4:5] op_sel:[0,1]
	buffer_load_dword v5, off, s[0:3], 0 offset:676
	buffer_load_dword v4, off, s[0:3], 0 offset:672
	;; [unrolled: 1-line block ×6, first 2 shown]
	ds_read_b128 v[204:207], v232 offset:1328
	ds_read_b128 v[216:219], v232 offset:1344
	;; [unrolled: 1-line block ×6, first 2 shown]
	s_waitcnt lgkmcnt(5)
	v_mul_f64 v[8:9], v[204:205], v[116:117]
	v_fmac_f64_e32 v[8:9], v[206:207], v[150:151]
	v_add_f64 v[6:7], v[6:7], v[8:9]
	s_waitcnt lgkmcnt(4)
	v_mul_f64 v[8:9], v[216:217], v[84:85]
	v_fmac_f64_e32 v[8:9], v[218:219], v[86:87]
	v_add_f64 v[6:7], v[6:7], v[8:9]
	;; [unrolled: 4-line block ×3, first 2 shown]
	s_waitcnt lgkmcnt(2)
	v_mul_f64 v[8:9], v[224:225], v[250:251]
	v_fmac_f64_e32 v[8:9], v[226:227], v[200:201]
	ds_read_b128 v[238:241], v232 offset:1424
	ds_read_b128 v[242:245], v232 offset:1440
	v_add_f64 v[6:7], v[6:7], v[8:9]
	s_waitcnt lgkmcnt(3)
	v_mul_f64 v[8:9], v[228:229], v[2:3]
	v_fmac_f64_e32 v[8:9], v[230:231], v[62:63]
	v_add_f64 v[6:7], v[6:7], v[8:9]
	s_waitcnt lgkmcnt(2)
	v_mul_f64 v[8:9], v[234:235], v[100:101]
	v_fmac_f64_e32 v[8:9], v[236:237], v[102:103]
	ds_read_b128 v[246:249], v232 offset:1456
	ds_read_b128 v[252:255], v232 offset:1472
	v_add_f64 v[6:7], v[6:7], v[8:9]
	s_waitcnt lgkmcnt(3)
	v_mul_f64 v[8:9], v[238:239], v[104:105]
	v_fmac_f64_e32 v[8:9], v[240:241], v[106:107]
	v_add_f64 v[6:7], v[6:7], v[8:9]
	s_waitcnt lgkmcnt(2)
	v_mul_f64 v[8:9], v[242:243], v[88:89]
	ds_read_b128 v[142:145], v232 offset:1488
	ds_read_b128 v[138:141], v232 offset:1504
	v_fmac_f64_e32 v[8:9], v[244:245], v[92:93]
	v_add_f64 v[6:7], v[6:7], v[8:9]
	s_waitcnt lgkmcnt(3)
	v_mul_f64 v[8:9], v[246:247], v[90:91]
	ds_read_b128 v[134:137], v232 offset:1520
	ds_read_b128 v[130:133], v232 offset:1536
	;; [unrolled: 6-line block ×3, first 2 shown]
	v_fmac_f64_e32 v[8:9], v[254:255], v[96:97]
	s_waitcnt lgkmcnt(5)
	v_mul_f64 v[12:13], v[142:143], v[14:15]
	v_add_f64 v[10:11], v[6:7], v[8:9]
	v_fmac_f64_e32 v[12:13], v[144:145], v[16:17]
	s_waitcnt lgkmcnt(4)
	v_mul_f64 v[16:17], v[138:139], v[18:19]
	v_add_f64 v[14:15], v[10:11], v[12:13]
	;; [unrolled: 4-line block ×6, first 2 shown]
	ds_read_b128 v[118:121], v232 offset:1584
	v_fmac_f64_e32 v[32:33], v[124:125], v[164:165]
	v_add_f64 v[162:163], v[30:31], v[32:33]
	ds_read_b128 v[30:33], v232 offset:1600
	v_fma_f64 v[22:23], v[42:43], v[34:35], -v[36:37]
	ds_read_b128 v[34:37], v232 offset:1616
	s_waitcnt lgkmcnt(2)
	v_mul_f64 v[42:43], v[118:119], v[152:153]
	v_fmac_f64_e32 v[42:43], v[120:121], v[154:155]
	s_waitcnt lgkmcnt(1)
	v_mul_f64 v[44:45], v[30:31], v[166:167]
	v_add_f64 v[42:43], v[162:163], v[42:43]
	v_fmac_f64_e32 v[44:45], v[32:33], v[176:177]
	v_add_f64 v[42:43], v[42:43], v[44:45]
	v_mul_f64 v[8:9], v[110:111], v[40:41]
	v_fma_f64 v[18:19], v[108:109], v[38:39], -v[8:9]
	v_mul_f64 v[108:109], v[114:115], v[160:161]
	s_waitcnt vmcnt(2) lgkmcnt(0)
	v_mul_f64 v[44:45], v[34:35], v[156:157]
	v_fma_f64 v[14:15], v[184:185], v[60:61], -v[52:53]
	s_waitcnt vmcnt(0)
	v_fmac_f64_e32 v[44:45], v[36:37], v[158:159]
	v_add_f64 v[24:25], v[42:43], v[44:45]
	ds_read_b128 v[42:45], v232 offset:1632
	ds_read_b128 v[38:41], v232 offset:1648
	buffer_load_dword v160, off, s[0:3], 0 offset:712
	buffer_load_dword v165, off, s[0:3], 0 offset:700
	;; [unrolled: 1-line block ×28, first 2 shown]
	v_mul_f64 v[52:53], v[190:191], v[70:71]
	v_mul_f64 v[16:17], v[194:195], v[64:65]
	buffer_load_dword v190, off, s[0:3], 0 offset:808
	v_fma_f64 v[16:17], v[192:193], v[66:67], -v[16:17]
	buffer_load_dword v192, off, s[0:3], 0 offset:800
	buffer_load_dword v191, off, s[0:3], 0 offset:812
	;; [unrolled: 1-line block ×3, first 2 shown]
	v_fma_f64 v[10:11], v[188:189], v[72:73], -v[52:53]
	v_mul_f64 v[52:53], v[198:199], v[68:69]
	v_fma_f64 v[8:9], v[196:197], v[0:1], -v[52:53]
	buffer_load_dword v189, off, s[0:3], 0 offset:844
	buffer_load_dword v195, off, s[0:3], 0 offset:828
	;; [unrolled: 1-line block ×12, first 2 shown]
	v_mul_f64 v[20:21], v[48:49], v[80:81]
	v_accvgpr_write_b32 a208, v212
	v_fma_f64 v[20:21], v[46:47], v[82:83], -v[20:21]
	v_mul_f64 v[46:47], v[206:207], v[116:117]
	s_waitcnt lgkmcnt(1)
	v_mul_f64 v[12:13], v[42:43], v[212:213]
	v_accvgpr_write_b32 a209, v213
	v_fma_f64 v[6:7], v[204:205], v[150:151], -v[46:47]
	buffer_load_dword v206, off, s[0:3], 0 offset:872
	buffer_load_dword v150, off, s[0:3], 0 offset:864
	;; [unrolled: 1-line block ×12, first 2 shown]
	v_fmac_f64_e32 v[12:13], v[44:45], v[4:5]
	v_accvgpr_write_b32 a211, v5
	v_accvgpr_write_b32 a210, v4
	v_add_f64 v[4:5], v[24:25], v[12:13]
	v_mul_f64 v[12:13], v[218:219], v[84:85]
	v_fma_f64 v[12:13], v[216:217], v[86:87], -v[12:13]
	buffer_load_dword v217, off, s[0:3], 0 offset:924
	buffer_load_dword v216, off, s[0:3], 0 offset:920
	;; [unrolled: 1-line block ×4, first 2 shown]
	ds_read_b128 v[46:49], v232 offset:1664
	v_mul_f64 v[58:59], v[226:227], v[250:251]
	v_fma_f64 v[200:201], v[224:225], v[200:201], -v[58:59]
	v_mul_f64 v[2:3], v[230:231], v[2:3]
	ds_read_b128 v[70:73], v232 offset:1760
	v_mul_f64 v[82:83], v[244:245], v[88:89]
	v_fma_f64 v[0:1], v[242:243], v[92:93], -v[82:83]
	v_mul_f64 v[88:89], v[248:249], v[90:91]
	ds_read_b128 v[90:93], v232 offset:1824
	v_mul_f64 v[94:95], v[254:255], v[94:95]
	v_fma_f64 v[252:253], v[252:253], v[96:97], -v[94:95]
	ds_read_b128 v[94:97], v232 offset:1856
	v_fma_f64 v[78:79], v[112:113], v[78:79], -v[108:109]
	v_add_f64 v[22:23], v[22:23], 0
	v_add_f64 v[18:19], v[22:23], v[18:19]
	;; [unrolled: 1-line block ×13, first 2 shown]
	v_accvgpr_read_b32 v8, a186
	v_accvgpr_read_b32 v9, a187
	ds_read_b128 v[58:61], v232 offset:1712
	ds_read_b128 v[82:85], v232 offset:1808
	s_waitcnt vmcnt(57) lgkmcnt(6)
	v_mul_f64 v[24:25], v[38:39], v[164:165]
	s_waitcnt vmcnt(55)
	v_fmac_f64_e32 v[24:25], v[40:41], v[166:167]
	v_add_f64 v[4:5], v[4:5], v[24:25]
	v_mul_f64 v[24:25], v[222:223], v[208:209]
	v_fma_f64 v[24:25], v[220:221], v[50:51], -v[24:25]
	ds_read_b128 v[50:53], v232 offset:1680
	s_waitcnt vmcnt(53) lgkmcnt(6)
	v_mul_f64 v[54:55], v[46:47], v[160:161]
	s_waitcnt vmcnt(52)
	v_fmac_f64_e32 v[54:55], v[48:49], v[168:169]
	v_add_f64 v[4:5], v[4:5], v[54:55]
	ds_read_b128 v[54:57], v232 offset:1696
	s_waitcnt vmcnt(48) lgkmcnt(1)
	v_mul_f64 v[64:65], v[50:51], v[176:177]
	s_waitcnt vmcnt(46)
	v_fmac_f64_e32 v[64:65], v[52:53], v[178:179]
	v_add_f64 v[4:5], v[4:5], v[64:65]
	v_fma_f64 v[208:209], v[228:229], v[62:63], -v[2:3]
	ds_read_b128 v[62:65], v232 offset:1728
	s_waitcnt lgkmcnt(1)
	v_mul_f64 v[66:67], v[54:55], v[162:163]
	s_waitcnt vmcnt(44)
	v_fmac_f64_e32 v[66:67], v[56:57], v[174:175]
	v_add_f64 v[2:3], v[4:5], v[66:67]
	ds_read_b128 v[66:69], v232 offset:1744
	s_waitcnt vmcnt(40)
	v_mul_f64 v[4:5], v[58:59], v[180:181]
	s_waitcnt vmcnt(38)
	v_fmac_f64_e32 v[4:5], v[60:61], v[182:183]
	v_add_f64 v[2:3], v[2:3], v[4:5]
	s_waitcnt vmcnt(37) lgkmcnt(1)
	v_mul_f64 v[4:5], v[62:63], v[170:171]
	s_waitcnt vmcnt(36)
	v_fmac_f64_e32 v[4:5], v[64:65], v[172:173]
	v_add_f64 v[2:3], v[2:3], v[4:5]
	v_mul_f64 v[4:5], v[236:237], v[100:101]
	v_fma_f64 v[250:251], v[234:235], v[102:103], -v[4:5]
	s_waitcnt vmcnt(34) lgkmcnt(0)
	v_mul_f64 v[4:5], v[66:67], v[184:185]
	s_waitcnt vmcnt(32)
	v_fmac_f64_e32 v[4:5], v[68:69], v[186:187]
	v_add_f64 v[2:3], v[2:3], v[4:5]
	v_mul_f64 v[4:5], v[240:241], v[104:105]
	v_fma_f64 v[240:241], v[238:239], v[106:107], -v[4:5]
	ds_read_b128 v[234:237], v232 offset:1776
	s_waitcnt vmcnt(29)
	v_mul_f64 v[4:5], v[70:71], v[190:191]
	s_waitcnt vmcnt(28)
	v_fmac_f64_e32 v[4:5], v[72:73], v[192:193]
	v_add_f64 v[86:87], v[2:3], v[4:5]
	ds_read_b128 v[2:5], v232 offset:1792
	s_waitcnt vmcnt(25) lgkmcnt(1)
	v_mul_f64 v[28:29], v[234:235], v[194:195]
	s_waitcnt vmcnt(23)
	v_fmac_f64_e32 v[28:29], v[236:237], v[26:27]
	v_add_f64 v[28:29], v[86:87], v[28:29]
	v_fma_f64 v[238:239], v[246:247], v[98:99], -v[88:89]
	s_waitcnt vmcnt(22) lgkmcnt(0)
	v_mul_f64 v[86:87], v[2:3], v[188:189]
	s_waitcnt vmcnt(20)
	v_fmac_f64_e32 v[86:87], v[4:5], v[198:199]
	v_add_f64 v[28:29], v[28:29], v[86:87]
	s_waitcnt vmcnt(18)
	v_mul_f64 v[86:87], v[82:83], v[196:197]
	s_waitcnt vmcnt(16)
	v_fmac_f64_e32 v[86:87], v[84:85], v[202:203]
	v_add_f64 v[28:29], v[28:29], v[86:87]
	ds_read_b128 v[86:89], v232 offset:1840
	s_waitcnt vmcnt(13)
	v_mul_f64 v[98:99], v[90:91], v[206:207]
	s_waitcnt vmcnt(12)
	v_fmac_f64_e32 v[98:99], v[92:93], v[150:151]
	v_add_f64 v[28:29], v[28:29], v[98:99]
	v_add_f64 v[6:7], v[6:7], v[24:25]
	s_waitcnt vmcnt(9) lgkmcnt(0)
	v_mul_f64 v[98:99], v[86:87], v[212:213]
	s_waitcnt vmcnt(7)
	v_fmac_f64_e32 v[98:99], v[88:89], v[214:215]
	v_add_f64 v[28:29], v[28:29], v[98:99]
	s_waitcnt vmcnt(5)
	v_mul_f64 v[98:99], v[94:95], v[204:205]
	s_waitcnt vmcnt(4)
	v_fmac_f64_e32 v[98:99], v[96:97], v[80:81]
	v_add_f64 v[28:29], v[28:29], v[98:99]
	ds_read_b128 v[98:101], v232 offset:1872
	buffer_load_dword v220, off, s[0:3], 0 offset:936
	buffer_load_dword v221, off, s[0:3], 0 offset:940
	buffer_load_dword v222, off, s[0:3], 0 offset:928
	buffer_load_dword v223, off, s[0:3], 0 offset:932
	v_add_f64 v[6:7], v[6:7], v[200:201]
	v_add_f64 v[6:7], v[6:7], v[208:209]
	;; [unrolled: 1-line block ×3, first 2 shown]
	s_waitcnt vmcnt(6) lgkmcnt(0)
	v_mul_f64 v[102:103], v[98:99], v[216:217]
	s_waitcnt vmcnt(4)
	v_fmac_f64_e32 v[102:103], v[100:101], v[218:219]
	v_add_f64 v[28:29], v[28:29], v[102:103]
	ds_read_b128 v[102:105], v232 offset:1888
	buffer_load_dword v225, off, s[0:3], 0 offset:956
	buffer_load_dword v224, off, s[0:3], 0 offset:952
	;; [unrolled: 1-line block ×4, first 2 shown]
	v_add_f64 v[6:7], v[6:7], v[240:241]
	v_add_f64 v[254:255], v[6:7], v[0:1]
	v_accvgpr_read_b32 v6, a184
	v_accvgpr_read_b32 v7, a185
	v_add_f64 v[0:1], v[254:255], v[238:239]
	v_mul_f64 v[6:7], v[144:145], v[6:7]
	v_add_f64 v[0:1], v[0:1], v[252:253]
	v_fma_f64 v[6:7], v[142:143], v[8:9], -v[6:7]
	v_add_f64 v[0:1], v[0:1], v[6:7]
	v_accvgpr_read_b32 v6, a188
	v_accvgpr_read_b32 v7, a189
	v_accvgpr_read_b32 v8, a190
	v_mul_f64 v[6:7], v[140:141], v[6:7]
	v_accvgpr_read_b32 v9, a191
	v_fma_f64 v[6:7], v[138:139], v[8:9], -v[6:7]
	v_add_f64 v[0:1], v[0:1], v[6:7]
	v_accvgpr_read_b32 v6, a192
	v_accvgpr_read_b32 v7, a193
	v_accvgpr_read_b32 v8, a194
	v_mul_f64 v[6:7], v[136:137], v[6:7]
	v_accvgpr_read_b32 v9, a195
	;; [unrolled: 7-line block ×3, first 2 shown]
	v_fma_f64 v[6:7], v[130:131], v[8:9], -v[6:7]
	v_add_f64 v[0:1], v[0:1], v[6:7]
	v_mul_f64 v[6:7], v[128:129], v[146:147]
	v_fma_f64 v[6:7], v[126:127], v[148:149], -v[6:7]
	v_add_f64 v[0:1], v[0:1], v[6:7]
	v_accvgpr_read_b32 v6, a200
	v_accvgpr_read_b32 v7, a201
	v_accvgpr_read_b32 v8, a202
	v_mul_f64 v[6:7], v[124:125], v[6:7]
	v_accvgpr_read_b32 v9, a203
	v_fma_f64 v[6:7], v[122:123], v[8:9], -v[6:7]
	v_add_f64 v[0:1], v[0:1], v[6:7]
	v_mul_f64 v[6:7], v[120:121], v[152:153]
	v_fma_f64 v[6:7], v[118:119], v[154:155], -v[6:7]
	v_add_f64 v[0:1], v[0:1], v[6:7]
	v_accvgpr_read_b32 v6, a204
	v_accvgpr_read_b32 v7, a205
	v_accvgpr_read_b32 v8, a206
	v_mul_f64 v[6:7], v[32:33], v[6:7]
	v_accvgpr_read_b32 v9, a207
	;; [unrolled: 10-line block ×3, first 2 shown]
	v_fma_f64 v[6:7], v[42:43], v[8:9], -v[6:7]
	v_add_f64 v[0:1], v[0:1], v[6:7]
	v_mul_f64 v[6:7], v[40:41], v[164:165]
	v_fma_f64 v[6:7], v[38:39], v[166:167], -v[6:7]
	v_add_f64 v[0:1], v[0:1], v[6:7]
	v_mul_f64 v[6:7], v[48:49], v[160:161]
	;; [unrolled: 3-line block ×3, first 2 shown]
	v_fma_f64 v[6:7], v[50:51], v[178:179], -v[6:7]
	v_add_f64 v[0:1], v[0:1], v[6:7]
	s_waitcnt vmcnt(6) lgkmcnt(0)
	v_mul_f64 v[106:107], v[102:103], v[220:221]
	v_mul_f64 v[6:7], v[56:57], v[162:163]
	s_waitcnt vmcnt(4)
	v_fmac_f64_e32 v[106:107], v[104:105], v[222:223]
	v_add_f64 v[28:29], v[28:29], v[106:107]
	ds_read_b128 v[106:109], v232 offset:1904
	buffer_load_dword v228, off, s[0:3], 0 offset:968
	buffer_load_dword v229, off, s[0:3], 0 offset:972
	buffer_load_dword v230, off, s[0:3], 0 offset:960
	buffer_load_dword v231, off, s[0:3], 0 offset:964
	v_fma_f64 v[6:7], v[54:55], v[174:175], -v[6:7]
	v_add_f64 v[0:1], v[0:1], v[6:7]
	v_mul_f64 v[6:7], v[60:61], v[180:181]
	s_waitcnt vmcnt(6) lgkmcnt(0)
	v_mul_f64 v[110:111], v[106:107], v[224:225]
	s_waitcnt vmcnt(4)
	v_fmac_f64_e32 v[110:111], v[108:109], v[226:227]
	v_add_f64 v[28:29], v[28:29], v[110:111]
	ds_read_b128 v[110:113], v232 offset:1920
	buffer_load_dword v243, off, s[0:3], 0 offset:988
	buffer_load_dword v242, off, s[0:3], 0 offset:984
	;; [unrolled: 1-line block ×4, first 2 shown]
	v_fma_f64 v[6:7], v[58:59], v[182:183], -v[6:7]
	v_add_f64 v[0:1], v[0:1], v[6:7]
	v_mul_f64 v[6:7], v[64:65], v[170:171]
	v_fma_f64 v[6:7], v[62:63], v[172:173], -v[6:7]
	v_add_f64 v[0:1], v[0:1], v[6:7]
	v_mul_f64 v[6:7], v[68:69], v[184:185]
	;; [unrolled: 3-line block ×4, first 2 shown]
	v_fma_f64 v[6:7], v[234:235], v[26:27], -v[6:7]
	v_mul_f64 v[4:5], v[4:5], v[188:189]
	v_add_f64 v[0:1], v[0:1], v[6:7]
	v_fma_f64 v[2:3], v[2:3], v[198:199], -v[4:5]
	v_add_f64 v[0:1], v[0:1], v[2:3]
	v_mul_f64 v[2:3], v[84:85], v[196:197]
	v_fma_f64 v[2:3], v[82:83], v[202:203], -v[2:3]
	v_add_f64 v[0:1], v[0:1], v[2:3]
	v_mul_f64 v[2:3], v[92:93], v[206:207]
	;; [unrolled: 3-line block ×7, first 2 shown]
	v_fma_f64 v[2:3], v[106:107], v[226:227], -v[2:3]
	v_add_f64 v[0:1], v[0:1], v[2:3]
	v_accvgpr_read_b32 v155, a182
	v_cmp_lt_u32_e32 vcc, 9, v155
	s_waitcnt vmcnt(6) lgkmcnt(0)
	v_mul_f64 v[114:115], v[110:111], v[228:229]
	v_mul_f64 v[2:3], v[112:113], v[228:229]
	s_waitcnt vmcnt(4)
	v_fmac_f64_e32 v[114:115], v[112:113], v[230:231]
	v_add_f64 v[28:29], v[28:29], v[114:115]
	ds_read_b128 v[114:117], v232 offset:1936
	buffer_load_dword v248, off, s[0:3], 0 offset:176
	buffer_load_dword v249, off, s[0:3], 0 offset:180
	;; [unrolled: 1-line block ×4, first 2 shown]
	v_fma_f64 v[2:3], v[110:111], v[230:231], -v[2:3]
	v_add_f64 v[0:1], v[0:1], v[2:3]
	s_waitcnt vmcnt(6) lgkmcnt(0)
	v_mul_f64 v[2:3], v[116:117], v[242:243]
	v_mul_f64 v[232:233], v[114:115], v[242:243]
	s_waitcnt vmcnt(4)
	v_fma_f64 v[2:3], v[114:115], v[244:245], -v[2:3]
	v_fmac_f64_e32 v[232:233], v[116:117], v[244:245]
	v_add_f64 v[0:1], v[0:1], v[2:3]
	v_add_f64 v[232:233], v[28:29], v[232:233]
	s_waitcnt vmcnt(2)
	v_add_f64 v[0:1], v[248:249], -v[0:1]
	s_waitcnt vmcnt(0)
	v_add_f64 v[2:3], v[246:247], -v[232:233]
	buffer_store_dword v1, off, s[0:3], 0 offset:180
	buffer_store_dword v0, off, s[0:3], 0 offset:176
	;; [unrolled: 1-line block ×4, first 2 shown]
	s_and_saveexec_b64 s[4:5], vcc
	s_cbranch_execz .LBB124_373
; %bb.372:
	v_accvgpr_read_b32 v0, a173
	buffer_load_dword v2, v0, s[0:3], 0 offen
	buffer_load_dword v3, v0, s[0:3], 0 offen offset:4
	buffer_load_dword v4, v0, s[0:3], 0 offen offset:8
	;; [unrolled: 1-line block ×3, first 2 shown]
	v_mov_b32_e32 v0, 0
	v_accvgpr_read_b32 v1, a183
	buffer_store_dword v0, off, s[0:3], 0 offset:160
	buffer_store_dword v0, off, s[0:3], 0 offset:164
	;; [unrolled: 1-line block ×4, first 2 shown]
	s_waitcnt vmcnt(4)
	ds_write_b128 v1, v[2:5]
.LBB124_373:
	s_or_b64 exec, exec, s[4:5]
	s_waitcnt lgkmcnt(0)
	; wave barrier
	s_waitcnt lgkmcnt(0)
	buffer_load_dword v30, off, s[0:3], 0 offset:176
	buffer_load_dword v31, off, s[0:3], 0 offset:180
	;; [unrolled: 1-line block ×36, first 2 shown]
	v_mov_b32_e32 v154, 0
	buffer_load_dword v67, off, s[0:3], 0 offset:348
	buffer_load_dword v66, off, s[0:3], 0 offset:344
	;; [unrolled: 1-line block ×18, first 2 shown]
	ds_read_b128 v[114:117], v154 offset:1136
	ds_read_b128 v[158:161], v154 offset:1152
	;; [unrolled: 1-line block ×9, first 2 shown]
	v_cmp_lt_u32_e32 vcc, 8, v155
	s_waitcnt vmcnt(50) lgkmcnt(8)
	v_mul_f64 v[0:1], v[114:115], v[32:33]
	v_fmac_f64_e32 v[0:1], v[116:117], v[30:31]
	v_add_f64 v[0:1], v[0:1], 0
	v_mul_f64 v[32:33], v[116:117], v[32:33]
	s_waitcnt vmcnt(46) lgkmcnt(7)
	v_mul_f64 v[2:3], v[158:159], v[38:39]
	v_fmac_f64_e32 v[2:3], v[160:161], v[36:37]
	v_add_f64 v[0:1], v[0:1], v[2:3]
	buffer_load_dword v109, off, s[0:3], 0 offset:404
	buffer_load_dword v108, off, s[0:3], 0 offset:400
	;; [unrolled: 1-line block ×32, first 2 shown]
	s_waitcnt vmcnt(62) lgkmcnt(6)
	v_mul_f64 v[4:5], v[168:169], v[34:35]
	s_waitcnt lgkmcnt(4)
	v_mul_f64 v[8:9], v[176:177], v[40:41]
	v_fmac_f64_e32 v[8:9], v[178:179], v[42:43]
	v_mul_f64 v[38:39], v[160:161], v[38:39]
	v_mul_f64 v[6:7], v[172:173], v[44:45]
	v_fma_f64 v[212:213], v[158:159], v[36:37], -v[38:39]
	s_waitcnt lgkmcnt(2)
	v_mul_f64 v[12:13], v[184:185], v[48:49]
	v_mul_f64 v[34:35], v[170:171], v[34:35]
	v_fmac_f64_e32 v[12:13], v[186:187], v[50:51]
	v_mul_f64 v[10:11], v[180:181], v[56:57]
	s_waitcnt lgkmcnt(1)
	v_mul_f64 v[14:15], v[188:189], v[52:53]
	s_waitcnt vmcnt(60)
	v_fmac_f64_e32 v[4:5], v[170:171], v[62:63]
	v_add_f64 v[0:1], v[0:1], v[4:5]
	s_waitcnt vmcnt(58)
	v_fmac_f64_e32 v[6:7], v[174:175], v[60:61]
	v_add_f64 v[0:1], v[0:1], v[6:7]
	v_add_f64 v[0:1], v[0:1], v[8:9]
	s_waitcnt vmcnt(56)
	v_fmac_f64_e32 v[10:11], v[182:183], v[58:59]
	v_add_f64 v[0:1], v[0:1], v[10:11]
	;; [unrolled: 4-line block ×3, first 2 shown]
	s_waitcnt vmcnt(0)
	v_pk_mov_b32 v[4:5], v[2:3], v[2:3] op_sel:[0,1]
	buffer_load_dword v3, off, s[0:3], 0 offset:532
	buffer_load_dword v2, off, s[0:3], 0 offset:528
	v_accvgpr_write_b32 a185, v5
	v_accvgpr_write_b32 a184, v4
	s_waitcnt vmcnt(0)
	v_pk_mov_b32 v[8:9], v[2:3], v[2:3] op_sel:[0,1]
	buffer_load_dword v95, off, s[0:3], 0 offset:524
	buffer_load_dword v94, off, s[0:3], 0 offset:520
	;; [unrolled: 1-line block ×6, first 2 shown]
	v_accvgpr_write_b32 a187, v9
	v_accvgpr_write_b32 a186, v8
	s_waitcnt vmcnt(0)
	v_pk_mov_b32 v[12:13], v[2:3], v[2:3] op_sel:[0,1]
	buffer_load_dword v3, off, s[0:3], 0 offset:564
	buffer_load_dword v2, off, s[0:3], 0 offset:560
	v_accvgpr_write_b32 a193, v13
	v_accvgpr_write_b32 a192, v12
	s_waitcnt vmcnt(0)
	v_pk_mov_b32 v[16:17], v[2:3], v[2:3] op_sel:[0,1]
	buffer_load_dword v3, off, s[0:3], 0 offset:556
	buffer_load_dword v2, off, s[0:3], 0 offset:552
	;; [unrolled: 6-line block ×11, first 2 shown]
	ds_read_b128 v[196:199], v154 offset:1280
	ds_read_b128 v[200:203], v154 offset:1296
	;; [unrolled: 1-line block ×8, first 2 shown]
	buffer_load_dword v233, off, s[0:3], 0 offset:668
	buffer_load_dword v149, off, s[0:3], 0 offset:652
	;; [unrolled: 1-line block ×8, first 2 shown]
	ds_read_b128 v[234:237], v154 offset:1408
	ds_read_b128 v[238:241], v154 offset:1424
	;; [unrolled: 1-line block ×10, first 2 shown]
	s_waitcnt lgkmcnt(5)
	v_mul_f64 v[6:7], v[250:251], v[94:95]
	v_fmac_f64_e32 v[6:7], v[252:253], v[96:97]
	s_waitcnt lgkmcnt(4)
	v_mul_f64 v[10:11], v[118:119], v[4:5]
	s_waitcnt lgkmcnt(3)
	v_mul_f64 v[14:15], v[122:123], v[18:19]
	v_fmac_f64_e32 v[10:11], v[120:121], v[8:9]
	v_fmac_f64_e32 v[14:15], v[124:125], v[26:27]
	s_waitcnt lgkmcnt(1)
	v_mul_f64 v[26:27], v[130:131], v[138:139]
	v_mul_f64 v[18:19], v[126:127], v[12:13]
	v_fmac_f64_e32 v[26:27], v[132:133], v[140:141]
	ds_read_b128 v[138:141], v154 offset:1568
	v_fmac_f64_e32 v[18:19], v[128:129], v[16:17]
	v_accvgpr_write_b32 a205, v143
	v_accvgpr_write_b32 a204, v142
	v_mul_f64 v[4:5], v[182:183], v[56:57]
	v_mul_f64 v[94:95], v[252:253], v[94:95]
	v_fma_f64 v[250:251], v[250:251], v[96:97], -v[94:95]
	s_waitcnt vmcnt(8)
	v_pk_mov_b32 v[144:145], v[2:3], v[2:3] op_sel:[0,1]
	v_mul_f64 v[2:3], v[192:193], v[46:47]
	v_fmac_f64_e32 v[2:3], v[194:195], v[64:65]
	v_add_f64 v[0:1], v[0:1], v[2:3]
	v_mul_f64 v[2:3], v[196:197], v[70:71]
	v_fmac_f64_e32 v[2:3], v[198:199], v[72:73]
	v_add_f64 v[0:1], v[0:1], v[2:3]
	;; [unrolled: 3-line block ×13, first 2 shown]
	v_add_f64 v[0:1], v[0:1], v[6:7]
	v_add_f64 v[0:1], v[0:1], v[10:11]
	;; [unrolled: 1-line block ×5, first 2 shown]
	s_waitcnt lgkmcnt(1)
	v_mul_f64 v[26:27], v[134:135], v[20:21]
	v_fmac_f64_e32 v[26:27], v[136:137], v[22:23]
	v_add_f64 v[0:1], v[0:1], v[26:27]
	s_waitcnt lgkmcnt(0)
	v_mul_f64 v[26:27], v[138:139], v[142:143]
	v_accvgpr_write_b32 a207, v145
	v_fmac_f64_e32 v[26:27], v[140:141], v[144:145]
	v_accvgpr_write_b32 a206, v144
	ds_read_b128 v[142:145], v154 offset:1584
	v_add_f64 v[0:1], v[0:1], v[26:27]
	v_fma_f64 v[26:27], v[114:115], v[30:31], -v[32:33]
	ds_read_b128 v[30:33], v154 offset:1600
	buffer_load_dword v157, off, s[0:3], 0 offset:700
	buffer_load_dword v156, off, s[0:3], 0 offset:696
	;; [unrolled: 1-line block ×8, first 2 shown]
	s_waitcnt lgkmcnt(1)
	v_mul_f64 v[114:115], v[142:143], v[24:25]
	v_fmac_f64_e32 v[114:115], v[144:145], v[28:29]
	v_add_f64 v[0:1], v[0:1], v[114:115]
	v_fma_f64 v[114:115], v[168:169], v[62:63], -v[34:35]
	buffer_load_dword v160, off, s[0:3], 0 offset:728
	buffer_load_dword v165, off, s[0:3], 0 offset:716
	;; [unrolled: 1-line block ×5, first 2 shown]
	v_mul_f64 v[34:35], v[174:175], v[44:45]
	v_fma_f64 v[116:117], v[172:173], v[60:61], -v[34:35]
	ds_read_b128 v[34:37], v154 offset:1616
	s_waitcnt vmcnt(18) lgkmcnt(1)
	v_mul_f64 v[38:39], v[30:31], v[148:149]
	s_waitcnt vmcnt(16)
	v_fmac_f64_e32 v[38:39], v[32:33], v[152:153]
	buffer_load_dword v170, off, s[0:3], 0 offset:720
	buffer_load_dword v161, off, s[0:3], 0 offset:732
	buffer_load_dword v171, off, s[0:3], 0 offset:724
	v_add_f64 v[0:1], v[0:1], v[38:39]
	s_waitcnt vmcnt(18) lgkmcnt(0)
	v_mul_f64 v[38:39], v[34:35], v[232:233]
	s_waitcnt vmcnt(16)
	v_fmac_f64_e32 v[38:39], v[36:37], v[146:147]
	v_add_f64 v[60:61], v[0:1], v[38:39]
	v_mul_f64 v[0:1], v[178:179], v[40:41]
	v_fma_f64 v[24:25], v[176:177], v[42:43], -v[0:1]
	buffer_load_dword v173, off, s[0:3], 0 offset:764
	buffer_load_dword v175, off, s[0:3], 0 offset:748
	;; [unrolled: 1-line block ×8, first 2 shown]
	v_fma_f64 v[22:23], v[180:181], v[58:59], -v[4:5]
	ds_read_b128 v[38:41], v154 offset:1632
	buffer_load_dword v181, off, s[0:3], 0 offset:780
	buffer_load_dword v180, off, s[0:3], 0 offset:776
	;; [unrolled: 1-line block ×4, first 2 shown]
	v_mul_f64 v[4:5], v[186:187], v[48:49]
	v_fma_f64 v[20:21], v[184:185], v[50:51], -v[4:5]
	v_mul_f64 v[4:5], v[190:191], v[52:53]
	v_fma_f64 v[18:19], v[188:189], v[54:55], -v[4:5]
	buffer_load_dword v185, off, s[0:3], 0 offset:796
	buffer_load_dword v184, off, s[0:3], 0 offset:792
	;; [unrolled: 1-line block ×8, first 2 shown]
	v_mul_f64 v[4:5], v[194:195], v[46:47]
	v_fma_f64 v[16:17], v[192:193], v[64:65], -v[4:5]
	buffer_load_dword v192, off, s[0:3], 0 offset:824
	buffer_load_dword v194, off, s[0:3], 0 offset:816
	;; [unrolled: 1-line block ×4, first 2 shown]
	v_mul_f64 v[4:5], v[198:199], v[70:71]
	v_fma_f64 v[14:15], v[196:197], v[72:73], -v[4:5]
	v_mul_f64 v[4:5], v[202:203], v[66:67]
	buffer_load_dword v197, off, s[0:3], 0 offset:844
	buffer_load_dword v196, off, s[0:3], 0 offset:840
	;; [unrolled: 1-line block ×4, first 2 shown]
	v_fma_f64 v[12:13], v[200:201], v[68:69], -v[4:5]
	v_mul_f64 v[4:5], v[206:207], v[100:101]
	v_fma_f64 v[10:11], v[204:205], v[104:105], -v[4:5]
	buffer_load_dword v203, off, s[0:3], 0 offset:860
	buffer_load_dword v202, off, s[0:3], 0 offset:856
	;; [unrolled: 1-line block ×4, first 2 shown]
	v_mul_f64 v[4:5], v[210:211], v[92:93]
	v_fma_f64 v[8:9], v[208:209], v[76:77], -v[4:5]
	buffer_load_dword v201, off, s[0:3], 0 offset:892
	buffer_load_dword v207, off, s[0:3], 0 offset:876
	;; [unrolled: 1-line block ×12, first 2 shown]
	ds_read_b128 v[42:45], v154 offset:1648
	v_mul_f64 v[46:47], v[218:219], v[150:151]
	v_fma_f64 v[150:151], v[216:217], v[254:255], -v[46:47]
	ds_read_b128 v[46:49], v154 offset:1664
	v_mul_f64 v[54:55], v[222:223], v[74:75]
	v_fma_f64 v[254:255], v[220:221], v[108:109], -v[54:55]
	;; [unrolled: 3-line block ×3, first 2 shown]
	v_mul_f64 v[66:67], v[230:231], v[90:91]
	v_fma_f64 v[6:7], v[228:229], v[98:99], -v[66:67]
	ds_read_b128 v[66:69], v154 offset:1744
	v_mul_f64 v[70:71], v[236:237], v[102:103]
	v_fma_f64 v[4:5], v[234:235], v[106:107], -v[70:71]
	v_mul_f64 v[78:79], v[240:241], v[78:79]
	v_fma_f64 v[2:3], v[238:239], v[80:81], -v[78:79]
	v_mul_f64 v[82:83], v[244:245], v[82:83]
	ds_read_b128 v[70:73], v154 offset:1760
	v_fma_f64 v[0:1], v[242:243], v[84:85], -v[82:83]
	ds_read_b128 v[82:85], v154 offset:1808
	v_mul_f64 v[86:87], v[248:249], v[86:87]
	v_fma_f64 v[246:247], v[246:247], v[88:89], -v[86:87]
	ds_read_b128 v[86:89], v154 offset:1824
	buffer_load_dword v238, off, s[0:3], 0 offset:920
	v_add_f64 v[26:27], v[26:27], 0
	v_add_f64 v[26:27], v[26:27], v[212:213]
	;; [unrolled: 1-line block ×4, first 2 shown]
	ds_read_b128 v[78:81], v154 offset:1792
	v_add_f64 v[24:25], v[26:27], v[24:25]
	v_add_f64 v[22:23], v[24:25], v[22:23]
	;; [unrolled: 1-line block ×6, first 2 shown]
	s_waitcnt vmcnt(55) lgkmcnt(8)
	v_mul_f64 v[50:51], v[38:39], v[162:163]
	s_waitcnt lgkmcnt(7)
	v_mul_f64 v[52:53], v[42:43], v[156:157]
	s_waitcnt vmcnt(53)
	v_fmac_f64_e32 v[50:51], v[40:41], v[166:167]
	v_add_f64 v[50:51], v[60:61], v[50:51]
	v_fmac_f64_e32 v[52:53], v[44:45], v[158:159]
	v_add_f64 v[50:51], v[50:51], v[52:53]
	s_waitcnt vmcnt(50) lgkmcnt(6)
	v_mul_f64 v[52:53], v[46:47], v[164:165]
	ds_read_b128 v[58:61], v154 offset:1712
	s_waitcnt vmcnt(48)
	v_fmac_f64_e32 v[52:53], v[48:49], v[168:169]
	v_add_f64 v[62:63], v[50:51], v[52:53]
	ds_read_b128 v[50:53], v154 offset:1680
	ds_read_b128 v[94:97], v154 offset:1856
	v_add_f64 v[12:13], v[14:15], v[12:13]
	v_add_f64 v[10:11], v[12:13], v[10:11]
	;; [unrolled: 1-line block ×3, first 2 shown]
	s_waitcnt vmcnt(46) lgkmcnt(1)
	v_mul_f64 v[64:65], v[50:51], v[160:161]
	s_waitcnt vmcnt(45)
	v_fmac_f64_e32 v[64:65], v[52:53], v[170:171]
	v_add_f64 v[62:63], v[62:63], v[64:65]
	s_waitcnt vmcnt(42)
	v_mul_f64 v[64:65], v[54:55], v[174:175]
	s_waitcnt vmcnt(40)
	v_fmac_f64_e32 v[64:65], v[56:57], v[178:179]
	v_add_f64 v[62:63], v[62:63], v[64:65]
	s_waitcnt vmcnt(39)
	v_mul_f64 v[64:65], v[58:59], v[172:173]
	s_waitcnt vmcnt(37)
	v_fmac_f64_e32 v[64:65], v[60:61], v[176:177]
	v_add_f64 v[74:75], v[62:63], v[64:65]
	ds_read_b128 v[62:65], v154 offset:1728
	v_add_f64 v[8:9], v[8:9], v[150:151]
	v_add_f64 v[8:9], v[8:9], v[254:255]
	;; [unrolled: 1-line block ×4, first 2 shown]
	s_waitcnt vmcnt(35) lgkmcnt(0)
	v_mul_f64 v[76:77], v[62:63], v[180:181]
	s_waitcnt vmcnt(33)
	v_fmac_f64_e32 v[76:77], v[64:65], v[182:183]
	v_add_f64 v[74:75], v[74:75], v[76:77]
	s_waitcnt vmcnt(31)
	v_mul_f64 v[76:77], v[66:67], v[184:185]
	s_waitcnt vmcnt(29)
	v_fmac_f64_e32 v[76:77], v[68:69], v[188:189]
	v_add_f64 v[74:75], v[74:75], v[76:77]
	s_waitcnt vmcnt(27)
	v_mul_f64 v[76:77], v[70:71], v[186:187]
	s_waitcnt vmcnt(25)
	v_fmac_f64_e32 v[76:77], v[72:73], v[190:191]
	v_add_f64 v[90:91], v[74:75], v[76:77]
	ds_read_b128 v[74:77], v154 offset:1776
	s_waitcnt vmcnt(10)
	v_mul_f64 v[100:101], v[86:87], v[206:207]
	s_waitcnt vmcnt(8)
	v_fmac_f64_e32 v[100:101], v[88:89], v[28:29]
	v_add_f64 v[4:5], v[6:7], v[4:5]
	v_add_f64 v[2:3], v[4:5], v[2:3]
	s_waitcnt lgkmcnt(0)
	v_mul_f64 v[92:93], v[74:75], v[192:193]
	v_fmac_f64_e32 v[92:93], v[76:77], v[194:195]
	v_add_f64 v[90:91], v[90:91], v[92:93]
	v_mul_f64 v[92:93], v[78:79], v[196:197]
	v_fmac_f64_e32 v[92:93], v[80:81], v[198:199]
	v_add_f64 v[90:91], v[90:91], v[92:93]
	;; [unrolled: 3-line block ×3, first 2 shown]
	ds_read_b128 v[90:93], v154 offset:1840
	buffer_load_dword v218, off, s[0:3], 0 offset:912
	buffer_load_dword v239, off, s[0:3], 0 offset:924
	;; [unrolled: 1-line block ×3, first 2 shown]
	v_add_f64 v[98:99], v[98:99], v[100:101]
	v_add_f64 v[0:1], v[2:3], v[0:1]
	;; [unrolled: 1-line block ×3, first 2 shown]
	s_waitcnt vmcnt(10) lgkmcnt(0)
	v_mul_f64 v[100:101], v[90:91], v[200:201]
	s_waitcnt vmcnt(8)
	v_fmac_f64_e32 v[100:101], v[92:93], v[210:211]
	v_add_f64 v[98:99], v[98:99], v[100:101]
	s_waitcnt vmcnt(6)
	v_mul_f64 v[100:101], v[94:95], v[208:209]
	s_waitcnt vmcnt(4)
	v_fmac_f64_e32 v[100:101], v[96:97], v[214:215]
	v_add_f64 v[102:103], v[98:99], v[100:101]
	ds_read_b128 v[98:101], v154 offset:1872
	buffer_load_dword v221, off, s[0:3], 0 offset:940
	buffer_load_dword v220, off, s[0:3], 0 offset:936
	;; [unrolled: 1-line block ×4, first 2 shown]
	v_accvgpr_read_b32 v2, a184
	v_accvgpr_read_b32 v3, a185
	;; [unrolled: 1-line block ×3, first 2 shown]
	v_mul_f64 v[2:3], v[120:121], v[2:3]
	v_accvgpr_read_b32 v5, a187
	v_add_f64 v[0:1], v[252:253], v[250:251]
	v_fma_f64 v[2:3], v[118:119], v[4:5], -v[2:3]
	v_add_f64 v[0:1], v[0:1], v[2:3]
	v_accvgpr_read_b32 v2, a188
	v_accvgpr_read_b32 v3, a189
	v_accvgpr_read_b32 v4, a190
	v_mul_f64 v[2:3], v[124:125], v[2:3]
	v_accvgpr_read_b32 v5, a191
	v_fma_f64 v[2:3], v[122:123], v[4:5], -v[2:3]
	v_add_f64 v[0:1], v[0:1], v[2:3]
	v_accvgpr_read_b32 v2, a192
	v_accvgpr_read_b32 v3, a193
	v_accvgpr_read_b32 v4, a194
	v_mul_f64 v[2:3], v[128:129], v[2:3]
	v_accvgpr_read_b32 v5, a195
	;; [unrolled: 7-line block ×6, first 2 shown]
	v_fma_f64 v[2:3], v[142:143], v[4:5], -v[2:3]
	v_add_f64 v[0:1], v[0:1], v[2:3]
	v_mul_f64 v[2:3], v[32:33], v[148:149]
	v_fma_f64 v[2:3], v[30:31], v[152:153], -v[2:3]
	v_add_f64 v[0:1], v[0:1], v[2:3]
	v_mul_f64 v[2:3], v[36:37], v[232:233]
	;; [unrolled: 3-line block ×6, first 2 shown]
	v_fma_f64 v[2:3], v[50:51], v[170:171], -v[2:3]
	s_waitcnt vmcnt(5) lgkmcnt(0)
	v_mul_f64 v[104:105], v[98:99], v[238:239]
	s_waitcnt vmcnt(4)
	v_fmac_f64_e32 v[104:105], v[100:101], v[218:219]
	v_add_f64 v[106:107], v[102:103], v[104:105]
	ds_read_b128 v[102:105], v154 offset:1888
	buffer_load_dword v224, off, s[0:3], 0 offset:952
	buffer_load_dword v225, off, s[0:3], 0 offset:956
	;; [unrolled: 1-line block ×4, first 2 shown]
	v_add_f64 v[0:1], v[0:1], v[2:3]
	v_mul_f64 v[2:3], v[56:57], v[174:175]
	v_fma_f64 v[2:3], v[54:55], v[178:179], -v[2:3]
	v_add_f64 v[0:1], v[0:1], v[2:3]
	v_mul_f64 v[2:3], v[60:61], v[172:173]
	s_waitcnt vmcnt(6) lgkmcnt(0)
	v_mul_f64 v[108:109], v[102:103], v[220:221]
	v_fma_f64 v[2:3], v[58:59], v[176:177], -v[2:3]
	s_waitcnt vmcnt(4)
	v_fmac_f64_e32 v[108:109], v[104:105], v[222:223]
	v_add_f64 v[110:111], v[106:107], v[108:109]
	ds_read_b128 v[106:109], v154 offset:1904
	buffer_load_dword v229, off, s[0:3], 0 offset:972
	buffer_load_dword v228, off, s[0:3], 0 offset:968
	;; [unrolled: 1-line block ×4, first 2 shown]
	v_add_f64 v[0:1], v[0:1], v[2:3]
	v_mul_f64 v[2:3], v[64:65], v[180:181]
	v_fma_f64 v[2:3], v[62:63], v[182:183], -v[2:3]
	v_add_f64 v[0:1], v[0:1], v[2:3]
	v_mul_f64 v[2:3], v[68:69], v[184:185]
	v_fma_f64 v[2:3], v[66:67], v[188:189], -v[2:3]
	;; [unrolled: 3-line block ×11, first 2 shown]
	v_add_f64 v[0:1], v[0:1], v[2:3]
	s_waitcnt vmcnt(6) lgkmcnt(0)
	v_mul_f64 v[112:113], v[106:107], v[224:225]
	v_mul_f64 v[2:3], v[108:109], v[224:225]
	s_waitcnt vmcnt(4)
	v_fmac_f64_e32 v[112:113], v[108:109], v[226:227]
	v_add_f64 v[234:235], v[110:111], v[112:113]
	ds_read_b128 v[110:113], v154 offset:1920
	buffer_load_dword v242, off, s[0:3], 0 offset:984
	buffer_load_dword v243, off, s[0:3], 0 offset:988
	;; [unrolled: 1-line block ×4, first 2 shown]
	v_fma_f64 v[2:3], v[106:107], v[226:227], -v[2:3]
	v_add_f64 v[0:1], v[0:1], v[2:3]
	s_waitcnt vmcnt(6) lgkmcnt(0)
	v_mul_f64 v[236:237], v[110:111], v[228:229]
	v_mul_f64 v[2:3], v[112:113], v[228:229]
	s_waitcnt vmcnt(4)
	v_fmac_f64_e32 v[236:237], v[112:113], v[230:231]
	v_add_f64 v[240:241], v[234:235], v[236:237]
	ds_read_b128 v[234:237], v154 offset:1936
	v_fma_f64 v[2:3], v[110:111], v[230:231], -v[2:3]
	v_add_f64 v[0:1], v[0:1], v[2:3]
	s_waitcnt vmcnt(2) lgkmcnt(0)
	v_mul_f64 v[248:249], v[234:235], v[242:243]
	v_mul_f64 v[2:3], v[236:237], v[242:243]
	s_waitcnt vmcnt(0)
	v_fmac_f64_e32 v[248:249], v[236:237], v[244:245]
	v_add_f64 v[240:241], v[240:241], v[248:249]
	buffer_load_dword v248, off, s[0:3], 0 offset:160
	buffer_load_dword v249, off, s[0:3], 0 offset:164
	;; [unrolled: 1-line block ×4, first 2 shown]
	v_fma_f64 v[2:3], v[234:235], v[244:245], -v[2:3]
	v_add_f64 v[0:1], v[0:1], v[2:3]
	s_waitcnt vmcnt(2)
	v_add_f64 v[0:1], v[248:249], -v[0:1]
	s_waitcnt vmcnt(0)
	v_add_f64 v[2:3], v[246:247], -v[240:241]
	buffer_store_dword v1, off, s[0:3], 0 offset:164
	buffer_store_dword v0, off, s[0:3], 0 offset:160
	;; [unrolled: 1-line block ×4, first 2 shown]
	s_and_saveexec_b64 s[4:5], vcc
	s_cbranch_execz .LBB124_375
; %bb.374:
	v_accvgpr_read_b32 v0, a174
	buffer_load_dword v2, v0, s[0:3], 0 offen
	buffer_load_dword v3, v0, s[0:3], 0 offen offset:4
	buffer_load_dword v4, v0, s[0:3], 0 offen offset:8
	;; [unrolled: 1-line block ×3, first 2 shown]
	v_accvgpr_read_b32 v0, a183
	buffer_store_dword v154, off, s[0:3], 0 offset:144
	buffer_store_dword v154, off, s[0:3], 0 offset:148
	;; [unrolled: 1-line block ×4, first 2 shown]
	s_waitcnt vmcnt(4)
	ds_write_b128 v0, v[2:5]
.LBB124_375:
	s_or_b64 exec, exec, s[4:5]
	s_waitcnt lgkmcnt(0)
	; wave barrier
	s_waitcnt lgkmcnt(0)
	buffer_load_dword v22, off, s[0:3], 0 offset:160
	buffer_load_dword v23, off, s[0:3], 0 offset:164
	;; [unrolled: 1-line block ×36, first 2 shown]
	ds_read_b128 v[18:21], v154 offset:1120
	ds_read_b128 v[26:29], v154 offset:1136
	;; [unrolled: 1-line block ×9, first 2 shown]
	buffer_load_dword v91, off, s[0:3], 0 offset:332
	buffer_load_dword v90, off, s[0:3], 0 offset:328
	;; [unrolled: 1-line block ×19, first 2 shown]
	v_accvgpr_write_b32 a232, v155          ;  Reload Reuse
	v_cmp_lt_u32_e32 vcc, 7, v155
	s_waitcnt vmcnt(51) lgkmcnt(8)
	v_mul_f64 v[0:1], v[18:19], v[24:25]
	v_fmac_f64_e32 v[0:1], v[20:21], v[22:23]
	v_add_f64 v[0:1], v[0:1], 0
	v_mul_f64 v[20:21], v[20:21], v[24:25]
	s_waitcnt vmcnt(47) lgkmcnt(7)
	v_mul_f64 v[2:3], v[26:27], v[162:163]
	v_fmac_f64_e32 v[2:3], v[28:29], v[160:161]
	v_add_f64 v[0:1], v[0:1], v[2:3]
	buffer_load_dword v104, off, s[0:3], 0 offset:384
	buffer_load_dword v143, off, s[0:3], 0 offset:380
	;; [unrolled: 1-line block ×39, first 2 shown]
	s_waitcnt vmcnt(62) lgkmcnt(6)
	v_mul_f64 v[4:5], v[54:55], v[158:159]
	s_waitcnt lgkmcnt(4)
	v_mul_f64 v[8:9], v[34:35], v[64:65]
	v_fmac_f64_e32 v[8:9], v[36:37], v[66:67]
	v_mul_f64 v[28:29], v[28:29], v[162:163]
	v_mul_f64 v[6:7], v[30:31], v[68:69]
	s_waitcnt lgkmcnt(2)
	v_mul_f64 v[12:13], v[50:51], v[74:75]
	v_fmac_f64_e32 v[12:13], v[52:53], v[76:77]
	v_mul_f64 v[52:53], v[52:53], v[74:75]
	v_mul_f64 v[10:11], v[38:39], v[80:81]
	s_waitcnt lgkmcnt(1)
	v_mul_f64 v[14:15], v[46:47], v[72:73]
	v_fmac_f64_e32 v[4:5], v[56:57], v[164:165]
	v_add_f64 v[0:1], v[0:1], v[4:5]
	v_fmac_f64_e32 v[6:7], v[32:33], v[166:167]
	v_add_f64 v[0:1], v[0:1], v[6:7]
	;; [unrolled: 2-line block ×3, first 2 shown]
	v_add_f64 v[0:1], v[0:1], v[10:11]
	v_fmac_f64_e32 v[14:15], v[48:49], v[78:79]
	v_add_f64 v[0:1], v[0:1], v[12:13]
	v_add_f64 v[0:1], v[0:1], v[14:15]
	v_mul_f64 v[56:57], v[56:57], v[158:159]
	v_mul_f64 v[32:33], v[32:33], v[68:69]
	;; [unrolled: 1-line block ×3, first 2 shown]
	s_waitcnt vmcnt(0)
	v_pk_mov_b32 v[122:123], v[2:3], v[2:3] op_sel:[0,1]
	buffer_load_dword v3, off, s[0:3], 0 offset:548
	buffer_load_dword v2, off, s[0:3], 0 offset:544
	v_accvgpr_write_b32 a191, v123
	v_accvgpr_write_b32 a190, v122
	s_waitcnt vmcnt(0)
	v_pk_mov_b32 v[126:127], v[2:3], v[2:3] op_sel:[0,1]
	buffer_load_dword v3, off, s[0:3], 0 offset:540
	buffer_load_dword v2, off, s[0:3], 0 offset:536
	v_accvgpr_write_b32 a193, v127
	v_accvgpr_write_b32 a192, v126
	s_waitcnt vmcnt(0)
	v_pk_mov_b32 v[16:17], v[2:3], v[2:3] op_sel:[0,1]
	buffer_load_dword v3, off, s[0:3], 0 offset:532
	buffer_load_dword v2, off, s[0:3], 0 offset:528
	v_pk_mov_b32 v[156:157], v[16:17], v[16:17] op_sel:[0,1]
	s_waitcnt vmcnt(0)
	v_pk_mov_b32 v[128:129], v[2:3], v[2:3] op_sel:[0,1]
	buffer_load_dword v3, off, s[0:3], 0 offset:588
	buffer_load_dword v2, off, s[0:3], 0 offset:584
	v_accvgpr_write_b32 a189, v129
	v_accvgpr_write_b32 a188, v128
	s_waitcnt vmcnt(0)
	v_pk_mov_b32 v[148:149], v[2:3], v[2:3] op_sel:[0,1]
	buffer_load_dword v3, off, s[0:3], 0 offset:580
	buffer_load_dword v2, off, s[0:3], 0 offset:576
	v_accvgpr_write_b32 a199, v149
	v_accvgpr_write_b32 a198, v148
	s_waitcnt vmcnt(0)
	v_pk_mov_b32 v[150:151], v[2:3], v[2:3] op_sel:[0,1]
	buffer_load_dword v3, off, s[0:3], 0 offset:572
	buffer_load_dword v2, off, s[0:3], 0 offset:568
	v_accvgpr_write_b32 a201, v151
	v_accvgpr_write_b32 a200, v150
	s_waitcnt vmcnt(0)
	v_pk_mov_b32 v[178:179], v[2:3], v[2:3] op_sel:[0,1]
	buffer_load_dword v3, off, s[0:3], 0 offset:564
	buffer_load_dword v2, off, s[0:3], 0 offset:560
	v_accvgpr_write_b32 a195, v179
	v_accvgpr_write_b32 a194, v178
	s_waitcnt vmcnt(0)
	v_pk_mov_b32 v[180:181], v[2:3], v[2:3] op_sel:[0,1]
	buffer_load_dword v3, off, s[0:3], 0 offset:620
	buffer_load_dword v2, off, s[0:3], 0 offset:616
	v_accvgpr_write_b32 a197, v181
	v_accvgpr_write_b32 a196, v180
	s_waitcnt vmcnt(0)
	v_pk_mov_b32 v[174:175], v[2:3], v[2:3] op_sel:[0,1]
	buffer_load_dword v3, off, s[0:3], 0 offset:612
	buffer_load_dword v2, off, s[0:3], 0 offset:608
	v_accvgpr_write_b32 a207, v175
	v_accvgpr_write_b32 a206, v174
	s_waitcnt vmcnt(0)
	v_pk_mov_b32 v[176:177], v[2:3], v[2:3] op_sel:[0,1]
	buffer_load_dword v3, off, s[0:3], 0 offset:604
	buffer_load_dword v2, off, s[0:3], 0 offset:600
	v_accvgpr_write_b32 a209, v177
	v_accvgpr_write_b32 a208, v176
	s_waitcnt vmcnt(0)
	v_pk_mov_b32 v[182:183], v[2:3], v[2:3] op_sel:[0,1]
	buffer_load_dword v3, off, s[0:3], 0 offset:596
	buffer_load_dword v2, off, s[0:3], 0 offset:592
	ds_read_b128 v[184:187], v154 offset:1264
	ds_read_b128 v[196:199], v154 offset:1280
	;; [unrolled: 1-line block ×9, first 2 shown]
	v_accvgpr_write_b32 a203, v183
	v_accvgpr_write_b32 a202, v182
	s_waitcnt lgkmcnt(1)
	v_mul_f64 v[4:5], v[242:243], v[220:221]
	v_fmac_f64_e32 v[4:5], v[244:245], v[222:223]
	s_waitcnt vmcnt(0)
	v_pk_mov_b32 v[190:191], v[2:3], v[2:3] op_sel:[0,1]
	v_mul_f64 v[2:3], v[42:43], v[70:71]
	v_fmac_f64_e32 v[2:3], v[44:45], v[188:189]
	v_add_f64 v[0:1], v[0:1], v[2:3]
	v_mul_f64 v[2:3], v[184:185], v[94:95]
	v_fmac_f64_e32 v[2:3], v[186:187], v[98:99]
	v_add_f64 v[0:1], v[0:1], v[2:3]
	;; [unrolled: 3-line block ×8, first 2 shown]
	buffer_load_dword v1, off, s[0:3], 0 offset:636
	buffer_load_dword v0, off, s[0:3], 0 offset:632
	buffer_load_dword v147, off, s[0:3], 0 offset:628
	buffer_load_dword v146, off, s[0:3], 0 offset:624
	ds_read_b128 v[250:253], v154 offset:1408
	buffer_load_dword v233, off, s[0:3], 0 offset:652
	buffer_load_dword v232, off, s[0:3], 0 offset:648
	;; [unrolled: 1-line block ×8, first 2 shown]
	ds_read_b128 v[118:121], v154 offset:1424
	ds_read_b128 v[58:61], v154 offset:1440
	v_add_f64 v[2:3], v[2:3], v[4:5]
	s_waitcnt lgkmcnt(3)
	v_mul_f64 v[4:5], v[246:247], v[224:225]
	v_fmac_f64_e32 v[4:5], v[248:249], v[226:227]
	v_add_f64 v[2:3], v[2:3], v[4:5]
	s_waitcnt lgkmcnt(2)
	v_mul_f64 v[4:5], v[250:251], v[114:115]
	v_fmac_f64_e32 v[4:5], v[252:253], v[116:117]
	ds_read_b128 v[82:85], v154 offset:1456
	ds_read_b128 v[86:89], v154 offset:1472
	v_add_f64 v[2:3], v[2:3], v[4:5]
	s_waitcnt lgkmcnt(3)
	v_mul_f64 v[4:5], v[118:119], v[216:217]
	v_fmac_f64_e32 v[4:5], v[120:121], v[218:219]
	v_add_f64 v[2:3], v[2:3], v[4:5]
	s_waitcnt lgkmcnt(2)
	v_mul_f64 v[4:5], v[58:59], v[106:107]
	v_fmac_f64_e32 v[4:5], v[60:61], v[110:111]
	;; [unrolled: 4-line block ×3, first 2 shown]
	v_add_f64 v[6:7], v[2:3], v[4:5]
	ds_read_b128 v[2:5], v154 offset:1488
	ds_read_b128 v[138:141], v154 offset:1504
	buffer_load_dword v125, off, s[0:3], 0 offset:684
	buffer_load_dword v124, off, s[0:3], 0 offset:680
	ds_read_b128 v[134:137], v154 offset:1520
	ds_read_b128 v[130:133], v154 offset:1536
	s_waitcnt lgkmcnt(4)
	v_mul_f64 v[8:9], v[86:87], v[96:97]
	s_waitcnt lgkmcnt(3)
	v_mul_f64 v[12:13], v[2:3], v[16:17]
	;; [unrolled: 2-line block ×3, first 2 shown]
	v_fmac_f64_e32 v[8:9], v[88:89], v[100:101]
	v_fmac_f64_e32 v[12:13], v[4:5], v[128:129]
	;; [unrolled: 1-line block ×3, first 2 shown]
	ds_read_b128 v[126:129], v154 offset:1552
	s_waitcnt lgkmcnt(1)
	v_mul_f64 v[24:25], v[130:131], v[148:149]
	v_add_f64 v[10:11], v[6:7], v[8:9]
	v_fmac_f64_e32 v[24:25], v[132:133], v[150:151]
	ds_read_b128 v[148:151], v154 offset:1568
	v_add_f64 v[14:15], v[10:11], v[12:13]
	v_mul_f64 v[172:173], v[134:135], v[178:179]
	v_add_f64 v[170:171], v[14:15], v[16:17]
	v_fmac_f64_e32 v[172:173], v[136:137], v[180:181]
	v_fma_f64 v[122:123], v[18:19], v[22:23], -v[20:21]
	v_add_f64 v[22:23], v[170:171], v[172:173]
	v_accvgpr_write_b32 a187, v5
	v_add_f64 v[22:23], v[22:23], v[24:25]
	s_waitcnt lgkmcnt(1)
	v_mul_f64 v[24:25], v[126:127], v[182:183]
	v_fma_f64 v[18:19], v[26:27], v[160:161], -v[28:29]
	ds_read_b128 v[26:29], v154 offset:1584
	v_accvgpr_write_b32 a186, v4
	v_accvgpr_write_b32 a185, v3
	;; [unrolled: 1-line block ×3, first 2 shown]
	v_fmac_f64_e32 v[24:25], v[128:129], v[190:191]
	s_waitcnt lgkmcnt(1)
	v_mul_f64 v[4:5], v[148:149], v[174:175]
	v_add_f64 v[170:171], v[22:23], v[24:25]
	v_fmac_f64_e32 v[4:5], v[150:151], v[176:177]
	v_add_f64 v[4:5], v[170:171], v[4:5]
	buffer_load_dword v163, off, s[0:3], 0 offset:676
	buffer_load_dword v162, off, s[0:3], 0 offset:672
	v_fma_f64 v[170:171], v[54:55], v[164:165], -v[56:57]
	buffer_load_dword v158, off, s[0:3], 0 offset:712
	buffer_load_dword v160, off, s[0:3], 0 offset:704
	;; [unrolled: 1-line block ×4, first 2 shown]
	v_fma_f64 v[14:15], v[30:31], v[166:167], -v[32:33]
	buffer_load_dword v167, off, s[0:3], 0 offset:692
	buffer_load_dword v166, off, s[0:3], 0 offset:688
	;; [unrolled: 1-line block ×4, first 2 shown]
	ds_read_b128 v[30:33], v154 offset:1600
	v_mul_f64 v[44:45], v[44:45], v[70:71]
	v_accvgpr_write_b32 a205, v191
	v_accvgpr_write_b32 a204, v190
	v_mul_f64 v[24:25], v[202:203], v[192:193]
	v_fma_f64 v[24:25], v[200:201], v[194:195], -v[24:25]
	v_mul_f64 v[16:17], v[48:49], v[72:73]
	v_fma_f64 v[16:17], v[46:47], v[78:79], -v[16:17]
	v_fma_f64 v[6:7], v[50:51], v[76:77], -v[52:53]
	v_mul_f64 v[50:51], v[240:241], v[228:229]
	v_fma_f64 v[238:239], v[238:239], v[230:231], -v[50:51]
	v_mul_f64 v[70:71], v[252:253], v[114:115]
	v_mul_f64 v[60:61], v[60:61], v[106:107]
	s_waitcnt vmcnt(22) lgkmcnt(1)
	v_mul_f64 v[8:9], v[26:27], v[0:1]
	v_accvgpr_write_b32 a211, v1
	s_waitcnt vmcnt(20)
	v_fmac_f64_e32 v[8:9], v[28:29], v[146:147]
	v_add_f64 v[4:5], v[4:5], v[8:9]
	v_mul_f64 v[8:9], v[36:37], v[64:65]
	v_fma_f64 v[10:11], v[34:35], v[66:67], -v[8:9]
	ds_read_b128 v[34:37], v154 offset:1616
	v_fma_f64 v[8:9], v[38:39], v[168:169], -v[40:41]
	ds_read_b128 v[38:41], v154 offset:1632
	buffer_load_dword v169, off, s[0:3], 0 offset:732
	buffer_load_dword v168, off, s[0:3], 0 offset:728
	;; [unrolled: 1-line block ×16, first 2 shown]
	s_waitcnt vmcnt(34) lgkmcnt(2)
	v_mul_f64 v[54:55], v[30:31], v[232:233]
	s_waitcnt vmcnt(32)
	v_fmac_f64_e32 v[54:55], v[32:33], v[152:153]
	s_waitcnt vmcnt(30) lgkmcnt(1)
	v_mul_f64 v[12:13], v[34:35], v[254:255]
	v_add_f64 v[4:5], v[4:5], v[54:55]
	s_waitcnt vmcnt(28)
	v_fmac_f64_e32 v[12:13], v[36:37], v[144:145]
	v_add_f64 v[12:13], v[4:5], v[12:13]
	v_fma_f64 v[4:5], v[42:43], v[188:189], -v[44:45]
	v_mul_f64 v[42:43], v[186:187], v[94:95]
	v_fma_f64 v[94:95], v[184:185], v[98:99], -v[42:43]
	buffer_load_dword v185, off, s[0:3], 0 offset:796
	buffer_load_dword v184, off, s[0:3], 0 offset:792
	;; [unrolled: 1-line block ×8, first 2 shown]
	v_mul_f64 v[42:43], v[198:199], v[90:91]
	v_fma_f64 v[2:3], v[196:197], v[92:93], -v[42:43]
	buffer_load_dword v193, off, s[0:3], 0 offset:844
	buffer_load_dword v195, off, s[0:3], 0 offset:828
	;; [unrolled: 1-line block ×12, first 2 shown]
	v_mul_f64 v[42:43], v[210:211], v[204:205]
	v_fma_f64 v[204:205], v[208:209], v[206:207], -v[42:43]
	v_mul_f64 v[42:43], v[214:215], v[142:143]
	v_accvgpr_write_b32 a210, v0
	v_fma_f64 v[0:1], v[212:213], v[62:63], -v[42:43]
	buffer_load_dword v207, off, s[0:3], 0 offset:876
	buffer_load_dword v206, off, s[0:3], 0 offset:872
	;; [unrolled: 1-line block ×12, first 2 shown]
	ds_read_b128 v[42:45], v154 offset:1648
	ds_read_b128 v[46:49], v154 offset:1664
	s_waitcnt vmcnt(58) lgkmcnt(2)
	v_mul_f64 v[20:21], v[38:39], v[124:125]
	ds_read_b128 v[50:53], v154 offset:1680
	v_mul_f64 v[62:63], v[244:245], v[220:221]
	v_fma_f64 v[240:241], v[242:243], v[222:223], -v[62:63]
	v_mul_f64 v[62:63], v[248:249], v[224:225]
	v_fma_f64 v[246:247], v[246:247], v[226:227], -v[62:63]
	v_fma_f64 v[248:249], v[250:251], v[116:117], -v[70:71]
	v_mul_f64 v[84:85], v[84:85], v[108:109]
	v_mul_f64 v[88:89], v[88:89], v[96:97]
	v_fma_f64 v[250:251], v[82:83], v[112:113], -v[84:85]
	ds_read_b128 v[82:85], v154 offset:1840
	v_fma_f64 v[252:253], v[86:87], v[100:101], -v[88:89]
	ds_read_b128 v[86:89], v154 offset:1856
	ds_read_b128 v[62:65], v154 offset:1728
	;; [unrolled: 1-line block ×3, first 2 shown]
	s_waitcnt vmcnt(56)
	v_fmac_f64_e32 v[20:21], v[40:41], v[162:163]
	v_add_f64 v[12:13], v[12:13], v[20:21]
	s_waitcnt vmcnt(52) lgkmcnt(6)
	v_mul_f64 v[54:55], v[42:43], v[164:165]
	s_waitcnt vmcnt(50)
	v_fmac_f64_e32 v[54:55], v[44:45], v[166:167]
	v_add_f64 v[12:13], v[12:13], v[54:55]
	s_waitcnt vmcnt(49) lgkmcnt(5)
	v_mul_f64 v[54:55], v[46:47], v[158:159]
	v_mul_f64 v[20:21], v[236:237], v[102:103]
	s_waitcnt vmcnt(48)
	v_fmac_f64_e32 v[54:55], v[48:49], v[160:161]
	v_fma_f64 v[20:21], v[234:235], v[104:105], -v[20:21]
	v_add_f64 v[12:13], v[12:13], v[54:55]
	ds_read_b128 v[234:237], v154 offset:1712
	s_waitcnt vmcnt(46) lgkmcnt(5)
	v_mul_f64 v[54:55], v[50:51], v[168:169]
	s_waitcnt vmcnt(44)
	v_fmac_f64_e32 v[54:55], v[52:53], v[22:23]
	v_add_f64 v[12:13], v[12:13], v[54:55]
	ds_read_b128 v[54:57], v154 offset:1696
	s_waitcnt vmcnt(42) lgkmcnt(0)
	v_mul_f64 v[66:67], v[54:55], v[174:175]
	s_waitcnt vmcnt(40)
	v_fmac_f64_e32 v[66:67], v[56:57], v[176:177]
	v_add_f64 v[12:13], v[12:13], v[66:67]
	s_waitcnt vmcnt(36)
	v_mul_f64 v[66:67], v[234:235], v[180:181]
	s_waitcnt vmcnt(34)
	v_fmac_f64_e32 v[66:67], v[236:237], v[182:183]
	v_add_f64 v[12:13], v[12:13], v[66:67]
	v_mul_f64 v[66:67], v[62:63], v[172:173]
	s_waitcnt vmcnt(32)
	v_fmac_f64_e32 v[66:67], v[64:65], v[178:179]
	v_add_f64 v[12:13], v[12:13], v[66:67]
	ds_read_b128 v[66:69], v154 offset:1744
	s_waitcnt vmcnt(25)
	v_mul_f64 v[78:79], v[70:71], v[186:187]
	s_waitcnt vmcnt(24)
	v_fmac_f64_e32 v[78:79], v[72:73], v[188:189]
	s_waitcnt lgkmcnt(0)
	v_mul_f64 v[74:75], v[66:67], v[184:185]
	v_fmac_f64_e32 v[74:75], v[68:69], v[190:191]
	v_add_f64 v[12:13], v[12:13], v[74:75]
	v_mul_f64 v[74:75], v[120:121], v[216:217]
	v_fma_f64 v[118:119], v[118:119], v[218:219], -v[74:75]
	ds_read_b128 v[74:77], v154 offset:1776
	v_add_f64 v[12:13], v[12:13], v[78:79]
	ds_read_b128 v[78:81], v154 offset:1792
	v_fma_f64 v[120:121], v[58:59], v[110:111], -v[60:61]
	ds_read_b128 v[58:61], v154 offset:1808
	s_waitcnt vmcnt(21) lgkmcnt(2)
	v_mul_f64 v[90:91], v[74:75], v[194:195]
	s_waitcnt vmcnt(19)
	v_fmac_f64_e32 v[90:91], v[76:77], v[200:201]
	v_add_f64 v[12:13], v[12:13], v[90:91]
	s_waitcnt vmcnt(18) lgkmcnt(1)
	v_mul_f64 v[90:91], v[78:79], v[192:193]
	s_waitcnt vmcnt(16)
	v_fmac_f64_e32 v[90:91], v[80:81], v[198:199]
	v_add_f64 v[12:13], v[12:13], v[90:91]
	ds_read_b128 v[90:93], v154 offset:1824
	s_waitcnt vmcnt(14) lgkmcnt(1)
	v_mul_f64 v[98:99], v[58:59], v[196:197]
	buffer_load_dword v217, off, s[0:3], 0 offset:924
	buffer_load_dword v216, off, s[0:3], 0 offset:920
	;; [unrolled: 1-line block ×4, first 2 shown]
	s_waitcnt vmcnt(16)
	v_fmac_f64_e32 v[98:99], v[60:61], v[202:203]
	v_add_f64 v[12:13], v[12:13], v[98:99]
	ds_read_b128 v[98:101], v154 offset:1872
	buffer_load_dword v220, off, s[0:3], 0 offset:936
	buffer_load_dword v221, off, s[0:3], 0 offset:940
	buffer_load_dword v222, off, s[0:3], 0 offset:928
	buffer_load_dword v223, off, s[0:3], 0 offset:932
	ds_read_b128 v[102:105], v154 offset:1888
	buffer_load_dword v225, off, s[0:3], 0 offset:956
	buffer_load_dword v224, off, s[0:3], 0 offset:952
	buffer_load_dword v227, off, s[0:3], 0 offset:948
	buffer_load_dword v226, off, s[0:3], 0 offset:944
	ds_read_b128 v[106:109], v154 offset:1904
	buffer_load_dword v228, off, s[0:3], 0 offset:968
	buffer_load_dword v229, off, s[0:3], 0 offset:972
	buffer_load_dword v230, off, s[0:3], 0 offset:960
	buffer_load_dword v231, off, s[0:3], 0 offset:964
	ds_read_b128 v[110:113], v154 offset:1920
	buffer_load_dword v243, off, s[0:3], 0 offset:988
	buffer_load_dword v242, off, s[0:3], 0 offset:984
	buffer_load_dword v245, off, s[0:3], 0 offset:980
	buffer_load_dword v244, off, s[0:3], 0 offset:976
	s_waitcnt vmcnt(30) lgkmcnt(4)
	v_mul_f64 v[96:97], v[90:91], v[206:207]
	s_waitcnt vmcnt(28)
	v_fmac_f64_e32 v[96:97], v[92:93], v[208:209]
	v_add_f64 v[12:13], v[12:13], v[96:97]
	s_waitcnt vmcnt(25)
	v_mul_f64 v[96:97], v[82:83], v[212:213]
	s_waitcnt vmcnt(23)
	v_fmac_f64_e32 v[96:97], v[84:85], v[214:215]
	v_add_f64 v[12:13], v[12:13], v[96:97]
	s_waitcnt vmcnt(21)
	v_mul_f64 v[96:97], v[86:87], v[142:143]
	s_waitcnt vmcnt(20)
	v_fmac_f64_e32 v[96:97], v[88:89], v[210:211]
	v_add_f64 v[12:13], v[12:13], v[96:97]
	ds_read_b128 v[114:117], v154 offset:1936
	s_waitcnt vmcnt(18) lgkmcnt(4)
	v_mul_f64 v[96:97], v[98:99], v[216:217]
	s_waitcnt vmcnt(16)
	v_fmac_f64_e32 v[96:97], v[100:101], v[218:219]
	v_add_f64 v[12:13], v[12:13], v[96:97]
	s_waitcnt vmcnt(14) lgkmcnt(3)
	v_mul_f64 v[96:97], v[102:103], v[220:221]
	s_waitcnt vmcnt(12)
	v_fmac_f64_e32 v[96:97], v[104:105], v[222:223]
	v_add_f64 v[12:13], v[12:13], v[96:97]
	;; [unrolled: 5-line block ×5, first 2 shown]
	v_add_f64 v[96:97], v[122:123], 0
	v_add_f64 v[18:19], v[96:97], v[18:19]
	;; [unrolled: 1-line block ×19, first 2 shown]
	buffer_load_dword v248, off, s[0:3], 0 offset:144
	buffer_load_dword v249, off, s[0:3], 0 offset:148
	;; [unrolled: 1-line block ×4, first 2 shown]
	v_accvgpr_read_b32 v4, a184
	v_add_f64 v[0:1], v[0:1], v[118:119]
	v_accvgpr_read_b32 v6, a186
	v_accvgpr_read_b32 v7, a187
	v_add_f64 v[118:119], v[0:1], v[120:121]
	v_mul_f64 v[2:3], v[6:7], v[156:157]
	v_accvgpr_read_b32 v6, a188
	v_add_f64 v[0:1], v[118:119], v[250:251]
	v_accvgpr_read_b32 v5, a185
	v_accvgpr_read_b32 v7, a189
	v_add_f64 v[0:1], v[0:1], v[252:253]
	v_fma_f64 v[2:3], v[4:5], v[6:7], -v[2:3]
	v_add_f64 v[0:1], v[0:1], v[2:3]
	v_accvgpr_read_b32 v2, a190
	v_accvgpr_read_b32 v3, a191
	v_accvgpr_read_b32 v4, a192
	v_mul_f64 v[2:3], v[140:141], v[2:3]
	v_accvgpr_read_b32 v5, a193
	v_fma_f64 v[2:3], v[138:139], v[4:5], -v[2:3]
	v_add_f64 v[0:1], v[0:1], v[2:3]
	v_accvgpr_read_b32 v2, a194
	v_accvgpr_read_b32 v3, a195
	v_accvgpr_read_b32 v4, a196
	v_mul_f64 v[2:3], v[136:137], v[2:3]
	v_accvgpr_read_b32 v5, a197
	;; [unrolled: 7-line block ×5, first 2 shown]
	v_fma_f64 v[2:3], v[148:149], v[4:5], -v[2:3]
	v_add_f64 v[0:1], v[0:1], v[2:3]
	v_accvgpr_read_b32 v2, a210
	v_accvgpr_read_b32 v3, a211
	v_mul_f64 v[2:3], v[28:29], v[2:3]
	v_fma_f64 v[2:3], v[26:27], v[146:147], -v[2:3]
	v_add_f64 v[0:1], v[0:1], v[2:3]
	v_mul_f64 v[2:3], v[32:33], v[232:233]
	v_fma_f64 v[2:3], v[30:31], v[152:153], -v[2:3]
	v_add_f64 v[0:1], v[0:1], v[2:3]
	;; [unrolled: 3-line block ×23, first 2 shown]
	s_waitcnt vmcnt(2)
	v_add_f64 v[0:1], v[248:249], -v[0:1]
	s_waitcnt vmcnt(0)
	v_add_f64 v[2:3], v[246:247], -v[12:13]
	buffer_store_dword v1, off, s[0:3], 0 offset:148
	buffer_store_dword v0, off, s[0:3], 0 offset:144
	;; [unrolled: 1-line block ×4, first 2 shown]
	s_and_saveexec_b64 s[4:5], vcc
	s_cbranch_execz .LBB124_377
; %bb.376:
	v_accvgpr_read_b32 v0, a175
	buffer_load_dword v2, v0, s[0:3], 0 offen
	buffer_load_dword v3, v0, s[0:3], 0 offen offset:4
	buffer_load_dword v4, v0, s[0:3], 0 offen offset:8
	;; [unrolled: 1-line block ×3, first 2 shown]
	v_mov_b32_e32 v0, 0
	v_accvgpr_read_b32 v1, a183
	buffer_store_dword v0, off, s[0:3], 0 offset:128
	buffer_store_dword v0, off, s[0:3], 0 offset:132
	;; [unrolled: 1-line block ×4, first 2 shown]
	s_waitcnt vmcnt(4)
	ds_write_b128 v1, v[2:5]
.LBB124_377:
	s_or_b64 exec, exec, s[4:5]
	s_waitcnt lgkmcnt(0)
	; wave barrier
	s_waitcnt lgkmcnt(0)
	buffer_load_dword v130, off, s[0:3], 0 offset:144
	buffer_load_dword v131, off, s[0:3], 0 offset:148
	;; [unrolled: 1-line block ×36, first 2 shown]
	v_mov_b32_e32 v52, 0
	buffer_load_dword v55, off, s[0:3], 0 offset:316
	buffer_load_dword v54, off, s[0:3], 0 offset:312
	buffer_load_dword v57, off, s[0:3], 0 offset:308
	buffer_load_dword v56, off, s[0:3], 0 offset:304
	buffer_load_dword v59, off, s[0:3], 0 offset:300
	buffer_load_dword v58, off, s[0:3], 0 offset:296
	buffer_load_dword v61, off, s[0:3], 0 offset:292
	buffer_load_dword v60, off, s[0:3], 0 offset:288
	buffer_load_dword v65, off, s[0:3], 0 offset:348
	buffer_load_dword v64, off, s[0:3], 0 offset:344
	buffer_load_dword v67, off, s[0:3], 0 offset:340
	buffer_load_dword v66, off, s[0:3], 0 offset:336
	buffer_load_dword v97, off, s[0:3], 0 offset:332
	buffer_load_dword v96, off, s[0:3], 0 offset:328
	buffer_load_dword v99, off, s[0:3], 0 offset:324
	buffer_load_dword v98, off, s[0:3], 0 offset:320
	buffer_load_dword v63, off, s[0:3], 0 offset:380
	buffer_load_dword v62, off, s[0:3], 0 offset:376
	ds_read_b128 v[22:25], v52 offset:1104
	ds_read_b128 v[110:113], v52 offset:1120
	;; [unrolled: 1-line block ×9, first 2 shown]
	s_waitcnt vmcnt(50) lgkmcnt(8)
	v_mul_f64 v[0:1], v[22:23], v[16:17]
	v_fmac_f64_e32 v[0:1], v[24:25], v[130:131]
	v_add_f64 v[0:1], v[0:1], 0
	v_mul_f64 v[16:17], v[24:25], v[16:17]
	s_waitcnt vmcnt(46) lgkmcnt(7)
	v_mul_f64 v[2:3], v[110:111], v[20:21]
	v_fmac_f64_e32 v[2:3], v[112:113], v[142:143]
	v_add_f64 v[0:1], v[0:1], v[2:3]
	buffer_load_dword v109, off, s[0:3], 0 offset:372
	buffer_load_dword v108, off, s[0:3], 0 offset:368
	;; [unrolled: 1-line block ×40, first 2 shown]
	s_waitcnt vmcnt(62) lgkmcnt(6)
	v_mul_f64 v[4:5], v[114:115], v[26:27]
	s_waitcnt lgkmcnt(4)
	v_mul_f64 v[8:9], v[166:167], v[134:135]
	v_fmac_f64_e32 v[8:9], v[168:169], v[32:33]
	v_fma_f64 v[252:253], v[22:23], v[130:131], -v[16:17]
	v_mul_f64 v[6:7], v[162:163], v[30:31]
	v_mul_f64 v[26:27], v[116:117], v[26:27]
	s_waitcnt lgkmcnt(2)
	v_mul_f64 v[12:13], v[174:175], v[44:45]
	v_mul_f64 v[20:21], v[112:113], v[20:21]
	v_fmac_f64_e32 v[12:13], v[176:177], v[46:47]
	v_fma_f64 v[254:255], v[110:111], v[142:143], -v[20:21]
	v_mul_f64 v[10:11], v[170:171], v[34:35]
	v_mul_f64 v[34:35], v[172:173], v[34:35]
	s_waitcnt lgkmcnt(1)
	v_mul_f64 v[138:139], v[178:179], v[42:43]
	v_mul_f64 v[44:45], v[176:177], v[44:45]
	v_fmac_f64_e32 v[4:5], v[116:117], v[40:41]
	v_add_f64 v[0:1], v[0:1], v[4:5]
	v_fmac_f64_e32 v[6:7], v[164:165], v[38:39]
	v_add_f64 v[0:1], v[0:1], v[6:7]
	v_add_f64 v[0:1], v[0:1], v[8:9]
	v_fmac_f64_e32 v[10:11], v[172:173], v[36:37]
	v_add_f64 v[0:1], v[0:1], v[10:11]
	;; [unrolled: 3-line block ×3, first 2 shown]
	v_fma_f64 v[250:251], v[114:115], v[40:41], -v[26:27]
	v_fma_f64 v[112:113], v[170:171], v[36:37], -v[34:35]
	v_mul_f64 v[42:43], v[180:181], v[42:43]
	v_fma_f64 v[24:25], v[178:179], v[50:51], -v[42:43]
	s_waitcnt vmcnt(58) lgkmcnt(0)
	v_mul_f64 v[42:43], v[184:185], v[48:49]
	s_waitcnt vmcnt(0)
	v_pk_mov_b32 v[4:5], v[2:3], v[2:3] op_sel:[0,1]
	buffer_load_dword v3, off, s[0:3], 0 offset:532
	buffer_load_dword v2, off, s[0:3], 0 offset:528
	v_accvgpr_write_b32 a193, v5
	v_accvgpr_write_b32 a192, v4
	s_waitcnt vmcnt(0)
	v_pk_mov_b32 v[6:7], v[2:3], v[2:3] op_sel:[0,1]
	buffer_load_dword v91, off, s[0:3], 0 offset:524
	buffer_load_dword v90, off, s[0:3], 0 offset:520
	;; [unrolled: 1-line block ×6, first 2 shown]
	v_accvgpr_write_b32 a195, v7
	v_accvgpr_write_b32 a194, v6
	s_waitcnt vmcnt(0)
	v_pk_mov_b32 v[8:9], v[2:3], v[2:3] op_sel:[0,1]
	buffer_load_dword v3, off, s[0:3], 0 offset:564
	buffer_load_dword v2, off, s[0:3], 0 offset:560
	v_accvgpr_write_b32 a205, v9
	v_accvgpr_write_b32 a204, v8
	s_waitcnt vmcnt(0)
	v_pk_mov_b32 v[12:13], v[2:3], v[2:3] op_sel:[0,1]
	buffer_load_dword v3, off, s[0:3], 0 offset:556
	buffer_load_dword v2, off, s[0:3], 0 offset:552
	;; [unrolled: 6-line block ×7, first 2 shown]
	ds_read_b128 v[186:189], v52 offset:1248
	ds_read_b128 v[190:193], v52 offset:1264
	;; [unrolled: 1-line block ×9, first 2 shown]
	buffer_load_dword v19, off, s[0:3], 0 offset:620
	buffer_load_dword v18, off, s[0:3], 0 offset:616
	;; [unrolled: 1-line block ×4, first 2 shown]
	ds_read_b128 v[224:227], v52 offset:1392
	buffer_load_dword v153, off, s[0:3], 0 offset:636
	buffer_load_dword v152, off, s[0:3], 0 offset:632
	;; [unrolled: 1-line block ×12, first 2 shown]
	ds_read_b128 v[228:231], v52 offset:1408
	ds_read_b128 v[234:237], v52 offset:1424
	;; [unrolled: 1-line block ×7, first 2 shown]
	v_accvgpr_write_b32 a209, v127
	v_accvgpr_write_b32 a208, v126
	s_waitcnt lgkmcnt(2)
	v_mul_f64 v[10:11], v[246:247], v[90:91]
	v_fmac_f64_e32 v[10:11], v[248:249], v[92:93]
	s_waitcnt lgkmcnt(1)
	v_accvgpr_write_b32 a187, v139
	v_accvgpr_write_b32 a186, v138
	;; [unrolled: 1-line block ×4, first 2 shown]
	v_mul_f64 v[16:17], v[200:201], v[64:65]
	v_fma_f64 v[16:17], v[198:199], v[66:67], -v[16:17]
	v_mul_f64 v[50:51], v[218:219], v[84:85]
	ds_read_b128 v[156:159], v52 offset:1552
	s_waitcnt lgkmcnt(0)
	v_mul_f64 v[26:27], v[156:157], v[118:119]
	v_fmac_f64_e32 v[26:27], v[158:159], v[120:121]
	s_waitcnt vmcnt(16)
	v_pk_mov_b32 v[128:129], v[2:3], v[2:3] op_sel:[0,1]
	v_mul_f64 v[2:3], v[182:183], v[48:49]
	v_fmac_f64_e32 v[2:3], v[184:185], v[28:29]
	v_add_f64 v[0:1], v[0:1], v[2:3]
	v_mul_f64 v[2:3], v[186:187], v[58:59]
	v_fmac_f64_e32 v[2:3], v[188:189], v[60:61]
	v_add_f64 v[0:1], v[0:1], v[2:3]
	;; [unrolled: 3-line block ×15, first 2 shown]
	v_add_f64 v[0:1], v[0:1], v[10:11]
	v_mul_f64 v[10:11], v[136:137], v[4:5]
	ds_read_b128 v[2:5], v52 offset:1520
	v_fmac_f64_e32 v[10:11], v[138:139], v[6:7]
	v_add_f64 v[0:1], v[0:1], v[10:11]
	v_mul_f64 v[10:11], v[144:145], v[122:123]
	v_accvgpr_write_b32 a191, v147
	v_fmac_f64_e32 v[10:11], v[146:147], v[124:125]
	v_accvgpr_write_b32 a190, v146
	v_accvgpr_write_b32 a189, v145
	v_accvgpr_write_b32 a188, v144
	ds_read_b128 v[144:147], v52 offset:1536
	s_waitcnt lgkmcnt(1)
	v_mul_f64 v[22:23], v[2:3], v[8:9]
	v_add_f64 v[0:1], v[0:1], v[10:11]
	v_fmac_f64_e32 v[22:23], v[4:5], v[12:13]
	v_add_f64 v[0:1], v[0:1], v[22:23]
	s_waitcnt lgkmcnt(0)
	v_mul_f64 v[22:23], v[144:145], v[126:127]
	v_fmac_f64_e32 v[22:23], v[146:147], v[128:129]
	v_add_f64 v[0:1], v[0:1], v[22:23]
	ds_read_b128 v[136:139], v52 offset:1568
	buffer_load_dword v131, off, s[0:3], 0 offset:684
	buffer_load_dword v130, off, s[0:3], 0 offset:680
	v_add_f64 v[0:1], v[0:1], v[26:27]
	v_mul_f64 v[26:27], v[164:165], v[30:31]
	buffer_load_dword v142, off, s[0:3], 0 offset:696
	buffer_load_dword v232, off, s[0:3], 0 offset:688
	v_fma_f64 v[40:41], v[162:163], v[38:39], -v[26:27]
	buffer_load_dword v163, off, s[0:3], 0 offset:676
	buffer_load_dword v162, off, s[0:3], 0 offset:672
	;; [unrolled: 1-line block ×4, first 2 shown]
	v_accvgpr_write_b32 a211, v129
	v_accvgpr_write_b32 a210, v128
	ds_read_b128 v[126:129], v52 offset:1584
	ds_read_b128 v[122:125], v52 offset:1600
	v_mul_f64 v[30:31], v[168:169], v[134:135]
	ds_read_b128 v[118:121], v52 offset:1616
	ds_read_b128 v[34:37], v52 offset:1632
	buffer_load_dword v165, off, s[0:3], 0 offset:716
	buffer_load_dword v164, off, s[0:3], 0 offset:712
	;; [unrolled: 1-line block ×6, first 2 shown]
	v_fma_f64 v[110:111], v[166:167], v[32:33], -v[30:31]
	buffer_load_dword v173, off, s[0:3], 0 offset:724
	buffer_load_dword v172, off, s[0:3], 0 offset:720
	;; [unrolled: 1-line block ×3, first 2 shown]
	v_fma_f64 v[134:135], v[174:175], v[46:47], -v[44:45]
	buffer_load_dword v177, off, s[0:3], 0 offset:748
	buffer_load_dword v176, off, s[0:3], 0 offset:744
	;; [unrolled: 1-line block ×8, first 2 shown]
	v_fma_f64 v[22:23], v[182:183], v[28:29], -v[42:43]
	v_mul_f64 v[42:43], v[188:189], v[58:59]
	v_fma_f64 v[20:21], v[186:187], v[60:61], -v[42:43]
	buffer_load_dword v185, off, s[0:3], 0 offset:780
	buffer_load_dword v184, off, s[0:3], 0 offset:776
	;; [unrolled: 1-line block ×7, first 2 shown]
	s_waitcnt vmcnt(46)
	v_accvgpr_write_b32 a217, v19
	v_mul_f64 v[42:43], v[192:193], v[54:55]
	s_waitcnt lgkmcnt(4)
	v_mul_f64 v[26:27], v[136:137], v[18:19]
	v_accvgpr_write_b32 a216, v18
	v_fma_f64 v[18:19], v[190:191], v[56:57], -v[42:43]
	buffer_load_dword v189, off, s[0:3], 0 offset:812
	buffer_load_dword v188, off, s[0:3], 0 offset:808
	;; [unrolled: 1-line block ×4, first 2 shown]
	s_waitcnt vmcnt(48)
	v_accvgpr_write_b32 a219, v15
	v_mul_f64 v[42:43], v[196:197], v[96:97]
	v_fmac_f64_e32 v[26:27], v[138:139], v[14:15]
	v_accvgpr_write_b32 a218, v14
	v_fma_f64 v[14:15], v[194:195], v[98:99], -v[42:43]
	buffer_load_dword v193, off, s[0:3], 0 offset:828
	buffer_load_dword v192, off, s[0:3], 0 offset:824
	;; [unrolled: 1-line block ×8, first 2 shown]
	v_mul_f64 v[42:43], v[204:205], v[150:151]
	v_fma_f64 v[150:151], v[202:203], v[210:211], -v[42:43]
	buffer_load_dword v203, off, s[0:3], 0 offset:860
	buffer_load_dword v202, off, s[0:3], 0 offset:856
	;; [unrolled: 1-line block ×4, first 2 shown]
	v_mul_f64 v[42:43], v[208:209], v[62:63]
	v_fma_f64 v[12:13], v[206:207], v[108:109], -v[42:43]
	buffer_load_dword v200, off, s[0:3], 0 offset:888
	buffer_load_dword v209, off, s[0:3], 0 offset:876
	;; [unrolled: 1-line block ×8, first 2 shown]
	v_mul_f64 v[48:49], v[214:215], v[104:105]
	ds_read_b128 v[42:45], v52 offset:1648
	v_fma_f64 v[10:11], v[212:213], v[106:107], -v[48:49]
	buffer_load_dword v213, off, s[0:3], 0 offset:908
	buffer_load_dword v212, off, s[0:3], 0 offset:904
	;; [unrolled: 1-line block ×4, first 2 shown]
	s_waitcnt vmcnt(62) lgkmcnt(4)
	v_mul_f64 v[38:39], v[126:127], v[152:153]
	v_add_f64 v[0:1], v[0:1], v[26:27]
	v_fmac_f64_e32 v[38:39], v[128:129], v[154:155]
	v_add_f64 v[0:1], v[0:1], v[38:39]
	s_waitcnt lgkmcnt(3)
	v_mul_f64 v[38:39], v[122:123], v[148:149]
	v_fmac_f64_e32 v[38:39], v[124:125], v[132:133]
	v_add_f64 v[0:1], v[0:1], v[38:39]
	s_waitcnt lgkmcnt(2)
	v_mul_f64 v[38:39], v[118:119], v[140:141]
	s_waitcnt vmcnt(60)
	v_fmac_f64_e32 v[38:39], v[120:121], v[160:161]
	v_add_f64 v[0:1], v[0:1], v[38:39]
	ds_read_b128 v[30:33], v52 offset:1680
	v_mul_f64 v[62:63], v[226:227], v[68:69]
	v_fma_f64 v[6:7], v[224:225], v[70:71], -v[62:63]
	ds_read_b128 v[62:65], v52 offset:1728
	v_accvgpr_write_b32 a203, v5
	v_accvgpr_write_b32 a202, v4
	;; [unrolled: 1-line block ×4, first 2 shown]
	v_mul_f64 v[78:79], v[240:241], v[78:79]
	v_fma_f64 v[2:3], v[238:239], v[80:81], -v[78:79]
	ds_read_b128 v[78:81], v52 offset:1792
	v_fma_f64 v[216:217], v[216:217], v[94:95], -v[50:51]
	s_waitcnt vmcnt(58) lgkmcnt(4)
	v_mul_f64 v[46:47], v[34:35], v[130:131]
	s_waitcnt vmcnt(54)
	v_fmac_f64_e32 v[46:47], v[36:37], v[162:163]
	v_add_f64 v[0:1], v[0:1], v[46:47]
	s_waitcnt vmcnt(53) lgkmcnt(3)
	v_mul_f64 v[46:47], v[42:43], v[142:143]
	s_waitcnt vmcnt(52)
	v_fmac_f64_e32 v[46:47], v[44:45], v[232:233]
	v_add_f64 v[0:1], v[0:1], v[46:47]
	ds_read_b128 v[46:49], v52 offset:1664
	s_waitcnt vmcnt(50) lgkmcnt(0)
	v_mul_f64 v[54:55], v[46:47], v[164:165]
	s_waitcnt vmcnt(48)
	v_fmac_f64_e32 v[54:55], v[48:49], v[170:171]
	v_add_f64 v[0:1], v[0:1], v[54:55]
	v_mul_f64 v[54:55], v[222:223], v[100:101]
	v_fma_f64 v[8:9], v[220:221], v[102:103], -v[54:55]
	ds_read_b128 v[54:57], v52 offset:1696
	s_waitcnt vmcnt(46)
	v_mul_f64 v[58:59], v[30:31], v[168:169]
	s_waitcnt vmcnt(44)
	v_fmac_f64_e32 v[58:59], v[32:33], v[172:173]
	v_add_f64 v[0:1], v[0:1], v[58:59]
	ds_read_b128 v[58:61], v52 offset:1712
	s_waitcnt vmcnt(41) lgkmcnt(1)
	v_mul_f64 v[66:67], v[54:55], v[176:177]
	s_waitcnt vmcnt(39)
	v_fmac_f64_e32 v[66:67], v[56:57], v[180:181]
	v_add_f64 v[0:1], v[0:1], v[66:67]
	v_mul_f64 v[66:67], v[230:231], v[72:73]
	v_fma_f64 v[4:5], v[228:229], v[82:83], -v[66:67]
	ds_read_b128 v[66:69], v52 offset:1744
	s_waitcnt vmcnt(38) lgkmcnt(1)
	v_mul_f64 v[70:71], v[58:59], v[166:167]
	s_waitcnt vmcnt(36)
	v_fmac_f64_e32 v[70:71], v[60:61], v[178:179]
	s_waitcnt vmcnt(33)
	v_mul_f64 v[26:27], v[62:63], v[184:185]
	v_add_f64 v[0:1], v[0:1], v[70:71]
	s_waitcnt vmcnt(31)
	v_fmac_f64_e32 v[26:27], v[64:65], v[186:187]
	v_add_f64 v[0:1], v[0:1], v[26:27]
	s_waitcnt vmcnt(29) lgkmcnt(0)
	v_mul_f64 v[26:27], v[66:67], v[174:175]
	s_waitcnt vmcnt(28)
	v_fmac_f64_e32 v[26:27], v[68:69], v[182:183]
	v_add_f64 v[0:1], v[0:1], v[26:27]
	ds_read_b128 v[70:73], v52 offset:1760
	v_mul_f64 v[26:27], v[236:237], v[74:75]
	v_fma_f64 v[26:27], v[234:235], v[76:77], -v[26:27]
	ds_read_b128 v[74:77], v52 offset:1776
	s_waitcnt vmcnt(26) lgkmcnt(1)
	v_mul_f64 v[82:83], v[70:71], v[188:189]
	s_waitcnt vmcnt(24)
	v_fmac_f64_e32 v[82:83], v[72:73], v[190:191]
	v_add_f64 v[0:1], v[0:1], v[82:83]
	s_waitcnt vmcnt(22) lgkmcnt(0)
	v_mul_f64 v[38:39], v[74:75], v[192:193]
	s_waitcnt vmcnt(20)
	v_fmac_f64_e32 v[38:39], v[76:77], v[196:197]
	v_add_f64 v[0:1], v[0:1], v[38:39]
	ds_read_b128 v[82:85], v52 offset:1808
	s_waitcnt vmcnt(18)
	v_mul_f64 v[38:39], v[78:79], v[194:195]
	s_waitcnt vmcnt(16)
	v_fmac_f64_e32 v[38:39], v[80:81], v[198:199]
	v_add_f64 v[38:39], v[0:1], v[38:39]
	v_mul_f64 v[0:1], v[244:245], v[86:87]
	v_fma_f64 v[240:241], v[242:243], v[88:89], -v[0:1]
	ds_read_b128 v[86:89], v52 offset:1824
	v_mul_f64 v[0:1], v[248:249], v[90:91]
	v_fma_f64 v[0:1], v[246:247], v[92:93], -v[0:1]
	ds_read_b128 v[90:93], v52 offset:1840
	s_waitcnt vmcnt(14) lgkmcnt(2)
	v_mul_f64 v[94:95], v[82:83], v[202:203]
	s_waitcnt vmcnt(12)
	v_fmac_f64_e32 v[94:95], v[84:85], v[204:205]
	v_add_f64 v[38:39], v[38:39], v[94:95]
	s_waitcnt vmcnt(9) lgkmcnt(1)
	v_mul_f64 v[94:95], v[86:87], v[208:209]
	s_waitcnt vmcnt(7)
	v_fmac_f64_e32 v[94:95], v[88:89], v[210:211]
	v_add_f64 v[38:39], v[38:39], v[94:95]
	;; [unrolled: 5-line block ×3, first 2 shown]
	ds_read_b128 v[94:97], v52 offset:1856
	buffer_load_dword v238, off, s[0:3], 0 offset:920
	buffer_load_dword v239, off, s[0:3], 0 offset:924
	buffer_load_dword v218, off, s[0:3], 0 offset:912
	buffer_load_dword v219, off, s[0:3], 0 offset:916
	s_waitcnt vmcnt(6) lgkmcnt(0)
	v_mul_f64 v[98:99], v[94:95], v[212:213]
	s_waitcnt vmcnt(4)
	v_fmac_f64_e32 v[98:99], v[96:97], v[214:215]
	v_add_f64 v[38:39], v[38:39], v[98:99]
	ds_read_b128 v[98:101], v52 offset:1872
	buffer_load_dword v221, off, s[0:3], 0 offset:940
	buffer_load_dword v220, off, s[0:3], 0 offset:936
	buffer_load_dword v223, off, s[0:3], 0 offset:932
	buffer_load_dword v222, off, s[0:3], 0 offset:928
	s_waitcnt vmcnt(6) lgkmcnt(0)
	v_mul_f64 v[102:103], v[98:99], v[238:239]
	s_waitcnt vmcnt(4)
	v_fmac_f64_e32 v[102:103], v[100:101], v[218:219]
	v_add_f64 v[38:39], v[38:39], v[102:103]
	;; [unrolled: 10-line block ×3, first 2 shown]
	ds_read_b128 v[106:109], v52 offset:1904
	buffer_load_dword v229, off, s[0:3], 0 offset:972
	buffer_load_dword v228, off, s[0:3], 0 offset:968
	;; [unrolled: 1-line block ×4, first 2 shown]
	ds_read_b128 v[234:237], v52 offset:1920
	buffer_load_dword v242, off, s[0:3], 0 offset:984
	buffer_load_dword v243, off, s[0:3], 0 offset:988
	;; [unrolled: 1-line block ×4, first 2 shown]
	s_waitcnt vmcnt(10) lgkmcnt(1)
	v_mul_f64 v[114:115], v[106:107], v[224:225]
	s_waitcnt vmcnt(8)
	v_fmac_f64_e32 v[114:115], v[108:109], v[226:227]
	v_add_f64 v[38:39], v[38:39], v[114:115]
	s_waitcnt vmcnt(6) lgkmcnt(0)
	v_mul_f64 v[114:115], v[234:235], v[228:229]
	s_waitcnt vmcnt(4)
	v_fmac_f64_e32 v[114:115], v[236:237], v[230:231]
	v_add_f64 v[38:39], v[38:39], v[114:115]
	ds_read_b128 v[114:117], v52 offset:1936
	buffer_load_dword v248, off, s[0:3], 0 offset:128
	buffer_load_dword v249, off, s[0:3], 0 offset:132
	s_waitcnt vmcnt(4) lgkmcnt(0)
	v_mul_f64 v[246:247], v[114:115], v[242:243]
	s_waitcnt vmcnt(2)
	v_fmac_f64_e32 v[246:247], v[116:117], v[244:245]
	v_add_f64 v[38:39], v[38:39], v[246:247]
	v_add_f64 v[246:247], v[252:253], 0
	;; [unrolled: 1-line block ×19, first 2 shown]
	buffer_load_dword v246, off, s[0:3], 0 offset:136
	buffer_load_dword v247, off, s[0:3], 0 offset:140
	v_add_f64 v[6:7], v[8:9], v[6:7]
	v_add_f64 v[4:5], v[6:7], v[4:5]
	;; [unrolled: 1-line block ×5, first 2 shown]
	v_accvgpr_read_b32 v4, a184
	v_accvgpr_read_b32 v2, a192
	;; [unrolled: 1-line block ×5, first 2 shown]
	v_mul_f64 v[2:3], v[6:7], v[2:3]
	v_accvgpr_read_b32 v6, a194
	v_accvgpr_read_b32 v5, a185
	;; [unrolled: 1-line block ×3, first 2 shown]
	v_add_f64 v[0:1], v[252:253], v[0:1]
	v_fma_f64 v[2:3], v[4:5], v[6:7], -v[2:3]
	v_add_f64 v[0:1], v[0:1], v[2:3]
	v_accvgpr_read_b32 v4, a188
	v_accvgpr_read_b32 v2, a196
	;; [unrolled: 1-line block ×5, first 2 shown]
	v_mul_f64 v[2:3], v[6:7], v[2:3]
	v_accvgpr_read_b32 v6, a198
	v_accvgpr_read_b32 v5, a189
	;; [unrolled: 1-line block ×3, first 2 shown]
	v_fma_f64 v[2:3], v[4:5], v[6:7], -v[2:3]
	v_add_f64 v[0:1], v[0:1], v[2:3]
	v_accvgpr_read_b32 v4, a200
	v_accvgpr_read_b32 v2, a204
	;; [unrolled: 1-line block ×5, first 2 shown]
	v_mul_f64 v[2:3], v[6:7], v[2:3]
	v_accvgpr_read_b32 v6, a206
	v_accvgpr_read_b32 v5, a201
	v_accvgpr_read_b32 v7, a207
	v_fma_f64 v[2:3], v[4:5], v[6:7], -v[2:3]
	v_add_f64 v[0:1], v[0:1], v[2:3]
	v_accvgpr_read_b32 v2, a208
	v_accvgpr_read_b32 v3, a209
	v_accvgpr_read_b32 v4, a210
	v_mul_f64 v[2:3], v[146:147], v[2:3]
	v_accvgpr_read_b32 v5, a211
	v_fma_f64 v[2:3], v[144:145], v[4:5], -v[2:3]
	v_add_f64 v[0:1], v[0:1], v[2:3]
	v_accvgpr_read_b32 v2, a212
	v_accvgpr_read_b32 v3, a213
	v_accvgpr_read_b32 v4, a214
	v_mul_f64 v[2:3], v[158:159], v[2:3]
	v_accvgpr_read_b32 v5, a215
	;; [unrolled: 7-line block ×3, first 2 shown]
	v_fma_f64 v[2:3], v[136:137], v[4:5], -v[2:3]
	v_add_f64 v[0:1], v[0:1], v[2:3]
	v_mul_f64 v[2:3], v[128:129], v[152:153]
	v_fma_f64 v[2:3], v[126:127], v[154:155], -v[2:3]
	v_add_f64 v[0:1], v[0:1], v[2:3]
	v_mul_f64 v[2:3], v[124:125], v[148:149]
	;; [unrolled: 3-line block ×23, first 2 shown]
	v_fma_f64 v[2:3], v[114:115], v[244:245], -v[2:3]
	v_add_f64 v[0:1], v[0:1], v[2:3]
	s_waitcnt vmcnt(2)
	v_add_f64 v[0:1], v[248:249], -v[0:1]
	s_waitcnt vmcnt(0)
	v_add_f64 v[2:3], v[246:247], -v[38:39]
	buffer_store_dword v1, off, s[0:3], 0 offset:132
	buffer_store_dword v0, off, s[0:3], 0 offset:128
	;; [unrolled: 1-line block ×4, first 2 shown]
	v_accvgpr_read_b32 v0, a232             ;  Reload Reuse
	v_cmp_lt_u32_e32 vcc, 6, v0
	s_and_saveexec_b64 s[4:5], vcc
	s_cbranch_execz .LBB124_379
; %bb.378:
	v_accvgpr_read_b32 v0, a176
	buffer_load_dword v2, v0, s[0:3], 0 offen
	buffer_load_dword v3, v0, s[0:3], 0 offen offset:4
	buffer_load_dword v4, v0, s[0:3], 0 offen offset:8
	;; [unrolled: 1-line block ×3, first 2 shown]
	v_accvgpr_read_b32 v0, a183
	buffer_store_dword v52, off, s[0:3], 0 offset:112
	buffer_store_dword v52, off, s[0:3], 0 offset:116
	;; [unrolled: 1-line block ×4, first 2 shown]
	s_waitcnt vmcnt(4)
	ds_write_b128 v0, v[2:5]
.LBB124_379:
	s_or_b64 exec, exec, s[4:5]
	s_waitcnt lgkmcnt(0)
	; wave barrier
	s_waitcnt lgkmcnt(0)
	buffer_load_dword v128, off, s[0:3], 0 offset:128
	buffer_load_dword v129, off, s[0:3], 0 offset:132
	;; [unrolled: 1-line block ×42, first 2 shown]
	ds_read_b128 v[14:17], v52 offset:1088
	ds_read_b128 v[26:29], v52 offset:1104
	;; [unrolled: 1-line block ×10, first 2 shown]
	buffer_load_dword v105, off, s[0:3], 0 offset:276
	buffer_load_dword v104, off, s[0:3], 0 offset:272
	ds_read_b128 v[42:45], v52 offset:1248
	buffer_load_dword v65, off, s[0:3], 0 offset:332
	buffer_load_dword v64, off, s[0:3], 0 offset:328
	;; [unrolled: 1-line block ×6, first 2 shown]
	s_waitcnt vmcnt(46) lgkmcnt(10)
	v_mul_f64 v[2:3], v[14:15], v[8:9]
	v_fmac_f64_e32 v[2:3], v[16:17], v[128:129]
	v_add_f64 v[2:3], v[2:3], 0
	v_mul_f64 v[8:9], v[16:17], v[8:9]
	s_waitcnt vmcnt(42) lgkmcnt(9)
	v_mul_f64 v[4:5], v[26:27], v[12:13]
	v_fmac_f64_e32 v[4:5], v[28:29], v[138:139]
	s_waitcnt vmcnt(40) lgkmcnt(8)
	v_mul_f64 v[66:67], v[106:107], v[18:19]
	v_add_f64 v[2:3], v[2:3], v[4:5]
	s_waitcnt vmcnt(38) lgkmcnt(6)
	v_mul_f64 v[72:73], v[114:115], v[30:31]
	v_fma_f64 v[128:129], v[14:15], v[128:129], -v[8:9]
	s_waitcnt vmcnt(36)
	v_fmac_f64_e32 v[72:73], v[116:117], v[32:33]
	v_mul_f64 v[12:13], v[28:29], v[12:13]
	s_waitcnt vmcnt(34)
	v_mul_f64 v[68:69], v[110:111], v[22:23]
	v_mul_f64 v[18:19], v[108:109], v[18:19]
	s_waitcnt vmcnt(32) lgkmcnt(4)
	v_mul_f64 v[76:77], v[164:165], v[38:39]
	v_mul_f64 v[22:23], v[112:113], v[22:23]
	s_waitcnt vmcnt(30)
	v_fmac_f64_e32 v[76:77], v[166:167], v[40:41]
	v_mul_f64 v[30:31], v[116:117], v[30:31]
	s_waitcnt vmcnt(28)
	v_mul_f64 v[74:75], v[156:157], v[34:35]
	v_mul_f64 v[34:35], v[158:159], v[34:35]
	s_waitcnt vmcnt(26) lgkmcnt(2)
	v_mul_f64 v[80:81], v[172:173], v[148:149]
	s_waitcnt vmcnt(23)
	v_mul_f64 v[78:79], v[168:169], v[56:57]
	s_waitcnt vmcnt(21) lgkmcnt(1)
	v_mul_f64 v[142:143], v[46:47], v[50:51]
	s_waitcnt vmcnt(19)
	v_fmac_f64_e32 v[66:67], v[108:109], v[186:187]
	v_add_f64 v[2:3], v[2:3], v[66:67]
	s_waitcnt vmcnt(17)
	v_fmac_f64_e32 v[68:69], v[112:113], v[24:25]
	v_add_f64 v[2:3], v[2:3], v[68:69]
	;; [unrolled: 3-line block ×3, first 2 shown]
	v_add_f64 v[2:3], v[2:3], v[74:75]
	s_waitcnt vmcnt(13)
	v_fmac_f64_e32 v[78:79], v[170:171], v[58:59]
	v_add_f64 v[2:3], v[2:3], v[76:77]
	s_waitcnt vmcnt(12)
	v_fmac_f64_e32 v[80:81], v[174:175], v[54:55]
	v_add_f64 v[2:3], v[2:3], v[78:79]
	v_add_f64 v[2:3], v[2:3], v[80:81]
	buffer_load_dword v151, off, s[0:3], 0 offset:308
	buffer_load_dword v150, off, s[0:3], 0 offset:304
	;; [unrolled: 1-line block ×52, first 2 shown]
	s_waitcnt vmcnt(58)
	v_fmac_f64_e32 v[142:143], v[48:49], v[104:105]
	v_add_f64 v[2:3], v[2:3], v[142:143]
	v_fma_f64 v[186:187], v[106:107], v[186:187], -v[18:19]
	v_fma_f64 v[106:107], v[110:111], v[24:25], -v[22:23]
	;; [unrolled: 1-line block ×4, first 2 shown]
	s_waitcnt vmcnt(0)
	v_pk_mov_b32 v[120:121], v[4:5], v[4:5] op_sel:[0,1]
	buffer_load_dword v5, off, s[0:3], 0 offset:548
	buffer_load_dword v4, off, s[0:3], 0 offset:544
	v_accvgpr_write_b32 a191, v121
	v_accvgpr_write_b32 a190, v120
	s_waitcnt vmcnt(0)
	v_pk_mov_b32 v[122:123], v[4:5], v[4:5] op_sel:[0,1]
	buffer_load_dword v5, off, s[0:3], 0 offset:540
	buffer_load_dword v4, off, s[0:3], 0 offset:536
	v_accvgpr_write_b32 a193, v123
	v_accvgpr_write_b32 a192, v122
	;; [unrolled: 6-line block ×10, first 2 shown]
	s_waitcnt vmcnt(0)
	v_pk_mov_b32 v[184:185], v[4:5], v[4:5] op_sel:[0,1]
	buffer_load_dword v5, off, s[0:3], 0 offset:596
	buffer_load_dword v4, off, s[0:3], 0 offset:592
	ds_read_b128 v[176:179], v52 offset:1264
	ds_read_b128 v[192:195], v52 offset:1280
	;; [unrolled: 1-line block ×7, first 2 shown]
	buffer_load_dword v11, off, s[0:3], 0 offset:636
	buffer_load_dword v10, off, s[0:3], 0 offset:632
	;; [unrolled: 1-line block ×4, first 2 shown]
	ds_read_b128 v[220:223], v52 offset:1376
	v_accvgpr_write_b32 a207, v185
	v_accvgpr_write_b32 a206, v184
	s_waitcnt lgkmcnt(5)
	v_mul_f64 v[24:25], v[198:199], v[250:251]
	v_fma_f64 v[24:25], v[196:197], v[252:253], -v[24:25]
	s_waitcnt vmcnt(4)
	v_pk_mov_b32 v[188:189], v[4:5], v[4:5] op_sel:[0,1]
	v_mul_f64 v[4:5], v[42:43], v[60:61]
	v_fmac_f64_e32 v[4:5], v[44:45], v[62:63]
	v_add_f64 v[2:3], v[2:3], v[4:5]
	v_mul_f64 v[4:5], v[176:177], v[0:1]
	v_fmac_f64_e32 v[4:5], v[178:179], v[150:151]
	v_add_f64 v[2:3], v[2:3], v[4:5]
	v_mul_f64 v[4:5], v[192:193], v[64:65]
	s_waitcnt vmcnt(0)
	v_pk_mov_b32 v[190:191], v[118:119], v[118:119] op_sel:[0,1]
	buffer_load_dword v118, off, s[0:3], 0 offset:648
	buffer_load_dword v119, off, s[0:3], 0 offset:652
	buffer_load_dword v6, off, s[0:3], 0 offset:640
	buffer_load_dword v7, off, s[0:3], 0 offset:644
	ds_read_b128 v[224:227], v52 offset:1392
	ds_read_b128 v[228:231], v52 offset:1408
	;; [unrolled: 1-line block ×4, first 2 shown]
	buffer_load_dword v21, off, s[0:3], 0 offset:668
	buffer_load_dword v20, off, s[0:3], 0 offset:664
	;; [unrolled: 1-line block ×4, first 2 shown]
	v_fmac_f64_e32 v[4:5], v[194:195], v[70:71]
	v_add_f64 v[2:3], v[2:3], v[4:5]
	v_mul_f64 v[4:5], v[196:197], v[250:251]
	v_fmac_f64_e32 v[4:5], v[198:199], v[252:253]
	v_add_f64 v[2:3], v[2:3], v[4:5]
	s_waitcnt lgkmcnt(8)
	v_mul_f64 v[4:5], v[200:201], v[208:209]
	v_fmac_f64_e32 v[4:5], v[202:203], v[210:211]
	v_add_f64 v[2:3], v[2:3], v[4:5]
	s_waitcnt lgkmcnt(7)
	;; [unrolled: 4-line block ×7, first 2 shown]
	v_mul_f64 v[4:5], v[228:229], v[66:67]
	v_fmac_f64_e32 v[4:5], v[230:231], v[68:69]
	ds_read_b128 v[242:245], v52 offset:1456
	ds_read_b128 v[246:249], v52 offset:1472
	v_add_f64 v[2:3], v[2:3], v[4:5]
	s_waitcnt lgkmcnt(3)
	v_mul_f64 v[4:5], v[234:235], v[72:73]
	v_fmac_f64_e32 v[4:5], v[236:237], v[74:75]
	v_add_f64 v[2:3], v[2:3], v[4:5]
	s_waitcnt lgkmcnt(2)
	v_mul_f64 v[4:5], v[238:239], v[78:79]
	v_fmac_f64_e32 v[4:5], v[240:241], v[80:81]
	ds_read_b128 v[134:137], v52 offset:1488
	ds_read_b128 v[152:155], v52 offset:1504
	v_add_f64 v[2:3], v[2:3], v[4:5]
	s_waitcnt lgkmcnt(3)
	v_mul_f64 v[4:5], v[242:243], v[82:83]
	v_fmac_f64_e32 v[4:5], v[244:245], v[84:85]
	v_add_f64 v[2:3], v[2:3], v[4:5]
	s_waitcnt lgkmcnt(2)
	v_mul_f64 v[4:5], v[246:247], v[90:91]
	v_fmac_f64_e32 v[4:5], v[248:249], v[92:93]
	v_add_f64 v[160:161], v[2:3], v[4:5]
	s_waitcnt lgkmcnt(1)
	v_mul_f64 v[4:5], v[134:135], v[130:131]
	v_accvgpr_write_b32 a187, v137
	v_fmac_f64_e32 v[4:5], v[136:137], v[132:133]
	v_accvgpr_write_b32 a186, v136
	v_accvgpr_write_b32 a185, v135
	;; [unrolled: 1-line block ×3, first 2 shown]
	ds_read_b128 v[134:137], v52 offset:1520
	ds_read_b128 v[130:133], v52 offset:1536
	s_waitcnt lgkmcnt(2)
	v_mul_f64 v[14:15], v[152:153], v[120:121]
	v_add_f64 v[4:5], v[160:161], v[4:5]
	v_fma_f64 v[160:161], v[26:27], v[138:139], -v[12:13]
	v_fmac_f64_e32 v[14:15], v[154:155], v[122:123]
	s_waitcnt lgkmcnt(1)
	v_mul_f64 v[26:27], v[134:135], v[144:145]
	ds_read_b128 v[138:141], v52 offset:1552
	ds_read_b128 v[142:145], v52 offset:1568
	v_add_f64 v[4:5], v[4:5], v[14:15]
	v_fmac_f64_e32 v[26:27], v[136:137], v[146:147]
	v_add_f64 v[4:5], v[4:5], v[26:27]
	s_waitcnt lgkmcnt(2)
	v_mul_f64 v[26:27], v[130:131], v[124:125]
	v_fmac_f64_e32 v[26:27], v[132:133], v[126:127]
	ds_read_b128 v[124:127], v52 offset:1584
	ds_read_b128 v[120:123], v52 offset:1600
	v_add_f64 v[4:5], v[4:5], v[26:27]
	s_waitcnt lgkmcnt(3)
	v_mul_f64 v[26:27], v[138:139], v[184:185]
	v_fmac_f64_e32 v[26:27], v[140:141], v[188:189]
	v_add_f64 v[4:5], v[4:5], v[26:27]
	s_waitcnt lgkmcnt(2)
	v_mul_f64 v[26:27], v[142:143], v[162:163]
	v_fmac_f64_e32 v[26:27], v[144:145], v[182:183]
	s_waitcnt lgkmcnt(1)
	v_mul_f64 v[110:111], v[124:125], v[10:11]
	v_add_f64 v[4:5], v[4:5], v[26:27]
	v_fmac_f64_e32 v[110:111], v[126:127], v[190:191]
	ds_read_b128 v[34:37], v52 offset:1616
	s_waitcnt vmcnt(6) lgkmcnt(1)
	v_mul_f64 v[8:9], v[120:121], v[118:119]
	v_add_f64 v[4:5], v[4:5], v[110:111]
	buffer_load_dword v157, off, s[0:3], 0 offset:684
	buffer_load_dword v156, off, s[0:3], 0 offset:680
	s_waitcnt vmcnt(6)
	v_fmac_f64_e32 v[8:9], v[122:123], v[6:7]
	v_add_f64 v[8:9], v[4:5], v[8:9]
	buffer_load_dword v163, off, s[0:3], 0 offset:676
	buffer_load_dword v162, off, s[0:3], 0 offset:672
	v_mul_f64 v[4:5], v[166:167], v[38:39]
	v_fma_f64 v[182:183], v[164:165], v[40:41], -v[4:5]
	buffer_load_dword v158, off, s[0:3], 0 offset:712
	buffer_load_dword v30, off, s[0:3], 0 offset:704
	;; [unrolled: 1-line block ×4, first 2 shown]
	s_waitcnt vmcnt(10) lgkmcnt(0)
	v_mul_f64 v[14:15], v[34:35], v[20:21]
	buffer_load_dword v167, off, s[0:3], 0 offset:692
	buffer_load_dword v166, off, s[0:3], 0 offset:688
	buffer_load_dword v159, off, s[0:3], 0 offset:716
	buffer_load_dword v31, off, s[0:3], 0 offset:708
	s_waitcnt vmcnt(12)
	v_fmac_f64_e32 v[14:15], v[36:37], v[232:233]
	v_accvgpr_write_b32 a213, v11
	v_mul_f64 v[38:39], v[170:171], v[56:57]
	v_add_f64 v[14:15], v[8:9], v[14:15]
	v_mul_f64 v[8:9], v[174:175], v[148:149]
	v_accvgpr_write_b32 a212, v10
	v_fma_f64 v[16:17], v[168:169], v[58:59], -v[38:39]
	ds_read_b128 v[38:41], v52 offset:1632
	v_fma_f64 v[10:11], v[172:173], v[54:55], -v[8:9]
	buffer_load_dword v169, off, s[0:3], 0 offset:732
	buffer_load_dword v168, off, s[0:3], 0 offset:728
	;; [unrolled: 1-line block ×8, first 2 shown]
	v_accvgpr_write_b32 a219, v21
	v_accvgpr_write_b32 a218, v20
	v_mul_f64 v[20:21], v[178:179], v[0:1]
	buffer_load_dword v179, off, s[0:3], 0 offset:764
	buffer_load_dword v178, off, s[0:3], 0 offset:760
	buffer_load_dword v27, off, s[0:3], 0 offset:756
	buffer_load_dword v26, off, s[0:3], 0 offset:752
	buffer_load_dword v23, off, s[0:3], 0 offset:780
	buffer_load_dword v22, off, s[0:3], 0 offset:776
	buffer_load_dword v185, off, s[0:3], 0 offset:772
	buffer_load_dword v184, off, s[0:3], 0 offset:768
	v_accvgpr_write_b32 a209, v189
	v_accvgpr_write_b32 a211, v191
	;; [unrolled: 1-line block ×4, first 2 shown]
	v_fma_f64 v[20:21], v[176:177], v[150:151], -v[20:21]
	buffer_load_dword v176, off, s[0:3], 0 offset:808
	buffer_load_dword v189, off, s[0:3], 0 offset:796
	;; [unrolled: 1-line block ×8, first 2 shown]
	v_mul_f64 v[8:9], v[48:49], v[50:51]
	v_fma_f64 v[12:13], v[46:47], v[104:105], -v[8:9]
	v_mul_f64 v[8:9], v[44:45], v[60:61]
	v_accvgpr_write_b32 a217, v7
	v_fma_f64 v[8:9], v[42:43], v[62:63], -v[8:9]
	v_mul_f64 v[42:43], v[194:195], v[64:65]
	v_accvgpr_write_b32 a216, v6
	v_fma_f64 v[6:7], v[192:193], v[70:71], -v[42:43]
	buffer_load_dword v193, off, s[0:3], 0 offset:828
	buffer_load_dword v192, off, s[0:3], 0 offset:824
	;; [unrolled: 1-line block ×4, first 2 shown]
	v_mul_f64 v[42:43], v[202:203], v[208:209]
	v_fma_f64 v[250:251], v[200:201], v[210:211], -v[42:43]
	buffer_load_dword v198, off, s[0:3], 0 offset:840
	buffer_load_dword v200, off, s[0:3], 0 offset:832
	;; [unrolled: 1-line block ×4, first 2 shown]
	v_mul_f64 v[42:43], v[206:207], v[254:255]
	v_fma_f64 v[180:181], v[204:205], v[180:181], -v[42:43]
	buffer_load_dword v197, off, s[0:3], 0 offset:876
	buffer_load_dword v203, off, s[0:3], 0 offset:860
	;; [unrolled: 1-line block ×12, first 2 shown]
	ds_read_b128 v[42:45], v52 offset:1648
	v_mul_f64 v[46:47], v[214:215], v[96:97]
	v_fma_f64 v[254:255], v[212:213], v[98:99], -v[46:47]
	v_mul_f64 v[46:47], v[218:219], v[100:101]
	buffer_load_dword v212, off, s[0:3], 0 offset:904
	buffer_load_dword v214, off, s[0:3], 0 offset:896
	;; [unrolled: 1-line block ×4, first 2 shown]
	v_fma_f64 v[252:253], v[216:217], v[102:103], -v[46:47]
	ds_read_b128 v[46:49], v52 offset:1664
	ds_read_b128 v[146:149], v52 offset:1680
	v_mul_f64 v[54:55], v[222:223], v[76:77]
	v_fma_f64 v[4:5], v[220:221], v[86:87], -v[54:55]
	ds_read_b128 v[54:57], v52 offset:1696
	ds_read_b128 v[62:65], v52 offset:1728
	v_mul_f64 v[90:91], v[248:249], v[90:91]
	v_accvgpr_write_b32 a215, v119
	v_accvgpr_write_b32 a214, v118
	v_add_f64 v[118:119], v[128:129], 0
	v_add_f64 v[118:119], v[118:119], v[160:161]
	;; [unrolled: 1-line block ×19, first 2 shown]
	v_accvgpr_write_b32 a220, v232
	s_waitcnt vmcnt(58) lgkmcnt(5)
	v_mul_f64 v[50:51], v[38:39], v[156:157]
	v_accvgpr_write_b32 a221, v233
	s_waitcnt vmcnt(56)
	v_fmac_f64_e32 v[50:51], v[40:41], v[162:163]
	v_add_f64 v[14:15], v[14:15], v[50:51]
	s_waitcnt vmcnt(52) lgkmcnt(4)
	v_mul_f64 v[50:51], v[42:43], v[164:165]
	s_waitcnt vmcnt(50)
	v_fmac_f64_e32 v[50:51], v[44:45], v[166:167]
	v_add_f64 v[14:15], v[14:15], v[50:51]
	s_waitcnt vmcnt(49) lgkmcnt(3)
	v_mul_f64 v[50:51], v[46:47], v[158:159]
	;; [unrolled: 5-line block ×3, first 2 shown]
	s_waitcnt vmcnt(44)
	v_fmac_f64_e32 v[58:59], v[148:149], v[172:173]
	v_add_f64 v[14:15], v[14:15], v[58:59]
	v_mul_f64 v[58:59], v[226:227], v[88:89]
	v_fma_f64 v[2:3], v[224:225], v[94:95], -v[58:59]
	ds_read_b128 v[58:61], v52 offset:1712
	s_waitcnt vmcnt(41) lgkmcnt(2)
	v_mul_f64 v[28:29], v[54:55], v[170:171]
	s_waitcnt vmcnt(40)
	v_fmac_f64_e32 v[28:29], v[56:57], v[174:175]
	v_add_f64 v[14:15], v[14:15], v[28:29]
	v_mul_f64 v[28:29], v[230:231], v[66:67]
	s_waitcnt vmcnt(38) lgkmcnt(0)
	v_mul_f64 v[70:71], v[58:59], v[178:179]
	v_fma_f64 v[28:29], v[228:229], v[68:69], -v[28:29]
	ds_read_b128 v[66:69], v52 offset:1744
	s_waitcnt vmcnt(36)
	v_fmac_f64_e32 v[70:71], v[60:61], v[26:27]
	v_add_f64 v[14:15], v[14:15], v[70:71]
	v_mul_f64 v[70:71], v[236:237], v[72:73]
	v_fma_f64 v[0:1], v[234:235], v[74:75], -v[70:71]
	ds_read_b128 v[70:73], v52 offset:1760
	s_waitcnt vmcnt(34)
	v_mul_f64 v[76:77], v[62:63], v[22:23]
	s_waitcnt vmcnt(32)
	v_fmac_f64_e32 v[76:77], v[64:65], v[184:185]
	s_waitcnt vmcnt(29) lgkmcnt(1)
	v_mul_f64 v[32:33], v[66:67], v[188:189]
	v_add_f64 v[14:15], v[14:15], v[76:77]
	ds_read_b128 v[74:77], v52 offset:1776
	s_waitcnt vmcnt(27)
	v_fmac_f64_e32 v[32:33], v[68:69], v[190:191]
	v_add_f64 v[14:15], v[14:15], v[32:33]
	s_waitcnt vmcnt(25) lgkmcnt(1)
	v_mul_f64 v[32:33], v[70:71], v[176:177]
	s_waitcnt vmcnt(24)
	v_fmac_f64_e32 v[32:33], v[72:73], v[150:151]
	v_add_f64 v[14:15], v[14:15], v[32:33]
	v_mul_f64 v[32:33], v[240:241], v[78:79]
	v_fma_f64 v[32:33], v[238:239], v[80:81], -v[32:33]
	ds_read_b128 v[78:81], v52 offset:1792
	s_waitcnt vmcnt(22) lgkmcnt(1)
	v_mul_f64 v[86:87], v[74:75], v[192:193]
	s_waitcnt vmcnt(20)
	v_fmac_f64_e32 v[86:87], v[76:77], v[194:195]
	v_add_f64 v[86:87], v[14:15], v[86:87]
	v_mul_f64 v[14:15], v[244:245], v[82:83]
	v_fma_f64 v[14:15], v[242:243], v[84:85], -v[14:15]
	ds_read_b128 v[82:85], v52 offset:1808
	s_waitcnt vmcnt(17) lgkmcnt(1)
	v_mul_f64 v[88:89], v[78:79], v[198:199]
	s_waitcnt vmcnt(16)
	v_fmac_f64_e32 v[88:89], v[80:81], v[200:201]
	v_add_f64 v[94:95], v[86:87], v[88:89]
	ds_read_b128 v[86:89], v52 offset:1824
	v_fma_f64 v[238:239], v[246:247], v[92:93], -v[90:91]
	ds_read_b128 v[90:93], v52 offset:1840
	s_waitcnt vmcnt(13) lgkmcnt(2)
	v_mul_f64 v[96:97], v[82:83], v[202:203]
	s_waitcnt vmcnt(11)
	v_fmac_f64_e32 v[96:97], v[84:85], v[208:209]
	v_add_f64 v[94:95], v[94:95], v[96:97]
	s_waitcnt vmcnt(10) lgkmcnt(1)
	v_mul_f64 v[96:97], v[86:87], v[196:197]
	s_waitcnt vmcnt(8)
	v_fmac_f64_e32 v[96:97], v[88:89], v[206:207]
	v_add_f64 v[94:95], v[94:95], v[96:97]
	;; [unrolled: 5-line block ×3, first 2 shown]
	ds_read_b128 v[94:97], v52 offset:1856
	buffer_load_dword v217, off, s[0:3], 0 offset:924
	buffer_load_dword v216, off, s[0:3], 0 offset:920
	;; [unrolled: 1-line block ×4, first 2 shown]
	v_add_f64 v[2:3], v[4:5], v[2:3]
	v_add_f64 v[2:3], v[2:3], v[28:29]
	;; [unrolled: 1-line block ×3, first 2 shown]
	s_waitcnt vmcnt(5) lgkmcnt(0)
	v_mul_f64 v[100:101], v[94:95], v[212:213]
	s_waitcnt vmcnt(4)
	v_fmac_f64_e32 v[100:101], v[96:97], v[214:215]
	v_add_f64 v[102:103], v[98:99], v[100:101]
	ds_read_b128 v[98:101], v52 offset:1872
	buffer_load_dword v220, off, s[0:3], 0 offset:936
	buffer_load_dword v221, off, s[0:3], 0 offset:940
	;; [unrolled: 1-line block ×4, first 2 shown]
	v_accvgpr_read_b32 v4, a184
	v_accvgpr_read_b32 v2, a222
	;; [unrolled: 1-line block ×5, first 2 shown]
	v_add_f64 v[254:255], v[0:1], v[32:33]
	v_mul_f64 v[2:3], v[6:7], v[2:3]
	v_accvgpr_read_b32 v6, a188
	v_add_f64 v[0:1], v[254:255], v[14:15]
	v_accvgpr_read_b32 v5, a185
	v_accvgpr_read_b32 v7, a189
	v_add_f64 v[0:1], v[0:1], v[238:239]
	v_fma_f64 v[2:3], v[4:5], v[6:7], -v[2:3]
	v_add_f64 v[0:1], v[0:1], v[2:3]
	v_accvgpr_read_b32 v2, a190
	v_accvgpr_read_b32 v3, a191
	v_accvgpr_read_b32 v4, a192
	v_mul_f64 v[2:3], v[154:155], v[2:3]
	v_accvgpr_read_b32 v5, a193
	v_fma_f64 v[2:3], v[152:153], v[4:5], -v[2:3]
	v_add_f64 v[0:1], v[0:1], v[2:3]
	v_accvgpr_read_b32 v2, a194
	v_accvgpr_read_b32 v3, a195
	v_accvgpr_read_b32 v4, a196
	v_mul_f64 v[2:3], v[136:137], v[2:3]
	v_accvgpr_read_b32 v5, a197
	;; [unrolled: 7-line block ×8, first 2 shown]
	v_fma_f64 v[2:3], v[34:35], v[4:5], -v[2:3]
	s_waitcnt vmcnt(6) lgkmcnt(0)
	v_mul_f64 v[104:105], v[98:99], v[216:217]
	v_add_f64 v[0:1], v[0:1], v[2:3]
	s_waitcnt vmcnt(4)
	v_fmac_f64_e32 v[104:105], v[100:101], v[218:219]
	v_add_f64 v[110:111], v[102:103], v[104:105]
	ds_read_b128 v[102:105], v52 offset:1888
	buffer_load_dword v225, off, s[0:3], 0 offset:956
	buffer_load_dword v224, off, s[0:3], 0 offset:952
	;; [unrolled: 1-line block ×4, first 2 shown]
	ds_read_b128 v[234:237], v52 offset:1904
	buffer_load_dword v228, off, s[0:3], 0 offset:968
	buffer_load_dword v229, off, s[0:3], 0 offset:972
	;; [unrolled: 1-line block ×4, first 2 shown]
	v_mul_f64 v[2:3], v[40:41], v[156:157]
	s_waitcnt vmcnt(10) lgkmcnt(1)
	v_mul_f64 v[112:113], v[102:103], v[220:221]
	s_waitcnt vmcnt(8)
	v_fmac_f64_e32 v[112:113], v[104:105], v[222:223]
	v_add_f64 v[110:111], v[110:111], v[112:113]
	v_fma_f64 v[2:3], v[38:39], v[162:163], -v[2:3]
	v_add_f64 v[0:1], v[0:1], v[2:3]
	v_mul_f64 v[2:3], v[44:45], v[164:165]
	v_fma_f64 v[2:3], v[42:43], v[166:167], -v[2:3]
	v_add_f64 v[0:1], v[0:1], v[2:3]
	v_mul_f64 v[2:3], v[48:49], v[158:159]
	;; [unrolled: 3-line block ×16, first 2 shown]
	v_fma_f64 v[2:3], v[102:103], v[222:223], -v[2:3]
	v_add_f64 v[0:1], v[0:1], v[2:3]
	s_waitcnt vmcnt(6) lgkmcnt(0)
	v_mul_f64 v[112:113], v[234:235], v[224:225]
	v_mul_f64 v[2:3], v[236:237], v[224:225]
	s_waitcnt vmcnt(4)
	v_fmac_f64_e32 v[112:113], v[236:237], v[226:227]
	v_add_f64 v[114:115], v[110:111], v[112:113]
	ds_read_b128 v[110:113], v52 offset:1920
	buffer_load_dword v243, off, s[0:3], 0 offset:988
	buffer_load_dword v242, off, s[0:3], 0 offset:984
	;; [unrolled: 1-line block ×4, first 2 shown]
	v_fma_f64 v[2:3], v[234:235], v[226:227], -v[2:3]
	v_add_f64 v[0:1], v[0:1], v[2:3]
	s_waitcnt vmcnt(6) lgkmcnt(0)
	v_mul_f64 v[116:117], v[110:111], v[228:229]
	s_waitcnt vmcnt(4)
	v_fmac_f64_e32 v[116:117], v[112:113], v[230:231]
	v_add_f64 v[240:241], v[114:115], v[116:117]
	ds_read_b128 v[114:117], v52 offset:1936
	buffer_load_dword v248, off, s[0:3], 0 offset:112
	buffer_load_dword v249, off, s[0:3], 0 offset:116
	;; [unrolled: 1-line block ×4, first 2 shown]
	v_mul_f64 v[2:3], v[112:113], v[228:229]
	v_fma_f64 v[2:3], v[110:111], v[230:231], -v[2:3]
	v_add_f64 v[0:1], v[0:1], v[2:3]
	s_waitcnt vmcnt(6) lgkmcnt(0)
	v_mul_f64 v[2:3], v[116:117], v[242:243]
	v_mul_f64 v[232:233], v[114:115], v[242:243]
	s_waitcnt vmcnt(4)
	v_fma_f64 v[2:3], v[114:115], v[244:245], -v[2:3]
	v_fmac_f64_e32 v[232:233], v[116:117], v[244:245]
	v_add_f64 v[0:1], v[0:1], v[2:3]
	v_add_f64 v[240:241], v[240:241], v[232:233]
	s_waitcnt vmcnt(2)
	v_add_f64 v[0:1], v[248:249], -v[0:1]
	s_waitcnt vmcnt(0)
	v_add_f64 v[2:3], v[246:247], -v[240:241]
	buffer_store_dword v1, off, s[0:3], 0 offset:116
	buffer_store_dword v0, off, s[0:3], 0 offset:112
	buffer_store_dword v3, off, s[0:3], 0 offset:124
	buffer_store_dword v2, off, s[0:3], 0 offset:120
	v_accvgpr_read_b32 v0, a182
	v_cmp_lt_u32_e32 vcc, 5, v0
	s_and_saveexec_b64 s[4:5], vcc
	s_cbranch_execz .LBB124_381
; %bb.380:
	v_accvgpr_read_b32 v0, a177
	buffer_load_dword v2, v0, s[0:3], 0 offen
	buffer_load_dword v3, v0, s[0:3], 0 offen offset:4
	buffer_load_dword v4, v0, s[0:3], 0 offen offset:8
	;; [unrolled: 1-line block ×3, first 2 shown]
	v_mov_b32_e32 v0, 0
	v_accvgpr_read_b32 v1, a183
	buffer_store_dword v0, off, s[0:3], 0 offset:96
	buffer_store_dword v0, off, s[0:3], 0 offset:100
	buffer_store_dword v0, off, s[0:3], 0 offset:104
	buffer_store_dword v0, off, s[0:3], 0 offset:108
	s_waitcnt vmcnt(4)
	ds_write_b128 v1, v[2:5]
.LBB124_381:
	s_or_b64 exec, exec, s[4:5]
	s_waitcnt lgkmcnt(0)
	; wave barrier
	s_waitcnt lgkmcnt(0)
	buffer_load_dword v2, off, s[0:3], 0 offset:112
	buffer_load_dword v3, off, s[0:3], 0 offset:116
	;; [unrolled: 1-line block ×42, first 2 shown]
	v_mov_b32_e32 v32, 0
	buffer_load_dword v83, off, s[0:3], 0 offset:260
	buffer_load_dword v82, off, s[0:3], 0 offset:256
	;; [unrolled: 1-line block ×7, first 2 shown]
	ds_read_b128 v[10:13], v32 offset:1072
	ds_read_b128 v[22:25], v32 offset:1088
	;; [unrolled: 1-line block ×11, first 2 shown]
	s_waitcnt vmcnt(45) lgkmcnt(10)
	v_mul_f64 v[0:1], v[10:11], v[4:5]
	v_fmac_f64_e32 v[0:1], v[12:13], v[2:3]
	v_add_f64 v[0:1], v[0:1], 0
	v_mul_f64 v[4:5], v[12:13], v[4:5]
	s_waitcnt vmcnt(41) lgkmcnt(9)
	v_mul_f64 v[56:57], v[22:23], v[8:9]
	v_fmac_f64_e32 v[56:57], v[24:25], v[136:137]
	s_waitcnt vmcnt(39) lgkmcnt(8)
	v_mul_f64 v[58:59], v[98:99], v[14:15]
	v_add_f64 v[0:1], v[0:1], v[56:57]
	s_waitcnt vmcnt(37) lgkmcnt(6)
	v_mul_f64 v[62:63], v[106:107], v[26:27]
	v_mul_f64 v[14:15], v[100:101], v[14:15]
	s_waitcnt vmcnt(35)
	v_fmac_f64_e32 v[62:63], v[108:109], v[28:29]
	v_mul_f64 v[26:27], v[108:109], v[26:27]
	s_waitcnt vmcnt(33)
	v_mul_f64 v[60:61], v[102:103], v[18:19]
	v_mul_f64 v[18:19], v[104:105], v[18:19]
	s_waitcnt vmcnt(31) lgkmcnt(4)
	v_mul_f64 v[66:67], v[114:115], v[34:35]
	v_mul_f64 v[34:35], v[116:117], v[34:35]
	s_waitcnt vmcnt(29)
	v_fmac_f64_e32 v[66:67], v[116:117], v[36:37]
	s_waitcnt vmcnt(27)
	v_mul_f64 v[64:65], v[110:111], v[236:237]
	s_waitcnt vmcnt(25) lgkmcnt(2)
	v_mul_f64 v[70:71], v[166:167], v[38:39]
	s_waitcnt vmcnt(22)
	v_mul_f64 v[68:69], v[162:163], v[44:45]
	s_waitcnt vmcnt(20) lgkmcnt(1)
	v_mul_f64 v[138:139], v[172:173], v[42:43]
	s_waitcnt vmcnt(18)
	v_fmac_f64_e32 v[58:59], v[100:101], v[16:17]
	v_add_f64 v[0:1], v[0:1], v[58:59]
	s_waitcnt vmcnt(16)
	v_fmac_f64_e32 v[60:61], v[104:105], v[20:21]
	v_add_f64 v[0:1], v[0:1], v[60:61]
	;; [unrolled: 3-line block ×3, first 2 shown]
	v_add_f64 v[0:1], v[0:1], v[64:65]
	s_waitcnt vmcnt(12)
	v_fmac_f64_e32 v[68:69], v[164:165], v[46:47]
	v_add_f64 v[0:1], v[0:1], v[66:67]
	s_waitcnt vmcnt(11)
	v_fmac_f64_e32 v[70:71], v[168:169], v[40:41]
	v_add_f64 v[0:1], v[0:1], v[68:69]
	v_add_f64 v[0:1], v[0:1], v[70:71]
	buffer_load_dword v72, off, s[0:3], 0 offset:296
	buffer_load_dword v151, off, s[0:3], 0 offset:292
	buffer_load_dword v150, off, s[0:3], 0 offset:288
	buffer_load_dword v201, off, s[0:3], 0 offset:348
	buffer_load_dword v200, off, s[0:3], 0 offset:344
	buffer_load_dword v203, off, s[0:3], 0 offset:340
	buffer_load_dword v202, off, s[0:3], 0 offset:336
	buffer_load_dword v205, off, s[0:3], 0 offset:332
	buffer_load_dword v204, off, s[0:3], 0 offset:328
	buffer_load_dword v211, off, s[0:3], 0 offset:324
	buffer_load_dword v210, off, s[0:3], 0 offset:320
	buffer_load_dword v251, off, s[0:3], 0 offset:380
	buffer_load_dword v250, off, s[0:3], 0 offset:376
	buffer_load_dword v97, off, s[0:3], 0 offset:372
	buffer_load_dword v96, off, s[0:3], 0 offset:368
	buffer_load_dword v253, off, s[0:3], 0 offset:364
	buffer_load_dword v252, off, s[0:3], 0 offset:360
	buffer_load_dword v255, off, s[0:3], 0 offset:356
	buffer_load_dword v254, off, s[0:3], 0 offset:352
	buffer_load_dword v57, off, s[0:3], 0 offset:412
	buffer_load_dword v56, off, s[0:3], 0 offset:408
	buffer_load_dword v59, off, s[0:3], 0 offset:404
	buffer_load_dword v58, off, s[0:3], 0 offset:400
	buffer_load_dword v85, off, s[0:3], 0 offset:396
	buffer_load_dword v84, off, s[0:3], 0 offset:392
	buffer_load_dword v95, off, s[0:3], 0 offset:388
	buffer_load_dword v94, off, s[0:3], 0 offset:384
	buffer_load_dword v63, off, s[0:3], 0 offset:444
	buffer_load_dword v62, off, s[0:3], 0 offset:440
	buffer_load_dword v65, off, s[0:3], 0 offset:436
	buffer_load_dword v64, off, s[0:3], 0 offset:432
	buffer_load_dword v61, off, s[0:3], 0 offset:428
	buffer_load_dword v60, off, s[0:3], 0 offset:424
	buffer_load_dword v71, off, s[0:3], 0 offset:420
	buffer_load_dword v70, off, s[0:3], 0 offset:416
	buffer_load_dword v75, off, s[0:3], 0 offset:476
	buffer_load_dword v74, off, s[0:3], 0 offset:472
	buffer_load_dword v77, off, s[0:3], 0 offset:468
	buffer_load_dword v76, off, s[0:3], 0 offset:464
	buffer_load_dword v67, off, s[0:3], 0 offset:460
	buffer_load_dword v66, off, s[0:3], 0 offset:456
	buffer_load_dword v69, off, s[0:3], 0 offset:452
	buffer_load_dword v68, off, s[0:3], 0 offset:448
	buffer_load_dword v87, off, s[0:3], 0 offset:508
	buffer_load_dword v86, off, s[0:3], 0 offset:504
	buffer_load_dword v89, off, s[0:3], 0 offset:500
	buffer_load_dword v88, off, s[0:3], 0 offset:496
	buffer_load_dword v79, off, s[0:3], 0 offset:492
	buffer_load_dword v78, off, s[0:3], 0 offset:488
	buffer_load_dword v81, off, s[0:3], 0 offset:484
	buffer_load_dword v80, off, s[0:3], 0 offset:480
	buffer_load_dword v91, off, s[0:3], 0 offset:540
	buffer_load_dword v90, off, s[0:3], 0 offset:536
	s_waitcnt vmcnt(58)
	v_fmac_f64_e32 v[138:139], v[174:175], v[82:83]
	v_add_f64 v[0:1], v[0:1], v[138:139]
	s_waitcnt lgkmcnt(0)
	v_mul_f64 v[138:139], v[176:177], v[48:49]
	v_fmac_f64_e32 v[138:139], v[178:179], v[50:51]
	v_add_f64 v[0:1], v[0:1], v[138:139]
	v_fma_f64 v[100:101], v[106:107], v[28:29], -v[26:27]
	s_waitcnt vmcnt(0)
	v_pk_mov_b32 v[122:123], v[90:91], v[90:91] op_sel:[0,1]
	buffer_load_dword v91, off, s[0:3], 0 offset:532
	buffer_load_dword v90, off, s[0:3], 0 offset:528
	v_accvgpr_write_b32 a189, v123
	v_accvgpr_write_b32 a188, v122
	s_waitcnt vmcnt(0)
	v_pk_mov_b32 v[124:125], v[90:91], v[90:91] op_sel:[0,1]
	buffer_load_dword v91, off, s[0:3], 0 offset:524
	buffer_load_dword v90, off, s[0:3], 0 offset:520
	;; [unrolled: 1-line block ×6, first 2 shown]
	v_accvgpr_write_b32 a191, v125
	v_accvgpr_write_b32 a190, v124
	s_waitcnt vmcnt(0)
	v_pk_mov_b32 v[126:127], v[118:119], v[118:119] op_sel:[0,1]
	buffer_load_dword v119, off, s[0:3], 0 offset:564
	buffer_load_dword v118, off, s[0:3], 0 offset:560
	v_accvgpr_write_b32 a205, v127
	v_accvgpr_write_b32 a204, v126
	s_waitcnt vmcnt(0)
	v_pk_mov_b32 v[128:129], v[118:119], v[118:119] op_sel:[0,1]
	buffer_load_dword v119, off, s[0:3], 0 offset:556
	buffer_load_dword v118, off, s[0:3], 0 offset:552
	;; [unrolled: 6-line block ×7, first 2 shown]
	ds_read_b128 v[180:183], v32 offset:1248
	ds_read_b128 v[184:187], v32 offset:1264
	ds_read_b128 v[188:191], v32 offset:1280
	ds_read_b128 v[192:195], v32 offset:1296
	ds_read_b128 v[196:199], v32 offset:1312
	ds_read_b128 v[206:209], v32 offset:1328
	ds_read_b128 v[212:215], v32 offset:1344
	s_waitcnt lgkmcnt(6)
	v_mul_f64 v[138:139], v[180:181], v[72:73]
	v_fmac_f64_e32 v[138:139], v[182:183], v[150:151]
	v_add_f64 v[0:1], v[0:1], v[138:139]
	s_waitcnt lgkmcnt(5)
	v_mul_f64 v[138:139], v[184:185], v[54:55]
	v_fmac_f64_e32 v[138:139], v[186:187], v[52:53]
	v_add_f64 v[0:1], v[0:1], v[138:139]
	;; [unrolled: 4-line block ×4, first 2 shown]
	s_waitcnt lgkmcnt(2)
	v_mul_f64 v[138:139], v[196:197], v[252:253]
	v_fmac_f64_e32 v[138:139], v[198:199], v[254:255]
	s_waitcnt lgkmcnt(1)
	v_mul_f64 v[142:143], v[206:207], v[250:251]
	v_add_f64 v[0:1], v[0:1], v[138:139]
	v_fmac_f64_e32 v[142:143], v[208:209], v[96:97]
	s_waitcnt lgkmcnt(0)
	v_mul_f64 v[144:145], v[212:213], v[84:85]
	v_add_f64 v[0:1], v[0:1], v[142:143]
	v_fmac_f64_e32 v[144:145], v[214:215], v[94:95]
	v_add_f64 v[0:1], v[0:1], v[144:145]
	v_fma_f64 v[138:139], v[10:11], v[2:3], -v[4:5]
	v_accvgpr_write_b32 a213, v155
	v_accvgpr_write_b32 a212, v154
	s_waitcnt vmcnt(0)
	v_pk_mov_b32 v[156:157], v[118:119], v[118:119] op_sel:[0,1]
	buffer_load_dword v119, off, s[0:3], 0 offset:620
	buffer_load_dword v118, off, s[0:3], 0 offset:616
	v_accvgpr_write_b32 a215, v157
	v_accvgpr_write_b32 a214, v156
	s_waitcnt vmcnt(0)
	v_pk_mov_b32 v[158:159], v[118:119], v[118:119] op_sel:[0,1]
	buffer_load_dword v119, off, s[0:3], 0 offset:612
	buffer_load_dword v118, off, s[0:3], 0 offset:608
	ds_read_b128 v[216:219], v32 offset:1360
	v_accvgpr_write_b32 a217, v159
	v_accvgpr_write_b32 a216, v158
	s_waitcnt lgkmcnt(0)
	v_mul_f64 v[146:147], v[216:217], v[56:57]
	v_fmac_f64_e32 v[146:147], v[218:219], v[58:59]
	v_add_f64 v[0:1], v[0:1], v[146:147]
	s_waitcnt vmcnt(0)
	v_pk_mov_b32 v[160:161], v[118:119], v[118:119] op_sel:[0,1]
	buffer_load_dword v118, off, s[0:3], 0 offset:632
	buffer_load_dword v119, off, s[0:3], 0 offset:636
	v_accvgpr_write_b32 a219, v161
	v_accvgpr_write_b32 a218, v160
	s_waitcnt vmcnt(0)
	v_pk_mov_b32 v[170:171], v[118:119], v[118:119] op_sel:[0,1]
	buffer_load_dword v118, off, s[0:3], 0 offset:624
	buffer_load_dword v119, off, s[0:3], 0 offset:628
	ds_read_b128 v[220:223], v32 offset:1376
	ds_read_b128 v[224:227], v32 offset:1392
	ds_read_b128 v[228:231], v32 offset:1408
	ds_read_b128 v[232:235], v32 offset:1424
	buffer_load_dword v7, off, s[0:3], 0 offset:652
	buffer_load_dword v6, off, s[0:3], 0 offset:648
	buffer_load_dword v121, off, s[0:3], 0 offset:644
	buffer_load_dword v120, off, s[0:3], 0 offset:640
	s_waitcnt lgkmcnt(3)
	v_mul_f64 v[146:147], v[220:221], v[60:61]
	v_fmac_f64_e32 v[146:147], v[222:223], v[70:71]
	v_add_f64 v[0:1], v[0:1], v[146:147]
	s_waitcnt lgkmcnt(2)
	v_mul_f64 v[146:147], v[224:225], v[62:63]
	ds_read_b128 v[238:241], v32 offset:1440
	ds_read_b128 v[242:245], v32 offset:1456
	v_fmac_f64_e32 v[146:147], v[226:227], v[64:65]
	s_waitcnt lgkmcnt(3)
	v_mul_f64 v[152:153], v[228:229], v[66:67]
	v_add_f64 v[0:1], v[0:1], v[146:147]
	v_fmac_f64_e32 v[152:153], v[230:231], v[68:69]
	v_add_f64 v[0:1], v[0:1], v[152:153]
	s_waitcnt lgkmcnt(2)
	v_mul_f64 v[152:153], v[232:233], v[74:75]
	ds_read_b128 v[246:249], v32 offset:1472
	ds_read_b128 v[10:13], v32 offset:1488
	v_fmac_f64_e32 v[152:153], v[234:235], v[76:77]
	v_add_f64 v[0:1], v[0:1], v[152:153]
	s_waitcnt lgkmcnt(3)
	v_mul_f64 v[152:153], v[238:239], v[78:79]
	v_fmac_f64_e32 v[152:153], v[240:241], v[80:81]
	v_add_f64 v[0:1], v[0:1], v[152:153]
	s_waitcnt lgkmcnt(2)
	v_mul_f64 v[152:153], v[242:243], v[86:87]
	v_fmac_f64_e32 v[152:153], v[244:245], v[88:89]
	s_waitcnt lgkmcnt(1)
	v_mul_f64 v[4:5], v[246:247], v[90:91]
	v_add_f64 v[0:1], v[0:1], v[152:153]
	v_fmac_f64_e32 v[4:5], v[248:249], v[92:93]
	v_add_f64 v[0:1], v[0:1], v[4:5]
	v_mul_f64 v[4:5], v[24:25], v[8:9]
	v_fma_f64 v[136:137], v[22:23], v[136:137], -v[4:5]
	ds_read_b128 v[22:25], v32 offset:1504
	s_waitcnt lgkmcnt(1)
	v_pk_mov_b32 v[2:3], v[10:11], v[10:11] op_sel:[0,1]
	v_pk_mov_b32 v[4:5], v[12:13], v[12:13] op_sel:[0,1]
	v_mul_f64 v[10:11], v[2:3], v[122:123]
	v_fmac_f64_e32 v[10:11], v[4:5], v[124:125]
	v_add_f64 v[0:1], v[0:1], v[10:11]
	ds_read_b128 v[8:11], v32 offset:1520
	v_accvgpr_write_b32 a187, v5
	v_accvgpr_write_b32 a186, v4
	;; [unrolled: 1-line block ×4, first 2 shown]
	s_waitcnt lgkmcnt(1)
	v_pk_mov_b32 v[2:3], v[22:23], v[22:23] op_sel:[0,1]
	ds_read_b128 v[144:147], v32 offset:1536
	ds_read_b128 v[140:143], v32 offset:1552
	v_pk_mov_b32 v[4:5], v[24:25], v[24:25] op_sel:[0,1]
	v_mul_f64 v[22:23], v[2:3], v[132:133]
	v_fmac_f64_e32 v[22:23], v[4:5], v[134:135]
	v_add_f64 v[0:1], v[0:1], v[22:23]
	s_waitcnt lgkmcnt(2)
	v_mul_f64 v[22:23], v[8:9], v[126:127]
	ds_read_b128 v[132:135], v32 offset:1568
	v_fmac_f64_e32 v[22:23], v[10:11], v[128:129]
	v_add_f64 v[0:1], v[0:1], v[22:23]
	s_waitcnt lgkmcnt(2)
	v_mul_f64 v[22:23], v[144:145], v[154:155]
	v_fmac_f64_e32 v[22:23], v[146:147], v[156:157]
	v_add_f64 v[0:1], v[0:1], v[22:23]
	s_waitcnt lgkmcnt(1)
	v_mul_f64 v[22:23], v[140:141], v[130:131]
	ds_read_b128 v[128:131], v32 offset:1584
	ds_read_b128 v[124:127], v32 offset:1600
	buffer_load_dword v123, off, s[0:3], 0 offset:668
	buffer_load_dword v122, off, s[0:3], 0 offset:664
	v_fma_f64 v[152:153], v[98:99], v[16:17], -v[14:15]
	v_fma_f64 v[98:99], v[102:103], v[20:21], -v[18:19]
	s_waitcnt lgkmcnt(2)
	v_mul_f64 v[102:103], v[132:133], v[158:159]
	buffer_load_dword v159, off, s[0:3], 0 offset:660
	buffer_load_dword v158, off, s[0:3], 0 offset:656
	v_fmac_f64_e32 v[102:103], v[134:135], v[160:161]
	buffer_load_dword v154, off, s[0:3], 0 offset:696
	buffer_load_dword v156, off, s[0:3], 0 offset:688
	;; [unrolled: 1-line block ×4, first 2 shown]
	v_accvgpr_write_b32 a203, v11
	v_accvgpr_write_b32 a202, v10
	;; [unrolled: 1-line block ×4, first 2 shown]
	v_mul_f64 v[10:11], v[164:165], v[44:45]
	buffer_load_dword v165, off, s[0:3], 0 offset:676
	buffer_load_dword v164, off, s[0:3], 0 offset:672
	;; [unrolled: 1-line block ×4, first 2 shown]
	v_fmac_f64_e32 v[22:23], v[142:143], v[148:149]
	v_add_f64 v[0:1], v[0:1], v[22:23]
	v_add_f64 v[102:103], v[0:1], v[102:103]
	v_mul_f64 v[0:1], v[112:113], v[236:237]
	v_fma_f64 v[24:25], v[114:115], v[36:37], -v[34:35]
	v_mul_f64 v[34:35], v[168:169], v[38:39]
	v_fma_f64 v[26:27], v[110:111], v[30:31], -v[0:1]
	s_waitcnt lgkmcnt(1)
	v_mul_f64 v[8:9], v[128:129], v[170:171]
	v_pk_mov_b32 v[30:31], v[170:171], v[170:171] op_sel:[0,1]
	v_fma_f64 v[18:19], v[162:163], v[46:47], -v[10:11]
	v_fma_f64 v[14:15], v[166:167], v[40:41], -v[34:35]
	buffer_load_dword v162, off, s[0:3], 0 offset:728
	buffer_load_dword v167, off, s[0:3], 0 offset:716
	buffer_load_dword v166, off, s[0:3], 0 offset:712
	buffer_load_dword v171, off, s[0:3], 0 offset:708
	buffer_load_dword v170, off, s[0:3], 0 offset:704
	buffer_load_dword v168, off, s[0:3], 0 offset:720
	buffer_load_dword v163, off, s[0:3], 0 offset:732
	buffer_load_dword v169, off, s[0:3], 0 offset:724
	v_mul_f64 v[16:17], v[174:175], v[42:43]
	v_mul_f64 v[34:35], v[178:179], v[48:49]
	v_fma_f64 v[16:17], v[172:173], v[82:83], -v[16:17]
	v_fma_f64 v[172:173], v[176:177], v[50:51], -v[34:35]
	v_mul_f64 v[34:35], v[182:183], v[72:73]
	v_fma_f64 v[12:13], v[180:181], v[150:151], -v[34:35]
	buffer_load_dword v151, off, s[0:3], 0 offset:764
	buffer_load_dword v177, off, s[0:3], 0 offset:748
	buffer_load_dword v176, off, s[0:3], 0 offset:744
	buffer_load_dword v179, off, s[0:3], 0 offset:740
	buffer_load_dword v178, off, s[0:3], 0 offset:736
	buffer_load_dword v150, off, s[0:3], 0 offset:760
	buffer_load_dword v181, off, s[0:3], 0 offset:756
	buffer_load_dword v180, off, s[0:3], 0 offset:752
	v_mul_f64 v[34:35], v[186:187], v[54:55]
	v_fma_f64 v[10:11], v[184:185], v[52:53], -v[34:35]
	buffer_load_dword v174, off, s[0:3], 0 offset:792
	buffer_load_dword v185, off, s[0:3], 0 offset:780
	;; [unrolled: 1-line block ×8, first 2 shown]
	v_mul_f64 v[22:23], v[190:191], v[204:205]
	ds_read_b128 v[38:41], v32 offset:1616
	ds_read_b128 v[34:37], v32 offset:1632
	v_fma_f64 v[22:23], v[188:189], v[210:211], -v[22:23]
	buffer_load_dword v189, off, s[0:3], 0 offset:812
	buffer_load_dword v188, off, s[0:3], 0 offset:808
	buffer_load_dword v191, off, s[0:3], 0 offset:804
	buffer_load_dword v190, off, s[0:3], 0 offset:800
	v_mul_f64 v[42:43], v[194:195], v[200:201]
	v_fma_f64 v[200:201], v[192:193], v[202:203], -v[42:43]
	buffer_load_dword v192, off, s[0:3], 0 offset:824
	buffer_load_dword v194, off, s[0:3], 0 offset:816
	;; [unrolled: 1-line block ×4, first 2 shown]
	v_mul_f64 v[42:43], v[198:199], v[252:253]
	v_fma_f64 v[252:253], v[196:197], v[254:255], -v[42:43]
	buffer_load_dword v199, off, s[0:3], 0 offset:844
	buffer_load_dword v198, off, s[0:3], 0 offset:840
	;; [unrolled: 1-line block ×8, first 2 shown]
	v_mul_f64 v[42:43], v[208:209], v[250:251]
	v_fma_f64 v[250:251], v[206:207], v[96:97], -v[42:43]
	buffer_load_dword v196, off, s[0:3], 0 offset:888
	buffer_load_dword v209, off, s[0:3], 0 offset:876
	;; [unrolled: 1-line block ×8, first 2 shown]
	s_waitcnt vmcnt(62)
	v_fmac_f64_e32 v[8:9], v[130:131], v[118:119]
	s_waitcnt lgkmcnt(2)
	v_mul_f64 v[44:45], v[124:125], v[6:7]
	v_add_f64 v[8:9], v[102:103], v[8:9]
	s_waitcnt vmcnt(60)
	v_fmac_f64_e32 v[44:45], v[126:127], v[120:121]
	v_mul_f64 v[42:43], v[214:215], v[84:85]
	v_add_f64 v[8:9], v[8:9], v[44:45]
	v_fma_f64 v[212:213], v[212:213], v[94:95], -v[42:43]
	ds_read_b128 v[42:45], v32 offset:1648
	v_accvgpr_write_b32 a223, v7
	v_mul_f64 v[50:51], v[218:219], v[56:57]
	v_accvgpr_write_b32 a222, v6
	v_fma_f64 v[6:7], v[216:217], v[58:59], -v[50:51]
	ds_read_b128 v[50:53], v32 offset:1680
	ds_read_b128 v[54:57], v32 offset:1696
	v_accvgpr_write_b32 a195, v5
	v_mul_f64 v[62:63], v[226:227], v[62:63]
	v_accvgpr_write_b32 a194, v4
	v_accvgpr_write_b32 a193, v3
	;; [unrolled: 1-line block ×3, first 2 shown]
	v_fma_f64 v[4:5], v[224:225], v[64:65], -v[62:63]
	ds_read_b128 v[62:65], v32 offset:1728
	v_mul_f64 v[66:67], v[230:231], v[66:67]
	v_fma_f64 v[230:231], v[228:229], v[68:69], -v[66:67]
	ds_read_b128 v[66:69], v32 offset:1744
	v_mul_f64 v[78:79], v[240:241], v[78:79]
	;; [unrolled: 3-line block ×3, first 2 shown]
	v_fma_f64 v[0:1], v[242:243], v[88:89], -v[86:87]
	s_waitcnt vmcnt(58) lgkmcnt(7)
	v_mul_f64 v[46:47], v[38:39], v[122:123]
	ds_read_b128 v[86:89], v32 offset:1824
	v_accvgpr_write_b32 a221, v121
	v_accvgpr_write_b32 a220, v120
	s_waitcnt vmcnt(56)
	v_fmac_f64_e32 v[46:47], v[40:41], v[158:159]
	v_add_f64 v[8:9], v[8:9], v[46:47]
	s_waitcnt vmcnt(52) lgkmcnt(7)
	v_mul_f64 v[46:47], v[34:35], v[160:161]
	v_add_f64 v[120:121], v[138:139], 0
	v_pk_mov_b32 v[236:237], v[118:119], v[118:119] op_sel:[0,1]
	v_add_f64 v[118:119], v[120:121], v[136:137]
	s_waitcnt vmcnt(50)
	v_fmac_f64_e32 v[46:47], v[36:37], v[164:165]
	v_add_f64 v[8:9], v[8:9], v[46:47]
	s_waitcnt vmcnt(49) lgkmcnt(6)
	v_mul_f64 v[46:47], v[42:43], v[154:155]
	s_waitcnt vmcnt(48)
	v_fmac_f64_e32 v[46:47], v[44:45], v[156:157]
	v_add_f64 v[8:9], v[8:9], v[46:47]
	ds_read_b128 v[46:49], v32 offset:1664
	v_add_f64 v[118:119], v[118:119], v[152:153]
	v_add_f64 v[98:99], v[118:119], v[98:99]
	;; [unrolled: 1-line block ×7, first 2 shown]
	s_waitcnt vmcnt(45) lgkmcnt(0)
	v_mul_f64 v[20:21], v[46:47], v[166:167]
	v_add_f64 v[14:15], v[14:15], v[16:17]
	s_waitcnt vmcnt(43)
	v_fmac_f64_e32 v[20:21], v[48:49], v[170:171]
	s_waitcnt vmcnt(41)
	v_mul_f64 v[58:59], v[50:51], v[162:163]
	v_add_f64 v[8:9], v[8:9], v[20:21]
	s_waitcnt vmcnt(40)
	v_fmac_f64_e32 v[58:59], v[52:53], v[168:169]
	v_mul_f64 v[20:21], v[222:223], v[60:61]
	v_add_f64 v[8:9], v[8:9], v[58:59]
	ds_read_b128 v[58:61], v32 offset:1712
	s_waitcnt vmcnt(37)
	v_mul_f64 v[28:29], v[54:55], v[176:177]
	s_waitcnt vmcnt(35)
	v_fmac_f64_e32 v[28:29], v[56:57], v[178:179]
	v_add_f64 v[8:9], v[8:9], v[28:29]
	v_fma_f64 v[20:21], v[220:221], v[70:71], -v[20:21]
	s_waitcnt vmcnt(34) lgkmcnt(0)
	v_mul_f64 v[28:29], v[58:59], v[150:151]
	s_waitcnt vmcnt(32)
	v_fmac_f64_e32 v[28:29], v[60:61], v[180:181]
	v_add_f64 v[8:9], v[8:9], v[28:29]
	s_waitcnt vmcnt(29)
	v_mul_f64 v[28:29], v[62:63], v[184:185]
	s_waitcnt vmcnt(27)
	v_fmac_f64_e32 v[28:29], v[64:65], v[186:187]
	v_add_f64 v[8:9], v[8:9], v[28:29]
	ds_read_b128 v[70:73], v32 offset:1760
	s_waitcnt vmcnt(25)
	v_mul_f64 v[28:29], v[66:67], v[174:175]
	s_waitcnt vmcnt(24)
	v_fmac_f64_e32 v[28:29], v[68:69], v[182:183]
	v_add_f64 v[8:9], v[8:9], v[28:29]
	v_mul_f64 v[28:29], v[234:235], v[74:75]
	v_fma_f64 v[28:29], v[232:233], v[76:77], -v[28:29]
	ds_read_b128 v[74:77], v32 offset:1776
	s_waitcnt vmcnt(22) lgkmcnt(1)
	v_mul_f64 v[82:83], v[70:71], v[188:189]
	s_waitcnt vmcnt(20)
	v_fmac_f64_e32 v[82:83], v[72:73], v[190:191]
	v_add_f64 v[8:9], v[8:9], v[82:83]
	s_waitcnt vmcnt(14)
	v_mul_f64 v[94:95], v[78:79], v[198:199]
	s_waitcnt lgkmcnt(0)
	v_mul_f64 v[82:83], v[74:75], v[192:193]
	v_fmac_f64_e32 v[82:83], v[76:77], v[194:195]
	v_add_f64 v[8:9], v[8:9], v[82:83]
	ds_read_b128 v[82:85], v32 offset:1808
	s_waitcnt vmcnt(12)
	v_fmac_f64_e32 v[94:95], v[80:81], v[202:203]
	v_add_f64 v[94:95], v[8:9], v[94:95]
	v_mul_f64 v[8:9], v[248:249], v[90:91]
	v_fma_f64 v[8:9], v[246:247], v[92:93], -v[8:9]
	ds_read_b128 v[90:93], v32 offset:1840
	s_waitcnt vmcnt(10) lgkmcnt(1)
	v_mul_f64 v[96:97], v[82:83], v[254:255]
	s_waitcnt vmcnt(8)
	v_fmac_f64_e32 v[96:97], v[84:85], v[204:205]
	v_add_f64 v[94:95], v[94:95], v[96:97]
	s_waitcnt vmcnt(5)
	v_mul_f64 v[96:97], v[86:87], v[208:209]
	s_waitcnt vmcnt(3)
	v_fmac_f64_e32 v[96:97], v[88:89], v[210:211]
	v_add_f64 v[94:95], v[94:95], v[96:97]
	s_waitcnt vmcnt(1) lgkmcnt(0)
	v_mul_f64 v[96:97], v[90:91], v[196:197]
	buffer_load_dword v239, off, s[0:3], 0 offset:908
	buffer_load_dword v238, off, s[0:3], 0 offset:904
	;; [unrolled: 1-line block ×4, first 2 shown]
	s_waitcnt vmcnt(4)
	v_fmac_f64_e32 v[96:97], v[92:93], v[206:207]
	v_add_f64 v[102:103], v[94:95], v[96:97]
	ds_read_b128 v[94:97], v32 offset:1856
	buffer_load_dword v216, off, s[0:3], 0 offset:920
	buffer_load_dword v217, off, s[0:3], 0 offset:924
	;; [unrolled: 1-line block ×4, first 2 shown]
	ds_read_b128 v[232:235], v32 offset:1872
	buffer_load_dword v221, off, s[0:3], 0 offset:940
	buffer_load_dword v220, off, s[0:3], 0 offset:936
	;; [unrolled: 1-line block ×4, first 2 shown]
	v_add_f64 v[14:15], v[14:15], v[172:173]
	v_add_f64 v[12:13], v[14:15], v[12:13]
	v_add_f64 v[10:11], v[12:13], v[10:11]
	v_add_f64 v[10:11], v[10:11], v[22:23]
	v_add_f64 v[10:11], v[10:11], v[200:201]
	v_add_f64 v[10:11], v[10:11], v[252:253]
	v_add_f64 v[10:11], v[10:11], v[250:251]
	v_add_f64 v[10:11], v[10:11], v[212:213]
	v_add_f64 v[6:7], v[10:11], v[6:7]
	v_add_f64 v[6:7], v[6:7], v[20:21]
	v_add_f64 v[4:5], v[6:7], v[4:5]
	v_add_f64 v[4:5], v[4:5], v[230:231]
	v_add_f64 v[4:5], v[4:5], v[28:29]
	v_add_f64 v[2:3], v[4:5], v[2:3]
	v_add_f64 v[230:231], v[2:3], v[0:1]
	v_accvgpr_read_b32 v4, a184
	v_accvgpr_read_b32 v2, a188
	;; [unrolled: 1-line block ×5, first 2 shown]
	v_mul_f64 v[2:3], v[6:7], v[2:3]
	v_accvgpr_read_b32 v6, a190
	v_accvgpr_read_b32 v5, a185
	;; [unrolled: 1-line block ×3, first 2 shown]
	v_add_f64 v[0:1], v[230:231], v[8:9]
	v_fma_f64 v[2:3], v[4:5], v[6:7], -v[2:3]
	v_add_f64 v[0:1], v[0:1], v[2:3]
	v_accvgpr_read_b32 v4, a192
	v_accvgpr_read_b32 v2, a196
	;; [unrolled: 1-line block ×5, first 2 shown]
	v_mul_f64 v[2:3], v[6:7], v[2:3]
	v_accvgpr_read_b32 v6, a198
	v_accvgpr_read_b32 v5, a193
	v_accvgpr_read_b32 v7, a199
	v_fma_f64 v[2:3], v[4:5], v[6:7], -v[2:3]
	v_add_f64 v[0:1], v[0:1], v[2:3]
	v_accvgpr_read_b32 v4, a200
	v_accvgpr_read_b32 v2, a204
	;; [unrolled: 1-line block ×5, first 2 shown]
	v_mul_f64 v[2:3], v[6:7], v[2:3]
	v_accvgpr_read_b32 v6, a206
	v_accvgpr_read_b32 v5, a201
	;; [unrolled: 1-line block ×3, first 2 shown]
	v_fma_f64 v[2:3], v[4:5], v[6:7], -v[2:3]
	v_add_f64 v[0:1], v[0:1], v[2:3]
	v_accvgpr_read_b32 v2, a212
	v_accvgpr_read_b32 v3, a213
	v_accvgpr_read_b32 v4, a214
	v_mul_f64 v[2:3], v[146:147], v[2:3]
	v_accvgpr_read_b32 v5, a215
	v_fma_f64 v[2:3], v[144:145], v[4:5], -v[2:3]
	v_add_f64 v[0:1], v[0:1], v[2:3]
	v_accvgpr_read_b32 v2, a208
	v_accvgpr_read_b32 v3, a209
	v_accvgpr_read_b32 v4, a210
	v_mul_f64 v[2:3], v[142:143], v[2:3]
	v_accvgpr_read_b32 v5, a211
	v_fma_f64 v[2:3], v[140:141], v[4:5], -v[2:3]
	v_add_f64 v[0:1], v[0:1], v[2:3]
	v_accvgpr_read_b32 v2, a216
	v_accvgpr_read_b32 v3, a217
	v_accvgpr_read_b32 v4, a218
	v_mul_f64 v[2:3], v[134:135], v[2:3]
	v_accvgpr_read_b32 v5, a219
	v_fma_f64 v[2:3], v[132:133], v[4:5], -v[2:3]
	v_add_f64 v[0:1], v[0:1], v[2:3]
	v_mul_f64 v[2:3], v[130:131], v[30:31]
	s_waitcnt vmcnt(10) lgkmcnt(1)
	v_mul_f64 v[104:105], v[94:95], v[238:239]
	v_fma_f64 v[2:3], v[128:129], v[236:237], -v[2:3]
	s_waitcnt vmcnt(8)
	v_fmac_f64_e32 v[104:105], v[96:97], v[214:215]
	v_add_f64 v[102:103], v[102:103], v[104:105]
	s_waitcnt vmcnt(6) lgkmcnt(0)
	v_mul_f64 v[104:105], v[232:233], v[216:217]
	v_add_f64 v[0:1], v[0:1], v[2:3]
	s_waitcnt vmcnt(4)
	v_fmac_f64_e32 v[104:105], v[234:235], v[218:219]
	v_add_f64 v[106:107], v[102:103], v[104:105]
	ds_read_b128 v[102:105], v32 offset:1888
	buffer_load_dword v224, off, s[0:3], 0 offset:952
	buffer_load_dword v225, off, s[0:3], 0 offset:956
	;; [unrolled: 1-line block ×4, first 2 shown]
	v_accvgpr_read_b32 v2, a222
	v_accvgpr_read_b32 v3, a223
	;; [unrolled: 1-line block ×3, first 2 shown]
	s_waitcnt vmcnt(6) lgkmcnt(0)
	v_mul_f64 v[108:109], v[102:103], v[220:221]
	s_waitcnt vmcnt(4)
	v_fmac_f64_e32 v[108:109], v[104:105], v[222:223]
	v_add_f64 v[110:111], v[106:107], v[108:109]
	ds_read_b128 v[106:109], v32 offset:1904
	buffer_load_dword v229, off, s[0:3], 0 offset:972
	buffer_load_dword v228, off, s[0:3], 0 offset:968
	;; [unrolled: 1-line block ×4, first 2 shown]
	v_mul_f64 v[2:3], v[126:127], v[2:3]
	v_accvgpr_read_b32 v5, a221
	v_fma_f64 v[2:3], v[124:125], v[4:5], -v[2:3]
	v_add_f64 v[0:1], v[0:1], v[2:3]
	v_mul_f64 v[2:3], v[40:41], v[122:123]
	v_fma_f64 v[2:3], v[38:39], v[158:159], -v[2:3]
	v_add_f64 v[0:1], v[0:1], v[2:3]
	v_mul_f64 v[2:3], v[36:37], v[160:161]
	;; [unrolled: 3-line block ×18, first 2 shown]
	v_fma_f64 v[2:3], v[102:103], v[222:223], -v[2:3]
	v_add_f64 v[0:1], v[0:1], v[2:3]
	s_waitcnt vmcnt(6) lgkmcnt(0)
	v_mul_f64 v[112:113], v[106:107], v[224:225]
	v_mul_f64 v[2:3], v[108:109], v[224:225]
	s_waitcnt vmcnt(4)
	v_fmac_f64_e32 v[112:113], v[108:109], v[226:227]
	v_add_f64 v[114:115], v[110:111], v[112:113]
	ds_read_b128 v[110:113], v32 offset:1920
	buffer_load_dword v244, off, s[0:3], 0 offset:984
	buffer_load_dword v245, off, s[0:3], 0 offset:988
	;; [unrolled: 1-line block ×4, first 2 shown]
	v_fma_f64 v[2:3], v[106:107], v[226:227], -v[2:3]
	v_add_f64 v[0:1], v[0:1], v[2:3]
	s_waitcnt vmcnt(6) lgkmcnt(0)
	v_mul_f64 v[116:117], v[110:111], v[228:229]
	s_waitcnt vmcnt(4)
	v_fmac_f64_e32 v[116:117], v[112:113], v[240:241]
	v_add_f64 v[148:149], v[114:115], v[116:117]
	ds_read_b128 v[114:117], v32 offset:1936
	buffer_load_dword v250, off, s[0:3], 0 offset:96
	buffer_load_dword v251, off, s[0:3], 0 offset:100
	;; [unrolled: 1-line block ×4, first 2 shown]
	v_mul_f64 v[2:3], v[112:113], v[228:229]
	v_fma_f64 v[2:3], v[110:111], v[240:241], -v[2:3]
	v_add_f64 v[0:1], v[0:1], v[2:3]
	s_waitcnt vmcnt(6) lgkmcnt(0)
	v_mul_f64 v[2:3], v[116:117], v[244:245]
	v_mul_f64 v[242:243], v[114:115], v[244:245]
	s_waitcnt vmcnt(4)
	v_fma_f64 v[2:3], v[114:115], v[246:247], -v[2:3]
	v_fmac_f64_e32 v[242:243], v[116:117], v[246:247]
	v_add_f64 v[0:1], v[0:1], v[2:3]
	v_add_f64 v[242:243], v[148:149], v[242:243]
	s_waitcnt vmcnt(2)
	v_add_f64 v[0:1], v[250:251], -v[0:1]
	s_waitcnt vmcnt(0)
	v_add_f64 v[2:3], v[248:249], -v[242:243]
	buffer_store_dword v1, off, s[0:3], 0 offset:100
	buffer_store_dword v0, off, s[0:3], 0 offset:96
	;; [unrolled: 1-line block ×4, first 2 shown]
	v_accvgpr_read_b32 v0, a182
	v_cmp_lt_u32_e32 vcc, 4, v0
	s_and_saveexec_b64 s[4:5], vcc
	s_cbranch_execz .LBB124_383
; %bb.382:
	v_accvgpr_read_b32 v0, a178
	buffer_load_dword v2, v0, s[0:3], 0 offen
	buffer_load_dword v3, v0, s[0:3], 0 offen offset:4
	buffer_load_dword v4, v0, s[0:3], 0 offen offset:8
	;; [unrolled: 1-line block ×3, first 2 shown]
	v_accvgpr_read_b32 v0, a183
	buffer_store_dword v32, off, s[0:3], 0 offset:80
	buffer_store_dword v32, off, s[0:3], 0 offset:84
	;; [unrolled: 1-line block ×4, first 2 shown]
	s_waitcnt vmcnt(4)
	ds_write_b128 v0, v[2:5]
.LBB124_383:
	s_or_b64 exec, exec, s[4:5]
	s_waitcnt lgkmcnt(0)
	; wave barrier
	s_waitcnt lgkmcnt(0)
	buffer_load_dword v4, off, s[0:3], 0 offset:96
	buffer_load_dword v5, off, s[0:3], 0 offset:100
	;; [unrolled: 1-line block ×42, first 2 shown]
	ds_read_b128 v[102:105], v32 offset:1056
	ds_read_b128 v[106:109], v32 offset:1072
	;; [unrolled: 1-line block ×10, first 2 shown]
	buffer_load_dword v1, off, s[0:3], 0 offset:244
	buffer_load_dword v0, off, s[0:3], 0 offset:240
	ds_read_b128 v[38:41], v32 offset:1216
	buffer_load_dword v87, off, s[0:3], 0 offset:300
	buffer_load_dword v86, off, s[0:3], 0 offset:296
	;; [unrolled: 1-line block ×6, first 2 shown]
	s_waitcnt vmcnt(46) lgkmcnt(10)
	v_mul_f64 v[56:57], v[102:103], v[10:11]
	v_fmac_f64_e32 v[56:57], v[104:105], v[4:5]
	v_add_f64 v[56:57], v[56:57], 0
	v_mul_f64 v[10:11], v[104:105], v[10:11]
	s_waitcnt vmcnt(42) lgkmcnt(9)
	v_mul_f64 v[58:59], v[106:107], v[8:9]
	v_fmac_f64_e32 v[58:59], v[108:109], v[2:3]
	s_waitcnt vmcnt(40) lgkmcnt(8)
	v_mul_f64 v[62:63], v[110:111], v[6:7]
	v_add_f64 v[56:57], v[56:57], v[58:59]
	s_waitcnt vmcnt(38) lgkmcnt(6)
	v_mul_f64 v[66:67], v[150:151], v[232:233]
	v_mul_f64 v[8:9], v[108:109], v[8:9]
	s_waitcnt vmcnt(36)
	v_fmac_f64_e32 v[66:67], v[152:153], v[148:149]
	v_fma_f64 v[234:235], v[106:107], v[2:3], -v[8:9]
	s_waitcnt vmcnt(34)
	v_mul_f64 v[64:65], v[114:115], v[14:15]
	v_mul_f64 v[6:7], v[112:113], v[6:7]
	s_waitcnt vmcnt(32) lgkmcnt(4)
	v_mul_f64 v[70:71], v[160:161], v[26:27]
	v_mul_f64 v[26:27], v[162:163], v[26:27]
	s_waitcnt vmcnt(30)
	v_fmac_f64_e32 v[70:71], v[162:163], v[128:129]
	v_fma_f64 v[162:163], v[160:161], v[128:129], -v[26:27]
	s_waitcnt vmcnt(28)
	v_mul_f64 v[68:69], v[156:157], v[18:19]
	v_mul_f64 v[18:19], v[158:159], v[18:19]
	s_waitcnt vmcnt(26) lgkmcnt(2)
	v_mul_f64 v[74:75], v[42:43], v[46:47]
	s_waitcnt vmcnt(23)
	v_mul_f64 v[72:73], v[164:165], v[28:29]
	s_waitcnt vmcnt(21) lgkmcnt(1)
	v_mul_f64 v[134:135], v[34:35], v[50:51]
	s_waitcnt vmcnt(19)
	v_fmac_f64_e32 v[62:63], v[112:113], v[24:25]
	v_add_f64 v[56:57], v[56:57], v[62:63]
	s_waitcnt vmcnt(17)
	v_fmac_f64_e32 v[64:65], v[116:117], v[22:23]
	v_add_f64 v[56:57], v[56:57], v[64:65]
	;; [unrolled: 3-line block ×3, first 2 shown]
	v_add_f64 v[56:57], v[56:57], v[68:69]
	s_waitcnt vmcnt(13)
	v_fmac_f64_e32 v[72:73], v[166:167], v[12:13]
	v_add_f64 v[56:57], v[56:57], v[70:71]
	s_waitcnt vmcnt(12)
	v_fmac_f64_e32 v[74:75], v[44:45], v[48:49]
	v_add_f64 v[56:57], v[56:57], v[72:73]
	v_add_f64 v[136:137], v[56:57], v[74:75]
	buffer_load_dword v177, off, s[0:3], 0 offset:276
	buffer_load_dword v176, off, s[0:3], 0 offset:272
	buffer_load_dword v201, off, s[0:3], 0 offset:332
	buffer_load_dword v200, off, s[0:3], 0 offset:328
	buffer_load_dword v207, off, s[0:3], 0 offset:324
	buffer_load_dword v206, off, s[0:3], 0 offset:320
	buffer_load_dword v209, off, s[0:3], 0 offset:316
	buffer_load_dword v208, off, s[0:3], 0 offset:312
	buffer_load_dword v211, off, s[0:3], 0 offset:308
	buffer_load_dword v210, off, s[0:3], 0 offset:304
	buffer_load_dword v97, off, s[0:3], 0 offset:364
	buffer_load_dword v96, off, s[0:3], 0 offset:360
	buffer_load_dword v101, off, s[0:3], 0 offset:356
	buffer_load_dword v100, off, s[0:3], 0 offset:352
	buffer_load_dword v247, off, s[0:3], 0 offset:348
	buffer_load_dword v246, off, s[0:3], 0 offset:344
	buffer_load_dword v249, off, s[0:3], 0 offset:340
	buffer_load_dword v248, off, s[0:3], 0 offset:336
	buffer_load_dword v75, off, s[0:3], 0 offset:396
	buffer_load_dword v74, off, s[0:3], 0 offset:392
	buffer_load_dword v77, off, s[0:3], 0 offset:388
	buffer_load_dword v76, off, s[0:3], 0 offset:384
	buffer_load_dword v251, off, s[0:3], 0 offset:380
	buffer_load_dword v250, off, s[0:3], 0 offset:376
	buffer_load_dword v253, off, s[0:3], 0 offset:372
	buffer_load_dword v252, off, s[0:3], 0 offset:368
	buffer_load_dword v57, off, s[0:3], 0 offset:428
	buffer_load_dword v56, off, s[0:3], 0 offset:424
	buffer_load_dword v59, off, s[0:3], 0 offset:420
	buffer_load_dword v58, off, s[0:3], 0 offset:416
	buffer_load_dword v89, off, s[0:3], 0 offset:412
	buffer_load_dword v88, off, s[0:3], 0 offset:408
	buffer_load_dword v95, off, s[0:3], 0 offset:404
	buffer_load_dword v94, off, s[0:3], 0 offset:400
	buffer_load_dword v67, off, s[0:3], 0 offset:460
	buffer_load_dword v66, off, s[0:3], 0 offset:456
	buffer_load_dword v69, off, s[0:3], 0 offset:452
	buffer_load_dword v68, off, s[0:3], 0 offset:448
	buffer_load_dword v63, off, s[0:3], 0 offset:444
	buffer_load_dword v62, off, s[0:3], 0 offset:440
	buffer_load_dword v65, off, s[0:3], 0 offset:436
	buffer_load_dword v64, off, s[0:3], 0 offset:432
	buffer_load_dword v79, off, s[0:3], 0 offset:492
	buffer_load_dword v78, off, s[0:3], 0 offset:488
	buffer_load_dword v81, off, s[0:3], 0 offset:484
	buffer_load_dword v80, off, s[0:3], 0 offset:480
	buffer_load_dword v71, off, s[0:3], 0 offset:476
	buffer_load_dword v70, off, s[0:3], 0 offset:472
	buffer_load_dword v73, off, s[0:3], 0 offset:468
	buffer_load_dword v72, off, s[0:3], 0 offset:464
	buffer_load_dword v91, off, s[0:3], 0 offset:524
	buffer_load_dword v90, off, s[0:3], 0 offset:520
	buffer_load_dword v93, off, s[0:3], 0 offset:516
	buffer_load_dword v92, off, s[0:3], 0 offset:512
	buffer_load_dword v83, off, s[0:3], 0 offset:508
	buffer_load_dword v82, off, s[0:3], 0 offset:504
	buffer_load_dword v85, off, s[0:3], 0 offset:500
	buffer_load_dword v84, off, s[0:3], 0 offset:496
	buffer_load_dword v119, off, s[0:3], 0 offset:556
	buffer_load_dword v118, off, s[0:3], 0 offset:552
	s_waitcnt vmcnt(62)
	v_fmac_f64_e32 v[134:135], v[36:37], v[0:1]
	v_add_f64 v[134:135], v[136:137], v[134:135]
	s_waitcnt lgkmcnt(0)
	v_mul_f64 v[136:137], v[38:39], v[52:53]
	v_fmac_f64_e32 v[136:137], v[40:41], v[54:55]
	v_add_f64 v[134:135], v[134:135], v[136:137]
	v_fma_f64 v[254:255], v[110:111], v[24:25], -v[6:7]
	v_mul_f64 v[36:37], v[36:37], v[50:51]
	v_fma_f64 v[26:27], v[34:35], v[0:1], -v[36:37]
	v_fma_f64 v[156:157], v[156:157], v[20:21], -v[18:19]
	v_mul_f64 v[44:45], v[44:45], v[46:47]
	s_waitcnt vmcnt(0)
	v_pk_mov_b32 v[120:121], v[118:119], v[118:119] op_sel:[0,1]
	buffer_load_dword v119, off, s[0:3], 0 offset:548
	buffer_load_dword v118, off, s[0:3], 0 offset:544
	v_accvgpr_write_b32 a201, v121
	v_accvgpr_write_b32 a200, v120
	s_waitcnt vmcnt(0)
	v_pk_mov_b32 v[122:123], v[118:119], v[118:119] op_sel:[0,1]
	buffer_load_dword v119, off, s[0:3], 0 offset:540
	buffer_load_dword v118, off, s[0:3], 0 offset:536
	v_accvgpr_write_b32 a203, v123
	v_accvgpr_write_b32 a202, v122
	;; [unrolled: 6-line block ×6, first 2 shown]
	s_waitcnt vmcnt(0)
	v_pk_mov_b32 v[144:145], v[118:119], v[118:119] op_sel:[0,1]
	buffer_load_dword v119, off, s[0:3], 0 offset:564
	buffer_load_dword v118, off, s[0:3], 0 offset:560
	ds_read_b128 v[172:175], v32 offset:1232
	ds_read_b128 v[180:183], v32 offset:1248
	;; [unrolled: 1-line block ×9, first 2 shown]
	s_waitcnt lgkmcnt(8)
	v_mul_f64 v[136:137], v[172:173], v[98:99]
	v_fmac_f64_e32 v[136:137], v[174:175], v[176:177]
	v_add_f64 v[134:135], v[134:135], v[136:137]
	s_waitcnt lgkmcnt(7)
	v_mul_f64 v[136:137], v[180:181], v[86:87]
	v_fmac_f64_e32 v[136:137], v[182:183], v[60:61]
	v_add_f64 v[134:135], v[134:135], v[136:137]
	;; [unrolled: 4-line block ×9, first 2 shown]
	v_fma_f64 v[136:137], v[102:103], v[4:5], -v[10:11]
	v_mul_f64 v[10:11], v[116:117], v[14:15]
	v_mul_f64 v[14:15], v[152:153], v[232:233]
	v_fma_f64 v[150:151], v[150:151], v[148:149], -v[14:15]
	v_accvgpr_write_b32 a205, v145
	v_accvgpr_write_b32 a204, v144
	v_fma_f64 v[116:117], v[42:43], v[48:49], -v[44:45]
	v_mul_f64 v[42:43], v[214:215], v[74:75]
	v_mul_f64 v[46:47], v[218:219], v[88:89]
	s_waitcnt vmcnt(0)
	v_pk_mov_b32 v[146:147], v[118:119], v[118:119] op_sel:[0,1]
	buffer_load_dword v119, off, s[0:3], 0 offset:604
	buffer_load_dword v118, off, s[0:3], 0 offset:600
	v_accvgpr_write_b32 a207, v147
	v_accvgpr_write_b32 a206, v146
	s_waitcnt vmcnt(0)
	v_pk_mov_b32 v[170:171], v[118:119], v[118:119] op_sel:[0,1]
	buffer_load_dword v119, off, s[0:3], 0 offset:596
	buffer_load_dword v118, off, s[0:3], 0 offset:592
	ds_read_b128 v[220:223], v32 offset:1376
	buffer_load_dword v16, off, s[0:3], 0 offset:616
	buffer_load_dword v126, off, s[0:3], 0 offset:608
	;; [unrolled: 1-line block ×4, first 2 shown]
	ds_read_b128 v[224:227], v32 offset:1392
	v_accvgpr_write_b32 a213, v171
	v_accvgpr_write_b32 a212, v170
	s_waitcnt lgkmcnt(1)
	v_mul_f64 v[168:169], v[220:221], v[56:57]
	v_fmac_f64_e32 v[168:169], v[222:223], v[58:59]
	v_add_f64 v[154:155], v[154:155], v[168:169]
	s_waitcnt lgkmcnt(0)
	v_mul_f64 v[168:169], v[224:225], v[62:63]
	v_fmac_f64_e32 v[168:169], v[226:227], v[64:65]
	v_add_f64 v[154:155], v[154:155], v[168:169]
	s_waitcnt vmcnt(4)
	v_pk_mov_b32 v[178:179], v[118:119], v[118:119] op_sel:[0,1]
	buffer_load_dword v237, off, s[0:3], 0 offset:652
	buffer_load_dword v31, off, s[0:3], 0 offset:636
	;; [unrolled: 1-line block ×8, first 2 shown]
	ds_read_b128 v[228:231], v32 offset:1408
	ds_read_b128 v[238:241], v32 offset:1424
	;; [unrolled: 1-line block ×6, first 2 shown]
	s_waitcnt lgkmcnt(5)
	v_mul_f64 v[168:169], v[228:229], v[66:67]
	v_fmac_f64_e32 v[168:169], v[230:231], v[68:69]
	v_add_f64 v[154:155], v[154:155], v[168:169]
	s_waitcnt lgkmcnt(4)
	v_mul_f64 v[168:169], v[238:239], v[70:71]
	v_fmac_f64_e32 v[168:169], v[240:241], v[72:73]
	s_waitcnt lgkmcnt(3)
	v_mul_f64 v[4:5], v[242:243], v[78:79]
	v_add_f64 v[154:155], v[154:155], v[168:169]
	v_fmac_f64_e32 v[4:5], v[244:245], v[80:81]
	v_add_f64 v[2:3], v[154:155], v[4:5]
	s_waitcnt lgkmcnt(2)
	v_mul_f64 v[4:5], v[102:103], v[82:83]
	v_fmac_f64_e32 v[4:5], v[104:105], v[84:85]
	v_add_f64 v[2:3], v[2:3], v[4:5]
	s_waitcnt lgkmcnt(1)
	v_mul_f64 v[4:5], v[106:107], v[90:91]
	v_fmac_f64_e32 v[4:5], v[108:109], v[92:93]
	v_add_f64 v[154:155], v[2:3], v[4:5]
	ds_read_b128 v[2:5], v32 offset:1488
	ds_read_b128 v[110:113], v32 offset:1520
	s_waitcnt lgkmcnt(2)
	v_accvgpr_write_b32 a195, v9
	v_accvgpr_write_b32 a194, v8
	;; [unrolled: 1-line block ×3, first 2 shown]
	s_waitcnt lgkmcnt(1)
	v_mul_f64 v[24:25], v[2:3], v[132:133]
	v_fmac_f64_e32 v[24:25], v[4:5], v[142:143]
	v_accvgpr_write_b32 a187, v5
	v_fma_f64 v[132:133], v[114:115], v[22:23], -v[10:11]
	v_mul_f64 v[22:23], v[6:7], v[120:121]
	v_accvgpr_write_b32 a186, v4
	v_accvgpr_write_b32 a185, v3
	;; [unrolled: 1-line block ×3, first 2 shown]
	v_add_f64 v[4:5], v[154:155], v[24:25]
	v_fmac_f64_e32 v[22:23], v[8:9], v[122:123]
	ds_read_b128 v[152:155], v32 offset:1536
	buffer_load_dword v3, off, s[0:3], 0 offset:668
	buffer_load_dword v2, off, s[0:3], 0 offset:664
	;; [unrolled: 1-line block ×4, first 2 shown]
	v_add_f64 v[4:5], v[4:5], v[22:23]
	s_waitcnt lgkmcnt(1)
	v_mul_f64 v[22:23], v[110:111], v[144:145]
	v_fmac_f64_e32 v[22:23], v[112:113], v[146:147]
	ds_read_b128 v[146:149], v32 offset:1552
	ds_read_b128 v[138:141], v32 offset:1568
	v_add_f64 v[4:5], v[4:5], v[22:23]
	s_waitcnt lgkmcnt(2)
	v_mul_f64 v[22:23], v[152:153], v[124:125]
	v_fmac_f64_e32 v[22:23], v[154:155], v[130:131]
	buffer_load_dword v124, off, s[0:3], 0 offset:680
	v_accvgpr_write_b32 a199, v113
	v_add_f64 v[4:5], v[4:5], v[22:23]
	s_waitcnt lgkmcnt(1)
	v_mul_f64 v[22:23], v[146:147], v[170:171]
	ds_read_b128 v[142:145], v32 offset:1584
	ds_read_b128 v[120:123], v32 offset:1600
	buffer_load_dword v160, off, s[0:3], 0 offset:672
	buffer_load_dword v125, off, s[0:3], 0 offset:684
	buffer_load_dword v161, off, s[0:3], 0 offset:676
	v_accvgpr_write_b32 a198, v112
	v_accvgpr_write_b32 a197, v111
	;; [unrolled: 1-line block ×3, first 2 shown]
	v_fmac_f64_e32 v[22:23], v[148:149], v[178:179]
	s_waitcnt vmcnt(17) lgkmcnt(2)
	v_mul_f64 v[110:111], v[138:139], v[16:17]
	v_add_f64 v[4:5], v[4:5], v[22:23]
	s_waitcnt vmcnt(16)
	v_fmac_f64_e32 v[110:111], v[140:141], v[126:127]
	v_add_f64 v[110:111], v[4:5], v[110:111]
	v_mul_f64 v[4:5], v[166:167], v[28:29]
	buffer_load_dword v158, off, s[0:3], 0 offset:712
	v_fma_f64 v[114:115], v[164:165], v[12:13], -v[4:5]
	buffer_load_dword v165, off, s[0:3], 0 offset:700
	buffer_load_dword v164, off, s[0:3], 0 offset:696
	;; [unrolled: 1-line block ×7, first 2 shown]
	v_accvgpr_write_b32 a192, v6
	v_mul_f64 v[8:9], v[40:41], v[52:53]
	v_fma_f64 v[24:25], v[38:39], v[54:55], -v[8:9]
	v_mul_f64 v[38:39], v[174:175], v[98:99]
	ds_read_b128 v[34:37], v32 offset:1616
	buffer_load_dword v169, off, s[0:3], 0 offset:732
	buffer_load_dword v168, off, s[0:3], 0 offset:728
	;; [unrolled: 1-line block ×4, first 2 shown]
	v_fma_f64 v[22:23], v[172:173], v[176:177], -v[38:39]
	buffer_load_dword v173, off, s[0:3], 0 offset:748
	buffer_load_dword v172, off, s[0:3], 0 offset:744
	v_accvgpr_write_b32 a215, v179
	v_accvgpr_write_b32 a214, v178
	buffer_load_dword v177, off, s[0:3], 0 offset:740
	buffer_load_dword v176, off, s[0:3], 0 offset:736
	buffer_load_dword v175, off, s[0:3], 0 offset:764
	buffer_load_dword v174, off, s[0:3], 0 offset:760
	buffer_load_dword v179, off, s[0:3], 0 offset:756
	buffer_load_dword v178, off, s[0:3], 0 offset:752
	v_mul_f64 v[12:13], v[182:183], v[86:87]
	v_accvgpr_write_b32 a217, v17
	v_fma_f64 v[18:19], v[180:181], v[60:61], -v[12:13]
	buffer_load_dword v180, off, s[0:3], 0 offset:776
	v_mul_f64 v[38:39], v[186:187], v[208:209]
	v_accvgpr_write_b32 a216, v16
	v_fma_f64 v[16:17], v[184:185], v[210:211], -v[38:39]
	buffer_load_dword v184, off, s[0:3], 0 offset:768
	buffer_load_dword v181, off, s[0:3], 0 offset:780
	;; [unrolled: 1-line block ×3, first 2 shown]
	v_mul_f64 v[38:39], v[190:191], v[200:201]
	v_fma_f64 v[14:15], v[188:189], v[206:207], -v[38:39]
	buffer_load_dword v182, off, s[0:3], 0 offset:808
	buffer_load_dword v189, off, s[0:3], 0 offset:796
	buffer_load_dword v188, off, s[0:3], 0 offset:792
	buffer_load_dword v191, off, s[0:3], 0 offset:788
	buffer_load_dword v190, off, s[0:3], 0 offset:784
	buffer_load_dword v186, off, s[0:3], 0 offset:800
	buffer_load_dword v183, off, s[0:3], 0 offset:812
	buffer_load_dword v187, off, s[0:3], 0 offset:804
	v_mul_f64 v[40:41], v[194:195], v[246:247]
	v_fma_f64 v[248:249], v[192:193], v[248:249], -v[40:41]
	buffer_load_dword v193, off, s[0:3], 0 offset:828
	buffer_load_dword v192, off, s[0:3], 0 offset:824
	;; [unrolled: 1-line block ×4, first 2 shown]
	v_mul_f64 v[40:41], v[198:199], v[96:97]
	buffer_load_dword v199, off, s[0:3], 0 offset:844
	buffer_load_dword v198, off, s[0:3], 0 offset:840
	;; [unrolled: 1-line block ×4, first 2 shown]
	v_fma_f64 v[12:13], v[196:197], v[100:101], -v[40:41]
	v_mul_f64 v[40:41], v[204:205], v[250:251]
	v_fma_f64 v[250:251], v[202:203], v[252:253], -v[40:41]
	buffer_load_dword v196, off, s[0:3], 0 offset:872
	buffer_load_dword v205, off, s[0:3], 0 offset:860
	;; [unrolled: 1-line block ×12, first 2 shown]
	s_waitcnt vmcnt(62) lgkmcnt(2)
	v_mul_f64 v[112:113], v[142:143], v[30:31]
	v_fmac_f64_e32 v[112:113], v[144:145], v[134:135]
	v_add_f64 v[110:111], v[110:111], v[112:113]
	s_waitcnt lgkmcnt(1)
	v_mul_f64 v[112:113], v[120:121], v[236:237]
	s_waitcnt vmcnt(60)
	v_fmac_f64_e32 v[112:113], v[122:123], v[118:119]
	v_add_f64 v[110:111], v[110:111], v[112:113]
	v_fma_f64 v[10:11], v[212:213], v[76:77], -v[42:43]
	ds_read_b128 v[42:45], v32 offset:1648
	v_fma_f64 v[252:253], v[216:217], v[94:95], -v[46:47]
	ds_read_b128 v[46:49], v32 offset:1664
	v_mul_f64 v[54:55], v[222:223], v[56:57]
	v_fma_f64 v[8:9], v[220:221], v[58:59], -v[54:55]
	ds_read_b128 v[54:57], v32 offset:1696
	v_mul_f64 v[58:59], v[226:227], v[62:63]
	;; [unrolled: 3-line block ×3, first 2 shown]
	v_fma_f64 v[4:5], v[228:229], v[68:69], -v[66:67]
	ds_read_b128 v[66:69], v32 offset:1744
	s_waitcnt vmcnt(58) lgkmcnt(5)
	v_mul_f64 v[38:39], v[34:35], v[2:3]
	v_mul_f64 v[70:71], v[240:241], v[70:71]
	s_waitcnt vmcnt(56)
	v_fmac_f64_e32 v[38:39], v[36:37], v[232:233]
	v_add_f64 v[50:51], v[110:111], v[38:39]
	ds_read_b128 v[38:41], v32 offset:1632
	v_pk_mov_b32 v[130:131], v[2:3], v[2:3] op_sel:[0,1]
	v_fma_f64 v[2:3], v[238:239], v[72:73], -v[70:71]
	ds_read_b128 v[70:73], v32 offset:1760
	v_mul_f64 v[78:79], v[244:245], v[78:79]
	v_fma_f64 v[0:1], v[242:243], v[80:81], -v[78:79]
	ds_read_b128 v[78:81], v32 offset:1792
	v_mul_f64 v[82:83], v[104:105], v[82:83]
	v_fma_f64 v[82:83], v[102:103], v[84:85], -v[82:83]
	v_accvgpr_write_b32 a221, v83
	v_accvgpr_write_b32 a220, v82
	ds_read_b128 v[82:85], v32 offset:1808
	s_waitcnt vmcnt(53) lgkmcnt(3)
	v_mul_f64 v[20:21], v[38:39], v[124:125]
	s_waitcnt vmcnt(52)
	v_fmac_f64_e32 v[20:21], v[40:41], v[160:161]
	v_add_f64 v[20:21], v[50:51], v[20:21]
	v_accvgpr_write_b32 a219, v127
	v_accvgpr_write_b32 a218, v126
	v_pk_mov_b32 v[126:127], v[236:237], v[236:237] op_sel:[0,1]
	v_pk_mov_b32 v[128:129], v[118:119], v[118:119] op_sel:[0,1]
	s_waitcnt vmcnt(49)
	v_mul_f64 v[50:51], v[42:43], v[164:165]
	s_waitcnt vmcnt(47)
	v_fmac_f64_e32 v[50:51], v[44:45], v[166:167]
	v_add_f64 v[20:21], v[20:21], v[50:51]
	s_waitcnt vmcnt(45)
	v_mul_f64 v[50:51], v[46:47], v[158:159]
	s_waitcnt vmcnt(44)
	v_fmac_f64_e32 v[50:51], v[48:49], v[28:29]
	v_add_f64 v[20:21], v[20:21], v[50:51]
	ds_read_b128 v[50:53], v32 offset:1680
	s_waitcnt vmcnt(42) lgkmcnt(0)
	v_mul_f64 v[74:75], v[50:51], v[168:169]
	s_waitcnt vmcnt(40)
	v_fmac_f64_e32 v[74:75], v[52:53], v[170:171]
	s_waitcnt vmcnt(38)
	v_mul_f64 v[62:63], v[54:55], v[172:173]
	v_add_f64 v[20:21], v[20:21], v[74:75]
	s_waitcnt vmcnt(36)
	v_fmac_f64_e32 v[62:63], v[56:57], v[176:177]
	v_add_f64 v[20:21], v[20:21], v[62:63]
	s_waitcnt vmcnt(34)
	v_mul_f64 v[62:63], v[58:59], v[174:175]
	s_waitcnt vmcnt(32)
	v_fmac_f64_e32 v[62:63], v[60:61], v[178:179]
	v_add_f64 v[20:21], v[20:21], v[62:63]
	ds_read_b128 v[62:65], v32 offset:1728
	s_waitcnt vmcnt(29) lgkmcnt(0)
	v_mul_f64 v[74:75], v[62:63], v[180:181]
	s_waitcnt vmcnt(28)
	v_fmac_f64_e32 v[74:75], v[64:65], v[184:185]
	v_add_f64 v[20:21], v[20:21], v[74:75]
	s_waitcnt vmcnt(25)
	v_mul_f64 v[74:75], v[66:67], v[188:189]
	s_waitcnt vmcnt(23)
	v_fmac_f64_e32 v[74:75], v[68:69], v[190:191]
	v_add_f64 v[20:21], v[20:21], v[74:75]
	s_waitcnt vmcnt(21)
	v_mul_f64 v[74:75], v[70:71], v[182:183]
	s_waitcnt vmcnt(20)
	v_fmac_f64_e32 v[74:75], v[72:73], v[186:187]
	v_add_f64 v[20:21], v[20:21], v[74:75]
	ds_read_b128 v[74:77], v32 offset:1776
	s_waitcnt vmcnt(9)
	v_mul_f64 v[96:97], v[82:83], v[204:205]
	s_waitcnt vmcnt(7)
	v_fmac_f64_e32 v[96:97], v[84:85], v[208:209]
	s_waitcnt lgkmcnt(0)
	v_mul_f64 v[86:87], v[74:75], v[192:193]
	v_fmac_f64_e32 v[86:87], v[76:77], v[194:195]
	v_add_f64 v[20:21], v[20:21], v[86:87]
	v_mul_f64 v[86:87], v[78:79], v[198:199]
	v_fmac_f64_e32 v[86:87], v[80:81], v[200:201]
	v_add_f64 v[94:95], v[20:21], v[86:87]
	ds_read_b128 v[86:89], v32 offset:1824
	v_mul_f64 v[20:21], v[108:109], v[90:91]
	v_fma_f64 v[20:21], v[106:107], v[92:93], -v[20:21]
	ds_read_b128 v[90:93], v32 offset:1840
	buffer_load_dword v212, off, s[0:3], 0 offset:904
	buffer_load_dword v213, off, s[0:3], 0 offset:908
	;; [unrolled: 1-line block ×4, first 2 shown]
	v_add_f64 v[94:95], v[94:95], v[96:97]
	s_waitcnt vmcnt(9) lgkmcnt(1)
	v_mul_f64 v[96:97], v[86:87], v[196:197]
	s_waitcnt vmcnt(8)
	v_fmac_f64_e32 v[96:97], v[88:89], v[202:203]
	v_add_f64 v[94:95], v[94:95], v[96:97]
	s_waitcnt vmcnt(6) lgkmcnt(0)
	v_mul_f64 v[96:97], v[90:91], v[206:207]
	s_waitcnt vmcnt(4)
	v_fmac_f64_e32 v[96:97], v[92:93], v[210:211]
	v_add_f64 v[98:99], v[94:95], v[96:97]
	ds_read_b128 v[94:97], v32 offset:1856
	buffer_load_dword v217, off, s[0:3], 0 offset:924
	buffer_load_dword v216, off, s[0:3], 0 offset:920
	buffer_load_dword v219, off, s[0:3], 0 offset:916
	buffer_load_dword v218, off, s[0:3], 0 offset:912
	s_waitcnt vmcnt(6) lgkmcnt(0)
	v_mul_f64 v[100:101], v[94:95], v[212:213]
	s_waitcnt vmcnt(4)
	v_fmac_f64_e32 v[100:101], v[96:97], v[214:215]
	v_add_f64 v[102:103], v[98:99], v[100:101]
	ds_read_b128 v[98:101], v32 offset:1872
	buffer_load_dword v220, off, s[0:3], 0 offset:936
	buffer_load_dword v221, off, s[0:3], 0 offset:940
	buffer_load_dword v222, off, s[0:3], 0 offset:928
	buffer_load_dword v223, off, s[0:3], 0 offset:932
	;; [unrolled: 10-line block ×5, first 2 shown]
	s_waitcnt vmcnt(6) lgkmcnt(0)
	v_mul_f64 v[242:243], v[110:111], v[228:229]
	s_waitcnt vmcnt(4)
	v_fmac_f64_e32 v[242:243], v[112:113], v[240:241]
	v_add_f64 v[242:243], v[238:239], v[242:243]
	ds_read_b128 v[236:239], v32 offset:1936
	s_waitcnt vmcnt(2) lgkmcnt(0)
	v_mul_f64 v[230:231], v[236:237], v[244:245]
	s_waitcnt vmcnt(0)
	v_fmac_f64_e32 v[230:231], v[238:239], v[246:247]
	v_add_f64 v[242:243], v[242:243], v[230:231]
	v_add_f64 v[230:231], v[136:137], 0
	;; [unrolled: 1-line block ×21, first 2 shown]
	buffer_load_dword v250, off, s[0:3], 0 offset:80
	buffer_load_dword v251, off, s[0:3], 0 offset:84
	;; [unrolled: 1-line block ×4, first 2 shown]
	v_add_f64 v[8:9], v[10:11], v[8:9]
	v_add_f64 v[6:7], v[8:9], v[6:7]
	;; [unrolled: 1-line block ×5, first 2 shown]
	v_accvgpr_read_b32 v4, a184
	v_accvgpr_read_b32 v2, a188
	;; [unrolled: 1-line block ×7, first 2 shown]
	v_mul_f64 v[2:3], v[6:7], v[2:3]
	v_accvgpr_read_b32 v6, a190
	v_add_f64 v[0:1], v[254:255], v[0:1]
	v_accvgpr_read_b32 v5, a185
	v_accvgpr_read_b32 v7, a191
	v_add_f64 v[0:1], v[0:1], v[20:21]
	v_fma_f64 v[2:3], v[4:5], v[6:7], -v[2:3]
	v_add_f64 v[0:1], v[0:1], v[2:3]
	v_accvgpr_read_b32 v4, a192
	v_accvgpr_read_b32 v2, a200
	;; [unrolled: 1-line block ×5, first 2 shown]
	v_mul_f64 v[2:3], v[6:7], v[2:3]
	v_accvgpr_read_b32 v6, a202
	v_accvgpr_read_b32 v5, a193
	v_accvgpr_read_b32 v7, a203
	v_fma_f64 v[2:3], v[4:5], v[6:7], -v[2:3]
	v_add_f64 v[0:1], v[0:1], v[2:3]
	v_accvgpr_read_b32 v4, a196
	v_accvgpr_read_b32 v2, a204
	;; [unrolled: 1-line block ×5, first 2 shown]
	v_mul_f64 v[2:3], v[6:7], v[2:3]
	v_accvgpr_read_b32 v6, a206
	v_accvgpr_read_b32 v5, a197
	;; [unrolled: 1-line block ×3, first 2 shown]
	v_fma_f64 v[2:3], v[4:5], v[6:7], -v[2:3]
	v_add_f64 v[0:1], v[0:1], v[2:3]
	v_accvgpr_read_b32 v2, a208
	v_accvgpr_read_b32 v3, a209
	v_accvgpr_read_b32 v4, a210
	v_mul_f64 v[2:3], v[154:155], v[2:3]
	v_accvgpr_read_b32 v5, a211
	v_fma_f64 v[2:3], v[152:153], v[4:5], -v[2:3]
	v_add_f64 v[0:1], v[0:1], v[2:3]
	v_accvgpr_read_b32 v2, a212
	v_accvgpr_read_b32 v3, a213
	v_accvgpr_read_b32 v4, a214
	v_mul_f64 v[2:3], v[148:149], v[2:3]
	v_accvgpr_read_b32 v5, a215
	;; [unrolled: 7-line block ×3, first 2 shown]
	v_fma_f64 v[2:3], v[138:139], v[4:5], -v[2:3]
	v_add_f64 v[0:1], v[0:1], v[2:3]
	v_mul_f64 v[2:3], v[144:145], v[30:31]
	v_fma_f64 v[2:3], v[142:143], v[134:135], -v[2:3]
	v_add_f64 v[0:1], v[0:1], v[2:3]
	v_mul_f64 v[2:3], v[122:123], v[126:127]
	;; [unrolled: 3-line block ×23, first 2 shown]
	v_fma_f64 v[2:3], v[236:237], v[246:247], -v[2:3]
	v_add_f64 v[0:1], v[0:1], v[2:3]
	s_waitcnt vmcnt(2)
	v_add_f64 v[0:1], v[250:251], -v[0:1]
	s_waitcnt vmcnt(0)
	v_add_f64 v[2:3], v[248:249], -v[242:243]
	buffer_store_dword v1, off, s[0:3], 0 offset:84
	buffer_store_dword v0, off, s[0:3], 0 offset:80
	;; [unrolled: 1-line block ×4, first 2 shown]
	v_accvgpr_read_b32 v0, a182
	v_cmp_lt_u32_e32 vcc, 3, v0
	s_and_saveexec_b64 s[4:5], vcc
	s_cbranch_execz .LBB124_385
; %bb.384:
	v_accvgpr_read_b32 v0, a179
	buffer_load_dword v2, v0, s[0:3], 0 offen
	buffer_load_dword v3, v0, s[0:3], 0 offen offset:4
	buffer_load_dword v4, v0, s[0:3], 0 offen offset:8
	;; [unrolled: 1-line block ×3, first 2 shown]
	v_mov_b32_e32 v0, 0
	v_accvgpr_read_b32 v1, a183
	buffer_store_dword v0, off, s[0:3], 0 offset:64
	buffer_store_dword v0, off, s[0:3], 0 offset:68
	;; [unrolled: 1-line block ×4, first 2 shown]
	s_waitcnt vmcnt(4)
	ds_write_b128 v1, v[2:5]
.LBB124_385:
	s_or_b64 exec, exec, s[4:5]
	s_waitcnt lgkmcnt(0)
	; wave barrier
	s_waitcnt lgkmcnt(0)
	buffer_load_dword v6, off, s[0:3], 0 offset:80
	buffer_load_dword v7, off, s[0:3], 0 offset:84
	;; [unrolled: 1-line block ×42, first 2 shown]
	v_mov_b32_e32 v228, 0
	buffer_load_dword v91, off, s[0:3], 0 offset:228
	buffer_load_dword v90, off, s[0:3], 0 offset:224
	;; [unrolled: 1-line block ×7, first 2 shown]
	ds_read_b128 v[104:107], v228 offset:1040
	ds_read_b128 v[108:111], v228 offset:1056
	;; [unrolled: 1-line block ×11, first 2 shown]
	s_waitcnt vmcnt(45) lgkmcnt(10)
	v_mul_f64 v[0:1], v[104:105], v[10:11]
	v_fmac_f64_e32 v[0:1], v[106:107], v[6:7]
	v_add_f64 v[0:1], v[0:1], 0
	v_mul_f64 v[10:11], v[106:107], v[10:11]
	s_waitcnt vmcnt(41) lgkmcnt(9)
	v_mul_f64 v[52:53], v[108:109], v[8:9]
	v_fmac_f64_e32 v[52:53], v[110:111], v[4:5]
	s_waitcnt vmcnt(39) lgkmcnt(8)
	v_mul_f64 v[54:55], v[112:113], v[2:3]
	v_add_f64 v[0:1], v[0:1], v[52:53]
	s_waitcnt vmcnt(37) lgkmcnt(6)
	v_mul_f64 v[58:59], v[144:145], v[242:243]
	v_fma_f64 v[246:247], v[104:105], v[6:7], -v[10:11]
	s_waitcnt vmcnt(35)
	v_fmac_f64_e32 v[58:59], v[146:147], v[14:15]
	v_mul_f64 v[8:9], v[110:111], v[8:9]
	s_waitcnt vmcnt(33)
	v_mul_f64 v[56:57], v[140:141], v[138:139]
	v_fma_f64 v[224:225], v[108:109], v[4:5], -v[8:9]
	s_waitcnt vmcnt(31) lgkmcnt(4)
	v_mul_f64 v[62:63], v[152:153], v[22:23]
	v_mul_f64 v[2:3], v[114:115], v[2:3]
	s_waitcnt vmcnt(29)
	v_fmac_f64_e32 v[62:63], v[154:155], v[24:25]
	v_mul_f64 v[22:23], v[154:155], v[22:23]
	s_waitcnt vmcnt(27)
	v_mul_f64 v[60:61], v[148:149], v[18:19]
	s_waitcnt vmcnt(25) lgkmcnt(2)
	v_mul_f64 v[66:67], v[160:161], v[30:31]
	s_waitcnt vmcnt(22)
	v_mul_f64 v[64:65], v[156:157], v[26:27]
	s_waitcnt vmcnt(20) lgkmcnt(1)
	v_mul_f64 v[116:117], v[164:165], v[38:39]
	v_mul_f64 v[38:39], v[166:167], v[38:39]
	s_waitcnt vmcnt(18)
	v_fmac_f64_e32 v[54:55], v[114:115], v[44:45]
	v_add_f64 v[0:1], v[0:1], v[54:55]
	s_waitcnt vmcnt(16)
	v_fmac_f64_e32 v[56:57], v[142:143], v[40:41]
	v_add_f64 v[0:1], v[0:1], v[56:57]
	;; [unrolled: 3-line block ×3, first 2 shown]
	v_add_f64 v[0:1], v[0:1], v[60:61]
	s_waitcnt vmcnt(12)
	v_fmac_f64_e32 v[64:65], v[158:159], v[28:29]
	v_add_f64 v[0:1], v[0:1], v[62:63]
	s_waitcnt vmcnt(11)
	v_fmac_f64_e32 v[66:67], v[162:163], v[32:33]
	v_add_f64 v[0:1], v[0:1], v[64:65]
	v_add_f64 v[0:1], v[0:1], v[66:67]
	buffer_load_dword v68, off, s[0:3], 0 offset:264
	buffer_load_dword v221, off, s[0:3], 0 offset:260
	;; [unrolled: 1-line block ×61, first 2 shown]
	s_waitcnt vmcnt(62)
	v_fmac_f64_e32 v[116:117], v[166:167], v[90:91]
	v_add_f64 v[0:1], v[0:1], v[116:117]
	s_waitcnt lgkmcnt(0)
	v_mul_f64 v[116:117], v[34:35], v[42:43]
	v_fmac_f64_e32 v[116:117], v[36:37], v[46:47]
	v_add_f64 v[0:1], v[0:1], v[116:117]
	v_fma_f64 v[222:223], v[112:113], v[44:45], -v[2:3]
	v_mul_f64 v[2:3], v[142:143], v[138:139]
	v_fma_f64 v[138:139], v[140:141], v[40:41], -v[2:3]
	v_fma_f64 v[142:143], v[152:153], v[24:25], -v[22:23]
	v_mul_f64 v[36:37], v[36:37], v[42:43]
	v_fma_f64 v[38:39], v[164:165], v[90:91], -v[38:39]
	v_fma_f64 v[90:91], v[34:35], v[46:47], -v[36:37]
	s_waitcnt vmcnt(0)
	v_pk_mov_b32 v[118:119], v[86:87], v[86:87] op_sel:[0,1]
	buffer_load_dword v87, off, s[0:3], 0 offset:532
	buffer_load_dword v86, off, s[0:3], 0 offset:528
	v_accvgpr_write_b32 a189, v119
	v_accvgpr_write_b32 a188, v118
	s_waitcnt vmcnt(0)
	v_pk_mov_b32 v[122:123], v[86:87], v[86:87] op_sel:[0,1]
	buffer_load_dword v87, off, s[0:3], 0 offset:524
	buffer_load_dword v86, off, s[0:3], 0 offset:520
	;; [unrolled: 1-line block ×6, first 2 shown]
	v_accvgpr_write_b32 a191, v123
	v_accvgpr_write_b32 a190, v122
	s_waitcnt vmcnt(0)
	v_pk_mov_b32 v[124:125], v[120:121], v[120:121] op_sel:[0,1]
	buffer_load_dword v121, off, s[0:3], 0 offset:564
	buffer_load_dword v120, off, s[0:3], 0 offset:560
	s_waitcnt vmcnt(0)
	v_pk_mov_b32 v[126:127], v[120:121], v[120:121] op_sel:[0,1]
	buffer_load_dword v121, off, s[0:3], 0 offset:556
	buffer_load_dword v120, off, s[0:3], 0 offset:552
	v_accvgpr_write_b32 a209, v127
	v_accvgpr_write_b32 a208, v126
	s_waitcnt vmcnt(0)
	v_pk_mov_b32 v[128:129], v[120:121], v[120:121] op_sel:[0,1]
	buffer_load_dword v121, off, s[0:3], 0 offset:548
	buffer_load_dword v120, off, s[0:3], 0 offset:544
	ds_read_b128 v[168:171], v228 offset:1216
	ds_read_b128 v[172:175], v228 offset:1232
	;; [unrolled: 1-line block ×10, first 2 shown]
	s_waitcnt lgkmcnt(9)
	v_mul_f64 v[116:117], v[168:169], v[68:69]
	v_fmac_f64_e32 v[116:117], v[170:171], v[220:221]
	v_add_f64 v[0:1], v[0:1], v[116:117]
	s_waitcnt lgkmcnt(8)
	v_mul_f64 v[116:117], v[172:173], v[48:49]
	v_fmac_f64_e32 v[116:117], v[174:175], v[50:51]
	v_add_f64 v[0:1], v[0:1], v[116:117]
	;; [unrolled: 4-line block ×10, first 2 shown]
	v_accvgpr_write_b32 a197, v129
	v_accvgpr_write_b32 a196, v128
	v_mul_f64 v[34:35], v[170:171], v[68:69]
	v_fma_f64 v[220:221], v[168:169], v[220:221], -v[34:35]
	v_mul_f64 v[42:43], v[174:175], v[48:49]
	s_waitcnt vmcnt(0)
	v_pk_mov_b32 v[130:131], v[120:121], v[120:121] op_sel:[0,1]
	buffer_load_dword v121, off, s[0:3], 0 offset:588
	buffer_load_dword v120, off, s[0:3], 0 offset:584
	v_accvgpr_write_b32 a199, v131
	v_accvgpr_write_b32 a198, v130
	s_waitcnt vmcnt(0)
	v_pk_mov_b32 v[136:137], v[120:121], v[120:121] op_sel:[0,1]
	buffer_load_dword v121, off, s[0:3], 0 offset:580
	buffer_load_dword v120, off, s[0:3], 0 offset:576
	ds_read_b128 v[208:211], v228 offset:1376
	v_accvgpr_write_b32 a211, v137
	v_accvgpr_write_b32 a210, v136
	s_waitcnt lgkmcnt(0)
	v_mul_f64 v[116:117], v[208:209], v[56:57]
	v_fmac_f64_e32 v[116:117], v[210:211], v[66:67]
	v_add_f64 v[0:1], v[0:1], v[116:117]
	s_waitcnt vmcnt(0)
	v_pk_mov_b32 v[240:241], v[120:121], v[120:121] op_sel:[0,1]
	buffer_load_dword v120, off, s[0:3], 0 offset:600
	buffer_load_dword v132, off, s[0:3], 0 offset:592
	;; [unrolled: 1-line block ×4, first 2 shown]
	ds_read_b128 v[212:215], v228 offset:1392
	buffer_load_dword v135, off, s[0:3], 0 offset:636
	buffer_load_dword v249, off, s[0:3], 0 offset:620
	;; [unrolled: 1-line block ×12, first 2 shown]
	ds_read_b128 v[216:219], v228 offset:1408
	ds_read_b128 v[104:107], v228 offset:1424
	;; [unrolled: 1-line block ×4, first 2 shown]
	s_waitcnt lgkmcnt(4)
	v_mul_f64 v[116:117], v[212:213], v[58:59]
	v_fmac_f64_e32 v[116:117], v[214:215], v[60:61]
	s_waitcnt lgkmcnt(3)
	v_mul_f64 v[6:7], v[216:217], v[62:63]
	ds_read_b128 v[112:115], v228 offset:1472
	ds_read_b128 v[8:11], v228 offset:1488
	v_add_f64 v[0:1], v[0:1], v[116:117]
	v_fmac_f64_e32 v[6:7], v[218:219], v[64:65]
	s_waitcnt lgkmcnt(4)
	v_mul_f64 v[4:5], v[104:105], v[70:71]
	v_add_f64 v[0:1], v[0:1], v[6:7]
	v_fmac_f64_e32 v[4:5], v[106:107], v[72:73]
	v_add_f64 v[0:1], v[0:1], v[4:5]
	s_waitcnt lgkmcnt(3)
	v_mul_f64 v[4:5], v[108:109], v[74:75]
	v_fmac_f64_e32 v[4:5], v[110:111], v[76:77]
	s_waitcnt lgkmcnt(2)
	v_mul_f64 v[6:7], v[230:231], v[82:83]
	v_add_f64 v[0:1], v[0:1], v[4:5]
	v_fmac_f64_e32 v[6:7], v[232:233], v[84:85]
	s_waitcnt lgkmcnt(1)
	v_mul_f64 v[4:5], v[112:113], v[86:87]
	v_add_f64 v[0:1], v[0:1], v[6:7]
	v_fmac_f64_e32 v[4:5], v[114:115], v[88:89]
	s_waitcnt lgkmcnt(0)
	v_accvgpr_write_b32 a187, v11
	v_add_f64 v[0:1], v[0:1], v[4:5]
	v_mul_f64 v[4:5], v[8:9], v[118:119]
	v_accvgpr_write_b32 a186, v10
	v_accvgpr_write_b32 a185, v9
	;; [unrolled: 1-line block ×3, first 2 shown]
	ds_read_b128 v[6:9], v228 offset:1504
	v_fmac_f64_e32 v[4:5], v[10:11], v[122:123]
	v_add_f64 v[0:1], v[0:1], v[4:5]
	v_mul_f64 v[4:5], v[146:147], v[242:243]
	v_fma_f64 v[118:119], v[144:145], v[14:15], -v[4:5]
	ds_read_b128 v[2:5], v228 offset:1520
	s_waitcnt lgkmcnt(1)
	v_mul_f64 v[40:41], v[6:7], v[128:129]
	v_accvgpr_write_b32 a195, v9
	v_fmac_f64_e32 v[40:41], v[8:9], v[130:131]
	v_accvgpr_write_b32 a194, v8
	v_accvgpr_write_b32 a193, v7
	;; [unrolled: 1-line block ×3, first 2 shown]
	ds_read_b128 v[6:9], v228 offset:1536
	v_mul_f64 v[14:15], v[150:151], v[18:19]
	s_waitcnt lgkmcnt(1)
	v_mul_f64 v[18:19], v[2:3], v[124:125]
	v_add_f64 v[0:1], v[0:1], v[40:41]
	v_fmac_f64_e32 v[18:19], v[4:5], v[126:127]
	v_add_f64 v[0:1], v[0:1], v[18:19]
	s_waitcnt lgkmcnt(0)
	v_mul_f64 v[18:19], v[6:7], v[136:137]
	v_accvgpr_write_b32 a212, v240
	v_fmac_f64_e32 v[18:19], v[8:9], v[240:241]
	v_accvgpr_write_b32 a213, v241
	ds_read_b128 v[240:243], v228 offset:1552
	buffer_load_dword v140, off, s[0:3], 0 offset:664
	buffer_load_dword v141, off, s[0:3], 0 offset:668
	ds_read_b128 v[126:129], v228 offset:1568
	buffer_load_dword v130, off, s[0:3], 0 offset:656
	buffer_load_dword v131, off, s[0:3], 0 offset:660
	v_accvgpr_write_b32 a207, v9
	v_add_f64 v[0:1], v[0:1], v[18:19]
	v_accvgpr_write_b32 a206, v8
	v_accvgpr_write_b32 a205, v7
	;; [unrolled: 1-line block ×3, first 2 shown]
	v_mul_f64 v[8:9], v[162:163], v[30:31]
	v_fma_f64 v[150:151], v[148:149], v[244:245], -v[14:15]
	v_pk_mov_b32 v[244:245], v[124:125], v[124:125] op_sel:[0,1]
	ds_read_b128 v[122:125], v228 offset:1584
	v_mul_f64 v[18:19], v[198:199], v[80:81]
	v_fma_f64 v[196:197], v[196:197], v[94:95], -v[18:19]
	v_accvgpr_write_b32 a203, v5
	v_accvgpr_write_b32 a202, v4
	;; [unrolled: 1-line block ×4, first 2 shown]
	s_waitcnt vmcnt(13) lgkmcnt(1)
	v_mul_f64 v[44:45], v[126:127], v[248:249]
	s_waitcnt vmcnt(11)
	v_fmac_f64_e32 v[44:45], v[128:129], v[20:21]
	v_accvgpr_write_b32 a219, v21
	v_accvgpr_write_b32 a218, v20
	v_mul_f64 v[20:21], v[202:203], v[78:79]
	v_mul_f64 v[22:23], v[240:241], v[120:121]
	v_fmac_f64_e32 v[22:23], v[242:243], v[132:133]
	v_add_f64 v[40:41], v[0:1], v[22:23]
	v_mul_f64 v[0:1], v[158:159], v[26:27]
	v_fma_f64 v[116:117], v[156:157], v[28:29], -v[0:1]
	v_fma_f64 v[28:29], v[160:161], v[32:33], -v[8:9]
	ds_read_b128 v[30:33], v228 offset:1600
	buffer_load_dword v145, off, s[0:3], 0 offset:684
	buffer_load_dword v144, off, s[0:3], 0 offset:680
	;; [unrolled: 1-line block ×16, first 2 shown]
	ds_read_b128 v[34:37], v228 offset:1616
	buffer_load_dword v158, off, s[0:3], 0 offset:760
	buffer_load_dword v165, off, s[0:3], 0 offset:748
	;; [unrolled: 1-line block ×8, first 2 shown]
	v_fma_f64 v[26:27], v[172:173], v[50:51], -v[42:43]
	buffer_load_dword v171, off, s[0:3], 0 offset:780
	buffer_load_dword v170, off, s[0:3], 0 offset:776
	;; [unrolled: 1-line block ×4, first 2 shown]
	v_add_f64 v[40:41], v[40:41], v[44:45]
	s_waitcnt vmcnt(38) lgkmcnt(2)
	v_mul_f64 v[44:45], v[122:123], v[134:135]
	v_accvgpr_write_b32 a215, v121
	s_waitcnt vmcnt(36)
	v_fmac_f64_e32 v[44:45], v[124:125], v[16:17]
	v_accvgpr_write_b32 a214, v120
	v_add_f64 v[40:41], v[40:41], v[44:45]
	s_waitcnt vmcnt(34) lgkmcnt(1)
	v_mul_f64 v[44:45], v[30:31], v[12:13]
	v_pk_mov_b32 v[120:121], v[12:13], v[12:13] op_sel:[0,1]
	v_mul_f64 v[12:13], v[178:179], v[234:235]
	v_fma_f64 v[24:25], v[176:177], v[236:237], -v[12:13]
	buffer_load_dword v176, off, s[0:3], 0 offset:792
	buffer_load_dword v178, off, s[0:3], 0 offset:784
	;; [unrolled: 1-line block ×4, first 2 shown]
	v_mul_f64 v[42:43], v[182:183], v[226:227]
	v_fma_f64 v[226:227], v[180:181], v[102:103], -v[42:43]
	v_mul_f64 v[42:43], v[186:187], v[252:253]
	v_fma_f64 v[22:23], v[184:185], v[254:255], -v[42:43]
	buffer_load_dword v175, off, s[0:3], 0 offset:828
	buffer_load_dword v181, off, s[0:3], 0 offset:812
	;; [unrolled: 1-line block ×8, first 2 shown]
	ds_read_b128 v[234:237], v228 offset:1632
	v_accvgpr_write_b32 a217, v133
	s_waitcnt vmcnt(44)
	v_fmac_f64_e32 v[44:45], v[32:33], v[238:239]
	v_accvgpr_write_b32 a216, v132
	v_pk_mov_b32 v[132:133], v[16:17], v[16:17] op_sel:[0,1]
	v_add_f64 v[40:41], v[40:41], v[44:45]
	v_mul_f64 v[16:17], v[190:191], v[250:251]
	v_mul_f64 v[44:45], v[194:195], v[96:97]
	v_fma_f64 v[16:17], v[188:189], v[100:101], -v[16:17]
	v_fma_f64 v[14:15], v[192:193], v[98:99], -v[44:45]
	buffer_load_dword v187, off, s[0:3], 0 offset:844
	buffer_load_dword v186, off, s[0:3], 0 offset:840
	;; [unrolled: 1-line block ×16, first 2 shown]
	v_fma_f64 v[12:13], v[200:201], v[92:93], -v[20:21]
	ds_read_b128 v[46:49], v228 offset:1664
	ds_read_b128 v[78:81], v228 offset:1792
	s_waitcnt vmcnt(58) lgkmcnt(3)
	v_mul_f64 v[42:43], v[34:35], v[140:141]
	s_waitcnt vmcnt(56)
	v_fmac_f64_e32 v[42:43], v[36:37], v[130:131]
	v_add_f64 v[18:19], v[40:41], v[42:43]
	ds_read_b128 v[42:45], v228 offset:1648
	v_mul_f64 v[40:41], v[210:211], v[56:57]
	v_fma_f64 v[8:9], v[208:209], v[66:67], -v[40:41]
	v_mul_f64 v[40:41], v[218:219], v[62:63]
	v_fma_f64 v[4:5], v[216:217], v[64:65], -v[40:41]
	ds_read_b128 v[66:69], v228 offset:1744
	v_mul_f64 v[40:41], v[110:111], v[74:75]
	v_fma_f64 v[2:3], v[108:109], v[76:77], -v[40:41]
	ds_read_b128 v[74:77], v228 offset:1776
	v_mul_f64 v[40:41], v[114:115], v[86:87]
	v_fma_f64 v[40:41], v[112:113], v[88:89], -v[40:41]
	v_accvgpr_write_b32 a221, v41
	v_accvgpr_write_b32 a220, v40
	ds_read_b128 v[62:65], v228 offset:1728
	ds_read_b128 v[86:89], v228 offset:1824
	s_waitcnt vmcnt(54) lgkmcnt(7)
	v_mul_f64 v[20:21], v[234:235], v[144:145]
	s_waitcnt vmcnt(52)
	v_fmac_f64_e32 v[20:21], v[236:237], v[146:147]
	v_add_f64 v[18:19], v[18:19], v[20:21]
	v_mul_f64 v[20:21], v[206:207], v[52:53]
	ds_read_b128 v[50:53], v228 offset:1680
	v_fma_f64 v[10:11], v[204:205], v[54:55], -v[20:21]
	ds_read_b128 v[54:57], v228 offset:1696
	s_waitcnt vmcnt(49) lgkmcnt(6)
	v_mul_f64 v[20:21], v[42:43], v[148:149]
	s_waitcnt vmcnt(48)
	v_fmac_f64_e32 v[20:21], v[44:45], v[152:153]
	v_add_f64 v[18:19], v[18:19], v[20:21]
	s_waitcnt vmcnt(45)
	v_mul_f64 v[20:21], v[46:47], v[156:157]
	s_waitcnt vmcnt(43)
	v_fmac_f64_e32 v[20:21], v[48:49], v[162:163]
	v_add_f64 v[18:19], v[18:19], v[20:21]
	s_waitcnt vmcnt(42) lgkmcnt(1)
	v_mul_f64 v[20:21], v[50:51], v[154:155]
	s_waitcnt vmcnt(40)
	v_fmac_f64_e32 v[20:21], v[52:53], v[160:161]
	v_add_f64 v[18:19], v[18:19], v[20:21]
	v_mul_f64 v[20:21], v[214:215], v[58:59]
	v_fma_f64 v[6:7], v[212:213], v[60:61], -v[20:21]
	ds_read_b128 v[58:61], v228 offset:1712
	s_waitcnt vmcnt(37) lgkmcnt(1)
	v_mul_f64 v[20:21], v[54:55], v[164:165]
	s_waitcnt vmcnt(35)
	v_fmac_f64_e32 v[20:21], v[56:57], v[166:167]
	v_add_f64 v[18:19], v[18:19], v[20:21]
	s_waitcnt vmcnt(33) lgkmcnt(0)
	v_mul_f64 v[20:21], v[58:59], v[158:159]
	s_waitcnt vmcnt(32)
	v_fmac_f64_e32 v[20:21], v[60:61], v[168:169]
	v_add_f64 v[18:19], v[18:19], v[20:21]
	s_waitcnt vmcnt(30)
	v_mul_f64 v[20:21], v[62:63], v[170:171]
	s_waitcnt vmcnt(28)
	v_fmac_f64_e32 v[20:21], v[64:65], v[172:173]
	v_add_f64 v[18:19], v[18:19], v[20:21]
	v_mul_f64 v[20:21], v[106:107], v[70:71]
	v_fma_f64 v[136:137], v[104:105], v[72:73], -v[20:21]
	ds_read_b128 v[70:73], v228 offset:1760
	s_waitcnt vmcnt(25)
	v_mul_f64 v[20:21], v[66:67], v[176:177]
	s_waitcnt vmcnt(24)
	v_fmac_f64_e32 v[20:21], v[68:69], v[178:179]
	v_add_f64 v[18:19], v[18:19], v[20:21]
	s_waitcnt vmcnt(21) lgkmcnt(0)
	v_mul_f64 v[20:21], v[70:71], v[180:181]
	s_waitcnt vmcnt(19)
	v_fmac_f64_e32 v[20:21], v[72:73], v[184:185]
	v_add_f64 v[18:19], v[18:19], v[20:21]
	s_waitcnt vmcnt(18)
	v_mul_f64 v[20:21], v[74:75], v[174:175]
	s_waitcnt vmcnt(16)
	v_fmac_f64_e32 v[20:21], v[76:77], v[182:183]
	v_add_f64 v[18:19], v[18:19], v[20:21]
	v_mul_f64 v[20:21], v[232:233], v[82:83]
	v_fma_f64 v[0:1], v[230:231], v[84:85], -v[20:21]
	ds_read_b128 v[82:85], v228 offset:1808
	ds_read_b128 v[230:233], v228 offset:1840
	buffer_load_dword v115, off, s[0:3], 0 offset:908
	buffer_load_dword v114, off, s[0:3], 0 offset:904
	buffer_load_dword v199, off, s[0:3], 0 offset:900
	buffer_load_dword v198, off, s[0:3], 0 offset:896
	ds_read_b128 v[94:97], v228 offset:1856
	buffer_load_dword v200, off, s[0:3], 0 offset:920
	buffer_load_dword v201, off, s[0:3], 0 offset:924
	buffer_load_dword v202, off, s[0:3], 0 offset:912
	buffer_load_dword v203, off, s[0:3], 0 offset:916
	;; [unrolled: 5-line block ×6, first 2 shown]
	s_waitcnt vmcnt(38)
	v_mul_f64 v[20:21], v[78:79], v[186:187]
	s_waitcnt vmcnt(36)
	v_fmac_f64_e32 v[20:21], v[80:81], v[188:189]
	v_add_f64 v[18:19], v[18:19], v[20:21]
	s_waitcnt vmcnt(33) lgkmcnt(6)
	v_mul_f64 v[20:21], v[82:83], v[190:191]
	s_waitcnt vmcnt(32)
	v_fmac_f64_e32 v[20:21], v[84:85], v[250:251]
	v_add_f64 v[18:19], v[18:19], v[20:21]
	s_waitcnt vmcnt(30)
	v_mul_f64 v[20:21], v[86:87], v[252:253]
	s_waitcnt vmcnt(28)
	v_fmac_f64_e32 v[20:21], v[88:89], v[254:255]
	v_add_f64 v[18:19], v[18:19], v[20:21]
	s_waitcnt vmcnt(25) lgkmcnt(5)
	v_mul_f64 v[20:21], v[230:231], v[192:193]
	s_waitcnt vmcnt(24)
	v_fmac_f64_e32 v[20:21], v[232:233], v[194:195]
	v_add_f64 v[18:19], v[18:19], v[20:21]
	s_waitcnt vmcnt(22) lgkmcnt(4)
	v_mul_f64 v[20:21], v[94:95], v[114:115]
	s_waitcnt vmcnt(20)
	v_fmac_f64_e32 v[20:21], v[96:97], v[198:199]
	v_add_f64 v[18:19], v[18:19], v[20:21]
	s_waitcnt vmcnt(18) lgkmcnt(3)
	v_mul_f64 v[20:21], v[98:99], v[200:201]
	s_waitcnt vmcnt(16)
	v_fmac_f64_e32 v[20:21], v[100:101], v[202:203]
	v_add_f64 v[18:19], v[18:19], v[20:21]
	s_waitcnt vmcnt(14) lgkmcnt(2)
	v_mul_f64 v[20:21], v[102:103], v[204:205]
	s_waitcnt vmcnt(12)
	v_fmac_f64_e32 v[20:21], v[104:105], v[206:207]
	v_add_f64 v[18:19], v[18:19], v[20:21]
	s_waitcnt vmcnt(10) lgkmcnt(1)
	v_mul_f64 v[20:21], v[106:107], v[208:209]
	s_waitcnt vmcnt(8)
	v_fmac_f64_e32 v[20:21], v[108:109], v[210:211]
	v_add_f64 v[18:19], v[18:19], v[20:21]
	s_waitcnt vmcnt(6) lgkmcnt(0)
	v_mul_f64 v[20:21], v[110:111], v[212:213]
	s_waitcnt vmcnt(4)
	v_fmac_f64_e32 v[20:21], v[112:113], v[214:215]
	v_add_f64 v[216:217], v[18:19], v[20:21]
	ds_read_b128 v[18:21], v228 offset:1936
	s_waitcnt vmcnt(2) lgkmcnt(0)
	v_mul_f64 v[92:93], v[18:19], v[218:219]
	s_waitcnt vmcnt(0)
	v_fmac_f64_e32 v[92:93], v[20:21], v[40:41]
	v_add_f64 v[216:217], v[216:217], v[92:93]
	v_add_f64 v[92:93], v[246:247], 0
	;; [unrolled: 1-line block ×22, first 2 shown]
	buffer_load_dword v224, off, s[0:3], 0 offset:64
	buffer_load_dword v225, off, s[0:3], 0 offset:68
	v_add_f64 v[8:9], v[10:11], v[8:9]
	buffer_load_dword v222, off, s[0:3], 0 offset:72
	buffer_load_dword v223, off, s[0:3], 0 offset:76
	v_add_f64 v[6:7], v[8:9], v[6:7]
	v_add_f64 v[4:5], v[6:7], v[4:5]
	v_add_f64 v[4:5], v[4:5], v[136:137]
	v_add_f64 v[2:3], v[4:5], v[2:3]
	v_add_f64 v[0:1], v[2:3], v[0:1]
	v_accvgpr_read_b32 v2, a220
	v_accvgpr_read_b32 v3, a221
	v_add_f64 v[0:1], v[0:1], v[2:3]
	v_accvgpr_read_b32 v4, a184
	v_accvgpr_read_b32 v2, a188
	;; [unrolled: 1-line block ×5, first 2 shown]
	v_mul_f64 v[2:3], v[6:7], v[2:3]
	v_accvgpr_read_b32 v6, a190
	v_accvgpr_read_b32 v5, a185
	;; [unrolled: 1-line block ×3, first 2 shown]
	v_fma_f64 v[2:3], v[4:5], v[6:7], -v[2:3]
	v_add_f64 v[0:1], v[0:1], v[2:3]
	v_accvgpr_read_b32 v4, a192
	v_accvgpr_read_b32 v2, a196
	;; [unrolled: 1-line block ×5, first 2 shown]
	v_mul_f64 v[2:3], v[6:7], v[2:3]
	v_accvgpr_read_b32 v6, a198
	v_accvgpr_read_b32 v5, a193
	;; [unrolled: 1-line block ×3, first 2 shown]
	v_fma_f64 v[2:3], v[4:5], v[6:7], -v[2:3]
	v_accvgpr_read_b32 v4, a200
	v_accvgpr_read_b32 v6, a202
	;; [unrolled: 1-line block ×3, first 2 shown]
	v_add_f64 v[0:1], v[0:1], v[2:3]
	v_mul_f64 v[2:3], v[6:7], v[244:245]
	v_accvgpr_read_b32 v6, a208
	v_accvgpr_read_b32 v5, a201
	;; [unrolled: 1-line block ×3, first 2 shown]
	v_fma_f64 v[2:3], v[4:5], v[6:7], -v[2:3]
	v_add_f64 v[0:1], v[0:1], v[2:3]
	v_accvgpr_read_b32 v4, a204
	v_accvgpr_read_b32 v2, a210
	;; [unrolled: 1-line block ×5, first 2 shown]
	v_mul_f64 v[2:3], v[6:7], v[2:3]
	v_accvgpr_read_b32 v6, a212
	v_accvgpr_read_b32 v5, a205
	;; [unrolled: 1-line block ×3, first 2 shown]
	v_fma_f64 v[2:3], v[4:5], v[6:7], -v[2:3]
	v_add_f64 v[0:1], v[0:1], v[2:3]
	v_accvgpr_read_b32 v2, a214
	v_accvgpr_read_b32 v3, a215
	;; [unrolled: 1-line block ×3, first 2 shown]
	v_mul_f64 v[2:3], v[242:243], v[2:3]
	v_accvgpr_read_b32 v5, a217
	v_fma_f64 v[2:3], v[240:241], v[4:5], -v[2:3]
	v_accvgpr_read_b32 v4, a218
	v_add_f64 v[0:1], v[0:1], v[2:3]
	v_mul_f64 v[2:3], v[128:129], v[248:249]
	v_accvgpr_read_b32 v5, a219
	v_fma_f64 v[2:3], v[126:127], v[4:5], -v[2:3]
	v_add_f64 v[0:1], v[0:1], v[2:3]
	v_mul_f64 v[2:3], v[124:125], v[134:135]
	v_fma_f64 v[2:3], v[122:123], v[132:133], -v[2:3]
	v_add_f64 v[0:1], v[0:1], v[2:3]
	v_mul_f64 v[2:3], v[32:33], v[120:121]
	;; [unrolled: 3-line block ×23, first 2 shown]
	v_fma_f64 v[2:3], v[18:19], v[40:41], -v[2:3]
	v_add_f64 v[0:1], v[0:1], v[2:3]
	s_waitcnt vmcnt(2)
	v_add_f64 v[0:1], v[224:225], -v[0:1]
	s_waitcnt vmcnt(0)
	v_add_f64 v[2:3], v[222:223], -v[216:217]
	buffer_store_dword v1, off, s[0:3], 0 offset:68
	buffer_store_dword v0, off, s[0:3], 0 offset:64
	buffer_store_dword v3, off, s[0:3], 0 offset:76
	buffer_store_dword v2, off, s[0:3], 0 offset:72
	v_accvgpr_read_b32 v0, a182
	v_cmp_lt_u32_e32 vcc, 2, v0
	s_and_saveexec_b64 s[4:5], vcc
	s_cbranch_execz .LBB124_387
; %bb.386:
	v_accvgpr_read_b32 v0, a180
	buffer_load_dword v2, v0, s[0:3], 0 offen
	buffer_load_dword v3, v0, s[0:3], 0 offen offset:4
	buffer_load_dword v4, v0, s[0:3], 0 offen offset:8
	;; [unrolled: 1-line block ×3, first 2 shown]
	v_accvgpr_read_b32 v0, a183
	buffer_store_dword v228, off, s[0:3], 0 offset:48
	buffer_store_dword v228, off, s[0:3], 0 offset:52
	;; [unrolled: 1-line block ×4, first 2 shown]
	s_waitcnt vmcnt(4)
	ds_write_b128 v0, v[2:5]
.LBB124_387:
	s_or_b64 exec, exec, s[4:5]
	s_waitcnt lgkmcnt(0)
	; wave barrier
	s_waitcnt lgkmcnt(0)
	buffer_load_dword v6, off, s[0:3], 0 offset:64
	buffer_load_dword v7, off, s[0:3], 0 offset:68
	;; [unrolled: 1-line block ×42, first 2 shown]
	ds_read_b128 v[104:107], v228 offset:1024
	ds_read_b128 v[108:111], v228 offset:1040
	;; [unrolled: 1-line block ×10, first 2 shown]
	buffer_load_dword v99, off, s[0:3], 0 offset:212
	buffer_load_dword v98, off, s[0:3], 0 offset:208
	ds_read_b128 v[38:41], v228 offset:1184
	buffer_load_dword v85, off, s[0:3], 0 offset:268
	buffer_load_dword v84, off, s[0:3], 0 offset:264
	;; [unrolled: 1-line block ×6, first 2 shown]
	s_waitcnt vmcnt(46) lgkmcnt(10)
	v_mul_f64 v[0:1], v[104:105], v[10:11]
	v_fmac_f64_e32 v[0:1], v[106:107], v[6:7]
	v_add_f64 v[0:1], v[0:1], 0
	v_mul_f64 v[10:11], v[106:107], v[10:11]
	s_waitcnt vmcnt(42) lgkmcnt(9)
	v_mul_f64 v[52:53], v[108:109], v[8:9]
	v_fmac_f64_e32 v[52:53], v[110:111], v[4:5]
	s_waitcnt vmcnt(40) lgkmcnt(8)
	v_mul_f64 v[54:55], v[112:113], v[224:225]
	v_add_f64 v[0:1], v[0:1], v[52:53]
	s_waitcnt vmcnt(38) lgkmcnt(6)
	v_mul_f64 v[58:59], v[148:149], v[12:13]
	v_mul_f64 v[8:9], v[110:111], v[8:9]
	s_waitcnt vmcnt(36)
	v_fmac_f64_e32 v[58:59], v[150:151], v[14:15]
	v_fma_f64 v[230:231], v[108:109], v[4:5], -v[8:9]
	s_waitcnt vmcnt(34)
	v_mul_f64 v[56:57], v[144:145], v[226:227]
	s_waitcnt vmcnt(32) lgkmcnt(4)
	v_mul_f64 v[62:63], v[156:157], v[18:19]
	s_waitcnt vmcnt(30)
	v_fmac_f64_e32 v[62:63], v[158:159], v[20:21]
	s_waitcnt vmcnt(28)
	v_mul_f64 v[60:61], v[152:153], v[22:23]
	s_waitcnt vmcnt(26) lgkmcnt(2)
	v_mul_f64 v[66:67], v[164:165], v[26:27]
	s_waitcnt vmcnt(23)
	v_mul_f64 v[64:65], v[160:161], v[24:25]
	s_waitcnt vmcnt(21) lgkmcnt(1)
	v_mul_f64 v[116:117], v[30:31], v[34:35]
	s_waitcnt vmcnt(19)
	v_fmac_f64_e32 v[54:55], v[114:115], v[46:47]
	v_add_f64 v[0:1], v[0:1], v[54:55]
	s_waitcnt vmcnt(17)
	v_fmac_f64_e32 v[56:57], v[146:147], v[234:235]
	v_add_f64 v[0:1], v[0:1], v[56:57]
	;; [unrolled: 3-line block ×3, first 2 shown]
	v_add_f64 v[0:1], v[0:1], v[60:61]
	s_waitcnt vmcnt(13)
	v_fmac_f64_e32 v[64:65], v[162:163], v[36:37]
	v_add_f64 v[0:1], v[0:1], v[62:63]
	s_waitcnt vmcnt(12)
	v_fmac_f64_e32 v[66:67], v[166:167], v[28:29]
	v_add_f64 v[0:1], v[0:1], v[64:65]
	v_add_f64 v[118:119], v[0:1], v[66:67]
	buffer_load_dword v243, off, s[0:3], 0 offset:244
	buffer_load_dword v242, off, s[0:3], 0 offset:240
	;; [unrolled: 1-line block ×68, first 2 shown]
	s_waitcnt vmcnt(62)
	v_fmac_f64_e32 v[116:117], v[32:33], v[98:99]
	v_add_f64 v[116:117], v[118:119], v[116:117]
	s_waitcnt lgkmcnt(0)
	v_mul_f64 v[118:119], v[38:39], v[48:49]
	v_fmac_f64_e32 v[118:119], v[40:41], v[50:51]
	v_add_f64 v[116:117], v[116:117], v[118:119]
	v_mul_f64 v[32:33], v[32:33], v[34:35]
	v_mul_f64 v[40:41], v[40:41], v[48:49]
	s_waitcnt vmcnt(0)
	v_pk_mov_b32 v[124:125], v[122:123], v[122:123] op_sel:[0,1]
	buffer_load_dword v123, off, s[0:3], 0 offset:548
	buffer_load_dword v122, off, s[0:3], 0 offset:544
	;; [unrolled: 1-line block ×4, first 2 shown]
	v_accvgpr_write_b32 a197, v125
	v_accvgpr_write_b32 a196, v124
	s_waitcnt vmcnt(2)
	v_accvgpr_write_b32 a199, v123
	v_accvgpr_write_b32 a198, v122
	s_waitcnt vmcnt(0)
	v_pk_mov_b32 v[130:131], v[128:129], v[128:129] op_sel:[0,1]
	buffer_load_dword v129, off, s[0:3], 0 offset:532
	buffer_load_dword v128, off, s[0:3], 0 offset:528
	ds_read_b128 v[168:171], v228 offset:1200
	ds_read_b128 v[172:175], v228 offset:1216
	;; [unrolled: 1-line block ×6, first 2 shown]
	s_waitcnt lgkmcnt(5)
	v_mul_f64 v[118:119], v[168:169], v[96:97]
	v_fmac_f64_e32 v[118:119], v[170:171], v[242:243]
	v_add_f64 v[116:117], v[116:117], v[118:119]
	s_waitcnt lgkmcnt(4)
	v_mul_f64 v[118:119], v[172:173], v[84:85]
	v_fmac_f64_e32 v[118:119], v[174:175], v[90:91]
	v_add_f64 v[116:117], v[116:117], v[118:119]
	;; [unrolled: 4-line block ×3, first 2 shown]
	s_waitcnt lgkmcnt(2)
	v_mul_f64 v[118:119], v[180:181], v[244:245]
	v_fmac_f64_e32 v[118:119], v[182:183], v[246:247]
	ds_read_b128 v[192:195], v228 offset:1296
	ds_read_b128 v[196:199], v228 offset:1312
	v_add_f64 v[116:117], v[116:117], v[118:119]
	s_waitcnt lgkmcnt(3)
	v_mul_f64 v[118:119], v[184:185], v[126:127]
	v_fmac_f64_e32 v[118:119], v[186:187], v[236:237]
	v_add_f64 v[116:117], v[116:117], v[118:119]
	s_waitcnt lgkmcnt(2)
	v_mul_f64 v[118:119], v[188:189], v[252:253]
	v_fmac_f64_e32 v[118:119], v[190:191], v[254:255]
	ds_read_b128 v[200:203], v228 offset:1328
	ds_read_b128 v[204:207], v228 offset:1344
	v_add_f64 v[116:117], v[116:117], v[118:119]
	s_waitcnt lgkmcnt(3)
	v_mul_f64 v[118:119], v[192:193], v[0:1]
	v_fmac_f64_e32 v[118:119], v[194:195], v[2:3]
	v_add_f64 v[116:117], v[116:117], v[118:119]
	s_waitcnt lgkmcnt(2)
	v_mul_f64 v[118:119], v[196:197], v[92:93]
	v_fmac_f64_e32 v[118:119], v[198:199], v[94:95]
	;; [unrolled: 4-line block ×3, first 2 shown]
	v_add_f64 v[116:117], v[116:117], v[118:119]
	ds_read_b128 v[208:211], v228 offset:1360
	buffer_load_dword v118, off, s[0:3], 0 offset:584
	buffer_load_dword v133, off, s[0:3], 0 offset:572
	buffer_load_dword v132, off, s[0:3], 0 offset:568
	v_accvgpr_write_b32 a189, v131
	v_accvgpr_write_b32 a188, v130
	v_mul_f64 v[0:1], v[194:195], v[0:1]
	s_waitcnt vmcnt(3)
	v_accvgpr_write_b32 a191, v129
	v_accvgpr_write_b32 a190, v128
	s_waitcnt vmcnt(0)
	v_pk_mov_b32 v[134:135], v[132:133], v[132:133] op_sel:[0,1]
	buffer_load_dword v133, off, s[0:3], 0 offset:564
	buffer_load_dword v132, off, s[0:3], 0 offset:560
	v_accvgpr_write_b32 a209, v135
	v_accvgpr_write_b32 a208, v134
	s_waitcnt vmcnt(0)
	v_pk_mov_b32 v[138:139], v[132:133], v[132:133] op_sel:[0,1]
	buffer_load_dword v132, off, s[0:3], 0 offset:576
	buffer_load_dword v119, off, s[0:3], 0 offset:588
	;; [unrolled: 1-line block ×3, first 2 shown]
	ds_read_b128 v[212:215], v228 offset:1376
	buffer_load_dword v141, off, s[0:3], 0 offset:620
	buffer_load_dword v121, off, s[0:3], 0 offset:604
	;; [unrolled: 1-line block ×6, first 2 shown]
	v_accvgpr_write_b32 a215, v139
	v_accvgpr_write_b32 a214, v138
	s_waitcnt vmcnt(3)
	v_accvgpr_write_b32 a217, v121
	v_pk_mov_b32 v[136:137], v[118:119], v[118:119] op_sel:[0,1]
	s_waitcnt lgkmcnt(2)
	v_mul_f64 v[118:119], v[204:205], v[60:61]
	s_waitcnt vmcnt(0)
	v_pk_mov_b32 v[238:239], v[140:141], v[140:141] op_sel:[0,1]
	buffer_load_dword v45, off, s[0:3], 0 offset:612
	buffer_load_dword v44, off, s[0:3], 0 offset:608
	;; [unrolled: 1-line block ×6, first 2 shown]
	v_fmac_f64_e32 v[118:119], v[206:207], v[70:71]
	v_add_f64 v[116:117], v[116:117], v[118:119]
	s_waitcnt lgkmcnt(1)
	v_mul_f64 v[118:119], v[208:209], v[72:73]
	v_fmac_f64_e32 v[118:119], v[210:211], v[82:83]
	v_add_f64 v[116:117], v[116:117], v[118:119]
	s_waitcnt lgkmcnt(0)
	v_mul_f64 v[118:119], v[212:213], v[52:53]
	ds_read_b128 v[216:219], v228 offset:1392
	v_fmac_f64_e32 v[118:119], v[214:215], v[54:55]
	v_add_f64 v[116:117], v[116:117], v[118:119]
	v_fma_f64 v[118:119], v[104:105], v[6:7], -v[10:11]
	ds_read_b128 v[104:107], v228 offset:1408
	ds_read_b128 v[108:111], v228 offset:1424
	ds_read_b128 v[220:223], v228 offset:1440
	s_waitcnt lgkmcnt(3)
	v_mul_f64 v[6:7], v[216:217], v[56:57]
	v_fmac_f64_e32 v[6:7], v[218:219], v[58:59]
	v_add_f64 v[4:5], v[116:117], v[6:7]
	s_waitcnt lgkmcnt(2)
	v_mul_f64 v[6:7], v[104:105], v[62:63]
	v_fmac_f64_e32 v[6:7], v[106:107], v[64:65]
	v_add_f64 v[4:5], v[4:5], v[6:7]
	;; [unrolled: 4-line block ×3, first 2 shown]
	v_mul_f64 v[6:7], v[114:115], v[224:225]
	v_fma_f64 v[232:233], v[112:113], v[46:47], -v[6:7]
	ds_read_b128 v[112:115], v228 offset:1456
	s_waitcnt lgkmcnt(1)
	v_mul_f64 v[6:7], v[220:221], v[74:75]
	v_fmac_f64_e32 v[6:7], v[222:223], v[76:77]
	v_add_f64 v[4:5], v[4:5], v[6:7]
	v_mul_f64 v[6:7], v[146:147], v[226:227]
	ds_read_b128 v[224:227], v228 offset:1472
	v_fma_f64 v[234:235], v[144:145], v[234:235], -v[6:7]
	s_waitcnt lgkmcnt(1)
	v_mul_f64 v[6:7], v[112:113], v[78:79]
	ds_read_b128 v[8:11], v228 offset:1488
	v_fmac_f64_e32 v[6:7], v[114:115], v[80:81]
	v_add_f64 v[4:5], v[4:5], v[6:7]
	v_mul_f64 v[6:7], v[150:151], v[12:13]
	v_fma_f64 v[150:151], v[148:149], v[14:15], -v[6:7]
	s_waitcnt lgkmcnt(1)
	v_mul_f64 v[6:7], v[224:225], v[86:87]
	v_fmac_f64_e32 v[6:7], v[226:227], v[88:89]
	v_add_f64 v[4:5], v[4:5], v[6:7]
	s_waitcnt lgkmcnt(0)
	v_mul_f64 v[6:7], v[8:9], v[130:131]
	v_fmac_f64_e32 v[6:7], v[10:11], v[128:129]
	v_accvgpr_write_b32 a187, v11
	buffer_load_dword v240, off, s[0:3], 0 offset:648
	buffer_load_dword v241, off, s[0:3], 0 offset:652
	v_accvgpr_write_b32 a186, v10
	v_accvgpr_write_b32 a185, v9
	;; [unrolled: 1-line block ×3, first 2 shown]
	v_add_f64 v[4:5], v[4:5], v[6:7]
	ds_read_b128 v[6:9], v228 offset:1504
	ds_read_b128 v[128:131], v228 offset:1520
	v_mul_f64 v[10:11], v[154:155], v[22:23]
	v_fma_f64 v[46:47], v[152:153], v[42:43], -v[10:11]
	v_accvgpr_write_b32 a211, v137
	s_waitcnt lgkmcnt(1)
	v_pk_mov_b32 v[12:13], v[8:9], v[8:9] op_sel:[0,1]
	v_pk_mov_b32 v[10:11], v[6:7], v[6:7] op_sel:[0,1]
	v_mul_f64 v[8:9], v[10:11], v[124:125]
	v_accvgpr_write_b32 a195, v13
	v_fmac_f64_e32 v[8:9], v[12:13], v[122:123]
	v_accvgpr_write_b32 a194, v12
	v_accvgpr_write_b32 a193, v11
	;; [unrolled: 1-line block ×3, first 2 shown]
	ds_read_b128 v[10:13], v228 offset:1536
	v_add_f64 v[4:5], v[4:5], v[8:9]
	s_waitcnt lgkmcnt(1)
	v_mul_f64 v[8:9], v[128:129], v[134:135]
	v_fmac_f64_e32 v[8:9], v[130:131], v[138:139]
	v_add_f64 v[4:5], v[4:5], v[8:9]
	s_waitcnt lgkmcnt(0)
	v_mul_f64 v[8:9], v[10:11], v[136:137]
	v_accvgpr_write_b32 a210, v136
	ds_read_b128 v[136:139], v228 offset:1552
	v_accvgpr_write_b32 a213, v133
	v_fmac_f64_e32 v[8:9], v[12:13], v[132:133]
	v_accvgpr_write_b32 a212, v132
	buffer_load_dword v144, off, s[0:3], 0 offset:640
	buffer_load_dword v145, off, s[0:3], 0 offset:644
	ds_read_b128 v[132:135], v228 offset:1568
	v_accvgpr_write_b32 a203, v131
	v_accvgpr_write_b32 a202, v130
	;; [unrolled: 1-line block ×4, first 2 shown]
	ds_read_b128 v[128:131], v228 offset:1584
	v_add_f64 v[8:9], v[4:5], v[8:9]
	v_mul_f64 v[4:5], v[162:163], v[24:25]
	v_fma_f64 v[22:23], v[160:161], v[36:37], -v[4:5]
	s_waitcnt lgkmcnt(2)
	v_mul_f64 v[36:37], v[136:137], v[120:121]
	v_fmac_f64_e32 v[36:37], v[138:139], v[142:143]
	v_add_f64 v[8:9], v[8:9], v[36:37]
	s_waitcnt lgkmcnt(1)
	v_mul_f64 v[36:37], v[132:133], v[238:239]
	s_waitcnt vmcnt(8)
	v_fmac_f64_e32 v[36:37], v[134:135], v[44:45]
	v_add_f64 v[8:9], v[8:9], v[36:37]
	s_waitcnt vmcnt(6) lgkmcnt(0)
	v_mul_f64 v[36:37], v[128:129], v[16:17]
	v_mul_f64 v[14:15], v[158:159], v[18:19]
	s_waitcnt vmcnt(4)
	v_fmac_f64_e32 v[36:37], v[130:131], v[140:141]
	v_fma_f64 v[146:147], v[156:157], v[20:21], -v[14:15]
	v_add_f64 v[8:9], v[8:9], v[36:37]
	v_fma_f64 v[42:43], v[30:31], v[98:99], -v[32:33]
	ds_read_b128 v[34:37], v228 offset:1600
	ds_read_b128 v[122:125], v228 offset:1616
	buffer_load_dword v148, off, s[0:3], 0 offset:680
	buffer_load_dword v31, off, s[0:3], 0 offset:668
	buffer_load_dword v30, off, s[0:3], 0 offset:664
	buffer_load_dword v157, off, s[0:3], 0 offset:660
	buffer_load_dword v156, off, s[0:3], 0 offset:656
	buffer_load_dword v158, off, s[0:3], 0 offset:672
	buffer_load_dword v149, off, s[0:3], 0 offset:684
	buffer_load_dword v159, off, s[0:3], 0 offset:676
	buffer_load_dword v49, off, s[0:3], 0 offset:716
	buffer_load_dword v48, off, s[0:3], 0 offset:712
	v_accvgpr_write_b32 a207, v13
	v_accvgpr_write_b32 a223, v45
	;; [unrolled: 1-line block ×5, first 2 shown]
	v_mul_f64 v[12:13], v[166:167], v[26:27]
	v_accvgpr_write_b32 a222, v44
	v_fma_f64 v[44:45], v[38:39], v[50:51], -v[40:41]
	v_mul_f64 v[38:39], v[170:171], v[96:97]
	v_fma_f64 v[20:21], v[164:165], v[28:29], -v[12:13]
	v_fma_f64 v[242:243], v[168:169], v[242:243], -v[38:39]
	buffer_load_dword v167, off, s[0:3], 0 offset:700
	buffer_load_dword v166, off, s[0:3], 0 offset:696
	;; [unrolled: 1-line block ×7, first 2 shown]
	v_mul_f64 v[38:39], v[174:175], v[84:85]
	v_fma_f64 v[174:175], v[172:173], v[90:91], -v[38:39]
	buffer_load_dword v162, off, s[0:3], 0 offset:736
	buffer_load_dword v171, off, s[0:3], 0 offset:732
	;; [unrolled: 1-line block ×7, first 2 shown]
	v_mul_f64 v[38:39], v[178:179], v[248:249]
	v_mul_f64 v[40:41], v[186:187], v[126:127]
	v_accvgpr_write_b32 a216, v120
	v_fma_f64 v[250:251], v[176:177], v[250:251], -v[38:39]
	v_fma_f64 v[120:121], v[184:185], v[236:237], -v[40:41]
	buffer_load_dword v237, off, s[0:3], 0 offset:764
	buffer_load_dword v236, off, s[0:3], 0 offset:760
	;; [unrolled: 1-line block ×4, first 2 shown]
	v_accvgpr_write_b32 a221, v17
	v_mul_f64 v[38:39], v[182:183], v[244:245]
	v_accvgpr_write_b32 a220, v16
	v_fma_f64 v[16:17], v[180:181], v[246:247], -v[38:39]
	buffer_load_dword v180, off, s[0:3], 0 offset:776
	buffer_load_dword v182, off, s[0:3], 0 offset:768
	;; [unrolled: 1-line block ×4, first 2 shown]
	v_mul_f64 v[40:41], v[190:191], v[252:253]
	v_fma_f64 v[252:253], v[188:189], v[254:255], -v[40:41]
	v_fma_f64 v[12:13], v[192:193], v[2:3], -v[0:1]
	buffer_load_dword v179, off, s[0:3], 0 offset:812
	buffer_load_dword v185, off, s[0:3], 0 offset:796
	;; [unrolled: 1-line block ×12, first 2 shown]
	v_mul_f64 v[2:3], v[198:199], v[92:93]
	v_fma_f64 v[10:11], v[196:197], v[94:95], -v[2:3]
	buffer_load_dword v196, off, s[0:3], 0 offset:840
	buffer_load_dword v126, off, s[0:3], 0 offset:832
	;; [unrolled: 1-line block ×12, first 2 shown]
	s_waitcnt vmcnt(58) lgkmcnt(1)
	v_mul_f64 v[38:39], v[34:35], v[240:241]
	v_mul_f64 v[14:15], v[202:203], v[100:101]
	v_fma_f64 v[6:7], v[200:201], v[102:103], -v[14:15]
	buffer_load_dword v201, off, s[0:3], 0 offset:892
	buffer_load_dword v200, off, s[0:3], 0 offset:888
	;; [unrolled: 1-line block ×4, first 2 shown]
	ds_read_b128 v[26:29], v228 offset:1648
	ds_read_b128 v[152:155], v228 offset:1664
	v_mul_f64 v[14:15], v[206:207], v[60:61]
	v_mul_f64 v[66:67], v[110:111], v[66:67]
	v_fma_f64 v[14:15], v[204:205], v[70:71], -v[14:15]
	v_fma_f64 v[0:1], v[108:109], v[68:69], -v[66:67]
	v_mul_f64 v[86:87], v[226:227], v[86:87]
	v_fma_f64 v[254:255], v[224:225], v[88:89], -v[86:87]
	ds_read_b128 v[86:89], v228 offset:1824
	ds_read_b128 v[66:69], v228 offset:1744
	v_accvgpr_write_b32 a218, v238
	v_accvgpr_write_b32 a219, v239
	s_waitcnt vmcnt(60)
	v_fmac_f64_e32 v[38:39], v[36:37], v[144:145]
	v_add_f64 v[8:9], v[8:9], v[38:39]
	ds_read_b128 v[38:41], v228 offset:1632
	s_waitcnt vmcnt(57) lgkmcnt(5)
	v_mul_f64 v[18:19], v[122:123], v[30:31]
	s_waitcnt vmcnt(53) lgkmcnt(0)
	v_mul_f64 v[24:25], v[38:39], v[148:149]
	v_fmac_f64_e32 v[18:19], v[124:125], v[156:157]
	v_add_f64 v[8:9], v[8:9], v[18:19]
	s_waitcnt vmcnt(52)
	v_fmac_f64_e32 v[24:25], v[40:41], v[158:159]
	v_add_f64 v[8:9], v[8:9], v[24:25]
	v_mul_f64 v[24:25], v[214:215], v[52:53]
	v_fma_f64 v[24:25], v[212:213], v[54:55], -v[24:25]
	ds_read_b128 v[50:53], v228 offset:1680
	v_mul_f64 v[18:19], v[210:211], v[72:73]
	s_waitcnt vmcnt(48)
	v_mul_f64 v[54:55], v[26:27], v[166:167]
	v_mul_f64 v[60:61], v[152:153], v[48:49]
	s_waitcnt vmcnt(46)
	v_fmac_f64_e32 v[54:55], v[28:29], v[168:169]
	v_add_f64 v[8:9], v[8:9], v[54:55]
	v_mul_f64 v[54:55], v[218:219], v[56:57]
	v_fma_f64 v[2:3], v[216:217], v[58:59], -v[54:55]
	ds_read_b128 v[54:57], v228 offset:1696
	v_fma_f64 v[4:5], v[208:209], v[82:83], -v[18:19]
	s_waitcnt vmcnt(44)
	v_fmac_f64_e32 v[60:61], v[154:155], v[164:165]
	s_waitcnt vmcnt(40) lgkmcnt(1)
	v_mul_f64 v[18:19], v[50:51], v[170:171]
	v_add_f64 v[8:9], v[8:9], v[60:61]
	ds_read_b128 v[58:61], v228 offset:1712
	s_waitcnt vmcnt(38)
	v_fmac_f64_e32 v[18:19], v[52:53], v[172:173]
	v_add_f64 v[8:9], v[8:9], v[18:19]
	s_waitcnt vmcnt(37) lgkmcnt(1)
	v_mul_f64 v[18:19], v[54:55], v[160:161]
	s_waitcnt vmcnt(36)
	v_fmac_f64_e32 v[18:19], v[56:57], v[162:163]
	v_add_f64 v[8:9], v[8:9], v[18:19]
	v_mul_f64 v[18:19], v[106:107], v[62:63]
	v_fma_f64 v[18:19], v[104:105], v[64:65], -v[18:19]
	ds_read_b128 v[62:65], v228 offset:1728
	s_waitcnt vmcnt(34) lgkmcnt(1)
	v_mul_f64 v[70:71], v[58:59], v[236:237]
	s_waitcnt vmcnt(32)
	v_fmac_f64_e32 v[70:71], v[60:61], v[176:177]
	v_add_f64 v[8:9], v[8:9], v[70:71]
	ds_read_b128 v[70:73], v228 offset:1760
	s_waitcnt vmcnt(29) lgkmcnt(1)
	v_mul_f64 v[32:33], v[62:63], v[180:181]
	s_waitcnt vmcnt(28)
	v_fmac_f64_e32 v[32:33], v[64:65], v[182:183]
	s_waitcnt vmcnt(25)
	v_mul_f64 v[82:83], v[66:67], v[184:185]
	v_add_f64 v[8:9], v[8:9], v[32:33]
	v_mul_f64 v[32:33], v[222:223], v[74:75]
	s_waitcnt vmcnt(23)
	v_fmac_f64_e32 v[82:83], v[68:69], v[190:191]
	v_fma_f64 v[32:33], v[220:221], v[76:77], -v[32:33]
	ds_read_b128 v[74:77], v228 offset:1776
	v_add_f64 v[8:9], v[8:9], v[82:83]
	s_waitcnt vmcnt(22) lgkmcnt(1)
	v_mul_f64 v[82:83], v[70:71], v[178:179]
	s_waitcnt vmcnt(20)
	v_fmac_f64_e32 v[82:83], v[72:73], v[188:189]
	v_add_f64 v[90:91], v[8:9], v[82:83]
	ds_read_b128 v[82:85], v228 offset:1792
	v_mul_f64 v[8:9], v[114:115], v[78:79]
	v_fma_f64 v[8:9], v[112:113], v[80:81], -v[8:9]
	ds_read_b128 v[78:81], v228 offset:1808
	s_waitcnt vmcnt(18) lgkmcnt(2)
	v_mul_f64 v[92:93], v[74:75], v[186:187]
	s_waitcnt vmcnt(16)
	v_fmac_f64_e32 v[92:93], v[76:77], v[192:193]
	v_add_f64 v[90:91], v[90:91], v[92:93]
	s_waitcnt vmcnt(13) lgkmcnt(1)
	v_mul_f64 v[92:93], v[82:83], v[196:197]
	s_waitcnt vmcnt(12)
	v_fmac_f64_e32 v[92:93], v[84:85], v[126:127]
	v_add_f64 v[90:91], v[90:91], v[92:93]
	;; [unrolled: 5-line block ×3, first 2 shown]
	s_waitcnt vmcnt(5)
	v_mul_f64 v[92:93], v[86:87], v[194:195]
	s_waitcnt vmcnt(4)
	v_fmac_f64_e32 v[92:93], v[88:89], v[244:245]
	v_add_f64 v[94:95], v[90:91], v[92:93]
	ds_read_b128 v[90:93], v228 offset:1840
	buffer_load_dword v204, off, s[0:3], 0 offset:904
	buffer_load_dword v205, off, s[0:3], 0 offset:908
	buffer_load_dword v206, off, s[0:3], 0 offset:896
	buffer_load_dword v207, off, s[0:3], 0 offset:900
	s_waitcnt vmcnt(6) lgkmcnt(0)
	v_mul_f64 v[96:97], v[90:91], v[200:201]
	s_waitcnt vmcnt(4)
	v_fmac_f64_e32 v[96:97], v[92:93], v[202:203]
	v_add_f64 v[98:99], v[94:95], v[96:97]
	ds_read_b128 v[94:97], v228 offset:1856
	buffer_load_dword v209, off, s[0:3], 0 offset:924
	buffer_load_dword v208, off, s[0:3], 0 offset:920
	buffer_load_dword v211, off, s[0:3], 0 offset:916
	buffer_load_dword v210, off, s[0:3], 0 offset:912
	s_waitcnt vmcnt(6) lgkmcnt(0)
	;; [unrolled: 10-line block ×6, first 2 shown]
	v_mul_f64 v[116:117], v[110:111], v[220:221]
	s_waitcnt vmcnt(4)
	v_fmac_f64_e32 v[116:117], v[112:113], v[222:223]
	v_add_f64 v[224:225], v[114:115], v[116:117]
	ds_read_b128 v[114:117], v228 offset:1936
	v_add_f64 v[228:229], v[118:119], 0
	v_add_f64 v[228:229], v[228:229], v[230:231]
	v_add_f64 v[228:229], v[228:229], v[232:233]
	v_add_f64 v[228:229], v[228:229], v[234:235]
	v_add_f64 v[150:151], v[228:229], v[150:151]
	v_add_f64 v[46:47], v[150:151], v[46:47]
	v_add_f64 v[46:47], v[46:47], v[146:147]
	v_add_f64 v[22:23], v[46:47], v[22:23]
	v_add_f64 v[20:21], v[22:23], v[20:21]
	v_add_f64 v[20:21], v[20:21], v[42:43]
	v_add_f64 v[20:21], v[20:21], v[44:45]
	v_add_f64 v[20:21], v[20:21], v[242:243]
	v_add_f64 v[20:21], v[20:21], v[174:175]
	v_add_f64 v[20:21], v[20:21], v[250:251]
	v_add_f64 v[16:17], v[20:21], v[16:17]
	v_add_f64 v[16:17], v[16:17], v[120:121]
	v_add_f64 v[16:17], v[16:17], v[252:253]
	v_add_f64 v[12:13], v[16:17], v[12:13]
	v_add_f64 v[10:11], v[12:13], v[10:11]
	v_add_f64 v[6:7], v[10:11], v[6:7]
	v_add_f64 v[6:7], v[6:7], v[14:15]
	v_add_f64 v[4:5], v[6:7], v[4:5]
	v_add_f64 v[4:5], v[4:5], v[24:25]
	v_add_f64 v[2:3], v[4:5], v[2:3]
	buffer_load_dword v228, off, s[0:3], 0 offset:48
	buffer_load_dword v229, off, s[0:3], 0 offset:52
	;; [unrolled: 1-line block ×4, first 2 shown]
	v_add_f64 v[2:3], v[2:3], v[18:19]
	v_add_f64 v[0:1], v[2:3], v[0:1]
	v_accvgpr_read_b32 v4, a184
	v_accvgpr_read_b32 v2, a188
	v_accvgpr_read_b32 v6, a186
	v_accvgpr_read_b32 v7, a187
	v_accvgpr_read_b32 v3, a189
	v_add_f64 v[230:231], v[0:1], v[32:33]
	v_mul_f64 v[2:3], v[6:7], v[2:3]
	v_accvgpr_read_b32 v6, a190
	v_add_f64 v[0:1], v[230:231], v[8:9]
	v_accvgpr_read_b32 v5, a185
	v_accvgpr_read_b32 v7, a191
	v_add_f64 v[0:1], v[0:1], v[254:255]
	v_fma_f64 v[2:3], v[4:5], v[6:7], -v[2:3]
	v_add_f64 v[0:1], v[0:1], v[2:3]
	v_accvgpr_read_b32 v4, a192
	v_accvgpr_read_b32 v2, a196
	v_accvgpr_read_b32 v6, a194
	v_accvgpr_read_b32 v7, a195
	v_accvgpr_read_b32 v3, a197
	v_mul_f64 v[2:3], v[6:7], v[2:3]
	v_accvgpr_read_b32 v6, a198
	v_accvgpr_read_b32 v5, a193
	v_accvgpr_read_b32 v7, a199
	v_fma_f64 v[2:3], v[4:5], v[6:7], -v[2:3]
	v_add_f64 v[0:1], v[0:1], v[2:3]
	v_accvgpr_read_b32 v4, a200
	v_accvgpr_read_b32 v2, a208
	v_accvgpr_read_b32 v6, a202
	v_accvgpr_read_b32 v7, a203
	v_accvgpr_read_b32 v3, a209
	v_mul_f64 v[2:3], v[6:7], v[2:3]
	v_accvgpr_read_b32 v6, a214
	v_accvgpr_read_b32 v5, a201
	v_accvgpr_read_b32 v7, a215
	;; [unrolled: 11-line block ×3, first 2 shown]
	v_fma_f64 v[2:3], v[4:5], v[6:7], -v[2:3]
	v_add_f64 v[0:1], v[0:1], v[2:3]
	v_accvgpr_read_b32 v2, a216
	v_accvgpr_read_b32 v3, a217
	v_mul_f64 v[2:3], v[138:139], v[2:3]
	v_fma_f64 v[2:3], v[136:137], v[142:143], -v[2:3]
	v_add_f64 v[0:1], v[0:1], v[2:3]
	v_accvgpr_read_b32 v2, a218
	v_accvgpr_read_b32 v3, a219
	;; [unrolled: 1-line block ×3, first 2 shown]
	v_mul_f64 v[2:3], v[134:135], v[2:3]
	v_accvgpr_read_b32 v5, a223
	v_fma_f64 v[2:3], v[132:133], v[4:5], -v[2:3]
	v_add_f64 v[0:1], v[0:1], v[2:3]
	v_accvgpr_read_b32 v2, a220
	v_accvgpr_read_b32 v3, a221
	v_mul_f64 v[2:3], v[130:131], v[2:3]
	v_fma_f64 v[2:3], v[128:129], v[140:141], -v[2:3]
	v_add_f64 v[0:1], v[0:1], v[2:3]
	v_mul_f64 v[2:3], v[36:37], v[240:241]
	v_fma_f64 v[2:3], v[34:35], v[144:145], -v[2:3]
	v_add_f64 v[0:1], v[0:1], v[2:3]
	;; [unrolled: 3-line block ×22, first 2 shown]
	s_waitcnt vmcnt(6) lgkmcnt(0)
	v_mul_f64 v[2:3], v[116:117], v[226:227]
	v_mul_f64 v[238:239], v[114:115], v[226:227]
	s_waitcnt vmcnt(4)
	v_fma_f64 v[2:3], v[114:115], v[248:249], -v[2:3]
	v_fmac_f64_e32 v[238:239], v[116:117], v[248:249]
	v_add_f64 v[0:1], v[0:1], v[2:3]
	v_add_f64 v[224:225], v[224:225], v[238:239]
	s_waitcnt vmcnt(2)
	v_add_f64 v[0:1], v[228:229], -v[0:1]
	s_waitcnt vmcnt(0)
	v_add_f64 v[2:3], v[252:253], -v[224:225]
	buffer_store_dword v1, off, s[0:3], 0 offset:52
	buffer_store_dword v0, off, s[0:3], 0 offset:48
	;; [unrolled: 1-line block ×4, first 2 shown]
	v_accvgpr_read_b32 v0, a182
	v_cmp_lt_u32_e32 vcc, 1, v0
	s_and_saveexec_b64 s[4:5], vcc
	s_cbranch_execz .LBB124_389
; %bb.388:
	v_accvgpr_read_b32 v0, a181
	buffer_load_dword v2, v0, s[0:3], 0 offen
	buffer_load_dword v3, v0, s[0:3], 0 offen offset:4
	buffer_load_dword v4, v0, s[0:3], 0 offen offset:8
	;; [unrolled: 1-line block ×3, first 2 shown]
	v_mov_b32_e32 v0, 0
	v_accvgpr_read_b32 v1, a183
	buffer_store_dword v0, off, s[0:3], 0 offset:32
	buffer_store_dword v0, off, s[0:3], 0 offset:36
	;; [unrolled: 1-line block ×4, first 2 shown]
	s_waitcnt vmcnt(4)
	ds_write_b128 v1, v[2:5]
.LBB124_389:
	s_or_b64 exec, exec, s[4:5]
	s_waitcnt lgkmcnt(0)
	; wave barrier
	s_waitcnt lgkmcnt(0)
	buffer_load_dword v4, off, s[0:3], 0 offset:48
	buffer_load_dword v5, off, s[0:3], 0 offset:52
	;; [unrolled: 1-line block ×54, first 2 shown]
	v_mov_b32_e32 v80, 0
	ds_read_b128 v[126:129], v80 offset:1008
	ds_read_b128 v[130:133], v80 offset:1024
	;; [unrolled: 1-line block ×9, first 2 shown]
	s_waitcnt vmcnt(50) lgkmcnt(8)
	v_mul_f64 v[0:1], v[126:127], v[230:231]
	v_fmac_f64_e32 v[0:1], v[128:129], v[4:5]
	v_add_f64 v[0:1], v[0:1], 0
	s_waitcnt vmcnt(46) lgkmcnt(7)
	v_mul_f64 v[46:47], v[130:131], v[6:7]
	v_fmac_f64_e32 v[46:47], v[132:133], v[2:3]
	s_waitcnt vmcnt(44) lgkmcnt(6)
	v_mul_f64 v[50:51], v[134:135], v[86:87]
	v_add_f64 v[0:1], v[0:1], v[46:47]
	s_waitcnt vmcnt(42) lgkmcnt(4)
	v_mul_f64 v[58:59], v[142:143], v[228:229]
	s_waitcnt vmcnt(40)
	v_fmac_f64_e32 v[58:59], v[144:145], v[12:13]
	s_waitcnt vmcnt(38)
	v_mul_f64 v[56:57], v[138:139], v[16:17]
	s_waitcnt vmcnt(36) lgkmcnt(2)
	v_mul_f64 v[62:63], v[150:151], v[226:227]
	s_waitcnt vmcnt(34)
	v_fmac_f64_e32 v[62:63], v[152:153], v[124:125]
	s_waitcnt vmcnt(32)
	v_mul_f64 v[60:61], v[146:147], v[14:15]
	v_mul_f64 v[14:15], v[148:149], v[14:15]
	s_waitcnt vmcnt(30) lgkmcnt(1)
	v_mul_f64 v[84:85], v[154:155], v[18:19]
	v_mul_f64 v[18:19], v[156:157], v[18:19]
	s_waitcnt vmcnt(28)
	v_fmac_f64_e32 v[50:51], v[136:137], v[34:35]
	v_add_f64 v[0:1], v[0:1], v[50:51]
	s_waitcnt vmcnt(26)
	v_fmac_f64_e32 v[56:57], v[140:141], v[32:33]
	v_add_f64 v[0:1], v[0:1], v[56:57]
	;; [unrolled: 3-line block ×3, first 2 shown]
	v_add_f64 v[0:1], v[0:1], v[60:61]
	v_add_f64 v[0:1], v[0:1], v[62:63]
	buffer_load_dword v111, off, s[0:3], 0 offset:276
	buffer_load_dword v110, off, s[0:3], 0 offset:272
	;; [unrolled: 1-line block ×62, first 2 shown]
	ds_read_b128 v[162:165], v80 offset:1152
	ds_read_b128 v[166:169], v80 offset:1168
	s_waitcnt vmcnt(62)
	v_fmac_f64_e32 v[84:85], v[156:157], v[26:27]
	v_add_f64 v[0:1], v[0:1], v[84:85]
	s_waitcnt lgkmcnt(2)
	v_mul_f64 v[84:85], v[158:159], v[224:225]
	v_fmac_f64_e32 v[84:85], v[160:161], v[22:23]
	ds_read_b128 v[170:173], v80 offset:1184
	ds_read_b128 v[174:177], v80 offset:1200
	v_add_f64 v[0:1], v[0:1], v[84:85]
	s_waitcnt lgkmcnt(3)
	v_mul_f64 v[84:85], v[162:163], v[42:43]
	v_fmac_f64_e32 v[84:85], v[164:165], v[44:45]
	v_add_f64 v[0:1], v[0:1], v[84:85]
	s_waitcnt lgkmcnt(2)
	v_mul_f64 v[84:85], v[166:167], v[38:39]
	v_fmac_f64_e32 v[84:85], v[168:169], v[40:41]
	ds_read_b128 v[178:181], v80 offset:1216
	ds_read_b128 v[182:185], v80 offset:1232
	v_add_f64 v[0:1], v[0:1], v[84:85]
	s_waitcnt lgkmcnt(3)
	v_mul_f64 v[84:85], v[170:171], v[28:29]
	v_fmac_f64_e32 v[84:85], v[172:173], v[88:89]
	v_add_f64 v[0:1], v[0:1], v[84:85]
	s_waitcnt lgkmcnt(2)
	v_mul_f64 v[84:85], v[174:175], v[52:53]
	v_fmac_f64_e32 v[84:85], v[176:177], v[54:55]
	ds_read_b128 v[186:189], v80 offset:1248
	ds_read_b128 v[190:193], v80 offset:1264
	v_add_f64 v[0:1], v[0:1], v[84:85]
	s_waitcnt vmcnt(58) lgkmcnt(3)
	v_mul_f64 v[84:85], v[178:179], v[8:9]
	s_waitcnt vmcnt(56)
	v_fmac_f64_e32 v[84:85], v[180:181], v[30:31]
	v_add_f64 v[0:1], v[0:1], v[84:85]
	s_waitcnt lgkmcnt(2)
	v_mul_f64 v[84:85], v[182:183], v[48:49]
	v_fmac_f64_e32 v[84:85], v[184:185], v[110:111]
	ds_read_b128 v[194:197], v80 offset:1280
	ds_read_b128 v[198:201], v80 offset:1296
	v_add_f64 v[0:1], v[0:1], v[84:85]
	s_waitcnt vmcnt(50) lgkmcnt(3)
	v_mul_f64 v[84:85], v[186:187], v[10:11]
	s_waitcnt vmcnt(48)
	;; [unrolled: 11-line block ×3, first 2 shown]
	v_fmac_f64_e32 v[84:85], v[196:197], v[112:113]
	v_add_f64 v[0:1], v[0:1], v[84:85]
	s_waitcnt lgkmcnt(2)
	v_mul_f64 v[84:85], v[198:199], v[92:93]
	v_fmac_f64_e32 v[84:85], v[200:201], v[96:97]
	v_add_f64 v[0:1], v[0:1], v[84:85]
	s_waitcnt vmcnt(34) lgkmcnt(1)
	v_mul_f64 v[84:85], v[202:203], v[102:103]
	s_waitcnt vmcnt(32)
	v_fmac_f64_e32 v[84:85], v[204:205], v[106:107]
	v_add_f64 v[0:1], v[0:1], v[84:85]
	s_waitcnt lgkmcnt(0)
	v_mul_f64 v[84:85], v[206:207], v[90:91]
	v_fmac_f64_e32 v[84:85], v[208:209], v[222:223]
	buffer_load_dword v79, off, s[0:3], 0 offset:540
	buffer_load_dword v101, off, s[0:3], 0 offset:524
	;; [unrolled: 1-line block ×8, first 2 shown]
	ds_read_b128 v[210:213], v80 offset:1344
	v_add_f64 v[0:1], v[0:1], v[84:85]
	buffer_load_dword v85, off, s[0:3], 0 offset:556
	buffer_load_dword v84, off, s[0:3], 0 offset:552
	v_fma_f64 v[120:121], v[146:147], v[120:121], -v[14:15]
	v_mul_f64 v[8:9], v[180:181], v[8:9]
	s_waitcnt vmcnt(4)
	v_accvgpr_write_b32 a189, v79
	v_accvgpr_write_b32 a188, v78
	s_waitcnt vmcnt(2)
	v_pk_mov_b32 v[242:243], v[70:71], v[70:71] op_sel:[0,1]
	v_accvgpr_write_b32 a190, v242
	v_accvgpr_write_b32 a191, v243
	s_waitcnt vmcnt(0)
	v_pk_mov_b32 v[232:233], v[84:85], v[84:85] op_sel:[0,1]
	buffer_load_dword v85, off, s[0:3], 0 offset:548
	buffer_load_dword v84, off, s[0:3], 0 offset:544
	ds_read_b128 v[214:217], v80 offset:1360
	v_accvgpr_write_b32 a196, v232
	v_accvgpr_write_b32 a197, v233
	s_waitcnt vmcnt(0)
	v_pk_mov_b32 v[236:237], v[84:85], v[84:85] op_sel:[0,1]
	buffer_load_dword v85, off, s[0:3], 0 offset:572
	buffer_load_dword v84, off, s[0:3], 0 offset:568
	v_accvgpr_write_b32 a198, v236
	v_accvgpr_write_b32 a199, v237
	s_waitcnt vmcnt(0)
	v_pk_mov_b32 v[244:245], v[84:85], v[84:85] op_sel:[0,1]
	buffer_load_dword v85, off, s[0:3], 0 offset:564
	buffer_load_dword v84, off, s[0:3], 0 offset:560
	;; [unrolled: 6-line block ×4, first 2 shown]
	ds_read_b128 v[218:221], v80 offset:1376
	buffer_load_dword v122, off, s[0:3], 0 offset:600
	buffer_load_dword v116, off, s[0:3], 0 offset:592
	;; [unrolled: 1-line block ×4, first 2 shown]
	ds_read_b128 v[70:73], v80 offset:1392
	ds_read_b128 v[252:255], v80 offset:1408
	v_accvgpr_write_b32 a210, v246
	v_accvgpr_write_b32 a211, v247
	s_waitcnt vmcnt(4)
	v_pk_mov_b32 v[250:251], v[84:85], v[84:85] op_sel:[0,1]
	s_waitcnt lgkmcnt(4)
	v_mul_f64 v[84:85], v[210:211], v[68:69]
	v_fmac_f64_e32 v[84:85], v[212:213], v[82:83]
	v_add_f64 v[0:1], v[0:1], v[84:85]
	s_waitcnt lgkmcnt(3)
	v_mul_f64 v[84:85], v[214:215], v[46:47]
	v_fmac_f64_e32 v[84:85], v[216:217], v[50:51]
	v_add_f64 v[0:1], v[0:1], v[84:85]
	;; [unrolled: 4-line block ×3, first 2 shown]
	v_mul_f64 v[84:85], v[128:129], v[230:231]
	v_fma_f64 v[4:5], v[126:127], v[4:5], -v[84:85]
	v_accvgpr_write_b32 a229, v5
	v_accvgpr_write_b32 a228, v4
	s_waitcnt lgkmcnt(1)
	v_mul_f64 v[4:5], v[70:71], v[58:59]
	v_fmac_f64_e32 v[4:5], v[72:73], v[60:61]
	v_add_f64 v[4:5], v[0:1], v[4:5]
	v_mul_f64 v[0:1], v[132:133], v[6:7]
	v_fma_f64 v[238:239], v[130:131], v[2:3], -v[0:1]
	v_mul_f64 v[0:1], v[136:137], v[86:87]
	v_fma_f64 v[130:131], v[134:135], v[34:35], -v[0:1]
	buffer_load_dword v1, off, s[0:3], 0 offset:636
	buffer_load_dword v241, off, s[0:3], 0 offset:620
	;; [unrolled: 1-line block ×8, first 2 shown]
	ds_read_b128 v[84:87], v80 offset:1424
	s_waitcnt lgkmcnt(1)
	v_mul_f64 v[6:7], v[252:253], v[62:63]
	v_fmac_f64_e32 v[6:7], v[254:255], v[64:65]
	v_add_f64 v[4:5], v[4:5], v[6:7]
	ds_read_b128 v[126:129], v80 offset:1456
	v_accvgpr_write_b32 a214, v250
	v_accvgpr_write_b32 a215, v251
	v_fma_f64 v[134:135], v[154:155], v[26:27], -v[18:19]
	s_waitcnt vmcnt(9)
	v_accvgpr_write_b32 a217, v123
	v_accvgpr_write_b32 a216, v122
	v_mul_f64 v[46:47], v[216:217], v[46:47]
	v_mul_f64 v[58:59], v[72:73], v[58:59]
	;; [unrolled: 1-line block ×3, first 2 shown]
	s_waitcnt vmcnt(8)
	v_accvgpr_write_b32 a219, v117
	v_accvgpr_write_b32 a218, v116
	s_waitcnt vmcnt(3)
	v_pk_mov_b32 v[136:137], v[2:3], v[2:3] op_sel:[0,1]
	s_waitcnt vmcnt(2)
	v_pk_mov_b32 v[132:133], v[0:1], v[0:1] op_sel:[0,1]
	v_mul_f64 v[0:1], v[140:141], v[16:17]
	v_fma_f64 v[230:231], v[138:139], v[32:33], -v[0:1]
	ds_read_b128 v[0:3], v80 offset:1440
	s_waitcnt lgkmcnt(2)
	v_mul_f64 v[6:7], v[84:85], v[24:25]
	v_fmac_f64_e32 v[6:7], v[86:87], v[20:21]
	v_add_f64 v[4:5], v[4:5], v[6:7]
	ds_read_b128 v[32:35], v80 offset:1488
	ds_read_b128 v[138:141], v80 offset:1520
	s_waitcnt lgkmcnt(2)
	v_mul_f64 v[6:7], v[0:1], v[74:75]
	v_fmac_f64_e32 v[6:7], v[2:3], v[76:77]
	v_add_f64 v[16:17], v[4:5], v[6:7]
	v_mul_f64 v[4:5], v[144:145], v[228:229]
	v_fma_f64 v[228:229], v[142:143], v[12:13], -v[4:5]
	ds_read_b128 v[4:7], v80 offset:1472
	v_mul_f64 v[12:13], v[126:127], v[118:119]
	v_fmac_f64_e32 v[12:13], v[128:129], v[36:37]
	v_add_f64 v[12:13], v[16:17], v[12:13]
	s_waitcnt lgkmcnt(2)
	v_accvgpr_write_b32 a187, v35
	s_waitcnt lgkmcnt(0)
	v_mul_f64 v[14:15], v[4:5], v[100:101]
	v_fmac_f64_e32 v[14:15], v[6:7], v[104:105]
	v_add_f64 v[12:13], v[12:13], v[14:15]
	v_mul_f64 v[14:15], v[32:33], v[78:79]
	v_fmac_f64_e32 v[14:15], v[34:35], v[242:243]
	v_accvgpr_write_b32 a186, v34
	v_accvgpr_write_b32 a185, v33
	;; [unrolled: 1-line block ×3, first 2 shown]
	ds_read_b128 v[32:35], v80 offset:1504
	v_add_f64 v[12:13], v[12:13], v[14:15]
	v_mul_f64 v[14:15], v[152:153], v[226:227]
	v_fma_f64 v[78:79], v[150:151], v[124:125], -v[14:15]
	v_accvgpr_write_b32 a203, v141
	s_waitcnt lgkmcnt(0)
	v_mul_f64 v[16:17], v[32:33], v[232:233]
	v_accvgpr_write_b32 a195, v35
	v_fmac_f64_e32 v[16:17], v[34:35], v[236:237]
	v_accvgpr_write_b32 a194, v34
	v_accvgpr_write_b32 a193, v33
	;; [unrolled: 1-line block ×3, first 2 shown]
	ds_read_b128 v[32:35], v80 offset:1536
	v_add_f64 v[12:13], v[12:13], v[16:17]
	v_mul_f64 v[16:17], v[138:139], v[244:245]
	v_fmac_f64_e32 v[16:17], v[140:141], v[248:249]
	v_add_f64 v[12:13], v[12:13], v[16:17]
	s_waitcnt lgkmcnt(0)
	v_mul_f64 v[16:17], v[32:33], v[246:247]
	v_fmac_f64_e32 v[16:17], v[34:35], v[250:251]
	v_add_f64 v[12:13], v[12:13], v[16:17]
	v_mul_f64 v[16:17], v[160:161], v[224:225]
	ds_read_b128 v[248:251], v80 offset:1552
	v_fma_f64 v[124:125], v[158:159], v[22:23], -v[16:17]
	ds_read_b128 v[14:17], v80 offset:1568
	buffer_load_dword v227, off, s[0:3], 0 offset:668
	buffer_load_dword v226, off, s[0:3], 0 offset:664
	v_accvgpr_write_b32 a207, v35
	s_waitcnt lgkmcnt(1)
	v_mul_f64 v[26:27], v[248:249], v[122:123]
	v_fmac_f64_e32 v[26:27], v[250:251], v[116:117]
	v_accvgpr_write_b32 a206, v34
	v_accvgpr_write_b32 a205, v33
	;; [unrolled: 1-line block ×3, first 2 shown]
	v_add_f64 v[32:33], v[12:13], v[26:27]
	v_accvgpr_write_b32 a202, v140
	v_accvgpr_write_b32 a201, v139
	v_accvgpr_write_b32 a200, v138
	s_waitcnt lgkmcnt(0)
	v_mul_f64 v[34:35], v[14:15], v[240:241]
	v_mul_f64 v[26:27], v[164:165], v[42:43]
	v_fmac_f64_e32 v[34:35], v[16:17], v[136:137]
	v_accvgpr_write_b32 a225, v133
	v_fma_f64 v[18:19], v[162:163], v[44:45], -v[26:27]
	v_add_f64 v[32:33], v[32:33], v[34:35]
	v_accvgpr_write_b32 a224, v132
	v_mul_f64 v[26:27], v[168:169], v[38:39]
	v_fma_f64 v[152:153], v[166:167], v[40:41], -v[26:27]
	v_mul_f64 v[26:27], v[172:173], v[28:29]
	v_fma_f64 v[160:161], v[170:171], v[88:89], -v[26:27]
	v_accvgpr_write_b32 a223, v17
	v_accvgpr_write_b32 a222, v16
	;; [unrolled: 1-line block ×4, first 2 shown]
	v_fma_f64 v[16:17], v[178:179], v[30:31], -v[8:9]
	v_accvgpr_write_b32 a227, v137
	v_accvgpr_write_b32 a226, v136
	v_mul_f64 v[38:39], v[212:213], v[68:69]
	v_fma_f64 v[14:15], v[210:211], v[82:83], -v[38:39]
	v_fma_f64 v[8:9], v[252:253], v[64:65], -v[62:63]
	v_mul_f64 v[2:3], v[2:3], v[74:75]
	v_fma_f64 v[0:1], v[0:1], v[76:77], -v[2:3]
	v_mul_f64 v[6:7], v[6:7], v[100:101]
	s_waitcnt vmcnt(0)
	v_pk_mov_b32 v[12:13], v[226:227], v[226:227] op_sel:[0,1]
	buffer_load_dword v227, off, s[0:3], 0 offset:660
	buffer_load_dword v226, off, s[0:3], 0 offset:656
	;; [unrolled: 1-line block ×11, first 2 shown]
	ds_read_b128 v[140:143], v80 offset:1584
	buffer_load_dword v148, off, s[0:3], 0 offset:688
	buffer_load_dword v247, off, s[0:3], 0 offset:700
	;; [unrolled: 1-line block ×11, first 2 shown]
	ds_read_b128 v[242:245], v80 offset:1600
	s_waitcnt lgkmcnt(1)
	v_mul_f64 v[34:35], v[140:141], v[132:133]
	buffer_load_dword v133, off, s[0:3], 0 offset:748
	buffer_load_dword v132, off, s[0:3], 0 offset:744
	;; [unrolled: 1-line block ×12, first 2 shown]
	v_fmac_f64_e32 v[34:35], v[142:143], v[234:235]
	v_add_f64 v[42:43], v[32:33], v[34:35]
	v_mul_f64 v[34:35], v[184:185], v[48:49]
	v_mul_f64 v[32:33], v[176:177], v[52:53]
	v_fma_f64 v[110:111], v[182:183], v[110:111], -v[34:35]
	v_mul_f64 v[34:35], v[188:189], v[10:11]
	v_fma_f64 v[88:89], v[174:175], v[54:55], -v[32:33]
	v_fma_f64 v[174:175], v[186:187], v[114:115], -v[34:35]
	v_mul_f64 v[34:35], v[192:193], v[94:95]
	v_fma_f64 v[192:193], v[190:191], v[98:99], -v[34:35]
	buffer_load_dword v172, off, s[0:3], 0 offset:792
	v_mul_f64 v[34:35], v[196:197], v[108:109]
	v_fma_f64 v[194:195], v[194:195], v[112:113], -v[34:35]
	buffer_load_dword v112, off, s[0:3], 0 offset:784
	buffer_load_dword v173, off, s[0:3], 0 offset:796
	;; [unrolled: 1-line block ×11, first 2 shown]
	v_mul_f64 v[34:35], v[200:201], v[92:93]
	v_fma_f64 v[92:93], v[198:199], v[96:97], -v[34:35]
	v_mul_f64 v[34:35], v[204:205], v[102:103]
	v_fma_f64 v[180:181], v[202:203], v[106:107], -v[34:35]
	;; [unrolled: 2-line block ×3, first 2 shown]
	buffer_load_dword v91, off, s[0:3], 0 offset:860
	buffer_load_dword v187, off, s[0:3], 0 offset:844
	;; [unrolled: 1-line block ×12, first 2 shown]
	ds_read_b128 v[136:139], v80 offset:1616
	ds_read_b128 v[38:41], v80 offset:1632
	v_pk_mov_b32 v[34:35], v[12:13], v[12:13] op_sel:[0,1]
	v_fma_f64 v[10:11], v[70:71], v[60:61], -v[58:59]
	v_mul_f64 v[70:71], v[86:87], v[24:25]
	ds_read_b128 v[58:61], v80 offset:1712
	v_fma_f64 v[232:233], v[84:85], v[20:21], -v[70:71]
	ds_read_b128 v[74:77], v80 offset:1776
	ds_read_b128 v[30:33], v80 offset:1792
	buffer_load_dword v86, off, s[0:3], 0 offset:888
	v_accvgpr_read_b32 v20, a228
	v_accvgpr_read_b32 v21, a229
	ds_read_b128 v[62:65], v80 offset:1728
	ds_read_b128 v[70:73], v80 offset:1760
	s_waitcnt vmcnt(55) lgkmcnt(7)
	v_mul_f64 v[44:45], v[242:243], v[122:123]
	s_waitcnt vmcnt(53)
	v_fmac_f64_e32 v[44:45], v[244:245], v[144:145]
	v_add_f64 v[42:43], v[42:43], v[44:45]
	s_waitcnt lgkmcnt(6)
	v_mul_f64 v[44:45], v[136:137], v[12:13]
	v_fmac_f64_e32 v[44:45], v[138:139], v[226:227]
	v_add_f64 v[42:43], v[42:43], v[44:45]
	s_waitcnt vmcnt(50) lgkmcnt(5)
	v_mul_f64 v[44:45], v[38:39], v[236:237]
	s_waitcnt vmcnt(48)
	v_fmac_f64_e32 v[44:45], v[40:41], v[146:147]
	v_add_f64 v[54:55], v[42:43], v[44:45]
	ds_read_b128 v[42:45], v80 offset:1648
	v_fma_f64 v[12:13], v[214:215], v[50:51], -v[46:47]
	ds_read_b128 v[46:49], v80 offset:1664
	v_mul_f64 v[50:51], v[220:221], v[56:57]
	v_fma_f64 v[216:217], v[218:219], v[66:67], -v[50:51]
	ds_read_b128 v[50:53], v80 offset:1680
	s_waitcnt vmcnt(46) lgkmcnt(2)
	v_mul_f64 v[22:23], v[42:43], v[246:247]
	s_waitcnt vmcnt(45)
	v_fmac_f64_e32 v[22:23], v[44:45], v[148:149]
	v_add_f64 v[22:23], v[54:55], v[22:23]
	s_waitcnt vmcnt(42) lgkmcnt(1)
	v_mul_f64 v[54:55], v[46:47], v[154:155]
	s_waitcnt vmcnt(40)
	v_fmac_f64_e32 v[54:55], v[48:49], v[158:159]
	v_add_f64 v[22:23], v[22:23], v[54:55]
	;; [unrolled: 5-line block ×3, first 2 shown]
	ds_read_b128 v[54:57], v80 offset:1696
	s_waitcnt vmcnt(19)
	v_mul_f64 v[2:3], v[70:71], v[176:177]
	s_waitcnt vmcnt(17)
	v_fmac_f64_e32 v[2:3], v[72:73], v[178:179]
	s_waitcnt vmcnt(15)
	v_mul_f64 v[26:27], v[74:75], v[182:183]
	s_waitcnt vmcnt(13)
	v_fmac_f64_e32 v[26:27], v[76:77], v[184:185]
	s_waitcnt lgkmcnt(0)
	v_mul_f64 v[66:67], v[54:55], v[132:133]
	v_fmac_f64_e32 v[66:67], v[56:57], v[162:163]
	v_add_f64 v[22:23], v[22:23], v[66:67]
	v_mul_f64 v[66:67], v[58:59], v[164:165]
	v_fmac_f64_e32 v[66:67], v[60:61], v[168:169]
	v_add_f64 v[22:23], v[22:23], v[66:67]
	;; [unrolled: 3-line block ×3, first 2 shown]
	ds_read_b128 v[66:69], v80 offset:1744
	s_waitcnt lgkmcnt(0)
	v_mul_f64 v[82:83], v[66:67], v[172:173]
	v_fmac_f64_e32 v[82:83], v[68:69], v[112:113]
	v_add_f64 v[22:23], v[22:23], v[82:83]
	v_add_f64 v[2:3], v[22:23], v[2:3]
	v_mul_f64 v[22:23], v[128:129], v[118:119]
	v_fma_f64 v[22:23], v[126:127], v[36:37], -v[22:23]
	v_add_f64 v[2:3], v[2:3], v[26:27]
	ds_read_b128 v[82:85], v80 offset:1808
	ds_read_b128 v[26:29], v80 offset:1824
	buffer_load_dword v126, off, s[0:3], 0 offset:880
	buffer_load_dword v87, off, s[0:3], 0 offset:892
	buffer_load_dword v127, off, s[0:3], 0 offset:884
	ds_read_b128 v[252:255], v80 offset:1840
	buffer_load_dword v129, off, s[0:3], 0 offset:908
	buffer_load_dword v128, off, s[0:3], 0 offset:904
	buffer_load_dword v199, off, s[0:3], 0 offset:900
	buffer_load_dword v198, off, s[0:3], 0 offset:896
	ds_read_b128 v[94:97], v80 offset:1856
	buffer_load_dword v200, off, s[0:3], 0 offset:920
	;; [unrolled: 5-line block ×3, first 2 shown]
	buffer_load_dword v204, off, s[0:3], 0 offset:936
	buffer_load_dword v207, off, s[0:3], 0 offset:932
	;; [unrolled: 1-line block ×3, first 2 shown]
	v_fma_f64 v[36:37], v[4:5], v[104:105], -v[6:7]
	ds_read_b128 v[102:105], v80 offset:1888
	buffer_load_dword v208, off, s[0:3], 0 offset:952
	buffer_load_dword v209, off, s[0:3], 0 offset:956
	;; [unrolled: 1-line block ×4, first 2 shown]
	s_waitcnt vmcnt(29)
	v_mul_f64 v[4:5], v[30:31], v[186:187]
	s_waitcnt vmcnt(27)
	v_fmac_f64_e32 v[4:5], v[32:33], v[222:223]
	v_add_f64 v[2:3], v[2:3], v[4:5]
	s_waitcnt vmcnt(26) lgkmcnt(5)
	v_mul_f64 v[4:5], v[82:83], v[90:91]
	s_waitcnt vmcnt(24)
	v_fmac_f64_e32 v[4:5], v[84:85], v[150:151]
	v_add_f64 v[2:3], v[2:3], v[4:5]
	s_waitcnt vmcnt(22) lgkmcnt(4)
	v_mul_f64 v[4:5], v[26:27], v[188:189]
	s_waitcnt vmcnt(20)
	v_fmac_f64_e32 v[4:5], v[28:29], v[190:191]
	v_add_f64 v[2:3], v[2:3], v[4:5]
	ds_read_b128 v[106:109], v80 offset:1904
	buffer_load_dword v213, off, s[0:3], 0 offset:972
	buffer_load_dword v212, off, s[0:3], 0 offset:968
	;; [unrolled: 1-line block ×4, first 2 shown]
	s_waitcnt vmcnt(21) lgkmcnt(4)
	v_mul_f64 v[4:5], v[252:253], v[86:87]
	s_waitcnt vmcnt(20)
	v_fmac_f64_e32 v[4:5], v[254:255], v[126:127]
	v_add_f64 v[2:3], v[2:3], v[4:5]
	s_waitcnt vmcnt(18) lgkmcnt(3)
	v_mul_f64 v[4:5], v[94:95], v[128:129]
	s_waitcnt vmcnt(16)
	v_fmac_f64_e32 v[4:5], v[96:97], v[198:199]
	v_add_f64 v[2:3], v[2:3], v[4:5]
	;; [unrolled: 5-line block ×5, first 2 shown]
	ds_read_b128 v[4:7], v80 offset:1920
	buffer_load_dword v218, off, s[0:3], 0 offset:984
	buffer_load_dword v219, off, s[0:3], 0 offset:988
	;; [unrolled: 1-line block ×4, first 2 shown]
	s_waitcnt vmcnt(6) lgkmcnt(0)
	v_mul_f64 v[114:115], v[4:5], v[212:213]
	s_waitcnt vmcnt(4)
	v_fmac_f64_e32 v[114:115], v[6:7], v[214:215]
	v_add_f64 v[2:3], v[2:3], v[114:115]
	ds_read_b128 v[114:117], v80 offset:1936
	v_mul_f64 v[6:7], v[6:7], v[212:213]
	v_fma_f64 v[4:5], v[4:5], v[214:215], -v[6:7]
	s_waitcnt vmcnt(2) lgkmcnt(0)
	v_mul_f64 v[118:119], v[114:115], v[218:219]
	s_waitcnt vmcnt(0)
	v_fmac_f64_e32 v[118:119], v[116:117], v[220:221]
	v_add_f64 v[2:3], v[2:3], v[118:119]
	v_add_f64 v[118:119], v[20:21], 0
	v_add_f64 v[118:119], v[118:119], v[238:239]
	v_add_f64 v[118:119], v[118:119], v[130:131]
	v_add_f64 v[118:119], v[118:119], v[230:231]
	v_add_f64 v[118:119], v[118:119], v[228:229]
	v_add_f64 v[118:119], v[118:119], v[120:121]
	v_add_f64 v[24:25], v[118:119], v[78:79]
	v_add_f64 v[24:25], v[24:25], v[134:135]
	v_add_f64 v[20:21], v[24:25], v[124:125]
	v_add_f64 v[18:19], v[20:21], v[18:19]
	v_add_f64 v[18:19], v[18:19], v[152:153]
	v_add_f64 v[18:19], v[18:19], v[160:161]
	v_add_f64 v[18:19], v[18:19], v[88:89]
	v_add_f64 v[16:17], v[18:19], v[16:17]
	v_add_f64 v[16:17], v[16:17], v[110:111]
	v_add_f64 v[16:17], v[16:17], v[174:175]
	v_add_f64 v[16:17], v[16:17], v[192:193]
	v_add_f64 v[16:17], v[16:17], v[194:195]
	v_add_f64 v[16:17], v[16:17], v[92:93]
	v_add_f64 v[16:17], v[16:17], v[180:181]
	v_add_f64 v[16:17], v[16:17], v[196:197]
	v_add_f64 v[14:15], v[16:17], v[14:15]
	v_add_f64 v[12:13], v[14:15], v[12:13]
	v_add_f64 v[12:13], v[12:13], v[216:217]
	v_add_f64 v[10:11], v[12:13], v[10:11]
	buffer_load_dword v12, off, s[0:3], 0 offset:32
	buffer_load_dword v13, off, s[0:3], 0 offset:36
	v_add_f64 v[8:9], v[10:11], v[8:9]
	buffer_load_dword v10, off, s[0:3], 0 offset:40
	buffer_load_dword v11, off, s[0:3], 0 offset:44
	v_add_f64 v[8:9], v[8:9], v[232:233]
	v_add_f64 v[0:1], v[8:9], v[0:1]
	v_accvgpr_read_b32 v14, a184
	v_accvgpr_read_b32 v8, a188
	;; [unrolled: 1-line block ×5, first 2 shown]
	v_mul_f64 v[8:9], v[16:17], v[8:9]
	v_accvgpr_read_b32 v16, a190
	v_add_f64 v[228:229], v[0:1], v[22:23]
	v_accvgpr_read_b32 v15, a185
	v_accvgpr_read_b32 v17, a191
	v_add_f64 v[0:1], v[228:229], v[36:37]
	v_fma_f64 v[8:9], v[14:15], v[16:17], -v[8:9]
	v_add_f64 v[0:1], v[0:1], v[8:9]
	v_accvgpr_read_b32 v14, a192
	v_accvgpr_read_b32 v8, a196
	v_accvgpr_read_b32 v16, a194
	v_accvgpr_read_b32 v17, a195
	v_accvgpr_read_b32 v9, a197
	v_mul_f64 v[8:9], v[16:17], v[8:9]
	v_accvgpr_read_b32 v16, a198
	v_accvgpr_read_b32 v15, a193
	v_accvgpr_read_b32 v17, a199
	v_fma_f64 v[8:9], v[14:15], v[16:17], -v[8:9]
	v_add_f64 v[0:1], v[0:1], v[8:9]
	v_accvgpr_read_b32 v14, a200
	v_accvgpr_read_b32 v8, a208
	v_accvgpr_read_b32 v16, a202
	v_accvgpr_read_b32 v17, a203
	v_accvgpr_read_b32 v9, a209
	v_mul_f64 v[8:9], v[16:17], v[8:9]
	v_accvgpr_read_b32 v16, a212
	v_accvgpr_read_b32 v15, a201
	v_accvgpr_read_b32 v17, a213
	;; [unrolled: 11-line block ×3, first 2 shown]
	v_fma_f64 v[8:9], v[14:15], v[16:17], -v[8:9]
	v_add_f64 v[0:1], v[0:1], v[8:9]
	v_accvgpr_read_b32 v8, a216
	v_accvgpr_read_b32 v9, a217
	;; [unrolled: 1-line block ×3, first 2 shown]
	v_mul_f64 v[8:9], v[250:251], v[8:9]
	v_accvgpr_read_b32 v15, a219
	v_fma_f64 v[8:9], v[248:249], v[14:15], -v[8:9]
	v_accvgpr_read_b32 v14, a220
	v_accvgpr_read_b32 v16, a222
	;; [unrolled: 1-line block ×3, first 2 shown]
	v_add_f64 v[0:1], v[0:1], v[8:9]
	v_mul_f64 v[8:9], v[16:17], v[240:241]
	v_accvgpr_read_b32 v16, a226
	v_accvgpr_read_b32 v15, a221
	;; [unrolled: 1-line block ×3, first 2 shown]
	v_fma_f64 v[8:9], v[14:15], v[16:17], -v[8:9]
	v_add_f64 v[0:1], v[0:1], v[8:9]
	v_accvgpr_read_b32 v8, a224
	v_accvgpr_read_b32 v9, a225
	v_mul_f64 v[8:9], v[142:143], v[8:9]
	v_fma_f64 v[8:9], v[140:141], v[234:235], -v[8:9]
	v_add_f64 v[0:1], v[0:1], v[8:9]
	v_mul_f64 v[8:9], v[244:245], v[122:123]
	v_fma_f64 v[8:9], v[242:243], v[144:145], -v[8:9]
	v_add_f64 v[0:1], v[0:1], v[8:9]
	;; [unrolled: 3-line block ×21, first 2 shown]
	v_add_f64 v[0:1], v[0:1], v[4:5]
	v_mul_f64 v[4:5], v[116:117], v[218:219]
	v_fma_f64 v[4:5], v[114:115], v[220:221], -v[4:5]
	v_add_f64 v[0:1], v[0:1], v[4:5]
	s_waitcnt vmcnt(2)
	v_add_f64 v[0:1], v[12:13], -v[0:1]
	s_waitcnt vmcnt(0)
	v_add_f64 v[2:3], v[10:11], -v[2:3]
	buffer_store_dword v1, off, s[0:3], 0 offset:36
	buffer_store_dword v0, off, s[0:3], 0 offset:32
	;; [unrolled: 1-line block ×4, first 2 shown]
	v_accvgpr_read_b32 v0, a182
	v_cmp_ne_u32_e32 vcc, 0, v0
	s_and_saveexec_b64 s[4:5], vcc
	s_cbranch_execz .LBB124_391
; %bb.390:
	buffer_load_dword v0, off, s[0:3], 0 offset:16
	buffer_load_dword v1, off, s[0:3], 0 offset:20
	;; [unrolled: 1-line block ×4, first 2 shown]
	v_accvgpr_read_b32 v4, a183
	buffer_store_dword v80, off, s[0:3], 0 offset:16
	buffer_store_dword v80, off, s[0:3], 0 offset:20
	;; [unrolled: 1-line block ×4, first 2 shown]
	s_waitcnt vmcnt(4)
	ds_write_b128 v4, v[0:3]
.LBB124_391:
	s_or_b64 exec, exec, s[4:5]
	s_waitcnt lgkmcnt(0)
	; wave barrier
	s_waitcnt lgkmcnt(0)
	buffer_load_dword v4, off, s[0:3], 0 offset:32
	buffer_load_dword v5, off, s[0:3], 0 offset:36
	;; [unrolled: 1-line block ×12, first 2 shown]
	s_and_b64 vcc, exec, s[18:19]
	s_waitcnt vmcnt(0)
	v_pk_mov_b32 v[16:17], v[6:7], v[6:7] op_sel:[0,1]
	buffer_load_dword v133, off, s[0:3], 0 offset:100
	buffer_load_dword v132, off, s[0:3], 0 offset:96
	;; [unrolled: 1-line block ×24, first 2 shown]
	ds_read_b128 v[32:35], v80 offset:992
	ds_read_b128 v[28:31], v80 offset:1008
	;; [unrolled: 1-line block ×9, first 2 shown]
	buffer_load_dword v77, off, s[0:3], 0 offset:204
	buffer_load_dword v76, off, s[0:3], 0 offset:200
	;; [unrolled: 1-line block ×19, first 2 shown]
	v_accvgpr_write_b32 a183, v17
	s_waitcnt lgkmcnt(4)
	v_mul_f64 v[38:39], v[250:251], v[16:17]
	v_accvgpr_write_b32 a182, v16
	buffer_load_dword v114, off, s[0:3], 0 offset:256
	buffer_load_dword v17, off, s[0:3], 0 offset:252
	;; [unrolled: 1-line block ×61, first 2 shown]
	v_mul_f64 v[10:11], v[32:33], v[56:57]
	v_mul_f64 v[12:13], v[28:29], v[2:3]
	v_fmac_f64_e32 v[10:11], v[34:35], v[4:5]
	v_mul_f64 v[14:15], v[228:229], v[226:227]
	v_fmac_f64_e32 v[12:13], v[30:31], v[0:1]
	v_add_f64 v[10:11], v[10:11], 0
	v_add_f64 v[10:11], v[10:11], v[12:13]
	ds_read_b128 v[128:131], v80 offset:1136
	ds_read_b128 v[136:139], v80 offset:1152
	;; [unrolled: 1-line block ×13, first 2 shown]
	buffer_load_dword v191, off, s[0:3], 0 offset:524
	buffer_load_dword v195, off, s[0:3], 0 offset:508
	;; [unrolled: 1-line block ×8, first 2 shown]
	v_mul_f64 v[2:3], v[30:31], v[2:3]
	v_fma_f64 v[0:1], v[28:29], v[0:1], -v[2:3]
	v_accvgpr_write_b32 a231, v1
	v_accvgpr_write_b32 a230, v0
	s_waitcnt vmcnt(62)
	v_fmac_f64_e32 v[38:39], v[252:253], v[132:133]
	v_mul_f64 v[36:37], v[20:21], v[124:125]
	s_waitcnt lgkmcnt(14)
	v_mul_f64 v[46:47], v[40:41], v[24:25]
	v_fmac_f64_e32 v[46:47], v[42:43], v[134:135]
	v_mul_f64 v[44:45], v[116:117], v[240:241]
	v_mul_f64 v[48:49], v[66:67], v[244:245]
	v_fmac_f64_e32 v[14:15], v[230:231], v[8:9]
	v_add_f64 v[10:11], v[10:11], v[14:15]
	v_fmac_f64_e32 v[36:37], v[22:23], v[6:7]
	v_add_f64 v[10:11], v[10:11], v[36:37]
	;; [unrolled: 2-line block ×3, first 2 shown]
	v_add_f64 v[10:11], v[10:11], v[44:45]
	v_fmac_f64_e32 v[48:49], v[68:69], v[60:61]
	v_add_f64 v[10:11], v[10:11], v[46:47]
	v_add_f64 v[10:11], v[10:11], v[48:49]
	s_waitcnt lgkmcnt(13)
	v_mul_f64 v[12:13], v[52:53], v[222:223]
	v_fmac_f64_e32 v[12:13], v[54:55], v[70:71]
	v_add_f64 v[10:11], v[10:11], v[12:13]
	s_waitcnt lgkmcnt(12)
	v_mul_f64 v[12:13], v[128:129], v[92:93]
	v_fmac_f64_e32 v[12:13], v[130:131], v[94:95]
	;; [unrolled: 4-line block ×7, first 2 shown]
	v_add_f64 v[10:11], v[10:11], v[12:13]
	s_waitcnt vmcnt(58) lgkmcnt(6)
	v_mul_f64 v[12:13], v[186:187], v[148:149]
	s_waitcnt vmcnt(56)
	v_fmac_f64_e32 v[12:13], v[188:189], v[18:19]
	v_add_f64 v[10:11], v[10:11], v[12:13]
	s_waitcnt lgkmcnt(5)
	v_mul_f64 v[12:13], v[198:199], v[154:155]
	v_fmac_f64_e32 v[12:13], v[200:201], v[160:161]
	v_add_f64 v[10:11], v[10:11], v[12:13]
	s_waitcnt vmcnt(50) lgkmcnt(4)
	v_mul_f64 v[12:13], v[202:203], v[162:163]
	s_waitcnt vmcnt(48)
	v_fmac_f64_e32 v[12:13], v[204:205], v[164:165]
	v_add_f64 v[10:11], v[10:11], v[12:13]
	s_waitcnt lgkmcnt(3)
	v_mul_f64 v[12:13], v[206:207], v[166:167]
	v_fmac_f64_e32 v[12:13], v[208:209], v[168:169]
	;; [unrolled: 9-line block ×3, first 2 shown]
	v_add_f64 v[10:11], v[10:11], v[12:13]
	ds_read_b128 v[36:39], v80 offset:1344
	buffer_load_dword v13, off, s[0:3], 0 offset:540
	buffer_load_dword v12, off, s[0:3], 0 offset:536
	v_mul_f64 v[14:15], v[34:35], v[56:57]
	v_fma_f64 v[4:5], v[32:33], v[4:5], -v[14:15]
	v_accvgpr_write_b32 a229, v5
	v_accvgpr_write_b32 a228, v4
	v_mul_f64 v[16:17], v[176:177], v[16:17]
	v_fma_f64 v[238:239], v[174:175], v[238:239], -v[16:17]
	v_mul_f64 v[16:17], v[184:185], v[112:113]
	s_waitcnt vmcnt(0)
	v_pk_mov_b32 v[242:243], v[12:13], v[12:13] op_sel:[0,1]
	buffer_load_dword v13, off, s[0:3], 0 offset:532
	buffer_load_dword v12, off, s[0:3], 0 offset:528
	ds_read_b128 v[44:47], v80 offset:1360
	v_accvgpr_write_b32 a186, v242
	v_accvgpr_write_b32 a187, v243
	s_waitcnt vmcnt(0)
	v_pk_mov_b32 v[246:247], v[12:13], v[12:13] op_sel:[0,1]
	s_waitcnt lgkmcnt(2)
	v_mul_f64 v[12:13], v[218:219], v[180:181]
	v_fmac_f64_e32 v[12:13], v[220:221], v[178:179]
	v_add_f64 v[10:11], v[10:11], v[12:13]
	buffer_load_dword v13, off, s[0:3], 0 offset:556
	buffer_load_dword v12, off, s[0:3], 0 offset:552
	buffer_load_dword v121, off, s[0:3], 0 offset:548
	buffer_load_dword v120, off, s[0:3], 0 offset:544
	buffer_load_dword v126, off, s[0:3], 0 offset:584
	buffer_load_dword v123, off, s[0:3], 0 offset:572
	buffer_load_dword v122, off, s[0:3], 0 offset:568
	buffer_load_dword v249, off, s[0:3], 0 offset:564
	buffer_load_dword v248, off, s[0:3], 0 offset:560
	buffer_load_dword v48, off, s[0:3], 0 offset:576
	buffer_load_dword v127, off, s[0:3], 0 offset:588
	buffer_load_dword v49, off, s[0:3], 0 offset:580
	ds_read_b128 v[100:103], v80 offset:1376
	ds_read_b128 v[56:59], v80 offset:1392
	;; [unrolled: 1-line block ×3, first 2 shown]
	buffer_load_dword v1, off, s[0:3], 0 offset:604
	buffer_load_dword v0, off, s[0:3], 0 offset:600
	;; [unrolled: 1-line block ×4, first 2 shown]
	v_accvgpr_write_b32 a188, v246
	v_accvgpr_write_b32 a189, v247
	s_waitcnt vmcnt(9)
	v_accvgpr_write_b32 a207, v123
	v_accvgpr_write_b32 a206, v122
	s_waitcnt vmcnt(7)
	v_accvgpr_write_b32 a212, v248
	v_pk_mov_b32 v[254:255], v[12:13], v[12:13] op_sel:[0,1]
	s_waitcnt lgkmcnt(4)
	v_mul_f64 v[12:13], v[36:37], v[50:51]
	v_fmac_f64_e32 v[12:13], v[38:39], v[104:105]
	v_add_f64 v[10:11], v[10:11], v[12:13]
	s_waitcnt lgkmcnt(3)
	v_mul_f64 v[12:13], v[44:45], v[26:27]
	v_fmac_f64_e32 v[12:13], v[46:47], v[106:107]
	v_add_f64 v[4:5], v[10:11], v[12:13]
	ds_read_b128 v[12:15], v80 offset:1424
	s_waitcnt lgkmcnt(3)
	v_mul_f64 v[10:11], v[100:101], v[88:89]
	v_fmac_f64_e32 v[10:11], v[102:103], v[90:91]
	s_waitcnt vmcnt(2)
	v_pk_mov_b32 v[32:33], v[0:1], v[0:1] op_sel:[0,1]
	v_mul_f64 v[0:1], v[230:231], v[226:227]
	v_add_f64 v[4:5], v[4:5], v[10:11]
	s_waitcnt lgkmcnt(2)
	v_mul_f64 v[10:11], v[56:57], v[96:97]
	v_fma_f64 v[228:229], v[228:229], v[8:9], -v[0:1]
	v_mul_f64 v[0:1], v[22:23], v[124:125]
	v_fmac_f64_e32 v[10:11], v[58:59], v[98:99]
	v_fma_f64 v[230:231], v[20:21], v[6:7], -v[0:1]
	s_waitcnt lgkmcnt(1)
	v_mul_f64 v[0:1], v[62:63], v[78:79]
	v_add_f64 v[4:5], v[4:5], v[10:11]
	v_fmac_f64_e32 v[0:1], v[64:65], v[84:85]
	s_waitcnt lgkmcnt(0)
	v_mul_f64 v[2:3], v[12:13], v[82:83]
	v_add_f64 v[0:1], v[4:5], v[0:1]
	v_fmac_f64_e32 v[2:3], v[14:15], v[86:87]
	v_accvgpr_read_b32 v4, a182
	buffer_load_dword v227, off, s[0:3], 0 offset:620
	buffer_load_dword v226, off, s[0:3], 0 offset:616
	;; [unrolled: 1-line block ×6, first 2 shown]
	v_add_f64 v[20:21], v[0:1], v[2:3]
	ds_read_b128 v[0:3], v80 offset:1440
	v_accvgpr_read_b32 v5, a183
	v_mul_f64 v[4:5], v[252:253], v[4:5]
	v_fma_f64 v[132:133], v[250:251], v[132:133], -v[4:5]
	ds_read_b128 v[4:7], v80 offset:1456
	v_mul_f64 v[8:9], v[118:119], v[240:241]
	v_fma_f64 v[240:241], v[116:117], v[236:237], -v[8:9]
	ds_read_b128 v[8:11], v80 offset:1472
	ds_read_b128 v[28:31], v80 offset:1488
	s_waitcnt lgkmcnt(3)
	v_mul_f64 v[22:23], v[0:1], v[72:73]
	v_fmac_f64_e32 v[22:23], v[2:3], v[74:75]
	v_add_f64 v[20:21], v[20:21], v[22:23]
	s_waitcnt lgkmcnt(2)
	v_mul_f64 v[22:23], v[4:5], v[194:195]
	v_fmac_f64_e32 v[22:23], v[6:7], v[196:197]
	v_add_f64 v[20:21], v[20:21], v[22:23]
	;; [unrolled: 4-line block ×3, first 2 shown]
	v_mul_f64 v[22:23], v[42:43], v[24:25]
	v_fma_f64 v[236:237], v[40:41], v[134:135], -v[22:23]
	ds_read_b128 v[40:43], v80 offset:1504
	v_mul_f64 v[24:25], v[68:69], v[244:245]
	s_waitcnt lgkmcnt(1)
	v_accvgpr_write_b32 a185, v31
	v_fma_f64 v[34:35], v[66:67], v[60:61], -v[24:25]
	buffer_load_dword v25, off, s[0:3], 0 offset:628
	buffer_load_dword v24, off, s[0:3], 0 offset:624
	ds_read_b128 v[66:69], v80 offset:1520
	v_mul_f64 v[22:23], v[28:29], v[242:243]
	v_accvgpr_write_b32 a184, v30
	v_accvgpr_write_b32 a183, v29
	;; [unrolled: 1-line block ×3, first 2 shown]
	v_mul_f64 v[28:29], v[54:55], v[222:223]
	v_fmac_f64_e32 v[22:23], v[30:31], v[246:247]
	v_fma_f64 v[222:223], v[52:53], v[70:71], -v[28:29]
	ds_read_b128 v[28:31], v80 offset:1536
	v_add_f64 v[20:21], v[20:21], v[22:23]
	s_waitcnt lgkmcnt(2)
	v_mul_f64 v[22:23], v[40:41], v[254:255]
	v_fmac_f64_e32 v[22:23], v[42:43], v[120:121]
	v_add_f64 v[20:21], v[20:21], v[22:23]
	s_waitcnt lgkmcnt(1)
	v_mul_f64 v[22:23], v[66:67], v[122:123]
	v_fmac_f64_e32 v[22:23], v[68:69], v[248:249]
	;; [unrolled: 4-line block ×3, first 2 shown]
	v_accvgpr_write_b32 a205, v31
	v_accvgpr_write_b32 a204, v30
	v_accvgpr_write_b32 a203, v29
	v_accvgpr_write_b32 a202, v28
	v_accvgpr_write_b32 a211, v49
	v_add_f64 v[28:29], v[20:21], v[22:23]
	v_mul_f64 v[20:21], v[130:131], v[92:93]
	v_accvgpr_write_b32 a210, v48
	ds_read_b128 v[250:253], v80 offset:1552
	v_fma_f64 v[48:49], v[128:129], v[94:95], -v[20:21]
	buffer_load_dword v21, off, s[0:3], 0 offset:652
	buffer_load_dword v20, off, s[0:3], 0 offset:648
	v_accvgpr_write_b32 a194, v254
	v_mul_f64 v[22:23], v[138:139], v[76:77]
	v_accvgpr_write_b32 a195, v255
	v_mul_f64 v[30:31], v[152:153], v[144:145]
	v_fma_f64 v[150:151], v[150:151], v[146:147], -v[30:31]
	s_waitcnt lgkmcnt(0)
	v_mul_f64 v[30:31], v[250:251], v[32:33]
	s_waitcnt vmcnt(10)
	v_fmac_f64_e32 v[30:31], v[252:253], v[224:225]
	v_add_f64 v[28:29], v[28:29], v[30:31]
	v_mul_f64 v[30:31], v[158:159], v[140:141]
	v_fma_f64 v[140:141], v[156:157], v[142:143], -v[30:31]
	v_accvgpr_write_b32 a215, v33
	v_accvgpr_write_b32 a214, v32
	v_mul_f64 v[32:33], v[188:189], v[148:149]
	v_accvgpr_write_b32 a201, v69
	v_accvgpr_write_b32 a200, v68
	;; [unrolled: 1-line block ×5, first 2 shown]
	v_mul_f64 v[52:53], v[208:209], v[166:167]
	v_accvgpr_write_b32 a196, v120
	v_accvgpr_write_b32 a193, v43
	s_waitcnt vmcnt(8)
	v_accvgpr_write_b32 a218, v226
	v_accvgpr_write_b32 a219, v227
	;; [unrolled: 1-line block ×5, first 2 shown]
	v_mul_f64 v[46:47], v[46:47], v[26:27]
	v_mul_f64 v[38:39], v[38:39], v[50:51]
	v_mul_f64 v[58:59], v[58:59], v[96:97]
	s_waitcnt vmcnt(4)
	v_accvgpr_write_b32 a223, v125
	v_accvgpr_write_b32 a222, v124
	v_mul_f64 v[2:3], v[2:3], v[72:73]
	v_mul_f64 v[14:15], v[14:15], v[82:83]
	v_fma_f64 v[82:83], v[0:1], v[74:75], -v[2:3]
	v_fma_f64 v[12:13], v[12:13], v[86:87], -v[14:15]
	v_accvgpr_write_b32 a220, v232
	v_accvgpr_write_b32 a221, v233
	;; [unrolled: 1-line block ×3, first 2 shown]
	v_mul_f64 v[50:51], v[102:103], v[88:89]
	v_accvgpr_write_b32 a208, v126
	v_fma_f64 v[126:127], v[100:101], v[90:91], -v[50:51]
	v_accvgpr_read_b32 v26, a228
	v_accvgpr_write_b32 a216, v224
	v_accvgpr_read_b32 v27, a229
	v_accvgpr_write_b32 a217, v225
	v_add_f64 v[224:225], v[26:27], 0
	v_accvgpr_read_b32 v26, a230
	v_accvgpr_read_b32 v27, a231
	v_add_f64 v[224:225], v[224:225], v[26:27]
	v_add_f64 v[224:225], v[224:225], v[228:229]
	s_waitcnt vmcnt(2)
	v_pk_mov_b32 v[60:61], v[24:25], v[24:25] op_sel:[0,1]
	v_fma_f64 v[24:25], v[136:137], v[234:235], -v[22:23]
	v_fma_f64 v[234:235], v[206:207], v[168:169], -v[52:53]
	v_mul_f64 v[52:53], v[212:213], v[170:171]
	v_fma_f64 v[92:93], v[210:211], v[172:173], -v[52:53]
	v_accvgpr_write_b32 a225, v61
	v_accvgpr_write_b32 a224, v60
	v_add_f64 v[224:225], v[224:225], v[230:231]
	v_add_f64 v[224:225], v[224:225], v[132:133]
	;; [unrolled: 1-line block ×11, first 2 shown]
	v_accvgpr_write_b32 a213, v249
	s_waitcnt vmcnt(0)
	v_pk_mov_b32 v[54:55], v[20:21], v[20:21] op_sel:[0,1]
	buffer_load_dword v255, off, s[0:3], 0 offset:644
	buffer_load_dword v254, off, s[0:3], 0 offset:640
	;; [unrolled: 1-line block ×10, first 2 shown]
	ds_read_b128 v[134:137], v80 offset:1568
	ds_read_b128 v[244:247], v80 offset:1584
	;; [unrolled: 1-line block ×3, first 2 shown]
	v_accvgpr_write_b32 a227, v55
	v_accvgpr_write_b32 a226, v54
	s_waitcnt lgkmcnt(2)
	v_mul_f64 v[30:31], v[134:135], v[226:227]
	buffer_load_dword v227, off, s[0:3], 0 offset:700
	buffer_load_dword v226, off, s[0:3], 0 offset:696
	;; [unrolled: 1-line block ×16, first 2 shown]
	v_fmac_f64_e32 v[30:31], v[136:137], v[232:233]
	s_waitcnt lgkmcnt(1)
	v_mul_f64 v[42:43], v[244:245], v[124:125]
	v_add_f64 v[40:41], v[28:29], v[30:31]
	v_fmac_f64_e32 v[42:43], v[246:247], v[60:61]
	v_add_f64 v[40:41], v[40:41], v[42:43]
	v_mul_f64 v[42:43], v[216:217], v[108:109]
	v_fma_f64 v[94:95], v[214:215], v[110:111], -v[42:43]
	v_mul_f64 v[42:43], v[220:221], v[180:181]
	v_fma_f64 v[214:215], v[218:219], v[178:179], -v[42:43]
	s_waitcnt lgkmcnt(0)
	v_mul_f64 v[42:43], v[128:129], v[54:55]
	v_fma_f64 v[220:221], v[36:37], v[104:105], -v[38:39]
	s_waitcnt vmcnt(24)
	v_fmac_f64_e32 v[42:43], v[130:131], v[254:255]
	v_add_f64 v[40:41], v[40:41], v[42:43]
	s_waitcnt vmcnt(17)
	v_pk_mov_b32 v[66:67], v[20:21], v[20:21] op_sel:[0,1]
	v_fma_f64 v[20:21], v[186:187], v[18:19], -v[32:33]
	v_mul_f64 v[32:33], v[200:201], v[154:155]
	v_fma_f64 v[68:69], v[198:199], v[160:161], -v[32:33]
	buffer_load_dword v154, off, s[0:3], 0 offset:776
	v_mul_f64 v[32:33], v[204:205], v[162:163]
	v_fma_f64 v[70:71], v[202:203], v[164:165], -v[32:33]
	buffer_load_dword v163, off, s[0:3], 0 offset:764
	buffer_load_dword v162, off, s[0:3], 0 offset:760
	;; [unrolled: 1-line block ×7, first 2 shown]
	ds_read_b128 v[120:123], v80 offset:1616
	buffer_load_dword v167, off, s[0:3], 0 offset:796
	buffer_load_dword v166, off, s[0:3], 0 offset:792
	;; [unrolled: 1-line block ×12, first 2 shown]
	s_waitcnt vmcnt(36)
	v_pk_mov_b32 v[76:77], v[22:23], v[22:23] op_sel:[0,1]
	v_fma_f64 v[22:23], v[182:183], v[114:115], -v[16:17]
	buffer_load_dword v181, off, s[0:3], 0 offset:844
	buffer_load_dword v180, off, s[0:3], 0 offset:840
	;; [unrolled: 1-line block ×12, first 2 shown]
	ds_read_b128 v[116:119], v80 offset:1632
	s_waitcnt lgkmcnt(1)
	v_mul_f64 v[42:43], v[120:121], v[242:243]
	v_fmac_f64_e32 v[42:43], v[122:123], v[138:139]
	v_add_f64 v[40:41], v[40:41], v[42:43]
	v_fma_f64 v[18:19], v[44:45], v[106:107], -v[46:47]
	ds_read_b128 v[44:47], v80 offset:1664
	s_waitcnt lgkmcnt(1)
	v_mul_f64 v[42:43], v[116:117], v[66:67]
	v_fmac_f64_e32 v[42:43], v[118:119], v[76:77]
	v_add_f64 v[52:53], v[40:41], v[42:43]
	ds_read_b128 v[40:43], v80 offset:1648
	ds_read_b128 v[36:39], v80 offset:1680
	v_fma_f64 v[16:17], v[56:57], v[98:99], -v[58:59]
	ds_read_b128 v[56:59], v80 offset:1712
	v_pk_mov_b32 v[124:125], v[66:67], v[66:67] op_sel:[0,1]
	s_waitcnt vmcnt(46) lgkmcnt(2)
	v_mul_f64 v[54:55], v[40:41], v[226:227]
	s_waitcnt vmcnt(44)
	v_fmac_f64_e32 v[54:55], v[42:43], v[146:147]
	v_add_f64 v[52:53], v[52:53], v[54:55]
	s_waitcnt vmcnt(42)
	v_mul_f64 v[54:55], v[44:45], v[144:145]
	s_waitcnt vmcnt(40)
	v_fmac_f64_e32 v[54:55], v[46:47], v[152:153]
	v_add_f64 v[60:61], v[52:53], v[54:55]
	ds_read_b128 v[52:55], v80 offset:1696
	s_waitcnt vmcnt(35) lgkmcnt(2)
	v_mul_f64 v[32:33], v[36:37], v[156:157]
	s_waitcnt vmcnt(33)
	v_fmac_f64_e32 v[32:33], v[38:39], v[158:159]
	v_add_f64 v[32:33], v[60:61], v[32:33]
	v_mul_f64 v[60:61], v[64:65], v[78:79]
	v_fma_f64 v[198:199], v[62:63], v[84:85], -v[60:61]
	ds_read_b128 v[60:63], v80 offset:1728
	ds_read_b128 v[28:31], v80 offset:1760
	s_waitcnt lgkmcnt(2)
	v_mul_f64 v[66:67], v[52:53], v[142:143]
	s_waitcnt vmcnt(32)
	v_fmac_f64_e32 v[66:67], v[54:55], v[148:149]
	v_add_f64 v[32:33], v[32:33], v[66:67]
	ds_read_b128 v[72:75], v80 offset:1776
	v_pk_mov_b32 v[232:233], v[76:77], v[76:77] op_sel:[0,1]
	ds_read_b128 v[76:79], v80 offset:1792
	ds_read_b128 v[84:87], v80 offset:1824
	v_add_f64 v[22:23], v[24:25], v[22:23]
	v_add_f64 v[20:21], v[22:23], v[20:21]
	;; [unrolled: 1-line block ×15, first 2 shown]
	v_accvgpr_read_b32 v18, a182
	v_accvgpr_read_b32 v20, a184
	;; [unrolled: 1-line block ×4, first 2 shown]
	s_waitcnt vmcnt(29)
	v_mul_f64 v[64:65], v[56:57], v[162:163]
	s_waitcnt vmcnt(27)
	v_fmac_f64_e32 v[64:65], v[58:59], v[164:165]
	v_add_f64 v[32:33], v[32:33], v[64:65]
	s_waitcnt vmcnt(25) lgkmcnt(4)
	v_mul_f64 v[64:65], v[60:61], v[154:155]
	s_waitcnt vmcnt(24)
	v_fmac_f64_e32 v[64:65], v[62:63], v[160:161]
	v_add_f64 v[32:33], v[32:33], v[64:65]
	ds_read_b128 v[64:67], v80 offset:1744
	s_waitcnt vmcnt(18) lgkmcnt(4)
	v_mul_f64 v[2:3], v[28:29], v[170:171]
	s_waitcnt vmcnt(16)
	v_fmac_f64_e32 v[2:3], v[30:31], v[174:175]
	s_waitcnt lgkmcnt(0)
	v_mul_f64 v[14:15], v[64:65], v[166:167]
	v_fmac_f64_e32 v[14:15], v[66:67], v[168:169]
	v_add_f64 v[0:1], v[32:33], v[14:15]
	v_add_f64 v[0:1], v[0:1], v[2:3]
	s_waitcnt vmcnt(14)
	v_mul_f64 v[2:3], v[72:73], v[172:173]
	s_waitcnt vmcnt(12)
	v_fmac_f64_e32 v[2:3], v[74:75], v[176:177]
	v_add_f64 v[32:33], v[0:1], v[2:3]
	v_mul_f64 v[0:1], v[6:7], v[194:195]
	v_fma_f64 v[14:15], v[4:5], v[196:197], -v[0:1]
	v_mul_f64 v[0:1], v[10:11], v[190:191]
	ds_read_b128 v[2:5], v80 offset:1808
	v_fma_f64 v[0:1], v[8:9], v[192:193], -v[0:1]
	buffer_load_dword v191, off, s[0:3], 0 offset:892
	buffer_load_dword v190, off, s[0:3], 0 offset:888
	;; [unrolled: 1-line block ×4, first 2 shown]
	ds_read_b128 v[88:91], v80 offset:1840
	buffer_load_dword v194, off, s[0:3], 0 offset:904
	buffer_load_dword v195, off, s[0:3], 0 offset:908
	buffer_load_dword v196, off, s[0:3], 0 offset:896
	buffer_load_dword v197, off, s[0:3], 0 offset:900
	s_waitcnt vmcnt(18)
	v_mul_f64 v[6:7], v[76:77], v[180:181]
	s_waitcnt vmcnt(16)
	v_fmac_f64_e32 v[6:7], v[78:79], v[182:183]
	s_waitcnt vmcnt(13) lgkmcnt(1)
	v_mul_f64 v[8:9], v[2:3], v[186:187]
	v_add_f64 v[6:7], v[32:33], v[6:7]
	s_waitcnt vmcnt(11)
	v_fmac_f64_e32 v[8:9], v[4:5], v[188:189]
	v_add_f64 v[6:7], v[6:7], v[8:9]
	s_waitcnt vmcnt(9)
	v_mul_f64 v[8:9], v[84:85], v[178:179]
	s_waitcnt vmcnt(8)
	v_fmac_f64_e32 v[8:9], v[86:87], v[184:185]
	v_add_f64 v[6:7], v[6:7], v[8:9]
	v_add_f64 v[12:13], v[228:229], v[14:15]
	;; [unrolled: 1-line block ×3, first 2 shown]
	v_accvgpr_read_b32 v12, a186
	v_accvgpr_read_b32 v13, a187
	v_accvgpr_read_b32 v14, a188
	v_mul_f64 v[12:13], v[20:21], v[12:13]
	v_accvgpr_read_b32 v15, a189
	v_fma_f64 v[12:13], v[18:19], v[14:15], -v[12:13]
	v_add_f64 v[0:1], v[0:1], v[12:13]
	v_accvgpr_read_b32 v18, a190
	v_accvgpr_read_b32 v12, a194
	v_accvgpr_read_b32 v20, a192
	v_accvgpr_read_b32 v21, a193
	v_accvgpr_read_b32 v13, a195
	v_accvgpr_read_b32 v14, a196
	v_accvgpr_read_b32 v19, a191
	v_mul_f64 v[12:13], v[20:21], v[12:13]
	v_accvgpr_read_b32 v15, a197
	v_fma_f64 v[12:13], v[18:19], v[14:15], -v[12:13]
	v_add_f64 v[0:1], v[0:1], v[12:13]
	v_accvgpr_read_b32 v18, a198
	v_accvgpr_read_b32 v12, a206
	v_accvgpr_read_b32 v20, a200
	v_accvgpr_read_b32 v21, a201
	;; [unrolled: 11-line block ×3, first 2 shown]
	v_accvgpr_read_b32 v13, a209
	v_accvgpr_read_b32 v14, a210
	v_accvgpr_read_b32 v19, a203
	v_mul_f64 v[12:13], v[20:21], v[12:13]
	v_accvgpr_read_b32 v15, a211
	v_fma_f64 v[12:13], v[18:19], v[14:15], -v[12:13]
	v_add_f64 v[0:1], v[0:1], v[12:13]
	v_accvgpr_read_b32 v12, a214
	v_accvgpr_read_b32 v13, a215
	v_accvgpr_read_b32 v14, a216
	v_mul_f64 v[12:13], v[252:253], v[12:13]
	v_accvgpr_read_b32 v15, a217
	v_fma_f64 v[12:13], v[250:251], v[14:15], -v[12:13]
	v_add_f64 v[0:1], v[0:1], v[12:13]
	;; [unrolled: 7-line block ×4, first 2 shown]
	v_accvgpr_read_b32 v12, a226
	v_accvgpr_read_b32 v13, a227
	v_mul_f64 v[12:13], v[130:131], v[12:13]
	s_waitcnt vmcnt(6) lgkmcnt(0)
	v_mul_f64 v[8:9], v[88:89], v[190:191]
	v_fma_f64 v[12:13], v[128:129], v[254:255], -v[12:13]
	s_waitcnt vmcnt(4)
	v_fmac_f64_e32 v[8:9], v[90:91], v[192:193]
	v_add_f64 v[10:11], v[6:7], v[8:9]
	ds_read_b128 v[6:9], v80 offset:1856
	v_add_f64 v[0:1], v[0:1], v[12:13]
	v_mul_f64 v[12:13], v[122:123], v[242:243]
	v_fma_f64 v[12:13], v[120:121], v[138:139], -v[12:13]
	v_add_f64 v[0:1], v[0:1], v[12:13]
	s_waitcnt vmcnt(2) lgkmcnt(0)
	v_mul_f64 v[32:33], v[6:7], v[194:195]
	s_waitcnt vmcnt(0)
	v_fmac_f64_e32 v[32:33], v[8:9], v[196:197]
	v_add_f64 v[10:11], v[10:11], v[32:33]
	buffer_load_dword v33, off, s[0:3], 0 offset:924
	buffer_load_dword v32, off, s[0:3], 0 offset:920
	;; [unrolled: 1-line block ×4, first 2 shown]
	ds_read_b128 v[96:99], v80 offset:1872
	buffer_load_dword v202, off, s[0:3], 0 offset:936
	buffer_load_dword v203, off, s[0:3], 0 offset:940
	;; [unrolled: 1-line block ×4, first 2 shown]
	v_mul_f64 v[12:13], v[118:119], v[124:125]
	v_fma_f64 v[12:13], v[116:117], v[232:233], -v[12:13]
	v_add_f64 v[0:1], v[0:1], v[12:13]
	v_mul_f64 v[12:13], v[42:43], v[226:227]
	v_fma_f64 v[12:13], v[40:41], v[146:147], -v[12:13]
	v_add_f64 v[0:1], v[0:1], v[12:13]
	v_mul_f64 v[12:13], v[46:47], v[144:145]
	v_fma_f64 v[12:13], v[44:45], v[152:153], -v[12:13]
	v_add_f64 v[0:1], v[0:1], v[12:13]
	v_mul_f64 v[12:13], v[38:39], v[156:157]
	v_fma_f64 v[12:13], v[36:37], v[158:159], -v[12:13]
	v_add_f64 v[0:1], v[0:1], v[12:13]
	v_mul_f64 v[12:13], v[54:55], v[142:143]
	v_fma_f64 v[12:13], v[52:53], v[148:149], -v[12:13]
	v_add_f64 v[0:1], v[0:1], v[12:13]
	v_mul_f64 v[12:13], v[58:59], v[162:163]
	v_fma_f64 v[12:13], v[56:57], v[164:165], -v[12:13]
	v_add_f64 v[0:1], v[0:1], v[12:13]
	v_mul_f64 v[12:13], v[62:63], v[154:155]
	v_fma_f64 v[12:13], v[60:61], v[160:161], -v[12:13]
	v_add_f64 v[0:1], v[0:1], v[12:13]
	v_mul_f64 v[12:13], v[66:67], v[166:167]
	v_fma_f64 v[12:13], v[64:65], v[168:169], -v[12:13]
	v_add_f64 v[0:1], v[0:1], v[12:13]
	v_mul_f64 v[12:13], v[30:31], v[170:171]
	v_fma_f64 v[12:13], v[28:29], v[174:175], -v[12:13]
	v_add_f64 v[0:1], v[0:1], v[12:13]
	v_mul_f64 v[12:13], v[74:75], v[172:173]
	v_fma_f64 v[12:13], v[72:73], v[176:177], -v[12:13]
	v_add_f64 v[0:1], v[0:1], v[12:13]
	v_mul_f64 v[12:13], v[78:79], v[180:181]
	v_fma_f64 v[12:13], v[76:77], v[182:183], -v[12:13]
	v_mul_f64 v[4:5], v[4:5], v[186:187]
	v_add_f64 v[0:1], v[0:1], v[12:13]
	v_fma_f64 v[2:3], v[2:3], v[188:189], -v[4:5]
	v_add_f64 v[0:1], v[0:1], v[2:3]
	v_mul_f64 v[2:3], v[86:87], v[178:179]
	v_fma_f64 v[2:3], v[84:85], v[184:185], -v[2:3]
	v_add_f64 v[0:1], v[0:1], v[2:3]
	v_mul_f64 v[2:3], v[90:91], v[190:191]
	;; [unrolled: 3-line block ×3, first 2 shown]
	v_fma_f64 v[2:3], v[6:7], v[196:197], -v[2:3]
	v_add_f64 v[0:1], v[0:1], v[2:3]
	s_waitcnt vmcnt(6) lgkmcnt(0)
	v_mul_f64 v[100:101], v[96:97], v[32:33]
	v_mul_f64 v[2:3], v[98:99], v[32:33]
	s_waitcnt vmcnt(4)
	v_fmac_f64_e32 v[100:101], v[98:99], v[200:201]
	v_add_f64 v[10:11], v[10:11], v[100:101]
	ds_read_b128 v[100:103], v80 offset:1888
	buffer_load_dword v207, off, s[0:3], 0 offset:956
	buffer_load_dword v206, off, s[0:3], 0 offset:952
	;; [unrolled: 1-line block ×4, first 2 shown]
	v_fma_f64 v[2:3], v[96:97], v[200:201], -v[2:3]
	v_add_f64 v[0:1], v[0:1], v[2:3]
	s_waitcnt vmcnt(6) lgkmcnt(0)
	v_mul_f64 v[104:105], v[100:101], v[202:203]
	s_waitcnt vmcnt(4)
	v_fmac_f64_e32 v[104:105], v[102:103], v[204:205]
	v_add_f64 v[10:11], v[10:11], v[104:105]
	ds_read_b128 v[104:107], v80 offset:1904
	buffer_load_dword v210, off, s[0:3], 0 offset:968
	buffer_load_dword v211, off, s[0:3], 0 offset:972
	;; [unrolled: 1-line block ×4, first 2 shown]
	v_mul_f64 v[2:3], v[102:103], v[202:203]
	v_fma_f64 v[2:3], v[100:101], v[204:205], -v[2:3]
	v_add_f64 v[0:1], v[0:1], v[2:3]
	s_waitcnt vmcnt(6) lgkmcnt(0)
	v_mul_f64 v[108:109], v[104:105], v[206:207]
	v_mul_f64 v[2:3], v[106:107], v[206:207]
	s_waitcnt vmcnt(4)
	v_fmac_f64_e32 v[108:109], v[106:107], v[208:209]
	v_add_f64 v[10:11], v[10:11], v[108:109]
	ds_read_b128 v[108:111], v80 offset:1920
	buffer_load_dword v217, off, s[0:3], 0 offset:988
	buffer_load_dword v216, off, s[0:3], 0 offset:984
	buffer_load_dword v219, off, s[0:3], 0 offset:980
	buffer_load_dword v218, off, s[0:3], 0 offset:976
	v_fma_f64 v[2:3], v[104:105], v[208:209], -v[2:3]
	v_add_f64 v[0:1], v[0:1], v[2:3]
	s_waitcnt vmcnt(6) lgkmcnt(0)
	v_mul_f64 v[112:113], v[108:109], v[210:211]
	s_waitcnt vmcnt(4)
	v_fmac_f64_e32 v[112:113], v[110:111], v[212:213]
	v_add_f64 v[10:11], v[10:11], v[112:113]
	ds_read_b128 v[112:115], v80 offset:1936
	buffer_load_dword v16, off, s[0:3], 0 offset:16
	buffer_load_dword v17, off, s[0:3], 0 offset:20
	;; [unrolled: 1-line block ×4, first 2 shown]
	v_mul_f64 v[2:3], v[110:111], v[210:211]
	v_fma_f64 v[2:3], v[108:109], v[212:213], -v[2:3]
	v_add_f64 v[0:1], v[0:1], v[2:3]
	s_waitcnt vmcnt(6) lgkmcnt(0)
	v_mul_f64 v[2:3], v[114:115], v[216:217]
	v_mul_f64 v[248:249], v[112:113], v[216:217]
	s_waitcnt vmcnt(4)
	v_fma_f64 v[2:3], v[112:113], v[218:219], -v[2:3]
	v_fmac_f64_e32 v[248:249], v[114:115], v[218:219]
	v_add_f64 v[0:1], v[0:1], v[2:3]
	v_add_f64 v[10:11], v[10:11], v[248:249]
	s_waitcnt vmcnt(2)
	v_add_f64 v[0:1], v[16:17], -v[0:1]
	s_waitcnt vmcnt(0)
	v_add_f64 v[2:3], v[224:225], -v[10:11]
	buffer_store_dword v1, off, s[0:3], 0 offset:20
	buffer_store_dword v0, off, s[0:3], 0 offset:16
	;; [unrolled: 1-line block ×4, first 2 shown]
	s_cbranch_vccz .LBB124_513
; %bb.392:
	v_pk_mov_b32 v[0:1], s[16:17], s[16:17] op_sel:[0,1]
	flat_load_dword v0, v[0:1] offset:236
	s_waitcnt vmcnt(0) lgkmcnt(0)
	v_add_u32_e32 v0, -1, v0
	v_cmp_ne_u32_e32 vcc, 59, v0
	s_and_saveexec_b64 s[4:5], vcc
	s_cbranch_execz .LBB124_394
; %bb.393:
	v_mov_b32_e32 v1, 16
	v_accvgpr_read_b32 v9, a123
	v_lshl_add_u32 v0, v0, 4, v1
	buffer_load_dword v1, v9, s[0:3], 0 offen offset:4
	buffer_load_dword v2, v9, s[0:3], 0 offen offset:8
	buffer_load_dword v3, v9, s[0:3], 0 offen offset:12
	buffer_load_dword v4, v0, s[0:3], 0 offen
	buffer_load_dword v5, v0, s[0:3], 0 offen offset:4
	buffer_load_dword v6, v0, s[0:3], 0 offen offset:8
	buffer_load_dword v7, v0, s[0:3], 0 offen offset:12
	buffer_load_dword v8, v9, s[0:3], 0 offen
	s_waitcnt vmcnt(4)
	buffer_store_dword v4, v9, s[0:3], 0 offen
	s_waitcnt vmcnt(4)
	buffer_store_dword v5, v9, s[0:3], 0 offen offset:4
	s_waitcnt vmcnt(4)
	buffer_store_dword v6, v9, s[0:3], 0 offen offset:8
	s_waitcnt vmcnt(4)
	buffer_store_dword v7, v9, s[0:3], 0 offen offset:12
	buffer_store_dword v3, v0, s[0:3], 0 offen offset:12
	buffer_store_dword v2, v0, s[0:3], 0 offen offset:8
	buffer_store_dword v1, v0, s[0:3], 0 offen offset:4
	s_waitcnt vmcnt(7)
	buffer_store_dword v8, v0, s[0:3], 0 offen
.LBB124_394:
	s_or_b64 exec, exec, s[4:5]
	v_pk_mov_b32 v[0:1], s[16:17], s[16:17] op_sel:[0,1]
	flat_load_dword v0, v[0:1] offset:232
	s_waitcnt vmcnt(0) lgkmcnt(0)
	v_add_u32_e32 v0, -1, v0
	v_cmp_ne_u32_e32 vcc, 58, v0
	s_and_saveexec_b64 s[4:5], vcc
	s_cbranch_execz .LBB124_396
; %bb.395:
	v_mov_b32_e32 v1, 16
	v_accvgpr_read_b32 v9, a124
	v_lshl_add_u32 v0, v0, 4, v1
	buffer_load_dword v1, v9, s[0:3], 0 offen offset:4
	buffer_load_dword v2, v9, s[0:3], 0 offen offset:8
	buffer_load_dword v3, v9, s[0:3], 0 offen offset:12
	buffer_load_dword v4, v0, s[0:3], 0 offen
	buffer_load_dword v5, v0, s[0:3], 0 offen offset:4
	buffer_load_dword v6, v0, s[0:3], 0 offen offset:8
	buffer_load_dword v7, v0, s[0:3], 0 offen offset:12
	buffer_load_dword v8, v9, s[0:3], 0 offen
	s_waitcnt vmcnt(4)
	buffer_store_dword v4, v9, s[0:3], 0 offen
	s_waitcnt vmcnt(4)
	buffer_store_dword v5, v9, s[0:3], 0 offen offset:4
	s_waitcnt vmcnt(4)
	buffer_store_dword v6, v9, s[0:3], 0 offen offset:8
	s_waitcnt vmcnt(4)
	buffer_store_dword v7, v9, s[0:3], 0 offen offset:12
	buffer_store_dword v3, v0, s[0:3], 0 offen offset:12
	buffer_store_dword v2, v0, s[0:3], 0 offen offset:8
	buffer_store_dword v1, v0, s[0:3], 0 offen offset:4
	s_waitcnt vmcnt(7)
	buffer_store_dword v8, v0, s[0:3], 0 offen
.LBB124_396:
	s_or_b64 exec, exec, s[4:5]
	;; [unrolled: 34-line block ×59, first 2 shown]
	v_pk_mov_b32 v[0:1], s[16:17], s[16:17] op_sel:[0,1]
	flat_load_dword v0, v[0:1]
	s_waitcnt vmcnt(0) lgkmcnt(0)
	v_add_u32_e32 v0, -1, v0
	v_cmp_ne_u32_e32 vcc, 0, v0
	s_and_saveexec_b64 s[4:5], vcc
	s_cbranch_execz .LBB124_512
; %bb.511:
	v_mov_b32_e32 v1, 16
	v_lshl_add_u32 v0, v0, 4, v1
	buffer_load_dword v1, v0, s[0:3], 0 offen
	buffer_load_dword v2, v0, s[0:3], 0 offen offset:4
	buffer_load_dword v3, v0, s[0:3], 0 offen offset:8
	buffer_load_dword v4, v0, s[0:3], 0 offen offset:12
	buffer_load_dword v5, off, s[0:3], 0 offset:28
	buffer_load_dword v6, off, s[0:3], 0 offset:24
	;; [unrolled: 1-line block ×4, first 2 shown]
	s_waitcnt vmcnt(7)
	buffer_store_dword v1, off, s[0:3], 0 offset:16
	s_waitcnt vmcnt(7)
	buffer_store_dword v2, off, s[0:3], 0 offset:20
	;; [unrolled: 2-line block ×4, first 2 shown]
	s_waitcnt vmcnt(7)
	buffer_store_dword v5, v0, s[0:3], 0 offen offset:12
	s_waitcnt vmcnt(7)
	buffer_store_dword v6, v0, s[0:3], 0 offen offset:8
	;; [unrolled: 2-line block ×3, first 2 shown]
	s_waitcnt vmcnt(7)
	buffer_store_dword v8, v0, s[0:3], 0 offen
.LBB124_512:
	s_or_b64 exec, exec, s[4:5]
.LBB124_513:
	buffer_load_dword v0, off, s[0:3], 0 offset:16
	buffer_load_dword v1, off, s[0:3], 0 offset:20
	;; [unrolled: 1-line block ×4, first 2 shown]
	v_accvgpr_read_b32 v4, a32
	v_accvgpr_read_b32 v5, a33
	s_waitcnt vmcnt(0)
	global_store_dwordx4 v[4:5], v[0:3], off
	s_nop 0
	v_accvgpr_read_b32 v3, a181
	buffer_load_dword v0, v3, s[0:3], 0 offen
	buffer_load_dword v1, v3, s[0:3], 0 offen offset:4
	buffer_load_dword v2, v3, s[0:3], 0 offen offset:8
	s_nop 0
	buffer_load_dword v3, v3, s[0:3], 0 offen offset:12
	v_accvgpr_read_b32 v4, a26
	v_accvgpr_read_b32 v5, a27
	s_waitcnt vmcnt(0)
	global_store_dwordx4 v[4:5], v[0:3], off
	s_nop 0
	v_accvgpr_read_b32 v3, a180
	buffer_load_dword v0, v3, s[0:3], 0 offen
	buffer_load_dword v1, v3, s[0:3], 0 offen offset:4
	buffer_load_dword v2, v3, s[0:3], 0 offen offset:8
	s_nop 0
	buffer_load_dword v3, v3, s[0:3], 0 offen offset:12
	;; [unrolled: 11-line block ×19, first 2 shown]
	v_accvgpr_read_b32 v4, a38
	v_accvgpr_read_b32 v5, a39
	s_waitcnt vmcnt(0)
	global_store_dwordx4 v[4:5], v[0:3], off
	v_accvgpr_read_b32 v4, a162
	buffer_load_dword v0, v4, s[0:3], 0 offen
	buffer_load_dword v1, v4, s[0:3], 0 offen offset:4
	buffer_load_dword v2, v4, s[0:3], 0 offen offset:8
	buffer_load_dword v3, v4, s[0:3], 0 offen offset:12
	v_accvgpr_read_b32 v4, a40
	v_accvgpr_read_b32 v5, a41
	s_waitcnt vmcnt(0)
	global_store_dwordx4 v[4:5], v[0:3], off
	v_accvgpr_read_b32 v4, a161
	buffer_load_dword v0, v4, s[0:3], 0 offen
	buffer_load_dword v1, v4, s[0:3], 0 offen offset:4
	buffer_load_dword v2, v4, s[0:3], 0 offen offset:8
	buffer_load_dword v3, v4, s[0:3], 0 offen offset:12
	;; [unrolled: 9-line block ×41, first 2 shown]
	v_accvgpr_read_b32 v4, a82
	v_accvgpr_read_b32 v5, a83
	s_waitcnt vmcnt(0)
	global_store_dwordx4 v[4:5], v[0:3], off
	s_endpgm
	.section	.rodata,"a",@progbits
	.p2align	6, 0x0
	.amdhsa_kernel _ZN9rocsolver6v33100L18getri_kernel_smallILi61E19rocblas_complex_numIdEPKPS3_EEvT1_iilPiilS8_bb
		.amdhsa_group_segment_fixed_size 1960
		.amdhsa_private_segment_fixed_size 1008
		.amdhsa_kernarg_size 60
		.amdhsa_user_sgpr_count 8
		.amdhsa_user_sgpr_private_segment_buffer 1
		.amdhsa_user_sgpr_dispatch_ptr 0
		.amdhsa_user_sgpr_queue_ptr 0
		.amdhsa_user_sgpr_kernarg_segment_ptr 1
		.amdhsa_user_sgpr_dispatch_id 0
		.amdhsa_user_sgpr_flat_scratch_init 1
		.amdhsa_user_sgpr_kernarg_preload_length 0
		.amdhsa_user_sgpr_kernarg_preload_offset 0
		.amdhsa_user_sgpr_private_segment_size 0
		.amdhsa_uses_dynamic_stack 0
		.amdhsa_system_sgpr_private_segment_wavefront_offset 1
		.amdhsa_system_sgpr_workgroup_id_x 1
		.amdhsa_system_sgpr_workgroup_id_y 0
		.amdhsa_system_sgpr_workgroup_id_z 0
		.amdhsa_system_sgpr_workgroup_info 0
		.amdhsa_system_vgpr_workitem_id 0
		.amdhsa_next_free_vgpr 489
		.amdhsa_next_free_sgpr 30
		.amdhsa_accum_offset 256
		.amdhsa_reserve_vcc 1
		.amdhsa_reserve_flat_scratch 1
		.amdhsa_float_round_mode_32 0
		.amdhsa_float_round_mode_16_64 0
		.amdhsa_float_denorm_mode_32 3
		.amdhsa_float_denorm_mode_16_64 3
		.amdhsa_dx10_clamp 1
		.amdhsa_ieee_mode 1
		.amdhsa_fp16_overflow 0
		.amdhsa_tg_split 0
		.amdhsa_exception_fp_ieee_invalid_op 0
		.amdhsa_exception_fp_denorm_src 0
		.amdhsa_exception_fp_ieee_div_zero 0
		.amdhsa_exception_fp_ieee_overflow 0
		.amdhsa_exception_fp_ieee_underflow 0
		.amdhsa_exception_fp_ieee_inexact 0
		.amdhsa_exception_int_div_zero 0
	.end_amdhsa_kernel
	.section	.text._ZN9rocsolver6v33100L18getri_kernel_smallILi61E19rocblas_complex_numIdEPKPS3_EEvT1_iilPiilS8_bb,"axG",@progbits,_ZN9rocsolver6v33100L18getri_kernel_smallILi61E19rocblas_complex_numIdEPKPS3_EEvT1_iilPiilS8_bb,comdat
.Lfunc_end124:
	.size	_ZN9rocsolver6v33100L18getri_kernel_smallILi61E19rocblas_complex_numIdEPKPS3_EEvT1_iilPiilS8_bb, .Lfunc_end124-_ZN9rocsolver6v33100L18getri_kernel_smallILi61E19rocblas_complex_numIdEPKPS3_EEvT1_iilPiilS8_bb
                                        ; -- End function
	.section	.AMDGPU.csdata,"",@progbits
; Kernel info:
; codeLenInByte = 231588
; NumSgprs: 36
; NumVgprs: 256
; NumAgprs: 233
; TotalNumVgprs: 489
; ScratchSize: 1008
; MemoryBound: 0
; FloatMode: 240
; IeeeMode: 1
; LDSByteSize: 1960 bytes/workgroup (compile time only)
; SGPRBlocks: 4
; VGPRBlocks: 61
; NumSGPRsForWavesPerEU: 36
; NumVGPRsForWavesPerEU: 489
; AccumOffset: 256
; Occupancy: 1
; WaveLimiterHint : 1
; COMPUTE_PGM_RSRC2:SCRATCH_EN: 1
; COMPUTE_PGM_RSRC2:USER_SGPR: 8
; COMPUTE_PGM_RSRC2:TRAP_HANDLER: 0
; COMPUTE_PGM_RSRC2:TGID_X_EN: 1
; COMPUTE_PGM_RSRC2:TGID_Y_EN: 0
; COMPUTE_PGM_RSRC2:TGID_Z_EN: 0
; COMPUTE_PGM_RSRC2:TIDIG_COMP_CNT: 0
; COMPUTE_PGM_RSRC3_GFX90A:ACCUM_OFFSET: 63
; COMPUTE_PGM_RSRC3_GFX90A:TG_SPLIT: 0
	.section	.text._ZN9rocsolver6v33100L18getri_kernel_smallILi62E19rocblas_complex_numIdEPKPS3_EEvT1_iilPiilS8_bb,"axG",@progbits,_ZN9rocsolver6v33100L18getri_kernel_smallILi62E19rocblas_complex_numIdEPKPS3_EEvT1_iilPiilS8_bb,comdat
	.globl	_ZN9rocsolver6v33100L18getri_kernel_smallILi62E19rocblas_complex_numIdEPKPS3_EEvT1_iilPiilS8_bb ; -- Begin function _ZN9rocsolver6v33100L18getri_kernel_smallILi62E19rocblas_complex_numIdEPKPS3_EEvT1_iilPiilS8_bb
	.p2align	8
	.type	_ZN9rocsolver6v33100L18getri_kernel_smallILi62E19rocblas_complex_numIdEPKPS3_EEvT1_iilPiilS8_bb,@function
_ZN9rocsolver6v33100L18getri_kernel_smallILi62E19rocblas_complex_numIdEPKPS3_EEvT1_iilPiilS8_bb: ; @_ZN9rocsolver6v33100L18getri_kernel_smallILi62E19rocblas_complex_numIdEPKPS3_EEvT1_iilPiilS8_bb
; %bb.0:
	s_add_u32 flat_scratch_lo, s6, s9
	s_addc_u32 flat_scratch_hi, s7, 0
	s_add_u32 s0, s0, s9
	v_mov_b32_e32 v178, v0
	s_addc_u32 s1, s1, 0
	v_cmp_gt_u32_e32 vcc, 62, v178
	s_and_saveexec_b64 s[6:7], vcc
	s_cbranch_execz .LBB125_274
; %bb.1:
	s_load_dword s10, s[4:5], 0x38
	s_load_dwordx2 s[6:7], s[4:5], 0x0
	s_load_dwordx4 s[12:15], s[4:5], 0x28
	s_waitcnt lgkmcnt(0)
	s_bitcmp1_b32 s10, 8
	s_cselect_b64 s[18:19], -1, 0
	s_ashr_i32 s9, s8, 31
	s_lshl_b64 s[16:17], s[8:9], 3
	s_add_u32 s6, s6, s16
	s_addc_u32 s7, s7, s17
	s_load_dwordx2 s[6:7], s[6:7], 0x0
	s_bfe_u32 s11, s10, 0x10008
	s_cmp_eq_u32 s11, 0
                                        ; implicit-def: $sgpr16_sgpr17
	s_cbranch_scc1 .LBB125_3
; %bb.2:
	s_load_dword s16, s[4:5], 0x20
	s_load_dwordx2 s[20:21], s[4:5], 0x18
	s_mul_i32 s11, s8, s13
	s_mul_hi_u32 s13, s8, s12
	s_add_i32 s11, s13, s11
	s_mul_i32 s13, s9, s12
	s_add_i32 s13, s11, s13
	s_mul_i32 s12, s8, s12
	s_waitcnt lgkmcnt(0)
	s_ashr_i32 s17, s16, 31
	s_lshl_b64 s[12:13], s[12:13], 2
	s_add_u32 s11, s20, s12
	s_addc_u32 s20, s21, s13
	s_lshl_b64 s[12:13], s[16:17], 2
	s_add_u32 s16, s11, s12
	s_addc_u32 s17, s20, s13
.LBB125_3:
	s_load_dwordx2 s[4:5], s[4:5], 0x8
	v_lshlrev_b32_e32 v1, 4, v178
	s_waitcnt lgkmcnt(0)
	s_ashr_i32 s13, s4, 31
	s_mov_b32 s12, s4
	s_lshl_b64 s[12:13], s[12:13], 4
	s_add_u32 s6, s6, s12
	s_addc_u32 s7, s7, s13
	s_add_i32 s4, s5, s5
	v_add_u32_e32 v2, s4, v178
	v_add_u32_e32 v6, s5, v2
	;; [unrolled: 1-line block ×57, first 2 shown]
	v_mov_b32_e32 v5, s7
	v_ashrrev_i32_e32 v3, 31, v2
	v_add_co_u32_e32 v94, vcc, s6, v1
	v_add_u32_e32 v16, s5, v18
	v_addc_co_u32_e32 v95, vcc, 0, v5, vcc
	v_lshlrev_b64 v[2:3], 4, v[2:3]
	v_add_u32_e32 v14, s5, v16
	v_mov_b32_e32 v4, s7
	v_add_co_u32_e32 v98, vcc, s6, v2
	v_add_u32_e32 v2, s5, v14
	v_addc_co_u32_e32 v99, vcc, v4, v3, vcc
	v_ashrrev_i32_e32 v3, 31, v2
	v_lshlrev_b64 v[2:3], 4, v[2:3]
	v_mov_b32_e32 v0, s7
	v_add_co_u32_e32 v2, vcc, s6, v2
	s_ashr_i32 s13, s5, 31
	s_mov_b32 s12, s5
	v_addc_co_u32_e32 v3, vcc, v0, v3, vcc
	s_lshl_b64 s[4:5], s[12:13], 4
	global_load_dwordx4 v[10:13], v1, s[6:7]
	v_mov_b32_e32 v0, s5
	v_add_co_u32_e32 v96, vcc, s4, v94
	v_addc_co_u32_e32 v97, vcc, v95, v0, vcc
	v_accvgpr_write_b32 a66, v94
	v_accvgpr_write_b32 a123, v97
	v_accvgpr_write_b32 a67, v95
	v_accvgpr_write_b32 a122, v96
	global_load_dwordx4 v[94:97], v[96:97], off
	v_accvgpr_write_b32 a32, v98
	v_ashrrev_i32_e32 v7, 31, v6
	v_accvgpr_write_b32 a33, v99
	global_load_dwordx4 v[98:101], v[98:99], off
	v_lshlrev_b64 v[6:7], 4, v[6:7]
	v_mov_b32_e32 v0, s7
	v_add_co_u32_e32 v102, vcc, s6, v6
	v_addc_co_u32_e32 v103, vcc, v0, v7, vcc
	v_accvgpr_write_b32 a119, v103
	v_ashrrev_i32_e32 v9, 31, v8
	v_accvgpr_write_b32 a118, v102
	global_load_dwordx4 v[102:105], v[102:103], off
	v_lshlrev_b64 v[6:7], 4, v[8:9]
	v_add_co_u32_e32 v6, vcc, s6, v6
	v_addc_co_u32_e32 v7, vcc, v0, v7, vcc
	v_accvgpr_write_b32 a111, v7
	global_load_dwordx4 v[106:109], v[6:7], off
	v_ashrrev_i32_e32 v111, 31, v110
	v_accvgpr_write_b32 a110, v6
	v_lshlrev_b64 v[6:7], 4, v[110:111]
	v_add_co_u32_e32 v8, vcc, s6, v6
	v_addc_co_u32_e32 v9, vcc, v0, v7, vcc
	v_ashrrev_i32_e32 v113, 31, v112
	v_lshlrev_b64 v[6:7], 4, v[112:113]
	global_load_dwordx4 v[110:113], v[8:9], off
	v_add_co_u32_e32 v6, vcc, s6, v6
	v_addc_co_u32_e32 v7, vcc, v0, v7, vcc
	global_load_dwordx4 v[114:117], v[6:7], off
	v_accvgpr_write_b32 a103, v7
	v_ashrrev_i32_e32 v119, 31, v118
	v_accvgpr_write_b32 a113, v9
	v_accvgpr_write_b32 a102, v6
	v_lshlrev_b64 v[6:7], 4, v[118:119]
	v_accvgpr_write_b32 a112, v8
	v_add_co_u32_e32 v8, vcc, s6, v6
	v_addc_co_u32_e32 v9, vcc, v0, v7, vcc
	v_ashrrev_i32_e32 v121, 31, v120
	v_lshlrev_b64 v[6:7], 4, v[120:121]
	global_load_dwordx4 v[118:121], v[8:9], off
	v_add_co_u32_e32 v6, vcc, s6, v6
	v_addc_co_u32_e32 v7, vcc, v0, v7, vcc
	global_load_dwordx4 v[122:125], v[6:7], off
	v_accvgpr_write_b32 a97, v7
	v_ashrrev_i32_e32 v127, 31, v126
	v_accvgpr_write_b32 a105, v9
	v_accvgpr_write_b32 a96, v6
	v_lshlrev_b64 v[6:7], 4, v[126:127]
	v_accvgpr_write_b32 a104, v8
	;; [unrolled: 14-line block ×7, first 2 shown]
	v_add_co_u32_e32 v8, vcc, s6, v6
	v_addc_co_u32_e32 v9, vcc, v0, v7, vcc
	v_ashrrev_i32_e32 v169, 31, v168
	v_lshlrev_b64 v[6:7], 4, v[168:169]
	global_load_dwordx4 v[166:169], v[8:9], off
	v_add_co_u32_e32 v6, vcc, s6, v6
	v_addc_co_u32_e32 v7, vcc, v0, v7, vcc
	v_accvgpr_write_b32 a45, v9
	v_accvgpr_write_b32 a31, v7
	v_accvgpr_write_b32 a0, v2
	v_accvgpr_write_b32 a44, v8
	v_accvgpr_write_b32 a30, v6
	global_load_dwordx4 v[6:9], v[6:7], off
	v_ashrrev_i32_e32 v93, 31, v92
	v_accvgpr_write_b32 a1, v3
	global_load_dwordx4 v[2:5], v[2:3], off
	v_ashrrev_i32_e32 v91, 31, v90
	s_waitcnt vmcnt(21)
	buffer_store_dword v13, off, s[0:3], 0 offset:28
	buffer_store_dword v12, off, s[0:3], 0 offset:24
	buffer_store_dword v11, off, s[0:3], 0 offset:20
	buffer_store_dword v10, off, s[0:3], 0 offset:16
	s_waitcnt vmcnt(24)
	buffer_store_dword v97, off, s[0:3], 0 offset:44
	buffer_store_dword v96, off, s[0:3], 0 offset:40
	buffer_store_dword v95, off, s[0:3], 0 offset:36
	buffer_store_dword v94, off, s[0:3], 0 offset:32
	;; [unrolled: 5-line block ×15, first 2 shown]
	buffer_store_dword v153, off, s[0:3], 0 offset:268
	buffer_store_dword v152, off, s[0:3], 0 offset:264
	;; [unrolled: 1-line block ×4, first 2 shown]
	s_waitcnt vmcnt(62)
	buffer_store_dword v157, off, s[0:3], 0 offset:284
	buffer_store_dword v156, off, s[0:3], 0 offset:280
	;; [unrolled: 1-line block ×17, first 2 shown]
	v_lshlrev_b64 v[10:11], 4, v[92:93]
	v_add_co_u32_e32 v12, vcc, s6, v10
	v_addc_co_u32_e32 v13, vcc, v0, v11, vcc
	v_lshlrev_b64 v[10:11], 4, v[90:91]
	global_load_dwordx4 v[90:93], v[12:13], off
	v_add_co_u32_e32 v10, vcc, s6, v10
	v_addc_co_u32_e32 v11, vcc, v0, v11, vcc
	global_load_dwordx4 v[94:97], v[10:11], off
	v_accvgpr_write_b32 a115, v11
	v_ashrrev_i32_e32 v89, 31, v88
	v_accvgpr_write_b32 a121, v13
	v_accvgpr_write_b32 a114, v10
	v_lshlrev_b64 v[10:11], 4, v[88:89]
	v_accvgpr_write_b32 a120, v12
	v_add_co_u32_e32 v12, vcc, s6, v10
	v_addc_co_u32_e32 v13, vcc, v0, v11, vcc
	v_ashrrev_i32_e32 v87, 31, v86
	v_lshlrev_b64 v[10:11], 4, v[86:87]
	global_load_dwordx4 v[86:89], v[12:13], off
	v_add_co_u32_e32 v10, vcc, s6, v10
	v_addc_co_u32_e32 v11, vcc, v0, v11, vcc
	global_load_dwordx4 v[98:101], v[10:11], off
	v_accvgpr_write_b32 a107, v11
	v_ashrrev_i32_e32 v85, 31, v84
	v_accvgpr_write_b32 a117, v13
	v_accvgpr_write_b32 a106, v10
	v_lshlrev_b64 v[10:11], 4, v[84:85]
	v_accvgpr_write_b32 a116, v12
	v_add_co_u32_e32 v12, vcc, s6, v10
	v_addc_co_u32_e32 v13, vcc, v0, v11, vcc
	v_ashrrev_i32_e32 v83, 31, v82
	;; [unrolled: 14-line block ×9, first 2 shown]
	v_lshlrev_b64 v[10:11], 4, v[54:55]
	global_load_dwordx4 v[54:57], v[12:13], off
	v_add_co_u32_e32 v10, vcc, s6, v10
	v_addc_co_u32_e32 v11, vcc, v0, v11, vcc
	v_accvgpr_write_b32 a21, v13
	v_accvgpr_write_b32 a13, v11
	;; [unrolled: 1-line block ×4, first 2 shown]
	global_load_dwordx4 v[10:13], v[10:11], off
	v_ashrrev_i32_e32 v53, 31, v52
	buffer_store_dword v8, off, s[0:3], 0 offset:344
	buffer_store_dword v7, off, s[0:3], 0 offset:340
	buffer_store_dword v6, off, s[0:3], 0 offset:336
	s_waitcnt vmcnt(22)
	buffer_store_dword v93, off, s[0:3], 0 offset:364
	buffer_store_dword v92, off, s[0:3], 0 offset:360
	buffer_store_dword v91, off, s[0:3], 0 offset:356
	buffer_store_dword v90, off, s[0:3], 0 offset:352
	s_waitcnt vmcnt(25)
	buffer_store_dword v97, off, s[0:3], 0 offset:380
	;; [unrolled: 5-line block ×15, first 2 shown]
	buffer_store_dword v64, off, s[0:3], 0 offset:584
	buffer_store_dword v63, off, s[0:3], 0 offset:580
	;; [unrolled: 1-line block ×11, first 2 shown]
	s_waitcnt vmcnt(62)
	buffer_store_dword v129, off, s[0:3], 0 offset:636
	buffer_store_dword v128, off, s[0:3], 0 offset:632
	;; [unrolled: 1-line block ×9, first 2 shown]
	v_lshlrev_b64 v[6:7], 4, v[52:53]
	v_add_co_u32_e32 v8, vcc, s6, v6
	v_ashrrev_i32_e32 v51, 31, v50
	v_addc_co_u32_e32 v9, vcc, v0, v7, vcc
	v_lshlrev_b64 v[6:7], 4, v[50:51]
	v_add_co_u32_e32 v50, vcc, s6, v6
	v_accvgpr_write_b32 a101, v9
	v_addc_co_u32_e32 v51, vcc, v0, v7, vcc
	v_accvgpr_write_b32 a100, v8
	global_load_dwordx4 v[6:9], v[8:9], off
	v_accvgpr_write_b32 a89, v51
	v_ashrrev_i32_e32 v49, 31, v48
	v_accvgpr_write_b32 a88, v50
	global_load_dwordx4 v[50:53], v[50:51], off
	v_lshlrev_b64 v[48:49], 4, v[48:49]
	v_add_co_u32_e32 v48, vcc, s6, v48
	v_ashrrev_i32_e32 v47, 31, v46
	v_addc_co_u32_e32 v49, vcc, v0, v49, vcc
	v_lshlrev_b64 v[46:47], 4, v[46:47]
	v_add_co_u32_e32 v54, vcc, s6, v46
	v_accvgpr_write_b32 a91, v49
	v_addc_co_u32_e32 v55, vcc, v0, v47, vcc
	v_accvgpr_write_b32 a90, v48
	global_load_dwordx4 v[46:49], v[48:49], off
	v_accvgpr_write_b32 a77, v55
	v_ashrrev_i32_e32 v45, 31, v44
	v_accvgpr_write_b32 a76, v54
	global_load_dwordx4 v[54:57], v[54:55], off
	;; [unrolled: 14-line block ×8, first 2 shown]
	v_lshlrev_b64 v[20:21], 4, v[20:21]
	v_add_co_u32_e32 v20, vcc, s6, v20
	v_ashrrev_i32_e32 v19, 31, v18
	v_addc_co_u32_e32 v21, vcc, v0, v21, vcc
	v_lshlrev_b64 v[18:19], 4, v[18:19]
	v_add_co_u32_e32 v82, vcc, s6, v18
	v_accvgpr_write_b32 a10, v20
	v_addc_co_u32_e32 v83, vcc, v0, v19, vcc
	v_accvgpr_write_b32 a11, v21
	global_load_dwordx4 v[18:21], v[20:21], off
	v_accvgpr_write_b32 a4, v82
	v_accvgpr_write_b32 a5, v83
	global_load_dwordx4 v[82:85], v[82:83], off
	v_ashrrev_i32_e32 v17, 31, v16
	v_lshlrev_b64 v[16:17], 4, v[16:17]
	v_add_co_u32_e32 v16, vcc, s6, v16
	v_addc_co_u32_e32 v17, vcc, v0, v17, vcc
	v_ashrrev_i32_e32 v15, 31, v14
	v_accvgpr_write_b32 a6, v16
	v_lshlrev_b64 v[86:87], 4, v[14:15]
	v_accvgpr_write_b32 a7, v17
	global_load_dwordx4 v[14:17], v[16:17], off
	v_add_co_u32_e32 v86, vcc, s6, v86
	v_addc_co_u32_e32 v87, vcc, v0, v87, vcc
	v_accvgpr_write_b32 a2, v86
	v_accvgpr_write_b32 a3, v87
	global_load_dwordx4 v[86:89], v[86:87], off
	v_mov_b32_e32 v0, 16
	buffer_store_dword v12, off, s[0:3], 0 offset:664
	buffer_store_dword v11, off, s[0:3], 0 offset:660
	buffer_store_dword v10, off, s[0:3], 0 offset:656
	s_waitcnt vmcnt(22)
	buffer_store_dword v9, off, s[0:3], 0 offset:684
	buffer_store_dword v8, off, s[0:3], 0 offset:680
	buffer_store_dword v7, off, s[0:3], 0 offset:676
	buffer_store_dword v6, off, s[0:3], 0 offset:672
	s_waitcnt vmcnt(25)
	buffer_store_dword v53, off, s[0:3], 0 offset:700
	buffer_store_dword v52, off, s[0:3], 0 offset:696
	buffer_store_dword v51, off, s[0:3], 0 offset:692
	buffer_store_dword v50, off, s[0:3], 0 offset:688
	s_waitcnt vmcnt(28)
	buffer_store_dword v49, off, s[0:3], 0 offset:716
	buffer_store_dword v48, off, s[0:3], 0 offset:712
	buffer_store_dword v47, off, s[0:3], 0 offset:708
	buffer_store_dword v46, off, s[0:3], 0 offset:704
	s_waitcnt vmcnt(31)
	buffer_store_dword v57, off, s[0:3], 0 offset:732
	buffer_store_dword v56, off, s[0:3], 0 offset:728
	buffer_store_dword v55, off, s[0:3], 0 offset:724
	buffer_store_dword v54, off, s[0:3], 0 offset:720
	s_waitcnt vmcnt(34)
	buffer_store_dword v45, off, s[0:3], 0 offset:748
	buffer_store_dword v44, off, s[0:3], 0 offset:744
	buffer_store_dword v43, off, s[0:3], 0 offset:740
	buffer_store_dword v42, off, s[0:3], 0 offset:736
	s_waitcnt vmcnt(37)
	buffer_store_dword v61, off, s[0:3], 0 offset:764
	buffer_store_dword v60, off, s[0:3], 0 offset:760
	buffer_store_dword v59, off, s[0:3], 0 offset:756
	buffer_store_dword v58, off, s[0:3], 0 offset:752
	s_waitcnt vmcnt(40)
	buffer_store_dword v41, off, s[0:3], 0 offset:780
	buffer_store_dword v40, off, s[0:3], 0 offset:776
	buffer_store_dword v39, off, s[0:3], 0 offset:772
	buffer_store_dword v38, off, s[0:3], 0 offset:768
	s_waitcnt vmcnt(43)
	buffer_store_dword v65, off, s[0:3], 0 offset:796
	buffer_store_dword v64, off, s[0:3], 0 offset:792
	buffer_store_dword v63, off, s[0:3], 0 offset:788
	buffer_store_dword v62, off, s[0:3], 0 offset:784
	s_waitcnt vmcnt(46)
	buffer_store_dword v37, off, s[0:3], 0 offset:812
	buffer_store_dword v36, off, s[0:3], 0 offset:808
	buffer_store_dword v35, off, s[0:3], 0 offset:804
	buffer_store_dword v34, off, s[0:3], 0 offset:800
	s_waitcnt vmcnt(49)
	buffer_store_dword v69, off, s[0:3], 0 offset:828
	buffer_store_dword v68, off, s[0:3], 0 offset:824
	buffer_store_dword v67, off, s[0:3], 0 offset:820
	buffer_store_dword v66, off, s[0:3], 0 offset:816
	s_waitcnt vmcnt(52)
	buffer_store_dword v33, off, s[0:3], 0 offset:844
	buffer_store_dword v32, off, s[0:3], 0 offset:840
	buffer_store_dword v31, off, s[0:3], 0 offset:836
	buffer_store_dword v30, off, s[0:3], 0 offset:832
	s_waitcnt vmcnt(55)
	buffer_store_dword v73, off, s[0:3], 0 offset:860
	buffer_store_dword v72, off, s[0:3], 0 offset:856
	buffer_store_dword v71, off, s[0:3], 0 offset:852
	buffer_store_dword v70, off, s[0:3], 0 offset:848
	s_waitcnt vmcnt(58)
	buffer_store_dword v29, off, s[0:3], 0 offset:876
	buffer_store_dword v28, off, s[0:3], 0 offset:872
	buffer_store_dword v27, off, s[0:3], 0 offset:868
	buffer_store_dword v26, off, s[0:3], 0 offset:864
	s_waitcnt vmcnt(61)
	buffer_store_dword v77, off, s[0:3], 0 offset:892
	buffer_store_dword v76, off, s[0:3], 0 offset:888
	buffer_store_dword v75, off, s[0:3], 0 offset:884
	buffer_store_dword v74, off, s[0:3], 0 offset:880
	s_waitcnt vmcnt(62)
	buffer_store_dword v25, off, s[0:3], 0 offset:908
	buffer_store_dword v24, off, s[0:3], 0 offset:904
	buffer_store_dword v23, off, s[0:3], 0 offset:900
	;; [unrolled: 1-line block ×11, first 2 shown]
	s_waitcnt vmcnt(62)
	buffer_store_dword v85, off, s[0:3], 0 offset:956
	buffer_store_dword v84, off, s[0:3], 0 offset:952
	;; [unrolled: 1-line block ×16, first 2 shown]
	v_add_u32_e32 v2, 16, v0
	v_accvgpr_write_b32 a184, v2
	v_add_u32_e32 v2, 32, v0
	v_accvgpr_write_b32 a183, v2
	;; [unrolled: 2-line block ×59, first 2 shown]
	v_add_u32_e32 v2, 0x3c0, v0
	v_add_u32_e32 v0, 0x3d0, v0
	s_bitcmp0_b32 s10, 0
	v_accvgpr_write_b32 a125, v2
	v_accvgpr_write_b32 a124, v0
	s_mov_b64 s[6:7], -1
	s_cbranch_scc1 .LBB125_272
; %bb.4:
	v_cmp_eq_u32_e64 s[4:5], 0, v178
	s_and_saveexec_b64 s[6:7], s[4:5]
	s_cbranch_execz .LBB125_6
; %bb.5:
	v_mov_b32_e32 v0, 0
	ds_write_b32 v0, v0 offset:1984
.LBB125_6:
	s_or_b64 exec, exec, s[6:7]
	v_mov_b32_e32 v0, 16
	v_lshl_add_u32 v12, v178, 4, v0
	s_waitcnt lgkmcnt(0)
	; wave barrier
	s_waitcnt lgkmcnt(0)
	buffer_load_dword v2, v12, s[0:3], 0 offen
	buffer_load_dword v3, v12, s[0:3], 0 offen offset:4
	buffer_load_dword v4, v12, s[0:3], 0 offen offset:8
	;; [unrolled: 1-line block ×3, first 2 shown]
	s_waitcnt vmcnt(2)
	v_cmp_eq_f64_e32 vcc, 0, v[2:3]
	s_waitcnt vmcnt(0)
	v_cmp_eq_f64_e64 s[6:7], 0, v[4:5]
	s_and_b64 s[6:7], vcc, s[6:7]
	s_and_saveexec_b64 s[10:11], s[6:7]
	s_cbranch_execz .LBB125_10
; %bb.7:
	v_mov_b32_e32 v2, 0
	ds_read_b32 v0, v2 offset:1984
	v_add_u32_e32 v3, 1, v178
	s_waitcnt lgkmcnt(0)
	v_readfirstlane_b32 s6, v0
	s_cmp_eq_u32 s6, 0
	s_cselect_b64 s[12:13], -1, 0
	v_cmp_gt_i32_e32 vcc, s6, v3
	s_or_b64 s[12:13], s[12:13], vcc
	s_and_b64 exec, exec, s[12:13]
	s_cbranch_execz .LBB125_10
; %bb.8:
	s_mov_b64 s[12:13], 0
	v_mov_b32_e32 v4, s6
.LBB125_9:                              ; =>This Inner Loop Header: Depth=1
	ds_cmpst_rtn_b32 v4, v2, v4, v3 offset:1984
	s_waitcnt lgkmcnt(0)
	v_cmp_ne_u32_e32 vcc, 0, v4
	v_cmp_le_i32_e64 s[6:7], v4, v3
	s_and_b64 s[6:7], vcc, s[6:7]
	s_and_b64 s[6:7], exec, s[6:7]
	s_or_b64 s[12:13], s[6:7], s[12:13]
	s_andn2_b64 exec, exec, s[12:13]
	s_cbranch_execnz .LBB125_9
.LBB125_10:
	s_or_b64 exec, exec, s[10:11]
	v_mov_b32_e32 v3, 0
	s_waitcnt lgkmcnt(0)
	; wave barrier
	ds_read_b32 v2, v3 offset:1984
	s_and_saveexec_b64 s[6:7], s[4:5]
	s_cbranch_execz .LBB125_12
; %bb.11:
	s_lshl_b64 s[10:11], s[8:9], 2
	s_add_u32 s10, s14, s10
	s_addc_u32 s11, s15, s11
	s_waitcnt lgkmcnt(0)
	global_store_dword v3, v2, s[10:11]
.LBB125_12:
	s_or_b64 exec, exec, s[6:7]
	s_waitcnt lgkmcnt(0)
	v_cmp_ne_u32_e32 vcc, 0, v2
	s_mov_b64 s[6:7], 0
	s_cbranch_vccnz .LBB125_272
; %bb.13:
	buffer_load_dword v7, v12, s[0:3], 0 offen offset:4
	buffer_load_dword v6, v12, s[0:3], 0 offen
	buffer_load_dword v9, v12, s[0:3], 0 offen offset:12
	buffer_load_dword v8, v12, s[0:3], 0 offen offset:8
                                        ; implicit-def: $vgpr10_vgpr11
	s_waitcnt vmcnt(3)
	v_xor_b32_e32 v0, 0x80000000, v7
	s_waitcnt vmcnt(2)
	v_cmp_gt_f64_e32 vcc, 0, v[6:7]
	s_waitcnt vmcnt(1)
	v_xor_b32_e32 v4, 0x80000000, v9
	v_cndmask_b32_e32 v3, v7, v0, vcc
	s_waitcnt vmcnt(0)
	v_cmp_gt_f64_e32 vcc, 0, v[8:9]
	v_mov_b32_e32 v2, v6
	v_cndmask_b32_e32 v5, v9, v4, vcc
	v_mov_b32_e32 v4, v8
	v_cmp_ngt_f64_e32 vcc, v[2:3], v[4:5]
                                        ; implicit-def: $vgpr4_vgpr5
	s_and_saveexec_b64 s[6:7], vcc
	s_xor_b64 s[6:7], exec, s[6:7]
	s_cbranch_execz .LBB125_15
; %bb.14:
	v_div_scale_f64 v[2:3], s[10:11], v[8:9], v[8:9], v[6:7]
	v_rcp_f64_e32 v[4:5], v[2:3]
	v_div_scale_f64 v[10:11], vcc, v[6:7], v[8:9], v[6:7]
	v_fma_f64 v[14:15], -v[2:3], v[4:5], 1.0
	v_fmac_f64_e32 v[4:5], v[4:5], v[14:15]
	v_fma_f64 v[14:15], -v[2:3], v[4:5], 1.0
	v_fmac_f64_e32 v[4:5], v[4:5], v[14:15]
	v_mul_f64 v[14:15], v[10:11], v[4:5]
	v_fma_f64 v[2:3], -v[2:3], v[14:15], v[10:11]
	v_div_fmas_f64 v[2:3], v[2:3], v[4:5], v[14:15]
	v_div_fixup_f64 v[2:3], v[2:3], v[8:9], v[6:7]
	v_fmac_f64_e32 v[8:9], v[6:7], v[2:3]
	v_div_scale_f64 v[4:5], s[10:11], v[8:9], v[8:9], 1.0
	v_rcp_f64_e32 v[6:7], v[4:5]
	v_fma_f64 v[10:11], -v[4:5], v[6:7], 1.0
	v_fmac_f64_e32 v[6:7], v[6:7], v[10:11]
	v_fma_f64 v[10:11], -v[4:5], v[6:7], 1.0
	v_fmac_f64_e32 v[6:7], v[6:7], v[10:11]
	v_div_scale_f64 v[10:11], vcc, 1.0, v[8:9], 1.0
	v_mul_f64 v[14:15], v[10:11], v[6:7]
	v_fma_f64 v[4:5], -v[4:5], v[14:15], v[10:11]
	s_nop 1
	v_div_fmas_f64 v[4:5], v[4:5], v[6:7], v[14:15]
	v_div_fixup_f64 v[4:5], v[4:5], v[8:9], 1.0
	v_mul_f64 v[10:11], v[2:3], v[4:5]
	v_xor_b32_e32 v5, 0x80000000, v5
	v_xor_b32_e32 v3, 0x80000000, v11
	v_mov_b32_e32 v2, v10
                                        ; implicit-def: $vgpr6_vgpr7
                                        ; implicit-def: $vgpr8_vgpr9
.LBB125_15:
	s_andn2_saveexec_b64 s[6:7], s[6:7]
	s_cbranch_execz .LBB125_17
; %bb.16:
	v_div_scale_f64 v[2:3], s[10:11], v[6:7], v[6:7], v[8:9]
	v_rcp_f64_e32 v[4:5], v[2:3]
	v_div_scale_f64 v[10:11], vcc, v[8:9], v[6:7], v[8:9]
	v_fma_f64 v[14:15], -v[2:3], v[4:5], 1.0
	v_fmac_f64_e32 v[4:5], v[4:5], v[14:15]
	v_fma_f64 v[14:15], -v[2:3], v[4:5], 1.0
	v_fmac_f64_e32 v[4:5], v[4:5], v[14:15]
	v_mul_f64 v[14:15], v[10:11], v[4:5]
	v_fma_f64 v[2:3], -v[2:3], v[14:15], v[10:11]
	v_div_fmas_f64 v[2:3], v[2:3], v[4:5], v[14:15]
	v_div_fixup_f64 v[4:5], v[2:3], v[6:7], v[8:9]
	v_fmac_f64_e32 v[6:7], v[8:9], v[4:5]
	v_div_scale_f64 v[2:3], s[10:11], v[6:7], v[6:7], 1.0
	v_rcp_f64_e32 v[8:9], v[2:3]
	v_fma_f64 v[10:11], -v[2:3], v[8:9], 1.0
	v_fmac_f64_e32 v[8:9], v[8:9], v[10:11]
	v_fma_f64 v[10:11], -v[2:3], v[8:9], 1.0
	v_fmac_f64_e32 v[8:9], v[8:9], v[10:11]
	v_div_scale_f64 v[10:11], vcc, 1.0, v[6:7], 1.0
	v_mul_f64 v[14:15], v[10:11], v[8:9]
	v_fma_f64 v[2:3], -v[2:3], v[14:15], v[10:11]
	s_nop 1
	v_div_fmas_f64 v[2:3], v[2:3], v[8:9], v[14:15]
	v_div_fixup_f64 v[10:11], v[2:3], v[6:7], 1.0
	v_xor_b32_e32 v3, 0x80000000, v11
	v_mov_b32_e32 v2, v10
	v_mul_f64 v[4:5], v[4:5], -v[10:11]
.LBB125_17:
	s_or_b64 exec, exec, s[6:7]
	buffer_store_dword v11, v12, s[0:3], 0 offen offset:4
	buffer_store_dword v10, v12, s[0:3], 0 offen
	buffer_store_dword v5, v12, s[0:3], 0 offen offset:12
	buffer_store_dword v4, v12, s[0:3], 0 offen offset:8
	v_accvgpr_read_b32 v0, a184
	buffer_load_dword v11, v0, s[0:3], 0 offen offset:12
	buffer_load_dword v10, v0, s[0:3], 0 offen offset:8
	;; [unrolled: 1-line block ×3, first 2 shown]
	buffer_load_dword v8, v0, s[0:3], 0 offen
	v_xor_b32_e32 v5, 0x80000000, v5
	v_add_u32_e32 v6, 0x3e0, v1
	ds_write_b128 v1, v[2:5]
	s_waitcnt vmcnt(0)
	ds_write_b128 v1, v[8:11] offset:992
	s_waitcnt lgkmcnt(0)
	; wave barrier
	s_waitcnt lgkmcnt(0)
	s_and_saveexec_b64 s[6:7], s[4:5]
	s_cbranch_execz .LBB125_19
; %bb.18:
	buffer_load_dword v14, v12, s[0:3], 0 offen offset:8
	buffer_load_dword v15, v12, s[0:3], 0 offen offset:12
	buffer_load_dword v16, v12, s[0:3], 0 offen
	buffer_load_dword v17, v12, s[0:3], 0 offen offset:4
	ds_read_b128 v[2:5], v6
	v_mov_b32_e32 v0, 0
	ds_read_b128 v[8:11], v0 offset:16
	s_waitcnt vmcnt(2) lgkmcnt(1)
	v_mul_f64 v[18:19], v[4:5], v[14:15]
	v_mul_f64 v[14:15], v[2:3], v[14:15]
	s_waitcnt vmcnt(0)
	v_fmac_f64_e32 v[14:15], v[4:5], v[16:17]
	v_fma_f64 v[2:3], v[2:3], v[16:17], -v[18:19]
	v_add_f64 v[4:5], v[14:15], 0
	v_add_f64 v[2:3], v[2:3], 0
	s_waitcnt lgkmcnt(0)
	v_mul_f64 v[14:15], v[4:5], v[10:11]
	v_mul_f64 v[10:11], v[2:3], v[10:11]
	v_fma_f64 v[2:3], v[2:3], v[8:9], -v[14:15]
	v_fmac_f64_e32 v[10:11], v[4:5], v[8:9]
	buffer_store_dword v2, off, s[0:3], 0 offset:32
	buffer_store_dword v3, off, s[0:3], 0 offset:36
	;; [unrolled: 1-line block ×4, first 2 shown]
.LBB125_19:
	s_or_b64 exec, exec, s[6:7]
	v_accvgpr_read_b32 v0, a183
	s_waitcnt lgkmcnt(0)
	; wave barrier
	buffer_load_dword v2, v0, s[0:3], 0 offen
	buffer_load_dword v3, v0, s[0:3], 0 offen offset:4
	buffer_load_dword v4, v0, s[0:3], 0 offen offset:8
	;; [unrolled: 1-line block ×3, first 2 shown]
	v_cmp_gt_u32_e32 vcc, 2, v178
	s_waitcnt vmcnt(0)
	ds_write_b128 v6, v[2:5]
	s_waitcnt lgkmcnt(0)
	; wave barrier
	s_waitcnt lgkmcnt(0)
	s_and_saveexec_b64 s[6:7], vcc
	s_cbranch_execz .LBB125_23
; %bb.20:
	buffer_load_dword v8, v12, s[0:3], 0 offen offset:8
	buffer_load_dword v9, v12, s[0:3], 0 offen offset:12
	buffer_load_dword v10, v12, s[0:3], 0 offen
	buffer_load_dword v11, v12, s[0:3], 0 offen offset:4
	ds_read_b128 v[2:5], v6
	s_waitcnt vmcnt(2) lgkmcnt(0)
	v_mul_f64 v[14:15], v[4:5], v[8:9]
	v_mul_f64 v[8:9], v[2:3], v[8:9]
	s_waitcnt vmcnt(0)
	v_fma_f64 v[2:3], v[2:3], v[10:11], -v[14:15]
	v_fmac_f64_e32 v[8:9], v[4:5], v[10:11]
	v_add_f64 v[4:5], v[2:3], 0
	v_add_f64 v[2:3], v[8:9], 0
	s_and_saveexec_b64 s[10:11], s[4:5]
	s_cbranch_execz .LBB125_22
; %bb.21:
	buffer_load_dword v14, off, s[0:3], 0 offset:40
	buffer_load_dword v15, off, s[0:3], 0 offset:44
	;; [unrolled: 1-line block ×4, first 2 shown]
	v_mov_b32_e32 v0, 0
	ds_read_b128 v[8:11], v0 offset:1008
	s_waitcnt vmcnt(2) lgkmcnt(0)
	v_mul_f64 v[18:19], v[8:9], v[14:15]
	v_mul_f64 v[14:15], v[10:11], v[14:15]
	s_waitcnt vmcnt(0)
	v_fmac_f64_e32 v[18:19], v[10:11], v[16:17]
	v_fma_f64 v[8:9], v[8:9], v[16:17], -v[14:15]
	v_add_f64 v[2:3], v[2:3], v[18:19]
	v_add_f64 v[4:5], v[4:5], v[8:9]
.LBB125_22:
	s_or_b64 exec, exec, s[10:11]
	v_mov_b32_e32 v0, 0
	ds_read_b128 v[8:11], v0 offset:32
	s_waitcnt lgkmcnt(0)
	v_mul_f64 v[14:15], v[2:3], v[10:11]
	v_mul_f64 v[10:11], v[4:5], v[10:11]
	v_fma_f64 v[4:5], v[4:5], v[8:9], -v[14:15]
	v_fmac_f64_e32 v[10:11], v[2:3], v[8:9]
	buffer_store_dword v5, off, s[0:3], 0 offset:52
	buffer_store_dword v4, off, s[0:3], 0 offset:48
	;; [unrolled: 1-line block ×4, first 2 shown]
.LBB125_23:
	s_or_b64 exec, exec, s[6:7]
	v_accvgpr_read_b32 v0, a182
	s_waitcnt lgkmcnt(0)
	; wave barrier
	buffer_load_dword v2, v0, s[0:3], 0 offen
	buffer_load_dword v3, v0, s[0:3], 0 offen offset:4
	buffer_load_dword v4, v0, s[0:3], 0 offen offset:8
	;; [unrolled: 1-line block ×3, first 2 shown]
	v_cmp_gt_u32_e64 s[6:7], 3, v178
	v_add_u32_e32 v7, -1, v178
	s_waitcnt vmcnt(0)
	ds_write_b128 v6, v[2:5]
	s_waitcnt lgkmcnt(0)
	; wave barrier
	s_waitcnt lgkmcnt(0)
	s_and_saveexec_b64 s[10:11], s[6:7]
	s_cbranch_execz .LBB125_27
; %bb.24:
	v_pk_mov_b32 v[2:3], 0, 0
	v_add_u32_e32 v8, -1, v178
	v_add_u32_e32 v9, 0x3e0, v1
	v_add_u32_e32 v10, 16, v1
	s_mov_b64 s[12:13], 0
	v_pk_mov_b32 v[4:5], v[2:3], v[2:3] op_sel:[0,1]
.LBB125_25:                             ; =>This Inner Loop Header: Depth=1
	buffer_load_dword v18, v10, s[0:3], 0 offen offset:8
	buffer_load_dword v19, v10, s[0:3], 0 offen offset:12
	buffer_load_dword v20, v10, s[0:3], 0 offen
	buffer_load_dword v21, v10, s[0:3], 0 offen offset:4
	ds_read_b128 v[14:17], v9
	v_add_u32_e32 v8, 1, v8
	v_cmp_lt_u32_e64 s[6:7], 1, v8
	v_add_u32_e32 v9, 16, v9
	v_add_u32_e32 v10, 16, v10
	s_or_b64 s[12:13], s[6:7], s[12:13]
	s_waitcnt vmcnt(2) lgkmcnt(0)
	v_mul_f64 v[22:23], v[16:17], v[18:19]
	v_mul_f64 v[18:19], v[14:15], v[18:19]
	s_waitcnt vmcnt(0)
	v_fma_f64 v[14:15], v[14:15], v[20:21], -v[22:23]
	v_fmac_f64_e32 v[18:19], v[16:17], v[20:21]
	v_add_f64 v[4:5], v[4:5], v[14:15]
	v_add_f64 v[2:3], v[2:3], v[18:19]
	s_andn2_b64 exec, exec, s[12:13]
	s_cbranch_execnz .LBB125_25
; %bb.26:
	s_or_b64 exec, exec, s[12:13]
	v_mov_b32_e32 v0, 0
	ds_read_b128 v[8:11], v0 offset:48
	s_waitcnt lgkmcnt(0)
	v_mul_f64 v[14:15], v[2:3], v[10:11]
	v_mul_f64 v[10:11], v[4:5], v[10:11]
	v_fma_f64 v[4:5], v[4:5], v[8:9], -v[14:15]
	v_fmac_f64_e32 v[10:11], v[2:3], v[8:9]
	buffer_store_dword v5, off, s[0:3], 0 offset:68
	buffer_store_dword v4, off, s[0:3], 0 offset:64
	buffer_store_dword v11, off, s[0:3], 0 offset:76
	buffer_store_dword v10, off, s[0:3], 0 offset:72
.LBB125_27:
	s_or_b64 exec, exec, s[10:11]
	v_accvgpr_read_b32 v0, a181
	s_waitcnt lgkmcnt(0)
	; wave barrier
	buffer_load_dword v2, v0, s[0:3], 0 offen
	buffer_load_dword v3, v0, s[0:3], 0 offen offset:4
	buffer_load_dword v4, v0, s[0:3], 0 offen offset:8
	buffer_load_dword v5, v0, s[0:3], 0 offen offset:12
	v_cmp_gt_u32_e64 s[6:7], 4, v178
	s_waitcnt vmcnt(0)
	ds_write_b128 v6, v[2:5]
	s_waitcnt lgkmcnt(0)
	; wave barrier
	s_waitcnt lgkmcnt(0)
	s_and_saveexec_b64 s[12:13], s[6:7]
	s_cbranch_execz .LBB125_31
; %bb.28:
	v_pk_mov_b32 v[2:3], 0, 0
	v_add_u32_e32 v8, -1, v178
	v_add_u32_e32 v9, 0x3e0, v1
	v_add_u32_e32 v10, 16, v1
	s_mov_b64 s[20:21], 0
	v_pk_mov_b32 v[4:5], v[2:3], v[2:3] op_sel:[0,1]
.LBB125_29:                             ; =>This Inner Loop Header: Depth=1
	buffer_load_dword v18, v10, s[0:3], 0 offen offset:8
	buffer_load_dword v19, v10, s[0:3], 0 offen offset:12
	buffer_load_dword v20, v10, s[0:3], 0 offen
	buffer_load_dword v21, v10, s[0:3], 0 offen offset:4
	ds_read_b128 v[14:17], v9
	v_add_u32_e32 v8, 1, v8
	v_cmp_lt_u32_e64 s[10:11], 2, v8
	v_add_u32_e32 v9, 16, v9
	v_add_u32_e32 v10, 16, v10
	s_or_b64 s[20:21], s[10:11], s[20:21]
	s_waitcnt vmcnt(2) lgkmcnt(0)
	v_mul_f64 v[22:23], v[16:17], v[18:19]
	v_mul_f64 v[18:19], v[14:15], v[18:19]
	s_waitcnt vmcnt(0)
	v_fma_f64 v[14:15], v[14:15], v[20:21], -v[22:23]
	v_fmac_f64_e32 v[18:19], v[16:17], v[20:21]
	v_add_f64 v[4:5], v[4:5], v[14:15]
	v_add_f64 v[2:3], v[2:3], v[18:19]
	s_andn2_b64 exec, exec, s[20:21]
	s_cbranch_execnz .LBB125_29
; %bb.30:
	s_or_b64 exec, exec, s[20:21]
	v_mov_b32_e32 v0, 0
	ds_read_b128 v[8:11], v0 offset:64
	s_waitcnt lgkmcnt(0)
	v_mul_f64 v[14:15], v[2:3], v[10:11]
	v_mul_f64 v[10:11], v[4:5], v[10:11]
	v_fma_f64 v[4:5], v[4:5], v[8:9], -v[14:15]
	v_fmac_f64_e32 v[10:11], v[2:3], v[8:9]
	buffer_store_dword v5, off, s[0:3], 0 offset:84
	buffer_store_dword v4, off, s[0:3], 0 offset:80
	buffer_store_dword v11, off, s[0:3], 0 offset:92
	buffer_store_dword v10, off, s[0:3], 0 offset:88
.LBB125_31:
	s_or_b64 exec, exec, s[12:13]
	v_accvgpr_read_b32 v0, a180
	s_waitcnt lgkmcnt(0)
	; wave barrier
	buffer_load_dword v2, v0, s[0:3], 0 offen
	buffer_load_dword v3, v0, s[0:3], 0 offen offset:4
	buffer_load_dword v4, v0, s[0:3], 0 offen offset:8
	buffer_load_dword v5, v0, s[0:3], 0 offen offset:12
	v_cmp_gt_u32_e64 s[10:11], 5, v178
	;; [unrolled: 58-line block ×5, first 2 shown]
	s_waitcnt vmcnt(0)
	ds_write_b128 v6, v[2:5]
	s_waitcnt lgkmcnt(0)
	; wave barrier
	s_waitcnt lgkmcnt(0)
	s_and_saveexec_b64 s[20:21], s[12:13]
	s_cbranch_execz .LBB125_59
; %bb.44:
	buffer_load_dword v8, v12, s[0:3], 0 offen offset:8
	buffer_load_dword v9, v12, s[0:3], 0 offen offset:12
	buffer_load_dword v10, v12, s[0:3], 0 offen
	buffer_load_dword v11, v12, s[0:3], 0 offen offset:4
	ds_read_b128 v[2:5], v6
	v_cmp_ne_u32_e64 s[12:13], 7, v178
	s_waitcnt vmcnt(2) lgkmcnt(0)
	v_mul_f64 v[14:15], v[4:5], v[8:9]
	v_mul_f64 v[8:9], v[2:3], v[8:9]
	s_waitcnt vmcnt(0)
	v_fma_f64 v[2:3], v[2:3], v[10:11], -v[14:15]
	v_fmac_f64_e32 v[8:9], v[4:5], v[10:11]
	v_add_f64 v[4:5], v[2:3], 0
	v_add_f64 v[2:3], v[8:9], 0
	s_and_saveexec_b64 s[22:23], s[12:13]
	s_cbranch_execz .LBB125_58
; %bb.45:
	buffer_load_dword v14, v12, s[0:3], 0 offen offset:24
	buffer_load_dword v15, v12, s[0:3], 0 offen offset:28
	;; [unrolled: 1-line block ×4, first 2 shown]
	ds_read_b128 v[8:11], v6 offset:16
	s_waitcnt vmcnt(2) lgkmcnt(0)
	v_mul_f64 v[18:19], v[10:11], v[14:15]
	v_mul_f64 v[14:15], v[8:9], v[14:15]
	s_waitcnt vmcnt(0)
	v_fma_f64 v[8:9], v[8:9], v[16:17], -v[18:19]
	v_fmac_f64_e32 v[14:15], v[10:11], v[16:17]
	v_add_f64 v[4:5], v[4:5], v[8:9]
	v_add_f64 v[2:3], v[2:3], v[14:15]
	s_and_saveexec_b64 s[12:13], s[10:11]
	s_cbranch_execz .LBB125_57
; %bb.46:
	buffer_load_dword v14, v12, s[0:3], 0 offen offset:40
	buffer_load_dword v15, v12, s[0:3], 0 offen offset:44
	;; [unrolled: 1-line block ×4, first 2 shown]
	ds_read_b128 v[8:11], v6 offset:32
	v_cmp_ne_u32_e64 s[10:11], 5, v178
	s_waitcnt vmcnt(2) lgkmcnt(0)
	v_mul_f64 v[18:19], v[10:11], v[14:15]
	v_mul_f64 v[14:15], v[8:9], v[14:15]
	s_waitcnt vmcnt(0)
	v_fma_f64 v[8:9], v[8:9], v[16:17], -v[18:19]
	v_fmac_f64_e32 v[14:15], v[10:11], v[16:17]
	v_add_f64 v[4:5], v[4:5], v[8:9]
	v_add_f64 v[2:3], v[2:3], v[14:15]
	s_and_saveexec_b64 s[24:25], s[10:11]
	s_cbranch_execz .LBB125_56
; %bb.47:
	buffer_load_dword v14, v12, s[0:3], 0 offen offset:56
	buffer_load_dword v15, v12, s[0:3], 0 offen offset:60
	;; [unrolled: 1-line block ×4, first 2 shown]
	ds_read_b128 v[8:11], v6 offset:48
	s_waitcnt vmcnt(2) lgkmcnt(0)
	v_mul_f64 v[18:19], v[10:11], v[14:15]
	v_mul_f64 v[14:15], v[8:9], v[14:15]
	s_waitcnt vmcnt(0)
	v_fma_f64 v[8:9], v[8:9], v[16:17], -v[18:19]
	v_fmac_f64_e32 v[14:15], v[10:11], v[16:17]
	v_add_f64 v[4:5], v[4:5], v[8:9]
	v_add_f64 v[2:3], v[2:3], v[14:15]
	s_and_saveexec_b64 s[10:11], s[6:7]
	s_cbranch_execz .LBB125_55
; %bb.48:
	buffer_load_dword v14, v12, s[0:3], 0 offen offset:72
	buffer_load_dword v15, v12, s[0:3], 0 offen offset:76
	buffer_load_dword v16, v12, s[0:3], 0 offen offset:64
	buffer_load_dword v17, v12, s[0:3], 0 offen offset:68
	ds_read_b128 v[8:11], v6 offset:64
	v_cmp_ne_u32_e64 s[6:7], 3, v178
	s_waitcnt vmcnt(2) lgkmcnt(0)
	v_mul_f64 v[18:19], v[10:11], v[14:15]
	v_mul_f64 v[14:15], v[8:9], v[14:15]
	s_waitcnt vmcnt(0)
	v_fma_f64 v[8:9], v[8:9], v[16:17], -v[18:19]
	v_fmac_f64_e32 v[14:15], v[10:11], v[16:17]
	v_add_f64 v[4:5], v[4:5], v[8:9]
	v_add_f64 v[2:3], v[2:3], v[14:15]
	s_and_saveexec_b64 s[26:27], s[6:7]
	s_cbranch_execz .LBB125_54
; %bb.49:
	buffer_load_dword v14, v12, s[0:3], 0 offen offset:88
	buffer_load_dword v15, v12, s[0:3], 0 offen offset:92
	;; [unrolled: 1-line block ×4, first 2 shown]
	ds_read_b128 v[8:11], v6 offset:80
	s_waitcnt vmcnt(2) lgkmcnt(0)
	v_mul_f64 v[18:19], v[10:11], v[14:15]
	v_mul_f64 v[14:15], v[8:9], v[14:15]
	s_waitcnt vmcnt(0)
	v_fma_f64 v[8:9], v[8:9], v[16:17], -v[18:19]
	v_fmac_f64_e32 v[14:15], v[10:11], v[16:17]
	v_add_f64 v[4:5], v[4:5], v[8:9]
	v_add_f64 v[2:3], v[2:3], v[14:15]
	s_and_saveexec_b64 s[6:7], vcc
	s_cbranch_execz .LBB125_53
; %bb.50:
	buffer_load_dword v14, v12, s[0:3], 0 offen offset:104
	buffer_load_dword v15, v12, s[0:3], 0 offen offset:108
	;; [unrolled: 1-line block ×4, first 2 shown]
	ds_read_b128 v[8:11], v6 offset:96
	s_waitcnt vmcnt(2) lgkmcnt(0)
	v_mul_f64 v[18:19], v[10:11], v[14:15]
	v_mul_f64 v[14:15], v[8:9], v[14:15]
	s_waitcnt vmcnt(0)
	v_fma_f64 v[8:9], v[8:9], v[16:17], -v[18:19]
	v_fmac_f64_e32 v[14:15], v[10:11], v[16:17]
	v_add_f64 v[4:5], v[4:5], v[8:9]
	v_add_f64 v[2:3], v[2:3], v[14:15]
	s_and_saveexec_b64 s[28:29], s[4:5]
	s_cbranch_execz .LBB125_52
; %bb.51:
	buffer_load_dword v14, v12, s[0:3], 0 offen offset:120
	buffer_load_dword v15, v12, s[0:3], 0 offen offset:124
	;; [unrolled: 1-line block ×4, first 2 shown]
	ds_read_b128 v[8:11], v6 offset:112
	s_waitcnt vmcnt(2) lgkmcnt(0)
	v_mul_f64 v[12:13], v[10:11], v[14:15]
	v_mul_f64 v[14:15], v[8:9], v[14:15]
	s_waitcnt vmcnt(0)
	v_fma_f64 v[8:9], v[8:9], v[16:17], -v[12:13]
	v_fmac_f64_e32 v[14:15], v[10:11], v[16:17]
	v_add_f64 v[4:5], v[4:5], v[8:9]
	v_add_f64 v[2:3], v[2:3], v[14:15]
.LBB125_52:
	s_or_b64 exec, exec, s[28:29]
.LBB125_53:
	s_or_b64 exec, exec, s[6:7]
.LBB125_54:
	s_or_b64 exec, exec, s[26:27]
.LBB125_55:
	s_or_b64 exec, exec, s[10:11]
.LBB125_56:
	s_or_b64 exec, exec, s[24:25]
.LBB125_57:
	s_or_b64 exec, exec, s[12:13]
.LBB125_58:
	s_or_b64 exec, exec, s[22:23]
	v_mov_b32_e32 v0, 0
	ds_read_b128 v[8:11], v0 offset:128
	s_waitcnt lgkmcnt(0)
	v_mul_f64 v[12:13], v[2:3], v[10:11]
	v_mul_f64 v[10:11], v[4:5], v[10:11]
	v_fma_f64 v[4:5], v[4:5], v[8:9], -v[12:13]
	v_fmac_f64_e32 v[10:11], v[2:3], v[8:9]
	buffer_store_dword v5, off, s[0:3], 0 offset:148
	buffer_store_dword v4, off, s[0:3], 0 offset:144
	;; [unrolled: 1-line block ×4, first 2 shown]
.LBB125_59:
	s_or_b64 exec, exec, s[20:21]
	v_accvgpr_read_b32 v0, a176
	s_waitcnt lgkmcnt(0)
	; wave barrier
	buffer_load_dword v2, v0, s[0:3], 0 offen
	buffer_load_dword v3, v0, s[0:3], 0 offen offset:4
	buffer_load_dword v4, v0, s[0:3], 0 offen offset:8
	buffer_load_dword v5, v0, s[0:3], 0 offen offset:12
	v_cmp_gt_u32_e32 vcc, 9, v178
	s_waitcnt vmcnt(0)
	ds_write_b128 v6, v[2:5]
	s_waitcnt lgkmcnt(0)
	; wave barrier
	s_waitcnt lgkmcnt(0)
	s_and_saveexec_b64 s[4:5], vcc
	s_cbranch_execz .LBB125_63
; %bb.60:
	v_pk_mov_b32 v[2:3], 0, 0
	v_add_u32_e32 v8, -1, v178
	v_add_u32_e32 v9, 0x3e0, v1
	v_add_u32_e32 v10, 16, v1
	s_mov_b64 s[6:7], 0
	v_pk_mov_b32 v[4:5], v[2:3], v[2:3] op_sel:[0,1]
.LBB125_61:                             ; =>This Inner Loop Header: Depth=1
	buffer_load_dword v16, v10, s[0:3], 0 offen offset:8
	buffer_load_dword v17, v10, s[0:3], 0 offen offset:12
	buffer_load_dword v18, v10, s[0:3], 0 offen
	buffer_load_dword v19, v10, s[0:3], 0 offen offset:4
	ds_read_b128 v[12:15], v9
	v_add_u32_e32 v8, 1, v8
	v_cmp_lt_u32_e32 vcc, 7, v8
	v_add_u32_e32 v9, 16, v9
	v_add_u32_e32 v10, 16, v10
	s_or_b64 s[6:7], vcc, s[6:7]
	s_waitcnt vmcnt(2) lgkmcnt(0)
	v_mul_f64 v[20:21], v[14:15], v[16:17]
	v_mul_f64 v[16:17], v[12:13], v[16:17]
	s_waitcnt vmcnt(0)
	v_fma_f64 v[12:13], v[12:13], v[18:19], -v[20:21]
	v_fmac_f64_e32 v[16:17], v[14:15], v[18:19]
	v_add_f64 v[4:5], v[4:5], v[12:13]
	v_add_f64 v[2:3], v[2:3], v[16:17]
	s_andn2_b64 exec, exec, s[6:7]
	s_cbranch_execnz .LBB125_61
; %bb.62:
	s_or_b64 exec, exec, s[6:7]
	v_mov_b32_e32 v0, 0
	ds_read_b128 v[8:11], v0 offset:144
	s_waitcnt lgkmcnt(0)
	v_mul_f64 v[12:13], v[2:3], v[10:11]
	v_mul_f64 v[10:11], v[4:5], v[10:11]
	v_fma_f64 v[4:5], v[4:5], v[8:9], -v[12:13]
	v_fmac_f64_e32 v[10:11], v[2:3], v[8:9]
	buffer_store_dword v5, off, s[0:3], 0 offset:164
	buffer_store_dword v4, off, s[0:3], 0 offset:160
	buffer_store_dword v11, off, s[0:3], 0 offset:172
	buffer_store_dword v10, off, s[0:3], 0 offset:168
.LBB125_63:
	s_or_b64 exec, exec, s[4:5]
	v_accvgpr_read_b32 v0, a175
	s_waitcnt lgkmcnt(0)
	; wave barrier
	buffer_load_dword v2, v0, s[0:3], 0 offen
	buffer_load_dword v3, v0, s[0:3], 0 offen offset:4
	buffer_load_dword v4, v0, s[0:3], 0 offen offset:8
	buffer_load_dword v5, v0, s[0:3], 0 offen offset:12
	v_cmp_gt_u32_e32 vcc, 10, v178
	s_waitcnt vmcnt(0)
	ds_write_b128 v6, v[2:5]
	s_waitcnt lgkmcnt(0)
	; wave barrier
	s_waitcnt lgkmcnt(0)
	s_and_saveexec_b64 s[4:5], vcc
	s_cbranch_execz .LBB125_67
; %bb.64:
	v_pk_mov_b32 v[2:3], 0, 0
	v_add_u32_e32 v8, -1, v178
	v_add_u32_e32 v9, 0x3e0, v1
	v_add_u32_e32 v10, 16, v1
	s_mov_b64 s[6:7], 0
	v_pk_mov_b32 v[4:5], v[2:3], v[2:3] op_sel:[0,1]
.LBB125_65:                             ; =>This Inner Loop Header: Depth=1
	buffer_load_dword v16, v10, s[0:3], 0 offen offset:8
	buffer_load_dword v17, v10, s[0:3], 0 offen offset:12
	buffer_load_dword v18, v10, s[0:3], 0 offen
	buffer_load_dword v19, v10, s[0:3], 0 offen offset:4
	ds_read_b128 v[12:15], v9
	v_add_u32_e32 v8, 1, v8
	v_cmp_lt_u32_e32 vcc, 8, v8
	v_add_u32_e32 v9, 16, v9
	v_add_u32_e32 v10, 16, v10
	s_or_b64 s[6:7], vcc, s[6:7]
	s_waitcnt vmcnt(2) lgkmcnt(0)
	v_mul_f64 v[20:21], v[14:15], v[16:17]
	v_mul_f64 v[16:17], v[12:13], v[16:17]
	s_waitcnt vmcnt(0)
	v_fma_f64 v[12:13], v[12:13], v[18:19], -v[20:21]
	v_fmac_f64_e32 v[16:17], v[14:15], v[18:19]
	v_add_f64 v[4:5], v[4:5], v[12:13]
	v_add_f64 v[2:3], v[2:3], v[16:17]
	s_andn2_b64 exec, exec, s[6:7]
	s_cbranch_execnz .LBB125_65
; %bb.66:
	s_or_b64 exec, exec, s[6:7]
	v_mov_b32_e32 v0, 0
	ds_read_b128 v[8:11], v0 offset:160
	s_waitcnt lgkmcnt(0)
	v_mul_f64 v[12:13], v[2:3], v[10:11]
	v_mul_f64 v[10:11], v[4:5], v[10:11]
	v_fma_f64 v[4:5], v[4:5], v[8:9], -v[12:13]
	v_fmac_f64_e32 v[10:11], v[2:3], v[8:9]
	buffer_store_dword v5, off, s[0:3], 0 offset:180
	buffer_store_dword v4, off, s[0:3], 0 offset:176
	buffer_store_dword v11, off, s[0:3], 0 offset:188
	buffer_store_dword v10, off, s[0:3], 0 offset:184
.LBB125_67:
	;; [unrolled: 58-line block ×10, first 2 shown]
	s_or_b64 exec, exec, s[4:5]
	v_accvgpr_read_b32 v0, a166
	s_waitcnt lgkmcnt(0)
	; wave barrier
	buffer_load_dword v2, v0, s[0:3], 0 offen
	buffer_load_dword v3, v0, s[0:3], 0 offen offset:4
	buffer_load_dword v4, v0, s[0:3], 0 offen offset:8
	buffer_load_dword v5, v0, s[0:3], 0 offen offset:12
	v_cmp_gt_u32_e32 vcc, 19, v178
	s_waitcnt vmcnt(0)
	ds_write_b128 v6, v[2:5]
	s_waitcnt lgkmcnt(0)
	; wave barrier
	s_waitcnt lgkmcnt(0)
	s_and_saveexec_b64 s[4:5], vcc
	s_cbranch_execz .LBB125_103
; %bb.100:
	v_pk_mov_b32 v[2:3], 0, 0
	v_add_u32_e32 v8, -1, v178
	v_add_u32_e32 v9, 0x3e0, v1
	v_add_u32_e32 v10, 16, v1
	s_mov_b64 s[6:7], 0
	v_pk_mov_b32 v[4:5], v[2:3], v[2:3] op_sel:[0,1]
.LBB125_101:                            ; =>This Inner Loop Header: Depth=1
	buffer_load_dword v16, v10, s[0:3], 0 offen offset:8
	buffer_load_dword v17, v10, s[0:3], 0 offen offset:12
	buffer_load_dword v18, v10, s[0:3], 0 offen
	buffer_load_dword v19, v10, s[0:3], 0 offen offset:4
	ds_read_b128 v[12:15], v9
	v_add_u32_e32 v8, 1, v8
	v_cmp_lt_u32_e32 vcc, 17, v8
	v_add_u32_e32 v9, 16, v9
	v_add_u32_e32 v10, 16, v10
	s_or_b64 s[6:7], vcc, s[6:7]
	s_waitcnt vmcnt(2) lgkmcnt(0)
	v_mul_f64 v[20:21], v[14:15], v[16:17]
	v_mul_f64 v[16:17], v[12:13], v[16:17]
	s_waitcnt vmcnt(0)
	v_fma_f64 v[12:13], v[12:13], v[18:19], -v[20:21]
	v_fmac_f64_e32 v[16:17], v[14:15], v[18:19]
	v_add_f64 v[4:5], v[4:5], v[12:13]
	v_add_f64 v[2:3], v[2:3], v[16:17]
	s_andn2_b64 exec, exec, s[6:7]
	s_cbranch_execnz .LBB125_101
; %bb.102:
	s_or_b64 exec, exec, s[6:7]
	v_mov_b32_e32 v0, 0
	ds_read_b128 v[8:11], v0 offset:304
	s_waitcnt lgkmcnt(0)
	v_mul_f64 v[12:13], v[2:3], v[10:11]
	v_mul_f64 v[10:11], v[4:5], v[10:11]
	v_fma_f64 v[4:5], v[4:5], v[8:9], -v[12:13]
	v_fmac_f64_e32 v[10:11], v[2:3], v[8:9]
	buffer_store_dword v5, off, s[0:3], 0 offset:324
	buffer_store_dword v4, off, s[0:3], 0 offset:320
	buffer_store_dword v11, off, s[0:3], 0 offset:332
	buffer_store_dword v10, off, s[0:3], 0 offset:328
.LBB125_103:
	s_or_b64 exec, exec, s[4:5]
	v_accvgpr_read_b32 v0, a165
	s_waitcnt lgkmcnt(0)
	; wave barrier
	buffer_load_dword v2, v0, s[0:3], 0 offen
	buffer_load_dword v3, v0, s[0:3], 0 offen offset:4
	buffer_load_dword v4, v0, s[0:3], 0 offen offset:8
	buffer_load_dword v5, v0, s[0:3], 0 offen offset:12
	v_cmp_gt_u32_e32 vcc, 20, v178
	s_waitcnt vmcnt(0)
	ds_write_b128 v6, v[2:5]
	s_waitcnt lgkmcnt(0)
	; wave barrier
	s_waitcnt lgkmcnt(0)
	s_and_saveexec_b64 s[4:5], vcc
	s_cbranch_execz .LBB125_107
; %bb.104:
	v_pk_mov_b32 v[2:3], 0, 0
	v_add_u32_e32 v8, -1, v178
	v_add_u32_e32 v9, 0x3e0, v1
	v_add_u32_e32 v10, 16, v1
	s_mov_b64 s[6:7], 0
	v_pk_mov_b32 v[4:5], v[2:3], v[2:3] op_sel:[0,1]
.LBB125_105:                            ; =>This Inner Loop Header: Depth=1
	buffer_load_dword v16, v10, s[0:3], 0 offen offset:8
	buffer_load_dword v17, v10, s[0:3], 0 offen offset:12
	buffer_load_dword v18, v10, s[0:3], 0 offen
	buffer_load_dword v19, v10, s[0:3], 0 offen offset:4
	ds_read_b128 v[12:15], v9
	v_add_u32_e32 v8, 1, v8
	v_cmp_lt_u32_e32 vcc, 18, v8
	v_add_u32_e32 v9, 16, v9
	v_add_u32_e32 v10, 16, v10
	s_or_b64 s[6:7], vcc, s[6:7]
	s_waitcnt vmcnt(2) lgkmcnt(0)
	v_mul_f64 v[20:21], v[14:15], v[16:17]
	v_mul_f64 v[16:17], v[12:13], v[16:17]
	s_waitcnt vmcnt(0)
	v_fma_f64 v[12:13], v[12:13], v[18:19], -v[20:21]
	v_fmac_f64_e32 v[16:17], v[14:15], v[18:19]
	v_add_f64 v[4:5], v[4:5], v[12:13]
	v_add_f64 v[2:3], v[2:3], v[16:17]
	s_andn2_b64 exec, exec, s[6:7]
	s_cbranch_execnz .LBB125_105
; %bb.106:
	s_or_b64 exec, exec, s[6:7]
	v_mov_b32_e32 v0, 0
	ds_read_b128 v[8:11], v0 offset:320
	s_waitcnt lgkmcnt(0)
	v_mul_f64 v[12:13], v[2:3], v[10:11]
	v_mul_f64 v[10:11], v[4:5], v[10:11]
	v_fma_f64 v[4:5], v[4:5], v[8:9], -v[12:13]
	v_fmac_f64_e32 v[10:11], v[2:3], v[8:9]
	buffer_store_dword v5, off, s[0:3], 0 offset:340
	buffer_store_dword v4, off, s[0:3], 0 offset:336
	buffer_store_dword v11, off, s[0:3], 0 offset:348
	buffer_store_dword v10, off, s[0:3], 0 offset:344
.LBB125_107:
	;; [unrolled: 58-line block ×42, first 2 shown]
	s_or_b64 exec, exec, s[4:5]
	v_accvgpr_read_b32 v0, a124
	s_waitcnt lgkmcnt(0)
	; wave barrier
	buffer_load_dword v2, v0, s[0:3], 0 offen
	buffer_load_dword v3, v0, s[0:3], 0 offen offset:4
	buffer_load_dword v4, v0, s[0:3], 0 offen offset:8
	;; [unrolled: 1-line block ×3, first 2 shown]
	v_cmp_ne_u32_e32 vcc, 61, v178
	s_waitcnt vmcnt(0)
	ds_write_b128 v6, v[2:5]
	s_waitcnt lgkmcnt(0)
	; wave barrier
	s_waitcnt lgkmcnt(0)
	s_and_saveexec_b64 s[4:5], vcc
	s_cbranch_execz .LBB125_271
; %bb.268:
	v_pk_mov_b32 v[2:3], 0, 0
	v_add_u32_e32 v6, 0x3e0, v1
	v_add_u32_e32 v1, 16, v1
	s_mov_b64 s[6:7], 0
	v_pk_mov_b32 v[4:5], v[2:3], v[2:3] op_sel:[0,1]
.LBB125_269:                            ; =>This Inner Loop Header: Depth=1
	buffer_load_dword v12, v1, s[0:3], 0 offen offset:8
	buffer_load_dword v13, v1, s[0:3], 0 offen offset:12
	buffer_load_dword v14, v1, s[0:3], 0 offen
	buffer_load_dword v15, v1, s[0:3], 0 offen offset:4
	ds_read_b128 v[8:11], v6
	v_add_u32_e32 v7, 1, v7
	v_cmp_lt_u32_e32 vcc, 59, v7
	v_add_u32_e32 v6, 16, v6
	v_add_u32_e32 v1, 16, v1
	s_or_b64 s[6:7], vcc, s[6:7]
	s_waitcnt vmcnt(2) lgkmcnt(0)
	v_mul_f64 v[16:17], v[10:11], v[12:13]
	v_mul_f64 v[12:13], v[8:9], v[12:13]
	s_waitcnt vmcnt(0)
	v_fma_f64 v[8:9], v[8:9], v[14:15], -v[16:17]
	v_fmac_f64_e32 v[12:13], v[10:11], v[14:15]
	v_add_f64 v[4:5], v[4:5], v[8:9]
	v_add_f64 v[2:3], v[2:3], v[12:13]
	s_andn2_b64 exec, exec, s[6:7]
	s_cbranch_execnz .LBB125_269
; %bb.270:
	s_or_b64 exec, exec, s[6:7]
	v_mov_b32_e32 v0, 0
	ds_read_b128 v[6:9], v0 offset:976
	s_waitcnt lgkmcnt(0)
	v_mul_f64 v[0:1], v[2:3], v[8:9]
	v_mul_f64 v[8:9], v[4:5], v[8:9]
	v_fma_f64 v[0:1], v[4:5], v[6:7], -v[0:1]
	v_fmac_f64_e32 v[8:9], v[2:3], v[6:7]
	buffer_store_dword v1, off, s[0:3], 0 offset:996
	buffer_store_dword v0, off, s[0:3], 0 offset:992
	;; [unrolled: 1-line block ×4, first 2 shown]
.LBB125_271:
	s_or_b64 exec, exec, s[4:5]
	s_mov_b64 s[6:7], -1
	s_waitcnt lgkmcnt(0)
	; wave barrier
.LBB125_272:
	s_and_b64 vcc, exec, s[6:7]
	s_cbranch_vccz .LBB125_274
; %bb.273:
	s_lshl_b64 s[4:5], s[8:9], 2
	s_add_u32 s4, s14, s4
	s_addc_u32 s5, s15, s5
	v_mov_b32_e32 v0, 0
	global_load_dword v0, v0, s[4:5]
	s_waitcnt vmcnt(0)
	v_cmp_ne_u32_e32 vcc, 0, v0
	s_cbranch_vccz .LBB125_275
.LBB125_274:
	s_endpgm
.LBB125_275:
	v_mov_b32_e32 v0, 0x3e0
	v_lshl_add_u32 v0, v178, 4, v0
	v_accvgpr_write_b32 a186, v0
	v_cmp_eq_u32_e32 vcc, 61, v178
	s_and_saveexec_b64 s[4:5], vcc
	s_cbranch_execz .LBB125_277
; %bb.276:
	v_accvgpr_read_b32 v0, a125
	buffer_load_dword v2, v0, s[0:3], 0 offen
	buffer_load_dword v3, v0, s[0:3], 0 offen offset:4
	buffer_load_dword v4, v0, s[0:3], 0 offen offset:8
	;; [unrolled: 1-line block ×3, first 2 shown]
	v_mov_b32_e32 v0, 0
	v_accvgpr_read_b32 v1, a186
	buffer_store_dword v0, off, s[0:3], 0 offset:976
	buffer_store_dword v0, off, s[0:3], 0 offset:980
	;; [unrolled: 1-line block ×4, first 2 shown]
	s_waitcnt vmcnt(4)
	ds_write_b128 v1, v[2:5]
.LBB125_277:
	s_or_b64 exec, exec, s[4:5]
	s_waitcnt lgkmcnt(0)
	; wave barrier
	s_waitcnt lgkmcnt(0)
	buffer_load_dword v0, off, s[0:3], 0 offset:1000
	buffer_load_dword v1, off, s[0:3], 0 offset:1004
	buffer_load_dword v8, off, s[0:3], 0 offset:992
	buffer_load_dword v9, off, s[0:3], 0 offset:996
	buffer_load_dword v10, off, s[0:3], 0 offset:976
	buffer_load_dword v11, off, s[0:3], 0 offset:980
	buffer_load_dword v12, off, s[0:3], 0 offset:984
	buffer_load_dword v13, off, s[0:3], 0 offset:988
	v_mov_b32_e32 v2, 0
	ds_read_b128 v[4:7], v2 offset:1968
	v_cmp_lt_u32_e32 vcc, 59, v178
	s_waitcnt vmcnt(6) lgkmcnt(0)
	v_mul_f64 v[14:15], v[4:5], v[0:1]
	v_mul_f64 v[0:1], v[6:7], v[0:1]
	s_waitcnt vmcnt(4)
	v_fma_f64 v[0:1], v[4:5], v[8:9], -v[0:1]
	v_fmac_f64_e32 v[14:15], v[6:7], v[8:9]
	v_add_f64 v[0:1], v[0:1], 0
	v_add_f64 v[4:5], v[14:15], 0
	s_waitcnt vmcnt(2)
	v_add_f64 v[0:1], v[10:11], -v[0:1]
	s_waitcnt vmcnt(0)
	v_add_f64 v[4:5], v[12:13], -v[4:5]
	buffer_store_dword v0, off, s[0:3], 0 offset:976
	buffer_store_dword v1, off, s[0:3], 0 offset:980
	;; [unrolled: 1-line block ×4, first 2 shown]
	s_and_saveexec_b64 s[4:5], vcc
	s_cbranch_execz .LBB125_279
; %bb.278:
	v_accvgpr_read_b32 v0, a126
	buffer_load_dword v4, v0, s[0:3], 0 offen
	buffer_load_dword v5, v0, s[0:3], 0 offen offset:4
	buffer_load_dword v6, v0, s[0:3], 0 offen offset:8
	;; [unrolled: 1-line block ×3, first 2 shown]
	v_accvgpr_read_b32 v0, a186
	buffer_store_dword v2, off, s[0:3], 0 offset:960
	buffer_store_dword v2, off, s[0:3], 0 offset:964
	;; [unrolled: 1-line block ×4, first 2 shown]
	s_waitcnt vmcnt(4)
	ds_write_b128 v0, v[4:7]
.LBB125_279:
	s_or_b64 exec, exec, s[4:5]
	s_waitcnt lgkmcnt(0)
	; wave barrier
	s_waitcnt lgkmcnt(0)
	buffer_load_dword v0, off, s[0:3], 0 offset:984
	buffer_load_dword v1, off, s[0:3], 0 offset:988
	;; [unrolled: 1-line block ×12, first 2 shown]
	ds_read_b128 v[4:7], v2 offset:1952
	ds_read_b128 v[8:11], v2 offset:1968
	v_cmp_lt_u32_e32 vcc, 58, v178
	s_waitcnt vmcnt(10) lgkmcnt(1)
	v_mul_f64 v[2:3], v[4:5], v[0:1]
	v_mul_f64 v[0:1], v[6:7], v[0:1]
	s_waitcnt vmcnt(8) lgkmcnt(0)
	v_mul_f64 v[22:23], v[8:9], v[12:13]
	v_mul_f64 v[12:13], v[10:11], v[12:13]
	s_waitcnt vmcnt(6)
	v_fma_f64 v[0:1], v[4:5], v[14:15], -v[0:1]
	v_fmac_f64_e32 v[2:3], v[6:7], v[14:15]
	s_waitcnt vmcnt(4)
	v_fma_f64 v[4:5], v[8:9], v[16:17], -v[12:13]
	v_add_f64 v[0:1], v[0:1], 0
	v_fmac_f64_e32 v[22:23], v[10:11], v[16:17]
	v_add_f64 v[2:3], v[2:3], 0
	v_add_f64 v[0:1], v[0:1], v[4:5]
	;; [unrolled: 1-line block ×3, first 2 shown]
	s_waitcnt vmcnt(2)
	v_add_f64 v[0:1], v[18:19], -v[0:1]
	s_waitcnt vmcnt(0)
	v_add_f64 v[2:3], v[20:21], -v[2:3]
	buffer_store_dword v0, off, s[0:3], 0 offset:960
	buffer_store_dword v1, off, s[0:3], 0 offset:964
	;; [unrolled: 1-line block ×4, first 2 shown]
	s_and_saveexec_b64 s[4:5], vcc
	s_cbranch_execz .LBB125_281
; %bb.280:
	v_accvgpr_read_b32 v0, a127
	buffer_load_dword v2, v0, s[0:3], 0 offen
	buffer_load_dword v3, v0, s[0:3], 0 offen offset:4
	buffer_load_dword v4, v0, s[0:3], 0 offen offset:8
	;; [unrolled: 1-line block ×3, first 2 shown]
	v_mov_b32_e32 v0, 0
	v_accvgpr_read_b32 v1, a186
	buffer_store_dword v0, off, s[0:3], 0 offset:944
	buffer_store_dword v0, off, s[0:3], 0 offset:948
	;; [unrolled: 1-line block ×4, first 2 shown]
	s_waitcnt vmcnt(4)
	ds_write_b128 v1, v[2:5]
.LBB125_281:
	s_or_b64 exec, exec, s[4:5]
	s_waitcnt lgkmcnt(0)
	; wave barrier
	s_waitcnt lgkmcnt(0)
	buffer_load_dword v0, off, s[0:3], 0 offset:968
	buffer_load_dword v1, off, s[0:3], 0 offset:972
	buffer_load_dword v16, off, s[0:3], 0 offset:984
	buffer_load_dword v17, off, s[0:3], 0 offset:988
	buffer_load_dword v18, off, s[0:3], 0 offset:1000
	buffer_load_dword v19, off, s[0:3], 0 offset:1004
	buffer_load_dword v20, off, s[0:3], 0 offset:960
	buffer_load_dword v21, off, s[0:3], 0 offset:964
	buffer_load_dword v22, off, s[0:3], 0 offset:976
	buffer_load_dword v23, off, s[0:3], 0 offset:980
	buffer_load_dword v24, off, s[0:3], 0 offset:992
	buffer_load_dword v25, off, s[0:3], 0 offset:996
	buffer_load_dword v26, off, s[0:3], 0 offset:944
	buffer_load_dword v27, off, s[0:3], 0 offset:948
	buffer_load_dword v28, off, s[0:3], 0 offset:952
	buffer_load_dword v29, off, s[0:3], 0 offset:956
	v_mov_b32_e32 v2, 0
	ds_read_b128 v[4:7], v2 offset:1936
	ds_read_b128 v[8:11], v2 offset:1952
	;; [unrolled: 1-line block ×3, first 2 shown]
	v_cmp_lt_u32_e32 vcc, 57, v178
	s_waitcnt vmcnt(14) lgkmcnt(2)
	v_mul_f64 v[30:31], v[4:5], v[0:1]
	v_mul_f64 v[0:1], v[6:7], v[0:1]
	s_waitcnt vmcnt(12) lgkmcnt(1)
	v_mul_f64 v[32:33], v[8:9], v[16:17]
	v_mul_f64 v[16:17], v[10:11], v[16:17]
	;; [unrolled: 3-line block ×3, first 2 shown]
	s_waitcnt vmcnt(8)
	v_fma_f64 v[0:1], v[4:5], v[20:21], -v[0:1]
	v_fmac_f64_e32 v[30:31], v[6:7], v[20:21]
	s_waitcnt vmcnt(6)
	v_fma_f64 v[4:5], v[8:9], v[22:23], -v[16:17]
	v_add_f64 v[0:1], v[0:1], 0
	v_fmac_f64_e32 v[32:33], v[10:11], v[22:23]
	s_waitcnt vmcnt(4)
	v_fma_f64 v[6:7], v[12:13], v[24:25], -v[18:19]
	v_add_f64 v[8:9], v[30:31], 0
	v_add_f64 v[0:1], v[0:1], v[4:5]
	v_fmac_f64_e32 v[34:35], v[14:15], v[24:25]
	v_add_f64 v[8:9], v[8:9], v[32:33]
	v_add_f64 v[0:1], v[0:1], v[6:7]
	;; [unrolled: 1-line block ×3, first 2 shown]
	s_waitcnt vmcnt(2)
	v_add_f64 v[0:1], v[26:27], -v[0:1]
	s_waitcnt vmcnt(0)
	v_add_f64 v[4:5], v[28:29], -v[4:5]
	buffer_store_dword v0, off, s[0:3], 0 offset:944
	buffer_store_dword v1, off, s[0:3], 0 offset:948
	;; [unrolled: 1-line block ×4, first 2 shown]
	s_and_saveexec_b64 s[4:5], vcc
	s_cbranch_execz .LBB125_283
; %bb.282:
	v_accvgpr_read_b32 v0, a128
	buffer_load_dword v4, v0, s[0:3], 0 offen
	buffer_load_dword v5, v0, s[0:3], 0 offen offset:4
	buffer_load_dword v6, v0, s[0:3], 0 offen offset:8
	;; [unrolled: 1-line block ×3, first 2 shown]
	v_accvgpr_read_b32 v0, a186
	buffer_store_dword v2, off, s[0:3], 0 offset:928
	buffer_store_dword v2, off, s[0:3], 0 offset:932
	;; [unrolled: 1-line block ×4, first 2 shown]
	s_waitcnt vmcnt(4)
	ds_write_b128 v0, v[4:7]
.LBB125_283:
	s_or_b64 exec, exec, s[4:5]
	s_waitcnt lgkmcnt(0)
	; wave barrier
	s_waitcnt lgkmcnt(0)
	buffer_load_dword v0, off, s[0:3], 0 offset:952
	buffer_load_dword v1, off, s[0:3], 0 offset:956
	;; [unrolled: 1-line block ×20, first 2 shown]
	ds_read_b128 v[4:7], v2 offset:1920
	ds_read_b128 v[8:11], v2 offset:1936
	;; [unrolled: 1-line block ×4, first 2 shown]
	v_cmp_lt_u32_e32 vcc, 56, v178
	s_waitcnt vmcnt(18) lgkmcnt(3)
	v_mul_f64 v[2:3], v[4:5], v[0:1]
	v_mul_f64 v[0:1], v[6:7], v[0:1]
	s_waitcnt vmcnt(16) lgkmcnt(2)
	v_mul_f64 v[38:39], v[8:9], v[20:21]
	v_mul_f64 v[20:21], v[10:11], v[20:21]
	;; [unrolled: 3-line block ×4, first 2 shown]
	s_waitcnt vmcnt(10)
	v_fma_f64 v[0:1], v[4:5], v[26:27], -v[0:1]
	v_fmac_f64_e32 v[2:3], v[6:7], v[26:27]
	s_waitcnt vmcnt(8)
	v_fma_f64 v[4:5], v[8:9], v[28:29], -v[20:21]
	v_add_f64 v[0:1], v[0:1], 0
	v_fmac_f64_e32 v[38:39], v[10:11], v[28:29]
	s_waitcnt vmcnt(6)
	v_fma_f64 v[6:7], v[12:13], v[30:31], -v[22:23]
	v_add_f64 v[2:3], v[2:3], 0
	v_add_f64 v[0:1], v[0:1], v[4:5]
	v_fmac_f64_e32 v[40:41], v[14:15], v[30:31]
	s_waitcnt vmcnt(4)
	v_fma_f64 v[8:9], v[16:17], v[32:33], -v[24:25]
	v_add_f64 v[2:3], v[2:3], v[38:39]
	v_add_f64 v[0:1], v[0:1], v[6:7]
	v_fmac_f64_e32 v[42:43], v[18:19], v[32:33]
	v_add_f64 v[2:3], v[2:3], v[40:41]
	v_add_f64 v[0:1], v[0:1], v[8:9]
	;; [unrolled: 1-line block ×3, first 2 shown]
	s_waitcnt vmcnt(2)
	v_add_f64 v[0:1], v[34:35], -v[0:1]
	s_waitcnt vmcnt(0)
	v_add_f64 v[2:3], v[36:37], -v[2:3]
	buffer_store_dword v0, off, s[0:3], 0 offset:928
	buffer_store_dword v1, off, s[0:3], 0 offset:932
	;; [unrolled: 1-line block ×4, first 2 shown]
	s_and_saveexec_b64 s[4:5], vcc
	s_cbranch_execz .LBB125_285
; %bb.284:
	v_accvgpr_read_b32 v0, a129
	buffer_load_dword v2, v0, s[0:3], 0 offen
	buffer_load_dword v3, v0, s[0:3], 0 offen offset:4
	buffer_load_dword v4, v0, s[0:3], 0 offen offset:8
	;; [unrolled: 1-line block ×3, first 2 shown]
	v_mov_b32_e32 v0, 0
	v_accvgpr_read_b32 v1, a186
	buffer_store_dword v0, off, s[0:3], 0 offset:912
	buffer_store_dword v0, off, s[0:3], 0 offset:916
	;; [unrolled: 1-line block ×4, first 2 shown]
	s_waitcnt vmcnt(4)
	ds_write_b128 v1, v[2:5]
.LBB125_285:
	s_or_b64 exec, exec, s[4:5]
	s_waitcnt lgkmcnt(0)
	; wave barrier
	s_waitcnt lgkmcnt(0)
	buffer_load_dword v0, off, s[0:3], 0 offset:936
	buffer_load_dword v1, off, s[0:3], 0 offset:940
	buffer_load_dword v24, off, s[0:3], 0 offset:952
	buffer_load_dword v25, off, s[0:3], 0 offset:956
	buffer_load_dword v26, off, s[0:3], 0 offset:968
	buffer_load_dword v27, off, s[0:3], 0 offset:972
	buffer_load_dword v28, off, s[0:3], 0 offset:1000
	buffer_load_dword v30, off, s[0:3], 0 offset:992
	buffer_load_dword v33, off, s[0:3], 0 offset:988
	buffer_load_dword v32, off, s[0:3], 0 offset:984
	buffer_load_dword v29, off, s[0:3], 0 offset:1004
	buffer_load_dword v34, off, s[0:3], 0 offset:928
	buffer_load_dword v35, off, s[0:3], 0 offset:932
	buffer_load_dword v36, off, s[0:3], 0 offset:944
	buffer_load_dword v37, off, s[0:3], 0 offset:948
	buffer_load_dword v38, off, s[0:3], 0 offset:960
	buffer_load_dword v39, off, s[0:3], 0 offset:964
	buffer_load_dword v41, off, s[0:3], 0 offset:980
	buffer_load_dword v40, off, s[0:3], 0 offset:976
	buffer_load_dword v31, off, s[0:3], 0 offset:996
	buffer_load_dword v42, off, s[0:3], 0 offset:912
	buffer_load_dword v43, off, s[0:3], 0 offset:916
	buffer_load_dword v44, off, s[0:3], 0 offset:920
	buffer_load_dword v45, off, s[0:3], 0 offset:924
	v_mov_b32_e32 v2, 0
	ds_read_b128 v[4:7], v2 offset:1904
	ds_read_b128 v[8:11], v2 offset:1920
	;; [unrolled: 1-line block ×5, first 2 shown]
	v_cmp_lt_u32_e32 vcc, 55, v178
	s_waitcnt vmcnt(22) lgkmcnt(4)
	v_mul_f64 v[46:47], v[4:5], v[0:1]
	v_mul_f64 v[0:1], v[6:7], v[0:1]
	s_waitcnt vmcnt(20) lgkmcnt(3)
	v_mul_f64 v[48:49], v[8:9], v[24:25]
	v_mul_f64 v[24:25], v[10:11], v[24:25]
	;; [unrolled: 3-line block ×4, first 2 shown]
	s_waitcnt vmcnt(13) lgkmcnt(0)
	v_mul_f64 v[54:55], v[20:21], v[28:29]
	s_waitcnt vmcnt(11)
	v_fma_f64 v[0:1], v[4:5], v[34:35], -v[0:1]
	v_fmac_f64_e32 v[46:47], v[6:7], v[34:35]
	s_waitcnt vmcnt(9)
	v_fma_f64 v[4:5], v[8:9], v[36:37], -v[24:25]
	v_add_f64 v[0:1], v[0:1], 0
	v_fmac_f64_e32 v[48:49], v[10:11], v[36:37]
	s_waitcnt vmcnt(7)
	v_fma_f64 v[6:7], v[12:13], v[38:39], -v[26:27]
	v_add_f64 v[12:13], v[46:47], 0
	v_add_f64 v[0:1], v[0:1], v[4:5]
	v_mul_f64 v[28:29], v[22:23], v[28:29]
	v_fmac_f64_e32 v[50:51], v[14:15], v[38:39]
	s_waitcnt vmcnt(5)
	v_fma_f64 v[8:9], v[16:17], v[40:41], -v[32:33]
	v_add_f64 v[12:13], v[12:13], v[48:49]
	v_add_f64 v[0:1], v[0:1], v[6:7]
	v_fmac_f64_e32 v[52:53], v[18:19], v[40:41]
	s_waitcnt vmcnt(4)
	v_fma_f64 v[10:11], v[20:21], v[30:31], -v[28:29]
	v_add_f64 v[4:5], v[12:13], v[50:51]
	v_add_f64 v[0:1], v[0:1], v[8:9]
	v_fmac_f64_e32 v[54:55], v[22:23], v[30:31]
	v_add_f64 v[4:5], v[4:5], v[52:53]
	v_add_f64 v[0:1], v[0:1], v[10:11]
	;; [unrolled: 1-line block ×3, first 2 shown]
	s_waitcnt vmcnt(2)
	v_add_f64 v[0:1], v[42:43], -v[0:1]
	s_waitcnt vmcnt(0)
	v_add_f64 v[4:5], v[44:45], -v[4:5]
	buffer_store_dword v1, off, s[0:3], 0 offset:916
	buffer_store_dword v0, off, s[0:3], 0 offset:912
	;; [unrolled: 1-line block ×4, first 2 shown]
	s_and_saveexec_b64 s[4:5], vcc
	s_cbranch_execz .LBB125_287
; %bb.286:
	v_accvgpr_read_b32 v0, a130
	buffer_load_dword v4, v0, s[0:3], 0 offen
	buffer_load_dword v5, v0, s[0:3], 0 offen offset:4
	buffer_load_dword v6, v0, s[0:3], 0 offen offset:8
	;; [unrolled: 1-line block ×3, first 2 shown]
	v_accvgpr_read_b32 v0, a186
	buffer_store_dword v2, off, s[0:3], 0 offset:896
	buffer_store_dword v2, off, s[0:3], 0 offset:900
	;; [unrolled: 1-line block ×4, first 2 shown]
	s_waitcnt vmcnt(4)
	ds_write_b128 v0, v[4:7]
.LBB125_287:
	s_or_b64 exec, exec, s[4:5]
	s_waitcnt lgkmcnt(0)
	; wave barrier
	s_waitcnt lgkmcnt(0)
	buffer_load_dword v0, off, s[0:3], 0 offset:920
	buffer_load_dword v1, off, s[0:3], 0 offset:924
	;; [unrolled: 1-line block ×28, first 2 shown]
	ds_read_b128 v[4:7], v2 offset:1888
	ds_read_b128 v[8:11], v2 offset:1904
	;; [unrolled: 1-line block ×6, first 2 shown]
	v_cmp_lt_u32_e32 vcc, 54, v178
	s_waitcnt vmcnt(26) lgkmcnt(5)
	v_mul_f64 v[2:3], v[4:5], v[0:1]
	v_mul_f64 v[0:1], v[6:7], v[0:1]
	s_waitcnt vmcnt(24) lgkmcnt(4)
	v_mul_f64 v[54:55], v[8:9], v[28:29]
	v_mul_f64 v[28:29], v[10:11], v[28:29]
	;; [unrolled: 3-line block ×4, first 2 shown]
	s_waitcnt vmcnt(17)
	v_mul_f64 v[58:59], v[16:17], v[36:37]
	v_mul_f64 v[36:37], v[18:19], v[36:37]
	s_waitcnt vmcnt(15) lgkmcnt(0)
	v_mul_f64 v[62:63], v[24:25], v[38:39]
	v_mul_f64 v[38:39], v[26:27], v[38:39]
	s_waitcnt vmcnt(14)
	v_fmac_f64_e32 v[60:61], v[22:23], v[34:35]
	s_waitcnt vmcnt(12)
	v_fma_f64 v[0:1], v[4:5], v[40:41], -v[0:1]
	v_fmac_f64_e32 v[2:3], v[6:7], v[40:41]
	s_waitcnt vmcnt(10)
	v_fma_f64 v[4:5], v[8:9], v[42:43], -v[28:29]
	v_add_f64 v[0:1], v[0:1], 0
	v_fmac_f64_e32 v[54:55], v[10:11], v[42:43]
	s_waitcnt vmcnt(8)
	v_fma_f64 v[6:7], v[12:13], v[44:45], -v[30:31]
	v_add_f64 v[2:3], v[2:3], 0
	v_add_f64 v[0:1], v[0:1], v[4:5]
	v_fmac_f64_e32 v[56:57], v[14:15], v[44:45]
	s_waitcnt vmcnt(6)
	v_fma_f64 v[8:9], v[16:17], v[46:47], -v[36:37]
	v_add_f64 v[2:3], v[2:3], v[54:55]
	v_add_f64 v[0:1], v[0:1], v[6:7]
	v_fmac_f64_e32 v[58:59], v[18:19], v[46:47]
	v_fma_f64 v[10:11], v[20:21], v[34:35], -v[32:33]
	v_add_f64 v[2:3], v[2:3], v[56:57]
	v_add_f64 v[0:1], v[0:1], v[8:9]
	s_waitcnt vmcnt(4)
	v_fma_f64 v[12:13], v[24:25], v[48:49], -v[38:39]
	v_add_f64 v[2:3], v[2:3], v[58:59]
	v_add_f64 v[0:1], v[0:1], v[10:11]
	v_fmac_f64_e32 v[62:63], v[26:27], v[48:49]
	v_add_f64 v[2:3], v[2:3], v[60:61]
	v_add_f64 v[0:1], v[0:1], v[12:13]
	v_add_f64 v[2:3], v[2:3], v[62:63]
	s_waitcnt vmcnt(2)
	v_add_f64 v[0:1], v[50:51], -v[0:1]
	s_waitcnt vmcnt(0)
	v_add_f64 v[2:3], v[52:53], -v[2:3]
	buffer_store_dword v1, off, s[0:3], 0 offset:900
	buffer_store_dword v0, off, s[0:3], 0 offset:896
	;; [unrolled: 1-line block ×4, first 2 shown]
	s_and_saveexec_b64 s[4:5], vcc
	s_cbranch_execz .LBB125_289
; %bb.288:
	v_accvgpr_read_b32 v0, a131
	buffer_load_dword v2, v0, s[0:3], 0 offen
	buffer_load_dword v3, v0, s[0:3], 0 offen offset:4
	buffer_load_dword v4, v0, s[0:3], 0 offen offset:8
	;; [unrolled: 1-line block ×3, first 2 shown]
	v_mov_b32_e32 v0, 0
	v_accvgpr_read_b32 v1, a186
	buffer_store_dword v0, off, s[0:3], 0 offset:880
	buffer_store_dword v0, off, s[0:3], 0 offset:884
	;; [unrolled: 1-line block ×4, first 2 shown]
	s_waitcnt vmcnt(4)
	ds_write_b128 v1, v[2:5]
.LBB125_289:
	s_or_b64 exec, exec, s[4:5]
	v_mov_b32_e32 v58, 0
	s_waitcnt lgkmcnt(0)
	; wave barrier
	s_waitcnt lgkmcnt(0)
	ds_read_b128 v[14:17], v58 offset:1872
	ds_read_b128 v[10:13], v58 offset:1888
	;; [unrolled: 1-line block ×4, first 2 shown]
	buffer_load_dword v28, off, s[0:3], 0 offset:880
	buffer_load_dword v29, off, s[0:3], 0 offset:884
	;; [unrolled: 1-line block ×20, first 2 shown]
	v_cmp_lt_u32_e32 vcc, 53, v178
	s_waitcnt vmcnt(12) lgkmcnt(3)
	v_mul_f64 v[0:1], v[14:15], v[36:37]
	v_fmac_f64_e32 v[0:1], v[16:17], v[30:31]
	v_add_f64 v[0:1], v[0:1], 0
	v_mul_f64 v[16:17], v[16:17], v[36:37]
	s_waitcnt vmcnt(8) lgkmcnt(2)
	v_mul_f64 v[18:19], v[10:11], v[38:39]
	v_fmac_f64_e32 v[18:19], v[12:13], v[32:33]
	v_add_f64 v[0:1], v[0:1], v[18:19]
	v_fma_f64 v[14:15], v[14:15], v[30:31], -v[16:17]
	s_waitcnt vmcnt(4) lgkmcnt(1)
	v_mul_f64 v[18:19], v[6:7], v[42:43]
	v_fmac_f64_e32 v[18:19], v[8:9], v[34:35]
	v_add_f64 v[0:1], v[0:1], v[18:19]
	s_waitcnt vmcnt(0) lgkmcnt(0)
	v_mul_f64 v[18:19], v[2:3], v[46:47]
	v_fmac_f64_e32 v[18:19], v[4:5], v[44:45]
	v_add_f64 v[0:1], v[0:1], v[18:19]
	ds_read_b128 v[18:21], v58 offset:1936
	buffer_load_dword v41, off, s[0:3], 0 offset:964
	buffer_load_dword v40, off, s[0:3], 0 offset:960
	;; [unrolled: 1-line block ×4, first 2 shown]
	ds_read_b128 v[50:53], v58 offset:1952
	buffer_load_dword v57, off, s[0:3], 0 offset:980
	buffer_load_dword v56, off, s[0:3], 0 offset:976
	buffer_load_dword v61, off, s[0:3], 0 offset:988
	buffer_load_dword v60, off, s[0:3], 0 offset:984
	v_mul_f64 v[12:13], v[12:13], v[38:39]
	v_add_f64 v[14:15], v[14:15], 0
	v_fma_f64 v[10:11], v[10:11], v[32:33], -v[12:13]
	v_mul_f64 v[8:9], v[8:9], v[42:43]
	v_add_f64 v[10:11], v[14:15], v[10:11]
	v_fma_f64 v[6:7], v[6:7], v[34:35], -v[8:9]
	;; [unrolled: 3-line block ×3, first 2 shown]
	v_add_f64 v[2:3], v[6:7], v[2:3]
	s_waitcnt vmcnt(4) lgkmcnt(1)
	v_mul_f64 v[22:23], v[18:19], v[54:55]
	v_fmac_f64_e32 v[22:23], v[20:21], v[40:41]
	v_add_f64 v[0:1], v[0:1], v[22:23]
	s_waitcnt vmcnt(0) lgkmcnt(0)
	v_mul_f64 v[22:23], v[50:51], v[60:61]
	v_fmac_f64_e32 v[22:23], v[52:53], v[56:57]
	v_add_f64 v[0:1], v[0:1], v[22:23]
	ds_read_b128 v[22:25], v58 offset:1968
	buffer_load_dword v49, off, s[0:3], 0 offset:996
	buffer_load_dword v48, off, s[0:3], 0 offset:992
	;; [unrolled: 1-line block ×4, first 2 shown]
	v_mul_f64 v[4:5], v[20:21], v[54:55]
	v_fma_f64 v[4:5], v[18:19], v[40:41], -v[4:5]
	v_add_f64 v[2:3], v[2:3], v[4:5]
	v_mul_f64 v[4:5], v[52:53], v[60:61]
	v_fma_f64 v[4:5], v[50:51], v[56:57], -v[4:5]
	v_add_f64 v[2:3], v[2:3], v[4:5]
	s_waitcnt vmcnt(0) lgkmcnt(0)
	v_mul_f64 v[4:5], v[24:25], v[62:63]
	v_mul_f64 v[64:65], v[22:23], v[62:63]
	v_fma_f64 v[4:5], v[22:23], v[48:49], -v[4:5]
	v_fmac_f64_e32 v[64:65], v[24:25], v[48:49]
	v_add_f64 v[2:3], v[2:3], v[4:5]
	v_add_f64 v[0:1], v[0:1], v[64:65]
	v_add_f64 v[2:3], v[28:29], -v[2:3]
	v_add_f64 v[0:1], v[26:27], -v[0:1]
	buffer_store_dword v3, off, s[0:3], 0 offset:884
	buffer_store_dword v2, off, s[0:3], 0 offset:880
	;; [unrolled: 1-line block ×4, first 2 shown]
	s_and_saveexec_b64 s[4:5], vcc
	s_cbranch_execz .LBB125_291
; %bb.290:
	v_accvgpr_read_b32 v0, a132
	buffer_load_dword v2, v0, s[0:3], 0 offen
	buffer_load_dword v3, v0, s[0:3], 0 offen offset:4
	buffer_load_dword v4, v0, s[0:3], 0 offen offset:8
	;; [unrolled: 1-line block ×3, first 2 shown]
	v_accvgpr_read_b32 v0, a186
	buffer_store_dword v58, off, s[0:3], 0 offset:864
	buffer_store_dword v58, off, s[0:3], 0 offset:868
	;; [unrolled: 1-line block ×4, first 2 shown]
	s_waitcnt vmcnt(4)
	ds_write_b128 v0, v[2:5]
.LBB125_291:
	s_or_b64 exec, exec, s[4:5]
	s_waitcnt lgkmcnt(0)
	; wave barrier
	s_waitcnt lgkmcnt(0)
	ds_read_b128 v[14:17], v58 offset:1856
	ds_read_b128 v[10:13], v58 offset:1872
	;; [unrolled: 1-line block ×4, first 2 shown]
	buffer_load_dword v36, off, s[0:3], 0 offset:864
	buffer_load_dword v37, off, s[0:3], 0 offset:868
	;; [unrolled: 1-line block ×20, first 2 shown]
	v_cmp_lt_u32_e32 vcc, 52, v178
	s_waitcnt vmcnt(12) lgkmcnt(3)
	v_mul_f64 v[0:1], v[14:15], v[44:45]
	v_fmac_f64_e32 v[0:1], v[16:17], v[38:39]
	v_add_f64 v[0:1], v[0:1], 0
	v_mul_f64 v[16:17], v[16:17], v[44:45]
	s_waitcnt vmcnt(8) lgkmcnt(2)
	v_mul_f64 v[18:19], v[10:11], v[46:47]
	v_fmac_f64_e32 v[18:19], v[12:13], v[40:41]
	v_add_f64 v[0:1], v[0:1], v[18:19]
	v_fma_f64 v[14:15], v[14:15], v[38:39], -v[16:17]
	s_waitcnt vmcnt(4) lgkmcnt(1)
	v_mul_f64 v[18:19], v[6:7], v[50:51]
	v_fmac_f64_e32 v[18:19], v[8:9], v[42:43]
	v_add_f64 v[0:1], v[0:1], v[18:19]
	s_waitcnt vmcnt(0) lgkmcnt(0)
	v_mul_f64 v[18:19], v[2:3], v[54:55]
	v_fmac_f64_e32 v[18:19], v[4:5], v[52:53]
	v_add_f64 v[0:1], v[0:1], v[18:19]
	ds_read_b128 v[18:21], v58 offset:1920
	buffer_load_dword v49, off, s[0:3], 0 offset:948
	buffer_load_dword v48, off, s[0:3], 0 offset:944
	;; [unrolled: 1-line block ×4, first 2 shown]
	ds_read_b128 v[30:33], v58 offset:1936
	buffer_load_dword v61, off, s[0:3], 0 offset:964
	buffer_load_dword v60, off, s[0:3], 0 offset:960
	;; [unrolled: 1-line block ×4, first 2 shown]
	v_mul_f64 v[12:13], v[12:13], v[46:47]
	v_add_f64 v[14:15], v[14:15], 0
	v_fma_f64 v[10:11], v[10:11], v[40:41], -v[12:13]
	v_mul_f64 v[8:9], v[8:9], v[50:51]
	v_add_f64 v[10:11], v[14:15], v[10:11]
	v_fma_f64 v[6:7], v[6:7], v[42:43], -v[8:9]
	;; [unrolled: 3-line block ×3, first 2 shown]
	v_add_f64 v[2:3], v[6:7], v[2:3]
	s_waitcnt vmcnt(4) lgkmcnt(1)
	v_mul_f64 v[22:23], v[18:19], v[64:65]
	v_fmac_f64_e32 v[22:23], v[20:21], v[48:49]
	v_add_f64 v[0:1], v[0:1], v[22:23]
	s_waitcnt vmcnt(0) lgkmcnt(0)
	v_mul_f64 v[22:23], v[30:31], v[62:63]
	v_fmac_f64_e32 v[22:23], v[32:33], v[60:61]
	v_add_f64 v[0:1], v[0:1], v[22:23]
	ds_read_b128 v[22:25], v58 offset:1952
	buffer_load_dword v57, off, s[0:3], 0 offset:980
	buffer_load_dword v56, off, s[0:3], 0 offset:976
	;; [unrolled: 1-line block ×4, first 2 shown]
	v_mul_f64 v[4:5], v[20:21], v[64:65]
	v_fma_f64 v[4:5], v[18:19], v[48:49], -v[4:5]
	v_add_f64 v[2:3], v[2:3], v[4:5]
	v_mul_f64 v[4:5], v[32:33], v[62:63]
	v_fma_f64 v[4:5], v[30:31], v[60:61], -v[4:5]
	v_add_f64 v[2:3], v[2:3], v[4:5]
	s_waitcnt vmcnt(0) lgkmcnt(0)
	v_mul_f64 v[26:27], v[22:23], v[66:67]
	v_fmac_f64_e32 v[26:27], v[24:25], v[56:57]
	v_add_f64 v[0:1], v[0:1], v[26:27]
	ds_read_b128 v[26:29], v58 offset:1968
	buffer_load_dword v59, off, s[0:3], 0 offset:996
	buffer_load_dword v58, off, s[0:3], 0 offset:992
	;; [unrolled: 1-line block ×4, first 2 shown]
	v_mul_f64 v[4:5], v[24:25], v[66:67]
	v_fma_f64 v[4:5], v[22:23], v[56:57], -v[4:5]
	v_add_f64 v[2:3], v[2:3], v[4:5]
	s_waitcnt vmcnt(0) lgkmcnt(0)
	v_mul_f64 v[4:5], v[28:29], v[68:69]
	v_mul_f64 v[70:71], v[26:27], v[68:69]
	v_fma_f64 v[4:5], v[26:27], v[58:59], -v[4:5]
	v_fmac_f64_e32 v[70:71], v[28:29], v[58:59]
	v_add_f64 v[2:3], v[2:3], v[4:5]
	v_add_f64 v[0:1], v[0:1], v[70:71]
	v_add_f64 v[2:3], v[36:37], -v[2:3]
	v_add_f64 v[0:1], v[34:35], -v[0:1]
	buffer_store_dword v3, off, s[0:3], 0 offset:868
	buffer_store_dword v2, off, s[0:3], 0 offset:864
	;; [unrolled: 1-line block ×4, first 2 shown]
	s_and_saveexec_b64 s[4:5], vcc
	s_cbranch_execz .LBB125_293
; %bb.292:
	v_accvgpr_read_b32 v0, a133
	buffer_load_dword v2, v0, s[0:3], 0 offen
	buffer_load_dword v3, v0, s[0:3], 0 offen offset:4
	buffer_load_dword v4, v0, s[0:3], 0 offen offset:8
	;; [unrolled: 1-line block ×3, first 2 shown]
	v_mov_b32_e32 v0, 0
	v_accvgpr_read_b32 v1, a186
	buffer_store_dword v0, off, s[0:3], 0 offset:848
	buffer_store_dword v0, off, s[0:3], 0 offset:852
	;; [unrolled: 1-line block ×4, first 2 shown]
	s_waitcnt vmcnt(4)
	ds_write_b128 v1, v[2:5]
.LBB125_293:
	s_or_b64 exec, exec, s[4:5]
	v_mov_b32_e32 v82, 0
	s_waitcnt lgkmcnt(0)
	; wave barrier
	s_waitcnt lgkmcnt(0)
	ds_read_b128 v[18:21], v82 offset:1840
	ds_read_b128 v[14:17], v82 offset:1856
	;; [unrolled: 1-line block ×4, first 2 shown]
	buffer_load_dword v40, off, s[0:3], 0 offset:848
	buffer_load_dword v41, off, s[0:3], 0 offset:852
	;; [unrolled: 1-line block ×20, first 2 shown]
	v_cmp_lt_u32_e32 vcc, 51, v178
	s_waitcnt vmcnt(12) lgkmcnt(3)
	v_mul_f64 v[0:1], v[18:19], v[56:57]
	v_fmac_f64_e32 v[0:1], v[20:21], v[44:45]
	v_add_f64 v[0:1], v[0:1], 0
	v_mul_f64 v[20:21], v[20:21], v[56:57]
	s_waitcnt vmcnt(8) lgkmcnt(2)
	v_mul_f64 v[6:7], v[14:15], v[54:55]
	v_fmac_f64_e32 v[6:7], v[16:17], v[50:51]
	v_add_f64 v[0:1], v[0:1], v[6:7]
	v_fma_f64 v[18:19], v[18:19], v[44:45], -v[20:21]
	s_waitcnt vmcnt(4) lgkmcnt(1)
	v_mul_f64 v[6:7], v[10:11], v[52:53]
	v_fmac_f64_e32 v[6:7], v[12:13], v[48:49]
	v_add_f64 v[0:1], v[0:1], v[6:7]
	s_waitcnt vmcnt(0) lgkmcnt(0)
	v_mul_f64 v[6:7], v[2:3], v[58:59]
	v_fmac_f64_e32 v[6:7], v[4:5], v[46:47]
	v_add_f64 v[0:1], v[0:1], v[6:7]
	ds_read_b128 v[6:9], v82 offset:1904
	buffer_load_dword v43, off, s[0:3], 0 offset:932
	buffer_load_dword v42, off, s[0:3], 0 offset:928
	buffer_load_dword v61, off, s[0:3], 0 offset:940
	buffer_load_dword v60, off, s[0:3], 0 offset:936
	v_mul_f64 v[16:17], v[16:17], v[54:55]
	v_add_f64 v[18:19], v[18:19], 0
	v_fma_f64 v[14:15], v[14:15], v[50:51], -v[16:17]
	v_mul_f64 v[12:13], v[12:13], v[52:53]
	v_add_f64 v[14:15], v[18:19], v[14:15]
	v_fma_f64 v[10:11], v[10:11], v[48:49], -v[12:13]
	;; [unrolled: 3-line block ×3, first 2 shown]
	v_add_f64 v[2:3], v[10:11], v[2:3]
	s_waitcnt vmcnt(0) lgkmcnt(0)
	v_mul_f64 v[22:23], v[6:7], v[60:61]
	v_fmac_f64_e32 v[22:23], v[8:9], v[42:43]
	v_add_f64 v[0:1], v[0:1], v[22:23]
	ds_read_b128 v[22:25], v82 offset:1920
	buffer_load_dword v63, off, s[0:3], 0 offset:948
	buffer_load_dword v62, off, s[0:3], 0 offset:944
	buffer_load_dword v65, off, s[0:3], 0 offset:956
	buffer_load_dword v64, off, s[0:3], 0 offset:952
	v_mul_f64 v[4:5], v[8:9], v[60:61]
	v_fma_f64 v[4:5], v[6:7], v[42:43], -v[4:5]
	v_add_f64 v[2:3], v[2:3], v[4:5]
	s_waitcnt vmcnt(0) lgkmcnt(0)
	v_mul_f64 v[26:27], v[22:23], v[64:65]
	v_fmac_f64_e32 v[26:27], v[24:25], v[62:63]
	v_add_f64 v[0:1], v[0:1], v[26:27]
	ds_read_b128 v[26:29], v82 offset:1936
	buffer_load_dword v67, off, s[0:3], 0 offset:964
	buffer_load_dword v66, off, s[0:3], 0 offset:960
	buffer_load_dword v69, off, s[0:3], 0 offset:972
	buffer_load_dword v68, off, s[0:3], 0 offset:968
	v_mul_f64 v[4:5], v[24:25], v[64:65]
	v_fma_f64 v[4:5], v[22:23], v[62:63], -v[4:5]
	;; [unrolled: 12-line block ×4, first 2 shown]
	v_add_f64 v[2:3], v[2:3], v[4:5]
	s_waitcnt vmcnt(0) lgkmcnt(0)
	v_mul_f64 v[4:5], v[36:37], v[76:77]
	v_mul_f64 v[78:79], v[34:35], v[76:77]
	v_fma_f64 v[4:5], v[34:35], v[74:75], -v[4:5]
	v_fmac_f64_e32 v[78:79], v[36:37], v[74:75]
	v_add_f64 v[2:3], v[2:3], v[4:5]
	v_add_f64 v[0:1], v[0:1], v[78:79]
	v_add_f64 v[2:3], v[40:41], -v[2:3]
	v_add_f64 v[0:1], v[38:39], -v[0:1]
	buffer_store_dword v3, off, s[0:3], 0 offset:852
	buffer_store_dword v2, off, s[0:3], 0 offset:848
	;; [unrolled: 1-line block ×4, first 2 shown]
	s_and_saveexec_b64 s[4:5], vcc
	s_cbranch_execz .LBB125_295
; %bb.294:
	v_accvgpr_read_b32 v0, a134
	buffer_load_dword v2, v0, s[0:3], 0 offen
	buffer_load_dword v3, v0, s[0:3], 0 offen offset:4
	buffer_load_dword v4, v0, s[0:3], 0 offen offset:8
	;; [unrolled: 1-line block ×3, first 2 shown]
	v_accvgpr_read_b32 v0, a186
	buffer_store_dword v82, off, s[0:3], 0 offset:832
	buffer_store_dword v82, off, s[0:3], 0 offset:836
	buffer_store_dword v82, off, s[0:3], 0 offset:840
	buffer_store_dword v82, off, s[0:3], 0 offset:844
	s_waitcnt vmcnt(4)
	ds_write_b128 v0, v[2:5]
.LBB125_295:
	s_or_b64 exec, exec, s[4:5]
	s_waitcnt lgkmcnt(0)
	; wave barrier
	s_waitcnt lgkmcnt(0)
	ds_read_b128 v[18:21], v82 offset:1824
	ds_read_b128 v[10:13], v82 offset:1840
	;; [unrolled: 1-line block ×4, first 2 shown]
	buffer_load_dword v44, off, s[0:3], 0 offset:832
	buffer_load_dword v45, off, s[0:3], 0 offset:836
	;; [unrolled: 1-line block ×20, first 2 shown]
	v_cmp_lt_u32_e32 vcc, 50, v178
	s_waitcnt vmcnt(12) lgkmcnt(3)
	v_mul_f64 v[0:1], v[18:19], v[62:63]
	v_fmac_f64_e32 v[0:1], v[20:21], v[58:59]
	v_add_f64 v[0:1], v[0:1], 0
	v_mul_f64 v[20:21], v[20:21], v[62:63]
	s_waitcnt vmcnt(8) lgkmcnt(2)
	v_mul_f64 v[14:15], v[10:11], v[60:61]
	v_fmac_f64_e32 v[14:15], v[12:13], v[56:57]
	v_add_f64 v[0:1], v[0:1], v[14:15]
	v_fma_f64 v[18:19], v[18:19], v[58:59], -v[20:21]
	s_waitcnt vmcnt(4) lgkmcnt(1)
	v_mul_f64 v[14:15], v[6:7], v[48:49]
	v_fmac_f64_e32 v[14:15], v[8:9], v[46:47]
	v_add_f64 v[0:1], v[0:1], v[14:15]
	s_waitcnt vmcnt(0) lgkmcnt(0)
	v_mul_f64 v[14:15], v[2:3], v[52:53]
	v_fmac_f64_e32 v[14:15], v[4:5], v[50:51]
	v_add_f64 v[0:1], v[0:1], v[14:15]
	ds_read_b128 v[14:17], v82 offset:1888
	buffer_load_dword v55, off, s[0:3], 0 offset:916
	buffer_load_dword v54, off, s[0:3], 0 offset:912
	;; [unrolled: 1-line block ×4, first 2 shown]
	v_mul_f64 v[12:13], v[12:13], v[60:61]
	v_add_f64 v[18:19], v[18:19], 0
	v_fma_f64 v[10:11], v[10:11], v[56:57], -v[12:13]
	v_mul_f64 v[8:9], v[8:9], v[48:49]
	v_add_f64 v[10:11], v[18:19], v[10:11]
	v_fma_f64 v[6:7], v[6:7], v[46:47], -v[8:9]
	;; [unrolled: 3-line block ×3, first 2 shown]
	v_add_f64 v[2:3], v[6:7], v[2:3]
	s_waitcnt vmcnt(0) lgkmcnt(0)
	v_mul_f64 v[22:23], v[14:15], v[64:65]
	v_fmac_f64_e32 v[22:23], v[16:17], v[54:55]
	v_add_f64 v[0:1], v[0:1], v[22:23]
	ds_read_b128 v[22:25], v82 offset:1904
	buffer_load_dword v67, off, s[0:3], 0 offset:932
	buffer_load_dword v66, off, s[0:3], 0 offset:928
	buffer_load_dword v69, off, s[0:3], 0 offset:940
	buffer_load_dword v68, off, s[0:3], 0 offset:936
	v_mul_f64 v[4:5], v[16:17], v[64:65]
	v_fma_f64 v[4:5], v[14:15], v[54:55], -v[4:5]
	v_add_f64 v[2:3], v[2:3], v[4:5]
	s_waitcnt vmcnt(0) lgkmcnt(0)
	v_mul_f64 v[26:27], v[22:23], v[68:69]
	v_fmac_f64_e32 v[26:27], v[24:25], v[66:67]
	v_add_f64 v[0:1], v[0:1], v[26:27]
	ds_read_b128 v[26:29], v82 offset:1920
	buffer_load_dword v71, off, s[0:3], 0 offset:948
	buffer_load_dword v70, off, s[0:3], 0 offset:944
	buffer_load_dword v73, off, s[0:3], 0 offset:956
	buffer_load_dword v72, off, s[0:3], 0 offset:952
	v_mul_f64 v[4:5], v[24:25], v[68:69]
	v_fma_f64 v[4:5], v[22:23], v[66:67], -v[4:5]
	;; [unrolled: 12-line block ×5, first 2 shown]
	v_add_f64 v[2:3], v[2:3], v[4:5]
	s_waitcnt vmcnt(0) lgkmcnt(0)
	v_mul_f64 v[4:5], v[40:41], v[84:85]
	v_mul_f64 v[86:87], v[38:39], v[84:85]
	v_fma_f64 v[4:5], v[38:39], v[82:83], -v[4:5]
	v_fmac_f64_e32 v[86:87], v[40:41], v[82:83]
	v_add_f64 v[2:3], v[2:3], v[4:5]
	v_add_f64 v[0:1], v[0:1], v[86:87]
	v_add_f64 v[2:3], v[44:45], -v[2:3]
	v_add_f64 v[0:1], v[42:43], -v[0:1]
	buffer_store_dword v3, off, s[0:3], 0 offset:836
	buffer_store_dword v2, off, s[0:3], 0 offset:832
	;; [unrolled: 1-line block ×4, first 2 shown]
	s_and_saveexec_b64 s[4:5], vcc
	s_cbranch_execz .LBB125_297
; %bb.296:
	v_accvgpr_read_b32 v0, a135
	buffer_load_dword v2, v0, s[0:3], 0 offen
	buffer_load_dword v3, v0, s[0:3], 0 offen offset:4
	buffer_load_dword v4, v0, s[0:3], 0 offen offset:8
	;; [unrolled: 1-line block ×3, first 2 shown]
	v_mov_b32_e32 v0, 0
	v_accvgpr_read_b32 v1, a186
	buffer_store_dword v0, off, s[0:3], 0 offset:816
	buffer_store_dword v0, off, s[0:3], 0 offset:820
	;; [unrolled: 1-line block ×4, first 2 shown]
	s_waitcnt vmcnt(4)
	ds_write_b128 v1, v[2:5]
.LBB125_297:
	s_or_b64 exec, exec, s[4:5]
	v_mov_b32_e32 v96, 0
	s_waitcnt lgkmcnt(0)
	; wave barrier
	s_waitcnt lgkmcnt(0)
	ds_read_b128 v[14:17], v96 offset:1808
	ds_read_b128 v[10:13], v96 offset:1824
	;; [unrolled: 1-line block ×4, first 2 shown]
	buffer_load_dword v48, off, s[0:3], 0 offset:816
	buffer_load_dword v49, off, s[0:3], 0 offset:820
	;; [unrolled: 1-line block ×20, first 2 shown]
	v_cmp_lt_u32_e32 vcc, 49, v178
	s_waitcnt vmcnt(12) lgkmcnt(3)
	v_mul_f64 v[0:1], v[14:15], v[56:57]
	v_fmac_f64_e32 v[0:1], v[16:17], v[50:51]
	v_add_f64 v[0:1], v[0:1], 0
	v_mul_f64 v[16:17], v[16:17], v[56:57]
	s_waitcnt vmcnt(8) lgkmcnt(2)
	v_mul_f64 v[18:19], v[10:11], v[58:59]
	v_fmac_f64_e32 v[18:19], v[12:13], v[52:53]
	v_add_f64 v[0:1], v[0:1], v[18:19]
	v_fma_f64 v[14:15], v[14:15], v[50:51], -v[16:17]
	s_waitcnt vmcnt(4) lgkmcnt(1)
	v_mul_f64 v[18:19], v[6:7], v[60:61]
	v_fmac_f64_e32 v[18:19], v[8:9], v[54:55]
	v_add_f64 v[0:1], v[0:1], v[18:19]
	s_waitcnt vmcnt(0) lgkmcnt(0)
	v_mul_f64 v[18:19], v[2:3], v[64:65]
	v_fmac_f64_e32 v[18:19], v[4:5], v[62:63]
	v_add_f64 v[0:1], v[0:1], v[18:19]
	ds_read_b128 v[18:21], v96 offset:1872
	buffer_load_dword v67, off, s[0:3], 0 offset:900
	buffer_load_dword v66, off, s[0:3], 0 offset:896
	;; [unrolled: 1-line block ×4, first 2 shown]
	v_mul_f64 v[12:13], v[12:13], v[58:59]
	v_add_f64 v[14:15], v[14:15], 0
	v_fma_f64 v[10:11], v[10:11], v[52:53], -v[12:13]
	v_mul_f64 v[8:9], v[8:9], v[60:61]
	v_add_f64 v[10:11], v[14:15], v[10:11]
	v_fma_f64 v[6:7], v[6:7], v[54:55], -v[8:9]
	;; [unrolled: 3-line block ×3, first 2 shown]
	v_add_f64 v[2:3], v[6:7], v[2:3]
	s_waitcnt vmcnt(0) lgkmcnt(0)
	v_mul_f64 v[22:23], v[18:19], v[68:69]
	v_fmac_f64_e32 v[22:23], v[20:21], v[66:67]
	v_add_f64 v[0:1], v[0:1], v[22:23]
	ds_read_b128 v[22:25], v96 offset:1888
	buffer_load_dword v71, off, s[0:3], 0 offset:916
	buffer_load_dword v70, off, s[0:3], 0 offset:912
	buffer_load_dword v73, off, s[0:3], 0 offset:924
	buffer_load_dword v72, off, s[0:3], 0 offset:920
	v_mul_f64 v[4:5], v[20:21], v[68:69]
	v_fma_f64 v[4:5], v[18:19], v[66:67], -v[4:5]
	v_add_f64 v[2:3], v[2:3], v[4:5]
	s_waitcnt vmcnt(0) lgkmcnt(0)
	v_mul_f64 v[26:27], v[22:23], v[72:73]
	v_fmac_f64_e32 v[26:27], v[24:25], v[70:71]
	v_add_f64 v[0:1], v[0:1], v[26:27]
	ds_read_b128 v[26:29], v96 offset:1904
	buffer_load_dword v75, off, s[0:3], 0 offset:932
	buffer_load_dword v74, off, s[0:3], 0 offset:928
	buffer_load_dword v77, off, s[0:3], 0 offset:940
	buffer_load_dword v76, off, s[0:3], 0 offset:936
	v_mul_f64 v[4:5], v[24:25], v[72:73]
	v_fma_f64 v[4:5], v[22:23], v[70:71], -v[4:5]
	;; [unrolled: 12-line block ×6, first 2 shown]
	v_add_f64 v[2:3], v[2:3], v[4:5]
	s_waitcnt vmcnt(0) lgkmcnt(0)
	v_mul_f64 v[4:5], v[44:45], v[92:93]
	v_mul_f64 v[0:1], v[42:43], v[92:93]
	v_fma_f64 v[4:5], v[42:43], v[90:91], -v[4:5]
	v_fmac_f64_e32 v[0:1], v[44:45], v[90:91]
	v_add_f64 v[2:3], v[2:3], v[4:5]
	v_add_f64 v[0:1], v[94:95], v[0:1]
	v_add_f64 v[2:3], v[48:49], -v[2:3]
	v_add_f64 v[0:1], v[46:47], -v[0:1]
	buffer_store_dword v3, off, s[0:3], 0 offset:820
	buffer_store_dword v2, off, s[0:3], 0 offset:816
	;; [unrolled: 1-line block ×4, first 2 shown]
	s_and_saveexec_b64 s[4:5], vcc
	s_cbranch_execz .LBB125_299
; %bb.298:
	v_accvgpr_read_b32 v0, a136
	buffer_load_dword v2, v0, s[0:3], 0 offen
	buffer_load_dword v3, v0, s[0:3], 0 offen offset:4
	buffer_load_dword v4, v0, s[0:3], 0 offen offset:8
	;; [unrolled: 1-line block ×3, first 2 shown]
	v_accvgpr_read_b32 v0, a186
	buffer_store_dword v96, off, s[0:3], 0 offset:800
	buffer_store_dword v96, off, s[0:3], 0 offset:804
	;; [unrolled: 1-line block ×4, first 2 shown]
	s_waitcnt vmcnt(4)
	ds_write_b128 v0, v[2:5]
.LBB125_299:
	s_or_b64 exec, exec, s[4:5]
	s_waitcnt lgkmcnt(0)
	; wave barrier
	s_waitcnt lgkmcnt(0)
	ds_read_b128 v[14:17], v96 offset:1792
	ds_read_b128 v[10:13], v96 offset:1808
	;; [unrolled: 1-line block ×4, first 2 shown]
	buffer_load_dword v48, off, s[0:3], 0 offset:800
	buffer_load_dword v49, off, s[0:3], 0 offset:804
	;; [unrolled: 1-line block ×20, first 2 shown]
	v_cmp_lt_u32_e32 vcc, 48, v178
	s_waitcnt vmcnt(12) lgkmcnt(3)
	v_mul_f64 v[0:1], v[14:15], v[56:57]
	v_fmac_f64_e32 v[0:1], v[16:17], v[50:51]
	v_add_f64 v[0:1], v[0:1], 0
	v_mul_f64 v[16:17], v[16:17], v[56:57]
	s_waitcnt vmcnt(8) lgkmcnt(2)
	v_mul_f64 v[18:19], v[10:11], v[58:59]
	v_fmac_f64_e32 v[18:19], v[12:13], v[52:53]
	v_add_f64 v[0:1], v[0:1], v[18:19]
	v_fma_f64 v[14:15], v[14:15], v[50:51], -v[16:17]
	s_waitcnt vmcnt(4) lgkmcnt(1)
	v_mul_f64 v[18:19], v[6:7], v[60:61]
	v_fmac_f64_e32 v[18:19], v[8:9], v[54:55]
	v_add_f64 v[0:1], v[0:1], v[18:19]
	s_waitcnt vmcnt(0) lgkmcnt(0)
	v_mul_f64 v[18:19], v[2:3], v[64:65]
	v_fmac_f64_e32 v[18:19], v[4:5], v[62:63]
	v_add_f64 v[0:1], v[0:1], v[18:19]
	ds_read_b128 v[18:21], v96 offset:1856
	buffer_load_dword v67, off, s[0:3], 0 offset:884
	buffer_load_dword v66, off, s[0:3], 0 offset:880
	;; [unrolled: 1-line block ×4, first 2 shown]
	v_mul_f64 v[12:13], v[12:13], v[58:59]
	v_add_f64 v[14:15], v[14:15], 0
	v_fma_f64 v[10:11], v[10:11], v[52:53], -v[12:13]
	v_mul_f64 v[8:9], v[8:9], v[60:61]
	v_add_f64 v[10:11], v[14:15], v[10:11]
	v_fma_f64 v[6:7], v[6:7], v[54:55], -v[8:9]
	;; [unrolled: 3-line block ×3, first 2 shown]
	v_add_f64 v[2:3], v[6:7], v[2:3]
	s_waitcnt vmcnt(0) lgkmcnt(0)
	v_mul_f64 v[22:23], v[18:19], v[68:69]
	v_fmac_f64_e32 v[22:23], v[20:21], v[66:67]
	v_add_f64 v[0:1], v[0:1], v[22:23]
	ds_read_b128 v[22:25], v96 offset:1872
	buffer_load_dword v71, off, s[0:3], 0 offset:900
	buffer_load_dword v70, off, s[0:3], 0 offset:896
	buffer_load_dword v73, off, s[0:3], 0 offset:908
	buffer_load_dword v72, off, s[0:3], 0 offset:904
	v_mul_f64 v[4:5], v[20:21], v[68:69]
	v_fma_f64 v[4:5], v[18:19], v[66:67], -v[4:5]
	v_add_f64 v[2:3], v[2:3], v[4:5]
	s_waitcnt vmcnt(0) lgkmcnt(0)
	v_mul_f64 v[26:27], v[22:23], v[72:73]
	v_fmac_f64_e32 v[26:27], v[24:25], v[70:71]
	v_add_f64 v[0:1], v[0:1], v[26:27]
	ds_read_b128 v[26:29], v96 offset:1888
	buffer_load_dword v75, off, s[0:3], 0 offset:916
	buffer_load_dword v74, off, s[0:3], 0 offset:912
	buffer_load_dword v77, off, s[0:3], 0 offset:924
	buffer_load_dword v76, off, s[0:3], 0 offset:920
	v_mul_f64 v[4:5], v[24:25], v[72:73]
	v_fma_f64 v[4:5], v[22:23], v[70:71], -v[4:5]
	;; [unrolled: 12-line block ×7, first 2 shown]
	v_add_f64 v[2:3], v[2:3], v[4:5]
	s_waitcnt vmcnt(0) lgkmcnt(0)
	v_mul_f64 v[4:5], v[96:97], v[100:101]
	v_mul_f64 v[102:103], v[94:95], v[100:101]
	v_fma_f64 v[4:5], v[94:95], v[98:99], -v[4:5]
	v_fmac_f64_e32 v[102:103], v[96:97], v[98:99]
	v_add_f64 v[2:3], v[2:3], v[4:5]
	v_add_f64 v[0:1], v[0:1], v[102:103]
	v_add_f64 v[2:3], v[48:49], -v[2:3]
	v_add_f64 v[0:1], v[46:47], -v[0:1]
	buffer_store_dword v3, off, s[0:3], 0 offset:804
	buffer_store_dword v2, off, s[0:3], 0 offset:800
	;; [unrolled: 1-line block ×4, first 2 shown]
	s_and_saveexec_b64 s[4:5], vcc
	s_cbranch_execz .LBB125_301
; %bb.300:
	v_accvgpr_read_b32 v0, a137
	buffer_load_dword v2, v0, s[0:3], 0 offen
	buffer_load_dword v3, v0, s[0:3], 0 offen offset:4
	buffer_load_dword v4, v0, s[0:3], 0 offen offset:8
	;; [unrolled: 1-line block ×3, first 2 shown]
	v_mov_b32_e32 v0, 0
	v_accvgpr_read_b32 v1, a186
	buffer_store_dword v0, off, s[0:3], 0 offset:784
	buffer_store_dword v0, off, s[0:3], 0 offset:788
	;; [unrolled: 1-line block ×4, first 2 shown]
	s_waitcnt vmcnt(4)
	ds_write_b128 v1, v[2:5]
.LBB125_301:
	s_or_b64 exec, exec, s[4:5]
	s_waitcnt lgkmcnt(0)
	; wave barrier
	s_waitcnt lgkmcnt(0)
	buffer_load_dword v2, off, s[0:3], 0 offset:800
	buffer_load_dword v3, off, s[0:3], 0 offset:804
	;; [unrolled: 1-line block ×56, first 2 shown]
	v_mov_b32_e32 v30, 0
	ds_read_b128 v[32:35], v30 offset:1776
	ds_read_b128 v[36:39], v30 offset:1792
	;; [unrolled: 1-line block ×9, first 2 shown]
	v_cmp_lt_u32_e32 vcc, 47, v178
	s_waitcnt vmcnt(52) lgkmcnt(8)
	v_mul_f64 v[64:65], v[32:33], v[6:7]
	v_fmac_f64_e32 v[64:65], v[34:35], v[2:3]
	v_add_f64 v[64:65], v[64:65], 0
	v_mul_f64 v[6:7], v[34:35], v[6:7]
	s_waitcnt vmcnt(48) lgkmcnt(7)
	v_mul_f64 v[66:67], v[36:37], v[8:9]
	v_fmac_f64_e32 v[66:67], v[38:39], v[4:5]
	s_waitcnt vmcnt(46) lgkmcnt(6)
	v_mul_f64 v[68:69], v[40:41], v[10:11]
	v_add_f64 v[64:65], v[64:65], v[66:67]
	s_waitcnt vmcnt(44) lgkmcnt(5)
	v_mul_f64 v[70:71], v[44:45], v[12:13]
	v_fma_f64 v[2:3], v[32:33], v[2:3], -v[6:7]
	v_mul_f64 v[6:7], v[38:39], v[8:9]
	v_add_f64 v[2:3], v[2:3], 0
	v_fma_f64 v[4:5], v[36:37], v[4:5], -v[6:7]
	s_waitcnt vmcnt(39) lgkmcnt(3)
	v_mul_f64 v[74:75], v[52:53], v[18:19]
	v_add_f64 v[2:3], v[2:3], v[4:5]
	s_waitcnt vmcnt(37)
	v_mul_f64 v[72:73], v[48:49], v[20:21]
	v_mul_f64 v[4:5], v[42:43], v[10:11]
	s_waitcnt vmcnt(35)
	v_fmac_f64_e32 v[72:73], v[50:51], v[22:23]
	s_waitcnt lgkmcnt(2)
	v_mul_f64 v[76:77], v[56:57], v[14:15]
	s_waitcnt vmcnt(33)
	v_fmac_f64_e32 v[68:69], v[42:43], v[28:29]
	v_add_f64 v[64:65], v[64:65], v[68:69]
	s_waitcnt vmcnt(31)
	v_fmac_f64_e32 v[70:71], v[46:47], v[26:27]
	v_add_f64 v[64:65], v[64:65], v[70:71]
	;; [unrolled: 3-line block ×3, first 2 shown]
	v_fma_f64 v[4:5], v[40:41], v[28:29], -v[4:5]
	s_waitcnt vmcnt(28)
	v_fmac_f64_e32 v[76:77], v[58:59], v[16:17]
	v_add_f64 v[64:65], v[64:65], v[74:75]
	v_add_f64 v[2:3], v[2:3], v[4:5]
	v_mul_f64 v[4:5], v[46:47], v[12:13]
	v_add_f64 v[68:69], v[64:65], v[76:77]
	ds_read_b128 v[64:67], v30 offset:1904
	s_waitcnt vmcnt(24) lgkmcnt(2)
	v_mul_f64 v[70:71], v[60:61], v[86:87]
	v_fma_f64 v[4:5], v[44:45], v[26:27], -v[4:5]
	s_waitcnt vmcnt(22)
	v_fmac_f64_e32 v[70:71], v[62:63], v[88:89]
	v_add_f64 v[2:3], v[2:3], v[4:5]
	v_mul_f64 v[4:5], v[50:51], v[20:21]
	v_add_f64 v[72:73], v[68:69], v[70:71]
	ds_read_b128 v[68:71], v30 offset:1920
	v_fma_f64 v[4:5], v[48:49], v[22:23], -v[4:5]
	v_add_f64 v[2:3], v[2:3], v[4:5]
	v_mul_f64 v[4:5], v[54:55], v[18:19]
	v_fma_f64 v[4:5], v[52:53], v[24:25], -v[4:5]
	s_waitcnt vmcnt(21) lgkmcnt(1)
	v_mul_f64 v[74:75], v[64:65], v[0:1]
	v_add_f64 v[2:3], v[2:3], v[4:5]
	v_mul_f64 v[4:5], v[58:59], v[14:15]
	s_waitcnt vmcnt(20)
	v_fmac_f64_e32 v[74:75], v[66:67], v[84:85]
	v_fma_f64 v[4:5], v[56:57], v[16:17], -v[4:5]
	v_add_f64 v[76:77], v[72:73], v[74:75]
	ds_read_b128 v[72:75], v30 offset:1936
	s_waitcnt vmcnt(16) lgkmcnt(1)
	v_mul_f64 v[78:79], v[68:69], v[94:95]
	v_add_f64 v[2:3], v[2:3], v[4:5]
	v_mul_f64 v[4:5], v[62:63], v[86:87]
	s_waitcnt vmcnt(14)
	v_fmac_f64_e32 v[78:79], v[70:71], v[96:97]
	v_fma_f64 v[4:5], v[60:61], v[88:89], -v[4:5]
	v_mul_f64 v[0:1], v[66:67], v[0:1]
	v_add_f64 v[110:111], v[76:77], v[78:79]
	ds_read_b128 v[76:79], v30 offset:1952
	v_add_f64 v[2:3], v[2:3], v[4:5]
	v_fma_f64 v[0:1], v[64:65], v[84:85], -v[0:1]
	v_add_f64 v[0:1], v[2:3], v[0:1]
	v_mul_f64 v[2:3], v[70:71], v[94:95]
	v_fma_f64 v[2:3], v[68:69], v[96:97], -v[2:3]
	v_add_f64 v[0:1], v[0:1], v[2:3]
	s_waitcnt vmcnt(13) lgkmcnt(1)
	v_mul_f64 v[2:3], v[74:75], v[90:91]
	v_mul_f64 v[112:113], v[72:73], v[90:91]
	s_waitcnt vmcnt(12)
	v_fma_f64 v[2:3], v[72:73], v[92:93], -v[2:3]
	v_fmac_f64_e32 v[112:113], v[74:75], v[92:93]
	v_add_f64 v[0:1], v[0:1], v[2:3]
	s_waitcnt vmcnt(8) lgkmcnt(0)
	v_mul_f64 v[2:3], v[78:79], v[102:103]
	v_add_f64 v[110:111], v[110:111], v[112:113]
	v_mul_f64 v[112:113], v[76:77], v[102:103]
	s_waitcnt vmcnt(6)
	v_fma_f64 v[2:3], v[76:77], v[104:105], -v[2:3]
	v_fmac_f64_e32 v[112:113], v[78:79], v[104:105]
	v_add_f64 v[0:1], v[0:1], v[2:3]
	s_waitcnt vmcnt(5)
	v_mul_f64 v[2:3], v[82:83], v[98:99]
	v_add_f64 v[110:111], v[110:111], v[112:113]
	v_mul_f64 v[112:113], v[80:81], v[98:99]
	s_waitcnt vmcnt(4)
	v_fma_f64 v[2:3], v[80:81], v[100:101], -v[2:3]
	v_fmac_f64_e32 v[112:113], v[82:83], v[100:101]
	v_add_f64 v[0:1], v[0:1], v[2:3]
	v_add_f64 v[110:111], v[110:111], v[112:113]
	s_waitcnt vmcnt(2)
	v_add_f64 v[0:1], v[106:107], -v[0:1]
	s_waitcnt vmcnt(0)
	v_add_f64 v[2:3], v[108:109], -v[110:111]
	buffer_store_dword v1, off, s[0:3], 0 offset:788
	buffer_store_dword v0, off, s[0:3], 0 offset:784
	;; [unrolled: 1-line block ×4, first 2 shown]
	s_and_saveexec_b64 s[4:5], vcc
	s_cbranch_execz .LBB125_303
; %bb.302:
	v_accvgpr_read_b32 v0, a138
	buffer_load_dword v2, v0, s[0:3], 0 offen
	buffer_load_dword v3, v0, s[0:3], 0 offen offset:4
	buffer_load_dword v4, v0, s[0:3], 0 offen offset:8
	;; [unrolled: 1-line block ×3, first 2 shown]
	v_accvgpr_read_b32 v0, a186
	buffer_store_dword v30, off, s[0:3], 0 offset:768
	buffer_store_dword v30, off, s[0:3], 0 offset:772
	;; [unrolled: 1-line block ×4, first 2 shown]
	s_waitcnt vmcnt(4)
	ds_write_b128 v0, v[2:5]
.LBB125_303:
	s_or_b64 exec, exec, s[4:5]
	s_waitcnt lgkmcnt(0)
	; wave barrier
	s_waitcnt lgkmcnt(0)
	buffer_load_dword v2, off, s[0:3], 0 offset:784
	buffer_load_dword v3, off, s[0:3], 0 offset:788
	;; [unrolled: 1-line block ×60, first 2 shown]
	ds_read_b128 v[32:35], v30 offset:1760
	ds_read_b128 v[36:39], v30 offset:1776
	;; [unrolled: 1-line block ×8, first 2 shown]
	v_cmp_lt_u32_e32 vcc, 46, v178
	ds_read_b128 v[84:87], v30 offset:1968
	s_waitcnt vmcnt(56) lgkmcnt(8)
	v_mul_f64 v[64:65], v[32:33], v[6:7]
	v_fmac_f64_e32 v[64:65], v[34:35], v[2:3]
	v_add_f64 v[64:65], v[64:65], 0
	v_mul_f64 v[6:7], v[34:35], v[6:7]
	s_waitcnt vmcnt(52) lgkmcnt(7)
	v_mul_f64 v[66:67], v[36:37], v[8:9]
	v_fmac_f64_e32 v[66:67], v[38:39], v[4:5]
	s_waitcnt vmcnt(50) lgkmcnt(6)
	v_mul_f64 v[68:69], v[40:41], v[10:11]
	v_add_f64 v[64:65], v[64:65], v[66:67]
	s_waitcnt vmcnt(48) lgkmcnt(4)
	v_mul_f64 v[72:73], v[48:49], v[12:13]
	v_fma_f64 v[2:3], v[32:33], v[2:3], -v[6:7]
	s_waitcnt vmcnt(46)
	v_fmac_f64_e32 v[72:73], v[50:51], v[14:15]
	v_mul_f64 v[6:7], v[38:39], v[8:9]
	s_waitcnt vmcnt(44)
	v_mul_f64 v[70:71], v[44:45], v[16:17]
	v_add_f64 v[2:3], v[2:3], 0
	v_fma_f64 v[4:5], v[36:37], v[4:5], -v[6:7]
	v_add_f64 v[2:3], v[2:3], v[4:5]
	s_waitcnt vmcnt(40) lgkmcnt(3)
	v_mul_f64 v[74:75], v[52:53], v[22:23]
	v_mul_f64 v[4:5], v[42:43], v[10:11]
	s_waitcnt vmcnt(38)
	v_fmac_f64_e32 v[68:69], v[42:43], v[28:29]
	v_add_f64 v[64:65], v[64:65], v[68:69]
	s_waitcnt vmcnt(36)
	v_fmac_f64_e32 v[70:71], v[46:47], v[26:27]
	v_add_f64 v[64:65], v[64:65], v[70:71]
	;; [unrolled: 3-line block ×3, first 2 shown]
	s_waitcnt vmcnt(33) lgkmcnt(2)
	v_mul_f64 v[66:67], v[56:57], v[18:19]
	v_add_f64 v[64:65], v[64:65], v[74:75]
	s_waitcnt vmcnt(32)
	v_fmac_f64_e32 v[66:67], v[58:59], v[20:21]
	v_add_f64 v[68:69], v[64:65], v[66:67]
	ds_read_b128 v[64:67], v30 offset:1888
	v_fma_f64 v[4:5], v[40:41], v[28:29], -v[4:5]
	v_add_f64 v[2:3], v[2:3], v[4:5]
	v_mul_f64 v[4:5], v[46:47], v[16:17]
	s_waitcnt vmcnt(28) lgkmcnt(2)
	v_mul_f64 v[70:71], v[60:61], v[90:91]
	v_fma_f64 v[4:5], v[44:45], v[26:27], -v[4:5]
	s_waitcnt vmcnt(26)
	v_fmac_f64_e32 v[70:71], v[62:63], v[92:93]
	v_add_f64 v[2:3], v[2:3], v[4:5]
	v_mul_f64 v[4:5], v[50:51], v[12:13]
	v_add_f64 v[72:73], v[68:69], v[70:71]
	ds_read_b128 v[68:71], v30 offset:1904
	s_waitcnt vmcnt(25) lgkmcnt(1)
	v_mul_f64 v[74:75], v[64:65], v[0:1]
	v_fma_f64 v[4:5], v[48:49], v[14:15], -v[4:5]
	s_waitcnt vmcnt(24)
	v_fmac_f64_e32 v[74:75], v[66:67], v[88:89]
	v_add_f64 v[2:3], v[2:3], v[4:5]
	v_mul_f64 v[4:5], v[54:55], v[22:23]
	v_add_f64 v[76:77], v[72:73], v[74:75]
	ds_read_b128 v[72:75], v30 offset:1920
	v_fma_f64 v[4:5], v[52:53], v[24:25], -v[4:5]
	v_add_f64 v[2:3], v[2:3], v[4:5]
	v_mul_f64 v[4:5], v[58:59], v[18:19]
	v_fma_f64 v[4:5], v[56:57], v[20:21], -v[4:5]
	s_waitcnt vmcnt(20) lgkmcnt(1)
	v_mul_f64 v[78:79], v[68:69], v[98:99]
	v_add_f64 v[2:3], v[2:3], v[4:5]
	v_mul_f64 v[4:5], v[62:63], v[90:91]
	s_waitcnt vmcnt(18)
	v_fmac_f64_e32 v[78:79], v[70:71], v[100:101]
	v_fma_f64 v[4:5], v[60:61], v[92:93], -v[4:5]
	v_mul_f64 v[0:1], v[66:67], v[0:1]
	v_add_f64 v[80:81], v[76:77], v[78:79]
	ds_read_b128 v[76:79], v30 offset:1936
	s_waitcnt vmcnt(17) lgkmcnt(1)
	v_mul_f64 v[82:83], v[72:73], v[94:95]
	v_add_f64 v[2:3], v[2:3], v[4:5]
	v_fma_f64 v[0:1], v[64:65], v[88:89], -v[0:1]
	s_waitcnt vmcnt(16)
	v_fmac_f64_e32 v[82:83], v[74:75], v[96:97]
	v_add_f64 v[0:1], v[2:3], v[0:1]
	v_mul_f64 v[2:3], v[70:71], v[98:99]
	v_add_f64 v[118:119], v[80:81], v[82:83]
	ds_read_b128 v[80:83], v30 offset:1952
	v_fma_f64 v[2:3], v[68:69], v[100:101], -v[2:3]
	v_add_f64 v[0:1], v[0:1], v[2:3]
	v_mul_f64 v[2:3], v[74:75], v[94:95]
	v_fma_f64 v[2:3], v[72:73], v[96:97], -v[2:3]
	v_add_f64 v[0:1], v[0:1], v[2:3]
	s_waitcnt vmcnt(12) lgkmcnt(1)
	v_mul_f64 v[2:3], v[78:79], v[106:107]
	v_mul_f64 v[120:121], v[76:77], v[106:107]
	s_waitcnt vmcnt(10)
	v_fma_f64 v[2:3], v[76:77], v[108:109], -v[2:3]
	v_fmac_f64_e32 v[120:121], v[78:79], v[108:109]
	v_add_f64 v[0:1], v[0:1], v[2:3]
	s_waitcnt vmcnt(9) lgkmcnt(0)
	v_mul_f64 v[2:3], v[82:83], v[102:103]
	v_add_f64 v[30:31], v[118:119], v[120:121]
	v_mul_f64 v[118:119], v[80:81], v[102:103]
	s_waitcnt vmcnt(8)
	v_fma_f64 v[2:3], v[80:81], v[104:105], -v[2:3]
	v_fmac_f64_e32 v[118:119], v[82:83], v[104:105]
	v_add_f64 v[0:1], v[0:1], v[2:3]
	s_waitcnt vmcnt(6)
	v_mul_f64 v[2:3], v[86:87], v[110:111]
	v_add_f64 v[30:31], v[30:31], v[118:119]
	v_mul_f64 v[118:119], v[84:85], v[110:111]
	s_waitcnt vmcnt(4)
	v_fma_f64 v[2:3], v[84:85], v[112:113], -v[2:3]
	v_fmac_f64_e32 v[118:119], v[86:87], v[112:113]
	v_add_f64 v[0:1], v[0:1], v[2:3]
	v_add_f64 v[30:31], v[30:31], v[118:119]
	s_waitcnt vmcnt(2)
	v_add_f64 v[0:1], v[114:115], -v[0:1]
	s_waitcnt vmcnt(0)
	v_add_f64 v[2:3], v[116:117], -v[30:31]
	buffer_store_dword v1, off, s[0:3], 0 offset:772
	buffer_store_dword v0, off, s[0:3], 0 offset:768
	buffer_store_dword v3, off, s[0:3], 0 offset:780
	buffer_store_dword v2, off, s[0:3], 0 offset:776
	s_and_saveexec_b64 s[4:5], vcc
	s_cbranch_execz .LBB125_305
; %bb.304:
	v_accvgpr_read_b32 v0, a139
	buffer_load_dword v2, v0, s[0:3], 0 offen
	buffer_load_dword v3, v0, s[0:3], 0 offen offset:4
	buffer_load_dword v4, v0, s[0:3], 0 offen offset:8
	;; [unrolled: 1-line block ×3, first 2 shown]
	v_mov_b32_e32 v0, 0
	v_accvgpr_read_b32 v1, a186
	buffer_store_dword v0, off, s[0:3], 0 offset:752
	buffer_store_dword v0, off, s[0:3], 0 offset:756
	;; [unrolled: 1-line block ×4, first 2 shown]
	s_waitcnt vmcnt(4)
	ds_write_b128 v1, v[2:5]
.LBB125_305:
	s_or_b64 exec, exec, s[4:5]
	s_waitcnt lgkmcnt(0)
	; wave barrier
	s_waitcnt lgkmcnt(0)
	buffer_load_dword v2, off, s[0:3], 0 offset:768
	buffer_load_dword v3, off, s[0:3], 0 offset:772
	;; [unrolled: 1-line block ×64, first 2 shown]
	v_mov_b32_e32 v46, 0
	ds_read_b128 v[38:41], v46 offset:1744
	ds_read_b128 v[42:45], v46 offset:1760
	;; [unrolled: 1-line block ×7, first 2 shown]
	v_cmp_lt_u32_e32 vcc, 45, v178
	s_waitcnt vmcnt(60) lgkmcnt(6)
	v_mul_f64 v[64:65], v[38:39], v[4:5]
	v_fmac_f64_e32 v[64:65], v[40:41], v[2:3]
	s_waitcnt vmcnt(58) lgkmcnt(5)
	v_mul_f64 v[66:67], v[42:43], v[6:7]
	v_add_f64 v[64:65], v[64:65], 0
	s_waitcnt vmcnt(56) lgkmcnt(4)
	v_mul_f64 v[68:69], v[48:49], v[8:9]
	v_mul_f64 v[4:5], v[40:41], v[4:5]
	s_waitcnt vmcnt(54) lgkmcnt(2)
	v_mul_f64 v[72:73], v[56:57], v[10:11]
	v_fma_f64 v[2:3], v[38:39], v[2:3], -v[4:5]
	v_mul_f64 v[4:5], v[44:45], v[6:7]
	s_waitcnt vmcnt(51)
	v_mul_f64 v[70:71], v[52:53], v[14:15]
	v_add_f64 v[2:3], v[2:3], 0
	s_waitcnt vmcnt(49)
	v_fmac_f64_e32 v[66:67], v[44:45], v[20:21]
	v_add_f64 v[64:65], v[64:65], v[66:67]
	s_waitcnt vmcnt(47)
	v_fmac_f64_e32 v[68:69], v[50:51], v[18:19]
	;; [unrolled: 3-line block ×4, first 2 shown]
	v_add_f64 v[68:69], v[64:65], v[72:73]
	ds_read_b128 v[64:67], v46 offset:1840
	s_waitcnt vmcnt(40) lgkmcnt(2)
	v_mul_f64 v[70:71], v[60:61], v[26:27]
	v_fma_f64 v[4:5], v[42:43], v[20:21], -v[4:5]
	s_waitcnt vmcnt(38)
	v_fmac_f64_e32 v[70:71], v[62:63], v[28:29]
	v_add_f64 v[72:73], v[68:69], v[70:71]
	ds_read_b128 v[68:71], v46 offset:1856
	s_waitcnt vmcnt(37) lgkmcnt(1)
	v_mul_f64 v[74:75], v[64:65], v[22:23]
	s_waitcnt vmcnt(36)
	v_fmac_f64_e32 v[74:75], v[66:67], v[24:25]
	v_add_f64 v[76:77], v[72:73], v[74:75]
	ds_read_b128 v[72:75], v46 offset:1872
	s_waitcnt vmcnt(32) lgkmcnt(1)
	v_mul_f64 v[78:79], v[68:69], v[34:35]
	v_add_f64 v[2:3], v[2:3], v[4:5]
	v_mul_f64 v[4:5], v[50:51], v[8:9]
	s_waitcnt vmcnt(30)
	v_fmac_f64_e32 v[78:79], v[70:71], v[36:37]
	v_fma_f64 v[4:5], v[48:49], v[18:19], -v[4:5]
	v_add_f64 v[80:81], v[76:77], v[78:79]
	ds_read_b128 v[76:79], v46 offset:1888
	v_add_f64 v[2:3], v[2:3], v[4:5]
	v_mul_f64 v[4:5], v[54:55], v[14:15]
	v_fma_f64 v[4:5], v[52:53], v[16:17], -v[4:5]
	v_add_f64 v[2:3], v[2:3], v[4:5]
	v_mul_f64 v[4:5], v[58:59], v[10:11]
	s_waitcnt vmcnt(29) lgkmcnt(1)
	v_mul_f64 v[82:83], v[72:73], v[30:31]
	v_fma_f64 v[4:5], v[56:57], v[12:13], -v[4:5]
	s_waitcnt vmcnt(28)
	v_fmac_f64_e32 v[82:83], v[74:75], v[32:33]
	v_add_f64 v[2:3], v[2:3], v[4:5]
	v_mul_f64 v[4:5], v[62:63], v[26:27]
	v_add_f64 v[84:85], v[80:81], v[82:83]
	ds_read_b128 v[80:83], v46 offset:1904
	s_waitcnt vmcnt(24) lgkmcnt(1)
	v_mul_f64 v[86:87], v[76:77], v[102:103]
	v_fma_f64 v[4:5], v[60:61], v[28:29], -v[4:5]
	s_waitcnt vmcnt(22)
	v_fmac_f64_e32 v[86:87], v[78:79], v[104:105]
	v_add_f64 v[2:3], v[2:3], v[4:5]
	v_mul_f64 v[4:5], v[66:67], v[22:23]
	v_add_f64 v[88:89], v[84:85], v[86:87]
	ds_read_b128 v[84:87], v46 offset:1920
	v_fma_f64 v[4:5], v[64:65], v[24:25], -v[4:5]
	v_add_f64 v[2:3], v[2:3], v[4:5]
	v_mul_f64 v[4:5], v[70:71], v[34:35]
	v_fma_f64 v[4:5], v[68:69], v[36:37], -v[4:5]
	s_waitcnt vmcnt(21) lgkmcnt(1)
	v_mul_f64 v[90:91], v[80:81], v[0:1]
	v_add_f64 v[2:3], v[2:3], v[4:5]
	v_mul_f64 v[4:5], v[74:75], v[30:31]
	s_waitcnt vmcnt(20)
	v_fmac_f64_e32 v[90:91], v[82:83], v[100:101]
	v_fma_f64 v[4:5], v[72:73], v[32:33], -v[4:5]
	v_add_f64 v[92:93], v[88:89], v[90:91]
	ds_read_b128 v[88:91], v46 offset:1936
	s_waitcnt vmcnt(16) lgkmcnt(1)
	v_mul_f64 v[94:95], v[84:85], v[110:111]
	v_add_f64 v[2:3], v[2:3], v[4:5]
	v_mul_f64 v[4:5], v[78:79], v[102:103]
	s_waitcnt vmcnt(14)
	v_fmac_f64_e32 v[94:95], v[86:87], v[112:113]
	v_fma_f64 v[4:5], v[76:77], v[104:105], -v[4:5]
	v_mul_f64 v[0:1], v[82:83], v[0:1]
	v_add_f64 v[126:127], v[92:93], v[94:95]
	ds_read_b128 v[92:95], v46 offset:1952
	v_add_f64 v[2:3], v[2:3], v[4:5]
	v_fma_f64 v[0:1], v[80:81], v[100:101], -v[0:1]
	v_add_f64 v[0:1], v[2:3], v[0:1]
	v_mul_f64 v[2:3], v[86:87], v[110:111]
	v_fma_f64 v[2:3], v[84:85], v[112:113], -v[2:3]
	v_add_f64 v[0:1], v[0:1], v[2:3]
	s_waitcnt vmcnt(13) lgkmcnt(1)
	v_mul_f64 v[2:3], v[90:91], v[106:107]
	v_mul_f64 v[128:129], v[88:89], v[106:107]
	s_waitcnt vmcnt(12)
	v_fma_f64 v[2:3], v[88:89], v[108:109], -v[2:3]
	v_fmac_f64_e32 v[128:129], v[90:91], v[108:109]
	v_add_f64 v[0:1], v[0:1], v[2:3]
	s_waitcnt vmcnt(8) lgkmcnt(0)
	v_mul_f64 v[2:3], v[94:95], v[118:119]
	v_add_f64 v[126:127], v[126:127], v[128:129]
	v_mul_f64 v[128:129], v[92:93], v[118:119]
	s_waitcnt vmcnt(6)
	v_fma_f64 v[2:3], v[92:93], v[120:121], -v[2:3]
	v_fmac_f64_e32 v[128:129], v[94:95], v[120:121]
	v_add_f64 v[0:1], v[0:1], v[2:3]
	s_waitcnt vmcnt(5)
	v_mul_f64 v[2:3], v[98:99], v[114:115]
	v_add_f64 v[126:127], v[126:127], v[128:129]
	v_mul_f64 v[128:129], v[96:97], v[114:115]
	s_waitcnt vmcnt(4)
	v_fma_f64 v[2:3], v[96:97], v[116:117], -v[2:3]
	v_fmac_f64_e32 v[128:129], v[98:99], v[116:117]
	v_add_f64 v[0:1], v[0:1], v[2:3]
	v_add_f64 v[126:127], v[126:127], v[128:129]
	s_waitcnt vmcnt(2)
	v_add_f64 v[0:1], v[122:123], -v[0:1]
	s_waitcnt vmcnt(0)
	v_add_f64 v[2:3], v[124:125], -v[126:127]
	buffer_store_dword v1, off, s[0:3], 0 offset:756
	buffer_store_dword v0, off, s[0:3], 0 offset:752
	;; [unrolled: 1-line block ×4, first 2 shown]
	s_and_saveexec_b64 s[4:5], vcc
	s_cbranch_execz .LBB125_307
; %bb.306:
	v_accvgpr_read_b32 v0, a140
	buffer_load_dword v2, v0, s[0:3], 0 offen
	buffer_load_dword v3, v0, s[0:3], 0 offen offset:4
	buffer_load_dword v4, v0, s[0:3], 0 offen offset:8
	;; [unrolled: 1-line block ×3, first 2 shown]
	v_accvgpr_read_b32 v0, a186
	buffer_store_dword v46, off, s[0:3], 0 offset:736
	buffer_store_dword v46, off, s[0:3], 0 offset:740
	;; [unrolled: 1-line block ×4, first 2 shown]
	s_waitcnt vmcnt(4)
	ds_write_b128 v0, v[2:5]
.LBB125_307:
	s_or_b64 exec, exec, s[4:5]
	s_waitcnt lgkmcnt(0)
	; wave barrier
	s_waitcnt lgkmcnt(0)
	buffer_load_dword v2, off, s[0:3], 0 offset:752
	buffer_load_dword v3, off, s[0:3], 0 offset:756
	;; [unrolled: 1-line block ×64, first 2 shown]
	ds_read_b128 v[48:51], v46 offset:1728
	ds_read_b128 v[52:55], v46 offset:1744
	;; [unrolled: 1-line block ×4, first 2 shown]
	buffer_load_dword v130, off, s[0:3], 0 offset:736
	buffer_load_dword v131, off, s[0:3], 0 offset:740
	;; [unrolled: 1-line block ×4, first 2 shown]
	v_cmp_lt_u32_e32 vcc, 44, v178
	ds_read_b128 v[108:111], v46 offset:1968
	s_waitcnt vmcnt(62) lgkmcnt(4)
	v_mul_f64 v[64:65], v[48:49], v[4:5]
	v_fmac_f64_e32 v[64:65], v[50:51], v[2:3]
	v_add_f64 v[64:65], v[64:65], 0
	s_waitcnt lgkmcnt(2)
	v_mul_f64 v[68:69], v[56:57], v[6:7]
	v_mul_f64 v[4:5], v[50:51], v[4:5]
	v_fma_f64 v[2:3], v[48:49], v[2:3], -v[4:5]
	s_waitcnt vmcnt(58) lgkmcnt(1)
	v_mul_f64 v[70:71], v[60:61], v[12:13]
	v_add_f64 v[2:3], v[2:3], 0
	s_waitcnt vmcnt(56)
	v_mul_f64 v[66:67], v[52:53], v[18:19]
	v_mul_f64 v[4:5], v[54:55], v[18:19]
	s_waitcnt vmcnt(53)
	v_fmac_f64_e32 v[68:69], v[58:59], v[16:17]
	s_waitcnt vmcnt(52)
	v_fmac_f64_e32 v[66:67], v[54:55], v[20:21]
	v_add_f64 v[72:73], v[64:65], v[66:67]
	ds_read_b128 v[64:67], v46 offset:1792
	v_add_f64 v[68:69], v[72:73], v[68:69]
	s_waitcnt vmcnt(50)
	v_fmac_f64_e32 v[70:71], v[62:63], v[14:15]
	v_add_f64 v[72:73], v[68:69], v[70:71]
	ds_read_b128 v[68:71], v46 offset:1808
	s_waitcnt vmcnt(49) lgkmcnt(1)
	v_mul_f64 v[74:75], v[64:65], v[8:9]
	s_waitcnt vmcnt(48)
	v_fmac_f64_e32 v[74:75], v[66:67], v[10:11]
	v_add_f64 v[76:77], v[72:73], v[74:75]
	ds_read_b128 v[72:75], v46 offset:1824
	s_waitcnt vmcnt(44) lgkmcnt(1)
	v_mul_f64 v[78:79], v[68:69], v[26:27]
	;; [unrolled: 6-line block ×3, first 2 shown]
	s_waitcnt vmcnt(40)
	v_fmac_f64_e32 v[82:83], v[74:75], v[24:25]
	v_add_f64 v[84:85], v[80:81], v[82:83]
	ds_read_b128 v[80:83], v46 offset:1856
	v_fma_f64 v[4:5], v[52:53], v[20:21], -v[4:5]
	s_waitcnt vmcnt(36) lgkmcnt(1)
	v_mul_f64 v[86:87], v[76:77], v[34:35]
	v_add_f64 v[2:3], v[2:3], v[4:5]
	v_mul_f64 v[4:5], v[58:59], v[6:7]
	s_waitcnt vmcnt(34)
	v_fmac_f64_e32 v[86:87], v[78:79], v[36:37]
	v_fma_f64 v[4:5], v[56:57], v[16:17], -v[4:5]
	v_add_f64 v[88:89], v[84:85], v[86:87]
	ds_read_b128 v[84:87], v46 offset:1872
	s_waitcnt vmcnt(33) lgkmcnt(1)
	v_mul_f64 v[90:91], v[80:81], v[30:31]
	v_add_f64 v[2:3], v[2:3], v[4:5]
	v_mul_f64 v[4:5], v[62:63], v[12:13]
	s_waitcnt vmcnt(32)
	v_fmac_f64_e32 v[90:91], v[82:83], v[32:33]
	v_fma_f64 v[4:5], v[60:61], v[14:15], -v[4:5]
	v_add_f64 v[92:93], v[88:89], v[90:91]
	ds_read_b128 v[88:91], v46 offset:1888
	v_add_f64 v[2:3], v[2:3], v[4:5]
	v_mul_f64 v[4:5], v[66:67], v[8:9]
	v_fma_f64 v[4:5], v[64:65], v[10:11], -v[4:5]
	v_add_f64 v[2:3], v[2:3], v[4:5]
	v_mul_f64 v[4:5], v[70:71], v[26:27]
	s_waitcnt vmcnt(28) lgkmcnt(1)
	v_mul_f64 v[94:95], v[84:85], v[42:43]
	v_fma_f64 v[4:5], v[68:69], v[28:29], -v[4:5]
	s_waitcnt vmcnt(26)
	v_fmac_f64_e32 v[94:95], v[86:87], v[44:45]
	v_add_f64 v[2:3], v[2:3], v[4:5]
	v_mul_f64 v[4:5], v[74:75], v[22:23]
	v_add_f64 v[96:97], v[92:93], v[94:95]
	ds_read_b128 v[92:95], v46 offset:1904
	s_waitcnt vmcnt(25) lgkmcnt(1)
	v_mul_f64 v[98:99], v[88:89], v[38:39]
	v_fma_f64 v[4:5], v[72:73], v[24:25], -v[4:5]
	s_waitcnt vmcnt(24)
	v_fmac_f64_e32 v[98:99], v[90:91], v[40:41]
	v_add_f64 v[2:3], v[2:3], v[4:5]
	v_mul_f64 v[4:5], v[78:79], v[34:35]
	v_add_f64 v[100:101], v[96:97], v[98:99]
	ds_read_b128 v[96:99], v46 offset:1920
	v_fma_f64 v[4:5], v[76:77], v[36:37], -v[4:5]
	v_add_f64 v[2:3], v[2:3], v[4:5]
	v_mul_f64 v[4:5], v[82:83], v[30:31]
	v_fma_f64 v[4:5], v[80:81], v[32:33], -v[4:5]
	s_waitcnt vmcnt(20) lgkmcnt(1)
	v_mul_f64 v[102:103], v[92:93], v[114:115]
	v_add_f64 v[2:3], v[2:3], v[4:5]
	v_mul_f64 v[4:5], v[86:87], v[42:43]
	s_waitcnt vmcnt(18)
	v_fmac_f64_e32 v[102:103], v[94:95], v[116:117]
	v_fma_f64 v[4:5], v[84:85], v[44:45], -v[4:5]
	v_add_f64 v[104:105], v[100:101], v[102:103]
	ds_read_b128 v[100:103], v46 offset:1936
	s_waitcnt vmcnt(17) lgkmcnt(1)
	v_mul_f64 v[106:107], v[96:97], v[0:1]
	v_add_f64 v[2:3], v[2:3], v[4:5]
	v_mul_f64 v[4:5], v[90:91], v[38:39]
	s_waitcnt vmcnt(16)
	v_fmac_f64_e32 v[106:107], v[98:99], v[112:113]
	v_fma_f64 v[4:5], v[88:89], v[40:41], -v[4:5]
	v_add_f64 v[134:135], v[104:105], v[106:107]
	ds_read_b128 v[104:107], v46 offset:1952
	v_add_f64 v[2:3], v[2:3], v[4:5]
	v_mul_f64 v[4:5], v[94:95], v[114:115]
	v_fma_f64 v[4:5], v[92:93], v[116:117], -v[4:5]
	v_mul_f64 v[0:1], v[98:99], v[0:1]
	v_add_f64 v[2:3], v[2:3], v[4:5]
	v_fma_f64 v[0:1], v[96:97], v[112:113], -v[0:1]
	v_add_f64 v[0:1], v[2:3], v[0:1]
	s_waitcnt vmcnt(12) lgkmcnt(1)
	v_mul_f64 v[2:3], v[102:103], v[122:123]
	v_mul_f64 v[136:137], v[100:101], v[122:123]
	s_waitcnt vmcnt(10)
	v_fma_f64 v[2:3], v[100:101], v[124:125], -v[2:3]
	v_fmac_f64_e32 v[136:137], v[102:103], v[124:125]
	v_add_f64 v[0:1], v[0:1], v[2:3]
	s_waitcnt vmcnt(9) lgkmcnt(0)
	v_mul_f64 v[2:3], v[106:107], v[118:119]
	v_add_f64 v[46:47], v[134:135], v[136:137]
	v_mul_f64 v[134:135], v[104:105], v[118:119]
	s_waitcnt vmcnt(8)
	v_fma_f64 v[2:3], v[104:105], v[120:121], -v[2:3]
	v_fmac_f64_e32 v[134:135], v[106:107], v[120:121]
	v_add_f64 v[0:1], v[0:1], v[2:3]
	s_waitcnt vmcnt(6)
	v_mul_f64 v[2:3], v[110:111], v[126:127]
	v_add_f64 v[46:47], v[46:47], v[134:135]
	v_mul_f64 v[134:135], v[108:109], v[126:127]
	s_waitcnt vmcnt(4)
	v_fma_f64 v[2:3], v[108:109], v[128:129], -v[2:3]
	v_fmac_f64_e32 v[134:135], v[110:111], v[128:129]
	v_add_f64 v[0:1], v[0:1], v[2:3]
	v_add_f64 v[46:47], v[46:47], v[134:135]
	s_waitcnt vmcnt(2)
	v_add_f64 v[0:1], v[130:131], -v[0:1]
	s_waitcnt vmcnt(0)
	v_add_f64 v[2:3], v[132:133], -v[46:47]
	buffer_store_dword v1, off, s[0:3], 0 offset:740
	buffer_store_dword v0, off, s[0:3], 0 offset:736
	;; [unrolled: 1-line block ×4, first 2 shown]
	s_and_saveexec_b64 s[4:5], vcc
	s_cbranch_execz .LBB125_309
; %bb.308:
	v_accvgpr_read_b32 v0, a141
	buffer_load_dword v2, v0, s[0:3], 0 offen
	buffer_load_dword v3, v0, s[0:3], 0 offen offset:4
	buffer_load_dword v4, v0, s[0:3], 0 offen offset:8
	;; [unrolled: 1-line block ×3, first 2 shown]
	v_mov_b32_e32 v0, 0
	v_accvgpr_read_b32 v1, a186
	buffer_store_dword v0, off, s[0:3], 0 offset:720
	buffer_store_dword v0, off, s[0:3], 0 offset:724
	;; [unrolled: 1-line block ×4, first 2 shown]
	s_waitcnt vmcnt(4)
	ds_write_b128 v1, v[2:5]
.LBB125_309:
	s_or_b64 exec, exec, s[4:5]
	s_waitcnt lgkmcnt(0)
	; wave barrier
	s_waitcnt lgkmcnt(0)
	buffer_load_dword v2, off, s[0:3], 0 offset:736
	buffer_load_dword v3, off, s[0:3], 0 offset:740
	;; [unrolled: 1-line block ×68, first 2 shown]
	v_mov_b32_e32 v52, 0
	buffer_load_dword v138, off, s[0:3], 0 offset:720
	buffer_load_dword v139, off, s[0:3], 0 offset:724
	;; [unrolled: 1-line block ×3, first 2 shown]
	ds_read_b128 v[46:49], v52 offset:1712
	ds_read_b128 v[54:57], v52 offset:1728
	buffer_load_dword v141, off, s[0:3], 0 offset:732
	ds_read_b128 v[58:61], v52 offset:1744
	ds_read_b128 v[62:65], v52 offset:1760
	;; [unrolled: 1-line block ×3, first 2 shown]
	v_cmp_lt_u32_e32 vcc, 43, v178
	s_waitcnt vmcnt(62) lgkmcnt(4)
	v_mul_f64 v[66:67], v[46:47], v[6:7]
	v_fmac_f64_e32 v[66:67], v[48:49], v[2:3]
	v_add_f64 v[66:67], v[66:67], 0
	v_mul_f64 v[6:7], v[48:49], v[6:7]
	s_waitcnt lgkmcnt(3)
	v_mul_f64 v[68:69], v[54:55], v[10:11]
	v_fmac_f64_e32 v[68:69], v[56:57], v[4:5]
	v_add_f64 v[66:67], v[66:67], v[68:69]
	v_fma_f64 v[2:3], v[46:47], v[2:3], -v[6:7]
	s_waitcnt vmcnt(60) lgkmcnt(2)
	v_mul_f64 v[68:69], v[58:59], v[12:13]
	v_fmac_f64_e32 v[68:69], v[60:61], v[8:9]
	v_add_f64 v[70:71], v[66:67], v[68:69]
	ds_read_b128 v[66:69], v52 offset:1776
	s_waitcnt vmcnt(56) lgkmcnt(2)
	v_mul_f64 v[72:73], v[62:63], v[18:19]
	v_mul_f64 v[6:7], v[56:57], v[10:11]
	s_waitcnt vmcnt(54)
	v_fmac_f64_e32 v[72:73], v[64:65], v[20:21]
	v_add_f64 v[74:75], v[70:71], v[72:73]
	ds_read_b128 v[70:73], v52 offset:1792
	s_waitcnt vmcnt(53) lgkmcnt(1)
	v_mul_f64 v[76:77], v[66:67], v[14:15]
	s_waitcnt vmcnt(52)
	v_fmac_f64_e32 v[76:77], v[68:69], v[16:17]
	v_add_f64 v[78:79], v[74:75], v[76:77]
	ds_read_b128 v[74:77], v52 offset:1808
	s_waitcnt vmcnt(48) lgkmcnt(1)
	;; [unrolled: 6-line block ×4, first 2 shown]
	v_mul_f64 v[88:89], v[78:79], v[34:35]
	s_waitcnt vmcnt(38)
	v_fmac_f64_e32 v[88:89], v[80:81], v[36:37]
	v_add_f64 v[90:91], v[86:87], v[88:89]
	ds_read_b128 v[86:89], v52 offset:1856
	v_add_f64 v[2:3], v[2:3], 0
	v_fma_f64 v[4:5], v[54:55], v[4:5], -v[6:7]
	v_add_f64 v[2:3], v[2:3], v[4:5]
	v_mul_f64 v[4:5], v[60:61], v[12:13]
	v_fma_f64 v[4:5], v[58:59], v[8:9], -v[4:5]
	s_waitcnt vmcnt(37) lgkmcnt(1)
	v_mul_f64 v[92:93], v[82:83], v[30:31]
	v_add_f64 v[2:3], v[2:3], v[4:5]
	v_mul_f64 v[4:5], v[64:65], v[18:19]
	s_waitcnt vmcnt(36)
	v_fmac_f64_e32 v[92:93], v[84:85], v[32:33]
	v_fma_f64 v[4:5], v[62:63], v[20:21], -v[4:5]
	v_add_f64 v[94:95], v[90:91], v[92:93]
	ds_read_b128 v[90:93], v52 offset:1872
	s_waitcnt vmcnt(32) lgkmcnt(1)
	v_mul_f64 v[96:97], v[86:87], v[42:43]
	v_add_f64 v[2:3], v[2:3], v[4:5]
	v_mul_f64 v[4:5], v[68:69], v[14:15]
	s_waitcnt vmcnt(30)
	v_fmac_f64_e32 v[96:97], v[88:89], v[44:45]
	v_fma_f64 v[4:5], v[66:67], v[16:17], -v[4:5]
	v_add_f64 v[98:99], v[94:95], v[96:97]
	ds_read_b128 v[94:97], v52 offset:1888
	v_add_f64 v[2:3], v[2:3], v[4:5]
	v_mul_f64 v[4:5], v[72:73], v[26:27]
	v_fma_f64 v[4:5], v[70:71], v[28:29], -v[4:5]
	v_add_f64 v[2:3], v[2:3], v[4:5]
	v_mul_f64 v[4:5], v[76:77], v[22:23]
	s_waitcnt vmcnt(29) lgkmcnt(1)
	v_mul_f64 v[100:101], v[90:91], v[38:39]
	v_fma_f64 v[4:5], v[74:75], v[24:25], -v[4:5]
	s_waitcnt vmcnt(28)
	v_fmac_f64_e32 v[100:101], v[92:93], v[40:41]
	v_add_f64 v[2:3], v[2:3], v[4:5]
	v_mul_f64 v[4:5], v[80:81], v[34:35]
	v_add_f64 v[102:103], v[98:99], v[100:101]
	ds_read_b128 v[98:101], v52 offset:1904
	s_waitcnt vmcnt(24) lgkmcnt(1)
	v_mul_f64 v[104:105], v[94:95], v[118:119]
	v_fma_f64 v[4:5], v[78:79], v[36:37], -v[4:5]
	s_waitcnt vmcnt(22)
	v_fmac_f64_e32 v[104:105], v[96:97], v[120:121]
	v_add_f64 v[2:3], v[2:3], v[4:5]
	v_mul_f64 v[4:5], v[84:85], v[30:31]
	v_add_f64 v[106:107], v[102:103], v[104:105]
	ds_read_b128 v[102:105], v52 offset:1920
	v_fma_f64 v[4:5], v[82:83], v[32:33], -v[4:5]
	v_add_f64 v[2:3], v[2:3], v[4:5]
	v_mul_f64 v[4:5], v[88:89], v[42:43]
	v_fma_f64 v[4:5], v[86:87], v[44:45], -v[4:5]
	s_waitcnt vmcnt(21) lgkmcnt(1)
	v_mul_f64 v[108:109], v[98:99], v[0:1]
	v_add_f64 v[2:3], v[2:3], v[4:5]
	v_mul_f64 v[4:5], v[92:93], v[38:39]
	s_waitcnt vmcnt(20)
	v_fmac_f64_e32 v[108:109], v[100:101], v[50:51]
	v_fma_f64 v[4:5], v[90:91], v[40:41], -v[4:5]
	v_add_f64 v[110:111], v[106:107], v[108:109]
	ds_read_b128 v[106:109], v52 offset:1936
	s_waitcnt vmcnt(16) lgkmcnt(1)
	v_mul_f64 v[112:113], v[102:103], v[126:127]
	v_add_f64 v[2:3], v[2:3], v[4:5]
	v_mul_f64 v[4:5], v[96:97], v[118:119]
	s_waitcnt vmcnt(14)
	v_fmac_f64_e32 v[112:113], v[104:105], v[128:129]
	v_fma_f64 v[4:5], v[94:95], v[120:121], -v[4:5]
	v_mul_f64 v[0:1], v[100:101], v[0:1]
	v_add_f64 v[142:143], v[110:111], v[112:113]
	ds_read_b128 v[110:113], v52 offset:1952
	v_add_f64 v[2:3], v[2:3], v[4:5]
	v_fma_f64 v[0:1], v[98:99], v[50:51], -v[0:1]
	v_add_f64 v[0:1], v[2:3], v[0:1]
	v_mul_f64 v[2:3], v[104:105], v[126:127]
	v_fma_f64 v[2:3], v[102:103], v[128:129], -v[2:3]
	v_add_f64 v[0:1], v[0:1], v[2:3]
	s_waitcnt vmcnt(13) lgkmcnt(1)
	v_mul_f64 v[2:3], v[108:109], v[122:123]
	v_mul_f64 v[144:145], v[106:107], v[122:123]
	s_waitcnt vmcnt(12)
	v_fma_f64 v[2:3], v[106:107], v[124:125], -v[2:3]
	v_fmac_f64_e32 v[144:145], v[108:109], v[124:125]
	v_add_f64 v[0:1], v[0:1], v[2:3]
	s_waitcnt vmcnt(8) lgkmcnt(0)
	v_mul_f64 v[2:3], v[112:113], v[134:135]
	v_add_f64 v[142:143], v[142:143], v[144:145]
	v_mul_f64 v[144:145], v[110:111], v[134:135]
	s_waitcnt vmcnt(6)
	v_fma_f64 v[2:3], v[110:111], v[136:137], -v[2:3]
	v_fmac_f64_e32 v[144:145], v[112:113], v[136:137]
	v_add_f64 v[0:1], v[0:1], v[2:3]
	s_waitcnt vmcnt(5)
	v_mul_f64 v[2:3], v[116:117], v[130:131]
	v_add_f64 v[142:143], v[142:143], v[144:145]
	v_mul_f64 v[144:145], v[114:115], v[130:131]
	s_waitcnt vmcnt(4)
	v_fma_f64 v[2:3], v[114:115], v[132:133], -v[2:3]
	v_fmac_f64_e32 v[144:145], v[116:117], v[132:133]
	v_add_f64 v[0:1], v[0:1], v[2:3]
	v_add_f64 v[142:143], v[142:143], v[144:145]
	s_waitcnt vmcnt(2)
	v_add_f64 v[0:1], v[138:139], -v[0:1]
	s_waitcnt vmcnt(0)
	v_add_f64 v[2:3], v[140:141], -v[142:143]
	buffer_store_dword v1, off, s[0:3], 0 offset:724
	buffer_store_dword v0, off, s[0:3], 0 offset:720
	;; [unrolled: 1-line block ×4, first 2 shown]
	s_and_saveexec_b64 s[4:5], vcc
	s_cbranch_execz .LBB125_311
; %bb.310:
	v_accvgpr_read_b32 v0, a142
	buffer_load_dword v2, v0, s[0:3], 0 offen
	buffer_load_dword v3, v0, s[0:3], 0 offen offset:4
	buffer_load_dword v4, v0, s[0:3], 0 offen offset:8
	;; [unrolled: 1-line block ×3, first 2 shown]
	v_accvgpr_read_b32 v0, a186
	buffer_store_dword v52, off, s[0:3], 0 offset:704
	buffer_store_dword v52, off, s[0:3], 0 offset:708
	;; [unrolled: 1-line block ×4, first 2 shown]
	s_waitcnt vmcnt(4)
	ds_write_b128 v0, v[2:5]
.LBB125_311:
	s_or_b64 exec, exec, s[4:5]
	s_waitcnt lgkmcnt(0)
	; wave barrier
	s_waitcnt lgkmcnt(0)
	buffer_load_dword v2, off, s[0:3], 0 offset:720
	buffer_load_dword v3, off, s[0:3], 0 offset:724
	;; [unrolled: 1-line block ×72, first 2 shown]
	ds_read_b128 v[54:57], v52 offset:1696
	buffer_load_dword v146, off, s[0:3], 0 offset:704
	buffer_load_dword v147, off, s[0:3], 0 offset:708
	;; [unrolled: 1-line block ×4, first 2 shown]
	ds_read_b128 v[58:61], v52 offset:1712
	ds_read_b128 v[62:65], v52 offset:1728
	;; [unrolled: 1-line block ×3, first 2 shown]
	v_cmp_lt_u32_e32 vcc, 42, v178
	ds_read_b128 v[122:125], v52 offset:1968
	s_waitcnt vmcnt(62) lgkmcnt(4)
	v_mul_f64 v[70:71], v[54:55], v[8:9]
	v_fmac_f64_e32 v[70:71], v[56:57], v[2:3]
	v_add_f64 v[70:71], v[70:71], 0
	v_mul_f64 v[8:9], v[56:57], v[8:9]
	s_waitcnt lgkmcnt(3)
	v_mul_f64 v[72:73], v[58:59], v[10:11]
	v_fmac_f64_e32 v[72:73], v[60:61], v[4:5]
	v_add_f64 v[70:71], v[70:71], v[72:73]
	v_fma_f64 v[2:3], v[54:55], v[2:3], -v[8:9]
	s_waitcnt lgkmcnt(2)
	v_mul_f64 v[72:73], v[62:63], v[12:13]
	v_fmac_f64_e32 v[72:73], v[64:65], v[6:7]
	v_add_f64 v[74:75], v[70:71], v[72:73]
	ds_read_b128 v[70:73], v52 offset:1760
	s_waitcnt vmcnt(60) lgkmcnt(2)
	v_mul_f64 v[76:77], v[66:67], v[18:19]
	v_mul_f64 v[8:9], v[60:61], v[10:11]
	s_waitcnt vmcnt(58)
	v_fmac_f64_e32 v[76:77], v[68:69], v[20:21]
	v_add_f64 v[78:79], v[74:75], v[76:77]
	ds_read_b128 v[74:77], v52 offset:1776
	s_waitcnt vmcnt(57) lgkmcnt(1)
	v_mul_f64 v[80:81], v[70:71], v[14:15]
	s_waitcnt vmcnt(56)
	v_fmac_f64_e32 v[80:81], v[72:73], v[16:17]
	v_add_f64 v[82:83], v[78:79], v[80:81]
	ds_read_b128 v[78:81], v52 offset:1792
	s_waitcnt vmcnt(52) lgkmcnt(1)
	;; [unrolled: 6-line block ×4, first 2 shown]
	v_mul_f64 v[92:93], v[82:83], v[34:35]
	s_waitcnt vmcnt(42)
	v_fmac_f64_e32 v[92:93], v[84:85], v[36:37]
	v_add_f64 v[2:3], v[2:3], 0
	v_fma_f64 v[4:5], v[58:59], v[4:5], -v[8:9]
	v_add_f64 v[94:95], v[90:91], v[92:93]
	ds_read_b128 v[90:93], v52 offset:1840
	s_waitcnt vmcnt(41) lgkmcnt(1)
	v_mul_f64 v[96:97], v[86:87], v[30:31]
	v_add_f64 v[2:3], v[2:3], v[4:5]
	v_mul_f64 v[4:5], v[64:65], v[12:13]
	s_waitcnt vmcnt(40)
	v_fmac_f64_e32 v[96:97], v[88:89], v[32:33]
	v_fma_f64 v[4:5], v[62:63], v[6:7], -v[4:5]
	v_add_f64 v[98:99], v[94:95], v[96:97]
	ds_read_b128 v[94:97], v52 offset:1856
	v_add_f64 v[2:3], v[2:3], v[4:5]
	v_mul_f64 v[4:5], v[68:69], v[18:19]
	v_fma_f64 v[4:5], v[66:67], v[20:21], -v[4:5]
	v_add_f64 v[2:3], v[2:3], v[4:5]
	v_mul_f64 v[4:5], v[72:73], v[14:15]
	s_waitcnt vmcnt(36) lgkmcnt(1)
	v_mul_f64 v[100:101], v[90:91], v[42:43]
	v_fma_f64 v[4:5], v[70:71], v[16:17], -v[4:5]
	s_waitcnt vmcnt(34)
	v_fmac_f64_e32 v[100:101], v[92:93], v[44:45]
	v_add_f64 v[2:3], v[2:3], v[4:5]
	v_mul_f64 v[4:5], v[76:77], v[26:27]
	v_add_f64 v[102:103], v[98:99], v[100:101]
	ds_read_b128 v[98:101], v52 offset:1872
	s_waitcnt vmcnt(33) lgkmcnt(1)
	v_mul_f64 v[104:105], v[94:95], v[38:39]
	v_fma_f64 v[4:5], v[74:75], v[28:29], -v[4:5]
	s_waitcnt vmcnt(32)
	v_fmac_f64_e32 v[104:105], v[96:97], v[40:41]
	v_add_f64 v[2:3], v[2:3], v[4:5]
	v_mul_f64 v[4:5], v[80:81], v[22:23]
	v_add_f64 v[106:107], v[102:103], v[104:105]
	ds_read_b128 v[102:105], v52 offset:1888
	v_fma_f64 v[4:5], v[78:79], v[24:25], -v[4:5]
	v_add_f64 v[2:3], v[2:3], v[4:5]
	v_mul_f64 v[4:5], v[84:85], v[34:35]
	v_fma_f64 v[4:5], v[82:83], v[36:37], -v[4:5]
	s_waitcnt vmcnt(28) lgkmcnt(1)
	v_mul_f64 v[108:109], v[98:99], v[50:51]
	v_add_f64 v[2:3], v[2:3], v[4:5]
	v_mul_f64 v[4:5], v[88:89], v[30:31]
	s_waitcnt vmcnt(26)
	v_fmac_f64_e32 v[108:109], v[100:101], v[0:1]
	v_fma_f64 v[4:5], v[86:87], v[32:33], -v[4:5]
	v_add_f64 v[110:111], v[106:107], v[108:109]
	ds_read_b128 v[106:109], v52 offset:1904
	s_waitcnt vmcnt(25) lgkmcnt(1)
	v_mul_f64 v[112:113], v[102:103], v[46:47]
	v_add_f64 v[2:3], v[2:3], v[4:5]
	v_mul_f64 v[4:5], v[92:93], v[42:43]
	s_waitcnt vmcnt(24)
	v_fmac_f64_e32 v[112:113], v[104:105], v[48:49]
	v_fma_f64 v[4:5], v[90:91], v[44:45], -v[4:5]
	v_add_f64 v[114:115], v[110:111], v[112:113]
	ds_read_b128 v[110:113], v52 offset:1920
	v_add_f64 v[2:3], v[2:3], v[4:5]
	v_mul_f64 v[4:5], v[96:97], v[38:39]
	v_fma_f64 v[4:5], v[94:95], v[40:41], -v[4:5]
	v_add_f64 v[2:3], v[2:3], v[4:5]
	v_mul_f64 v[4:5], v[100:101], v[50:51]
	s_waitcnt vmcnt(20) lgkmcnt(1)
	v_mul_f64 v[116:117], v[106:107], v[130:131]
	v_fma_f64 v[0:1], v[98:99], v[0:1], -v[4:5]
	s_waitcnt vmcnt(18)
	v_fmac_f64_e32 v[116:117], v[108:109], v[132:133]
	v_add_f64 v[0:1], v[2:3], v[0:1]
	v_mul_f64 v[2:3], v[104:105], v[46:47]
	v_add_f64 v[118:119], v[114:115], v[116:117]
	ds_read_b128 v[114:117], v52 offset:1936
	s_waitcnt vmcnt(17) lgkmcnt(1)
	v_mul_f64 v[120:121], v[110:111], v[126:127]
	v_fma_f64 v[2:3], v[102:103], v[48:49], -v[2:3]
	s_waitcnt vmcnt(16)
	v_fmac_f64_e32 v[120:121], v[112:113], v[128:129]
	v_add_f64 v[0:1], v[0:1], v[2:3]
	v_mul_f64 v[2:3], v[108:109], v[130:131]
	v_add_f64 v[150:151], v[118:119], v[120:121]
	ds_read_b128 v[118:121], v52 offset:1952
	v_fma_f64 v[2:3], v[106:107], v[132:133], -v[2:3]
	v_add_f64 v[0:1], v[0:1], v[2:3]
	v_mul_f64 v[2:3], v[112:113], v[126:127]
	v_fma_f64 v[2:3], v[110:111], v[128:129], -v[2:3]
	v_add_f64 v[0:1], v[0:1], v[2:3]
	s_waitcnt vmcnt(12) lgkmcnt(1)
	v_mul_f64 v[2:3], v[116:117], v[138:139]
	v_mul_f64 v[152:153], v[114:115], v[138:139]
	s_waitcnt vmcnt(10)
	v_fma_f64 v[2:3], v[114:115], v[140:141], -v[2:3]
	v_fmac_f64_e32 v[152:153], v[116:117], v[140:141]
	v_add_f64 v[0:1], v[0:1], v[2:3]
	s_waitcnt vmcnt(9) lgkmcnt(0)
	v_mul_f64 v[2:3], v[120:121], v[134:135]
	v_add_f64 v[52:53], v[150:151], v[152:153]
	v_mul_f64 v[150:151], v[118:119], v[134:135]
	s_waitcnt vmcnt(8)
	v_fma_f64 v[2:3], v[118:119], v[136:137], -v[2:3]
	v_fmac_f64_e32 v[150:151], v[120:121], v[136:137]
	v_add_f64 v[0:1], v[0:1], v[2:3]
	s_waitcnt vmcnt(6)
	v_mul_f64 v[2:3], v[124:125], v[142:143]
	v_add_f64 v[52:53], v[52:53], v[150:151]
	v_mul_f64 v[150:151], v[122:123], v[142:143]
	s_waitcnt vmcnt(4)
	v_fma_f64 v[2:3], v[122:123], v[144:145], -v[2:3]
	v_fmac_f64_e32 v[150:151], v[124:125], v[144:145]
	v_add_f64 v[0:1], v[0:1], v[2:3]
	v_add_f64 v[52:53], v[52:53], v[150:151]
	s_waitcnt vmcnt(2)
	v_add_f64 v[0:1], v[146:147], -v[0:1]
	s_waitcnt vmcnt(0)
	v_add_f64 v[2:3], v[148:149], -v[52:53]
	buffer_store_dword v1, off, s[0:3], 0 offset:708
	buffer_store_dword v0, off, s[0:3], 0 offset:704
	;; [unrolled: 1-line block ×4, first 2 shown]
	s_and_saveexec_b64 s[4:5], vcc
	s_cbranch_execz .LBB125_313
; %bb.312:
	v_accvgpr_read_b32 v0, a143
	buffer_load_dword v2, v0, s[0:3], 0 offen
	buffer_load_dword v3, v0, s[0:3], 0 offen offset:4
	buffer_load_dword v4, v0, s[0:3], 0 offen offset:8
	;; [unrolled: 1-line block ×3, first 2 shown]
	v_mov_b32_e32 v0, 0
	v_accvgpr_read_b32 v1, a186
	buffer_store_dword v0, off, s[0:3], 0 offset:688
	buffer_store_dword v0, off, s[0:3], 0 offset:692
	;; [unrolled: 1-line block ×4, first 2 shown]
	s_waitcnt vmcnt(4)
	ds_write_b128 v1, v[2:5]
.LBB125_313:
	s_or_b64 exec, exec, s[4:5]
	s_waitcnt lgkmcnt(0)
	; wave barrier
	s_waitcnt lgkmcnt(0)
	buffer_load_dword v2, off, s[0:3], 0 offset:704
	buffer_load_dword v3, off, s[0:3], 0 offset:708
	;; [unrolled: 1-line block ×76, first 2 shown]
	v_mov_b32_e32 v54, 0
	ds_read_b128 v[56:59], v54 offset:1680
	buffer_load_dword v154, off, s[0:3], 0 offset:688
	buffer_load_dword v155, off, s[0:3], 0 offset:692
	;; [unrolled: 1-line block ×4, first 2 shown]
	ds_read_b128 v[60:63], v54 offset:1696
	ds_read_b128 v[64:67], v54 offset:1712
	;; [unrolled: 1-line block ×4, first 2 shown]
	v_cmp_lt_u32_e32 vcc, 41, v178
	s_waitcnt vmcnt(62) lgkmcnt(4)
	v_mul_f64 v[72:73], v[56:57], v[8:9]
	v_fmac_f64_e32 v[72:73], v[58:59], v[2:3]
	v_add_f64 v[72:73], v[72:73], 0
	v_mul_f64 v[8:9], v[58:59], v[8:9]
	s_waitcnt lgkmcnt(3)
	v_mul_f64 v[74:75], v[60:61], v[10:11]
	v_fmac_f64_e32 v[74:75], v[62:63], v[4:5]
	v_add_f64 v[72:73], v[72:73], v[74:75]
	v_fma_f64 v[2:3], v[56:57], v[2:3], -v[8:9]
	s_waitcnt lgkmcnt(2)
	v_mul_f64 v[74:75], v[64:65], v[12:13]
	v_fmac_f64_e32 v[74:75], v[66:67], v[6:7]
	v_add_f64 v[76:77], v[72:73], v[74:75]
	ds_read_b128 v[72:75], v54 offset:1744
	s_waitcnt lgkmcnt(2)
	v_mul_f64 v[78:79], v[68:69], v[18:19]
	v_mul_f64 v[8:9], v[62:63], v[10:11]
	v_fmac_f64_e32 v[78:79], v[70:71], v[20:21]
	v_add_f64 v[80:81], v[76:77], v[78:79]
	ds_read_b128 v[76:79], v54 offset:1760
	s_waitcnt vmcnt(61) lgkmcnt(1)
	v_mul_f64 v[82:83], v[72:73], v[14:15]
	s_waitcnt vmcnt(60)
	v_fmac_f64_e32 v[82:83], v[74:75], v[16:17]
	v_add_f64 v[84:85], v[80:81], v[82:83]
	ds_read_b128 v[80:83], v54 offset:1776
	s_waitcnt vmcnt(56) lgkmcnt(1)
	v_mul_f64 v[86:87], v[76:77], v[26:27]
	s_waitcnt vmcnt(54)
	;; [unrolled: 6-line block ×4, first 2 shown]
	v_fmac_f64_e32 v[94:95], v[86:87], v[36:37]
	v_add_f64 v[96:97], v[92:93], v[94:95]
	ds_read_b128 v[92:95], v54 offset:1824
	s_waitcnt vmcnt(45) lgkmcnt(1)
	v_mul_f64 v[98:99], v[88:89], v[30:31]
	v_add_f64 v[2:3], v[2:3], 0
	v_fma_f64 v[4:5], v[60:61], v[4:5], -v[8:9]
	s_waitcnt vmcnt(44)
	v_fmac_f64_e32 v[98:99], v[90:91], v[32:33]
	v_add_f64 v[2:3], v[2:3], v[4:5]
	v_mul_f64 v[4:5], v[66:67], v[12:13]
	v_add_f64 v[100:101], v[96:97], v[98:99]
	ds_read_b128 v[96:99], v54 offset:1840
	s_waitcnt vmcnt(40) lgkmcnt(1)
	v_mul_f64 v[102:103], v[92:93], v[42:43]
	v_fma_f64 v[4:5], v[64:65], v[6:7], -v[4:5]
	s_waitcnt vmcnt(38)
	v_fmac_f64_e32 v[102:103], v[94:95], v[44:45]
	v_add_f64 v[2:3], v[2:3], v[4:5]
	v_mul_f64 v[4:5], v[70:71], v[18:19]
	v_add_f64 v[104:105], v[100:101], v[102:103]
	ds_read_b128 v[100:103], v54 offset:1856
	v_fma_f64 v[4:5], v[68:69], v[20:21], -v[4:5]
	v_add_f64 v[2:3], v[2:3], v[4:5]
	v_mul_f64 v[4:5], v[74:75], v[14:15]
	v_fma_f64 v[4:5], v[72:73], v[16:17], -v[4:5]
	s_waitcnt vmcnt(37) lgkmcnt(1)
	v_mul_f64 v[106:107], v[96:97], v[38:39]
	v_add_f64 v[2:3], v[2:3], v[4:5]
	v_mul_f64 v[4:5], v[78:79], v[26:27]
	s_waitcnt vmcnt(36)
	v_fmac_f64_e32 v[106:107], v[98:99], v[40:41]
	v_fma_f64 v[4:5], v[76:77], v[28:29], -v[4:5]
	v_add_f64 v[108:109], v[104:105], v[106:107]
	ds_read_b128 v[104:107], v54 offset:1872
	s_waitcnt vmcnt(32) lgkmcnt(1)
	v_mul_f64 v[110:111], v[100:101], v[50:51]
	v_add_f64 v[2:3], v[2:3], v[4:5]
	v_mul_f64 v[4:5], v[82:83], v[22:23]
	s_waitcnt vmcnt(30)
	v_fmac_f64_e32 v[110:111], v[102:103], v[52:53]
	v_fma_f64 v[4:5], v[80:81], v[24:25], -v[4:5]
	v_add_f64 v[112:113], v[108:109], v[110:111]
	ds_read_b128 v[108:111], v54 offset:1888
	v_add_f64 v[2:3], v[2:3], v[4:5]
	v_mul_f64 v[4:5], v[86:87], v[34:35]
	v_fma_f64 v[4:5], v[84:85], v[36:37], -v[4:5]
	v_add_f64 v[2:3], v[2:3], v[4:5]
	v_mul_f64 v[4:5], v[90:91], v[30:31]
	s_waitcnt vmcnt(29) lgkmcnt(1)
	v_mul_f64 v[114:115], v[104:105], v[46:47]
	v_fma_f64 v[4:5], v[88:89], v[32:33], -v[4:5]
	s_waitcnt vmcnt(28)
	v_fmac_f64_e32 v[114:115], v[106:107], v[48:49]
	v_add_f64 v[2:3], v[2:3], v[4:5]
	v_mul_f64 v[4:5], v[94:95], v[42:43]
	v_add_f64 v[116:117], v[112:113], v[114:115]
	ds_read_b128 v[112:115], v54 offset:1904
	s_waitcnt vmcnt(24) lgkmcnt(1)
	v_mul_f64 v[118:119], v[108:109], v[134:135]
	v_fma_f64 v[4:5], v[92:93], v[44:45], -v[4:5]
	s_waitcnt vmcnt(22)
	v_fmac_f64_e32 v[118:119], v[110:111], v[136:137]
	v_add_f64 v[2:3], v[2:3], v[4:5]
	v_mul_f64 v[4:5], v[98:99], v[38:39]
	v_add_f64 v[120:121], v[116:117], v[118:119]
	ds_read_b128 v[116:119], v54 offset:1920
	v_fma_f64 v[4:5], v[96:97], v[40:41], -v[4:5]
	v_add_f64 v[2:3], v[2:3], v[4:5]
	v_mul_f64 v[4:5], v[102:103], v[50:51]
	v_fma_f64 v[4:5], v[100:101], v[52:53], -v[4:5]
	s_waitcnt vmcnt(21) lgkmcnt(1)
	v_mul_f64 v[122:123], v[112:113], v[0:1]
	v_add_f64 v[2:3], v[2:3], v[4:5]
	v_mul_f64 v[4:5], v[106:107], v[46:47]
	s_waitcnt vmcnt(20)
	v_fmac_f64_e32 v[122:123], v[114:115], v[132:133]
	v_fma_f64 v[4:5], v[104:105], v[48:49], -v[4:5]
	v_add_f64 v[124:125], v[120:121], v[122:123]
	ds_read_b128 v[120:123], v54 offset:1936
	s_waitcnt vmcnt(16) lgkmcnt(1)
	v_mul_f64 v[126:127], v[116:117], v[142:143]
	v_add_f64 v[2:3], v[2:3], v[4:5]
	v_mul_f64 v[4:5], v[110:111], v[134:135]
	s_waitcnt vmcnt(14)
	v_fmac_f64_e32 v[126:127], v[118:119], v[144:145]
	v_fma_f64 v[4:5], v[108:109], v[136:137], -v[4:5]
	v_mul_f64 v[0:1], v[114:115], v[0:1]
	v_add_f64 v[158:159], v[124:125], v[126:127]
	ds_read_b128 v[124:127], v54 offset:1952
	v_add_f64 v[2:3], v[2:3], v[4:5]
	v_fma_f64 v[0:1], v[112:113], v[132:133], -v[0:1]
	v_add_f64 v[0:1], v[2:3], v[0:1]
	v_mul_f64 v[2:3], v[118:119], v[142:143]
	v_fma_f64 v[2:3], v[116:117], v[144:145], -v[2:3]
	v_add_f64 v[0:1], v[0:1], v[2:3]
	s_waitcnt vmcnt(13) lgkmcnt(1)
	v_mul_f64 v[2:3], v[122:123], v[138:139]
	v_mul_f64 v[160:161], v[120:121], v[138:139]
	s_waitcnt vmcnt(12)
	v_fma_f64 v[2:3], v[120:121], v[140:141], -v[2:3]
	v_fmac_f64_e32 v[160:161], v[122:123], v[140:141]
	v_add_f64 v[0:1], v[0:1], v[2:3]
	s_waitcnt vmcnt(8) lgkmcnt(0)
	v_mul_f64 v[2:3], v[126:127], v[150:151]
	v_add_f64 v[158:159], v[158:159], v[160:161]
	v_mul_f64 v[160:161], v[124:125], v[150:151]
	s_waitcnt vmcnt(6)
	v_fma_f64 v[2:3], v[124:125], v[152:153], -v[2:3]
	v_fmac_f64_e32 v[160:161], v[126:127], v[152:153]
	v_add_f64 v[0:1], v[0:1], v[2:3]
	s_waitcnt vmcnt(5)
	v_mul_f64 v[2:3], v[130:131], v[146:147]
	v_add_f64 v[158:159], v[158:159], v[160:161]
	v_mul_f64 v[160:161], v[128:129], v[146:147]
	s_waitcnt vmcnt(4)
	v_fma_f64 v[2:3], v[128:129], v[148:149], -v[2:3]
	v_fmac_f64_e32 v[160:161], v[130:131], v[148:149]
	v_add_f64 v[0:1], v[0:1], v[2:3]
	v_add_f64 v[158:159], v[158:159], v[160:161]
	s_waitcnt vmcnt(2)
	v_add_f64 v[0:1], v[154:155], -v[0:1]
	s_waitcnt vmcnt(0)
	v_add_f64 v[2:3], v[156:157], -v[158:159]
	buffer_store_dword v1, off, s[0:3], 0 offset:692
	buffer_store_dword v0, off, s[0:3], 0 offset:688
	buffer_store_dword v3, off, s[0:3], 0 offset:700
	buffer_store_dword v2, off, s[0:3], 0 offset:696
	s_and_saveexec_b64 s[4:5], vcc
	s_cbranch_execz .LBB125_315
; %bb.314:
	v_accvgpr_read_b32 v0, a144
	buffer_load_dword v2, v0, s[0:3], 0 offen
	buffer_load_dword v3, v0, s[0:3], 0 offen offset:4
	buffer_load_dword v4, v0, s[0:3], 0 offen offset:8
	;; [unrolled: 1-line block ×3, first 2 shown]
	v_accvgpr_read_b32 v0, a186
	buffer_store_dword v54, off, s[0:3], 0 offset:672
	buffer_store_dword v54, off, s[0:3], 0 offset:676
	;; [unrolled: 1-line block ×4, first 2 shown]
	s_waitcnt vmcnt(4)
	ds_write_b128 v0, v[2:5]
.LBB125_315:
	s_or_b64 exec, exec, s[4:5]
	s_waitcnt lgkmcnt(0)
	; wave barrier
	s_waitcnt lgkmcnt(0)
	buffer_load_dword v2, off, s[0:3], 0 offset:688
	buffer_load_dword v3, off, s[0:3], 0 offset:692
	;; [unrolled: 1-line block ×76, first 2 shown]
	ds_read_b128 v[56:59], v54 offset:1664
	buffer_load_dword v159, off, s[0:3], 0 offset:1004
	buffer_load_dword v158, off, s[0:3], 0 offset:1000
	;; [unrolled: 1-line block ×8, first 2 shown]
	ds_read_b128 v[60:63], v54 offset:1680
	ds_read_b128 v[64:67], v54 offset:1696
	;; [unrolled: 1-line block ×3, first 2 shown]
	v_cmp_lt_u32_e32 vcc, 40, v178
	ds_read_b128 v[132:135], v54 offset:1968
	s_waitcnt vmcnt(62) lgkmcnt(4)
	v_mul_f64 v[72:73], v[56:57], v[8:9]
	v_fmac_f64_e32 v[72:73], v[58:59], v[2:3]
	v_add_f64 v[72:73], v[72:73], 0
	v_mul_f64 v[8:9], v[58:59], v[8:9]
	s_waitcnt lgkmcnt(3)
	v_mul_f64 v[74:75], v[60:61], v[10:11]
	v_fmac_f64_e32 v[74:75], v[62:63], v[4:5]
	v_add_f64 v[72:73], v[72:73], v[74:75]
	v_fma_f64 v[2:3], v[56:57], v[2:3], -v[8:9]
	s_waitcnt lgkmcnt(2)
	v_mul_f64 v[74:75], v[64:65], v[12:13]
	v_fmac_f64_e32 v[74:75], v[66:67], v[6:7]
	v_add_f64 v[76:77], v[72:73], v[74:75]
	ds_read_b128 v[72:75], v54 offset:1728
	v_mul_f64 v[8:9], v[62:63], v[10:11]
	v_add_f64 v[2:3], v[2:3], 0
	s_waitcnt lgkmcnt(2)
	v_mul_f64 v[78:79], v[68:69], v[18:19]
	v_fma_f64 v[4:5], v[60:61], v[4:5], -v[8:9]
	v_fmac_f64_e32 v[78:79], v[70:71], v[20:21]
	v_add_f64 v[80:81], v[76:77], v[78:79]
	ds_read_b128 v[76:79], v54 offset:1744
	s_waitcnt lgkmcnt(1)
	v_mul_f64 v[82:83], v[72:73], v[14:15]
	v_fmac_f64_e32 v[82:83], v[74:75], v[16:17]
	v_add_f64 v[84:85], v[80:81], v[82:83]
	ds_read_b128 v[80:83], v54 offset:1760
	s_waitcnt vmcnt(58) lgkmcnt(1)
	v_mul_f64 v[86:87], v[76:77], v[26:27]
	s_waitcnt vmcnt(56)
	v_fmac_f64_e32 v[86:87], v[78:79], v[28:29]
	v_add_f64 v[88:89], v[84:85], v[86:87]
	ds_read_b128 v[84:87], v54 offset:1776
	s_waitcnt lgkmcnt(1)
	v_mul_f64 v[90:91], v[80:81], v[22:23]
	v_fmac_f64_e32 v[90:91], v[82:83], v[24:25]
	v_add_f64 v[92:93], v[88:89], v[90:91]
	ds_read_b128 v[88:91], v54 offset:1792
	s_waitcnt vmcnt(50) lgkmcnt(1)
	v_mul_f64 v[94:95], v[84:85], v[34:35]
	s_waitcnt vmcnt(48)
	v_fmac_f64_e32 v[94:95], v[86:87], v[36:37]
	v_add_f64 v[96:97], v[92:93], v[94:95]
	ds_read_b128 v[92:95], v54 offset:1808
	s_waitcnt lgkmcnt(1)
	v_mul_f64 v[98:99], v[88:89], v[30:31]
	v_fmac_f64_e32 v[98:99], v[90:91], v[32:33]
	v_add_f64 v[100:101], v[96:97], v[98:99]
	ds_read_b128 v[96:99], v54 offset:1824
	v_add_f64 v[2:3], v[2:3], v[4:5]
	v_mul_f64 v[4:5], v[66:67], v[12:13]
	s_waitcnt vmcnt(42) lgkmcnt(1)
	v_mul_f64 v[102:103], v[92:93], v[42:43]
	v_fma_f64 v[4:5], v[64:65], v[6:7], -v[4:5]
	s_waitcnt vmcnt(40)
	v_fmac_f64_e32 v[102:103], v[94:95], v[44:45]
	v_add_f64 v[2:3], v[2:3], v[4:5]
	v_mul_f64 v[4:5], v[70:71], v[18:19]
	v_add_f64 v[104:105], v[100:101], v[102:103]
	ds_read_b128 v[100:103], v54 offset:1840
	s_waitcnt lgkmcnt(1)
	v_mul_f64 v[106:107], v[96:97], v[38:39]
	v_fma_f64 v[4:5], v[68:69], v[20:21], -v[4:5]
	v_fmac_f64_e32 v[106:107], v[98:99], v[40:41]
	v_add_f64 v[2:3], v[2:3], v[4:5]
	v_mul_f64 v[4:5], v[74:75], v[14:15]
	v_add_f64 v[108:109], v[104:105], v[106:107]
	ds_read_b128 v[104:107], v54 offset:1856
	v_fma_f64 v[4:5], v[72:73], v[16:17], -v[4:5]
	v_add_f64 v[2:3], v[2:3], v[4:5]
	v_mul_f64 v[4:5], v[78:79], v[26:27]
	v_fma_f64 v[4:5], v[76:77], v[28:29], -v[4:5]
	s_waitcnt vmcnt(34) lgkmcnt(1)
	v_mul_f64 v[110:111], v[100:101], v[50:51]
	v_add_f64 v[2:3], v[2:3], v[4:5]
	v_mul_f64 v[4:5], v[82:83], v[22:23]
	s_waitcnt vmcnt(32)
	v_fmac_f64_e32 v[110:111], v[102:103], v[52:53]
	v_fma_f64 v[4:5], v[80:81], v[24:25], -v[4:5]
	v_add_f64 v[112:113], v[108:109], v[110:111]
	ds_read_b128 v[108:111], v54 offset:1872
	s_waitcnt lgkmcnt(1)
	v_mul_f64 v[114:115], v[104:105], v[46:47]
	v_add_f64 v[2:3], v[2:3], v[4:5]
	v_mul_f64 v[4:5], v[86:87], v[34:35]
	v_fmac_f64_e32 v[114:115], v[106:107], v[48:49]
	v_fma_f64 v[4:5], v[84:85], v[36:37], -v[4:5]
	v_add_f64 v[116:117], v[112:113], v[114:115]
	ds_read_b128 v[112:115], v54 offset:1888
	v_add_f64 v[2:3], v[2:3], v[4:5]
	v_mul_f64 v[4:5], v[90:91], v[30:31]
	v_fma_f64 v[4:5], v[88:89], v[32:33], -v[4:5]
	v_add_f64 v[2:3], v[2:3], v[4:5]
	v_mul_f64 v[4:5], v[94:95], v[42:43]
	s_waitcnt vmcnt(26) lgkmcnt(1)
	v_mul_f64 v[118:119], v[108:109], v[138:139]
	v_fma_f64 v[4:5], v[92:93], v[44:45], -v[4:5]
	s_waitcnt vmcnt(24)
	v_fmac_f64_e32 v[118:119], v[110:111], v[140:141]
	v_add_f64 v[2:3], v[2:3], v[4:5]
	v_mul_f64 v[4:5], v[98:99], v[38:39]
	v_add_f64 v[120:121], v[116:117], v[118:119]
	ds_read_b128 v[116:119], v54 offset:1904
	s_waitcnt lgkmcnt(1)
	v_mul_f64 v[122:123], v[112:113], v[0:1]
	v_fma_f64 v[4:5], v[96:97], v[40:41], -v[4:5]
	v_fmac_f64_e32 v[122:123], v[114:115], v[136:137]
	v_add_f64 v[2:3], v[2:3], v[4:5]
	v_mul_f64 v[4:5], v[102:103], v[50:51]
	v_add_f64 v[124:125], v[120:121], v[122:123]
	ds_read_b128 v[120:123], v54 offset:1920
	v_fma_f64 v[4:5], v[100:101], v[52:53], -v[4:5]
	v_add_f64 v[2:3], v[2:3], v[4:5]
	v_mul_f64 v[4:5], v[106:107], v[46:47]
	v_fma_f64 v[4:5], v[104:105], v[48:49], -v[4:5]
	s_waitcnt vmcnt(18) lgkmcnt(1)
	v_mul_f64 v[126:127], v[116:117], v[146:147]
	v_add_f64 v[2:3], v[2:3], v[4:5]
	v_mul_f64 v[4:5], v[110:111], v[138:139]
	s_waitcnt vmcnt(16)
	v_fmac_f64_e32 v[126:127], v[118:119], v[148:149]
	v_fma_f64 v[4:5], v[108:109], v[140:141], -v[4:5]
	v_mul_f64 v[0:1], v[114:115], v[0:1]
	v_add_f64 v[128:129], v[124:125], v[126:127]
	ds_read_b128 v[124:127], v54 offset:1936
	s_waitcnt lgkmcnt(1)
	v_mul_f64 v[130:131], v[120:121], v[142:143]
	v_add_f64 v[2:3], v[2:3], v[4:5]
	v_fma_f64 v[0:1], v[112:113], v[136:137], -v[0:1]
	v_fmac_f64_e32 v[130:131], v[122:123], v[144:145]
	v_add_f64 v[0:1], v[2:3], v[0:1]
	v_mul_f64 v[2:3], v[118:119], v[146:147]
	v_add_f64 v[166:167], v[128:129], v[130:131]
	ds_read_b128 v[128:131], v54 offset:1952
	v_fma_f64 v[2:3], v[116:117], v[148:149], -v[2:3]
	v_add_f64 v[0:1], v[0:1], v[2:3]
	v_mul_f64 v[2:3], v[122:123], v[142:143]
	v_fma_f64 v[2:3], v[120:121], v[144:145], -v[2:3]
	v_add_f64 v[0:1], v[0:1], v[2:3]
	s_waitcnt vmcnt(10) lgkmcnt(1)
	v_mul_f64 v[2:3], v[126:127], v[154:155]
	v_mul_f64 v[168:169], v[124:125], v[154:155]
	s_waitcnt vmcnt(8)
	v_fma_f64 v[2:3], v[124:125], v[156:157], -v[2:3]
	v_fmac_f64_e32 v[168:169], v[126:127], v[156:157]
	v_add_f64 v[0:1], v[0:1], v[2:3]
	s_waitcnt lgkmcnt(0)
	v_mul_f64 v[2:3], v[130:131], v[150:151]
	v_add_f64 v[54:55], v[166:167], v[168:169]
	v_mul_f64 v[166:167], v[128:129], v[150:151]
	v_fma_f64 v[2:3], v[128:129], v[152:153], -v[2:3]
	v_fmac_f64_e32 v[166:167], v[130:131], v[152:153]
	v_add_f64 v[0:1], v[0:1], v[2:3]
	s_waitcnt vmcnt(6)
	v_mul_f64 v[2:3], v[134:135], v[158:159]
	v_add_f64 v[54:55], v[54:55], v[166:167]
	v_mul_f64 v[166:167], v[132:133], v[158:159]
	s_waitcnt vmcnt(4)
	v_fma_f64 v[2:3], v[132:133], v[160:161], -v[2:3]
	v_fmac_f64_e32 v[166:167], v[134:135], v[160:161]
	v_add_f64 v[0:1], v[0:1], v[2:3]
	v_add_f64 v[54:55], v[54:55], v[166:167]
	s_waitcnt vmcnt(2)
	v_add_f64 v[0:1], v[162:163], -v[0:1]
	s_waitcnt vmcnt(0)
	v_add_f64 v[2:3], v[164:165], -v[54:55]
	buffer_store_dword v1, off, s[0:3], 0 offset:676
	buffer_store_dword v0, off, s[0:3], 0 offset:672
	;; [unrolled: 1-line block ×4, first 2 shown]
	s_and_saveexec_b64 s[4:5], vcc
	s_cbranch_execz .LBB125_317
; %bb.316:
	v_accvgpr_read_b32 v0, a145
	buffer_load_dword v2, v0, s[0:3], 0 offen
	buffer_load_dword v3, v0, s[0:3], 0 offen offset:4
	buffer_load_dword v4, v0, s[0:3], 0 offen offset:8
	;; [unrolled: 1-line block ×3, first 2 shown]
	v_mov_b32_e32 v0, 0
	v_accvgpr_read_b32 v1, a186
	buffer_store_dword v0, off, s[0:3], 0 offset:656
	buffer_store_dword v0, off, s[0:3], 0 offset:660
	;; [unrolled: 1-line block ×4, first 2 shown]
	s_waitcnt vmcnt(4)
	ds_write_b128 v1, v[2:5]
.LBB125_317:
	s_or_b64 exec, exec, s[4:5]
	s_waitcnt lgkmcnt(0)
	; wave barrier
	s_waitcnt lgkmcnt(0)
	buffer_load_dword v4, off, s[0:3], 0 offset:656
	buffer_load_dword v5, off, s[0:3], 0 offset:660
	;; [unrolled: 1-line block ×84, first 2 shown]
	v_mov_b32_e32 v86, 0
	ds_read_b128 v[66:69], v86 offset:1648
	buffer_load_dword v171, off, s[0:3], 0 offset:1004
	buffer_load_dword v170, off, s[0:3], 0 offset:1000
	;; [unrolled: 1-line block ×4, first 2 shown]
	ds_read_b128 v[70:73], v86 offset:1664
	ds_read_b128 v[74:77], v86 offset:1680
	;; [unrolled: 1-line block ×4, first 2 shown]
	v_accvgpr_write_b32 a185, v178
	s_waitcnt vmcnt(62) lgkmcnt(4)
	v_mul_f64 v[82:83], v[66:67], v[12:13]
	v_fmac_f64_e32 v[82:83], v[68:69], v[6:7]
	s_waitcnt lgkmcnt(3)
	v_mul_f64 v[84:85], v[70:71], v[14:15]
	v_add_f64 v[82:83], v[82:83], 0
	v_fmac_f64_e32 v[84:85], v[72:73], v[8:9]
	v_add_f64 v[82:83], v[82:83], v[84:85]
	s_waitcnt lgkmcnt(2)
	v_mul_f64 v[84:85], v[74:75], v[16:17]
	v_fmac_f64_e32 v[84:85], v[76:77], v[10:11]
	v_add_f64 v[88:89], v[82:83], v[84:85]
	ds_read_b128 v[82:85], v86 offset:1712
	v_mul_f64 v[12:13], v[68:69], v[12:13]
	s_waitcnt lgkmcnt(2)
	v_mul_f64 v[90:91], v[78:79], v[22:23]
	v_fma_f64 v[6:7], v[66:67], v[6:7], -v[12:13]
	v_fmac_f64_e32 v[90:91], v[80:81], v[24:25]
	v_add_f64 v[92:93], v[88:89], v[90:91]
	ds_read_b128 v[88:91], v86 offset:1728
	s_waitcnt lgkmcnt(1)
	v_mul_f64 v[94:95], v[82:83], v[18:19]
	v_fmac_f64_e32 v[94:95], v[84:85], v[20:21]
	v_add_f64 v[96:97], v[92:93], v[94:95]
	ds_read_b128 v[92:95], v86 offset:1744
	s_waitcnt vmcnt(58) lgkmcnt(1)
	v_mul_f64 v[98:99], v[88:89], v[30:31]
	s_waitcnt vmcnt(56)
	v_fmac_f64_e32 v[98:99], v[90:91], v[32:33]
	v_add_f64 v[100:101], v[96:97], v[98:99]
	ds_read_b128 v[96:99], v86 offset:1760
	s_waitcnt lgkmcnt(1)
	v_mul_f64 v[102:103], v[92:93], v[26:27]
	v_fmac_f64_e32 v[102:103], v[94:95], v[28:29]
	v_add_f64 v[104:105], v[100:101], v[102:103]
	ds_read_b128 v[100:103], v86 offset:1776
	s_waitcnt vmcnt(50) lgkmcnt(1)
	v_mul_f64 v[106:107], v[96:97], v[38:39]
	s_waitcnt vmcnt(48)
	v_fmac_f64_e32 v[106:107], v[98:99], v[40:41]
	v_add_f64 v[108:109], v[104:105], v[106:107]
	ds_read_b128 v[104:107], v86 offset:1792
	s_waitcnt lgkmcnt(1)
	v_mul_f64 v[110:111], v[100:101], v[34:35]
	v_fmac_f64_e32 v[110:111], v[102:103], v[36:37]
	v_add_f64 v[112:113], v[108:109], v[110:111]
	ds_read_b128 v[108:111], v86 offset:1808
	s_waitcnt vmcnt(42) lgkmcnt(1)
	v_mul_f64 v[114:115], v[104:105], v[46:47]
	v_mul_f64 v[12:13], v[72:73], v[14:15]
	s_waitcnt vmcnt(40)
	v_fmac_f64_e32 v[114:115], v[106:107], v[48:49]
	v_add_f64 v[6:7], v[6:7], 0
	v_fma_f64 v[8:9], v[70:71], v[8:9], -v[12:13]
	v_add_f64 v[116:117], v[112:113], v[114:115]
	ds_read_b128 v[112:115], v86 offset:1824
	v_add_f64 v[6:7], v[6:7], v[8:9]
	v_mul_f64 v[8:9], v[76:77], v[16:17]
	v_fma_f64 v[8:9], v[74:75], v[10:11], -v[8:9]
	v_add_f64 v[6:7], v[6:7], v[8:9]
	v_mul_f64 v[8:9], v[80:81], v[22:23]
	s_waitcnt lgkmcnt(1)
	v_mul_f64 v[118:119], v[108:109], v[42:43]
	v_fma_f64 v[8:9], v[78:79], v[24:25], -v[8:9]
	v_fmac_f64_e32 v[118:119], v[110:111], v[44:45]
	v_add_f64 v[6:7], v[6:7], v[8:9]
	v_mul_f64 v[8:9], v[84:85], v[18:19]
	v_add_f64 v[120:121], v[116:117], v[118:119]
	ds_read_b128 v[116:119], v86 offset:1840
	s_waitcnt vmcnt(34) lgkmcnt(1)
	v_mul_f64 v[122:123], v[112:113], v[54:55]
	v_fma_f64 v[8:9], v[82:83], v[20:21], -v[8:9]
	s_waitcnt vmcnt(32)
	v_fmac_f64_e32 v[122:123], v[114:115], v[56:57]
	v_add_f64 v[6:7], v[6:7], v[8:9]
	v_mul_f64 v[8:9], v[90:91], v[30:31]
	v_add_f64 v[124:125], v[120:121], v[122:123]
	ds_read_b128 v[120:123], v86 offset:1856
	v_fma_f64 v[8:9], v[88:89], v[32:33], -v[8:9]
	v_add_f64 v[6:7], v[6:7], v[8:9]
	v_mul_f64 v[8:9], v[94:95], v[26:27]
	v_fma_f64 v[8:9], v[92:93], v[28:29], -v[8:9]
	s_waitcnt lgkmcnt(1)
	v_mul_f64 v[126:127], v[116:117], v[50:51]
	v_add_f64 v[6:7], v[6:7], v[8:9]
	v_mul_f64 v[8:9], v[98:99], v[38:39]
	v_fmac_f64_e32 v[126:127], v[118:119], v[52:53]
	v_fma_f64 v[8:9], v[96:97], v[40:41], -v[8:9]
	v_add_f64 v[128:129], v[124:125], v[126:127]
	ds_read_b128 v[124:127], v86 offset:1872
	s_waitcnt vmcnt(26) lgkmcnt(1)
	v_mul_f64 v[130:131], v[120:121], v[62:63]
	v_add_f64 v[6:7], v[6:7], v[8:9]
	v_mul_f64 v[8:9], v[102:103], v[34:35]
	s_waitcnt vmcnt(24)
	v_fmac_f64_e32 v[130:131], v[122:123], v[64:65]
	v_fma_f64 v[8:9], v[100:101], v[36:37], -v[8:9]
	v_add_f64 v[132:133], v[128:129], v[130:131]
	ds_read_b128 v[128:131], v86 offset:1888
	v_add_f64 v[6:7], v[6:7], v[8:9]
	v_mul_f64 v[8:9], v[106:107], v[46:47]
	v_fma_f64 v[8:9], v[104:105], v[48:49], -v[8:9]
	v_add_f64 v[6:7], v[6:7], v[8:9]
	v_mul_f64 v[8:9], v[110:111], v[42:43]
	s_waitcnt lgkmcnt(1)
	v_mul_f64 v[134:135], v[124:125], v[58:59]
	v_fma_f64 v[8:9], v[108:109], v[44:45], -v[8:9]
	v_fmac_f64_e32 v[134:135], v[126:127], v[60:61]
	v_add_f64 v[6:7], v[6:7], v[8:9]
	v_mul_f64 v[8:9], v[114:115], v[54:55]
	v_add_f64 v[136:137], v[132:133], v[134:135]
	ds_read_b128 v[132:135], v86 offset:1904
	s_waitcnt vmcnt(18) lgkmcnt(1)
	v_mul_f64 v[138:139], v[128:129], v[154:155]
	v_fma_f64 v[8:9], v[112:113], v[56:57], -v[8:9]
	s_waitcnt vmcnt(16)
	v_fmac_f64_e32 v[138:139], v[130:131], v[156:157]
	v_add_f64 v[6:7], v[6:7], v[8:9]
	v_mul_f64 v[8:9], v[118:119], v[50:51]
	v_add_f64 v[140:141], v[136:137], v[138:139]
	ds_read_b128 v[136:139], v86 offset:1920
	v_fma_f64 v[8:9], v[116:117], v[52:53], -v[8:9]
	v_add_f64 v[6:7], v[6:7], v[8:9]
	v_mul_f64 v[8:9], v[122:123], v[62:63]
	v_fma_f64 v[8:9], v[120:121], v[64:65], -v[8:9]
	s_waitcnt lgkmcnt(1)
	v_mul_f64 v[142:143], v[132:133], v[0:1]
	v_add_f64 v[6:7], v[6:7], v[8:9]
	v_mul_f64 v[8:9], v[126:127], v[58:59]
	v_fmac_f64_e32 v[142:143], v[134:135], v[152:153]
	v_fma_f64 v[8:9], v[124:125], v[60:61], -v[8:9]
	v_add_f64 v[144:145], v[140:141], v[142:143]
	ds_read_b128 v[140:143], v86 offset:1936
	s_waitcnt vmcnt(10) lgkmcnt(1)
	v_mul_f64 v[146:147], v[136:137], v[162:163]
	v_add_f64 v[6:7], v[6:7], v[8:9]
	v_mul_f64 v[8:9], v[130:131], v[154:155]
	s_waitcnt vmcnt(8)
	v_fmac_f64_e32 v[146:147], v[138:139], v[164:165]
	v_fma_f64 v[8:9], v[128:129], v[156:157], -v[8:9]
	v_mul_f64 v[0:1], v[134:135], v[0:1]
	v_add_f64 v[174:175], v[144:145], v[146:147]
	ds_read_b128 v[144:147], v86 offset:1952
	v_add_f64 v[6:7], v[6:7], v[8:9]
	v_fma_f64 v[0:1], v[132:133], v[152:153], -v[0:1]
	v_add_f64 v[0:1], v[6:7], v[0:1]
	v_mul_f64 v[6:7], v[138:139], v[162:163]
	v_fma_f64 v[6:7], v[136:137], v[164:165], -v[6:7]
	v_add_f64 v[0:1], v[0:1], v[6:7]
	s_waitcnt lgkmcnt(1)
	v_mul_f64 v[6:7], v[142:143], v[158:159]
	v_mul_f64 v[176:177], v[140:141], v[158:159]
	v_fma_f64 v[6:7], v[140:141], v[160:161], -v[6:7]
	v_fmac_f64_e32 v[176:177], v[142:143], v[160:161]
	v_add_f64 v[0:1], v[0:1], v[6:7]
	s_waitcnt vmcnt(6) lgkmcnt(0)
	v_mul_f64 v[6:7], v[146:147], v[166:167]
	v_add_f64 v[174:175], v[174:175], v[176:177]
	v_mul_f64 v[176:177], v[144:145], v[166:167]
	s_waitcnt vmcnt(4)
	v_fma_f64 v[6:7], v[144:145], v[168:169], -v[6:7]
	v_fmac_f64_e32 v[176:177], v[146:147], v[168:169]
	v_add_f64 v[0:1], v[0:1], v[6:7]
	s_waitcnt vmcnt(2)
	v_mul_f64 v[6:7], v[150:151], v[170:171]
	v_add_f64 v[174:175], v[174:175], v[176:177]
	v_mul_f64 v[176:177], v[148:149], v[170:171]
	s_waitcnt vmcnt(0)
	v_fma_f64 v[6:7], v[148:149], v[172:173], -v[6:7]
	v_fmac_f64_e32 v[176:177], v[150:151], v[172:173]
	v_add_f64 v[0:1], v[0:1], v[6:7]
	v_add_f64 v[174:175], v[174:175], v[176:177]
	v_add_f64 v[0:1], v[4:5], -v[0:1]
	v_cmp_lt_u32_e32 vcc, 39, v178
	v_add_f64 v[2:3], v[2:3], -v[174:175]
	buffer_store_dword v1, off, s[0:3], 0 offset:660
	buffer_store_dword v0, off, s[0:3], 0 offset:656
	;; [unrolled: 1-line block ×4, first 2 shown]
	s_and_saveexec_b64 s[4:5], vcc
	s_cbranch_execz .LBB125_319
; %bb.318:
	v_accvgpr_read_b32 v0, a146
	buffer_load_dword v2, v0, s[0:3], 0 offen
	buffer_load_dword v3, v0, s[0:3], 0 offen offset:4
	buffer_load_dword v4, v0, s[0:3], 0 offen offset:8
	;; [unrolled: 1-line block ×3, first 2 shown]
	v_accvgpr_read_b32 v0, a186
	buffer_store_dword v86, off, s[0:3], 0 offset:640
	buffer_store_dword v86, off, s[0:3], 0 offset:644
	;; [unrolled: 1-line block ×4, first 2 shown]
	s_waitcnt vmcnt(4)
	ds_write_b128 v0, v[2:5]
.LBB125_319:
	s_or_b64 exec, exec, s[4:5]
	s_waitcnt lgkmcnt(0)
	; wave barrier
	s_waitcnt lgkmcnt(0)
	ds_read_b128 v[14:17], v86 offset:1632
	ds_read_b128 v[10:13], v86 offset:1648
	;; [unrolled: 1-line block ×4, first 2 shown]
	buffer_load_dword v20, off, s[0:3], 0 offset:640
	buffer_load_dword v21, off, s[0:3], 0 offset:644
	;; [unrolled: 1-line block ×92, first 2 shown]
	s_waitcnt vmcnt(62) lgkmcnt(3)
	v_mul_f64 v[88:89], v[14:15], v[28:29]
	v_fmac_f64_e32 v[88:89], v[16:17], v[22:23]
	s_waitcnt lgkmcnt(2)
	v_mul_f64 v[90:91], v[10:11], v[30:31]
	v_add_f64 v[88:89], v[88:89], 0
	v_fmac_f64_e32 v[90:91], v[12:13], v[24:25]
	v_add_f64 v[88:89], v[88:89], v[90:91]
	s_waitcnt lgkmcnt(1)
	v_mul_f64 v[90:91], v[6:7], v[32:33]
	v_fmac_f64_e32 v[90:91], v[8:9], v[26:27]
	v_add_f64 v[92:93], v[88:89], v[90:91]
	ds_read_b128 v[88:91], v86 offset:1696
	v_mul_f64 v[16:17], v[16:17], v[28:29]
	v_fma_f64 v[14:15], v[14:15], v[22:23], -v[16:17]
	s_waitcnt lgkmcnt(1)
	v_mul_f64 v[94:95], v[2:3], v[38:39]
	v_mul_f64 v[12:13], v[12:13], v[30:31]
	v_fmac_f64_e32 v[94:95], v[4:5], v[40:41]
	v_add_f64 v[96:97], v[92:93], v[94:95]
	ds_read_b128 v[92:95], v86 offset:1712
	s_waitcnt lgkmcnt(1)
	v_mul_f64 v[98:99], v[88:89], v[34:35]
	v_fmac_f64_e32 v[98:99], v[90:91], v[36:37]
	v_add_f64 v[100:101], v[96:97], v[98:99]
	ds_read_b128 v[96:99], v86 offset:1728
	s_waitcnt lgkmcnt(1)
	v_mul_f64 v[102:103], v[92:93], v[46:47]
	s_waitcnt vmcnt(60)
	v_fmac_f64_e32 v[102:103], v[94:95], v[48:49]
	v_add_f64 v[104:105], v[100:101], v[102:103]
	ds_read_b128 v[100:103], v86 offset:1744
	s_waitcnt lgkmcnt(1)
	v_mul_f64 v[106:107], v[96:97], v[42:43]
	v_fmac_f64_e32 v[106:107], v[98:99], v[44:45]
	v_add_f64 v[108:109], v[104:105], v[106:107]
	ds_read_b128 v[104:107], v86 offset:1760
	s_waitcnt vmcnt(54) lgkmcnt(1)
	v_mul_f64 v[110:111], v[100:101], v[54:55]
	s_waitcnt vmcnt(52)
	v_fmac_f64_e32 v[110:111], v[102:103], v[56:57]
	v_add_f64 v[112:113], v[108:109], v[110:111]
	ds_read_b128 v[108:111], v86 offset:1776
	s_waitcnt lgkmcnt(1)
	v_mul_f64 v[114:115], v[104:105], v[50:51]
	v_fmac_f64_e32 v[114:115], v[106:107], v[52:53]
	v_add_f64 v[116:117], v[112:113], v[114:115]
	ds_read_b128 v[112:115], v86 offset:1792
	s_waitcnt vmcnt(46) lgkmcnt(1)
	v_mul_f64 v[118:119], v[108:109], v[62:63]
	s_waitcnt vmcnt(44)
	v_fmac_f64_e32 v[118:119], v[110:111], v[64:65]
	v_add_f64 v[120:121], v[116:117], v[118:119]
	ds_read_b128 v[116:119], v86 offset:1808
	s_waitcnt lgkmcnt(1)
	v_mul_f64 v[122:123], v[112:113], v[58:59]
	v_fmac_f64_e32 v[122:123], v[114:115], v[60:61]
	v_add_f64 v[124:125], v[120:121], v[122:123]
	ds_read_b128 v[120:123], v86 offset:1824
	v_add_f64 v[14:15], v[14:15], 0
	v_fma_f64 v[10:11], v[10:11], v[24:25], -v[12:13]
	v_mul_f64 v[8:9], v[8:9], v[32:33]
	v_add_f64 v[10:11], v[14:15], v[10:11]
	v_fma_f64 v[6:7], v[6:7], v[26:27], -v[8:9]
	v_mul_f64 v[4:5], v[4:5], v[38:39]
	;; [unrolled: 3-line block ×3, first 2 shown]
	s_waitcnt vmcnt(38) lgkmcnt(1)
	v_mul_f64 v[126:127], v[116:117], v[70:71]
	v_add_f64 v[2:3], v[6:7], v[2:3]
	v_fma_f64 v[4:5], v[88:89], v[36:37], -v[4:5]
	s_waitcnt vmcnt(36)
	v_fmac_f64_e32 v[126:127], v[118:119], v[72:73]
	v_add_f64 v[2:3], v[2:3], v[4:5]
	v_mul_f64 v[4:5], v[94:95], v[46:47]
	v_add_f64 v[128:129], v[124:125], v[126:127]
	ds_read_b128 v[124:127], v86 offset:1840
	s_waitcnt lgkmcnt(1)
	v_mul_f64 v[130:131], v[120:121], v[66:67]
	v_fma_f64 v[4:5], v[92:93], v[48:49], -v[4:5]
	v_fmac_f64_e32 v[130:131], v[122:123], v[68:69]
	v_add_f64 v[2:3], v[2:3], v[4:5]
	v_mul_f64 v[4:5], v[98:99], v[42:43]
	v_add_f64 v[132:133], v[128:129], v[130:131]
	ds_read_b128 v[128:131], v86 offset:1856
	v_fma_f64 v[4:5], v[96:97], v[44:45], -v[4:5]
	v_add_f64 v[2:3], v[2:3], v[4:5]
	v_mul_f64 v[4:5], v[102:103], v[54:55]
	v_fma_f64 v[4:5], v[100:101], v[56:57], -v[4:5]
	s_waitcnt vmcnt(30) lgkmcnt(1)
	v_mul_f64 v[134:135], v[124:125], v[78:79]
	v_add_f64 v[2:3], v[2:3], v[4:5]
	v_mul_f64 v[4:5], v[106:107], v[50:51]
	s_waitcnt vmcnt(28)
	v_fmac_f64_e32 v[134:135], v[126:127], v[80:81]
	v_fma_f64 v[4:5], v[104:105], v[52:53], -v[4:5]
	v_add_f64 v[136:137], v[132:133], v[134:135]
	ds_read_b128 v[132:135], v86 offset:1872
	s_waitcnt lgkmcnt(1)
	v_mul_f64 v[138:139], v[128:129], v[74:75]
	v_add_f64 v[2:3], v[2:3], v[4:5]
	v_mul_f64 v[4:5], v[110:111], v[62:63]
	v_fmac_f64_e32 v[138:139], v[130:131], v[76:77]
	v_fma_f64 v[4:5], v[108:109], v[64:65], -v[4:5]
	v_add_f64 v[140:141], v[136:137], v[138:139]
	ds_read_b128 v[136:139], v86 offset:1888
	v_add_f64 v[2:3], v[2:3], v[4:5]
	v_mul_f64 v[4:5], v[114:115], v[58:59]
	v_fma_f64 v[4:5], v[112:113], v[60:61], -v[4:5]
	v_add_f64 v[2:3], v[2:3], v[4:5]
	v_mul_f64 v[4:5], v[118:119], v[70:71]
	s_waitcnt vmcnt(22) lgkmcnt(1)
	v_mul_f64 v[142:143], v[132:133], v[0:1]
	v_fma_f64 v[4:5], v[116:117], v[72:73], -v[4:5]
	s_waitcnt vmcnt(20)
	v_fmac_f64_e32 v[142:143], v[134:135], v[160:161]
	v_add_f64 v[2:3], v[2:3], v[4:5]
	v_mul_f64 v[4:5], v[122:123], v[66:67]
	v_add_f64 v[144:145], v[140:141], v[142:143]
	ds_read_b128 v[140:143], v86 offset:1904
	s_waitcnt lgkmcnt(1)
	v_mul_f64 v[146:147], v[136:137], v[82:83]
	v_fma_f64 v[4:5], v[120:121], v[68:69], -v[4:5]
	v_fmac_f64_e32 v[146:147], v[138:139], v[84:85]
	v_add_f64 v[2:3], v[2:3], v[4:5]
	v_mul_f64 v[4:5], v[126:127], v[78:79]
	v_add_f64 v[148:149], v[144:145], v[146:147]
	ds_read_b128 v[144:147], v86 offset:1920
	v_fma_f64 v[4:5], v[124:125], v[80:81], -v[4:5]
	v_add_f64 v[2:3], v[2:3], v[4:5]
	v_mul_f64 v[4:5], v[130:131], v[74:75]
	v_fma_f64 v[4:5], v[128:129], v[76:77], -v[4:5]
	v_mul_f64 v[0:1], v[134:135], v[0:1]
	s_waitcnt vmcnt(14) lgkmcnt(1)
	v_mul_f64 v[150:151], v[140:141], v[166:167]
	v_add_f64 v[2:3], v[2:3], v[4:5]
	v_fma_f64 v[0:1], v[132:133], v[160:161], -v[0:1]
	s_waitcnt vmcnt(12)
	v_fmac_f64_e32 v[150:151], v[142:143], v[168:169]
	v_add_f64 v[0:1], v[2:3], v[0:1]
	v_mul_f64 v[2:3], v[138:139], v[82:83]
	v_add_f64 v[152:153], v[148:149], v[150:151]
	ds_read_b128 v[148:151], v86 offset:1936
	s_waitcnt lgkmcnt(1)
	v_mul_f64 v[154:155], v[144:145], v[162:163]
	v_fma_f64 v[2:3], v[136:137], v[84:85], -v[2:3]
	v_fmac_f64_e32 v[154:155], v[146:147], v[164:165]
	v_add_f64 v[0:1], v[0:1], v[2:3]
	v_mul_f64 v[2:3], v[142:143], v[166:167]
	v_add_f64 v[182:183], v[152:153], v[154:155]
	ds_read_b128 v[152:155], v86 offset:1952
	ds_read_b128 v[156:159], v86 offset:1968
	v_fma_f64 v[2:3], v[140:141], v[168:169], -v[2:3]
	v_add_f64 v[0:1], v[0:1], v[2:3]
	v_mul_f64 v[2:3], v[146:147], v[162:163]
	v_fma_f64 v[2:3], v[144:145], v[164:165], -v[2:3]
	v_add_f64 v[0:1], v[0:1], v[2:3]
	s_waitcnt vmcnt(6) lgkmcnt(2)
	v_mul_f64 v[2:3], v[150:151], v[174:175]
	v_mul_f64 v[184:185], v[148:149], v[174:175]
	s_waitcnt vmcnt(4)
	v_fma_f64 v[2:3], v[148:149], v[176:177], -v[2:3]
	v_fmac_f64_e32 v[184:185], v[150:151], v[176:177]
	v_add_f64 v[0:1], v[0:1], v[2:3]
	s_waitcnt lgkmcnt(1)
	v_mul_f64 v[2:3], v[154:155], v[170:171]
	v_add_f64 v[86:87], v[182:183], v[184:185]
	v_mul_f64 v[182:183], v[152:153], v[170:171]
	v_fma_f64 v[2:3], v[152:153], v[172:173], -v[2:3]
	v_fmac_f64_e32 v[182:183], v[154:155], v[172:173]
	v_add_f64 v[0:1], v[0:1], v[2:3]
	s_waitcnt vmcnt(2) lgkmcnt(0)
	v_mul_f64 v[2:3], v[158:159], v[178:179]
	v_add_f64 v[86:87], v[86:87], v[182:183]
	v_mul_f64 v[182:183], v[156:157], v[178:179]
	s_waitcnt vmcnt(0)
	v_fma_f64 v[2:3], v[156:157], v[180:181], -v[2:3]
	v_fmac_f64_e32 v[182:183], v[158:159], v[180:181]
	v_add_f64 v[0:1], v[0:1], v[2:3]
	v_add_f64 v[86:87], v[86:87], v[182:183]
	v_add_f64 v[0:1], v[20:21], -v[0:1]
	v_add_f64 v[2:3], v[18:19], -v[86:87]
	buffer_store_dword v1, off, s[0:3], 0 offset:644
	buffer_store_dword v0, off, s[0:3], 0 offset:640
	buffer_store_dword v3, off, s[0:3], 0 offset:652
	buffer_store_dword v2, off, s[0:3], 0 offset:648
	v_accvgpr_read_b32 v0, a185
	v_cmp_lt_u32_e32 vcc, 38, v0
	s_and_saveexec_b64 s[4:5], vcc
	s_cbranch_execz .LBB125_321
; %bb.320:
	v_accvgpr_read_b32 v0, a147
	buffer_load_dword v2, v0, s[0:3], 0 offen
	buffer_load_dword v3, v0, s[0:3], 0 offen offset:4
	buffer_load_dword v4, v0, s[0:3], 0 offen offset:8
	;; [unrolled: 1-line block ×3, first 2 shown]
	v_mov_b32_e32 v0, 0
	v_accvgpr_read_b32 v1, a186
	buffer_store_dword v0, off, s[0:3], 0 offset:624
	buffer_store_dword v0, off, s[0:3], 0 offset:628
	;; [unrolled: 1-line block ×4, first 2 shown]
	s_waitcnt vmcnt(4)
	ds_write_b128 v1, v[2:5]
.LBB125_321:
	s_or_b64 exec, exec, s[4:5]
	s_waitcnt lgkmcnt(0)
	; wave barrier
	s_waitcnt lgkmcnt(0)
	buffer_load_dword v9, off, s[0:3], 0 offset:652
	buffer_load_dword v6, off, s[0:3], 0 offset:664
	;; [unrolled: 1-line block ×64, first 2 shown]
	v_mov_b32_e32 v98, 0
	ds_read_b128 v[74:77], v98 offset:1616
	ds_read_b128 v[78:81], v98 offset:1632
	buffer_load_dword v67, off, s[0:3], 0 offset:908
	buffer_load_dword v66, off, s[0:3], 0 offset:904
	;; [unrolled: 1-line block ×8, first 2 shown]
	ds_read_b128 v[82:85], v98 offset:1648
	ds_read_b128 v[86:89], v98 offset:1664
	buffer_load_dword v169, off, s[0:3], 0 offset:940
	buffer_load_dword v168, off, s[0:3], 0 offset:936
	;; [unrolled: 1-line block ×24, first 2 shown]
	ds_read_b128 v[164:167], v98 offset:1968
	s_waitcnt vmcnt(62) lgkmcnt(1)
	v_mul_f64 v[94:95], v[86:87], v[22:23]
	v_fmac_f64_e32 v[94:95], v[88:89], v[24:25]
	v_mul_f64 v[90:91], v[78:79], v[6:7]
	v_mul_f64 v[0:1], v[74:75], v[8:9]
	;; [unrolled: 1-line block ×3, first 2 shown]
	v_fmac_f64_e32 v[0:1], v[76:77], v[10:11]
	v_add_f64 v[0:1], v[0:1], 0
	v_fma_f64 v[8:9], v[74:75], v[10:11], -v[8:9]
	v_mul_f64 v[6:7], v[80:81], v[6:7]
	v_add_f64 v[8:9], v[8:9], 0
	v_fmac_f64_e32 v[90:91], v[80:81], v[14:15]
	v_add_f64 v[0:1], v[0:1], v[90:91]
	v_mul_f64 v[90:91], v[82:83], v[16:17]
	v_fmac_f64_e32 v[90:91], v[84:85], v[12:13]
	v_add_f64 v[0:1], v[0:1], v[90:91]
	ds_read_b128 v[90:93], v98 offset:1680
	v_add_f64 v[0:1], v[0:1], v[94:95]
	ds_read_b128 v[94:97], v98 offset:1696
	v_fma_f64 v[6:7], v[78:79], v[14:15], -v[6:7]
	v_add_f64 v[6:7], v[8:9], v[6:7]
	s_waitcnt lgkmcnt(1)
	v_mul_f64 v[100:101], v[90:91], v[18:19]
	v_fmac_f64_e32 v[100:101], v[92:93], v[20:21]
	v_add_f64 v[0:1], v[0:1], v[100:101]
	ds_read_b128 v[100:103], v98 offset:1712
	s_waitcnt lgkmcnt(1)
	v_mul_f64 v[104:105], v[94:95], v[30:31]
	v_fmac_f64_e32 v[104:105], v[96:97], v[32:33]
	v_add_f64 v[0:1], v[0:1], v[104:105]
	ds_read_b128 v[104:107], v98 offset:1728
	;; [unrolled: 5-line block ×3, first 2 shown]
	s_waitcnt vmcnt(58) lgkmcnt(1)
	v_mul_f64 v[112:113], v[104:105], v[38:39]
	s_waitcnt vmcnt(56)
	v_fmac_f64_e32 v[112:113], v[106:107], v[40:41]
	v_add_f64 v[0:1], v[0:1], v[112:113]
	ds_read_b128 v[112:115], v98 offset:1760
	s_waitcnt lgkmcnt(1)
	v_mul_f64 v[116:117], v[108:109], v[34:35]
	v_fmac_f64_e32 v[116:117], v[110:111], v[36:37]
	v_add_f64 v[0:1], v[0:1], v[116:117]
	ds_read_b128 v[116:119], v98 offset:1776
	s_waitcnt vmcnt(50) lgkmcnt(1)
	v_mul_f64 v[120:121], v[112:113], v[46:47]
	s_waitcnt vmcnt(48)
	v_fmac_f64_e32 v[120:121], v[114:115], v[48:49]
	v_add_f64 v[0:1], v[0:1], v[120:121]
	ds_read_b128 v[120:123], v98 offset:1792
	v_mul_f64 v[8:9], v[84:85], v[16:17]
	s_waitcnt lgkmcnt(1)
	v_mul_f64 v[124:125], v[116:117], v[42:43]
	v_fma_f64 v[8:9], v[82:83], v[12:13], -v[8:9]
	v_fmac_f64_e32 v[124:125], v[118:119], v[44:45]
	v_add_f64 v[6:7], v[6:7], v[8:9]
	v_mul_f64 v[8:9], v[88:89], v[22:23]
	v_add_f64 v[0:1], v[0:1], v[124:125]
	ds_read_b128 v[124:127], v98 offset:1808
	s_waitcnt vmcnt(42) lgkmcnt(1)
	v_mul_f64 v[128:129], v[120:121], v[54:55]
	v_fma_f64 v[8:9], v[86:87], v[24:25], -v[8:9]
	s_waitcnt vmcnt(40)
	v_fmac_f64_e32 v[128:129], v[122:123], v[56:57]
	v_add_f64 v[6:7], v[6:7], v[8:9]
	v_mul_f64 v[8:9], v[92:93], v[18:19]
	v_add_f64 v[0:1], v[0:1], v[128:129]
	ds_read_b128 v[128:131], v98 offset:1824
	v_fma_f64 v[8:9], v[90:91], v[20:21], -v[8:9]
	v_add_f64 v[6:7], v[6:7], v[8:9]
	v_mul_f64 v[8:9], v[96:97], v[30:31]
	v_fma_f64 v[8:9], v[94:95], v[32:33], -v[8:9]
	s_waitcnt lgkmcnt(1)
	v_mul_f64 v[132:133], v[124:125], v[50:51]
	v_add_f64 v[6:7], v[6:7], v[8:9]
	v_mul_f64 v[8:9], v[102:103], v[26:27]
	v_fmac_f64_e32 v[132:133], v[126:127], v[52:53]
	v_fma_f64 v[8:9], v[100:101], v[28:29], -v[8:9]
	v_add_f64 v[0:1], v[0:1], v[132:133]
	ds_read_b128 v[132:135], v98 offset:1840
	s_waitcnt vmcnt(34) lgkmcnt(1)
	v_mul_f64 v[136:137], v[128:129], v[62:63]
	v_add_f64 v[6:7], v[6:7], v[8:9]
	v_mul_f64 v[8:9], v[106:107], v[38:39]
	s_waitcnt vmcnt(32)
	v_fmac_f64_e32 v[136:137], v[130:131], v[64:65]
	v_fma_f64 v[8:9], v[104:105], v[40:41], -v[8:9]
	v_add_f64 v[0:1], v[0:1], v[136:137]
	ds_read_b128 v[136:139], v98 offset:1856
	v_add_f64 v[6:7], v[6:7], v[8:9]
	v_mul_f64 v[8:9], v[110:111], v[34:35]
	v_fma_f64 v[8:9], v[108:109], v[36:37], -v[8:9]
	v_add_f64 v[6:7], v[6:7], v[8:9]
	v_mul_f64 v[8:9], v[114:115], v[46:47]
	s_waitcnt lgkmcnt(1)
	v_mul_f64 v[140:141], v[132:133], v[58:59]
	v_fma_f64 v[8:9], v[112:113], v[48:49], -v[8:9]
	v_fmac_f64_e32 v[140:141], v[134:135], v[60:61]
	v_add_f64 v[6:7], v[6:7], v[8:9]
	v_mul_f64 v[8:9], v[118:119], v[42:43]
	v_add_f64 v[0:1], v[0:1], v[140:141]
	ds_read_b128 v[140:143], v98 offset:1872
	s_waitcnt vmcnt(26) lgkmcnt(1)
	v_mul_f64 v[144:145], v[136:137], v[70:71]
	v_fma_f64 v[8:9], v[116:117], v[44:45], -v[8:9]
	s_waitcnt vmcnt(24)
	v_fmac_f64_e32 v[144:145], v[138:139], v[72:73]
	v_add_f64 v[6:7], v[6:7], v[8:9]
	v_mul_f64 v[8:9], v[122:123], v[54:55]
	v_add_f64 v[0:1], v[0:1], v[144:145]
	ds_read_b128 v[144:147], v98 offset:1888
	v_fma_f64 v[8:9], v[120:121], v[56:57], -v[8:9]
	v_add_f64 v[6:7], v[6:7], v[8:9]
	v_mul_f64 v[8:9], v[126:127], v[50:51]
	v_fma_f64 v[8:9], v[124:125], v[52:53], -v[8:9]
	s_waitcnt lgkmcnt(1)
	v_mul_f64 v[148:149], v[140:141], v[66:67]
	v_add_f64 v[6:7], v[6:7], v[8:9]
	v_mul_f64 v[8:9], v[130:131], v[62:63]
	v_fmac_f64_e32 v[148:149], v[142:143], v[68:69]
	v_fma_f64 v[8:9], v[128:129], v[64:65], -v[8:9]
	v_add_f64 v[0:1], v[0:1], v[148:149]
	ds_read_b128 v[148:151], v98 offset:1904
	s_waitcnt vmcnt(18) lgkmcnt(1)
	v_mul_f64 v[152:153], v[144:145], v[172:173]
	v_add_f64 v[6:7], v[6:7], v[8:9]
	v_mul_f64 v[8:9], v[134:135], v[58:59]
	s_waitcnt vmcnt(16)
	v_fmac_f64_e32 v[152:153], v[146:147], v[174:175]
	v_fma_f64 v[8:9], v[132:133], v[60:61], -v[8:9]
	v_add_f64 v[0:1], v[0:1], v[152:153]
	ds_read_b128 v[152:155], v98 offset:1920
	v_add_f64 v[6:7], v[6:7], v[8:9]
	v_mul_f64 v[8:9], v[138:139], v[70:71]
	v_fma_f64 v[8:9], v[136:137], v[72:73], -v[8:9]
	v_add_f64 v[6:7], v[6:7], v[8:9]
	v_mul_f64 v[8:9], v[142:143], v[66:67]
	s_waitcnt lgkmcnt(1)
	v_mul_f64 v[156:157], v[148:149], v[168:169]
	v_fma_f64 v[8:9], v[140:141], v[68:69], -v[8:9]
	v_fmac_f64_e32 v[156:157], v[150:151], v[170:171]
	v_add_f64 v[6:7], v[6:7], v[8:9]
	v_mul_f64 v[8:9], v[146:147], v[172:173]
	v_add_f64 v[0:1], v[0:1], v[156:157]
	ds_read_b128 v[156:159], v98 offset:1936
	s_waitcnt vmcnt(10) lgkmcnt(1)
	v_mul_f64 v[160:161], v[152:153], v[180:181]
	v_fma_f64 v[8:9], v[144:145], v[174:175], -v[8:9]
	s_waitcnt vmcnt(8)
	v_fmac_f64_e32 v[160:161], v[154:155], v[182:183]
	v_add_f64 v[6:7], v[6:7], v[8:9]
	v_mul_f64 v[8:9], v[150:151], v[168:169]
	v_add_f64 v[0:1], v[0:1], v[160:161]
	ds_read_b128 v[160:163], v98 offset:1952
	v_fma_f64 v[8:9], v[148:149], v[170:171], -v[8:9]
	v_add_f64 v[6:7], v[6:7], v[8:9]
	v_mul_f64 v[8:9], v[154:155], v[180:181]
	v_fma_f64 v[8:9], v[152:153], v[182:183], -v[8:9]
	s_waitcnt lgkmcnt(1)
	v_mul_f64 v[192:193], v[156:157], v[176:177]
	v_add_f64 v[6:7], v[6:7], v[8:9]
	v_mul_f64 v[8:9], v[158:159], v[176:177]
	v_fmac_f64_e32 v[192:193], v[158:159], v[178:179]
	v_fma_f64 v[8:9], v[156:157], v[178:179], -v[8:9]
	v_add_f64 v[0:1], v[0:1], v[192:193]
	s_waitcnt vmcnt(2) lgkmcnt(0)
	v_mul_f64 v[192:193], v[160:161], v[188:189]
	v_add_f64 v[6:7], v[6:7], v[8:9]
	v_mul_f64 v[8:9], v[162:163], v[188:189]
	s_waitcnt vmcnt(0)
	v_fmac_f64_e32 v[192:193], v[162:163], v[190:191]
	v_fma_f64 v[8:9], v[160:161], v[190:191], -v[8:9]
	v_add_f64 v[0:1], v[0:1], v[192:193]
	v_mul_f64 v[192:193], v[164:165], v[184:185]
	v_add_f64 v[6:7], v[6:7], v[8:9]
	v_mul_f64 v[8:9], v[166:167], v[184:185]
	v_fmac_f64_e32 v[192:193], v[166:167], v[186:187]
	v_fma_f64 v[8:9], v[164:165], v[186:187], -v[8:9]
	v_add_f64 v[0:1], v[0:1], v[192:193]
	v_add_f64 v[6:7], v[6:7], v[8:9]
	v_add_f64 v[4:5], v[4:5], -v[6:7]
	v_add_f64 v[0:1], v[2:3], -v[0:1]
	buffer_store_dword v5, off, s[0:3], 0 offset:628
	buffer_store_dword v4, off, s[0:3], 0 offset:624
	;; [unrolled: 1-line block ×4, first 2 shown]
	v_accvgpr_read_b32 v0, a185
	v_cmp_lt_u32_e32 vcc, 37, v0
	s_and_saveexec_b64 s[4:5], vcc
	s_cbranch_execz .LBB125_323
; %bb.322:
	v_accvgpr_read_b32 v0, a148
	buffer_load_dword v2, v0, s[0:3], 0 offen
	buffer_load_dword v3, v0, s[0:3], 0 offen offset:4
	buffer_load_dword v4, v0, s[0:3], 0 offen offset:8
	;; [unrolled: 1-line block ×3, first 2 shown]
	v_accvgpr_read_b32 v0, a186
	buffer_store_dword v98, off, s[0:3], 0 offset:608
	buffer_store_dword v98, off, s[0:3], 0 offset:612
	;; [unrolled: 1-line block ×4, first 2 shown]
	s_waitcnt vmcnt(4)
	ds_write_b128 v0, v[2:5]
.LBB125_323:
	s_or_b64 exec, exec, s[4:5]
	s_waitcnt lgkmcnt(0)
	; wave barrier
	s_waitcnt lgkmcnt(0)
	buffer_load_dword v22, off, s[0:3], 0 offset:624
	buffer_load_dword v23, off, s[0:3], 0 offset:628
	;; [unrolled: 1-line block ×16, first 2 shown]
	ds_read_b128 v[2:5], v98 offset:1600
	ds_read_b128 v[6:9], v98 offset:1616
	;; [unrolled: 1-line block ×4, first 2 shown]
	buffer_load_dword v35, off, s[0:3], 0 offset:700
	buffer_load_dword v34, off, s[0:3], 0 offset:696
	;; [unrolled: 1-line block ×48, first 2 shown]
	s_waitcnt vmcnt(42) lgkmcnt(0)
	v_mul_f64 v[104:105], v[14:15], v[38:39]
	s_waitcnt vmcnt(40)
	v_fmac_f64_e32 v[104:105], v[16:17], v[40:41]
	v_mul_f64 v[0:1], v[2:3], v[24:25]
	v_fmac_f64_e32 v[0:1], v[4:5], v[22:23]
	v_add_f64 v[0:1], v[0:1], 0
	v_mul_f64 v[4:5], v[4:5], v[24:25]
	v_mul_f64 v[82:83], v[6:7], v[32:33]
	v_fma_f64 v[2:3], v[2:3], v[22:23], -v[4:5]
	v_mul_f64 v[100:101], v[10:11], v[26:27]
	v_fmac_f64_e32 v[100:101], v[12:13], v[30:31]
	v_fmac_f64_e32 v[82:83], v[8:9], v[28:29]
	v_add_f64 v[0:1], v[0:1], v[82:83]
	buffer_load_dword v83, off, s[0:3], 0 offset:892
	buffer_load_dword v82, off, s[0:3], 0 offset:888
	;; [unrolled: 1-line block ×32, first 2 shown]
	v_add_f64 v[0:1], v[0:1], v[100:101]
	ds_read_b128 v[100:103], v98 offset:1664
	buffer_load_dword v197, off, s[0:3], 0 offset:1004
	buffer_load_dword v196, off, s[0:3], 0 offset:1000
	buffer_load_dword v199, off, s[0:3], 0 offset:996
	buffer_load_dword v198, off, s[0:3], 0 offset:992
	v_add_f64 v[0:1], v[0:1], v[104:105]
	ds_read_b128 v[104:107], v98 offset:1680
	v_mul_f64 v[4:5], v[8:9], v[32:33]
	s_waitcnt lgkmcnt(1)
	v_mul_f64 v[108:109], v[100:101], v[34:35]
	v_fmac_f64_e32 v[108:109], v[102:103], v[36:37]
	v_add_f64 v[0:1], v[0:1], v[108:109]
	ds_read_b128 v[108:111], v98 offset:1696
	s_waitcnt vmcnt(62) lgkmcnt(1)
	v_mul_f64 v[112:113], v[104:105], v[46:47]
	v_fmac_f64_e32 v[112:113], v[106:107], v[48:49]
	v_add_f64 v[0:1], v[0:1], v[112:113]
	ds_read_b128 v[112:115], v98 offset:1712
	s_waitcnt lgkmcnt(1)
	v_mul_f64 v[116:117], v[108:109], v[42:43]
	v_fmac_f64_e32 v[116:117], v[110:111], v[44:45]
	v_add_f64 v[0:1], v[0:1], v[116:117]
	ds_read_b128 v[116:119], v98 offset:1728
	s_waitcnt lgkmcnt(1)
	v_mul_f64 v[120:121], v[112:113], v[54:55]
	s_waitcnt vmcnt(60)
	v_fmac_f64_e32 v[120:121], v[114:115], v[56:57]
	v_add_f64 v[0:1], v[0:1], v[120:121]
	ds_read_b128 v[120:123], v98 offset:1744
	s_waitcnt lgkmcnt(1)
	v_mul_f64 v[124:125], v[116:117], v[50:51]
	v_fmac_f64_e32 v[124:125], v[118:119], v[52:53]
	v_add_f64 v[0:1], v[0:1], v[124:125]
	ds_read_b128 v[124:127], v98 offset:1760
	s_waitcnt vmcnt(54) lgkmcnt(1)
	v_mul_f64 v[128:129], v[120:121], v[62:63]
	s_waitcnt vmcnt(52)
	v_fmac_f64_e32 v[128:129], v[122:123], v[64:65]
	v_add_f64 v[0:1], v[0:1], v[128:129]
	ds_read_b128 v[128:131], v98 offset:1776
	s_waitcnt lgkmcnt(1)
	v_mul_f64 v[132:133], v[124:125], v[58:59]
	v_fmac_f64_e32 v[132:133], v[126:127], v[60:61]
	v_add_f64 v[2:3], v[2:3], 0
	v_fma_f64 v[4:5], v[6:7], v[28:29], -v[4:5]
	v_add_f64 v[0:1], v[0:1], v[132:133]
	ds_read_b128 v[132:135], v98 offset:1792
	v_add_f64 v[2:3], v[2:3], v[4:5]
	v_mul_f64 v[4:5], v[12:13], v[26:27]
	v_fma_f64 v[4:5], v[10:11], v[30:31], -v[4:5]
	v_add_f64 v[2:3], v[2:3], v[4:5]
	v_mul_f64 v[4:5], v[16:17], v[38:39]
	s_waitcnt vmcnt(46) lgkmcnt(1)
	v_mul_f64 v[136:137], v[128:129], v[70:71]
	v_fma_f64 v[4:5], v[14:15], v[40:41], -v[4:5]
	s_waitcnt vmcnt(44)
	v_fmac_f64_e32 v[136:137], v[130:131], v[72:73]
	v_add_f64 v[2:3], v[2:3], v[4:5]
	v_mul_f64 v[4:5], v[102:103], v[34:35]
	v_add_f64 v[0:1], v[0:1], v[136:137]
	ds_read_b128 v[136:139], v98 offset:1808
	s_waitcnt lgkmcnt(1)
	v_mul_f64 v[140:141], v[132:133], v[66:67]
	v_fma_f64 v[4:5], v[100:101], v[36:37], -v[4:5]
	v_fmac_f64_e32 v[140:141], v[134:135], v[68:69]
	v_add_f64 v[2:3], v[2:3], v[4:5]
	v_mul_f64 v[4:5], v[106:107], v[46:47]
	v_add_f64 v[0:1], v[0:1], v[140:141]
	ds_read_b128 v[140:143], v98 offset:1824
	v_fma_f64 v[4:5], v[104:105], v[48:49], -v[4:5]
	v_add_f64 v[2:3], v[2:3], v[4:5]
	v_mul_f64 v[4:5], v[110:111], v[42:43]
	v_fma_f64 v[4:5], v[108:109], v[44:45], -v[4:5]
	s_waitcnt vmcnt(38) lgkmcnt(1)
	v_mul_f64 v[144:145], v[136:137], v[78:79]
	v_add_f64 v[2:3], v[2:3], v[4:5]
	v_mul_f64 v[4:5], v[114:115], v[54:55]
	s_waitcnt vmcnt(36)
	v_fmac_f64_e32 v[144:145], v[138:139], v[80:81]
	v_fma_f64 v[4:5], v[112:113], v[56:57], -v[4:5]
	v_add_f64 v[0:1], v[0:1], v[144:145]
	ds_read_b128 v[144:147], v98 offset:1840
	s_waitcnt lgkmcnt(1)
	v_mul_f64 v[148:149], v[140:141], v[74:75]
	v_add_f64 v[2:3], v[2:3], v[4:5]
	v_mul_f64 v[4:5], v[118:119], v[50:51]
	v_fmac_f64_e32 v[148:149], v[142:143], v[76:77]
	v_fma_f64 v[4:5], v[116:117], v[52:53], -v[4:5]
	v_add_f64 v[0:1], v[0:1], v[148:149]
	ds_read_b128 v[148:151], v98 offset:1856
	v_add_f64 v[2:3], v[2:3], v[4:5]
	v_mul_f64 v[4:5], v[122:123], v[62:63]
	v_fma_f64 v[4:5], v[120:121], v[64:65], -v[4:5]
	v_add_f64 v[2:3], v[2:3], v[4:5]
	v_mul_f64 v[4:5], v[126:127], v[58:59]
	s_waitcnt vmcnt(30) lgkmcnt(1)
	v_mul_f64 v[152:153], v[144:145], v[86:87]
	v_fma_f64 v[4:5], v[124:125], v[60:61], -v[4:5]
	s_waitcnt vmcnt(28)
	v_fmac_f64_e32 v[152:153], v[146:147], v[88:89]
	v_add_f64 v[2:3], v[2:3], v[4:5]
	v_mul_f64 v[4:5], v[130:131], v[70:71]
	v_add_f64 v[0:1], v[0:1], v[152:153]
	ds_read_b128 v[152:155], v98 offset:1872
	s_waitcnt lgkmcnt(1)
	v_mul_f64 v[156:157], v[148:149], v[82:83]
	v_fma_f64 v[4:5], v[128:129], v[72:73], -v[4:5]
	v_fmac_f64_e32 v[156:157], v[150:151], v[84:85]
	v_add_f64 v[2:3], v[2:3], v[4:5]
	v_mul_f64 v[4:5], v[134:135], v[66:67]
	v_add_f64 v[0:1], v[0:1], v[156:157]
	ds_read_b128 v[156:159], v98 offset:1888
	v_fma_f64 v[4:5], v[132:133], v[68:69], -v[4:5]
	v_add_f64 v[2:3], v[2:3], v[4:5]
	v_mul_f64 v[4:5], v[138:139], v[78:79]
	v_fma_f64 v[4:5], v[136:137], v[80:81], -v[4:5]
	s_waitcnt vmcnt(22) lgkmcnt(1)
	v_mul_f64 v[160:161], v[152:153], v[94:95]
	v_add_f64 v[2:3], v[2:3], v[4:5]
	v_mul_f64 v[4:5], v[142:143], v[74:75]
	s_waitcnt vmcnt(20)
	v_fmac_f64_e32 v[160:161], v[154:155], v[96:97]
	v_fma_f64 v[4:5], v[140:141], v[76:77], -v[4:5]
	v_add_f64 v[0:1], v[0:1], v[160:161]
	ds_read_b128 v[160:163], v98 offset:1904
	s_waitcnt lgkmcnt(1)
	v_mul_f64 v[164:165], v[156:157], v[90:91]
	v_add_f64 v[2:3], v[2:3], v[4:5]
	v_mul_f64 v[4:5], v[146:147], v[86:87]
	v_fmac_f64_e32 v[164:165], v[158:159], v[92:93]
	v_fma_f64 v[4:5], v[144:145], v[88:89], -v[4:5]
	v_add_f64 v[0:1], v[0:1], v[164:165]
	ds_read_b128 v[164:167], v98 offset:1920
	v_add_f64 v[2:3], v[2:3], v[4:5]
	v_mul_f64 v[4:5], v[150:151], v[82:83]
	v_fma_f64 v[4:5], v[148:149], v[84:85], -v[4:5]
	v_add_f64 v[2:3], v[2:3], v[4:5]
	v_mul_f64 v[4:5], v[154:155], v[94:95]
	s_waitcnt vmcnt(14) lgkmcnt(1)
	v_mul_f64 v[168:169], v[160:161], v[184:185]
	v_fma_f64 v[4:5], v[152:153], v[96:97], -v[4:5]
	s_waitcnt vmcnt(12)
	v_fmac_f64_e32 v[168:169], v[162:163], v[186:187]
	v_add_f64 v[2:3], v[2:3], v[4:5]
	v_mul_f64 v[4:5], v[158:159], v[90:91]
	v_add_f64 v[0:1], v[0:1], v[168:169]
	ds_read_b128 v[168:171], v98 offset:1936
	s_waitcnt lgkmcnt(1)
	v_mul_f64 v[172:173], v[164:165], v[180:181]
	v_fma_f64 v[4:5], v[156:157], v[92:93], -v[4:5]
	v_fmac_f64_e32 v[172:173], v[166:167], v[182:183]
	v_add_f64 v[2:3], v[2:3], v[4:5]
	v_mul_f64 v[4:5], v[162:163], v[184:185]
	v_add_f64 v[0:1], v[0:1], v[172:173]
	ds_read_b128 v[172:175], v98 offset:1952
	v_fma_f64 v[4:5], v[160:161], v[186:187], -v[4:5]
	v_add_f64 v[2:3], v[2:3], v[4:5]
	v_mul_f64 v[4:5], v[166:167], v[180:181]
	ds_read_b128 v[176:179], v98 offset:1968
	v_fma_f64 v[4:5], v[164:165], v[182:183], -v[4:5]
	v_add_f64 v[2:3], v[2:3], v[4:5]
	s_waitcnt vmcnt(6) lgkmcnt(2)
	v_mul_f64 v[4:5], v[170:171], v[192:193]
	v_mul_f64 v[200:201], v[168:169], v[192:193]
	s_waitcnt vmcnt(4)
	v_fma_f64 v[4:5], v[168:169], v[194:195], -v[4:5]
	v_fmac_f64_e32 v[200:201], v[170:171], v[194:195]
	s_waitcnt lgkmcnt(1)
	v_mul_f64 v[98:99], v[172:173], v[188:189]
	v_add_f64 v[2:3], v[2:3], v[4:5]
	v_mul_f64 v[4:5], v[174:175], v[188:189]
	v_add_f64 v[0:1], v[0:1], v[200:201]
	v_fmac_f64_e32 v[98:99], v[174:175], v[190:191]
	v_fma_f64 v[4:5], v[172:173], v[190:191], -v[4:5]
	v_add_f64 v[0:1], v[0:1], v[98:99]
	s_waitcnt vmcnt(2) lgkmcnt(0)
	v_mul_f64 v[98:99], v[176:177], v[196:197]
	v_add_f64 v[2:3], v[2:3], v[4:5]
	v_mul_f64 v[4:5], v[178:179], v[196:197]
	s_waitcnt vmcnt(0)
	v_fmac_f64_e32 v[98:99], v[178:179], v[198:199]
	v_fma_f64 v[4:5], v[176:177], v[198:199], -v[4:5]
	v_add_f64 v[0:1], v[0:1], v[98:99]
	v_add_f64 v[2:3], v[2:3], v[4:5]
	v_add_f64 v[2:3], v[20:21], -v[2:3]
	v_add_f64 v[0:1], v[18:19], -v[0:1]
	buffer_store_dword v3, off, s[0:3], 0 offset:612
	buffer_store_dword v2, off, s[0:3], 0 offset:608
	;; [unrolled: 1-line block ×4, first 2 shown]
	v_accvgpr_read_b32 v0, a185
	v_cmp_lt_u32_e32 vcc, 36, v0
	s_and_saveexec_b64 s[4:5], vcc
	s_cbranch_execz .LBB125_325
; %bb.324:
	v_accvgpr_read_b32 v0, a149
	buffer_load_dword v2, v0, s[0:3], 0 offen
	buffer_load_dword v3, v0, s[0:3], 0 offen offset:4
	buffer_load_dword v4, v0, s[0:3], 0 offen offset:8
	;; [unrolled: 1-line block ×3, first 2 shown]
	v_mov_b32_e32 v0, 0
	v_accvgpr_read_b32 v1, a186
	buffer_store_dword v0, off, s[0:3], 0 offset:592
	buffer_store_dword v0, off, s[0:3], 0 offset:596
	;; [unrolled: 1-line block ×4, first 2 shown]
	s_waitcnt vmcnt(4)
	ds_write_b128 v1, v[2:5]
.LBB125_325:
	s_or_b64 exec, exec, s[4:5]
	s_waitcnt lgkmcnt(0)
	; wave barrier
	s_waitcnt lgkmcnt(0)
	buffer_load_dword v22, off, s[0:3], 0 offset:608
	buffer_load_dword v23, off, s[0:3], 0 offset:612
	;; [unrolled: 1-line block ×64, first 2 shown]
	v_mov_b32_e32 v114, 0
	ds_read_b128 v[18:21], v114 offset:1584
	ds_read_b128 v[14:17], v114 offset:1600
	ds_read_b128 v[10:13], v114 offset:1616
	ds_read_b128 v[6:9], v114 offset:1632
	ds_read_b128 v[2:5], v114 offset:1648
	s_waitcnt vmcnt(60) lgkmcnt(4)
	v_mul_f64 v[0:1], v[18:19], v[26:27]
	v_fmac_f64_e32 v[0:1], v[20:21], v[22:23]
	v_add_f64 v[0:1], v[0:1], 0
	v_mul_f64 v[20:21], v[20:21], v[26:27]
	s_waitcnt vmcnt(56) lgkmcnt(3)
	v_mul_f64 v[86:87], v[14:15], v[28:29]
	v_fmac_f64_e32 v[86:87], v[16:17], v[24:25]
	s_waitcnt vmcnt(54) lgkmcnt(2)
	v_mul_f64 v[88:89], v[10:11], v[30:31]
	v_add_f64 v[0:1], v[0:1], v[86:87]
	v_fma_f64 v[18:19], v[18:19], v[22:23], -v[20:21]
	v_mul_f64 v[16:17], v[16:17], v[28:29]
	s_waitcnt vmcnt(50) lgkmcnt(1)
	v_mul_f64 v[102:103], v[6:7], v[40:41]
	v_add_f64 v[18:19], v[18:19], 0
	s_waitcnt vmcnt(48)
	v_fmac_f64_e32 v[88:89], v[12:13], v[44:45]
	v_add_f64 v[0:1], v[0:1], v[88:89]
	buffer_load_dword v87, off, s[0:3], 0 offset:876
	buffer_load_dword v86, off, s[0:3], 0 offset:872
	;; [unrolled: 1-line block ×40, first 2 shown]
	s_waitcnt vmcnt(62)
	v_fmac_f64_e32 v[102:103], v[8:9], v[42:43]
	v_add_f64 v[0:1], v[0:1], v[102:103]
	ds_read_b128 v[102:105], v114 offset:1664
	s_waitcnt lgkmcnt(1)
	v_mul_f64 v[106:107], v[2:3], v[36:37]
	v_fmac_f64_e32 v[106:107], v[4:5], v[38:39]
	v_add_f64 v[0:1], v[0:1], v[106:107]
	ds_read_b128 v[106:109], v114 offset:1680
	s_waitcnt lgkmcnt(1)
	v_mul_f64 v[110:111], v[102:103], v[50:51]
	;; [unrolled: 5-line block ×5, first 2 shown]
	v_fmac_f64_e32 v[124:125], v[118:119], v[56:57]
	v_add_f64 v[0:1], v[0:1], v[124:125]
	ds_read_b128 v[124:127], v114 offset:1744
	s_waitcnt vmcnt(58) lgkmcnt(1)
	v_mul_f64 v[128:129], v[120:121], v[66:67]
	s_waitcnt vmcnt(56)
	v_fmac_f64_e32 v[128:129], v[122:123], v[68:69]
	v_add_f64 v[0:1], v[0:1], v[128:129]
	ds_read_b128 v[128:131], v114 offset:1760
	s_waitcnt lgkmcnt(1)
	v_mul_f64 v[132:133], v[124:125], v[62:63]
	v_fmac_f64_e32 v[132:133], v[126:127], v[64:65]
	v_add_f64 v[0:1], v[0:1], v[132:133]
	ds_read_b128 v[132:135], v114 offset:1776
	s_waitcnt vmcnt(50) lgkmcnt(1)
	v_mul_f64 v[136:137], v[128:129], v[74:75]
	s_waitcnt vmcnt(48)
	v_fmac_f64_e32 v[136:137], v[130:131], v[76:77]
	v_add_f64 v[0:1], v[0:1], v[136:137]
	ds_read_b128 v[136:139], v114 offset:1792
	v_fma_f64 v[14:15], v[14:15], v[24:25], -v[16:17]
	v_mul_f64 v[12:13], v[12:13], v[30:31]
	v_add_f64 v[14:15], v[18:19], v[14:15]
	v_fma_f64 v[10:11], v[10:11], v[44:45], -v[12:13]
	v_mul_f64 v[8:9], v[8:9], v[40:41]
	s_waitcnt lgkmcnt(1)
	v_mul_f64 v[140:141], v[132:133], v[70:71]
	v_add_f64 v[10:11], v[14:15], v[10:11]
	v_fma_f64 v[6:7], v[6:7], v[42:43], -v[8:9]
	v_mul_f64 v[4:5], v[4:5], v[36:37]
	v_fmac_f64_e32 v[140:141], v[134:135], v[72:73]
	v_add_f64 v[6:7], v[10:11], v[6:7]
	v_fma_f64 v[2:3], v[2:3], v[38:39], -v[4:5]
	v_mul_f64 v[4:5], v[104:105], v[50:51]
	v_add_f64 v[0:1], v[0:1], v[140:141]
	ds_read_b128 v[140:143], v114 offset:1808
	s_waitcnt vmcnt(42) lgkmcnt(1)
	v_mul_f64 v[144:145], v[136:137], v[82:83]
	v_add_f64 v[2:3], v[6:7], v[2:3]
	v_fma_f64 v[4:5], v[102:103], v[52:53], -v[4:5]
	s_waitcnt vmcnt(40)
	v_fmac_f64_e32 v[144:145], v[138:139], v[84:85]
	v_add_f64 v[2:3], v[2:3], v[4:5]
	v_mul_f64 v[4:5], v[108:109], v[46:47]
	v_add_f64 v[0:1], v[0:1], v[144:145]
	ds_read_b128 v[144:147], v114 offset:1824
	v_fma_f64 v[4:5], v[106:107], v[48:49], -v[4:5]
	v_add_f64 v[2:3], v[2:3], v[4:5]
	v_mul_f64 v[4:5], v[112:113], v[58:59]
	v_fma_f64 v[4:5], v[110:111], v[60:61], -v[4:5]
	s_waitcnt lgkmcnt(1)
	v_mul_f64 v[148:149], v[140:141], v[78:79]
	v_add_f64 v[2:3], v[2:3], v[4:5]
	v_mul_f64 v[4:5], v[118:119], v[54:55]
	v_fmac_f64_e32 v[148:149], v[142:143], v[80:81]
	v_fma_f64 v[4:5], v[116:117], v[56:57], -v[4:5]
	v_add_f64 v[0:1], v[0:1], v[148:149]
	ds_read_b128 v[148:151], v114 offset:1840
	s_waitcnt vmcnt(34) lgkmcnt(1)
	v_mul_f64 v[152:153], v[144:145], v[90:91]
	v_add_f64 v[2:3], v[2:3], v[4:5]
	v_mul_f64 v[4:5], v[122:123], v[66:67]
	s_waitcnt vmcnt(32)
	v_fmac_f64_e32 v[152:153], v[146:147], v[92:93]
	v_fma_f64 v[4:5], v[120:121], v[68:69], -v[4:5]
	v_add_f64 v[0:1], v[0:1], v[152:153]
	ds_read_b128 v[152:155], v114 offset:1856
	v_add_f64 v[2:3], v[2:3], v[4:5]
	v_mul_f64 v[4:5], v[126:127], v[62:63]
	v_fma_f64 v[4:5], v[124:125], v[64:65], -v[4:5]
	v_add_f64 v[2:3], v[2:3], v[4:5]
	v_mul_f64 v[4:5], v[130:131], v[74:75]
	s_waitcnt lgkmcnt(1)
	v_mul_f64 v[156:157], v[148:149], v[86:87]
	v_fma_f64 v[4:5], v[128:129], v[76:77], -v[4:5]
	v_fmac_f64_e32 v[156:157], v[150:151], v[88:89]
	v_add_f64 v[2:3], v[2:3], v[4:5]
	v_mul_f64 v[4:5], v[134:135], v[70:71]
	v_add_f64 v[0:1], v[0:1], v[156:157]
	ds_read_b128 v[156:159], v114 offset:1872
	s_waitcnt vmcnt(26) lgkmcnt(1)
	v_mul_f64 v[160:161], v[152:153], v[98:99]
	v_fma_f64 v[4:5], v[132:133], v[72:73], -v[4:5]
	s_waitcnt vmcnt(24)
	v_fmac_f64_e32 v[160:161], v[154:155], v[100:101]
	v_add_f64 v[2:3], v[2:3], v[4:5]
	v_mul_f64 v[4:5], v[138:139], v[82:83]
	v_add_f64 v[0:1], v[0:1], v[160:161]
	ds_read_b128 v[160:163], v114 offset:1888
	v_fma_f64 v[4:5], v[136:137], v[84:85], -v[4:5]
	v_add_f64 v[2:3], v[2:3], v[4:5]
	v_mul_f64 v[4:5], v[142:143], v[78:79]
	v_fma_f64 v[4:5], v[140:141], v[80:81], -v[4:5]
	s_waitcnt lgkmcnt(1)
	v_mul_f64 v[164:165], v[156:157], v[94:95]
	v_add_f64 v[2:3], v[2:3], v[4:5]
	v_mul_f64 v[4:5], v[146:147], v[90:91]
	v_fmac_f64_e32 v[164:165], v[158:159], v[96:97]
	v_fma_f64 v[4:5], v[144:145], v[92:93], -v[4:5]
	v_add_f64 v[0:1], v[0:1], v[164:165]
	ds_read_b128 v[164:167], v114 offset:1904
	s_waitcnt vmcnt(18) lgkmcnt(1)
	v_mul_f64 v[168:169], v[160:161], v[188:189]
	v_add_f64 v[2:3], v[2:3], v[4:5]
	v_mul_f64 v[4:5], v[150:151], v[86:87]
	s_waitcnt vmcnt(16)
	v_fmac_f64_e32 v[168:169], v[162:163], v[190:191]
	v_fma_f64 v[4:5], v[148:149], v[88:89], -v[4:5]
	v_add_f64 v[0:1], v[0:1], v[168:169]
	ds_read_b128 v[168:171], v114 offset:1920
	v_add_f64 v[2:3], v[2:3], v[4:5]
	v_mul_f64 v[4:5], v[154:155], v[98:99]
	v_fma_f64 v[4:5], v[152:153], v[100:101], -v[4:5]
	v_add_f64 v[2:3], v[2:3], v[4:5]
	v_mul_f64 v[4:5], v[158:159], v[94:95]
	s_waitcnt lgkmcnt(1)
	v_mul_f64 v[172:173], v[164:165], v[184:185]
	v_fma_f64 v[4:5], v[156:157], v[96:97], -v[4:5]
	v_fmac_f64_e32 v[172:173], v[166:167], v[186:187]
	v_add_f64 v[2:3], v[2:3], v[4:5]
	v_mul_f64 v[4:5], v[162:163], v[188:189]
	v_add_f64 v[0:1], v[0:1], v[172:173]
	ds_read_b128 v[172:175], v114 offset:1936
	s_waitcnt vmcnt(10) lgkmcnt(1)
	v_mul_f64 v[176:177], v[168:169], v[196:197]
	v_fma_f64 v[4:5], v[160:161], v[190:191], -v[4:5]
	s_waitcnt vmcnt(8)
	v_fmac_f64_e32 v[176:177], v[170:171], v[198:199]
	v_add_f64 v[2:3], v[2:3], v[4:5]
	v_mul_f64 v[4:5], v[166:167], v[184:185]
	v_add_f64 v[0:1], v[0:1], v[176:177]
	ds_read_b128 v[176:179], v114 offset:1952
	ds_read_b128 v[180:183], v114 offset:1968
	v_fma_f64 v[4:5], v[164:165], v[186:187], -v[4:5]
	v_add_f64 v[2:3], v[2:3], v[4:5]
	v_mul_f64 v[4:5], v[170:171], v[196:197]
	v_fma_f64 v[4:5], v[168:169], v[198:199], -v[4:5]
	s_waitcnt lgkmcnt(2)
	v_mul_f64 v[208:209], v[172:173], v[192:193]
	v_add_f64 v[2:3], v[2:3], v[4:5]
	v_mul_f64 v[4:5], v[174:175], v[192:193]
	v_fmac_f64_e32 v[208:209], v[174:175], v[194:195]
	v_fma_f64 v[4:5], v[172:173], v[194:195], -v[4:5]
	v_add_f64 v[0:1], v[0:1], v[208:209]
	s_waitcnt vmcnt(2) lgkmcnt(1)
	v_mul_f64 v[208:209], v[176:177], v[204:205]
	v_add_f64 v[2:3], v[2:3], v[4:5]
	v_mul_f64 v[4:5], v[178:179], v[204:205]
	s_waitcnt vmcnt(0)
	v_fmac_f64_e32 v[208:209], v[178:179], v[206:207]
	v_fma_f64 v[4:5], v[176:177], v[206:207], -v[4:5]
	v_add_f64 v[0:1], v[0:1], v[208:209]
	s_waitcnt lgkmcnt(0)
	v_mul_f64 v[208:209], v[180:181], v[200:201]
	v_add_f64 v[2:3], v[2:3], v[4:5]
	v_mul_f64 v[4:5], v[182:183], v[200:201]
	v_fmac_f64_e32 v[208:209], v[182:183], v[202:203]
	v_fma_f64 v[4:5], v[180:181], v[202:203], -v[4:5]
	v_add_f64 v[0:1], v[0:1], v[208:209]
	v_add_f64 v[2:3], v[2:3], v[4:5]
	v_add_f64 v[2:3], v[34:35], -v[2:3]
	v_add_f64 v[0:1], v[32:33], -v[0:1]
	buffer_store_dword v3, off, s[0:3], 0 offset:596
	buffer_store_dword v2, off, s[0:3], 0 offset:592
	;; [unrolled: 1-line block ×4, first 2 shown]
	v_accvgpr_read_b32 v0, a185
	v_cmp_lt_u32_e32 vcc, 35, v0
	s_and_saveexec_b64 s[4:5], vcc
	s_cbranch_execz .LBB125_327
; %bb.326:
	v_accvgpr_read_b32 v0, a150
	buffer_load_dword v2, v0, s[0:3], 0 offen
	buffer_load_dword v3, v0, s[0:3], 0 offen offset:4
	buffer_load_dword v4, v0, s[0:3], 0 offen offset:8
	;; [unrolled: 1-line block ×3, first 2 shown]
	v_accvgpr_read_b32 v0, a186
	buffer_store_dword v114, off, s[0:3], 0 offset:576
	buffer_store_dword v114, off, s[0:3], 0 offset:580
	;; [unrolled: 1-line block ×4, first 2 shown]
	s_waitcnt vmcnt(4)
	ds_write_b128 v0, v[2:5]
.LBB125_327:
	s_or_b64 exec, exec, s[4:5]
	s_waitcnt lgkmcnt(0)
	; wave barrier
	s_waitcnt lgkmcnt(0)
	buffer_load_dword v26, off, s[0:3], 0 offset:592
	buffer_load_dword v27, off, s[0:3], 0 offset:596
	;; [unrolled: 1-line block ×24, first 2 shown]
	ds_read_b128 v[22:25], v114 offset:1568
	ds_read_b128 v[18:21], v114 offset:1584
	;; [unrolled: 1-line block ×6, first 2 shown]
	buffer_load_dword v51, off, s[0:3], 0 offset:700
	buffer_load_dword v50, off, s[0:3], 0 offset:696
	;; [unrolled: 1-line block ×40, first 2 shown]
	s_waitcnt vmcnt(34) lgkmcnt(0)
	v_mul_f64 v[120:121], v[14:15], v[54:55]
	s_waitcnt vmcnt(32)
	v_fmac_f64_e32 v[120:121], v[16:17], v[56:57]
	v_mul_f64 v[0:1], v[22:23], v[28:29]
	v_fmac_f64_e32 v[0:1], v[24:25], v[26:27]
	v_mul_f64 v[90:91], v[18:19], v[30:31]
	v_add_f64 v[0:1], v[0:1], 0
	v_mul_f64 v[92:93], v[10:11], v[32:33]
	v_mul_f64 v[24:25], v[24:25], v[28:29]
	;; [unrolled: 1-line block ×3, first 2 shown]
	v_fma_f64 v[22:23], v[22:23], v[26:27], -v[24:25]
	v_add_f64 v[22:23], v[22:23], 0
	v_mul_f64 v[94:95], v[6:7], v[42:43]
	v_fmac_f64_e32 v[90:91], v[20:21], v[48:49]
	v_add_f64 v[0:1], v[0:1], v[90:91]
	v_fmac_f64_e32 v[92:93], v[12:13], v[46:47]
	v_add_f64 v[0:1], v[0:1], v[92:93]
	;; [unrolled: 2-line block ×3, first 2 shown]
	buffer_load_dword v91, off, s[0:3], 0 offset:860
	buffer_load_dword v90, off, s[0:3], 0 offset:856
	;; [unrolled: 1-line block ×40, first 2 shown]
	v_fmac_f64_e32 v[116:117], v[4:5], v[40:41]
	v_add_f64 v[0:1], v[0:1], v[116:117]
	ds_read_b128 v[116:119], v114 offset:1664
	buffer_load_dword v213, off, s[0:3], 0 offset:1004
	buffer_load_dword v212, off, s[0:3], 0 offset:1000
	;; [unrolled: 1-line block ×4, first 2 shown]
	v_add_f64 v[0:1], v[0:1], v[120:121]
	ds_read_b128 v[120:123], v114 offset:1680
	v_mul_f64 v[20:21], v[20:21], v[30:31]
	s_waitcnt lgkmcnt(1)
	v_mul_f64 v[124:125], v[116:117], v[50:51]
	v_fmac_f64_e32 v[124:125], v[118:119], v[52:53]
	v_add_f64 v[0:1], v[0:1], v[124:125]
	ds_read_b128 v[124:127], v114 offset:1696
	s_waitcnt vmcnt(62) lgkmcnt(1)
	v_mul_f64 v[128:129], v[120:121], v[62:63]
	v_fmac_f64_e32 v[128:129], v[122:123], v[64:65]
	v_add_f64 v[0:1], v[0:1], v[128:129]
	ds_read_b128 v[128:131], v114 offset:1712
	s_waitcnt lgkmcnt(1)
	v_mul_f64 v[132:133], v[124:125], v[58:59]
	v_fmac_f64_e32 v[132:133], v[126:127], v[60:61]
	v_add_f64 v[0:1], v[0:1], v[132:133]
	ds_read_b128 v[132:135], v114 offset:1728
	s_waitcnt lgkmcnt(1)
	v_mul_f64 v[136:137], v[128:129], v[70:71]
	s_waitcnt vmcnt(60)
	v_fmac_f64_e32 v[136:137], v[130:131], v[72:73]
	v_add_f64 v[0:1], v[0:1], v[136:137]
	ds_read_b128 v[136:139], v114 offset:1744
	s_waitcnt lgkmcnt(1)
	v_mul_f64 v[140:141], v[132:133], v[66:67]
	v_fmac_f64_e32 v[140:141], v[134:135], v[68:69]
	v_add_f64 v[0:1], v[0:1], v[140:141]
	ds_read_b128 v[140:143], v114 offset:1760
	s_waitcnt vmcnt(54) lgkmcnt(1)
	v_mul_f64 v[144:145], v[136:137], v[78:79]
	s_waitcnt vmcnt(52)
	v_fmac_f64_e32 v[144:145], v[138:139], v[80:81]
	v_add_f64 v[0:1], v[0:1], v[144:145]
	ds_read_b128 v[144:147], v114 offset:1776
	s_waitcnt lgkmcnt(1)
	v_mul_f64 v[148:149], v[140:141], v[74:75]
	v_fmac_f64_e32 v[148:149], v[142:143], v[76:77]
	v_fma_f64 v[18:19], v[18:19], v[48:49], -v[20:21]
	v_mul_f64 v[12:13], v[12:13], v[32:33]
	v_add_f64 v[0:1], v[0:1], v[148:149]
	ds_read_b128 v[148:151], v114 offset:1792
	v_add_f64 v[18:19], v[22:23], v[18:19]
	v_fma_f64 v[10:11], v[10:11], v[46:47], -v[12:13]
	v_mul_f64 v[8:9], v[8:9], v[42:43]
	v_add_f64 v[10:11], v[18:19], v[10:11]
	v_fma_f64 v[6:7], v[6:7], v[44:45], -v[8:9]
	v_mul_f64 v[4:5], v[4:5], v[38:39]
	;; [unrolled: 3-line block ×3, first 2 shown]
	s_waitcnt vmcnt(46) lgkmcnt(1)
	v_mul_f64 v[152:153], v[144:145], v[86:87]
	v_add_f64 v[2:3], v[6:7], v[2:3]
	v_fma_f64 v[4:5], v[14:15], v[56:57], -v[4:5]
	s_waitcnt vmcnt(44)
	v_fmac_f64_e32 v[152:153], v[146:147], v[88:89]
	v_add_f64 v[2:3], v[2:3], v[4:5]
	v_mul_f64 v[4:5], v[118:119], v[50:51]
	v_add_f64 v[0:1], v[0:1], v[152:153]
	ds_read_b128 v[152:155], v114 offset:1808
	s_waitcnt lgkmcnt(1)
	v_mul_f64 v[156:157], v[148:149], v[82:83]
	v_fma_f64 v[4:5], v[116:117], v[52:53], -v[4:5]
	v_fmac_f64_e32 v[156:157], v[150:151], v[84:85]
	v_add_f64 v[2:3], v[2:3], v[4:5]
	v_mul_f64 v[4:5], v[122:123], v[62:63]
	v_add_f64 v[0:1], v[0:1], v[156:157]
	ds_read_b128 v[156:159], v114 offset:1824
	v_fma_f64 v[4:5], v[120:121], v[64:65], -v[4:5]
	v_add_f64 v[2:3], v[2:3], v[4:5]
	v_mul_f64 v[4:5], v[126:127], v[58:59]
	v_fma_f64 v[4:5], v[124:125], v[60:61], -v[4:5]
	s_waitcnt vmcnt(38) lgkmcnt(1)
	v_mul_f64 v[160:161], v[152:153], v[94:95]
	v_add_f64 v[2:3], v[2:3], v[4:5]
	v_mul_f64 v[4:5], v[130:131], v[70:71]
	s_waitcnt vmcnt(36)
	v_fmac_f64_e32 v[160:161], v[154:155], v[96:97]
	v_fma_f64 v[4:5], v[128:129], v[72:73], -v[4:5]
	v_add_f64 v[0:1], v[0:1], v[160:161]
	ds_read_b128 v[160:163], v114 offset:1840
	s_waitcnt lgkmcnt(1)
	v_mul_f64 v[164:165], v[156:157], v[90:91]
	v_add_f64 v[2:3], v[2:3], v[4:5]
	v_mul_f64 v[4:5], v[134:135], v[66:67]
	v_fmac_f64_e32 v[164:165], v[158:159], v[92:93]
	v_fma_f64 v[4:5], v[132:133], v[68:69], -v[4:5]
	v_add_f64 v[0:1], v[0:1], v[164:165]
	ds_read_b128 v[164:167], v114 offset:1856
	v_add_f64 v[2:3], v[2:3], v[4:5]
	v_mul_f64 v[4:5], v[138:139], v[78:79]
	v_fma_f64 v[4:5], v[136:137], v[80:81], -v[4:5]
	v_add_f64 v[2:3], v[2:3], v[4:5]
	v_mul_f64 v[4:5], v[142:143], v[74:75]
	s_waitcnt vmcnt(30) lgkmcnt(1)
	v_mul_f64 v[168:169], v[160:161], v[102:103]
	v_fma_f64 v[4:5], v[140:141], v[76:77], -v[4:5]
	s_waitcnt vmcnt(28)
	v_fmac_f64_e32 v[168:169], v[162:163], v[104:105]
	v_add_f64 v[2:3], v[2:3], v[4:5]
	v_mul_f64 v[4:5], v[146:147], v[86:87]
	v_add_f64 v[0:1], v[0:1], v[168:169]
	ds_read_b128 v[168:171], v114 offset:1872
	s_waitcnt lgkmcnt(1)
	v_mul_f64 v[172:173], v[164:165], v[98:99]
	v_fma_f64 v[4:5], v[144:145], v[88:89], -v[4:5]
	v_fmac_f64_e32 v[172:173], v[166:167], v[100:101]
	v_add_f64 v[2:3], v[2:3], v[4:5]
	v_mul_f64 v[4:5], v[150:151], v[82:83]
	v_add_f64 v[0:1], v[0:1], v[172:173]
	ds_read_b128 v[172:175], v114 offset:1888
	v_fma_f64 v[4:5], v[148:149], v[84:85], -v[4:5]
	v_add_f64 v[2:3], v[2:3], v[4:5]
	v_mul_f64 v[4:5], v[154:155], v[94:95]
	v_fma_f64 v[4:5], v[152:153], v[96:97], -v[4:5]
	s_waitcnt vmcnt(22) lgkmcnt(1)
	v_mul_f64 v[176:177], v[168:169], v[110:111]
	v_add_f64 v[2:3], v[2:3], v[4:5]
	v_mul_f64 v[4:5], v[158:159], v[90:91]
	s_waitcnt vmcnt(20)
	v_fmac_f64_e32 v[176:177], v[170:171], v[112:113]
	v_fma_f64 v[4:5], v[156:157], v[92:93], -v[4:5]
	v_add_f64 v[0:1], v[0:1], v[176:177]
	ds_read_b128 v[176:179], v114 offset:1904
	s_waitcnt lgkmcnt(1)
	v_mul_f64 v[180:181], v[172:173], v[106:107]
	v_add_f64 v[2:3], v[2:3], v[4:5]
	v_mul_f64 v[4:5], v[162:163], v[102:103]
	v_fmac_f64_e32 v[180:181], v[174:175], v[108:109]
	v_fma_f64 v[4:5], v[160:161], v[104:105], -v[4:5]
	v_add_f64 v[0:1], v[0:1], v[180:181]
	ds_read_b128 v[180:183], v114 offset:1920
	v_add_f64 v[2:3], v[2:3], v[4:5]
	v_mul_f64 v[4:5], v[166:167], v[98:99]
	v_fma_f64 v[4:5], v[164:165], v[100:101], -v[4:5]
	v_add_f64 v[2:3], v[2:3], v[4:5]
	v_mul_f64 v[4:5], v[170:171], v[110:111]
	s_waitcnt vmcnt(14) lgkmcnt(1)
	v_mul_f64 v[184:185], v[176:177], v[200:201]
	v_fma_f64 v[4:5], v[168:169], v[112:113], -v[4:5]
	s_waitcnt vmcnt(12)
	v_fmac_f64_e32 v[184:185], v[178:179], v[202:203]
	v_add_f64 v[2:3], v[2:3], v[4:5]
	v_mul_f64 v[4:5], v[174:175], v[106:107]
	v_add_f64 v[0:1], v[0:1], v[184:185]
	ds_read_b128 v[184:187], v114 offset:1936
	s_waitcnt lgkmcnt(1)
	v_mul_f64 v[188:189], v[180:181], v[196:197]
	v_fma_f64 v[4:5], v[172:173], v[108:109], -v[4:5]
	v_fmac_f64_e32 v[188:189], v[182:183], v[198:199]
	v_add_f64 v[2:3], v[2:3], v[4:5]
	v_mul_f64 v[4:5], v[178:179], v[200:201]
	v_add_f64 v[0:1], v[0:1], v[188:189]
	ds_read_b128 v[188:191], v114 offset:1952
	v_fma_f64 v[4:5], v[176:177], v[202:203], -v[4:5]
	v_add_f64 v[2:3], v[2:3], v[4:5]
	v_mul_f64 v[4:5], v[182:183], v[196:197]
	ds_read_b128 v[192:195], v114 offset:1968
	v_fma_f64 v[4:5], v[180:181], v[198:199], -v[4:5]
	v_add_f64 v[2:3], v[2:3], v[4:5]
	s_waitcnt vmcnt(6) lgkmcnt(2)
	v_mul_f64 v[4:5], v[186:187], v[208:209]
	v_mul_f64 v[216:217], v[184:185], v[208:209]
	s_waitcnt vmcnt(4)
	v_fma_f64 v[4:5], v[184:185], v[210:211], -v[4:5]
	v_fmac_f64_e32 v[216:217], v[186:187], v[210:211]
	s_waitcnt lgkmcnt(1)
	v_mul_f64 v[114:115], v[188:189], v[204:205]
	v_add_f64 v[2:3], v[2:3], v[4:5]
	v_mul_f64 v[4:5], v[190:191], v[204:205]
	v_add_f64 v[0:1], v[0:1], v[216:217]
	v_fmac_f64_e32 v[114:115], v[190:191], v[206:207]
	v_fma_f64 v[4:5], v[188:189], v[206:207], -v[4:5]
	v_add_f64 v[0:1], v[0:1], v[114:115]
	s_waitcnt vmcnt(2) lgkmcnt(0)
	v_mul_f64 v[114:115], v[192:193], v[212:213]
	v_add_f64 v[2:3], v[2:3], v[4:5]
	v_mul_f64 v[4:5], v[194:195], v[212:213]
	s_waitcnt vmcnt(0)
	v_fmac_f64_e32 v[114:115], v[194:195], v[214:215]
	v_fma_f64 v[4:5], v[192:193], v[214:215], -v[4:5]
	v_add_f64 v[0:1], v[0:1], v[114:115]
	v_add_f64 v[2:3], v[2:3], v[4:5]
	v_add_f64 v[2:3], v[36:37], -v[2:3]
	v_add_f64 v[0:1], v[34:35], -v[0:1]
	buffer_store_dword v3, off, s[0:3], 0 offset:580
	buffer_store_dword v2, off, s[0:3], 0 offset:576
	;; [unrolled: 1-line block ×4, first 2 shown]
	v_accvgpr_read_b32 v0, a185
	v_cmp_lt_u32_e32 vcc, 34, v0
	s_and_saveexec_b64 s[4:5], vcc
	s_cbranch_execz .LBB125_329
; %bb.328:
	v_accvgpr_read_b32 v0, a151
	buffer_load_dword v2, v0, s[0:3], 0 offen
	buffer_load_dword v3, v0, s[0:3], 0 offen offset:4
	buffer_load_dword v4, v0, s[0:3], 0 offen offset:8
	;; [unrolled: 1-line block ×3, first 2 shown]
	v_mov_b32_e32 v0, 0
	v_accvgpr_read_b32 v1, a186
	buffer_store_dword v0, off, s[0:3], 0 offset:560
	buffer_store_dword v0, off, s[0:3], 0 offset:564
	;; [unrolled: 1-line block ×4, first 2 shown]
	s_waitcnt vmcnt(4)
	ds_write_b128 v1, v[2:5]
.LBB125_329:
	s_or_b64 exec, exec, s[4:5]
	s_waitcnt lgkmcnt(0)
	; wave barrier
	s_waitcnt lgkmcnt(0)
	buffer_load_dword v30, off, s[0:3], 0 offset:576
	buffer_load_dword v31, off, s[0:3], 0 offset:580
	buffer_load_dword v34, off, s[0:3], 0 offset:584
	buffer_load_dword v35, off, s[0:3], 0 offset:588
	buffer_load_dword v32, off, s[0:3], 0 offset:592
	buffer_load_dword v33, off, s[0:3], 0 offset:596
	buffer_load_dword v36, off, s[0:3], 0 offset:600
	buffer_load_dword v37, off, s[0:3], 0 offset:604
	buffer_load_dword v38, off, s[0:3], 0 offset:616
	buffer_load_dword v39, off, s[0:3], 0 offset:620
	buffer_load_dword v41, off, s[0:3], 0 offset:652
	buffer_load_dword v40, off, s[0:3], 0 offset:648
	buffer_load_dword v43, off, s[0:3], 0 offset:644
	buffer_load_dword v42, off, s[0:3], 0 offset:640
	buffer_load_dword v49, off, s[0:3], 0 offset:636
	buffer_load_dword v48, off, s[0:3], 0 offset:632
	buffer_load_dword v51, off, s[0:3], 0 offset:684
	buffer_load_dword v53, off, s[0:3], 0 offset:676
	buffer_load_dword v55, off, s[0:3], 0 offset:668
	buffer_load_dword v54, off, s[0:3], 0 offset:664
	buffer_load_dword v60, off, s[0:3], 0 offset:608
	buffer_load_dword v61, off, s[0:3], 0 offset:612
	buffer_load_dword v59, off, s[0:3], 0 offset:628
	buffer_load_dword v58, off, s[0:3], 0 offset:624
	buffer_load_dword v57, off, s[0:3], 0 offset:660
	buffer_load_dword v56, off, s[0:3], 0 offset:656
	buffer_load_dword v50, off, s[0:3], 0 offset:680
	buffer_load_dword v52, off, s[0:3], 0 offset:672
	buffer_load_dword v46, off, s[0:3], 0 offset:560
	buffer_load_dword v47, off, s[0:3], 0 offset:564
	buffer_load_dword v44, off, s[0:3], 0 offset:568
	buffer_load_dword v45, off, s[0:3], 0 offset:572
	buffer_load_dword v63, off, s[0:3], 0 offset:716
	buffer_load_dword v62, off, s[0:3], 0 offset:712
	buffer_load_dword v65, off, s[0:3], 0 offset:708
	buffer_load_dword v64, off, s[0:3], 0 offset:704
	buffer_load_dword v67, off, s[0:3], 0 offset:700
	buffer_load_dword v66, off, s[0:3], 0 offset:696
	buffer_load_dword v69, off, s[0:3], 0 offset:692
	buffer_load_dword v68, off, s[0:3], 0 offset:688
	buffer_load_dword v71, off, s[0:3], 0 offset:748
	buffer_load_dword v70, off, s[0:3], 0 offset:744
	buffer_load_dword v73, off, s[0:3], 0 offset:740
	buffer_load_dword v72, off, s[0:3], 0 offset:736
	buffer_load_dword v75, off, s[0:3], 0 offset:732
	buffer_load_dword v74, off, s[0:3], 0 offset:728
	buffer_load_dword v77, off, s[0:3], 0 offset:724
	buffer_load_dword v76, off, s[0:3], 0 offset:720
	buffer_load_dword v79, off, s[0:3], 0 offset:780
	buffer_load_dword v78, off, s[0:3], 0 offset:776
	buffer_load_dword v81, off, s[0:3], 0 offset:772
	buffer_load_dword v80, off, s[0:3], 0 offset:768
	buffer_load_dword v83, off, s[0:3], 0 offset:764
	buffer_load_dword v82, off, s[0:3], 0 offset:760
	buffer_load_dword v85, off, s[0:3], 0 offset:756
	buffer_load_dword v84, off, s[0:3], 0 offset:752
	v_mov_b32_e32 v134, 0
	ds_read_b128 v[26:29], v134 offset:1552
	ds_read_b128 v[22:25], v134 offset:1568
	;; [unrolled: 1-line block ×7, first 2 shown]
	s_waitcnt vmcnt(52) lgkmcnt(6)
	v_mul_f64 v[0:1], v[26:27], v[34:35]
	v_fmac_f64_e32 v[0:1], v[28:29], v[30:31]
	v_add_f64 v[0:1], v[0:1], 0
	v_mul_f64 v[28:29], v[28:29], v[34:35]
	s_waitcnt vmcnt(48) lgkmcnt(5)
	v_mul_f64 v[86:87], v[22:23], v[36:37]
	v_fmac_f64_e32 v[86:87], v[24:25], v[32:33]
	s_waitcnt vmcnt(46) lgkmcnt(4)
	v_mul_f64 v[88:89], v[18:19], v[38:39]
	v_add_f64 v[0:1], v[0:1], v[86:87]
	s_waitcnt vmcnt(44) lgkmcnt(2)
	v_mul_f64 v[92:93], v[10:11], v[40:41]
	v_fma_f64 v[26:27], v[26:27], v[30:31], -v[28:29]
	s_waitcnt vmcnt(42)
	v_fmac_f64_e32 v[92:93], v[12:13], v[42:43]
	v_mul_f64 v[24:25], v[24:25], v[36:37]
	s_waitcnt vmcnt(40)
	v_mul_f64 v[90:91], v[14:15], v[48:49]
	v_add_f64 v[26:27], v[26:27], 0
	v_fma_f64 v[22:23], v[22:23], v[32:33], -v[24:25]
	v_add_f64 v[22:23], v[26:27], v[22:23]
	s_waitcnt vmcnt(36) lgkmcnt(1)
	v_mul_f64 v[110:111], v[6:7], v[54:55]
	v_mul_f64 v[12:13], v[12:13], v[40:41]
	s_waitcnt vmcnt(34)
	v_fmac_f64_e32 v[88:89], v[20:21], v[60:61]
	v_add_f64 v[0:1], v[0:1], v[88:89]
	s_waitcnt vmcnt(32)
	v_fmac_f64_e32 v[90:91], v[16:17], v[58:59]
	v_add_f64 v[0:1], v[0:1], v[90:91]
	v_add_f64 v[116:117], v[0:1], v[92:93]
	buffer_load_dword v87, off, s[0:3], 0 offset:812
	buffer_load_dword v86, off, s[0:3], 0 offset:808
	;; [unrolled: 1-line block ×56, first 2 shown]
	ds_read_b128 v[124:127], v134 offset:1664
	ds_read_b128 v[128:131], v134 offset:1680
	v_mul_f64 v[20:21], v[20:21], v[38:39]
	v_fma_f64 v[18:19], v[18:19], v[60:61], -v[20:21]
	v_mul_f64 v[16:17], v[16:17], v[48:49]
	s_waitcnt vmcnt(62)
	v_fmac_f64_e32 v[110:111], v[8:9], v[56:57]
	v_add_f64 v[18:19], v[22:23], v[18:19]
	v_fma_f64 v[14:15], v[14:15], v[58:59], -v[16:17]
	v_add_f64 v[110:111], v[116:117], v[110:111]
	s_waitcnt lgkmcnt(2)
	v_mul_f64 v[116:117], v[2:3], v[50:51]
	v_add_f64 v[14:15], v[18:19], v[14:15]
	v_fma_f64 v[10:11], v[10:11], v[42:43], -v[12:13]
	v_mul_f64 v[8:9], v[8:9], v[54:55]
	v_fmac_f64_e32 v[116:117], v[4:5], v[52:53]
	ds_read_b128 v[136:139], v134 offset:1696
	ds_read_b128 v[140:143], v134 offset:1712
	v_add_f64 v[10:11], v[14:15], v[10:11]
	v_fma_f64 v[6:7], v[6:7], v[56:57], -v[8:9]
	v_mul_f64 v[4:5], v[4:5], v[50:51]
	v_add_f64 v[110:111], v[110:111], v[116:117]
	s_waitcnt lgkmcnt(3)
	v_mul_f64 v[116:117], v[124:125], v[66:67]
	v_add_f64 v[6:7], v[10:11], v[6:7]
	v_fma_f64 v[2:3], v[2:3], v[52:53], -v[4:5]
	v_mul_f64 v[4:5], v[126:127], v[66:67]
	v_fmac_f64_e32 v[116:117], v[126:127], v[68:69]
	v_add_f64 v[2:3], v[6:7], v[2:3]
	v_fma_f64 v[4:5], v[124:125], v[68:69], -v[4:5]
	v_add_f64 v[110:111], v[110:111], v[116:117]
	s_waitcnt lgkmcnt(2)
	v_mul_f64 v[116:117], v[128:129], v[62:63]
	v_add_f64 v[2:3], v[2:3], v[4:5]
	v_mul_f64 v[4:5], v[130:131], v[62:63]
	v_fmac_f64_e32 v[116:117], v[130:131], v[64:65]
	ds_read_b128 v[144:147], v134 offset:1728
	ds_read_b128 v[148:151], v134 offset:1744
	v_fma_f64 v[4:5], v[128:129], v[64:65], -v[4:5]
	v_add_f64 v[110:111], v[110:111], v[116:117]
	s_waitcnt lgkmcnt(3)
	v_mul_f64 v[116:117], v[136:137], v[74:75]
	v_add_f64 v[2:3], v[2:3], v[4:5]
	v_mul_f64 v[4:5], v[138:139], v[74:75]
	v_fmac_f64_e32 v[116:117], v[138:139], v[76:77]
	v_fma_f64 v[4:5], v[136:137], v[76:77], -v[4:5]
	v_add_f64 v[110:111], v[110:111], v[116:117]
	s_waitcnt lgkmcnt(2)
	v_mul_f64 v[116:117], v[140:141], v[70:71]
	v_add_f64 v[2:3], v[2:3], v[4:5]
	v_mul_f64 v[4:5], v[142:143], v[70:71]
	v_fmac_f64_e32 v[116:117], v[142:143], v[72:73]
	ds_read_b128 v[152:155], v134 offset:1760
	ds_read_b128 v[156:159], v134 offset:1776
	v_fma_f64 v[4:5], v[140:141], v[72:73], -v[4:5]
	v_add_f64 v[110:111], v[110:111], v[116:117]
	s_waitcnt vmcnt(58) lgkmcnt(3)
	v_mul_f64 v[116:117], v[144:145], v[82:83]
	v_add_f64 v[2:3], v[2:3], v[4:5]
	v_mul_f64 v[4:5], v[146:147], v[82:83]
	s_waitcnt vmcnt(56)
	v_fmac_f64_e32 v[116:117], v[146:147], v[84:85]
	v_fma_f64 v[4:5], v[144:145], v[84:85], -v[4:5]
	v_add_f64 v[110:111], v[110:111], v[116:117]
	s_waitcnt lgkmcnt(2)
	v_mul_f64 v[116:117], v[148:149], v[78:79]
	v_add_f64 v[2:3], v[2:3], v[4:5]
	v_mul_f64 v[4:5], v[150:151], v[78:79]
	v_fmac_f64_e32 v[116:117], v[150:151], v[80:81]
	ds_read_b128 v[160:163], v134 offset:1792
	ds_read_b128 v[164:167], v134 offset:1808
	v_fma_f64 v[4:5], v[148:149], v[80:81], -v[4:5]
	v_add_f64 v[110:111], v[110:111], v[116:117]
	s_waitcnt vmcnt(50) lgkmcnt(3)
	v_mul_f64 v[116:117], v[152:153], v[90:91]
	v_add_f64 v[2:3], v[2:3], v[4:5]
	v_mul_f64 v[4:5], v[154:155], v[90:91]
	s_waitcnt vmcnt(48)
	;; [unrolled: 17-line block ×7, first 2 shown]
	v_fma_f64 v[2:3], v[192:193], v[216:217], -v[2:3]
	v_fmac_f64_e32 v[116:117], v[194:195], v[216:217]
	v_add_f64 v[0:1], v[0:1], v[2:3]
	s_waitcnt lgkmcnt(2)
	v_mul_f64 v[2:3], v[198:199], v[210:211]
	v_add_f64 v[110:111], v[110:111], v[116:117]
	v_mul_f64 v[116:117], v[196:197], v[210:211]
	v_fma_f64 v[2:3], v[196:197], v[212:213], -v[2:3]
	v_fmac_f64_e32 v[116:117], v[198:199], v[212:213]
	v_add_f64 v[0:1], v[0:1], v[2:3]
	s_waitcnt vmcnt(2) lgkmcnt(1)
	v_mul_f64 v[2:3], v[202:203], v[222:223]
	v_add_f64 v[110:111], v[110:111], v[116:117]
	v_mul_f64 v[116:117], v[200:201], v[222:223]
	s_waitcnt vmcnt(0)
	v_fma_f64 v[2:3], v[200:201], v[224:225], -v[2:3]
	v_fmac_f64_e32 v[116:117], v[202:203], v[224:225]
	v_add_f64 v[0:1], v[0:1], v[2:3]
	s_waitcnt lgkmcnt(0)
	v_mul_f64 v[2:3], v[206:207], v[218:219]
	v_add_f64 v[110:111], v[110:111], v[116:117]
	v_mul_f64 v[116:117], v[204:205], v[218:219]
	v_fma_f64 v[2:3], v[204:205], v[220:221], -v[2:3]
	v_fmac_f64_e32 v[116:117], v[206:207], v[220:221]
	v_add_f64 v[0:1], v[0:1], v[2:3]
	v_add_f64 v[110:111], v[110:111], v[116:117]
	v_add_f64 v[0:1], v[46:47], -v[0:1]
	v_add_f64 v[2:3], v[44:45], -v[110:111]
	buffer_store_dword v1, off, s[0:3], 0 offset:564
	buffer_store_dword v0, off, s[0:3], 0 offset:560
	;; [unrolled: 1-line block ×4, first 2 shown]
	v_accvgpr_read_b32 v0, a185
	v_cmp_lt_u32_e32 vcc, 33, v0
	s_and_saveexec_b64 s[4:5], vcc
	s_cbranch_execz .LBB125_331
; %bb.330:
	v_accvgpr_read_b32 v0, a152
	buffer_load_dword v2, v0, s[0:3], 0 offen
	buffer_load_dword v3, v0, s[0:3], 0 offen offset:4
	buffer_load_dword v4, v0, s[0:3], 0 offen offset:8
	buffer_load_dword v5, v0, s[0:3], 0 offen offset:12
	v_accvgpr_read_b32 v0, a186
	buffer_store_dword v134, off, s[0:3], 0 offset:544
	buffer_store_dword v134, off, s[0:3], 0 offset:548
	;; [unrolled: 1-line block ×4, first 2 shown]
	s_waitcnt vmcnt(4)
	ds_write_b128 v0, v[2:5]
.LBB125_331:
	s_or_b64 exec, exec, s[4:5]
	s_waitcnt lgkmcnt(0)
	; wave barrier
	s_waitcnt lgkmcnt(0)
	buffer_load_dword v34, off, s[0:3], 0 offset:560
	buffer_load_dword v35, off, s[0:3], 0 offset:564
	;; [unrolled: 1-line block ×32, first 2 shown]
	ds_read_b128 v[30:33], v134 offset:1536
	ds_read_b128 v[26:29], v134 offset:1552
	;; [unrolled: 1-line block ×8, first 2 shown]
	buffer_load_dword v67, off, s[0:3], 0 offset:700
	buffer_load_dword v66, off, s[0:3], 0 offset:696
	;; [unrolled: 1-line block ×24, first 2 shown]
	s_waitcnt vmcnt(52) lgkmcnt(7)
	v_mul_f64 v[0:1], v[30:31], v[38:39]
	v_fmac_f64_e32 v[0:1], v[32:33], v[34:35]
	v_add_f64 v[0:1], v[0:1], 0
	v_mul_f64 v[32:33], v[32:33], v[38:39]
	s_waitcnt vmcnt(48) lgkmcnt(6)
	v_mul_f64 v[90:91], v[26:27], v[40:41]
	v_fmac_f64_e32 v[90:91], v[28:29], v[36:37]
	s_waitcnt vmcnt(46) lgkmcnt(5)
	v_mul_f64 v[92:93], v[22:23], v[42:43]
	v_add_f64 v[0:1], v[0:1], v[90:91]
	s_waitcnt vmcnt(44) lgkmcnt(4)
	v_mul_f64 v[94:95], v[18:19], v[48:49]
	v_fma_f64 v[30:31], v[30:31], v[34:35], -v[32:33]
	s_waitcnt vmcnt(42) lgkmcnt(1)
	v_mul_f64 v[122:123], v[2:3], v[50:51]
	v_mul_f64 v[28:29], v[28:29], v[40:41]
	s_waitcnt vmcnt(18) lgkmcnt(0)
	v_mul_f64 v[138:139], v[14:15], v[70:71]
	v_mul_f64 v[98:99], v[6:7], v[54:55]
	s_waitcnt vmcnt(16)
	v_fmac_f64_e32 v[138:139], v[16:17], v[72:73]
	v_mul_f64 v[96:97], v[10:11], v[56:57]
	v_add_f64 v[30:31], v[30:31], 0
	v_fmac_f64_e32 v[96:97], v[12:13], v[58:59]
	v_fma_f64 v[26:27], v[26:27], v[36:37], -v[28:29]
	v_fmac_f64_e32 v[92:93], v[24:25], v[64:65]
	v_add_f64 v[0:1], v[0:1], v[92:93]
	v_fmac_f64_e32 v[94:95], v[20:21], v[62:63]
	v_add_f64 v[0:1], v[0:1], v[94:95]
	v_fmac_f64_e32 v[98:99], v[8:9], v[60:61]
	v_add_f64 v[0:1], v[0:1], v[96:97]
	v_add_f64 v[124:125], v[0:1], v[98:99]
	buffer_load_dword v91, off, s[0:3], 0 offset:796
	buffer_load_dword v90, off, s[0:3], 0 offset:792
	;; [unrolled: 1-line block ×56, first 2 shown]
	v_fmac_f64_e32 v[122:123], v[4:5], v[52:53]
	v_add_f64 v[136:137], v[124:125], v[122:123]
	ds_read_b128 v[122:125], v134 offset:1664
	buffer_load_dword v227, off, s[0:3], 0 offset:1004
	buffer_load_dword v226, off, s[0:3], 0 offset:1000
	;; [unrolled: 1-line block ×4, first 2 shown]
	v_add_f64 v[140:141], v[136:137], v[138:139]
	ds_read_b128 v[136:139], v134 offset:1680
	v_mul_f64 v[24:25], v[24:25], v[42:43]
	s_waitcnt lgkmcnt(1)
	v_mul_f64 v[142:143], v[122:123], v[66:67]
	v_fmac_f64_e32 v[142:143], v[124:125], v[68:69]
	v_add_f64 v[144:145], v[140:141], v[142:143]
	ds_read_b128 v[140:143], v134 offset:1696
	s_waitcnt vmcnt(62) lgkmcnt(1)
	v_mul_f64 v[146:147], v[136:137], v[78:79]
	v_fmac_f64_e32 v[146:147], v[138:139], v[80:81]
	v_add_f64 v[148:149], v[144:145], v[146:147]
	ds_read_b128 v[144:147], v134 offset:1712
	s_waitcnt lgkmcnt(1)
	v_mul_f64 v[150:151], v[140:141], v[74:75]
	v_fmac_f64_e32 v[150:151], v[142:143], v[76:77]
	v_add_f64 v[152:153], v[148:149], v[150:151]
	ds_read_b128 v[148:151], v134 offset:1728
	s_waitcnt lgkmcnt(1)
	v_mul_f64 v[154:155], v[144:145], v[86:87]
	s_waitcnt vmcnt(60)
	v_fmac_f64_e32 v[154:155], v[146:147], v[88:89]
	v_add_f64 v[156:157], v[152:153], v[154:155]
	ds_read_b128 v[152:155], v134 offset:1744
	s_waitcnt lgkmcnt(1)
	v_mul_f64 v[158:159], v[148:149], v[82:83]
	v_fmac_f64_e32 v[158:159], v[150:151], v[84:85]
	v_add_f64 v[160:161], v[156:157], v[158:159]
	ds_read_b128 v[156:159], v134 offset:1760
	v_add_f64 v[26:27], v[30:31], v[26:27]
	v_fma_f64 v[22:23], v[22:23], v[64:65], -v[24:25]
	s_waitcnt vmcnt(54) lgkmcnt(1)
	v_mul_f64 v[162:163], v[152:153], v[94:95]
	v_mul_f64 v[20:21], v[20:21], v[48:49]
	s_waitcnt vmcnt(52)
	v_fmac_f64_e32 v[162:163], v[154:155], v[96:97]
	v_add_f64 v[164:165], v[160:161], v[162:163]
	ds_read_b128 v[160:163], v134 offset:1776
	s_waitcnt lgkmcnt(1)
	v_mul_f64 v[166:167], v[156:157], v[90:91]
	v_fmac_f64_e32 v[166:167], v[158:159], v[92:93]
	v_add_f64 v[168:169], v[164:165], v[166:167]
	ds_read_b128 v[164:167], v134 offset:1792
	v_add_f64 v[22:23], v[26:27], v[22:23]
	v_fma_f64 v[18:19], v[18:19], v[62:63], -v[20:21]
	v_mul_f64 v[12:13], v[12:13], v[56:57]
	v_add_f64 v[18:19], v[22:23], v[18:19]
	v_fma_f64 v[10:11], v[10:11], v[58:59], -v[12:13]
	v_mul_f64 v[8:9], v[8:9], v[54:55]
	;; [unrolled: 3-line block ×3, first 2 shown]
	s_waitcnt vmcnt(46) lgkmcnt(1)
	v_mul_f64 v[170:171], v[160:161], v[102:103]
	v_add_f64 v[6:7], v[10:11], v[6:7]
	v_fma_f64 v[2:3], v[2:3], v[52:53], -v[4:5]
	v_mul_f64 v[4:5], v[16:17], v[70:71]
	s_waitcnt vmcnt(44)
	v_fmac_f64_e32 v[170:171], v[162:163], v[104:105]
	v_add_f64 v[2:3], v[6:7], v[2:3]
	v_fma_f64 v[4:5], v[14:15], v[72:73], -v[4:5]
	v_add_f64 v[172:173], v[168:169], v[170:171]
	ds_read_b128 v[168:171], v134 offset:1808
	s_waitcnt lgkmcnt(1)
	v_mul_f64 v[174:175], v[164:165], v[98:99]
	v_add_f64 v[2:3], v[2:3], v[4:5]
	v_mul_f64 v[4:5], v[124:125], v[66:67]
	v_fmac_f64_e32 v[174:175], v[166:167], v[100:101]
	v_fma_f64 v[4:5], v[122:123], v[68:69], -v[4:5]
	v_add_f64 v[176:177], v[172:173], v[174:175]
	ds_read_b128 v[172:175], v134 offset:1824
	v_add_f64 v[2:3], v[2:3], v[4:5]
	v_mul_f64 v[4:5], v[138:139], v[78:79]
	v_fma_f64 v[4:5], v[136:137], v[80:81], -v[4:5]
	v_add_f64 v[2:3], v[2:3], v[4:5]
	v_mul_f64 v[4:5], v[142:143], v[74:75]
	s_waitcnt vmcnt(38) lgkmcnt(1)
	v_mul_f64 v[178:179], v[168:169], v[110:111]
	v_fma_f64 v[4:5], v[140:141], v[76:77], -v[4:5]
	s_waitcnt vmcnt(36)
	v_fmac_f64_e32 v[178:179], v[170:171], v[112:113]
	v_add_f64 v[2:3], v[2:3], v[4:5]
	v_mul_f64 v[4:5], v[146:147], v[86:87]
	v_add_f64 v[180:181], v[176:177], v[178:179]
	ds_read_b128 v[176:179], v134 offset:1840
	s_waitcnt lgkmcnt(1)
	v_mul_f64 v[182:183], v[172:173], v[106:107]
	v_fma_f64 v[4:5], v[144:145], v[88:89], -v[4:5]
	v_fmac_f64_e32 v[182:183], v[174:175], v[108:109]
	v_add_f64 v[2:3], v[2:3], v[4:5]
	v_mul_f64 v[4:5], v[150:151], v[82:83]
	v_add_f64 v[184:185], v[180:181], v[182:183]
	ds_read_b128 v[180:183], v134 offset:1856
	v_fma_f64 v[4:5], v[148:149], v[84:85], -v[4:5]
	v_add_f64 v[2:3], v[2:3], v[4:5]
	v_mul_f64 v[4:5], v[154:155], v[94:95]
	v_fma_f64 v[4:5], v[152:153], v[96:97], -v[4:5]
	s_waitcnt vmcnt(30) lgkmcnt(1)
	v_mul_f64 v[186:187], v[176:177], v[118:119]
	v_add_f64 v[2:3], v[2:3], v[4:5]
	v_mul_f64 v[4:5], v[158:159], v[90:91]
	s_waitcnt vmcnt(28)
	v_fmac_f64_e32 v[186:187], v[178:179], v[120:121]
	v_fma_f64 v[4:5], v[156:157], v[92:93], -v[4:5]
	v_add_f64 v[188:189], v[184:185], v[186:187]
	ds_read_b128 v[184:187], v134 offset:1872
	s_waitcnt lgkmcnt(1)
	v_mul_f64 v[190:191], v[180:181], v[114:115]
	v_add_f64 v[2:3], v[2:3], v[4:5]
	v_mul_f64 v[4:5], v[162:163], v[102:103]
	v_fmac_f64_e32 v[190:191], v[182:183], v[116:117]
	v_fma_f64 v[4:5], v[160:161], v[104:105], -v[4:5]
	v_add_f64 v[192:193], v[188:189], v[190:191]
	ds_read_b128 v[188:191], v134 offset:1888
	v_add_f64 v[2:3], v[2:3], v[4:5]
	v_mul_f64 v[4:5], v[166:167], v[98:99]
	v_fma_f64 v[4:5], v[164:165], v[100:101], -v[4:5]
	v_add_f64 v[2:3], v[2:3], v[4:5]
	v_mul_f64 v[4:5], v[170:171], v[110:111]
	s_waitcnt vmcnt(22) lgkmcnt(1)
	v_mul_f64 v[194:195], v[184:185], v[130:131]
	v_fma_f64 v[4:5], v[168:169], v[112:113], -v[4:5]
	s_waitcnt vmcnt(20)
	v_fmac_f64_e32 v[194:195], v[186:187], v[132:133]
	v_add_f64 v[2:3], v[2:3], v[4:5]
	v_mul_f64 v[4:5], v[174:175], v[106:107]
	v_add_f64 v[196:197], v[192:193], v[194:195]
	ds_read_b128 v[192:195], v134 offset:1904
	s_waitcnt lgkmcnt(1)
	v_mul_f64 v[198:199], v[188:189], v[126:127]
	v_fma_f64 v[4:5], v[172:173], v[108:109], -v[4:5]
	v_fmac_f64_e32 v[198:199], v[190:191], v[128:129]
	v_add_f64 v[2:3], v[2:3], v[4:5]
	v_mul_f64 v[4:5], v[178:179], v[118:119]
	v_add_f64 v[200:201], v[196:197], v[198:199]
	ds_read_b128 v[196:199], v134 offset:1920
	v_fma_f64 v[4:5], v[176:177], v[120:121], -v[4:5]
	v_add_f64 v[2:3], v[2:3], v[4:5]
	v_mul_f64 v[4:5], v[182:183], v[114:115]
	v_fma_f64 v[4:5], v[180:181], v[116:117], -v[4:5]
	s_waitcnt vmcnt(14) lgkmcnt(1)
	v_mul_f64 v[202:203], v[192:193], v[214:215]
	v_add_f64 v[2:3], v[2:3], v[4:5]
	v_mul_f64 v[4:5], v[186:187], v[130:131]
	s_waitcnt vmcnt(12)
	v_fmac_f64_e32 v[202:203], v[194:195], v[216:217]
	v_fma_f64 v[4:5], v[184:185], v[132:133], -v[4:5]
	v_add_f64 v[204:205], v[200:201], v[202:203]
	ds_read_b128 v[200:203], v134 offset:1936
	s_waitcnt lgkmcnt(1)
	v_mul_f64 v[206:207], v[196:197], v[0:1]
	v_add_f64 v[2:3], v[2:3], v[4:5]
	v_mul_f64 v[4:5], v[190:191], v[126:127]
	v_fmac_f64_e32 v[206:207], v[198:199], v[212:213]
	v_fma_f64 v[4:5], v[188:189], v[128:129], -v[4:5]
	v_add_f64 v[230:231], v[204:205], v[206:207]
	ds_read_b128 v[204:207], v134 offset:1952
	v_add_f64 v[2:3], v[2:3], v[4:5]
	v_mul_f64 v[4:5], v[194:195], v[214:215]
	v_fma_f64 v[4:5], v[192:193], v[216:217], -v[4:5]
	v_mul_f64 v[0:1], v[198:199], v[0:1]
	ds_read_b128 v[208:211], v134 offset:1968
	v_add_f64 v[2:3], v[2:3], v[4:5]
	v_fma_f64 v[0:1], v[196:197], v[212:213], -v[0:1]
	v_add_f64 v[0:1], v[2:3], v[0:1]
	s_waitcnt vmcnt(6) lgkmcnt(2)
	v_mul_f64 v[2:3], v[202:203], v[222:223]
	v_mul_f64 v[232:233], v[200:201], v[222:223]
	s_waitcnt vmcnt(4)
	v_fma_f64 v[2:3], v[200:201], v[224:225], -v[2:3]
	v_fmac_f64_e32 v[232:233], v[202:203], v[224:225]
	v_add_f64 v[0:1], v[0:1], v[2:3]
	s_waitcnt lgkmcnt(1)
	v_mul_f64 v[2:3], v[206:207], v[218:219]
	v_add_f64 v[134:135], v[230:231], v[232:233]
	v_mul_f64 v[230:231], v[204:205], v[218:219]
	v_fma_f64 v[2:3], v[204:205], v[220:221], -v[2:3]
	v_fmac_f64_e32 v[230:231], v[206:207], v[220:221]
	v_add_f64 v[0:1], v[0:1], v[2:3]
	s_waitcnt vmcnt(2) lgkmcnt(0)
	v_mul_f64 v[2:3], v[210:211], v[226:227]
	v_add_f64 v[134:135], v[134:135], v[230:231]
	v_mul_f64 v[230:231], v[208:209], v[226:227]
	s_waitcnt vmcnt(0)
	v_fma_f64 v[2:3], v[208:209], v[228:229], -v[2:3]
	v_fmac_f64_e32 v[230:231], v[210:211], v[228:229]
	v_add_f64 v[0:1], v[0:1], v[2:3]
	v_add_f64 v[134:135], v[134:135], v[230:231]
	v_add_f64 v[0:1], v[46:47], -v[0:1]
	v_add_f64 v[2:3], v[44:45], -v[134:135]
	buffer_store_dword v1, off, s[0:3], 0 offset:548
	buffer_store_dword v0, off, s[0:3], 0 offset:544
	;; [unrolled: 1-line block ×4, first 2 shown]
	v_accvgpr_read_b32 v0, a185
	v_cmp_lt_u32_e32 vcc, 32, v0
	s_and_saveexec_b64 s[4:5], vcc
	s_cbranch_execz .LBB125_333
; %bb.332:
	v_accvgpr_read_b32 v0, a153
	buffer_load_dword v2, v0, s[0:3], 0 offen
	buffer_load_dword v3, v0, s[0:3], 0 offen offset:4
	buffer_load_dword v4, v0, s[0:3], 0 offen offset:8
	;; [unrolled: 1-line block ×3, first 2 shown]
	v_mov_b32_e32 v0, 0
	v_accvgpr_read_b32 v1, a186
	buffer_store_dword v0, off, s[0:3], 0 offset:528
	buffer_store_dword v0, off, s[0:3], 0 offset:532
	;; [unrolled: 1-line block ×4, first 2 shown]
	s_waitcnt vmcnt(4)
	ds_write_b128 v1, v[2:5]
.LBB125_333:
	s_or_b64 exec, exec, s[4:5]
	s_waitcnt lgkmcnt(0)
	; wave barrier
	s_waitcnt lgkmcnt(0)
	buffer_load_dword v38, off, s[0:3], 0 offset:544
	buffer_load_dword v39, off, s[0:3], 0 offset:548
	;; [unrolled: 1-line block ×48, first 2 shown]
	v_mov_b32_e32 v150, 0
	ds_read_b128 v[34:37], v150 offset:1520
	ds_read_b128 v[30:33], v150 offset:1536
	;; [unrolled: 1-line block ×9, first 2 shown]
	s_waitcnt vmcnt(44) lgkmcnt(8)
	v_mul_f64 v[0:1], v[34:35], v[42:43]
	v_fmac_f64_e32 v[0:1], v[36:37], v[38:39]
	v_add_f64 v[0:1], v[0:1], 0
	v_mul_f64 v[36:37], v[36:37], v[42:43]
	s_waitcnt vmcnt(40) lgkmcnt(7)
	v_mul_f64 v[86:87], v[30:31], v[44:45]
	v_fmac_f64_e32 v[86:87], v[32:33], v[40:41]
	s_waitcnt vmcnt(38) lgkmcnt(6)
	v_mul_f64 v[88:89], v[26:27], v[46:47]
	v_add_f64 v[0:1], v[0:1], v[86:87]
	s_waitcnt vmcnt(36) lgkmcnt(4)
	v_mul_f64 v[92:93], v[18:19], v[48:49]
	v_fma_f64 v[34:35], v[34:35], v[38:39], -v[36:37]
	s_waitcnt vmcnt(34)
	v_fmac_f64_e32 v[92:93], v[20:21], v[50:51]
	v_mul_f64 v[32:33], v[32:33], v[44:45]
	s_waitcnt vmcnt(32)
	v_mul_f64 v[90:91], v[22:23], v[52:53]
	v_add_f64 v[34:35], v[34:35], 0
	s_waitcnt vmcnt(30) lgkmcnt(2)
	v_mul_f64 v[96:97], v[10:11], v[54:55]
	v_fma_f64 v[30:31], v[30:31], v[40:41], -v[32:33]
	s_waitcnt vmcnt(28)
	v_fmac_f64_e32 v[96:97], v[12:13], v[56:57]
	v_add_f64 v[30:31], v[34:35], v[30:31]
	s_waitcnt vmcnt(26)
	v_mul_f64 v[94:95], v[14:15], v[58:59]
	v_mul_f64 v[20:21], v[20:21], v[48:49]
	v_fma_f64 v[18:19], v[18:19], v[50:51], -v[20:21]
	v_mul_f64 v[12:13], v[12:13], v[54:55]
	s_waitcnt vmcnt(22) lgkmcnt(1)
	v_mul_f64 v[110:111], v[6:7], v[68:69]
	v_fma_f64 v[10:11], v[10:11], v[56:57], -v[12:13]
	s_waitcnt vmcnt(20)
	v_fmac_f64_e32 v[88:89], v[28:29], v[76:77]
	v_add_f64 v[0:1], v[0:1], v[88:89]
	s_waitcnt vmcnt(18)
	v_fmac_f64_e32 v[90:91], v[24:25], v[74:75]
	v_add_f64 v[0:1], v[0:1], v[90:91]
	;; [unrolled: 3-line block ×3, first 2 shown]
	v_add_f64 v[0:1], v[0:1], v[94:95]
	v_add_f64 v[112:113], v[0:1], v[96:97]
	buffer_load_dword v87, off, s[0:3], 0 offset:748
	buffer_load_dword v86, off, s[0:3], 0 offset:744
	;; [unrolled: 1-line block ×72, first 2 shown]
	s_waitcnt vmcnt(62)
	v_fmac_f64_e32 v[110:111], v[8:9], v[70:71]
	v_add_f64 v[142:143], v[112:113], v[110:111]
	ds_read_b128 v[110:113], v150 offset:1664
	s_waitcnt lgkmcnt(1)
	v_mul_f64 v[144:145], v[2:3], v[64:65]
	v_fmac_f64_e32 v[144:145], v[4:5], v[66:67]
	v_add_f64 v[146:147], v[142:143], v[144:145]
	ds_read_b128 v[142:145], v150 offset:1680
	s_waitcnt lgkmcnt(1)
	v_mul_f64 v[148:149], v[110:111], v[82:83]
	;; [unrolled: 5-line block ×5, first 2 shown]
	v_fmac_f64_e32 v[162:163], v[154:155], v[88:89]
	v_add_f64 v[164:165], v[160:161], v[162:163]
	ds_read_b128 v[160:163], v150 offset:1744
	s_waitcnt vmcnt(58) lgkmcnt(1)
	v_mul_f64 v[166:167], v[156:157], v[98:99]
	s_waitcnt vmcnt(56)
	v_fmac_f64_e32 v[166:167], v[158:159], v[100:101]
	v_add_f64 v[168:169], v[164:165], v[166:167]
	ds_read_b128 v[164:167], v150 offset:1760
	s_waitcnt lgkmcnt(1)
	v_mul_f64 v[170:171], v[160:161], v[94:95]
	v_fmac_f64_e32 v[170:171], v[162:163], v[96:97]
	v_add_f64 v[172:173], v[168:169], v[170:171]
	ds_read_b128 v[168:171], v150 offset:1776
	s_waitcnt vmcnt(50) lgkmcnt(1)
	v_mul_f64 v[174:175], v[164:165], v[106:107]
	v_mul_f64 v[28:29], v[28:29], v[46:47]
	s_waitcnt vmcnt(48)
	v_fmac_f64_e32 v[174:175], v[166:167], v[108:109]
	v_fma_f64 v[26:27], v[26:27], v[76:77], -v[28:29]
	v_mul_f64 v[24:25], v[24:25], v[52:53]
	v_add_f64 v[176:177], v[172:173], v[174:175]
	ds_read_b128 v[172:175], v150 offset:1792
	v_add_f64 v[26:27], v[30:31], v[26:27]
	v_fma_f64 v[22:23], v[22:23], v[74:75], -v[24:25]
	v_add_f64 v[22:23], v[26:27], v[22:23]
	v_mul_f64 v[16:17], v[16:17], v[58:59]
	v_add_f64 v[18:19], v[22:23], v[18:19]
	v_fma_f64 v[14:15], v[14:15], v[72:73], -v[16:17]
	s_waitcnt lgkmcnt(1)
	v_mul_f64 v[178:179], v[168:169], v[102:103]
	v_add_f64 v[14:15], v[18:19], v[14:15]
	v_mul_f64 v[8:9], v[8:9], v[68:69]
	v_fmac_f64_e32 v[178:179], v[170:171], v[104:105]
	v_add_f64 v[10:11], v[14:15], v[10:11]
	v_fma_f64 v[6:7], v[6:7], v[70:71], -v[8:9]
	v_mul_f64 v[4:5], v[4:5], v[64:65]
	v_add_f64 v[180:181], v[176:177], v[178:179]
	ds_read_b128 v[176:179], v150 offset:1808
	s_waitcnt vmcnt(42) lgkmcnt(1)
	v_mul_f64 v[182:183], v[172:173], v[118:119]
	v_add_f64 v[6:7], v[10:11], v[6:7]
	v_fma_f64 v[2:3], v[2:3], v[66:67], -v[4:5]
	v_mul_f64 v[4:5], v[112:113], v[82:83]
	s_waitcnt vmcnt(40)
	v_fmac_f64_e32 v[182:183], v[174:175], v[120:121]
	v_add_f64 v[2:3], v[6:7], v[2:3]
	v_fma_f64 v[4:5], v[110:111], v[84:85], -v[4:5]
	v_add_f64 v[184:185], v[180:181], v[182:183]
	ds_read_b128 v[180:183], v150 offset:1824
	v_add_f64 v[2:3], v[2:3], v[4:5]
	v_mul_f64 v[4:5], v[144:145], v[78:79]
	v_fma_f64 v[4:5], v[142:143], v[80:81], -v[4:5]
	v_add_f64 v[2:3], v[2:3], v[4:5]
	v_mul_f64 v[4:5], v[148:149], v[90:91]
	s_waitcnt lgkmcnt(1)
	v_mul_f64 v[186:187], v[176:177], v[114:115]
	v_fma_f64 v[4:5], v[146:147], v[92:93], -v[4:5]
	v_fmac_f64_e32 v[186:187], v[178:179], v[116:117]
	v_add_f64 v[2:3], v[2:3], v[4:5]
	v_mul_f64 v[4:5], v[154:155], v[86:87]
	v_add_f64 v[188:189], v[184:185], v[186:187]
	ds_read_b128 v[184:187], v150 offset:1840
	s_waitcnt vmcnt(34) lgkmcnt(1)
	v_mul_f64 v[190:191], v[180:181], v[126:127]
	v_fma_f64 v[4:5], v[152:153], v[88:89], -v[4:5]
	s_waitcnt vmcnt(32)
	v_fmac_f64_e32 v[190:191], v[182:183], v[128:129]
	v_add_f64 v[2:3], v[2:3], v[4:5]
	v_mul_f64 v[4:5], v[158:159], v[98:99]
	v_add_f64 v[192:193], v[188:189], v[190:191]
	ds_read_b128 v[188:191], v150 offset:1856
	v_fma_f64 v[4:5], v[156:157], v[100:101], -v[4:5]
	v_add_f64 v[2:3], v[2:3], v[4:5]
	v_mul_f64 v[4:5], v[162:163], v[94:95]
	v_fma_f64 v[4:5], v[160:161], v[96:97], -v[4:5]
	s_waitcnt lgkmcnt(1)
	v_mul_f64 v[194:195], v[184:185], v[122:123]
	v_add_f64 v[2:3], v[2:3], v[4:5]
	v_mul_f64 v[4:5], v[166:167], v[106:107]
	v_fmac_f64_e32 v[194:195], v[186:187], v[124:125]
	v_fma_f64 v[4:5], v[164:165], v[108:109], -v[4:5]
	v_add_f64 v[196:197], v[192:193], v[194:195]
	ds_read_b128 v[192:195], v150 offset:1872
	s_waitcnt vmcnt(26) lgkmcnt(1)
	v_mul_f64 v[198:199], v[188:189], v[134:135]
	v_add_f64 v[2:3], v[2:3], v[4:5]
	v_mul_f64 v[4:5], v[170:171], v[102:103]
	s_waitcnt vmcnt(24)
	v_fmac_f64_e32 v[198:199], v[190:191], v[136:137]
	v_fma_f64 v[4:5], v[168:169], v[104:105], -v[4:5]
	v_add_f64 v[200:201], v[196:197], v[198:199]
	ds_read_b128 v[196:199], v150 offset:1888
	v_add_f64 v[2:3], v[2:3], v[4:5]
	v_mul_f64 v[4:5], v[174:175], v[118:119]
	v_fma_f64 v[4:5], v[172:173], v[120:121], -v[4:5]
	v_add_f64 v[2:3], v[2:3], v[4:5]
	v_mul_f64 v[4:5], v[178:179], v[114:115]
	s_waitcnt lgkmcnt(1)
	v_mul_f64 v[202:203], v[192:193], v[130:131]
	v_fma_f64 v[4:5], v[176:177], v[116:117], -v[4:5]
	v_fmac_f64_e32 v[202:203], v[194:195], v[132:133]
	v_add_f64 v[2:3], v[2:3], v[4:5]
	v_mul_f64 v[4:5], v[182:183], v[126:127]
	v_add_f64 v[204:205], v[200:201], v[202:203]
	ds_read_b128 v[200:203], v150 offset:1904
	s_waitcnt vmcnt(18) lgkmcnt(1)
	v_mul_f64 v[206:207], v[196:197], v[0:1]
	v_fma_f64 v[4:5], v[180:181], v[128:129], -v[4:5]
	s_waitcnt vmcnt(16)
	v_fmac_f64_e32 v[206:207], v[198:199], v[220:221]
	v_add_f64 v[2:3], v[2:3], v[4:5]
	v_mul_f64 v[4:5], v[186:187], v[122:123]
	v_add_f64 v[208:209], v[204:205], v[206:207]
	ds_read_b128 v[204:207], v150 offset:1920
	v_fma_f64 v[4:5], v[184:185], v[124:125], -v[4:5]
	v_add_f64 v[2:3], v[2:3], v[4:5]
	v_mul_f64 v[4:5], v[190:191], v[134:135]
	v_fma_f64 v[4:5], v[188:189], v[136:137], -v[4:5]
	s_waitcnt lgkmcnt(1)
	v_mul_f64 v[210:211], v[200:201], v[138:139]
	v_add_f64 v[2:3], v[2:3], v[4:5]
	v_mul_f64 v[4:5], v[194:195], v[130:131]
	v_fmac_f64_e32 v[210:211], v[202:203], v[140:141]
	v_fma_f64 v[4:5], v[192:193], v[132:133], -v[4:5]
	v_mul_f64 v[0:1], v[198:199], v[0:1]
	v_add_f64 v[212:213], v[208:209], v[210:211]
	ds_read_b128 v[208:211], v150 offset:1936
	s_waitcnt vmcnt(10) lgkmcnt(1)
	v_mul_f64 v[214:215], v[204:205], v[226:227]
	v_add_f64 v[2:3], v[2:3], v[4:5]
	v_fma_f64 v[0:1], v[196:197], v[220:221], -v[0:1]
	s_waitcnt vmcnt(8)
	v_fmac_f64_e32 v[214:215], v[206:207], v[228:229]
	v_add_f64 v[0:1], v[2:3], v[0:1]
	v_mul_f64 v[2:3], v[202:203], v[138:139]
	v_add_f64 v[238:239], v[212:213], v[214:215]
	ds_read_b128 v[212:215], v150 offset:1952
	ds_read_b128 v[216:219], v150 offset:1968
	v_fma_f64 v[2:3], v[200:201], v[140:141], -v[2:3]
	v_add_f64 v[0:1], v[0:1], v[2:3]
	v_mul_f64 v[2:3], v[206:207], v[226:227]
	v_fma_f64 v[2:3], v[204:205], v[228:229], -v[2:3]
	v_add_f64 v[0:1], v[0:1], v[2:3]
	s_waitcnt lgkmcnt(2)
	v_mul_f64 v[2:3], v[210:211], v[222:223]
	v_mul_f64 v[240:241], v[208:209], v[222:223]
	v_fma_f64 v[2:3], v[208:209], v[224:225], -v[2:3]
	v_fmac_f64_e32 v[240:241], v[210:211], v[224:225]
	v_add_f64 v[0:1], v[0:1], v[2:3]
	s_waitcnt vmcnt(2) lgkmcnt(1)
	v_mul_f64 v[2:3], v[214:215], v[234:235]
	v_add_f64 v[238:239], v[238:239], v[240:241]
	v_mul_f64 v[240:241], v[212:213], v[234:235]
	s_waitcnt vmcnt(0)
	v_fma_f64 v[2:3], v[212:213], v[236:237], -v[2:3]
	v_fmac_f64_e32 v[240:241], v[214:215], v[236:237]
	v_add_f64 v[0:1], v[0:1], v[2:3]
	s_waitcnt lgkmcnt(0)
	v_mul_f64 v[2:3], v[218:219], v[230:231]
	v_add_f64 v[238:239], v[238:239], v[240:241]
	v_mul_f64 v[240:241], v[216:217], v[230:231]
	v_fma_f64 v[2:3], v[216:217], v[232:233], -v[2:3]
	v_fmac_f64_e32 v[240:241], v[218:219], v[232:233]
	v_add_f64 v[0:1], v[0:1], v[2:3]
	v_add_f64 v[238:239], v[238:239], v[240:241]
	v_add_f64 v[0:1], v[62:63], -v[0:1]
	v_add_f64 v[2:3], v[60:61], -v[238:239]
	buffer_store_dword v1, off, s[0:3], 0 offset:532
	buffer_store_dword v0, off, s[0:3], 0 offset:528
	;; [unrolled: 1-line block ×4, first 2 shown]
	v_accvgpr_read_b32 v0, a185
	v_cmp_lt_u32_e32 vcc, 31, v0
	s_and_saveexec_b64 s[4:5], vcc
	s_cbranch_execz .LBB125_335
; %bb.334:
	v_accvgpr_read_b32 v0, a154
	buffer_load_dword v2, v0, s[0:3], 0 offen
	buffer_load_dword v3, v0, s[0:3], 0 offen offset:4
	buffer_load_dword v4, v0, s[0:3], 0 offen offset:8
	;; [unrolled: 1-line block ×3, first 2 shown]
	v_accvgpr_read_b32 v0, a186
	buffer_store_dword v150, off, s[0:3], 0 offset:512
	buffer_store_dword v150, off, s[0:3], 0 offset:516
	;; [unrolled: 1-line block ×4, first 2 shown]
	s_waitcnt vmcnt(4)
	ds_write_b128 v0, v[2:5]
.LBB125_335:
	s_or_b64 exec, exec, s[4:5]
	s_waitcnt lgkmcnt(0)
	; wave barrier
	s_waitcnt lgkmcnt(0)
	buffer_load_dword v48, off, s[0:3], 0 offset:528
	buffer_load_dword v49, off, s[0:3], 0 offset:532
	;; [unrolled: 1-line block ×40, first 2 shown]
	ds_read_b128 v[38:41], v150 offset:1504
	ds_read_b128 v[34:37], v150 offset:1520
	;; [unrolled: 1-line block ×10, first 2 shown]
	buffer_load_dword v83, off, s[0:3], 0 offset:700
	buffer_load_dword v82, off, s[0:3], 0 offset:696
	;; [unrolled: 1-line block ×8, first 2 shown]
	s_waitcnt vmcnt(44) lgkmcnt(9)
	v_mul_f64 v[0:1], v[38:39], v[50:51]
	v_fmac_f64_e32 v[0:1], v[40:41], v[48:49]
	v_add_f64 v[0:1], v[0:1], 0
	v_mul_f64 v[40:41], v[40:41], v[50:51]
	s_waitcnt vmcnt(40) lgkmcnt(8)
	v_mul_f64 v[90:91], v[34:35], v[44:45]
	v_fmac_f64_e32 v[90:91], v[36:37], v[42:43]
	s_waitcnt vmcnt(38) lgkmcnt(7)
	v_mul_f64 v[92:93], v[30:31], v[46:47]
	v_add_f64 v[0:1], v[0:1], v[90:91]
	s_waitcnt vmcnt(36) lgkmcnt(5)
	v_mul_f64 v[96:97], v[22:23], v[52:53]
	v_mul_f64 v[36:37], v[36:37], v[44:45]
	s_waitcnt vmcnt(34)
	v_fmac_f64_e32 v[96:97], v[24:25], v[54:55]
	v_fma_f64 v[34:35], v[34:35], v[42:43], -v[36:37]
	s_waitcnt vmcnt(32)
	v_mul_f64 v[94:95], v[26:27], v[56:57]
	v_mul_f64 v[24:25], v[24:25], v[52:53]
	s_waitcnt vmcnt(30) lgkmcnt(4)
	v_mul_f64 v[98:99], v[18:19], v[62:63]
	v_fma_f64 v[22:23], v[22:23], v[54:55], -v[24:25]
	s_waitcnt vmcnt(28) lgkmcnt(1)
	v_mul_f64 v[122:123], v[2:3], v[64:65]
	s_waitcnt vmcnt(25)
	v_mul_f64 v[102:103], v[6:7], v[68:69]
	s_waitcnt vmcnt(23)
	;; [unrolled: 2-line block ×3, first 2 shown]
	v_fmac_f64_e32 v[100:101], v[12:13], v[72:73]
	v_mul_f64 v[12:13], v[12:13], v[70:71]
	s_waitcnt vmcnt(19)
	v_fmac_f64_e32 v[92:93], v[32:33], v[80:81]
	v_add_f64 v[0:1], v[0:1], v[92:93]
	s_waitcnt vmcnt(17)
	v_fmac_f64_e32 v[94:95], v[28:29], v[78:79]
	v_add_f64 v[0:1], v[0:1], v[94:95]
	;; [unrolled: 3-line block ×3, first 2 shown]
	v_add_f64 v[0:1], v[0:1], v[98:99]
	s_waitcnt vmcnt(13)
	v_fmac_f64_e32 v[102:103], v[8:9], v[74:75]
	v_add_f64 v[0:1], v[0:1], v[100:101]
	v_add_f64 v[124:125], v[0:1], v[102:103]
	buffer_load_dword v91, off, s[0:3], 0 offset:732
	buffer_load_dword v90, off, s[0:3], 0 offset:728
	;; [unrolled: 1-line block ×72, first 2 shown]
	s_waitcnt vmcnt(62)
	v_fmac_f64_e32 v[122:123], v[4:5], v[66:67]
	v_add_f64 v[152:153], v[124:125], v[122:123]
	ds_read_b128 v[122:125], v150 offset:1664
	buffer_load_dword v235, off, s[0:3], 0 offset:1004
	buffer_load_dword v234, off, s[0:3], 0 offset:1000
	;; [unrolled: 1-line block ×4, first 2 shown]
	s_waitcnt lgkmcnt(1)
	v_mul_f64 v[154:155], v[14:15], v[86:87]
	v_fmac_f64_e32 v[154:155], v[16:17], v[88:89]
	v_add_f64 v[156:157], v[152:153], v[154:155]
	ds_read_b128 v[152:155], v150 offset:1680
	s_waitcnt lgkmcnt(1)
	v_mul_f64 v[158:159], v[122:123], v[82:83]
	v_fmac_f64_e32 v[158:159], v[124:125], v[84:85]
	v_add_f64 v[160:161], v[156:157], v[158:159]
	ds_read_b128 v[156:159], v150 offset:1696
	v_mul_f64 v[32:33], v[32:33], v[46:47]
	s_waitcnt lgkmcnt(1)
	v_mul_f64 v[162:163], v[152:153], v[94:95]
	v_fma_f64 v[30:31], v[30:31], v[80:81], -v[32:33]
	v_fmac_f64_e32 v[162:163], v[154:155], v[96:97]
	v_add_f64 v[164:165], v[160:161], v[162:163]
	ds_read_b128 v[160:163], v150 offset:1712
	s_waitcnt lgkmcnt(1)
	v_mul_f64 v[166:167], v[156:157], v[90:91]
	v_fmac_f64_e32 v[166:167], v[158:159], v[92:93]
	v_add_f64 v[168:169], v[164:165], v[166:167]
	ds_read_b128 v[164:167], v150 offset:1728
	s_waitcnt vmcnt(62) lgkmcnt(1)
	v_mul_f64 v[170:171], v[160:161], v[102:103]
	s_waitcnt vmcnt(60)
	v_fmac_f64_e32 v[170:171], v[162:163], v[104:105]
	v_add_f64 v[172:173], v[168:169], v[170:171]
	ds_read_b128 v[168:171], v150 offset:1744
	s_waitcnt lgkmcnt(1)
	v_mul_f64 v[174:175], v[164:165], v[98:99]
	v_fmac_f64_e32 v[174:175], v[166:167], v[100:101]
	v_add_f64 v[176:177], v[172:173], v[174:175]
	ds_read_b128 v[172:175], v150 offset:1760
	s_waitcnt vmcnt(54) lgkmcnt(1)
	v_mul_f64 v[178:179], v[168:169], v[110:111]
	s_waitcnt vmcnt(52)
	;; [unrolled: 11-line block ×7, first 2 shown]
	v_fmac_f64_e32 v[218:219], v[210:211], v[224:225]
	v_add_f64 v[238:239], v[216:217], v[218:219]
	ds_read_b128 v[216:219], v150 offset:1936
	s_waitcnt lgkmcnt(1)
	v_mul_f64 v[240:241], v[212:213], v[0:1]
	v_fmac_f64_e32 v[240:241], v[214:215], v[220:221]
	v_add_f64 v[238:239], v[238:239], v[240:241]
	v_fma_f64 v[240:241], v[38:39], v[48:49], -v[40:41]
	ds_read_b128 v[38:41], v150 offset:1952
	ds_read_b128 v[48:51], v150 offset:1968
	s_waitcnt vmcnt(6) lgkmcnt(2)
	v_mul_f64 v[242:243], v[216:217], v[230:231]
	s_waitcnt vmcnt(4)
	v_fmac_f64_e32 v[242:243], v[218:219], v[232:233]
	v_add_f64 v[150:151], v[238:239], v[242:243]
	s_waitcnt lgkmcnt(1)
	v_mul_f64 v[238:239], v[38:39], v[226:227]
	v_fmac_f64_e32 v[238:239], v[40:41], v[228:229]
	v_add_f64 v[150:151], v[150:151], v[238:239]
	s_waitcnt vmcnt(2) lgkmcnt(0)
	v_mul_f64 v[238:239], v[48:49], v[234:235]
	s_waitcnt vmcnt(0)
	v_fmac_f64_e32 v[238:239], v[50:51], v[236:237]
	v_add_f64 v[150:151], v[150:151], v[238:239]
	v_add_f64 v[238:239], v[240:241], 0
	;; [unrolled: 1-line block ×3, first 2 shown]
	v_mul_f64 v[28:29], v[28:29], v[56:57]
	v_add_f64 v[30:31], v[34:35], v[30:31]
	v_fma_f64 v[26:27], v[26:27], v[78:79], -v[28:29]
	v_add_f64 v[26:27], v[30:31], v[26:27]
	v_mul_f64 v[20:21], v[20:21], v[62:63]
	v_add_f64 v[22:23], v[26:27], v[22:23]
	v_fma_f64 v[18:19], v[18:19], v[76:77], -v[20:21]
	v_add_f64 v[18:19], v[22:23], v[18:19]
	v_fma_f64 v[10:11], v[10:11], v[72:73], -v[12:13]
	v_mul_f64 v[8:9], v[8:9], v[68:69]
	v_add_f64 v[10:11], v[18:19], v[10:11]
	v_fma_f64 v[6:7], v[6:7], v[74:75], -v[8:9]
	v_mul_f64 v[4:5], v[4:5], v[64:65]
	;; [unrolled: 3-line block ×3, first 2 shown]
	v_add_f64 v[2:3], v[6:7], v[2:3]
	v_fma_f64 v[4:5], v[14:15], v[88:89], -v[4:5]
	v_add_f64 v[2:3], v[2:3], v[4:5]
	v_mul_f64 v[4:5], v[124:125], v[82:83]
	v_fma_f64 v[4:5], v[122:123], v[84:85], -v[4:5]
	v_add_f64 v[2:3], v[2:3], v[4:5]
	v_mul_f64 v[4:5], v[154:155], v[94:95]
	;; [unrolled: 3-line block ×16, first 2 shown]
	v_fma_f64 v[4:5], v[208:209], v[224:225], -v[4:5]
	v_mul_f64 v[0:1], v[214:215], v[0:1]
	v_add_f64 v[2:3], v[2:3], v[4:5]
	v_fma_f64 v[0:1], v[212:213], v[220:221], -v[0:1]
	v_add_f64 v[0:1], v[2:3], v[0:1]
	v_mul_f64 v[2:3], v[218:219], v[230:231]
	v_fma_f64 v[2:3], v[216:217], v[232:233], -v[2:3]
	v_add_f64 v[0:1], v[0:1], v[2:3]
	v_mul_f64 v[2:3], v[40:41], v[226:227]
	;; [unrolled: 3-line block ×3, first 2 shown]
	v_fma_f64 v[2:3], v[48:49], v[236:237], -v[2:3]
	v_add_f64 v[0:1], v[0:1], v[2:3]
	v_accvgpr_read_b32 v185, a185
	v_add_f64 v[0:1], v[60:61], -v[0:1]
	v_cmp_lt_u32_e32 vcc, 30, v185
	v_add_f64 v[2:3], v[58:59], -v[150:151]
	buffer_store_dword v1, off, s[0:3], 0 offset:516
	buffer_store_dword v0, off, s[0:3], 0 offset:512
	;; [unrolled: 1-line block ×4, first 2 shown]
	s_and_saveexec_b64 s[4:5], vcc
	s_cbranch_execz .LBB125_337
; %bb.336:
	v_accvgpr_read_b32 v0, a155
	buffer_load_dword v2, v0, s[0:3], 0 offen
	buffer_load_dword v3, v0, s[0:3], 0 offen offset:4
	buffer_load_dword v4, v0, s[0:3], 0 offen offset:8
	;; [unrolled: 1-line block ×3, first 2 shown]
	v_mov_b32_e32 v0, 0
	v_accvgpr_read_b32 v1, a186
	buffer_store_dword v0, off, s[0:3], 0 offset:496
	buffer_store_dword v0, off, s[0:3], 0 offset:500
	buffer_store_dword v0, off, s[0:3], 0 offset:504
	buffer_store_dword v0, off, s[0:3], 0 offset:508
	s_waitcnt vmcnt(4)
	ds_write_b128 v1, v[2:5]
.LBB125_337:
	s_or_b64 exec, exec, s[4:5]
	s_waitcnt lgkmcnt(0)
	; wave barrier
	s_waitcnt lgkmcnt(0)
	buffer_load_dword v106, off, s[0:3], 0 offset:512
	buffer_load_dword v107, off, s[0:3], 0 offset:516
	;; [unrolled: 1-line block ×49, first 2 shown]
	v_mov_b32_e32 v184, 0
	ds_read_b128 v[110:113], v184 offset:1488
	ds_read_b128 v[234:237], v184 offset:1504
	;; [unrolled: 1-line block ×10, first 2 shown]
	buffer_load_dword v158, off, s[0:3], 0 offset:704
	buffer_load_dword v173, off, s[0:3], 0 offset:700
	;; [unrolled: 1-line block ×69, first 2 shown]
	v_cmp_lt_u32_e32 vcc, 29, v185
	s_waitcnt vmcnt(62) lgkmcnt(9)
	v_mul_f64 v[0:1], v[110:111], v[108:109]
	v_fmac_f64_e32 v[0:1], v[112:113], v[106:107]
	v_add_f64 v[0:1], v[0:1], 0
	v_mul_f64 v[108:109], v[112:113], v[108:109]
	s_waitcnt lgkmcnt(8)
	v_mul_f64 v[34:35], v[234:235], v[116:117]
	v_fmac_f64_e32 v[34:35], v[236:237], v[114:115]
	s_waitcnt lgkmcnt(7)
	v_mul_f64 v[36:37], v[30:31], v[118:119]
	v_add_f64 v[0:1], v[0:1], v[34:35]
	s_waitcnt lgkmcnt(5)
	v_mul_f64 v[40:41], v[22:23], v[120:121]
	v_mul_f64 v[116:117], v[236:237], v[116:117]
	v_fmac_f64_e32 v[40:41], v[24:25], v[122:123]
	v_fma_f64 v[248:249], v[110:111], v[106:107], -v[108:109]
	v_mul_f64 v[38:39], v[26:27], v[124:125]
	v_fma_f64 v[250:251], v[234:235], v[114:115], -v[116:117]
	s_waitcnt lgkmcnt(3)
	v_mul_f64 v[44:45], v[14:15], v[126:127]
	v_mul_f64 v[24:25], v[24:25], v[120:121]
	v_fmac_f64_e32 v[44:45], v[16:17], v[128:129]
	v_fma_f64 v[22:23], v[22:23], v[122:123], -v[24:25]
	v_mul_f64 v[42:43], v[18:19], v[130:131]
	v_mul_f64 v[16:17], v[16:17], v[126:127]
	s_waitcnt lgkmcnt(1)
	v_mul_f64 v[48:49], v[6:7], v[132:133]
	v_fma_f64 v[14:15], v[14:15], v[128:129], -v[16:17]
	v_fmac_f64_e32 v[48:49], v[8:9], v[134:135]
	v_mul_f64 v[8:9], v[8:9], v[132:133]
	v_mul_f64 v[46:47], v[10:11], v[140:141]
	v_fma_f64 v[6:7], v[6:7], v[134:135], -v[8:9]
	s_waitcnt lgkmcnt(0)
	v_mul_f64 v[50:51], v[2:3], v[136:137]
	v_fmac_f64_e32 v[36:37], v[32:33], v[152:153]
	v_add_f64 v[0:1], v[0:1], v[36:37]
	v_fmac_f64_e32 v[38:39], v[28:29], v[150:151]
	v_add_f64 v[0:1], v[0:1], v[38:39]
	v_add_f64 v[0:1], v[0:1], v[40:41]
	ds_read_b128 v[38:41], v184 offset:1648
	ds_read_b128 v[34:37], v184 offset:1664
	buffer_load_dword v223, off, s[0:3], 0 offset:1004
	buffer_load_dword v222, off, s[0:3], 0 offset:1000
	;; [unrolled: 1-line block ×8, first 2 shown]
	v_fmac_f64_e32 v[42:43], v[20:21], v[148:149]
	v_add_f64 v[0:1], v[0:1], v[42:43]
	v_fmac_f64_e32 v[46:47], v[12:13], v[146:147]
	v_add_f64 v[0:1], v[0:1], v[44:45]
	v_add_f64 v[0:1], v[0:1], v[46:47]
	v_fmac_f64_e32 v[50:51], v[4:5], v[144:145]
	v_add_f64 v[0:1], v[0:1], v[48:49]
	s_waitcnt lgkmcnt(1)
	v_mul_f64 v[42:43], v[38:39], v[142:143]
	v_add_f64 v[0:1], v[0:1], v[50:51]
	v_fmac_f64_e32 v[42:43], v[40:41], v[154:155]
	v_add_f64 v[0:1], v[0:1], v[42:43]
	ds_read_b128 v[42:45], v184 offset:1680
	s_waitcnt lgkmcnt(1)
	v_mul_f64 v[46:47], v[34:35], v[172:173]
	v_fmac_f64_e32 v[46:47], v[36:37], v[176:177]
	v_add_f64 v[0:1], v[0:1], v[46:47]
	ds_read_b128 v[46:49], v184 offset:1696
	s_waitcnt lgkmcnt(1)
	v_mul_f64 v[50:51], v[42:43], v[156:157]
	v_fmac_f64_e32 v[50:51], v[44:45], v[158:159]
	v_add_f64 v[0:1], v[0:1], v[50:51]
	ds_read_b128 v[50:53], v184 offset:1712
	s_waitcnt vmcnt(62) lgkmcnt(1)
	v_mul_f64 v[54:55], v[46:47], v[180:181]
	v_fmac_f64_e32 v[54:55], v[48:49], v[186:187]
	v_add_f64 v[0:1], v[0:1], v[54:55]
	ds_read_b128 v[54:57], v184 offset:1728
	s_waitcnt lgkmcnt(1)
	v_mul_f64 v[58:59], v[50:51], v[160:161]
	v_fmac_f64_e32 v[58:59], v[52:53], v[162:163]
	v_add_f64 v[0:1], v[0:1], v[58:59]
	ds_read_b128 v[58:61], v184 offset:1744
	s_waitcnt vmcnt(58) lgkmcnt(1)
	v_mul_f64 v[62:63], v[54:55], v[190:191]
	s_waitcnt vmcnt(56)
	v_fmac_f64_e32 v[62:63], v[56:57], v[194:195]
	v_add_f64 v[0:1], v[0:1], v[62:63]
	ds_read_b128 v[62:65], v184 offset:1760
	s_waitcnt lgkmcnt(1)
	v_mul_f64 v[66:67], v[58:59], v[164:165]
	v_fmac_f64_e32 v[66:67], v[60:61], v[166:167]
	v_add_f64 v[0:1], v[0:1], v[66:67]
	ds_read_b128 v[66:69], v184 offset:1776
	s_waitcnt vmcnt(50) lgkmcnt(1)
	v_mul_f64 v[70:71], v[62:63], v[198:199]
	s_waitcnt vmcnt(48)
	;; [unrolled: 11-line block ×5, first 2 shown]
	v_fmac_f64_e32 v[94:95], v[88:89], v[220:221]
	v_add_f64 v[0:1], v[0:1], v[94:95]
	ds_read_b128 v[94:97], v184 offset:1888
	s_waitcnt lgkmcnt(1)
	v_mul_f64 v[98:99], v[90:91], v[192:193]
	v_fmac_f64_e32 v[98:99], v[92:93], v[196:197]
	v_add_f64 v[0:1], v[0:1], v[98:99]
	ds_read_b128 v[98:101], v184 offset:1904
	ds_read_b128 v[102:105], v184 offset:1920
	;; [unrolled: 1-line block ×5, first 2 shown]
	buffer_load_dword v252, off, s[0:3], 0 offset:504
	buffer_load_dword v253, off, s[0:3], 0 offset:508
	s_waitcnt vmcnt(20) lgkmcnt(5)
	v_mul_f64 v[238:239], v[94:95], v[224:225]
	s_waitcnt vmcnt(18)
	v_fmac_f64_e32 v[238:239], v[96:97], v[228:229]
	v_add_f64 v[0:1], v[0:1], v[238:239]
	s_waitcnt lgkmcnt(4)
	v_mul_f64 v[238:239], v[98:99], v[200:201]
	v_fmac_f64_e32 v[238:239], v[100:101], v[204:205]
	v_add_f64 v[0:1], v[0:1], v[238:239]
	s_waitcnt vmcnt(12) lgkmcnt(3)
	v_mul_f64 v[238:239], v[102:103], v[230:231]
	s_waitcnt vmcnt(10)
	v_fmac_f64_e32 v[238:239], v[104:105], v[232:233]
	s_waitcnt lgkmcnt(2)
	v_mul_f64 v[234:235], v[110:111], v[208:209]
	v_add_f64 v[0:1], v[0:1], v[238:239]
	v_fmac_f64_e32 v[234:235], v[112:113], v[212:213]
	v_add_f64 v[0:1], v[0:1], v[234:235]
	s_waitcnt vmcnt(4) lgkmcnt(1)
	v_mul_f64 v[234:235], v[106:107], v[242:243]
	s_waitcnt vmcnt(2)
	v_fmac_f64_e32 v[234:235], v[108:109], v[244:245]
	v_add_f64 v[0:1], v[0:1], v[234:235]
	s_waitcnt lgkmcnt(0)
	v_mul_f64 v[234:235], v[114:115], v[222:223]
	v_fmac_f64_e32 v[234:235], v[116:117], v[226:227]
	v_add_f64 v[246:247], v[0:1], v[234:235]
	v_add_f64 v[0:1], v[248:249], 0
	v_mul_f64 v[32:33], v[32:33], v[118:119]
	v_add_f64 v[0:1], v[0:1], v[250:251]
	v_fma_f64 v[30:31], v[30:31], v[152:153], -v[32:33]
	v_mul_f64 v[28:29], v[28:29], v[124:125]
	v_add_f64 v[0:1], v[0:1], v[30:31]
	v_fma_f64 v[26:27], v[26:27], v[150:151], -v[28:29]
	v_add_f64 v[0:1], v[0:1], v[26:27]
	v_mul_f64 v[20:21], v[20:21], v[130:131]
	v_add_f64 v[0:1], v[0:1], v[22:23]
	v_fma_f64 v[18:19], v[18:19], v[148:149], -v[20:21]
	v_add_f64 v[0:1], v[0:1], v[18:19]
	;; [unrolled: 4-line block ×4, first 2 shown]
	v_mul_f64 v[2:3], v[40:41], v[142:143]
	v_fma_f64 v[2:3], v[38:39], v[154:155], -v[2:3]
	v_add_f64 v[0:1], v[0:1], v[2:3]
	v_mul_f64 v[2:3], v[36:37], v[172:173]
	v_fma_f64 v[2:3], v[34:35], v[176:177], -v[2:3]
	v_add_f64 v[0:1], v[0:1], v[2:3]
	;; [unrolled: 3-line block ×21, first 2 shown]
	v_add_f64 v[0:1], v[138:139], -v[0:1]
	s_waitcnt vmcnt(0)
	v_add_f64 v[2:3], v[252:253], -v[246:247]
	buffer_store_dword v1, off, s[0:3], 0 offset:500
	buffer_store_dword v0, off, s[0:3], 0 offset:496
	;; [unrolled: 1-line block ×4, first 2 shown]
	s_and_saveexec_b64 s[4:5], vcc
	s_cbranch_execz .LBB125_339
; %bb.338:
	v_accvgpr_read_b32 v0, a156
	buffer_load_dword v2, v0, s[0:3], 0 offen
	buffer_load_dword v3, v0, s[0:3], 0 offen offset:4
	buffer_load_dword v4, v0, s[0:3], 0 offen offset:8
	;; [unrolled: 1-line block ×3, first 2 shown]
	v_accvgpr_read_b32 v0, a186
	buffer_store_dword v184, off, s[0:3], 0 offset:480
	buffer_store_dword v184, off, s[0:3], 0 offset:484
	;; [unrolled: 1-line block ×4, first 2 shown]
	s_waitcnt vmcnt(4)
	ds_write_b128 v0, v[2:5]
.LBB125_339:
	s_or_b64 exec, exec, s[4:5]
	s_waitcnt lgkmcnt(0)
	; wave barrier
	s_waitcnt lgkmcnt(0)
	buffer_load_dword v112, off, s[0:3], 0 offset:496
	buffer_load_dword v113, off, s[0:3], 0 offset:500
	;; [unrolled: 1-line block ×36, first 2 shown]
	ds_read_b128 v[102:105], v184 offset:1472
	ds_read_b128 v[106:109], v184 offset:1488
	;; [unrolled: 1-line block ×9, first 2 shown]
	buffer_load_dword v143, off, s[0:3], 0 offset:668
	buffer_load_dword v142, off, s[0:3], 0 offset:664
	;; [unrolled: 1-line block ×78, first 2 shown]
	s_waitcnt vmcnt(62) lgkmcnt(8)
	v_mul_f64 v[0:1], v[102:103], v[246:247]
	v_fmac_f64_e32 v[0:1], v[104:105], v[112:113]
	v_add_f64 v[0:1], v[0:1], 0
	v_mul_f64 v[104:105], v[104:105], v[246:247]
	s_waitcnt lgkmcnt(7)
	v_mul_f64 v[26:27], v[106:107], v[248:249]
	v_fmac_f64_e32 v[26:27], v[108:109], v[110:111]
	s_waitcnt lgkmcnt(6)
	v_mul_f64 v[28:29], v[114:115], v[244:245]
	v_add_f64 v[0:1], v[0:1], v[26:27]
	s_waitcnt lgkmcnt(4)
	v_mul_f64 v[32:33], v[18:19], v[118:119]
	v_fma_f64 v[246:247], v[102:103], v[112:113], -v[104:105]
	v_fmac_f64_e32 v[32:33], v[20:21], v[120:121]
	v_mul_f64 v[108:109], v[108:109], v[248:249]
	v_mul_f64 v[30:31], v[22:23], v[122:123]
	v_fma_f64 v[248:249], v[106:107], v[110:111], -v[108:109]
	s_waitcnt lgkmcnt(2)
	v_mul_f64 v[36:37], v[10:11], v[124:125]
	v_mul_f64 v[20:21], v[20:21], v[118:119]
	v_fmac_f64_e32 v[36:37], v[12:13], v[126:127]
	v_fma_f64 v[18:19], v[18:19], v[120:121], -v[20:21]
	v_mul_f64 v[34:35], v[14:15], v[130:131]
	v_mul_f64 v[12:13], v[12:13], v[124:125]
	s_waitcnt lgkmcnt(1)
	v_mul_f64 v[38:39], v[6:7], v[128:129]
	v_fma_f64 v[10:11], v[10:11], v[126:127], -v[12:13]
	v_fmac_f64_e32 v[28:29], v[116:117], v[250:251]
	v_add_f64 v[0:1], v[0:1], v[28:29]
	v_fmac_f64_e32 v[30:31], v[24:25], v[138:139]
	v_add_f64 v[0:1], v[0:1], v[30:31]
	;; [unrolled: 2-line block ×3, first 2 shown]
	v_add_f64 v[0:1], v[0:1], v[34:35]
	v_fmac_f64_e32 v[38:39], v[8:9], v[134:135]
	v_add_f64 v[0:1], v[0:1], v[36:37]
	v_add_f64 v[0:1], v[0:1], v[38:39]
	s_waitcnt lgkmcnt(0)
	v_mul_f64 v[30:31], v[2:3], v[132:133]
	v_fmac_f64_e32 v[30:31], v[4:5], v[140:141]
	ds_read_b128 v[26:29], v184 offset:1616
	v_add_f64 v[0:1], v[0:1], v[30:31]
	ds_read_b128 v[30:33], v184 offset:1632
	buffer_load_dword v223, off, s[0:3], 0 offset:932
	buffer_load_dword v222, off, s[0:3], 0 offset:928
	v_mul_f64 v[116:117], v[116:117], v[244:245]
	s_waitcnt lgkmcnt(1)
	v_mul_f64 v[34:35], v[26:27], v[146:147]
	v_fmac_f64_e32 v[34:35], v[28:29], v[148:149]
	v_add_f64 v[0:1], v[0:1], v[34:35]
	ds_read_b128 v[34:37], v184 offset:1648
	s_waitcnt lgkmcnt(1)
	v_mul_f64 v[38:39], v[30:31], v[142:143]
	v_fmac_f64_e32 v[38:39], v[32:33], v[144:145]
	v_add_f64 v[0:1], v[0:1], v[38:39]
	ds_read_b128 v[38:41], v184 offset:1664
	;; [unrolled: 5-line block ×4, first 2 shown]
	buffer_load_dword v225, off, s[0:3], 0 offset:988
	buffer_load_dword v227, off, s[0:3], 0 offset:972
	;; [unrolled: 1-line block ×12, first 2 shown]
	s_waitcnt vmcnt(62) lgkmcnt(1)
	v_mul_f64 v[50:51], v[42:43], v[174:175]
	v_fmac_f64_e32 v[50:51], v[44:45], v[178:179]
	v_add_f64 v[0:1], v[0:1], v[50:51]
	ds_read_b128 v[50:53], v184 offset:1712
	s_waitcnt lgkmcnt(1)
	v_mul_f64 v[54:55], v[46:47], v[154:155]
	v_fmac_f64_e32 v[54:55], v[48:49], v[156:157]
	v_add_f64 v[0:1], v[0:1], v[54:55]
	ds_read_b128 v[54:57], v184 offset:1728
	s_waitcnt lgkmcnt(1)
	v_mul_f64 v[58:59], v[50:51], v[182:183]
	s_waitcnt vmcnt(60)
	v_fmac_f64_e32 v[58:59], v[52:53], v[188:189]
	v_add_f64 v[0:1], v[0:1], v[58:59]
	ds_read_b128 v[58:61], v184 offset:1744
	s_waitcnt lgkmcnt(1)
	v_mul_f64 v[62:63], v[54:55], v[162:163]
	v_fmac_f64_e32 v[62:63], v[56:57], v[164:165]
	v_add_f64 v[0:1], v[0:1], v[62:63]
	ds_read_b128 v[62:65], v184 offset:1760
	s_waitcnt vmcnt(54) lgkmcnt(1)
	v_mul_f64 v[66:67], v[58:59], v[192:193]
	s_waitcnt vmcnt(52)
	v_fmac_f64_e32 v[66:67], v[60:61], v[196:197]
	v_add_f64 v[0:1], v[0:1], v[66:67]
	ds_read_b128 v[66:69], v184 offset:1776
	s_waitcnt lgkmcnt(1)
	v_mul_f64 v[70:71], v[62:63], v[166:167]
	v_fmac_f64_e32 v[70:71], v[64:65], v[168:169]
	v_add_f64 v[0:1], v[0:1], v[70:71]
	ds_read_b128 v[70:73], v184 offset:1792
	s_waitcnt vmcnt(46) lgkmcnt(1)
	;; [unrolled: 11-line block ×4, first 2 shown]
	v_mul_f64 v[90:91], v[82:83], v[212:213]
	s_waitcnt vmcnt(28)
	v_fmac_f64_e32 v[90:91], v[84:85], v[214:215]
	v_add_f64 v[0:1], v[0:1], v[90:91]
	ds_read_b128 v[90:93], v184 offset:1872
	ds_read_b128 v[94:97], v184 offset:1888
	s_waitcnt lgkmcnt(2)
	v_mul_f64 v[98:99], v[86:87], v[186:187]
	v_fmac_f64_e32 v[98:99], v[88:89], v[190:191]
	v_add_f64 v[0:1], v[0:1], v[98:99]
	s_waitcnt vmcnt(22) lgkmcnt(1)
	v_mul_f64 v[98:99], v[90:91], v[216:217]
	s_waitcnt vmcnt(20)
	v_fmac_f64_e32 v[98:99], v[92:93], v[218:219]
	v_add_f64 v[0:1], v[0:1], v[98:99]
	s_waitcnt lgkmcnt(0)
	v_mul_f64 v[98:99], v[94:95], v[194:195]
	v_fmac_f64_e32 v[98:99], v[96:97], v[198:199]
	v_add_f64 v[0:1], v[0:1], v[98:99]
	ds_read_b128 v[98:101], v184 offset:1904
	ds_read_b128 v[102:105], v184 offset:1920
	;; [unrolled: 1-line block ×3, first 2 shown]
	v_fma_f64 v[250:251], v[114:115], v[250:251], -v[116:117]
	ds_read_b128 v[114:117], v184 offset:1968
	s_waitcnt vmcnt(14) lgkmcnt(3)
	v_mul_f64 v[112:113], v[98:99], v[220:221]
	s_waitcnt lgkmcnt(2)
	v_mul_f64 v[110:111], v[102:103], v[202:203]
	s_waitcnt vmcnt(12)
	v_fmac_f64_e32 v[112:113], v[100:101], v[222:223]
	v_add_f64 v[0:1], v[0:1], v[112:113]
	v_fmac_f64_e32 v[110:111], v[104:105], v[206:207]
	v_add_f64 v[0:1], v[0:1], v[110:111]
	ds_read_b128 v[110:113], v184 offset:1952
	buffer_load_dword v254, off, s[0:3], 0 offset:480
	buffer_load_dword v255, off, s[0:3], 0 offset:484
	;; [unrolled: 1-line block ×4, first 2 shown]
	v_mul_f64 v[24:25], v[24:25], v[122:123]
	v_fma_f64 v[22:23], v[22:23], v[138:139], -v[24:25]
	v_mul_f64 v[16:17], v[16:17], v[130:131]
	s_waitcnt vmcnt(13) lgkmcnt(2)
	v_mul_f64 v[234:235], v[106:107], v[226:227]
	v_fma_f64 v[14:15], v[14:15], v[136:137], -v[16:17]
	s_waitcnt vmcnt(11)
	v_fmac_f64_e32 v[234:235], v[108:109], v[232:233]
	s_waitcnt vmcnt(10) lgkmcnt(0)
	v_mul_f64 v[184:185], v[110:111], v[224:225]
	v_add_f64 v[0:1], v[0:1], v[234:235]
	s_waitcnt vmcnt(8)
	v_fmac_f64_e32 v[184:185], v[112:113], v[230:231]
	v_add_f64 v[0:1], v[0:1], v[184:185]
	s_waitcnt vmcnt(6)
	v_mul_f64 v[184:185], v[114:115], v[228:229]
	v_mul_f64 v[8:9], v[8:9], v[128:129]
	s_waitcnt vmcnt(4)
	v_fmac_f64_e32 v[184:185], v[116:117], v[242:243]
	v_add_f64 v[244:245], v[0:1], v[184:185]
	v_add_f64 v[0:1], v[246:247], 0
	;; [unrolled: 1-line block ×8, first 2 shown]
	v_fma_f64 v[6:7], v[6:7], v[134:135], -v[8:9]
	v_mul_f64 v[4:5], v[4:5], v[132:133]
	v_add_f64 v[0:1], v[0:1], v[6:7]
	v_fma_f64 v[2:3], v[2:3], v[140:141], -v[4:5]
	v_add_f64 v[0:1], v[0:1], v[2:3]
	v_mul_f64 v[2:3], v[28:29], v[146:147]
	v_fma_f64 v[2:3], v[26:27], v[148:149], -v[2:3]
	v_add_f64 v[0:1], v[0:1], v[2:3]
	v_mul_f64 v[2:3], v[32:33], v[142:143]
	;; [unrolled: 3-line block ×23, first 2 shown]
	v_fma_f64 v[2:3], v[114:115], v[242:243], -v[2:3]
	v_add_f64 v[0:1], v[0:1], v[2:3]
	v_accvgpr_read_b32 v185, a185
	s_waitcnt vmcnt(2)
	v_add_f64 v[0:1], v[254:255], -v[0:1]
	v_cmp_lt_u32_e32 vcc, 28, v185
	s_waitcnt vmcnt(0)
	v_add_f64 v[2:3], v[252:253], -v[244:245]
	buffer_store_dword v1, off, s[0:3], 0 offset:484
	buffer_store_dword v0, off, s[0:3], 0 offset:480
	;; [unrolled: 1-line block ×4, first 2 shown]
	s_and_saveexec_b64 s[4:5], vcc
	s_cbranch_execz .LBB125_341
; %bb.340:
	v_accvgpr_read_b32 v0, a157
	buffer_load_dword v2, v0, s[0:3], 0 offen
	buffer_load_dword v3, v0, s[0:3], 0 offen offset:4
	buffer_load_dword v4, v0, s[0:3], 0 offen offset:8
	buffer_load_dword v5, v0, s[0:3], 0 offen offset:12
	v_mov_b32_e32 v0, 0
	v_accvgpr_read_b32 v1, a186
	buffer_store_dword v0, off, s[0:3], 0 offset:464
	buffer_store_dword v0, off, s[0:3], 0 offset:468
	;; [unrolled: 1-line block ×4, first 2 shown]
	s_waitcnt vmcnt(4)
	ds_write_b128 v1, v[2:5]
.LBB125_341:
	s_or_b64 exec, exec, s[4:5]
	s_waitcnt lgkmcnt(0)
	; wave barrier
	s_waitcnt lgkmcnt(0)
	buffer_load_dword v94, off, s[0:3], 0 offset:480
	buffer_load_dword v95, off, s[0:3], 0 offset:484
	;; [unrolled: 1-line block ×52, first 2 shown]
	v_mov_b32_e32 v184, 0
	ds_read_b128 v[102:105], v184 offset:1456
	ds_read_b128 v[114:117], v184 offset:1472
	;; [unrolled: 1-line block ×10, first 2 shown]
	v_cmp_lt_u32_e32 vcc, 27, v185
	s_waitcnt vmcnt(48) lgkmcnt(9)
	v_mul_f64 v[0:1], v[102:103], v[96:97]
	v_fmac_f64_e32 v[0:1], v[104:105], v[94:95]
	v_add_f64 v[0:1], v[0:1], 0
	v_mul_f64 v[96:97], v[104:105], v[96:97]
	s_waitcnt vmcnt(44) lgkmcnt(8)
	v_mul_f64 v[26:27], v[114:115], v[100:101]
	v_fmac_f64_e32 v[26:27], v[116:117], v[98:99]
	s_waitcnt vmcnt(42) lgkmcnt(7)
	v_mul_f64 v[28:29], v[234:235], v[106:107]
	v_add_f64 v[0:1], v[0:1], v[26:27]
	s_waitcnt vmcnt(40) lgkmcnt(5)
	v_mul_f64 v[32:33], v[22:23], v[120:121]
	v_fma_f64 v[250:251], v[102:103], v[94:95], -v[96:97]
	s_waitcnt vmcnt(38)
	v_fmac_f64_e32 v[32:33], v[24:25], v[124:125]
	v_mul_f64 v[100:101], v[116:117], v[100:101]
	s_waitcnt vmcnt(36)
	v_mul_f64 v[30:31], v[238:239], v[110:111]
	v_fma_f64 v[252:253], v[114:115], v[98:99], -v[100:101]
	s_waitcnt vmcnt(34) lgkmcnt(3)
	v_mul_f64 v[36:37], v[14:15], v[118:119]
	v_mul_f64 v[106:107], v[236:237], v[106:107]
	s_waitcnt vmcnt(32)
	v_fmac_f64_e32 v[36:37], v[16:17], v[122:123]
	v_mul_f64 v[110:111], v[240:241], v[110:111]
	s_waitcnt vmcnt(30)
	v_mul_f64 v[34:35], v[18:19], v[130:131]
	v_mul_f64 v[24:25], v[24:25], v[120:121]
	v_fma_f64 v[22:23], v[22:23], v[124:125], -v[24:25]
	s_waitcnt vmcnt(27) lgkmcnt(2)
	v_mul_f64 v[38:39], v[10:11], v[128:129]
	s_waitcnt vmcnt(26) lgkmcnt(1)
	v_mul_f64 v[40:41], v[6:7], v[126:127]
	v_mul_f64 v[16:17], v[16:17], v[118:119]
	s_waitcnt vmcnt(24)
	v_fmac_f64_e32 v[28:29], v[236:237], v[108:109]
	v_add_f64 v[0:1], v[0:1], v[28:29]
	s_waitcnt vmcnt(22)
	v_fmac_f64_e32 v[30:31], v[240:241], v[112:113]
	v_add_f64 v[0:1], v[0:1], v[30:31]
	v_add_f64 v[0:1], v[0:1], v[32:33]
	ds_read_b128 v[26:29], v184 offset:1616
	ds_read_b128 v[30:33], v184 offset:1632
	buffer_load_dword v155, off, s[0:3], 0 offset:716
	buffer_load_dword v154, off, s[0:3], 0 offset:712
	;; [unrolled: 1-line block ×56, first 2 shown]
	s_waitcnt vmcnt(62)
	v_fmac_f64_e32 v[34:35], v[20:21], v[134:135]
	v_add_f64 v[0:1], v[0:1], v[34:35]
	v_fmac_f64_e32 v[38:39], v[12:13], v[132:133]
	v_add_f64 v[0:1], v[0:1], v[36:37]
	v_add_f64 v[0:1], v[0:1], v[38:39]
	v_fmac_f64_e32 v[40:41], v[8:9], v[138:139]
	s_waitcnt lgkmcnt(2)
	v_mul_f64 v[34:35], v[2:3], v[142:143]
	v_add_f64 v[0:1], v[0:1], v[40:41]
	v_fmac_f64_e32 v[34:35], v[4:5], v[144:145]
	v_add_f64 v[0:1], v[0:1], v[34:35]
	s_waitcnt lgkmcnt(1)
	v_mul_f64 v[34:35], v[26:27], v[136:137]
	v_fmac_f64_e32 v[34:35], v[28:29], v[140:141]
	v_add_f64 v[0:1], v[0:1], v[34:35]
	s_waitcnt lgkmcnt(0)
	v_mul_f64 v[34:35], v[30:31], v[146:147]
	s_waitcnt vmcnt(60)
	v_fmac_f64_e32 v[34:35], v[32:33], v[150:151]
	v_add_f64 v[0:1], v[0:1], v[34:35]
	ds_read_b128 v[34:37], v184 offset:1648
	buffer_load_dword v201, off, s[0:3], 0 offset:940
	buffer_load_dword v200, off, s[0:3], 0 offset:936
	;; [unrolled: 1-line block ×16, first 2 shown]
	ds_read_b128 v[38:41], v184 offset:1664
	buffer_load_dword v223, off, s[0:3], 0 offset:1004
	buffer_load_dword v222, off, s[0:3], 0 offset:1000
	;; [unrolled: 1-line block ×8, first 2 shown]
	ds_read_b128 v[98:101], v184 offset:1904
	s_waitcnt vmcnt(62) lgkmcnt(2)
	v_mul_f64 v[42:43], v[34:35], v[148:149]
	v_fmac_f64_e32 v[42:43], v[36:37], v[152:153]
	v_add_f64 v[0:1], v[0:1], v[42:43]
	ds_read_b128 v[42:45], v184 offset:1680
	v_fma_f64 v[248:249], v[234:235], v[108:109], -v[106:107]
	ds_read_b128 v[106:109], v184 offset:1936
	v_fma_f64 v[246:247], v[238:239], v[112:113], -v[110:111]
	v_mul_f64 v[20:21], v[20:21], v[130:131]
	s_waitcnt lgkmcnt(3)
	v_mul_f64 v[46:47], v[38:39], v[170:171]
	v_fma_f64 v[18:19], v[18:19], v[134:135], -v[20:21]
	v_fmac_f64_e32 v[46:47], v[40:41], v[174:175]
	v_add_f64 v[0:1], v[0:1], v[46:47]
	ds_read_b128 v[46:49], v184 offset:1696
	s_waitcnt lgkmcnt(2)
	v_mul_f64 v[50:51], v[42:43], v[154:155]
	v_fmac_f64_e32 v[50:51], v[44:45], v[156:157]
	v_add_f64 v[0:1], v[0:1], v[50:51]
	ds_read_b128 v[50:53], v184 offset:1712
	s_waitcnt lgkmcnt(1)
	v_mul_f64 v[54:55], v[46:47], v[178:179]
	;; [unrolled: 5-line block ×3, first 2 shown]
	v_fmac_f64_e32 v[58:59], v[52:53], v[160:161]
	v_add_f64 v[0:1], v[0:1], v[58:59]
	ds_read_b128 v[58:61], v184 offset:1744
	s_waitcnt vmcnt(58) lgkmcnt(1)
	v_mul_f64 v[62:63], v[54:55], v[188:189]
	s_waitcnt vmcnt(56)
	v_fmac_f64_e32 v[62:63], v[56:57], v[192:193]
	v_add_f64 v[0:1], v[0:1], v[62:63]
	ds_read_b128 v[62:65], v184 offset:1760
	s_waitcnt lgkmcnt(1)
	v_mul_f64 v[66:67], v[58:59], v[162:163]
	v_fmac_f64_e32 v[66:67], v[60:61], v[164:165]
	v_add_f64 v[0:1], v[0:1], v[66:67]
	ds_read_b128 v[66:69], v184 offset:1776
	s_waitcnt vmcnt(50) lgkmcnt(1)
	v_mul_f64 v[70:71], v[62:63], v[196:197]
	s_waitcnt vmcnt(48)
	v_fmac_f64_e32 v[70:71], v[64:65], v[198:199]
	v_add_f64 v[0:1], v[0:1], v[70:71]
	ds_read_b128 v[70:73], v184 offset:1792
	s_waitcnt lgkmcnt(1)
	v_mul_f64 v[74:75], v[66:67], v[166:167]
	;; [unrolled: 11-line block ×3, first 2 shown]
	v_fmac_f64_e32 v[82:83], v[76:77], v[176:177]
	v_add_f64 v[0:1], v[0:1], v[82:83]
	ds_read_b128 v[82:85], v184 offset:1840
	ds_read_b128 v[86:89], v184 offset:1856
	s_waitcnt vmcnt(34) lgkmcnt(2)
	v_mul_f64 v[90:91], v[78:79], v[210:211]
	s_waitcnt vmcnt(32)
	v_fmac_f64_e32 v[90:91], v[80:81], v[216:217]
	v_add_f64 v[0:1], v[0:1], v[90:91]
	s_waitcnt lgkmcnt(1)
	v_mul_f64 v[90:91], v[82:83], v[180:181]
	v_fmac_f64_e32 v[90:91], v[84:85], v[186:187]
	v_add_f64 v[0:1], v[0:1], v[90:91]
	s_waitcnt vmcnt(27) lgkmcnt(0)
	v_mul_f64 v[90:91], v[86:87], v[214:215]
	s_waitcnt vmcnt(25)
	v_fmac_f64_e32 v[90:91], v[88:89], v[218:219]
	v_add_f64 v[0:1], v[0:1], v[90:91]
	ds_read_b128 v[90:93], v184 offset:1872
	ds_read_b128 v[94:97], v184 offset:1888
	v_fma_f64 v[14:15], v[14:15], v[122:123], -v[16:17]
	v_mul_f64 v[12:13], v[12:13], v[128:129]
	v_fma_f64 v[10:11], v[10:11], v[132:133], -v[12:13]
	s_waitcnt lgkmcnt(1)
	v_mul_f64 v[102:103], v[90:91], v[190:191]
	s_waitcnt vmcnt(24)
	v_fmac_f64_e32 v[102:103], v[92:93], v[194:195]
	v_add_f64 v[0:1], v[0:1], v[102:103]
	s_waitcnt vmcnt(18) lgkmcnt(0)
	v_mul_f64 v[102:103], v[94:95], v[220:221]
	s_waitcnt vmcnt(16)
	v_fmac_f64_e32 v[102:103], v[96:97], v[224:225]
	v_add_f64 v[0:1], v[0:1], v[102:103]
	v_mul_f64 v[102:103], v[98:99], v[200:201]
	v_fmac_f64_e32 v[102:103], v[100:101], v[204:205]
	v_add_f64 v[0:1], v[0:1], v[102:103]
	ds_read_b128 v[102:105], v184 offset:1920
	ds_read_b128 v[110:113], v184 offset:1952
	v_mul_f64 v[8:9], v[8:9], v[126:127]
	v_fma_f64 v[6:7], v[6:7], v[138:139], -v[8:9]
	v_mul_f64 v[4:5], v[4:5], v[142:143]
	s_waitcnt vmcnt(10) lgkmcnt(1)
	v_mul_f64 v[114:115], v[102:103], v[228:229]
	s_waitcnt vmcnt(8)
	v_fmac_f64_e32 v[114:115], v[104:105], v[230:231]
	v_add_f64 v[0:1], v[0:1], v[114:115]
	v_mul_f64 v[114:115], v[106:107], v[208:209]
	v_fmac_f64_e32 v[114:115], v[108:109], v[212:213]
	v_add_f64 v[0:1], v[0:1], v[114:115]
	s_waitcnt vmcnt(2) lgkmcnt(0)
	v_mul_f64 v[114:115], v[110:111], v[232:233]
	s_waitcnt vmcnt(0)
	v_fmac_f64_e32 v[114:115], v[112:113], v[242:243]
	v_add_f64 v[0:1], v[0:1], v[114:115]
	ds_read_b128 v[114:117], v184 offset:1968
	v_fma_f64 v[2:3], v[2:3], v[144:145], -v[4:5]
	s_waitcnt lgkmcnt(0)
	v_mul_f64 v[234:235], v[114:115], v[222:223]
	v_fmac_f64_e32 v[234:235], v[116:117], v[226:227]
	v_add_f64 v[244:245], v[0:1], v[234:235]
	v_add_f64 v[0:1], v[250:251], 0
	;; [unrolled: 1-line block ×3, first 2 shown]
	buffer_load_dword v252, off, s[0:3], 0 offset:464
	buffer_load_dword v253, off, s[0:3], 0 offset:468
	v_add_f64 v[0:1], v[250:251], v[248:249]
	buffer_load_dword v248, off, s[0:3], 0 offset:472
	buffer_load_dword v249, off, s[0:3], 0 offset:476
	v_add_f64 v[0:1], v[0:1], v[246:247]
	v_add_f64 v[0:1], v[0:1], v[22:23]
	;; [unrolled: 1-line block ×7, first 2 shown]
	v_mul_f64 v[2:3], v[28:29], v[136:137]
	v_fma_f64 v[2:3], v[26:27], v[140:141], -v[2:3]
	v_add_f64 v[0:1], v[0:1], v[2:3]
	v_mul_f64 v[2:3], v[32:33], v[146:147]
	v_fma_f64 v[2:3], v[30:31], v[150:151], -v[2:3]
	v_add_f64 v[0:1], v[0:1], v[2:3]
	;; [unrolled: 3-line block ×23, first 2 shown]
	s_waitcnt vmcnt(2)
	v_add_f64 v[0:1], v[252:253], -v[0:1]
	s_waitcnt vmcnt(0)
	v_add_f64 v[2:3], v[248:249], -v[244:245]
	buffer_store_dword v1, off, s[0:3], 0 offset:468
	buffer_store_dword v0, off, s[0:3], 0 offset:464
	;; [unrolled: 1-line block ×4, first 2 shown]
	s_and_saveexec_b64 s[4:5], vcc
	s_cbranch_execz .LBB125_343
; %bb.342:
	v_accvgpr_read_b32 v0, a158
	buffer_load_dword v2, v0, s[0:3], 0 offen
	buffer_load_dword v3, v0, s[0:3], 0 offen offset:4
	buffer_load_dword v4, v0, s[0:3], 0 offen offset:8
	buffer_load_dword v5, v0, s[0:3], 0 offen offset:12
	v_accvgpr_read_b32 v0, a186
	buffer_store_dword v184, off, s[0:3], 0 offset:448
	buffer_store_dword v184, off, s[0:3], 0 offset:452
	;; [unrolled: 1-line block ×4, first 2 shown]
	s_waitcnt vmcnt(4)
	ds_write_b128 v0, v[2:5]
.LBB125_343:
	s_or_b64 exec, exec, s[4:5]
	s_waitcnt lgkmcnt(0)
	; wave barrier
	s_waitcnt lgkmcnt(0)
	buffer_load_dword v86, off, s[0:3], 0 offset:464
	buffer_load_dword v87, off, s[0:3], 0 offset:468
	;; [unrolled: 1-line block ×42, first 2 shown]
	ds_read_b128 v[94:97], v184 offset:1440
	ds_read_b128 v[106:109], v184 offset:1456
	;; [unrolled: 1-line block ×10, first 2 shown]
	buffer_load_dword v145, off, s[0:3], 0 offset:612
	buffer_load_dword v144, off, s[0:3], 0 offset:608
	ds_read_b128 v[6:9], v184 offset:1600
	buffer_load_dword v141, off, s[0:3], 0 offset:668
	buffer_load_dword v140, off, s[0:3], 0 offset:664
	;; [unrolled: 1-line block ×80, first 2 shown]
	s_waitcnt vmcnt(62) lgkmcnt(10)
	v_mul_f64 v[0:1], v[94:95], v[88:89]
	v_fmac_f64_e32 v[0:1], v[96:97], v[86:87]
	v_add_f64 v[0:1], v[0:1], 0
	v_mul_f64 v[88:89], v[96:97], v[88:89]
	s_waitcnt lgkmcnt(9)
	v_mul_f64 v[26:27], v[106:107], v[92:93]
	v_fmac_f64_e32 v[26:27], v[108:109], v[90:91]
	s_waitcnt lgkmcnt(8)
	v_mul_f64 v[28:29], v[114:115], v[98:99]
	v_add_f64 v[0:1], v[0:1], v[26:27]
	s_waitcnt lgkmcnt(6)
	v_mul_f64 v[32:33], v[238:239], v[110:111]
	v_fma_f64 v[250:251], v[94:95], v[86:87], -v[88:89]
	v_fmac_f64_e32 v[32:33], v[240:241], v[112:113]
	v_mul_f64 v[92:93], v[108:109], v[92:93]
	v_mul_f64 v[30:31], v[234:235], v[102:103]
	v_fma_f64 v[252:253], v[106:107], v[90:91], -v[92:93]
	s_waitcnt lgkmcnt(4)
	v_mul_f64 v[36:37], v[18:19], v[118:119]
	v_mul_f64 v[98:99], v[116:117], v[98:99]
	v_fmac_f64_e32 v[36:37], v[20:21], v[120:121]
	v_mul_f64 v[102:103], v[236:237], v[102:103]
	v_mul_f64 v[34:35], v[22:23], v[122:123]
	;; [unrolled: 1-line block ×3, first 2 shown]
	s_waitcnt lgkmcnt(2)
	v_mul_f64 v[40:41], v[10:11], v[124:125]
	v_fma_f64 v[248:249], v[238:239], v[112:113], -v[110:111]
	v_mul_f64 v[20:21], v[20:21], v[118:119]
	v_mul_f64 v[38:39], v[14:15], v[130:131]
	v_fma_f64 v[18:19], v[18:19], v[120:121], -v[20:21]
	s_waitcnt lgkmcnt(1)
	v_mul_f64 v[42:43], v[2:3], v[128:129]
	v_fmac_f64_e32 v[28:29], v[116:117], v[100:101]
	v_add_f64 v[0:1], v[0:1], v[28:29]
	v_fmac_f64_e32 v[30:31], v[236:237], v[104:105]
	v_add_f64 v[0:1], v[0:1], v[30:31]
	;; [unrolled: 2-line block ×3, first 2 shown]
	v_add_f64 v[0:1], v[0:1], v[34:35]
	ds_read_b128 v[26:29], v184 offset:1616
	v_fmac_f64_e32 v[38:39], v[16:17], v[132:133]
	v_add_f64 v[0:1], v[0:1], v[36:37]
	v_fmac_f64_e32 v[40:41], v[12:13], v[126:127]
	v_add_f64 v[0:1], v[0:1], v[38:39]
	v_add_f64 v[0:1], v[0:1], v[40:41]
	v_fmac_f64_e32 v[42:43], v[4:5], v[144:145]
	s_waitcnt lgkmcnt(1)
	v_mul_f64 v[30:31], v[6:7], v[136:137]
	v_add_f64 v[0:1], v[0:1], v[42:43]
	v_fmac_f64_e32 v[30:31], v[8:9], v[138:139]
	v_add_f64 v[0:1], v[0:1], v[30:31]
	ds_read_b128 v[30:33], v184 offset:1632
	s_waitcnt lgkmcnt(1)
	v_mul_f64 v[34:35], v[26:27], v[146:147]
	v_fmac_f64_e32 v[34:35], v[28:29], v[162:163]
	v_add_f64 v[0:1], v[0:1], v[34:35]
	ds_read_b128 v[34:37], v184 offset:1648
	s_waitcnt lgkmcnt(1)
	v_mul_f64 v[38:39], v[30:31], v[140:141]
	v_fmac_f64_e32 v[38:39], v[32:33], v[142:143]
	v_add_f64 v[0:1], v[0:1], v[38:39]
	ds_read_b128 v[38:41], v184 offset:1664
	s_waitcnt lgkmcnt(1)
	v_mul_f64 v[42:43], v[34:35], v[166:167]
	v_fmac_f64_e32 v[42:43], v[36:37], v[170:171]
	v_add_f64 v[0:1], v[0:1], v[42:43]
	ds_read_b128 v[42:45], v184 offset:1680
	s_waitcnt lgkmcnt(1)
	v_mul_f64 v[46:47], v[38:39], v[148:149]
	v_fmac_f64_e32 v[46:47], v[40:41], v[150:151]
	v_add_f64 v[0:1], v[0:1], v[46:47]
	ds_read_b128 v[46:49], v184 offset:1696
	s_waitcnt vmcnt(58) lgkmcnt(1)
	v_mul_f64 v[50:51], v[42:43], v[174:175]
	s_waitcnt vmcnt(56)
	v_fmac_f64_e32 v[50:51], v[44:45], v[178:179]
	v_add_f64 v[0:1], v[0:1], v[50:51]
	ds_read_b128 v[50:53], v184 offset:1712
	buffer_load_dword v224, off, s[0:3], 0 offset:984
	buffer_load_dword v229, off, s[0:3], 0 offset:972
	;; [unrolled: 1-line block ×8, first 2 shown]
	s_waitcnt lgkmcnt(1)
	v_mul_f64 v[54:55], v[46:47], v[152:153]
	v_fmac_f64_e32 v[54:55], v[48:49], v[154:155]
	v_add_f64 v[0:1], v[0:1], v[54:55]
	ds_read_b128 v[54:57], v184 offset:1728
	buffer_load_dword v233, off, s[0:3], 0 offset:1004
	buffer_load_dword v232, off, s[0:3], 0 offset:1000
	buffer_load_dword v243, off, s[0:3], 0 offset:996
	buffer_load_dword v242, off, s[0:3], 0 offset:992
	s_waitcnt vmcnt(62) lgkmcnt(1)
	v_mul_f64 v[58:59], v[50:51], v[182:183]
	s_waitcnt vmcnt(60)
	v_fmac_f64_e32 v[58:59], v[52:53], v[188:189]
	v_add_f64 v[0:1], v[0:1], v[58:59]
	ds_read_b128 v[58:61], v184 offset:1744
	s_waitcnt lgkmcnt(1)
	v_mul_f64 v[62:63], v[54:55], v[156:157]
	v_fmac_f64_e32 v[62:63], v[56:57], v[158:159]
	v_add_f64 v[0:1], v[0:1], v[62:63]
	ds_read_b128 v[62:65], v184 offset:1760
	s_waitcnt vmcnt(54) lgkmcnt(1)
	v_mul_f64 v[66:67], v[58:59], v[192:193]
	s_waitcnt vmcnt(52)
	v_fmac_f64_e32 v[66:67], v[60:61], v[196:197]
	v_add_f64 v[0:1], v[0:1], v[66:67]
	ds_read_b128 v[66:69], v184 offset:1776
	s_waitcnt lgkmcnt(1)
	v_mul_f64 v[70:71], v[62:63], v[160:161]
	v_fmac_f64_e32 v[70:71], v[64:65], v[164:165]
	v_add_f64 v[0:1], v[0:1], v[70:71]
	ds_read_b128 v[70:73], v184 offset:1792
	s_waitcnt vmcnt(46) lgkmcnt(1)
	v_mul_f64 v[74:75], v[66:67], v[200:201]
	s_waitcnt vmcnt(44)
	v_fmac_f64_e32 v[74:75], v[68:69], v[204:205]
	v_add_f64 v[0:1], v[0:1], v[74:75]
	ds_read_b128 v[74:77], v184 offset:1808
	ds_read_b128 v[78:81], v184 offset:1824
	s_waitcnt lgkmcnt(2)
	v_mul_f64 v[82:83], v[70:71], v[168:169]
	v_fmac_f64_e32 v[82:83], v[72:73], v[172:173]
	v_add_f64 v[0:1], v[0:1], v[82:83]
	s_waitcnt vmcnt(38) lgkmcnt(1)
	v_mul_f64 v[82:83], v[74:75], v[208:209]
	s_waitcnt vmcnt(36)
	v_fmac_f64_e32 v[82:83], v[76:77], v[210:211]
	v_add_f64 v[0:1], v[0:1], v[82:83]
	s_waitcnt lgkmcnt(0)
	v_mul_f64 v[82:83], v[78:79], v[176:177]
	v_fmac_f64_e32 v[82:83], v[80:81], v[180:181]
	v_add_f64 v[0:1], v[0:1], v[82:83]
	ds_read_b128 v[82:85], v184 offset:1840
	ds_read_b128 v[86:89], v184 offset:1856
	;; [unrolled: 1-line block ×3, first 2 shown]
	v_fma_f64 v[254:255], v[114:115], v[100:101], -v[98:99]
	ds_read_b128 v[98:101], v184 offset:1904
	s_waitcnt vmcnt(30) lgkmcnt(3)
	v_mul_f64 v[94:95], v[82:83], v[212:213]
	s_waitcnt vmcnt(28)
	v_fmac_f64_e32 v[94:95], v[84:85], v[214:215]
	v_add_f64 v[0:1], v[0:1], v[94:95]
	s_waitcnt lgkmcnt(2)
	v_mul_f64 v[94:95], v[86:87], v[186:187]
	v_fmac_f64_e32 v[94:95], v[88:89], v[190:191]
	v_add_f64 v[0:1], v[0:1], v[94:95]
	ds_read_b128 v[94:97], v184 offset:1888
	s_waitcnt vmcnt(22) lgkmcnt(2)
	v_mul_f64 v[106:107], v[90:91], v[216:217]
	s_waitcnt vmcnt(20)
	v_fmac_f64_e32 v[106:107], v[92:93], v[218:219]
	v_add_f64 v[0:1], v[0:1], v[106:107]
	v_fma_f64 v[246:247], v[234:235], v[104:105], -v[102:103]
	s_waitcnt lgkmcnt(0)
	v_mul_f64 v[106:107], v[94:95], v[194:195]
	v_fmac_f64_e32 v[106:107], v[96:97], v[198:199]
	v_add_f64 v[0:1], v[0:1], v[106:107]
	ds_read_b128 v[106:109], v184 offset:1920
	ds_read_b128 v[102:105], v184 offset:1936
	ds_read_b128 v[110:113], v184 offset:1952
	s_waitcnt vmcnt(14)
	v_mul_f64 v[114:115], v[98:99], v[220:221]
	s_waitcnt vmcnt(12)
	v_fmac_f64_e32 v[114:115], v[100:101], v[222:223]
	v_add_f64 v[0:1], v[0:1], v[114:115]
	s_waitcnt lgkmcnt(2)
	v_mul_f64 v[114:115], v[106:107], v[202:203]
	v_fmac_f64_e32 v[114:115], v[108:109], v[206:207]
	v_add_f64 v[0:1], v[0:1], v[114:115]
	v_mul_f64 v[24:25], v[24:25], v[122:123]
	v_fma_f64 v[22:23], v[22:23], v[134:135], -v[24:25]
	v_mul_f64 v[16:17], v[16:17], v[130:131]
	v_fma_f64 v[14:15], v[14:15], v[132:133], -v[16:17]
	;; [unrolled: 2-line block ×4, first 2 shown]
	s_waitcnt vmcnt(9) lgkmcnt(1)
	v_mul_f64 v[114:115], v[102:103], v[228:229]
	s_waitcnt vmcnt(7)
	v_fmac_f64_e32 v[114:115], v[104:105], v[230:231]
	v_add_f64 v[0:1], v[0:1], v[114:115]
	s_waitcnt vmcnt(5) lgkmcnt(0)
	v_mul_f64 v[114:115], v[110:111], v[224:225]
	s_waitcnt vmcnt(4)
	v_fmac_f64_e32 v[114:115], v[112:113], v[226:227]
	v_add_f64 v[0:1], v[0:1], v[114:115]
	ds_read_b128 v[114:117], v184 offset:1968
	s_waitcnt vmcnt(2) lgkmcnt(0)
	v_mul_f64 v[184:185], v[114:115], v[232:233]
	s_waitcnt vmcnt(0)
	v_fmac_f64_e32 v[184:185], v[116:117], v[242:243]
	v_add_f64 v[244:245], v[0:1], v[184:185]
	v_add_f64 v[0:1], v[250:251], 0
	v_add_f64 v[0:1], v[0:1], v[252:253]
	v_add_f64 v[250:251], v[0:1], v[254:255]
	buffer_load_dword v254, off, s[0:3], 0 offset:448
	buffer_load_dword v255, off, s[0:3], 0 offset:452
	;; [unrolled: 1-line block ×4, first 2 shown]
	v_add_f64 v[0:1], v[250:251], v[246:247]
	v_add_f64 v[0:1], v[0:1], v[248:249]
	;; [unrolled: 1-line block ×7, first 2 shown]
	v_mul_f64 v[2:3], v[8:9], v[136:137]
	v_fma_f64 v[2:3], v[6:7], v[138:139], -v[2:3]
	v_add_f64 v[0:1], v[0:1], v[2:3]
	v_mul_f64 v[2:3], v[28:29], v[146:147]
	v_fma_f64 v[2:3], v[26:27], v[162:163], -v[2:3]
	v_add_f64 v[0:1], v[0:1], v[2:3]
	v_mul_f64 v[2:3], v[32:33], v[140:141]
	v_fma_f64 v[2:3], v[30:31], v[142:143], -v[2:3]
	v_add_f64 v[0:1], v[0:1], v[2:3]
	v_mul_f64 v[2:3], v[36:37], v[166:167]
	v_fma_f64 v[2:3], v[34:35], v[170:171], -v[2:3]
	v_add_f64 v[0:1], v[0:1], v[2:3]
	v_mul_f64 v[2:3], v[40:41], v[148:149]
	v_fma_f64 v[2:3], v[38:39], v[150:151], -v[2:3]
	v_add_f64 v[0:1], v[0:1], v[2:3]
	v_mul_f64 v[2:3], v[44:45], v[174:175]
	v_fma_f64 v[2:3], v[42:43], v[178:179], -v[2:3]
	v_add_f64 v[0:1], v[0:1], v[2:3]
	v_mul_f64 v[2:3], v[48:49], v[152:153]
	v_fma_f64 v[2:3], v[46:47], v[154:155], -v[2:3]
	v_add_f64 v[0:1], v[0:1], v[2:3]
	v_mul_f64 v[2:3], v[52:53], v[182:183]
	v_fma_f64 v[2:3], v[50:51], v[188:189], -v[2:3]
	v_add_f64 v[0:1], v[0:1], v[2:3]
	v_mul_f64 v[2:3], v[56:57], v[156:157]
	v_fma_f64 v[2:3], v[54:55], v[158:159], -v[2:3]
	v_add_f64 v[0:1], v[0:1], v[2:3]
	v_mul_f64 v[2:3], v[60:61], v[192:193]
	v_fma_f64 v[2:3], v[58:59], v[196:197], -v[2:3]
	v_add_f64 v[0:1], v[0:1], v[2:3]
	v_mul_f64 v[2:3], v[64:65], v[160:161]
	v_fma_f64 v[2:3], v[62:63], v[164:165], -v[2:3]
	v_add_f64 v[0:1], v[0:1], v[2:3]
	v_mul_f64 v[2:3], v[68:69], v[200:201]
	v_fma_f64 v[2:3], v[66:67], v[204:205], -v[2:3]
	v_add_f64 v[0:1], v[0:1], v[2:3]
	v_mul_f64 v[2:3], v[72:73], v[168:169]
	v_fma_f64 v[2:3], v[70:71], v[172:173], -v[2:3]
	v_add_f64 v[0:1], v[0:1], v[2:3]
	v_mul_f64 v[2:3], v[76:77], v[208:209]
	v_fma_f64 v[2:3], v[74:75], v[210:211], -v[2:3]
	v_add_f64 v[0:1], v[0:1], v[2:3]
	v_mul_f64 v[2:3], v[80:81], v[176:177]
	v_fma_f64 v[2:3], v[78:79], v[180:181], -v[2:3]
	v_add_f64 v[0:1], v[0:1], v[2:3]
	v_mul_f64 v[2:3], v[84:85], v[212:213]
	v_fma_f64 v[2:3], v[82:83], v[214:215], -v[2:3]
	v_add_f64 v[0:1], v[0:1], v[2:3]
	v_mul_f64 v[2:3], v[88:89], v[186:187]
	v_fma_f64 v[2:3], v[86:87], v[190:191], -v[2:3]
	v_add_f64 v[0:1], v[0:1], v[2:3]
	v_mul_f64 v[2:3], v[92:93], v[216:217]
	v_fma_f64 v[2:3], v[90:91], v[218:219], -v[2:3]
	v_add_f64 v[0:1], v[0:1], v[2:3]
	v_mul_f64 v[2:3], v[96:97], v[194:195]
	v_fma_f64 v[2:3], v[94:95], v[198:199], -v[2:3]
	v_add_f64 v[0:1], v[0:1], v[2:3]
	v_mul_f64 v[2:3], v[100:101], v[220:221]
	v_fma_f64 v[2:3], v[98:99], v[222:223], -v[2:3]
	v_add_f64 v[0:1], v[0:1], v[2:3]
	v_mul_f64 v[2:3], v[108:109], v[202:203]
	v_fma_f64 v[2:3], v[106:107], v[206:207], -v[2:3]
	v_add_f64 v[0:1], v[0:1], v[2:3]
	v_mul_f64 v[2:3], v[104:105], v[228:229]
	v_fma_f64 v[2:3], v[102:103], v[230:231], -v[2:3]
	v_add_f64 v[0:1], v[0:1], v[2:3]
	v_mul_f64 v[2:3], v[112:113], v[224:225]
	v_fma_f64 v[2:3], v[110:111], v[226:227], -v[2:3]
	v_add_f64 v[0:1], v[0:1], v[2:3]
	v_mul_f64 v[2:3], v[116:117], v[232:233]
	v_fma_f64 v[2:3], v[114:115], v[242:243], -v[2:3]
	v_add_f64 v[0:1], v[0:1], v[2:3]
	v_accvgpr_read_b32 v185, a185
	s_waitcnt vmcnt(2)
	v_add_f64 v[0:1], v[254:255], -v[0:1]
	v_cmp_lt_u32_e32 vcc, 26, v185
	s_waitcnt vmcnt(0)
	v_add_f64 v[2:3], v[252:253], -v[244:245]
	buffer_store_dword v1, off, s[0:3], 0 offset:452
	buffer_store_dword v0, off, s[0:3], 0 offset:448
	;; [unrolled: 1-line block ×4, first 2 shown]
	s_and_saveexec_b64 s[4:5], vcc
	s_cbranch_execz .LBB125_345
; %bb.344:
	v_accvgpr_read_b32 v0, a159
	buffer_load_dword v2, v0, s[0:3], 0 offen
	buffer_load_dword v3, v0, s[0:3], 0 offen offset:4
	buffer_load_dword v4, v0, s[0:3], 0 offen offset:8
	;; [unrolled: 1-line block ×3, first 2 shown]
	v_mov_b32_e32 v0, 0
	v_accvgpr_read_b32 v1, a186
	buffer_store_dword v0, off, s[0:3], 0 offset:432
	buffer_store_dword v0, off, s[0:3], 0 offset:436
	;; [unrolled: 1-line block ×4, first 2 shown]
	s_waitcnt vmcnt(4)
	ds_write_b128 v1, v[2:5]
.LBB125_345:
	s_or_b64 exec, exec, s[4:5]
	s_waitcnt lgkmcnt(0)
	; wave barrier
	s_waitcnt lgkmcnt(0)
	buffer_load_dword v82, off, s[0:3], 0 offset:448
	buffer_load_dword v83, off, s[0:3], 0 offset:452
	;; [unrolled: 1-line block ×54, first 2 shown]
	v_mov_b32_e32 v184, 0
	ds_read_b128 v[90:93], v184 offset:1424
	ds_read_b128 v[106:109], v184 offset:1440
	;; [unrolled: 1-line block ×9, first 2 shown]
	buffer_load_dword v149, off, s[0:3], 0 offset:676
	buffer_load_dword v148, off, s[0:3], 0 offset:672
	;; [unrolled: 1-line block ×62, first 2 shown]
	v_cmp_lt_u32_e32 vcc, 25, v185
	s_waitcnt vmcnt(62) lgkmcnt(8)
	v_mul_f64 v[0:1], v[90:91], v[84:85]
	v_fmac_f64_e32 v[0:1], v[92:93], v[82:83]
	v_add_f64 v[0:1], v[0:1], 0
	v_mul_f64 v[84:85], v[92:93], v[84:85]
	s_waitcnt lgkmcnt(7)
	v_mul_f64 v[14:15], v[106:107], v[88:89]
	v_fmac_f64_e32 v[14:15], v[108:109], v[86:87]
	s_waitcnt lgkmcnt(6)
	v_mul_f64 v[16:17], v[114:115], v[94:95]
	v_add_f64 v[0:1], v[0:1], v[14:15]
	s_waitcnt lgkmcnt(4)
	v_mul_f64 v[20:21], v[238:239], v[102:103]
	v_fma_f64 v[246:247], v[90:91], v[82:83], -v[84:85]
	v_fmac_f64_e32 v[20:21], v[240:241], v[104:105]
	v_mul_f64 v[88:89], v[108:109], v[88:89]
	v_mul_f64 v[18:19], v[234:235], v[98:99]
	v_fma_f64 v[248:249], v[106:107], v[86:87], -v[88:89]
	s_waitcnt lgkmcnt(2)
	v_mul_f64 v[24:25], v[10:11], v[118:119]
	v_mul_f64 v[94:95], v[116:117], v[94:95]
	v_fmac_f64_e32 v[24:25], v[12:13], v[120:121]
	v_mul_f64 v[98:99], v[236:237], v[98:99]
	v_mul_f64 v[22:23], v[242:243], v[110:111]
	;; [unrolled: 1-line block ×3, first 2 shown]
	s_waitcnt lgkmcnt(1)
	v_mul_f64 v[26:27], v[6:7], v[122:123]
	v_mul_f64 v[110:111], v[244:245], v[110:111]
	v_fmac_f64_e32 v[16:17], v[116:117], v[96:97]
	v_add_f64 v[0:1], v[0:1], v[16:17]
	v_fmac_f64_e32 v[18:19], v[236:237], v[100:101]
	v_add_f64 v[0:1], v[0:1], v[18:19]
	ds_read_b128 v[14:17], v184 offset:1568
	v_fmac_f64_e32 v[22:23], v[244:245], v[112:113]
	v_add_f64 v[0:1], v[0:1], v[20:21]
	v_add_f64 v[0:1], v[0:1], v[22:23]
	v_fmac_f64_e32 v[26:27], v[8:9], v[126:127]
	v_add_f64 v[0:1], v[0:1], v[24:25]
	s_waitcnt lgkmcnt(1)
	v_mul_f64 v[18:19], v[2:3], v[124:125]
	v_add_f64 v[0:1], v[0:1], v[26:27]
	v_fmac_f64_e32 v[18:19], v[4:5], v[128:129]
	v_add_f64 v[0:1], v[0:1], v[18:19]
	ds_read_b128 v[18:21], v184 offset:1584
	s_waitcnt lgkmcnt(1)
	v_mul_f64 v[22:23], v[14:15], v[134:135]
	v_fmac_f64_e32 v[22:23], v[16:17], v[136:137]
	v_add_f64 v[0:1], v[0:1], v[22:23]
	ds_read_b128 v[22:25], v184 offset:1600
	s_waitcnt lgkmcnt(1)
	v_mul_f64 v[26:27], v[18:19], v[130:131]
	;; [unrolled: 5-line block ×4, first 2 shown]
	v_fmac_f64_e32 v[34:35], v[28:29], v[140:141]
	v_add_f64 v[0:1], v[0:1], v[34:35]
	ds_read_b128 v[34:37], v184 offset:1648
	s_waitcnt vmcnt(58) lgkmcnt(1)
	v_mul_f64 v[38:39], v[30:31], v[162:163]
	s_waitcnt vmcnt(56)
	v_fmac_f64_e32 v[38:39], v[32:33], v[166:167]
	v_add_f64 v[0:1], v[0:1], v[38:39]
	ds_read_b128 v[38:41], v184 offset:1664
	s_waitcnt lgkmcnt(1)
	v_mul_f64 v[42:43], v[34:35], v[142:143]
	v_fmac_f64_e32 v[42:43], v[36:37], v[148:149]
	v_add_f64 v[0:1], v[0:1], v[42:43]
	ds_read_b128 v[42:45], v184 offset:1680
	s_waitcnt vmcnt(50) lgkmcnt(1)
	v_mul_f64 v[46:47], v[38:39], v[170:171]
	s_waitcnt vmcnt(48)
	v_fmac_f64_e32 v[46:47], v[40:41], v[174:175]
	v_add_f64 v[0:1], v[0:1], v[46:47]
	ds_read_b128 v[46:49], v184 offset:1696
	buffer_load_dword v213, off, s[0:3], 0 offset:924
	buffer_load_dword v212, off, s[0:3], 0 offset:920
	;; [unrolled: 1-line block ×8, first 2 shown]
	s_waitcnt lgkmcnt(1)
	v_mul_f64 v[50:51], v[42:43], v[150:151]
	v_fmac_f64_e32 v[50:51], v[44:45], v[152:153]
	v_add_f64 v[0:1], v[0:1], v[50:51]
	ds_read_b128 v[50:53], v184 offset:1712
	s_waitcnt vmcnt(50) lgkmcnt(1)
	v_mul_f64 v[54:55], v[46:47], v[178:179]
	s_waitcnt vmcnt(48)
	v_fmac_f64_e32 v[54:55], v[48:49], v[182:183]
	buffer_load_dword v217, off, s[0:3], 0 offset:972
	buffer_load_dword v223, off, s[0:3], 0 offset:956
	;; [unrolled: 1-line block ×12, first 2 shown]
	v_add_f64 v[0:1], v[0:1], v[54:55]
	ds_read_b128 v[54:57], v184 offset:1728
	s_waitcnt lgkmcnt(1)
	v_mul_f64 v[58:59], v[50:51], v[154:155]
	v_fmac_f64_e32 v[58:59], v[52:53], v[156:157]
	v_add_f64 v[0:1], v[0:1], v[58:59]
	ds_read_b128 v[58:61], v184 offset:1744
	s_waitcnt vmcnt(54) lgkmcnt(1)
	v_mul_f64 v[62:63], v[54:55], v[188:189]
	s_waitcnt vmcnt(52)
	v_fmac_f64_e32 v[62:63], v[56:57], v[192:193]
	v_add_f64 v[0:1], v[0:1], v[62:63]
	ds_read_b128 v[62:65], v184 offset:1760
	s_waitcnt lgkmcnt(1)
	v_mul_f64 v[66:67], v[58:59], v[158:159]
	v_fmac_f64_e32 v[66:67], v[60:61], v[160:161]
	v_add_f64 v[0:1], v[0:1], v[66:67]
	ds_read_b128 v[66:69], v184 offset:1776
	s_waitcnt vmcnt(46) lgkmcnt(1)
	v_mul_f64 v[70:71], v[62:63], v[196:197]
	s_waitcnt vmcnt(44)
	v_fmac_f64_e32 v[70:71], v[64:65], v[198:199]
	v_add_f64 v[0:1], v[0:1], v[70:71]
	ds_read_b128 v[70:73], v184 offset:1792
	ds_read_b128 v[74:77], v184 offset:1808
	s_waitcnt lgkmcnt(2)
	v_mul_f64 v[78:79], v[66:67], v[164:165]
	v_fmac_f64_e32 v[78:79], v[68:69], v[168:169]
	v_add_f64 v[0:1], v[0:1], v[78:79]
	s_waitcnt vmcnt(38) lgkmcnt(1)
	v_mul_f64 v[78:79], v[70:71], v[200:201]
	s_waitcnt vmcnt(36)
	v_fmac_f64_e32 v[78:79], v[72:73], v[202:203]
	v_add_f64 v[0:1], v[0:1], v[78:79]
	s_waitcnt lgkmcnt(0)
	v_mul_f64 v[78:79], v[74:75], v[172:173]
	v_fmac_f64_e32 v[78:79], v[76:77], v[176:177]
	v_add_f64 v[0:1], v[0:1], v[78:79]
	ds_read_b128 v[78:81], v184 offset:1824
	ds_read_b128 v[82:85], v184 offset:1840
	;; [unrolled: 1-line block ×3, first 2 shown]
	v_fma_f64 v[252:253], v[114:115], v[96:97], -v[94:95]
	ds_read_b128 v[94:97], v184 offset:1888
	s_waitcnt vmcnt(30) lgkmcnt(3)
	v_mul_f64 v[90:91], v[78:79], v[204:205]
	s_waitcnt vmcnt(28)
	v_fmac_f64_e32 v[90:91], v[80:81], v[206:207]
	v_add_f64 v[0:1], v[0:1], v[90:91]
	s_waitcnt lgkmcnt(2)
	v_mul_f64 v[90:91], v[82:83], v[180:181]
	v_fmac_f64_e32 v[90:91], v[84:85], v[186:187]
	v_add_f64 v[0:1], v[0:1], v[90:91]
	s_waitcnt vmcnt(22) lgkmcnt(1)
	v_mul_f64 v[90:91], v[86:87], v[208:209]
	s_waitcnt vmcnt(20)
	v_fmac_f64_e32 v[90:91], v[88:89], v[210:211]
	v_add_f64 v[0:1], v[0:1], v[90:91]
	ds_read_b128 v[90:93], v184 offset:1872
	v_fma_f64 v[234:235], v[234:235], v[100:101], -v[98:99]
	ds_read_b128 v[98:101], v184 offset:1904
	buffer_load_dword v232, off, s[0:3], 0 offset:1000
	v_fma_f64 v[236:237], v[238:239], v[104:105], -v[102:103]
	s_waitcnt lgkmcnt(1)
	v_mul_f64 v[106:107], v[90:91], v[190:191]
	v_fmac_f64_e32 v[106:107], v[92:93], v[194:195]
	v_add_f64 v[0:1], v[0:1], v[106:107]
	ds_read_b128 v[102:105], v184 offset:1920
	v_fma_f64 v[250:251], v[242:243], v[112:113], -v[110:111]
	ds_read_b128 v[110:113], v184 offset:1952
	v_mul_f64 v[12:13], v[12:13], v[118:119]
	v_fma_f64 v[10:11], v[10:11], v[120:121], -v[12:13]
	v_mul_f64 v[8:9], v[8:9], v[122:123]
	v_fma_f64 v[6:7], v[6:7], v[126:127], -v[8:9]
	;; [unrolled: 2-line block ×3, first 2 shown]
	s_waitcnt vmcnt(19)
	v_mul_f64 v[106:107], v[94:95], v[212:213]
	s_waitcnt vmcnt(17)
	v_fmac_f64_e32 v[106:107], v[96:97], v[214:215]
	v_add_f64 v[0:1], v[0:1], v[106:107]
	s_waitcnt vmcnt(15) lgkmcnt(2)
	v_mul_f64 v[106:107], v[98:99], v[218:219]
	s_waitcnt vmcnt(13)
	v_fmac_f64_e32 v[106:107], v[100:101], v[220:221]
	v_add_f64 v[0:1], v[0:1], v[106:107]
	ds_read_b128 v[106:109], v184 offset:1936
	buffer_load_dword v244, off, s[0:3], 0 offset:992
	buffer_load_dword v233, off, s[0:3], 0 offset:1004
	;; [unrolled: 1-line block ×3, first 2 shown]
	s_waitcnt vmcnt(13) lgkmcnt(2)
	v_mul_f64 v[114:115], v[102:103], v[222:223]
	s_waitcnt vmcnt(11)
	v_fmac_f64_e32 v[114:115], v[104:105], v[228:229]
	v_add_f64 v[0:1], v[0:1], v[114:115]
	s_waitcnt vmcnt(10) lgkmcnt(0)
	v_mul_f64 v[114:115], v[106:107], v[216:217]
	s_waitcnt vmcnt(8)
	v_fmac_f64_e32 v[114:115], v[108:109], v[226:227]
	v_add_f64 v[0:1], v[0:1], v[114:115]
	s_waitcnt vmcnt(6)
	v_mul_f64 v[114:115], v[110:111], v[224:225]
	s_waitcnt vmcnt(4)
	v_fmac_f64_e32 v[114:115], v[112:113], v[230:231]
	v_add_f64 v[0:1], v[0:1], v[114:115]
	ds_read_b128 v[114:117], v184 offset:1968
	s_waitcnt vmcnt(1) lgkmcnt(0)
	v_mul_f64 v[238:239], v[114:115], v[232:233]
	s_waitcnt vmcnt(0)
	v_fmac_f64_e32 v[238:239], v[116:117], v[244:245]
	v_add_f64 v[242:243], v[0:1], v[238:239]
	v_add_f64 v[0:1], v[246:247], 0
	;; [unrolled: 1-line block ×3, first 2 shown]
	buffer_load_dword v248, off, s[0:3], 0 offset:432
	buffer_load_dword v249, off, s[0:3], 0 offset:436
	;; [unrolled: 1-line block ×4, first 2 shown]
	v_add_f64 v[0:1], v[0:1], v[252:253]
	v_add_f64 v[0:1], v[0:1], v[234:235]
	;; [unrolled: 1-line block ×7, first 2 shown]
	v_mul_f64 v[2:3], v[16:17], v[134:135]
	v_fma_f64 v[2:3], v[14:15], v[136:137], -v[2:3]
	v_add_f64 v[0:1], v[0:1], v[2:3]
	v_mul_f64 v[2:3], v[20:21], v[130:131]
	v_fma_f64 v[2:3], v[18:19], v[132:133], -v[2:3]
	v_add_f64 v[0:1], v[0:1], v[2:3]
	;; [unrolled: 3-line block ×26, first 2 shown]
	s_waitcnt vmcnt(2)
	v_add_f64 v[0:1], v[248:249], -v[0:1]
	s_waitcnt vmcnt(0)
	v_add_f64 v[2:3], v[246:247], -v[242:243]
	buffer_store_dword v1, off, s[0:3], 0 offset:436
	buffer_store_dword v0, off, s[0:3], 0 offset:432
	;; [unrolled: 1-line block ×4, first 2 shown]
	s_and_saveexec_b64 s[4:5], vcc
	s_cbranch_execz .LBB125_347
; %bb.346:
	v_accvgpr_read_b32 v0, a160
	buffer_load_dword v2, v0, s[0:3], 0 offen
	buffer_load_dword v3, v0, s[0:3], 0 offen offset:4
	buffer_load_dword v4, v0, s[0:3], 0 offen offset:8
	;; [unrolled: 1-line block ×3, first 2 shown]
	v_accvgpr_read_b32 v0, a186
	buffer_store_dword v184, off, s[0:3], 0 offset:416
	buffer_store_dword v184, off, s[0:3], 0 offset:420
	;; [unrolled: 1-line block ×4, first 2 shown]
	s_waitcnt vmcnt(4)
	ds_write_b128 v0, v[2:5]
.LBB125_347:
	s_or_b64 exec, exec, s[4:5]
	s_waitcnt lgkmcnt(0)
	; wave barrier
	s_waitcnt lgkmcnt(0)
	buffer_load_dword v84, off, s[0:3], 0 offset:432
	buffer_load_dword v85, off, s[0:3], 0 offset:436
	;; [unrolled: 1-line block ×34, first 2 shown]
	ds_read_b128 v[74:77], v184 offset:1408
	ds_read_b128 v[78:81], v184 offset:1424
	;; [unrolled: 1-line block ×8, first 2 shown]
	buffer_load_dword v125, off, s[0:3], 0 offset:548
	buffer_load_dword v124, off, s[0:3], 0 offset:544
	ds_read_b128 v[6:9], v184 offset:1536
	buffer_load_dword v127, off, s[0:3], 0 offset:604
	buffer_load_dword v126, off, s[0:3], 0 offset:600
	;; [unrolled: 1-line block ×80, first 2 shown]
	s_waitcnt vmcnt(62) lgkmcnt(8)
	v_mul_f64 v[0:1], v[74:75], v[106:107]
	v_fmac_f64_e32 v[0:1], v[76:77], v[84:85]
	v_add_f64 v[0:1], v[0:1], 0
	v_mul_f64 v[76:77], v[76:77], v[106:107]
	s_waitcnt lgkmcnt(7)
	v_mul_f64 v[10:11], v[78:79], v[96:97]
	v_fmac_f64_e32 v[10:11], v[80:81], v[82:83]
	s_waitcnt lgkmcnt(6)
	v_mul_f64 v[12:13], v[86:87], v[94:95]
	v_add_f64 v[0:1], v[0:1], v[10:11]
	s_waitcnt lgkmcnt(4)
	v_mul_f64 v[16:17], v[98:99], v[108:109]
	v_fma_f64 v[234:235], v[74:75], v[84:85], -v[76:77]
	v_fmac_f64_e32 v[16:17], v[100:101], v[114:115]
	v_mul_f64 v[80:81], v[80:81], v[96:97]
	v_mul_f64 v[14:15], v[90:91], v[116:117]
	v_fma_f64 v[236:237], v[78:79], v[82:83], -v[80:81]
	s_waitcnt lgkmcnt(2)
	v_mul_f64 v[20:21], v[110:111], v[232:233]
	v_mul_f64 v[100:101], v[100:101], v[108:109]
	;; [unrolled: 1-line block ×3, first 2 shown]
	s_waitcnt lgkmcnt(1)
	v_mul_f64 v[22:23], v[2:3], v[118:119]
	v_fmac_f64_e32 v[12:13], v[88:89], v[250:251]
	v_add_f64 v[0:1], v[0:1], v[12:13]
	v_fmac_f64_e32 v[14:15], v[92:93], v[248:249]
	v_add_f64 v[0:1], v[0:1], v[14:15]
	;; [unrolled: 2-line block ×4, first 2 shown]
	v_add_f64 v[0:1], v[0:1], v[20:21]
	s_waitcnt lgkmcnt(0)
	v_mul_f64 v[14:15], v[6:7], v[120:121]
	ds_read_b128 v[10:13], v184 offset:1552
	v_fmac_f64_e32 v[22:23], v[4:5], v[124:125]
	v_add_f64 v[0:1], v[0:1], v[22:23]
	v_fmac_f64_e32 v[14:15], v[8:9], v[122:123]
	v_add_f64 v[0:1], v[0:1], v[14:15]
	ds_read_b128 v[14:17], v184 offset:1568
	s_waitcnt lgkmcnt(1)
	v_mul_f64 v[18:19], v[10:11], v[130:131]
	v_fmac_f64_e32 v[18:19], v[12:13], v[132:133]
	v_add_f64 v[0:1], v[0:1], v[18:19]
	ds_read_b128 v[18:21], v184 offset:1584
	s_waitcnt lgkmcnt(1)
	v_mul_f64 v[22:23], v[14:15], v[126:127]
	;; [unrolled: 5-line block ×4, first 2 shown]
	v_fmac_f64_e32 v[30:31], v[24:25], v[136:137]
	v_add_f64 v[0:1], v[0:1], v[30:31]
	ds_read_b128 v[30:33], v184 offset:1632
	s_waitcnt vmcnt(58) lgkmcnt(1)
	v_mul_f64 v[34:35], v[26:27], v[158:159]
	s_waitcnt vmcnt(56)
	v_fmac_f64_e32 v[34:35], v[28:29], v[162:163]
	v_add_f64 v[0:1], v[0:1], v[34:35]
	ds_read_b128 v[34:37], v184 offset:1648
	s_waitcnt lgkmcnt(1)
	v_mul_f64 v[38:39], v[30:31], v[138:139]
	v_fmac_f64_e32 v[38:39], v[32:33], v[140:141]
	v_add_f64 v[0:1], v[0:1], v[38:39]
	ds_read_b128 v[38:41], v184 offset:1664
	s_waitcnt vmcnt(50) lgkmcnt(1)
	v_mul_f64 v[42:43], v[34:35], v[166:167]
	s_waitcnt vmcnt(48)
	v_fmac_f64_e32 v[42:43], v[36:37], v[170:171]
	v_add_f64 v[0:1], v[0:1], v[42:43]
	ds_read_b128 v[42:45], v184 offset:1680
	s_waitcnt lgkmcnt(1)
	v_mul_f64 v[46:47], v[38:39], v[146:147]
	v_fmac_f64_e32 v[46:47], v[40:41], v[148:149]
	v_add_f64 v[0:1], v[0:1], v[46:47]
	ds_read_b128 v[46:49], v184 offset:1696
	buffer_load_dword v209, off, s[0:3], 0 offset:924
	buffer_load_dword v211, off, s[0:3], 0 offset:908
	;; [unrolled: 1-line block ×12, first 2 shown]
	s_waitcnt vmcnt(54) lgkmcnt(1)
	v_mul_f64 v[50:51], v[42:43], v[174:175]
	s_waitcnt vmcnt(52)
	v_fmac_f64_e32 v[50:51], v[44:45], v[178:179]
	v_add_f64 v[0:1], v[0:1], v[50:51]
	ds_read_b128 v[50:53], v184 offset:1712
	s_waitcnt lgkmcnt(1)
	v_mul_f64 v[54:55], v[46:47], v[150:151]
	v_fmac_f64_e32 v[54:55], v[48:49], v[152:153]
	buffer_load_dword v223, off, s[0:3], 0 offset:956
	buffer_load_dword v222, off, s[0:3], 0 offset:952
	;; [unrolled: 1-line block ×12, first 2 shown]
	v_add_f64 v[0:1], v[0:1], v[54:55]
	ds_read_b128 v[54:57], v184 offset:1728
	s_waitcnt vmcnt(58) lgkmcnt(1)
	v_mul_f64 v[58:59], v[50:51], v[182:183]
	s_waitcnt vmcnt(56)
	v_fmac_f64_e32 v[58:59], v[52:53], v[188:189]
	v_add_f64 v[0:1], v[0:1], v[58:59]
	ds_read_b128 v[58:61], v184 offset:1744
	s_waitcnt lgkmcnt(1)
	v_mul_f64 v[62:63], v[54:55], v[154:155]
	v_fmac_f64_e32 v[62:63], v[56:57], v[156:157]
	v_add_f64 v[0:1], v[0:1], v[62:63]
	ds_read_b128 v[62:65], v184 offset:1760
	ds_read_b128 v[66:69], v184 offset:1776
	s_waitcnt vmcnt(50) lgkmcnt(2)
	v_mul_f64 v[70:71], v[58:59], v[192:193]
	s_waitcnt vmcnt(48)
	v_fmac_f64_e32 v[70:71], v[60:61], v[194:195]
	v_add_f64 v[0:1], v[0:1], v[70:71]
	s_waitcnt lgkmcnt(1)
	v_mul_f64 v[70:71], v[62:63], v[160:161]
	v_fmac_f64_e32 v[70:71], v[64:65], v[164:165]
	v_add_f64 v[0:1], v[0:1], v[70:71]
	s_waitcnt vmcnt(42) lgkmcnt(0)
	v_mul_f64 v[70:71], v[66:67], v[196:197]
	s_waitcnt vmcnt(40)
	v_fmac_f64_e32 v[70:71], v[68:69], v[198:199]
	v_add_f64 v[0:1], v[0:1], v[70:71]
	ds_read_b128 v[70:73], v184 offset:1792
	ds_read_b128 v[74:77], v184 offset:1808
	;; [unrolled: 1-line block ×3, first 2 shown]
	v_mul_f64 v[88:89], v[88:89], v[94:95]
	v_fma_f64 v[238:239], v[86:87], v[250:251], -v[88:89]
	ds_read_b128 v[86:89], v184 offset:1856
	s_waitcnt lgkmcnt(3)
	v_mul_f64 v[84:85], v[70:71], v[168:169]
	v_fmac_f64_e32 v[84:85], v[72:73], v[172:173]
	s_waitcnt vmcnt(34) lgkmcnt(2)
	v_mul_f64 v[82:83], v[74:75], v[200:201]
	v_add_f64 v[0:1], v[0:1], v[84:85]
	s_waitcnt vmcnt(32)
	v_fmac_f64_e32 v[82:83], v[76:77], v[202:203]
	v_add_f64 v[0:1], v[0:1], v[82:83]
	s_waitcnt lgkmcnt(1)
	v_mul_f64 v[82:83], v[78:79], v[176:177]
	v_fmac_f64_e32 v[82:83], v[80:81], v[180:181]
	v_add_f64 v[0:1], v[0:1], v[82:83]
	ds_read_b128 v[82:85], v184 offset:1840
	v_mul_f64 v[92:93], v[92:93], v[116:117]
	v_fma_f64 v[240:241], v[90:91], v[248:249], -v[92:93]
	ds_read_b128 v[90:93], v184 offset:1872
	v_fma_f64 v[248:249], v[98:99], v[114:115], -v[100:101]
	s_waitcnt vmcnt(26) lgkmcnt(1)
	v_mul_f64 v[94:95], v[82:83], v[204:205]
	s_waitcnt vmcnt(24)
	v_fmac_f64_e32 v[94:95], v[84:85], v[206:207]
	v_add_f64 v[0:1], v[0:1], v[94:95]
	v_mul_f64 v[94:95], v[86:87], v[186:187]
	v_fmac_f64_e32 v[94:95], v[88:89], v[190:191]
	v_add_f64 v[0:1], v[0:1], v[94:95]
	ds_read_b128 v[94:97], v184 offset:1888
	ds_read_b128 v[98:101], v184 offset:1904
	v_mul_f64 v[104:105], v[104:105], v[244:245]
	v_mul_f64 v[112:113], v[112:113], v[232:233]
	v_fma_f64 v[250:251], v[102:103], v[246:247], -v[104:105]
	v_fma_f64 v[252:253], v[110:111], v[242:243], -v[112:113]
	ds_read_b128 v[110:113], v184 offset:1952
	v_mul_f64 v[4:5], v[4:5], v[118:119]
	v_fma_f64 v[2:3], v[2:3], v[124:125], -v[4:5]
	ds_read_b128 v[102:105], v184 offset:1936
	s_waitcnt vmcnt(21) lgkmcnt(4)
	v_mul_f64 v[106:107], v[90:91], v[210:211]
	s_waitcnt vmcnt(19)
	v_fmac_f64_e32 v[106:107], v[92:93], v[216:217]
	v_add_f64 v[0:1], v[0:1], v[106:107]
	s_waitcnt vmcnt(18) lgkmcnt(3)
	v_mul_f64 v[106:107], v[94:95], v[208:209]
	s_waitcnt vmcnt(16)
	v_fmac_f64_e32 v[106:107], v[96:97], v[214:215]
	v_add_f64 v[0:1], v[0:1], v[106:107]
	ds_read_b128 v[106:109], v184 offset:1920
	buffer_load_dword v243, off, s[0:3], 0 offset:1004
	buffer_load_dword v242, off, s[0:3], 0 offset:1000
	;; [unrolled: 1-line block ×4, first 2 shown]
	s_waitcnt vmcnt(18) lgkmcnt(3)
	v_mul_f64 v[114:115], v[98:99], v[212:213]
	s_waitcnt vmcnt(16)
	v_fmac_f64_e32 v[114:115], v[100:101], v[218:219]
	v_add_f64 v[0:1], v[0:1], v[114:115]
	s_waitcnt vmcnt(14) lgkmcnt(0)
	v_mul_f64 v[114:115], v[106:107], v[222:223]
	s_waitcnt vmcnt(12)
	v_fmac_f64_e32 v[114:115], v[108:109], v[224:225]
	v_add_f64 v[0:1], v[0:1], v[114:115]
	s_waitcnt vmcnt(9)
	v_mul_f64 v[114:115], v[102:103], v[228:229]
	s_waitcnt vmcnt(7)
	v_fmac_f64_e32 v[114:115], v[104:105], v[230:231]
	v_add_f64 v[0:1], v[0:1], v[114:115]
	s_waitcnt vmcnt(5)
	v_mul_f64 v[114:115], v[110:111], v[220:221]
	s_waitcnt vmcnt(4)
	v_fmac_f64_e32 v[114:115], v[112:113], v[226:227]
	v_add_f64 v[0:1], v[0:1], v[114:115]
	ds_read_b128 v[114:117], v184 offset:1968
	s_waitcnt vmcnt(2) lgkmcnt(0)
	v_mul_f64 v[184:185], v[114:115], v[242:243]
	s_waitcnt vmcnt(0)
	v_fmac_f64_e32 v[184:185], v[116:117], v[244:245]
	v_add_f64 v[232:233], v[0:1], v[184:185]
	v_add_f64 v[0:1], v[234:235], 0
	v_add_f64 v[0:1], v[0:1], v[236:237]
	v_add_f64 v[0:1], v[0:1], v[238:239]
	v_add_f64 v[0:1], v[0:1], v[240:241]
	v_add_f64 v[254:255], v[0:1], v[248:249]
	buffer_load_dword v248, off, s[0:3], 0 offset:416
	buffer_load_dword v249, off, s[0:3], 0 offset:420
	;; [unrolled: 1-line block ×4, first 2 shown]
	v_add_f64 v[0:1], v[254:255], v[250:251]
	v_add_f64 v[0:1], v[0:1], v[252:253]
	;; [unrolled: 1-line block ×3, first 2 shown]
	v_mul_f64 v[2:3], v[8:9], v[120:121]
	v_fma_f64 v[2:3], v[6:7], v[122:123], -v[2:3]
	v_add_f64 v[0:1], v[0:1], v[2:3]
	v_mul_f64 v[2:3], v[12:13], v[130:131]
	v_fma_f64 v[2:3], v[10:11], v[132:133], -v[2:3]
	v_add_f64 v[0:1], v[0:1], v[2:3]
	;; [unrolled: 3-line block ×28, first 2 shown]
	v_accvgpr_read_b32 v185, a185
	s_waitcnt vmcnt(2)
	v_add_f64 v[0:1], v[248:249], -v[0:1]
	v_cmp_lt_u32_e32 vcc, 24, v185
	s_waitcnt vmcnt(0)
	v_add_f64 v[2:3], v[246:247], -v[232:233]
	buffer_store_dword v1, off, s[0:3], 0 offset:420
	buffer_store_dword v0, off, s[0:3], 0 offset:416
	;; [unrolled: 1-line block ×4, first 2 shown]
	s_and_saveexec_b64 s[4:5], vcc
	s_cbranch_execz .LBB125_349
; %bb.348:
	v_accvgpr_read_b32 v0, a161
	buffer_load_dword v2, v0, s[0:3], 0 offen
	buffer_load_dword v3, v0, s[0:3], 0 offen offset:4
	buffer_load_dword v4, v0, s[0:3], 0 offen offset:8
	;; [unrolled: 1-line block ×3, first 2 shown]
	v_mov_b32_e32 v0, 0
	v_accvgpr_read_b32 v1, a186
	buffer_store_dword v0, off, s[0:3], 0 offset:400
	buffer_store_dword v0, off, s[0:3], 0 offset:404
	;; [unrolled: 1-line block ×4, first 2 shown]
	s_waitcnt vmcnt(4)
	ds_write_b128 v1, v[2:5]
.LBB125_349:
	s_or_b64 exec, exec, s[4:5]
	s_waitcnt lgkmcnt(0)
	; wave barrier
	s_waitcnt lgkmcnt(0)
	buffer_load_dword v66, off, s[0:3], 0 offset:416
	buffer_load_dword v67, off, s[0:3], 0 offset:420
	;; [unrolled: 1-line block ×55, first 2 shown]
	v_mov_b32_e32 v184, 0
	ds_read_b128 v[74:77], v184 offset:1392
	ds_read_b128 v[86:89], v184 offset:1408
	;; [unrolled: 1-line block ×9, first 2 shown]
	buffer_load_dword v136, off, s[0:3], 0 offset:640
	buffer_load_dword v155, off, s[0:3], 0 offset:636
	;; [unrolled: 1-line block ×61, first 2 shown]
	v_cmp_lt_u32_e32 vcc, 23, v185
	s_waitcnt vmcnt(62) lgkmcnt(8)
	v_mul_f64 v[0:1], v[74:75], v[68:69]
	v_fmac_f64_e32 v[0:1], v[76:77], v[66:67]
	v_add_f64 v[0:1], v[0:1], 0
	v_mul_f64 v[68:69], v[76:77], v[68:69]
	s_waitcnt lgkmcnt(7)
	v_mul_f64 v[6:7], v[86:87], v[72:73]
	v_fmac_f64_e32 v[6:7], v[88:89], v[70:71]
	s_waitcnt lgkmcnt(6)
	v_mul_f64 v[8:9], v[98:99], v[78:79]
	v_add_f64 v[0:1], v[0:1], v[6:7]
	s_waitcnt lgkmcnt(4)
	v_mul_f64 v[12:13], v[114:115], v[90:91]
	v_fma_f64 v[246:247], v[74:75], v[66:67], -v[68:69]
	v_fmac_f64_e32 v[12:13], v[116:117], v[92:93]
	v_mul_f64 v[72:73], v[88:89], v[72:73]
	v_mul_f64 v[10:11], v[110:111], v[82:83]
	v_fma_f64 v[248:249], v[86:87], v[70:71], -v[72:73]
	s_waitcnt lgkmcnt(2)
	v_mul_f64 v[16:17], v[236:237], v[102:103]
	v_mul_f64 v[78:79], v[100:101], v[78:79]
	;; [unrolled: 1-line block ×5, first 2 shown]
	s_waitcnt lgkmcnt(1)
	v_mul_f64 v[18:19], v[240:241], v[106:107]
	v_fmac_f64_e32 v[18:19], v[242:243], v[108:109]
	v_fmac_f64_e32 v[8:9], v[100:101], v[80:81]
	v_add_f64 v[0:1], v[0:1], v[8:9]
	v_fmac_f64_e32 v[10:11], v[112:113], v[84:85]
	v_add_f64 v[0:1], v[0:1], v[10:11]
	;; [unrolled: 2-line block ×3, first 2 shown]
	ds_read_b128 v[6:9], v184 offset:1536
	v_fmac_f64_e32 v[16:17], v[238:239], v[104:105]
	v_add_f64 v[0:1], v[0:1], v[14:15]
	v_add_f64 v[0:1], v[0:1], v[16:17]
	s_waitcnt lgkmcnt(1)
	v_mul_f64 v[10:11], v[2:3], v[118:119]
	v_add_f64 v[0:1], v[0:1], v[18:19]
	v_fmac_f64_e32 v[10:11], v[4:5], v[120:121]
	v_add_f64 v[0:1], v[0:1], v[10:11]
	ds_read_b128 v[10:13], v184 offset:1552
	s_waitcnt lgkmcnt(1)
	v_mul_f64 v[14:15], v[6:7], v[126:127]
	v_fmac_f64_e32 v[14:15], v[8:9], v[128:129]
	v_add_f64 v[0:1], v[0:1], v[14:15]
	ds_read_b128 v[14:17], v184 offset:1568
	s_waitcnt lgkmcnt(1)
	v_mul_f64 v[18:19], v[10:11], v[122:123]
	;; [unrolled: 5-line block ×4, first 2 shown]
	v_fmac_f64_e32 v[26:27], v[20:21], v[132:133]
	v_add_f64 v[0:1], v[0:1], v[26:27]
	ds_read_b128 v[26:29], v184 offset:1616
	s_waitcnt vmcnt(58) lgkmcnt(1)
	v_mul_f64 v[30:31], v[22:23], v[154:155]
	s_waitcnt vmcnt(56)
	v_fmac_f64_e32 v[30:31], v[24:25], v[158:159]
	v_add_f64 v[0:1], v[0:1], v[30:31]
	ds_read_b128 v[30:33], v184 offset:1632
	s_waitcnt lgkmcnt(1)
	v_mul_f64 v[34:35], v[26:27], v[134:135]
	v_fmac_f64_e32 v[34:35], v[28:29], v[136:137]
	v_add_f64 v[0:1], v[0:1], v[34:35]
	ds_read_b128 v[34:37], v184 offset:1648
	s_waitcnt vmcnt(50) lgkmcnt(1)
	v_mul_f64 v[38:39], v[30:31], v[162:163]
	s_waitcnt vmcnt(48)
	v_fmac_f64_e32 v[38:39], v[32:33], v[166:167]
	v_add_f64 v[0:1], v[0:1], v[38:39]
	ds_read_b128 v[38:41], v184 offset:1664
	s_waitcnt lgkmcnt(1)
	v_mul_f64 v[42:43], v[34:35], v[142:143]
	v_fmac_f64_e32 v[42:43], v[36:37], v[144:145]
	v_add_f64 v[0:1], v[0:1], v[42:43]
	ds_read_b128 v[42:45], v184 offset:1680
	s_waitcnt vmcnt(42) lgkmcnt(1)
	v_mul_f64 v[46:47], v[38:39], v[170:171]
	s_waitcnt vmcnt(40)
	v_fmac_f64_e32 v[46:47], v[40:41], v[174:175]
	v_add_f64 v[0:1], v[0:1], v[46:47]
	ds_read_b128 v[46:49], v184 offset:1696
	buffer_load_dword v205, off, s[0:3], 0 offset:892
	buffer_load_dword v204, off, s[0:3], 0 offset:888
	;; [unrolled: 1-line block ×4, first 2 shown]
	s_waitcnt lgkmcnt(1)
	v_mul_f64 v[50:51], v[42:43], v[146:147]
	v_fmac_f64_e32 v[50:51], v[44:45], v[148:149]
	v_add_f64 v[0:1], v[0:1], v[50:51]
	ds_read_b128 v[50:53], v184 offset:1712
	buffer_load_dword v209, off, s[0:3], 0 offset:908
	buffer_load_dword v208, off, s[0:3], 0 offset:904
	;; [unrolled: 1-line block ×8, first 2 shown]
	s_waitcnt vmcnt(46) lgkmcnt(1)
	v_mul_f64 v[54:55], v[46:47], v[178:179]
	s_waitcnt vmcnt(44)
	v_fmac_f64_e32 v[54:55], v[48:49], v[182:183]
	v_add_f64 v[0:1], v[0:1], v[54:55]
	ds_read_b128 v[54:57], v184 offset:1728
	buffer_load_dword v219, off, s[0:3], 0 offset:940
	buffer_load_dword v218, off, s[0:3], 0 offset:936
	;; [unrolled: 1-line block ×12, first 2 shown]
	s_waitcnt lgkmcnt(1)
	v_mul_f64 v[58:59], v[50:51], v[150:151]
	v_fmac_f64_e32 v[58:59], v[52:53], v[152:153]
	v_add_f64 v[0:1], v[0:1], v[58:59]
	ds_read_b128 v[58:61], v184 offset:1744
	s_waitcnt vmcnt(50) lgkmcnt(1)
	v_mul_f64 v[62:63], v[54:55], v[188:189]
	s_waitcnt vmcnt(48)
	v_fmac_f64_e32 v[62:63], v[56:57], v[190:191]
	v_add_f64 v[0:1], v[0:1], v[62:63]
	buffer_load_dword v229, off, s[0:3], 0 offset:988
	buffer_load_dword v228, off, s[0:3], 0 offset:984
	;; [unrolled: 1-line block ×4, first 2 shown]
	s_waitcnt lgkmcnt(0)
	v_mul_f64 v[62:63], v[58:59], v[156:157]
	v_fmac_f64_e32 v[62:63], v[60:61], v[160:161]
	v_add_f64 v[0:1], v[0:1], v[62:63]
	ds_read_b128 v[62:65], v184 offset:1760
	ds_read_b128 v[66:69], v184 offset:1776
	;; [unrolled: 1-line block ×3, first 2 shown]
	v_fma_f64 v[252:253], v[98:99], v[80:81], -v[78:79]
	ds_read_b128 v[78:81], v184 offset:1824
	s_waitcnt vmcnt(46) lgkmcnt(3)
	v_mul_f64 v[74:75], v[62:63], v[192:193]
	s_waitcnt vmcnt(44)
	v_fmac_f64_e32 v[74:75], v[64:65], v[194:195]
	v_add_f64 v[0:1], v[0:1], v[74:75]
	s_waitcnt lgkmcnt(2)
	v_mul_f64 v[74:75], v[66:67], v[164:165]
	v_fmac_f64_e32 v[74:75], v[68:69], v[168:169]
	v_add_f64 v[0:1], v[0:1], v[74:75]
	ds_read_b128 v[74:77], v184 offset:1808
	s_waitcnt vmcnt(38) lgkmcnt(2)
	v_mul_f64 v[86:87], v[70:71], v[196:197]
	s_waitcnt vmcnt(36)
	v_fmac_f64_e32 v[86:87], v[72:73], v[198:199]
	v_fma_f64 v[254:255], v[110:111], v[84:85], -v[82:83]
	ds_read_b128 v[82:85], v184 offset:1840
	v_add_f64 v[0:1], v[0:1], v[86:87]
	s_waitcnt lgkmcnt(1)
	v_mul_f64 v[86:87], v[74:75], v[172:173]
	v_fmac_f64_e32 v[86:87], v[76:77], v[176:177]
	v_add_f64 v[0:1], v[0:1], v[86:87]
	s_waitcnt vmcnt(30)
	v_mul_f64 v[86:87], v[78:79], v[200:201]
	s_waitcnt vmcnt(28)
	v_fmac_f64_e32 v[86:87], v[80:81], v[202:203]
	v_add_f64 v[0:1], v[0:1], v[86:87]
	s_waitcnt lgkmcnt(0)
	v_mul_f64 v[86:87], v[82:83], v[180:181]
	v_fmac_f64_e32 v[86:87], v[84:85], v[186:187]
	v_add_f64 v[0:1], v[0:1], v[86:87]
	ds_read_b128 v[86:89], v184 offset:1856
	v_fma_f64 v[250:251], v[114:115], v[92:93], -v[90:91]
	ds_read_b128 v[90:93], v184 offset:1872
	v_mul_f64 v[94:95], v[234:235], v[94:95]
	v_fma_f64 v[234:235], v[232:233], v[96:97], -v[94:95]
	ds_read_b128 v[94:97], v184 offset:1888
	v_mul_f64 v[4:5], v[4:5], v[118:119]
	v_fma_f64 v[2:3], v[2:3], v[120:121], -v[4:5]
	s_waitcnt vmcnt(26) lgkmcnt(2)
	v_mul_f64 v[98:99], v[86:87], v[204:205]
	s_waitcnt vmcnt(24)
	v_fmac_f64_e32 v[98:99], v[88:89], v[206:207]
	v_add_f64 v[0:1], v[0:1], v[98:99]
	s_waitcnt vmcnt(22) lgkmcnt(1)
	v_mul_f64 v[98:99], v[90:91], v[208:209]
	s_waitcnt vmcnt(20)
	v_fmac_f64_e32 v[98:99], v[92:93], v[212:213]
	v_add_f64 v[0:1], v[0:1], v[98:99]
	;; [unrolled: 5-line block ×3, first 2 shown]
	ds_read_b128 v[98:101], v184 offset:1904
	v_mul_f64 v[0:1], v[238:239], v[102:103]
	v_fma_f64 v[236:237], v[236:237], v[104:105], -v[0:1]
	ds_read_b128 v[102:105], v184 offset:1920
	v_mul_f64 v[0:1], v[242:243], v[106:107]
	v_fma_f64 v[0:1], v[240:241], v[108:109], -v[0:1]
	ds_read_b128 v[106:109], v184 offset:1936
	s_waitcnt vmcnt(14) lgkmcnt(2)
	v_mul_f64 v[112:113], v[98:99], v[218:219]
	s_waitcnt vmcnt(12)
	v_fmac_f64_e32 v[112:113], v[100:101], v[220:221]
	v_add_f64 v[110:111], v[110:111], v[112:113]
	s_waitcnt vmcnt(9) lgkmcnt(1)
	v_mul_f64 v[112:113], v[102:103], v[224:225]
	s_waitcnt vmcnt(7)
	v_fmac_f64_e32 v[112:113], v[104:105], v[226:227]
	v_add_f64 v[110:111], v[110:111], v[112:113]
	;; [unrolled: 5-line block ×3, first 2 shown]
	ds_read_b128 v[110:113], v184 offset:1952
	buffer_load_dword v242, off, s[0:3], 0 offset:1000
	buffer_load_dword v243, off, s[0:3], 0 offset:1004
	;; [unrolled: 1-line block ×4, first 2 shown]
	s_waitcnt vmcnt(6) lgkmcnt(0)
	v_mul_f64 v[116:117], v[110:111], v[228:229]
	s_waitcnt vmcnt(4)
	v_fmac_f64_e32 v[116:117], v[112:113], v[230:231]
	v_add_f64 v[232:233], v[114:115], v[116:117]
	ds_read_b128 v[114:117], v184 offset:1968
	s_waitcnt vmcnt(2) lgkmcnt(0)
	v_mul_f64 v[238:239], v[114:115], v[242:243]
	s_waitcnt vmcnt(0)
	v_fmac_f64_e32 v[238:239], v[116:117], v[244:245]
	v_add_f64 v[232:233], v[232:233], v[238:239]
	v_add_f64 v[238:239], v[246:247], 0
	;; [unrolled: 1-line block ×3, first 2 shown]
	buffer_load_dword v248, off, s[0:3], 0 offset:400
	buffer_load_dword v249, off, s[0:3], 0 offset:404
	;; [unrolled: 1-line block ×4, first 2 shown]
	v_add_f64 v[238:239], v[238:239], v[252:253]
	v_add_f64 v[238:239], v[238:239], v[254:255]
	;; [unrolled: 1-line block ×7, first 2 shown]
	v_mul_f64 v[2:3], v[8:9], v[126:127]
	v_fma_f64 v[2:3], v[6:7], v[128:129], -v[2:3]
	v_add_f64 v[0:1], v[0:1], v[2:3]
	v_mul_f64 v[2:3], v[12:13], v[122:123]
	v_fma_f64 v[2:3], v[10:11], v[124:125], -v[2:3]
	v_add_f64 v[0:1], v[0:1], v[2:3]
	;; [unrolled: 3-line block ×28, first 2 shown]
	s_waitcnt vmcnt(2)
	v_add_f64 v[0:1], v[248:249], -v[0:1]
	s_waitcnt vmcnt(0)
	v_add_f64 v[2:3], v[246:247], -v[232:233]
	buffer_store_dword v1, off, s[0:3], 0 offset:404
	buffer_store_dword v0, off, s[0:3], 0 offset:400
	;; [unrolled: 1-line block ×4, first 2 shown]
	s_and_saveexec_b64 s[4:5], vcc
	s_cbranch_execz .LBB125_351
; %bb.350:
	v_accvgpr_read_b32 v0, a162
	buffer_load_dword v2, v0, s[0:3], 0 offen
	buffer_load_dword v3, v0, s[0:3], 0 offen offset:4
	buffer_load_dword v4, v0, s[0:3], 0 offen offset:8
	;; [unrolled: 1-line block ×3, first 2 shown]
	v_accvgpr_read_b32 v0, a186
	buffer_store_dword v184, off, s[0:3], 0 offset:384
	buffer_store_dword v184, off, s[0:3], 0 offset:388
	;; [unrolled: 1-line block ×4, first 2 shown]
	s_waitcnt vmcnt(4)
	ds_write_b128 v0, v[2:5]
.LBB125_351:
	s_or_b64 exec, exec, s[4:5]
	s_waitcnt lgkmcnt(0)
	; wave barrier
	s_waitcnt lgkmcnt(0)
	buffer_load_dword v66, off, s[0:3], 0 offset:400
	buffer_load_dword v67, off, s[0:3], 0 offset:404
	;; [unrolled: 1-line block ×42, first 2 shown]
	ds_read_b128 v[78:81], v184 offset:1376
	ds_read_b128 v[90:93], v184 offset:1392
	;; [unrolled: 1-line block ×10, first 2 shown]
	buffer_load_dword v129, off, s[0:3], 0 offset:548
	buffer_load_dword v128, off, s[0:3], 0 offset:544
	ds_read_b128 v[6:9], v184 offset:1536
	buffer_load_dword v125, off, s[0:3], 0 offset:604
	buffer_load_dword v124, off, s[0:3], 0 offset:600
	;; [unrolled: 1-line block ×80, first 2 shown]
	s_waitcnt vmcnt(62) lgkmcnt(9)
	v_mul_f64 v[10:11], v[90:91], v[64:65]
	v_fmac_f64_e32 v[10:11], v[92:93], v[62:63]
	s_waitcnt lgkmcnt(8)
	v_mul_f64 v[12:13], v[102:103], v[70:71]
	v_mul_f64 v[64:65], v[92:93], v[64:65]
	s_waitcnt lgkmcnt(6)
	v_mul_f64 v[16:17], v[114:115], v[82:83]
	v_fma_f64 v[254:255], v[90:91], v[62:63], -v[64:65]
	v_fmac_f64_e32 v[16:17], v[116:117], v[84:85]
	v_mul_f64 v[70:71], v[104:105], v[70:71]
	v_mul_f64 v[14:15], v[110:111], v[74:75]
	;; [unrolled: 1-line block ×3, first 2 shown]
	s_waitcnt lgkmcnt(4)
	v_mul_f64 v[20:21], v[236:237], v[94:95]
	v_mul_f64 v[82:83], v[116:117], v[82:83]
	v_fmac_f64_e32 v[20:21], v[238:239], v[96:97]
	v_mul_f64 v[94:95], v[238:239], v[94:95]
	v_mul_f64 v[18:19], v[232:233], v[86:87]
	;; [unrolled: 1-line block ×3, first 2 shown]
	s_waitcnt lgkmcnt(2)
	v_mul_f64 v[24:25], v[244:245], v[106:107]
	v_fma_f64 v[236:237], v[236:237], v[96:97], -v[94:95]
	v_mul_f64 v[106:107], v[246:247], v[106:107]
	v_mul_f64 v[22:23], v[240:241], v[98:99]
	s_waitcnt lgkmcnt(1)
	v_mul_f64 v[26:27], v[118:119], v[4:5]
	v_fmac_f64_e32 v[12:13], v[104:105], v[72:73]
	v_fma_f64 v[250:251], v[102:103], v[72:73], -v[70:71]
	v_fmac_f64_e32 v[14:15], v[112:113], v[76:77]
	v_fma_f64 v[252:253], v[110:111], v[76:77], -v[74:75]
	;; [unrolled: 2-line block ×3, first 2 shown]
	v_fmac_f64_e32 v[22:23], v[242:243], v[100:101]
	v_fmac_f64_e32 v[24:25], v[246:247], v[108:109]
	v_fma_f64 v[234:235], v[244:245], v[108:109], -v[106:107]
	v_pk_mov_b32 v[2:3], v[0:1], v[0:1] op_sel:[0,1]
	v_mul_f64 v[0:1], v[78:79], v[68:69]
	v_fmac_f64_e32 v[0:1], v[80:81], v[66:67]
	v_add_f64 v[0:1], v[0:1], 0
	v_add_f64 v[0:1], v[0:1], v[10:11]
	v_add_f64 v[0:1], v[0:1], v[12:13]
	v_add_f64 v[0:1], v[0:1], v[14:15]
	v_add_f64 v[0:1], v[0:1], v[16:17]
	v_add_f64 v[0:1], v[0:1], v[18:19]
	v_add_f64 v[0:1], v[0:1], v[20:21]
	v_add_f64 v[0:1], v[0:1], v[22:23]
	ds_read_b128 v[10:13], v184 offset:1552
	v_add_f64 v[0:1], v[0:1], v[24:25]
	v_fmac_f64_e32 v[26:27], v[120:121], v[128:129]
	s_waitcnt lgkmcnt(1)
	v_mul_f64 v[14:15], v[6:7], v[2:3]
	v_add_f64 v[0:1], v[0:1], v[26:27]
	v_fmac_f64_e32 v[14:15], v[8:9], v[122:123]
	v_add_f64 v[0:1], v[0:1], v[14:15]
	ds_read_b128 v[14:17], v184 offset:1568
	s_waitcnt lgkmcnt(1)
	v_mul_f64 v[18:19], v[10:11], v[130:131]
	v_fmac_f64_e32 v[18:19], v[12:13], v[146:147]
	v_add_f64 v[0:1], v[0:1], v[18:19]
	ds_read_b128 v[18:21], v184 offset:1584
	s_waitcnt lgkmcnt(1)
	v_mul_f64 v[22:23], v[14:15], v[124:125]
	;; [unrolled: 5-line block ×4, first 2 shown]
	v_fmac_f64_e32 v[30:31], v[24:25], v[134:135]
	v_add_f64 v[0:1], v[0:1], v[30:31]
	ds_read_b128 v[30:33], v184 offset:1632
	s_waitcnt vmcnt(58) lgkmcnt(1)
	v_mul_f64 v[34:35], v[26:27], v[158:159]
	s_waitcnt vmcnt(56)
	v_fmac_f64_e32 v[34:35], v[28:29], v[162:163]
	v_add_f64 v[0:1], v[0:1], v[34:35]
	ds_read_b128 v[34:37], v184 offset:1648
	s_waitcnt lgkmcnt(1)
	v_mul_f64 v[38:39], v[30:31], v[136:137]
	v_fmac_f64_e32 v[38:39], v[32:33], v[138:139]
	v_add_f64 v[0:1], v[0:1], v[38:39]
	ds_read_b128 v[38:41], v184 offset:1664
	s_waitcnt vmcnt(50) lgkmcnt(1)
	v_mul_f64 v[42:43], v[34:35], v[166:167]
	s_waitcnt vmcnt(48)
	v_fmac_f64_e32 v[42:43], v[36:37], v[170:171]
	v_add_f64 v[0:1], v[0:1], v[42:43]
	ds_read_b128 v[42:45], v184 offset:1680
	s_waitcnt lgkmcnt(1)
	v_mul_f64 v[46:47], v[38:39], v[140:141]
	v_fmac_f64_e32 v[46:47], v[40:41], v[142:143]
	v_add_f64 v[0:1], v[0:1], v[46:47]
	ds_read_b128 v[46:49], v184 offset:1696
	s_waitcnt vmcnt(42) lgkmcnt(1)
	v_mul_f64 v[50:51], v[42:43], v[174:175]
	s_waitcnt vmcnt(40)
	v_fmac_f64_e32 v[50:51], v[44:45], v[178:179]
	v_add_f64 v[0:1], v[0:1], v[50:51]
	ds_read_b128 v[50:53], v184 offset:1712
	buffer_load_dword v209, off, s[0:3], 0 offset:908
	buffer_load_dword v208, off, s[0:3], 0 offset:904
	buffer_load_dword v211, off, s[0:3], 0 offset:900
	buffer_load_dword v210, off, s[0:3], 0 offset:896
	s_waitcnt lgkmcnt(1)
	v_mul_f64 v[54:55], v[46:47], v[144:145]
	v_fmac_f64_e32 v[54:55], v[48:49], v[148:149]
	v_add_f64 v[0:1], v[0:1], v[54:55]
	ds_read_b128 v[54:57], v184 offset:1728
	buffer_load_dword v214, off, s[0:3], 0 offset:920
	buffer_load_dword v216, off, s[0:3], 0 offset:912
	;; [unrolled: 1-line block ×16, first 2 shown]
	s_waitcnt vmcnt(54) lgkmcnt(1)
	v_mul_f64 v[58:59], v[50:51], v[182:183]
	s_waitcnt vmcnt(52)
	v_fmac_f64_e32 v[58:59], v[52:53], v[188:189]
	v_add_f64 v[0:1], v[0:1], v[58:59]
	ds_read_b128 v[58:61], v184 offset:1744
	v_mul_f64 v[68:69], v[80:81], v[68:69]
	buffer_load_dword v228, off, s[0:3], 0 offset:984
	buffer_load_dword v230, off, s[0:3], 0 offset:976
	;; [unrolled: 1-line block ×4, first 2 shown]
	ds_read_b128 v[62:65], v184 offset:1760
	ds_read_b128 v[70:73], v184 offset:1792
	v_fma_f64 v[248:249], v[78:79], v[66:67], -v[68:69]
	s_waitcnt lgkmcnt(3)
	v_mul_f64 v[66:67], v[54:55], v[152:153]
	v_fmac_f64_e32 v[66:67], v[56:57], v[156:157]
	v_add_f64 v[0:1], v[0:1], v[66:67]
	s_waitcnt vmcnt(50) lgkmcnt(2)
	v_mul_f64 v[66:67], v[58:59], v[192:193]
	s_waitcnt vmcnt(48)
	v_fmac_f64_e32 v[66:67], v[60:61], v[194:195]
	v_add_f64 v[0:1], v[0:1], v[66:67]
	s_waitcnt lgkmcnt(1)
	v_mul_f64 v[66:67], v[62:63], v[160:161]
	v_fmac_f64_e32 v[66:67], v[64:65], v[164:165]
	v_add_f64 v[0:1], v[0:1], v[66:67]
	ds_read_b128 v[66:69], v184 offset:1776
	ds_read_b128 v[74:77], v184 offset:1808
	v_accvgpr_write_b32 a189, v3
	v_accvgpr_write_b32 a188, v2
	v_fma_f64 v[2:3], v[114:115], v[84:85], -v[82:83]
	s_waitcnt vmcnt(42) lgkmcnt(1)
	v_mul_f64 v[78:79], v[66:67], v[196:197]
	s_waitcnt vmcnt(40)
	v_fmac_f64_e32 v[78:79], v[68:69], v[198:199]
	v_add_f64 v[0:1], v[0:1], v[78:79]
	v_mul_f64 v[78:79], v[70:71], v[168:169]
	v_fmac_f64_e32 v[78:79], v[72:73], v[172:173]
	v_add_f64 v[0:1], v[0:1], v[78:79]
	ds_read_b128 v[78:81], v184 offset:1824
	ds_read_b128 v[82:85], v184 offset:1840
	s_waitcnt vmcnt(34) lgkmcnt(2)
	v_mul_f64 v[90:91], v[74:75], v[200:201]
	s_waitcnt vmcnt(32)
	v_fmac_f64_e32 v[90:91], v[76:77], v[202:203]
	ds_read_b128 v[86:89], v184 offset:1856
	ds_read_b128 v[94:97], v184 offset:1888
	v_add_f64 v[0:1], v[0:1], v[90:91]
	s_waitcnt lgkmcnt(3)
	v_mul_f64 v[90:91], v[78:79], v[176:177]
	v_fmac_f64_e32 v[90:91], v[80:81], v[180:181]
	v_add_f64 v[0:1], v[0:1], v[90:91]
	s_waitcnt vmcnt(26) lgkmcnt(2)
	v_mul_f64 v[90:91], v[82:83], v[204:205]
	s_waitcnt vmcnt(24)
	v_fmac_f64_e32 v[90:91], v[84:85], v[206:207]
	v_add_f64 v[0:1], v[0:1], v[90:91]
	s_waitcnt lgkmcnt(1)
	v_mul_f64 v[90:91], v[86:87], v[186:187]
	v_fmac_f64_e32 v[90:91], v[88:89], v[190:191]
	v_add_f64 v[0:1], v[0:1], v[90:91]
	ds_read_b128 v[90:93], v184 offset:1872
	ds_read_b128 v[106:109], v184 offset:1936
	s_waitcnt vmcnt(22) lgkmcnt(1)
	v_mul_f64 v[102:103], v[90:91], v[208:209]
	s_waitcnt vmcnt(20)
	v_fmac_f64_e32 v[102:103], v[92:93], v[210:211]
	v_add_f64 v[102:103], v[0:1], v[102:103]
	v_mul_f64 v[0:1], v[242:243], v[98:99]
	v_fma_f64 v[0:1], v[240:241], v[100:101], -v[0:1]
	ds_read_b128 v[98:101], v184 offset:1904
	s_waitcnt vmcnt(17)
	v_mul_f64 v[104:105], v[94:95], v[214:215]
	s_waitcnt vmcnt(16)
	v_fmac_f64_e32 v[104:105], v[96:97], v[216:217]
	v_add_f64 v[110:111], v[102:103], v[104:105]
	ds_read_b128 v[102:105], v184 offset:1920
	s_waitcnt vmcnt(13) lgkmcnt(1)
	v_mul_f64 v[112:113], v[98:99], v[218:219]
	s_waitcnt vmcnt(11)
	v_fmac_f64_e32 v[112:113], v[100:101], v[224:225]
	v_add_f64 v[110:111], v[110:111], v[112:113]
	s_waitcnt vmcnt(10) lgkmcnt(0)
	v_mul_f64 v[112:113], v[102:103], v[212:213]
	s_waitcnt vmcnt(8)
	v_fmac_f64_e32 v[112:113], v[104:105], v[222:223]
	v_add_f64 v[110:111], v[110:111], v[112:113]
	s_waitcnt vmcnt(6)
	v_mul_f64 v[112:113], v[106:107], v[220:221]
	s_waitcnt vmcnt(4)
	v_fmac_f64_e32 v[112:113], v[108:109], v[226:227]
	v_add_f64 v[114:115], v[110:111], v[112:113]
	ds_read_b128 v[110:113], v184 offset:1952
	buffer_load_dword v243, off, s[0:3], 0 offset:1004
	buffer_load_dword v242, off, s[0:3], 0 offset:1000
	;; [unrolled: 1-line block ×4, first 2 shown]
	s_waitcnt vmcnt(5) lgkmcnt(0)
	v_mul_f64 v[116:117], v[110:111], v[228:229]
	s_waitcnt vmcnt(4)
	v_fmac_f64_e32 v[116:117], v[112:113], v[230:231]
	v_add_f64 v[238:239], v[114:115], v[116:117]
	ds_read_b128 v[114:117], v184 offset:1968
	s_waitcnt vmcnt(2) lgkmcnt(0)
	v_mul_f64 v[184:185], v[114:115], v[242:243]
	s_waitcnt vmcnt(0)
	v_fmac_f64_e32 v[184:185], v[116:117], v[244:245]
	v_add_f64 v[184:185], v[238:239], v[184:185]
	v_add_f64 v[238:239], v[248:249], 0
	buffer_load_dword v248, off, s[0:3], 0 offset:384
	buffer_load_dword v249, off, s[0:3], 0 offset:388
	;; [unrolled: 1-line block ×4, first 2 shown]
	v_add_f64 v[238:239], v[238:239], v[254:255]
	v_add_f64 v[238:239], v[238:239], v[250:251]
	;; [unrolled: 1-line block ×7, first 2 shown]
	v_mul_f64 v[2:3], v[120:121], v[4:5]
	v_add_f64 v[0:1], v[0:1], v[234:235]
	v_fma_f64 v[2:3], v[118:119], v[128:129], -v[2:3]
	v_add_f64 v[0:1], v[0:1], v[2:3]
	v_accvgpr_read_b32 v2, a188
	v_accvgpr_read_b32 v3, a189
	v_mul_f64 v[2:3], v[8:9], v[2:3]
	v_fma_f64 v[2:3], v[6:7], v[122:123], -v[2:3]
	v_add_f64 v[0:1], v[0:1], v[2:3]
	v_mul_f64 v[2:3], v[12:13], v[130:131]
	v_fma_f64 v[2:3], v[10:11], v[146:147], -v[2:3]
	v_add_f64 v[0:1], v[0:1], v[2:3]
	;; [unrolled: 3-line block ×28, first 2 shown]
	s_waitcnt vmcnt(0)
	v_add_f64 v[2:3], v[246:247], -v[184:185]
	v_accvgpr_read_b32 v185, a185
	v_add_f64 v[0:1], v[248:249], -v[0:1]
	v_cmp_lt_u32_e32 vcc, 22, v185
	buffer_store_dword v1, off, s[0:3], 0 offset:388
	buffer_store_dword v0, off, s[0:3], 0 offset:384
	;; [unrolled: 1-line block ×4, first 2 shown]
	s_and_saveexec_b64 s[4:5], vcc
	s_cbranch_execz .LBB125_353
; %bb.352:
	v_accvgpr_read_b32 v0, a163
	buffer_load_dword v2, v0, s[0:3], 0 offen
	buffer_load_dword v3, v0, s[0:3], 0 offen offset:4
	buffer_load_dword v4, v0, s[0:3], 0 offen offset:8
	;; [unrolled: 1-line block ×3, first 2 shown]
	v_mov_b32_e32 v0, 0
	v_accvgpr_read_b32 v1, a186
	buffer_store_dword v0, off, s[0:3], 0 offset:368
	buffer_store_dword v0, off, s[0:3], 0 offset:372
	;; [unrolled: 1-line block ×4, first 2 shown]
	s_waitcnt vmcnt(4)
	ds_write_b128 v1, v[2:5]
.LBB125_353:
	s_or_b64 exec, exec, s[4:5]
	s_waitcnt lgkmcnt(0)
	; wave barrier
	s_waitcnt lgkmcnt(0)
	buffer_load_dword v54, off, s[0:3], 0 offset:384
	buffer_load_dword v55, off, s[0:3], 0 offset:388
	buffer_load_dword v56, off, s[0:3], 0 offset:392
	buffer_load_dword v57, off, s[0:3], 0 offset:396
	buffer_load_dword v58, off, s[0:3], 0 offset:400
	buffer_load_dword v59, off, s[0:3], 0 offset:404
	buffer_load_dword v60, off, s[0:3], 0 offset:408
	buffer_load_dword v61, off, s[0:3], 0 offset:412
	buffer_load_dword v66, off, s[0:3], 0 offset:424
	buffer_load_dword v67, off, s[0:3], 0 offset:428
	buffer_load_dword v79, off, s[0:3], 0 offset:460
	buffer_load_dword v78, off, s[0:3], 0 offset:456
	buffer_load_dword v81, off, s[0:3], 0 offset:452
	buffer_load_dword v80, off, s[0:3], 0 offset:448
	buffer_load_dword v71, off, s[0:3], 0 offset:444
	buffer_load_dword v70, off, s[0:3], 0 offset:440
	buffer_load_dword v91, off, s[0:3], 0 offset:492
	buffer_load_dword v90, off, s[0:3], 0 offset:488
	buffer_load_dword v93, off, s[0:3], 0 offset:484
	buffer_load_dword v92, off, s[0:3], 0 offset:480
	buffer_load_dword v83, off, s[0:3], 0 offset:476
	buffer_load_dword v82, off, s[0:3], 0 offset:472
	buffer_load_dword v103, off, s[0:3], 0 offset:524
	buffer_load_dword v102, off, s[0:3], 0 offset:520
	buffer_load_dword v104, off, s[0:3], 0 offset:512
	buffer_load_dword v95, off, s[0:3], 0 offset:508
	buffer_load_dword v94, off, s[0:3], 0 offset:504
	buffer_load_dword v107, off, s[0:3], 0 offset:540
	buffer_load_dword v106, off, s[0:3], 0 offset:536
	buffer_load_dword v68, off, s[0:3], 0 offset:416
	buffer_load_dword v69, off, s[0:3], 0 offset:420
	buffer_load_dword v73, off, s[0:3], 0 offset:436
	buffer_load_dword v72, off, s[0:3], 0 offset:432
	buffer_load_dword v85, off, s[0:3], 0 offset:468
	buffer_load_dword v84, off, s[0:3], 0 offset:464
	buffer_load_dword v97, off, s[0:3], 0 offset:500
	buffer_load_dword v96, off, s[0:3], 0 offset:496
	buffer_load_dword v105, off, s[0:3], 0 offset:516
	buffer_load_dword v4, off, s[0:3], 0 offset:552
	buffer_load_dword v0, off, s[0:3], 0 offset:544
	buffer_load_dword v1, off, s[0:3], 0 offset:548
	buffer_load_dword v5, off, s[0:3], 0 offset:556
	buffer_load_dword v109, off, s[0:3], 0 offset:532
	buffer_load_dword v108, off, s[0:3], 0 offset:528
	buffer_load_dword v123, off, s[0:3], 0 offset:588
	buffer_load_dword v122, off, s[0:3], 0 offset:584
	buffer_load_dword v125, off, s[0:3], 0 offset:580
	buffer_load_dword v124, off, s[0:3], 0 offset:576
	buffer_load_dword v127, off, s[0:3], 0 offset:572
	v_mov_b32_e32 v184, 0
	ds_read_b128 v[62:65], v184 offset:1360
	ds_read_b128 v[74:77], v184 offset:1376
	;; [unrolled: 1-line block ×11, first 2 shown]
	buffer_load_dword v126, off, s[0:3], 0 offset:568
	buffer_load_dword v143, off, s[0:3], 0 offset:564
	;; [unrolled: 1-line block ×75, first 2 shown]
	v_cmp_lt_u32_e32 vcc, 21, v185
	s_waitcnt vmcnt(62) lgkmcnt(9)
	v_mul_f64 v[6:7], v[74:75], v[60:61]
	v_fmac_f64_e32 v[6:7], v[76:77], v[58:59]
	s_waitcnt lgkmcnt(8)
	v_mul_f64 v[8:9], v[86:87], v[66:67]
	v_mul_f64 v[60:61], v[76:77], v[60:61]
	s_waitcnt lgkmcnt(6)
	v_mul_f64 v[12:13], v[110:111], v[78:79]
	v_fma_f64 v[248:249], v[74:75], v[58:59], -v[60:61]
	v_fmac_f64_e32 v[12:13], v[112:113], v[80:81]
	v_mul_f64 v[66:67], v[88:89], v[66:67]
	v_mul_f64 v[10:11], v[98:99], v[70:71]
	;; [unrolled: 1-line block ×3, first 2 shown]
	s_waitcnt lgkmcnt(4)
	v_mul_f64 v[16:17], v[228:229], v[90:91]
	v_mul_f64 v[78:79], v[112:113], v[78:79]
	v_fmac_f64_e32 v[16:17], v[230:231], v[92:93]
	v_fma_f64 v[250:251], v[110:111], v[80:81], -v[78:79]
	v_mul_f64 v[14:15], v[114:115], v[82:83]
	v_mul_f64 v[82:83], v[116:117], v[82:83]
	s_waitcnt lgkmcnt(2)
	v_mul_f64 v[20:21], v[236:237], v[102:103]
	v_mul_f64 v[90:91], v[230:231], v[90:91]
	v_fma_f64 v[228:229], v[228:229], v[92:93], -v[90:91]
	v_mul_f64 v[18:19], v[232:233], v[94:95]
	v_mul_f64 v[94:95], v[234:235], v[94:95]
	s_waitcnt lgkmcnt(1)
	v_mul_f64 v[22:23], v[240:241], v[106:107]
	v_mul_f64 v[102:103], v[238:239], v[102:103]
	v_fmac_f64_e32 v[8:9], v[88:89], v[68:69]
	v_fma_f64 v[252:253], v[86:87], v[68:69], -v[66:67]
	v_fmac_f64_e32 v[10:11], v[100:101], v[72:73]
	v_fma_f64 v[254:255], v[98:99], v[72:73], -v[70:71]
	v_fmac_f64_e32 v[14:15], v[116:117], v[84:85]
	v_fmac_f64_e32 v[18:19], v[234:235], v[96:97]
	;; [unrolled: 1-line block ×4, first 2 shown]
	v_fma_f64 v[232:233], v[232:233], v[96:97], -v[94:95]
	v_pk_mov_b32 v[2:3], v[0:1], v[0:1] op_sel:[0,1]
	v_mul_f64 v[0:1], v[62:63], v[56:57]
	v_fmac_f64_e32 v[0:1], v[64:65], v[54:55]
	v_add_f64 v[0:1], v[0:1], 0
	v_add_f64 v[0:1], v[0:1], v[6:7]
	;; [unrolled: 1-line block ×9, first 2 shown]
	ds_read_b128 v[6:9], v184 offset:1536
	s_waitcnt lgkmcnt(1)
	v_mul_f64 v[10:11], v[118:119], v[4:5]
	v_add_f64 v[0:1], v[0:1], v[22:23]
	v_fmac_f64_e32 v[10:11], v[120:121], v[2:3]
	v_add_f64 v[0:1], v[0:1], v[10:11]
	ds_read_b128 v[10:13], v184 offset:1552
	s_waitcnt lgkmcnt(1)
	v_mul_f64 v[14:15], v[6:7], v[126:127]
	v_fmac_f64_e32 v[14:15], v[8:9], v[142:143]
	v_add_f64 v[0:1], v[0:1], v[14:15]
	ds_read_b128 v[14:17], v184 offset:1568
	s_waitcnt lgkmcnt(1)
	v_mul_f64 v[18:19], v[10:11], v[122:123]
	;; [unrolled: 5-line block ×4, first 2 shown]
	v_fmac_f64_e32 v[26:27], v[20:21], v[130:131]
	v_add_f64 v[0:1], v[0:1], v[26:27]
	ds_read_b128 v[26:29], v184 offset:1616
	s_waitcnt vmcnt(58) lgkmcnt(1)
	v_mul_f64 v[30:31], v[22:23], v[154:155]
	s_waitcnt vmcnt(56)
	v_fmac_f64_e32 v[30:31], v[24:25], v[158:159]
	v_add_f64 v[0:1], v[0:1], v[30:31]
	ds_read_b128 v[30:33], v184 offset:1632
	s_waitcnt lgkmcnt(1)
	v_mul_f64 v[34:35], v[26:27], v[132:133]
	v_fmac_f64_e32 v[34:35], v[28:29], v[134:135]
	v_add_f64 v[0:1], v[0:1], v[34:35]
	ds_read_b128 v[34:37], v184 offset:1648
	s_waitcnt vmcnt(50) lgkmcnt(1)
	v_mul_f64 v[38:39], v[30:31], v[162:163]
	s_waitcnt vmcnt(48)
	v_fmac_f64_e32 v[38:39], v[32:33], v[166:167]
	v_add_f64 v[0:1], v[0:1], v[38:39]
	ds_read_b128 v[38:41], v184 offset:1664
	s_waitcnt lgkmcnt(1)
	v_mul_f64 v[42:43], v[34:35], v[136:137]
	;; [unrolled: 11-line block ×3, first 2 shown]
	buffer_load_dword v205, off, s[0:3], 0 offset:892
	buffer_load_dword v204, off, s[0:3], 0 offset:888
	;; [unrolled: 1-line block ×4, first 2 shown]
	v_fmac_f64_e32 v[50:51], v[44:45], v[144:145]
	v_add_f64 v[0:1], v[0:1], v[50:51]
	ds_read_b128 v[50:53], v184 offset:1712
	buffer_load_dword v208, off, s[0:3], 0 offset:904
	buffer_load_dword v210, off, s[0:3], 0 offset:896
	buffer_load_dword v209, off, s[0:3], 0 offset:908
	buffer_load_dword v211, off, s[0:3], 0 offset:900
	buffer_load_dword v215, off, s[0:3], 0 offset:924
	buffer_load_dword v214, off, s[0:3], 0 offset:920
	buffer_load_dword v219, off, s[0:3], 0 offset:916
	buffer_load_dword v218, off, s[0:3], 0 offset:912
	buffer_load_dword v217, off, s[0:3], 0 offset:940
	buffer_load_dword v216, off, s[0:3], 0 offset:936
	buffer_load_dword v221, off, s[0:3], 0 offset:932
	buffer_load_dword v220, off, s[0:3], 0 offset:928
	s_waitcnt vmcnt(50) lgkmcnt(1)
	v_mul_f64 v[212:213], v[46:47], v[178:179]
	s_waitcnt vmcnt(48)
	v_fmac_f64_e32 v[212:213], v[48:49], v[182:183]
	v_add_f64 v[0:1], v[0:1], v[212:213]
	buffer_load_dword v212, off, s[0:3], 0 offset:968
	buffer_load_dword v225, off, s[0:3], 0 offset:956
	buffer_load_dword v224, off, s[0:3], 0 offset:952
	buffer_load_dword v227, off, s[0:3], 0 offset:948
	buffer_load_dword v226, off, s[0:3], 0 offset:944
	buffer_load_dword v222, off, s[0:3], 0 offset:960
	buffer_load_dword v213, off, s[0:3], 0 offset:972
	buffer_load_dword v223, off, s[0:3], 0 offset:964
	v_mul_f64 v[56:57], v[64:65], v[56:57]
	v_fma_f64 v[246:247], v[62:63], v[54:55], -v[56:57]
	ds_read_b128 v[54:57], v184 offset:1728
	ds_read_b128 v[58:61], v184 offset:1744
	s_waitcnt lgkmcnt(2)
	v_mul_f64 v[62:63], v[50:51], v[148:149]
	v_fmac_f64_e32 v[62:63], v[52:53], v[152:153]
	v_add_f64 v[0:1], v[0:1], v[62:63]
	s_waitcnt vmcnt(50) lgkmcnt(1)
	v_mul_f64 v[62:63], v[54:55], v[188:189]
	s_waitcnt vmcnt(48)
	v_fmac_f64_e32 v[62:63], v[56:57], v[190:191]
	v_add_f64 v[0:1], v[0:1], v[62:63]
	s_waitcnt lgkmcnt(0)
	v_mul_f64 v[62:63], v[58:59], v[156:157]
	v_fmac_f64_e32 v[62:63], v[60:61], v[160:161]
	v_add_f64 v[0:1], v[0:1], v[62:63]
	ds_read_b128 v[62:65], v184 offset:1760
	ds_read_b128 v[66:69], v184 offset:1776
	;; [unrolled: 1-line block ×4, first 2 shown]
	v_accvgpr_write_b32 a189, v3
	s_waitcnt vmcnt(42) lgkmcnt(3)
	v_mul_f64 v[74:75], v[62:63], v[192:193]
	s_waitcnt vmcnt(40)
	v_fmac_f64_e32 v[74:75], v[64:65], v[194:195]
	v_add_f64 v[0:1], v[0:1], v[74:75]
	s_waitcnt lgkmcnt(2)
	v_mul_f64 v[74:75], v[66:67], v[164:165]
	v_fmac_f64_e32 v[74:75], v[68:69], v[168:169]
	v_add_f64 v[0:1], v[0:1], v[74:75]
	ds_read_b128 v[74:77], v184 offset:1808
	s_waitcnt vmcnt(34) lgkmcnt(2)
	v_mul_f64 v[86:87], v[70:71], v[196:197]
	v_accvgpr_write_b32 a188, v2
	s_waitcnt vmcnt(32)
	v_fmac_f64_e32 v[86:87], v[72:73], v[198:199]
	v_fma_f64 v[2:3], v[114:115], v[84:85], -v[82:83]
	ds_read_b128 v[82:85], v184 offset:1840
	v_add_f64 v[0:1], v[0:1], v[86:87]
	s_waitcnt lgkmcnt(1)
	v_mul_f64 v[86:87], v[74:75], v[172:173]
	v_fmac_f64_e32 v[86:87], v[76:77], v[176:177]
	v_add_f64 v[0:1], v[0:1], v[86:87]
	s_waitcnt vmcnt(26)
	v_mul_f64 v[86:87], v[78:79], v[200:201]
	s_waitcnt vmcnt(24)
	v_fmac_f64_e32 v[86:87], v[80:81], v[202:203]
	v_add_f64 v[0:1], v[0:1], v[86:87]
	s_waitcnt lgkmcnt(0)
	v_mul_f64 v[86:87], v[82:83], v[180:181]
	v_fmac_f64_e32 v[86:87], v[84:85], v[186:187]
	v_add_f64 v[0:1], v[0:1], v[86:87]
	ds_read_b128 v[86:89], v184 offset:1856
	ds_read_b128 v[90:93], v184 offset:1872
	ds_read_b128 v[94:97], v184 offset:1888
	v_fma_f64 v[238:239], v[236:237], v[104:105], -v[102:103]
	ds_read_b128 v[102:105], v184 offset:1920
	s_waitcnt vmcnt(22) lgkmcnt(3)
	v_mul_f64 v[98:99], v[86:87], v[204:205]
	s_waitcnt vmcnt(20)
	v_fmac_f64_e32 v[98:99], v[88:89], v[206:207]
	v_add_f64 v[0:1], v[0:1], v[98:99]
	s_waitcnt vmcnt(17) lgkmcnt(2)
	v_mul_f64 v[98:99], v[90:91], v[208:209]
	s_waitcnt vmcnt(16)
	v_fmac_f64_e32 v[98:99], v[92:93], v[210:211]
	v_add_f64 v[0:1], v[0:1], v[98:99]
	ds_read_b128 v[98:101], v184 offset:1904
	s_waitcnt vmcnt(14) lgkmcnt(2)
	v_mul_f64 v[110:111], v[94:95], v[214:215]
	s_waitcnt vmcnt(12)
	v_fmac_f64_e32 v[110:111], v[96:97], v[218:219]
	v_add_f64 v[110:111], v[0:1], v[110:111]
	v_mul_f64 v[0:1], v[242:243], v[106:107]
	v_fma_f64 v[0:1], v[240:241], v[108:109], -v[0:1]
	ds_read_b128 v[106:109], v184 offset:1936
	buffer_load_dword v235, off, s[0:3], 0 offset:988
	buffer_load_dword v234, off, s[0:3], 0 offset:984
	;; [unrolled: 1-line block ×4, first 2 shown]
	s_waitcnt vmcnt(14) lgkmcnt(1)
	v_mul_f64 v[112:113], v[98:99], v[216:217]
	s_waitcnt vmcnt(12)
	v_fmac_f64_e32 v[112:113], v[100:101], v[220:221]
	v_add_f64 v[110:111], v[110:111], v[112:113]
	s_waitcnt vmcnt(9)
	v_mul_f64 v[112:113], v[102:103], v[224:225]
	s_waitcnt vmcnt(7)
	v_fmac_f64_e32 v[112:113], v[104:105], v[226:227]
	v_add_f64 v[110:111], v[110:111], v[112:113]
	s_waitcnt vmcnt(5) lgkmcnt(0)
	v_mul_f64 v[112:113], v[106:107], v[212:213]
	s_waitcnt vmcnt(4)
	v_fmac_f64_e32 v[112:113], v[108:109], v[222:223]
	v_add_f64 v[114:115], v[110:111], v[112:113]
	ds_read_b128 v[110:113], v184 offset:1952
	buffer_load_dword v242, off, s[0:3], 0 offset:1000
	buffer_load_dword v243, off, s[0:3], 0 offset:1004
	;; [unrolled: 1-line block ×4, first 2 shown]
	s_waitcnt vmcnt(6) lgkmcnt(0)
	v_mul_f64 v[116:117], v[110:111], v[234:235]
	s_waitcnt vmcnt(4)
	v_fmac_f64_e32 v[116:117], v[112:113], v[230:231]
	v_add_f64 v[236:237], v[114:115], v[116:117]
	ds_read_b128 v[114:117], v184 offset:1968
	s_waitcnt vmcnt(2) lgkmcnt(0)
	v_mul_f64 v[240:241], v[114:115], v[242:243]
	s_waitcnt vmcnt(0)
	v_fmac_f64_e32 v[240:241], v[116:117], v[244:245]
	v_add_f64 v[236:237], v[236:237], v[240:241]
	v_add_f64 v[240:241], v[246:247], 0
	;; [unrolled: 1-line block ×3, first 2 shown]
	buffer_load_dword v248, off, s[0:3], 0 offset:368
	buffer_load_dword v249, off, s[0:3], 0 offset:372
	;; [unrolled: 1-line block ×4, first 2 shown]
	v_add_f64 v[240:241], v[240:241], v[252:253]
	v_add_f64 v[240:241], v[240:241], v[254:255]
	;; [unrolled: 1-line block ×7, first 2 shown]
	v_mul_f64 v[2:3], v[120:121], v[4:5]
	v_accvgpr_read_b32 v4, a188
	v_accvgpr_read_b32 v5, a189
	v_add_f64 v[0:1], v[252:253], v[0:1]
	v_fma_f64 v[2:3], v[118:119], v[4:5], -v[2:3]
	v_add_f64 v[0:1], v[0:1], v[2:3]
	v_mul_f64 v[2:3], v[8:9], v[126:127]
	v_fma_f64 v[2:3], v[6:7], v[142:143], -v[2:3]
	v_add_f64 v[0:1], v[0:1], v[2:3]
	v_mul_f64 v[2:3], v[12:13], v[122:123]
	;; [unrolled: 3-line block ×28, first 2 shown]
	v_fma_f64 v[2:3], v[114:115], v[244:245], -v[2:3]
	v_add_f64 v[0:1], v[0:1], v[2:3]
	s_waitcnt vmcnt(2)
	v_add_f64 v[0:1], v[248:249], -v[0:1]
	s_waitcnt vmcnt(0)
	v_add_f64 v[2:3], v[246:247], -v[236:237]
	buffer_store_dword v1, off, s[0:3], 0 offset:372
	buffer_store_dword v0, off, s[0:3], 0 offset:368
	;; [unrolled: 1-line block ×4, first 2 shown]
	s_and_saveexec_b64 s[4:5], vcc
	s_cbranch_execz .LBB125_355
; %bb.354:
	v_accvgpr_read_b32 v0, a164
	buffer_load_dword v2, v0, s[0:3], 0 offen
	buffer_load_dword v3, v0, s[0:3], 0 offen offset:4
	buffer_load_dword v4, v0, s[0:3], 0 offen offset:8
	;; [unrolled: 1-line block ×3, first 2 shown]
	v_accvgpr_read_b32 v0, a186
	buffer_store_dword v184, off, s[0:3], 0 offset:352
	buffer_store_dword v184, off, s[0:3], 0 offset:356
	;; [unrolled: 1-line block ×4, first 2 shown]
	s_waitcnt vmcnt(4)
	ds_write_b128 v0, v[2:5]
.LBB125_355:
	s_or_b64 exec, exec, s[4:5]
	s_waitcnt lgkmcnt(0)
	; wave barrier
	s_waitcnt lgkmcnt(0)
	buffer_load_dword v56, off, s[0:3], 0 offset:368
	buffer_load_dword v57, off, s[0:3], 0 offset:372
	;; [unrolled: 1-line block ×42, first 2 shown]
	ds_read_b128 v[78:81], v184 offset:1344
	ds_read_b128 v[90:93], v184 offset:1360
	ds_read_b128 v[114:117], v184 offset:1376
	ds_read_b128 v[228:231], v184 offset:1392
	ds_read_b128 v[232:235], v184 offset:1408
	ds_read_b128 v[236:239], v184 offset:1424
	ds_read_b128 v[240:243], v184 offset:1440
	ds_read_b128 v[244:247], v184 offset:1456
	ds_read_b128 v[248:251], v184 offset:1472
	ds_read_b128 v[98:101], v184 offset:1488
	buffer_load_dword v1, off, s[0:3], 0 offset:516
	buffer_load_dword v0, off, s[0:3], 0 offset:512
	ds_read_b128 v[106:109], v184 offset:1504
	buffer_load_dword v3, off, s[0:3], 0 offset:572
	buffer_load_dword v2, off, s[0:3], 0 offset:568
	s_waitcnt vmcnt(38) lgkmcnt(9)
	v_mul_f64 v[4:5], v[90:91], v[62:63]
	v_fmac_f64_e32 v[4:5], v[92:93], v[54:55]
	s_waitcnt vmcnt(36) lgkmcnt(8)
	v_mul_f64 v[6:7], v[114:115], v[58:59]
	v_mul_f64 v[58:59], v[116:117], v[58:59]
	s_waitcnt vmcnt(34) lgkmcnt(6)
	v_mul_f64 v[10:11], v[232:233], v[70:71]
	v_mul_f64 v[70:71], v[234:235], v[70:71]
	s_waitcnt vmcnt(32)
	v_fmac_f64_e32 v[10:11], v[234:235], v[72:73]
	s_waitcnt vmcnt(30)
	v_mul_f64 v[8:9], v[228:229], v[64:65]
	s_waitcnt vmcnt(28) lgkmcnt(4)
	v_mul_f64 v[14:15], v[240:241], v[82:83]
	v_mul_f64 v[82:83], v[242:243], v[82:83]
	s_waitcnt vmcnt(26)
	v_fmac_f64_e32 v[14:15], v[242:243], v[84:85]
	v_fma_f64 v[240:241], v[240:241], v[84:85], -v[82:83]
	s_waitcnt vmcnt(24)
	v_mul_f64 v[12:13], v[236:237], v[74:75]
	v_mul_f64 v[74:75], v[238:239], v[74:75]
	s_waitcnt vmcnt(22) lgkmcnt(2)
	v_mul_f64 v[18:19], v[248:249], v[94:95]
	v_mul_f64 v[94:95], v[250:251], v[94:95]
	s_waitcnt vmcnt(19)
	v_mul_f64 v[16:17], v[244:245], v[86:87]
	v_mul_f64 v[86:87], v[246:247], v[86:87]
	s_waitcnt vmcnt(17) lgkmcnt(1)
	v_mul_f64 v[20:21], v[98:99], v[102:103]
	s_waitcnt vmcnt(15)
	v_fmac_f64_e32 v[6:7], v[116:117], v[68:69]
	s_waitcnt vmcnt(13)
	v_fmac_f64_e32 v[8:9], v[230:231], v[66:67]
	s_waitcnt vmcnt(11)
	v_fmac_f64_e32 v[12:13], v[238:239], v[76:77]
	v_fma_f64 v[238:239], v[236:237], v[76:77], -v[74:75]
	s_waitcnt vmcnt(9)
	v_fmac_f64_e32 v[16:17], v[246:247], v[88:89]
	s_waitcnt vmcnt(8)
	v_fmac_f64_e32 v[18:19], v[250:251], v[96:97]
	v_fma_f64 v[246:247], v[244:245], v[88:89], -v[86:87]
	v_fma_f64 v[248:249], v[248:249], v[96:97], -v[94:95]
	s_waitcnt vmcnt(2)
	v_fmac_f64_e32 v[20:21], v[100:101], v[0:1]
	v_mul_f64 v[100:101], v[100:101], v[102:103]
	s_waitcnt vmcnt(0)
	v_pk_mov_b32 v[22:23], v[2:3], v[2:3] op_sel:[0,1]
	buffer_load_dword v3, off, s[0:3], 0 offset:564
	buffer_load_dword v2, off, s[0:3], 0 offset:560
	;; [unrolled: 1-line block ×78, first 2 shown]
	ds_read_b128 v[118:121], v184 offset:1520
	v_accvgpr_write_b32 a189, v23
	v_accvgpr_write_b32 a188, v22
	v_fma_f64 v[250:251], v[98:99], v[0:1], -v[100:101]
	s_waitcnt vmcnt(62)
	v_pk_mov_b32 v[24:25], v[2:3], v[2:3] op_sel:[0,1]
	v_mul_f64 v[2:3], v[78:79], v[60:61]
	v_fmac_f64_e32 v[2:3], v[80:81], v[56:57]
	v_add_f64 v[2:3], v[2:3], 0
	v_add_f64 v[2:3], v[2:3], v[4:5]
	v_add_f64 v[2:3], v[2:3], v[6:7]
	v_add_f64 v[2:3], v[2:3], v[8:9]
	v_add_f64 v[2:3], v[2:3], v[10:11]
	v_add_f64 v[2:3], v[2:3], v[12:13]
	v_add_f64 v[2:3], v[2:3], v[14:15]
	v_add_f64 v[2:3], v[2:3], v[16:17]
	v_add_f64 v[2:3], v[2:3], v[18:19]
	s_waitcnt lgkmcnt(1)
	v_mul_f64 v[8:9], v[106:107], v[110:111]
	v_add_f64 v[6:7], v[2:3], v[20:21]
	v_fmac_f64_e32 v[8:9], v[108:109], v[112:113]
	v_add_f64 v[10:11], v[6:7], v[8:9]
	ds_read_b128 v[6:9], v184 offset:1536
	s_waitcnt lgkmcnt(1)
	v_mul_f64 v[12:13], v[118:119], v[122:123]
	v_fmac_f64_e32 v[12:13], v[120:121], v[138:139]
	v_add_f64 v[14:15], v[10:11], v[12:13]
	ds_read_b128 v[10:13], v184 offset:1552
	s_waitcnt lgkmcnt(1)
	v_mul_f64 v[16:17], v[6:7], v[22:23]
	v_fmac_f64_e32 v[16:17], v[8:9], v[24:25]
	v_add_f64 v[18:19], v[14:15], v[16:17]
	ds_read_b128 v[14:17], v184 offset:1568
	s_waitcnt lgkmcnt(1)
	v_mul_f64 v[20:21], v[10:11], v[142:143]
	v_fmac_f64_e32 v[20:21], v[12:13], v[146:147]
	v_add_f64 v[22:23], v[18:19], v[20:21]
	ds_read_b128 v[18:21], v184 offset:1584
	v_accvgpr_write_b32 a191, v25
	v_accvgpr_write_b32 a190, v24
	s_waitcnt lgkmcnt(1)
	v_mul_f64 v[24:25], v[14:15], v[124:125]
	v_fmac_f64_e32 v[24:25], v[16:17], v[126:127]
	v_add_f64 v[26:27], v[22:23], v[24:25]
	ds_read_b128 v[22:25], v184 offset:1600
	s_waitcnt vmcnt(58) lgkmcnt(1)
	v_mul_f64 v[28:29], v[18:19], v[150:151]
	s_waitcnt vmcnt(56)
	v_fmac_f64_e32 v[28:29], v[20:21], v[154:155]
	v_add_f64 v[30:31], v[26:27], v[28:29]
	ds_read_b128 v[26:29], v184 offset:1616
	s_waitcnt lgkmcnt(1)
	v_mul_f64 v[32:33], v[22:23], v[128:129]
	v_fmac_f64_e32 v[32:33], v[24:25], v[130:131]
	v_add_f64 v[34:35], v[30:31], v[32:33]
	ds_read_b128 v[30:33], v184 offset:1632
	s_waitcnt vmcnt(50) lgkmcnt(1)
	v_mul_f64 v[36:37], v[26:27], v[158:159]
	s_waitcnt vmcnt(48)
	v_fmac_f64_e32 v[36:37], v[28:29], v[162:163]
	v_add_f64 v[38:39], v[34:35], v[36:37]
	ds_read_b128 v[34:37], v184 offset:1648
	;; [unrolled: 11-line block ×4, first 2 shown]
	buffer_load_dword v200, off, s[0:3], 0 offset:888
	buffer_load_dword v205, off, s[0:3], 0 offset:876
	;; [unrolled: 1-line block ×8, first 2 shown]
	s_waitcnt lgkmcnt(1)
	v_mul_f64 v[208:209], v[46:47], v[144:145]
	v_fmac_f64_e32 v[208:209], v[48:49], v[148:149]
	v_add_f64 v[104:105], v[104:105], v[208:209]
	buffer_load_dword v209, off, s[0:3], 0 offset:908
	buffer_load_dword v208, off, s[0:3], 0 offset:904
	;; [unrolled: 1-line block ×20, first 2 shown]
	v_mul_f64 v[60:61], v[80:81], v[60:61]
	s_waitcnt vmcnt(54) lgkmcnt(0)
	v_mul_f64 v[252:253], v[50:51], v[182:183]
	v_fma_f64 v[254:255], v[78:79], v[56:57], -v[60:61]
	v_mul_f64 v[56:57], v[92:93], v[62:63]
	v_fma_f64 v[2:3], v[90:91], v[54:55], -v[56:57]
	s_waitcnt vmcnt(52)
	v_fmac_f64_e32 v[252:253], v[52:53], v[186:187]
	ds_read_b128 v[54:57], v184 offset:1728
	v_add_f64 v[4:5], v[104:105], v[252:253]
	v_fma_f64 v[252:253], v[114:115], v[68:69], -v[58:59]
	ds_read_b128 v[58:61], v184 offset:1744
	v_mul_f64 v[62:63], v[230:231], v[64:65]
	v_fma_f64 v[78:79], v[228:229], v[66:67], -v[62:63]
	ds_read_b128 v[62:65], v184 offset:1760
	s_waitcnt lgkmcnt(2)
	v_mul_f64 v[68:69], v[54:55], v[152:153]
	v_fmac_f64_e32 v[68:69], v[56:57], v[156:157]
	s_waitcnt vmcnt(46) lgkmcnt(1)
	v_mul_f64 v[66:67], v[58:59], v[188:189]
	v_add_f64 v[4:5], v[4:5], v[68:69]
	s_waitcnt vmcnt(44)
	v_fmac_f64_e32 v[66:67], v[60:61], v[190:191]
	v_add_f64 v[4:5], v[4:5], v[66:67]
	v_fma_f64 v[80:81], v[232:233], v[72:73], -v[70:71]
	ds_read_b128 v[70:73], v184 offset:1792
	s_waitcnt lgkmcnt(1)
	v_mul_f64 v[66:67], v[62:63], v[160:161]
	v_fmac_f64_e32 v[66:67], v[64:65], v[164:165]
	v_add_f64 v[4:5], v[4:5], v[66:67]
	ds_read_b128 v[66:69], v184 offset:1776
	ds_read_b128 v[74:77], v184 offset:1808
	;; [unrolled: 1-line block ×6, first 2 shown]
	s_waitcnt vmcnt(38) lgkmcnt(5)
	v_mul_f64 v[90:91], v[66:67], v[192:193]
	s_waitcnt vmcnt(36)
	v_fmac_f64_e32 v[90:91], v[68:69], v[194:195]
	v_add_f64 v[4:5], v[4:5], v[90:91]
	v_mul_f64 v[90:91], v[70:71], v[168:169]
	v_fmac_f64_e32 v[90:91], v[72:73], v[172:173]
	v_add_f64 v[4:5], v[4:5], v[90:91]
	s_waitcnt vmcnt(30) lgkmcnt(4)
	v_mul_f64 v[90:91], v[74:75], v[196:197]
	s_waitcnt vmcnt(28)
	v_fmac_f64_e32 v[90:91], v[76:77], v[198:199]
	v_add_f64 v[4:5], v[4:5], v[90:91]
	s_waitcnt lgkmcnt(3)
	v_mul_f64 v[90:91], v[234:235], v[176:177]
	v_fmac_f64_e32 v[90:91], v[236:237], v[180:181]
	v_add_f64 v[4:5], v[4:5], v[90:91]
	ds_read_b128 v[98:101], v184 offset:1904
	s_waitcnt vmcnt(25) lgkmcnt(3)
	v_mul_f64 v[90:91], v[82:83], v[204:205]
	s_waitcnt vmcnt(23)
	v_fmac_f64_e32 v[90:91], v[84:85], v[206:207]
	v_add_f64 v[4:5], v[4:5], v[90:91]
	s_waitcnt vmcnt(21) lgkmcnt(2)
	v_mul_f64 v[90:91], v[86:87], v[200:201]
	s_waitcnt vmcnt(20)
	v_fmac_f64_e32 v[90:91], v[88:89], v[202:203]
	v_add_f64 v[4:5], v[4:5], v[90:91]
	ds_read_b128 v[90:93], v184 offset:1872
	s_waitcnt vmcnt(18) lgkmcnt(0)
	v_mul_f64 v[104:105], v[90:91], v[208:209]
	s_waitcnt vmcnt(16)
	v_fmac_f64_e32 v[104:105], v[92:93], v[210:211]
	v_add_f64 v[0:1], v[4:5], v[104:105]
	s_waitcnt vmcnt(14)
	v_mul_f64 v[4:5], v[94:95], v[214:215]
	s_waitcnt vmcnt(12)
	v_fmac_f64_e32 v[4:5], v[96:97], v[216:217]
	ds_read_b128 v[102:105], v184 offset:1920
	v_add_f64 v[4:5], v[0:1], v[4:5]
	v_mul_f64 v[0:1], v[108:109], v[110:111]
	v_fma_f64 v[0:1], v[106:107], v[112:113], -v[0:1]
	ds_read_b128 v[106:109], v184 offset:1936
	buffer_load_dword v228, off, s[0:3], 0 offset:984
	buffer_load_dword v229, off, s[0:3], 0 offset:988
	buffer_load_dword v230, off, s[0:3], 0 offset:976
	buffer_load_dword v231, off, s[0:3], 0 offset:980
	s_waitcnt vmcnt(13)
	v_mul_f64 v[110:111], v[98:99], v[220:221]
	s_waitcnt vmcnt(11)
	v_fmac_f64_e32 v[110:111], v[100:101], v[224:225]
	v_add_f64 v[4:5], v[4:5], v[110:111]
	s_waitcnt vmcnt(9) lgkmcnt(1)
	v_mul_f64 v[110:111], v[102:103], v[212:213]
	s_waitcnt vmcnt(8)
	v_fmac_f64_e32 v[110:111], v[104:105], v[218:219]
	v_add_f64 v[4:5], v[4:5], v[110:111]
	s_waitcnt vmcnt(6) lgkmcnt(0)
	v_mul_f64 v[110:111], v[106:107], v[222:223]
	s_waitcnt vmcnt(4)
	v_fmac_f64_e32 v[110:111], v[108:109], v[226:227]
	v_add_f64 v[4:5], v[4:5], v[110:111]
	ds_read_b128 v[110:113], v184 offset:1952
	buffer_load_dword v243, off, s[0:3], 0 offset:1004
	buffer_load_dword v242, off, s[0:3], 0 offset:1000
	;; [unrolled: 1-line block ×4, first 2 shown]
	s_waitcnt vmcnt(6) lgkmcnt(0)
	v_mul_f64 v[114:115], v[110:111], v[228:229]
	s_waitcnt vmcnt(4)
	v_fmac_f64_e32 v[114:115], v[112:113], v[230:231]
	v_add_f64 v[4:5], v[4:5], v[114:115]
	ds_read_b128 v[114:117], v184 offset:1968
	s_waitcnt vmcnt(2) lgkmcnt(0)
	v_mul_f64 v[184:185], v[114:115], v[242:243]
	s_waitcnt vmcnt(0)
	v_fmac_f64_e32 v[184:185], v[116:117], v[244:245]
	v_add_f64 v[232:233], v[4:5], v[184:185]
	v_add_f64 v[4:5], v[254:255], 0
	;; [unrolled: 1-line block ×10, first 2 shown]
	buffer_load_dword v248, off, s[0:3], 0 offset:352
	buffer_load_dword v249, off, s[0:3], 0 offset:356
	;; [unrolled: 1-line block ×4, first 2 shown]
	v_add_f64 v[2:3], v[254:255], v[250:251]
	v_add_f64 v[0:1], v[2:3], v[0:1]
	v_mul_f64 v[2:3], v[120:121], v[122:123]
	v_fma_f64 v[2:3], v[118:119], v[138:139], -v[2:3]
	v_add_f64 v[0:1], v[0:1], v[2:3]
	v_accvgpr_read_b32 v2, a188
	v_accvgpr_read_b32 v3, a189
	;; [unrolled: 1-line block ×3, first 2 shown]
	v_mul_f64 v[2:3], v[8:9], v[2:3]
	v_accvgpr_read_b32 v5, a191
	v_fma_f64 v[2:3], v[6:7], v[4:5], -v[2:3]
	v_add_f64 v[0:1], v[0:1], v[2:3]
	v_mul_f64 v[2:3], v[12:13], v[142:143]
	v_fma_f64 v[2:3], v[10:11], v[146:147], -v[2:3]
	v_add_f64 v[0:1], v[0:1], v[2:3]
	v_mul_f64 v[2:3], v[16:17], v[124:125]
	;; [unrolled: 3-line block ×27, first 2 shown]
	v_fma_f64 v[2:3], v[114:115], v[244:245], -v[2:3]
	v_add_f64 v[0:1], v[0:1], v[2:3]
	v_accvgpr_read_b32 v185, a185
	s_waitcnt vmcnt(2)
	v_add_f64 v[0:1], v[248:249], -v[0:1]
	v_cmp_lt_u32_e32 vcc, 20, v185
	s_waitcnt vmcnt(0)
	v_add_f64 v[2:3], v[246:247], -v[232:233]
	buffer_store_dword v1, off, s[0:3], 0 offset:356
	buffer_store_dword v0, off, s[0:3], 0 offset:352
	;; [unrolled: 1-line block ×4, first 2 shown]
	s_and_saveexec_b64 s[4:5], vcc
	s_cbranch_execz .LBB125_357
; %bb.356:
	v_accvgpr_read_b32 v0, a165
	buffer_load_dword v2, v0, s[0:3], 0 offen
	buffer_load_dword v3, v0, s[0:3], 0 offen offset:4
	buffer_load_dword v4, v0, s[0:3], 0 offen offset:8
	;; [unrolled: 1-line block ×3, first 2 shown]
	v_mov_b32_e32 v0, 0
	v_accvgpr_read_b32 v1, a186
	buffer_store_dword v0, off, s[0:3], 0 offset:336
	buffer_store_dword v0, off, s[0:3], 0 offset:340
	buffer_store_dword v0, off, s[0:3], 0 offset:344
	buffer_store_dword v0, off, s[0:3], 0 offset:348
	s_waitcnt vmcnt(4)
	ds_write_b128 v1, v[2:5]
.LBB125_357:
	s_or_b64 exec, exec, s[4:5]
	s_waitcnt lgkmcnt(0)
	; wave barrier
	s_waitcnt lgkmcnt(0)
	buffer_load_dword v54, off, s[0:3], 0 offset:352
	buffer_load_dword v55, off, s[0:3], 0 offset:356
	;; [unrolled: 1-line block ×46, first 2 shown]
	v_mov_b32_e32 v184, 0
	v_cmp_lt_u32_e32 vcc, 19, v185
	s_waitcnt vmcnt(0)
	v_pk_mov_b32 v[20:21], v[0:1], v[0:1] op_sel:[0,1]
	buffer_load_dword v1, off, s[0:3], 0 offset:548
	buffer_load_dword v0, off, s[0:3], 0 offset:544
	;; [unrolled: 1-line block ×3, first 2 shown]
	ds_read_b128 v[94:97], v184 offset:1328
	ds_read_b128 v[108:111], v184 offset:1344
	;; [unrolled: 1-line block ×11, first 2 shown]
	s_waitcnt lgkmcnt(9)
	v_mul_f64 v[2:3], v[108:109], v[62:63]
	s_waitcnt lgkmcnt(8)
	v_mul_f64 v[4:5], v[112:113], v[60:61]
	v_fmac_f64_e32 v[2:3], v[110:111], v[58:59]
	s_waitcnt lgkmcnt(7)
	v_mul_f64 v[6:7], v[224:225], v[68:69]
	v_fmac_f64_e32 v[4:5], v[114:115], v[84:85]
	;; [unrolled: 3-line block ×3, first 2 shown]
	v_fmac_f64_e32 v[8:9], v[230:231], v[66:67]
	s_waitcnt lgkmcnt(5)
	v_mul_f64 v[10:11], v[232:233], v[70:71]
	s_waitcnt lgkmcnt(4)
	v_mul_f64 v[12:13], v[236:237], v[74:75]
	v_fmac_f64_e32 v[10:11], v[234:235], v[72:73]
	s_waitcnt lgkmcnt(3)
	v_mul_f64 v[14:15], v[240:241], v[78:79]
	v_fmac_f64_e32 v[12:13], v[238:239], v[76:77]
	s_waitcnt lgkmcnt(2)
	v_mul_f64 v[16:17], v[244:245], v[86:87]
	v_fmac_f64_e32 v[14:15], v[242:243], v[80:81]
	s_waitcnt lgkmcnt(1)
	v_mul_f64 v[18:19], v[248:249], v[90:91]
	v_fmac_f64_e32 v[16:17], v[246:247], v[88:89]
	v_fmac_f64_e32 v[18:19], v[250:251], v[92:93]
	v_accvgpr_write_b32 a189, v21
	v_accvgpr_write_b32 a188, v20
	v_mul_f64 v[62:63], v[110:111], v[62:63]
	v_mul_f64 v[74:75], v[238:239], v[74:75]
	;; [unrolled: 1-line block ×4, first 2 shown]
	v_fma_f64 v[246:247], v[244:245], v[88:89], -v[86:87]
	v_mul_f64 v[90:91], v[250:251], v[90:91]
	v_fma_f64 v[248:249], v[248:249], v[92:93], -v[90:91]
	s_waitcnt vmcnt(1)
	v_pk_mov_b32 v[22:23], v[0:1], v[0:1] op_sel:[0,1]
	v_mul_f64 v[0:1], v[94:95], v[56:57]
	v_fmac_f64_e32 v[0:1], v[96:97], v[54:55]
	v_add_f64 v[0:1], v[0:1], 0
	v_add_f64 v[0:1], v[0:1], v[2:3]
	;; [unrolled: 1-line block ×5, first 2 shown]
	buffer_load_dword v106, off, s[0:3], 0 offset:536
	buffer_load_dword v117, off, s[0:3], 0 offset:532
	;; [unrolled: 1-line block ×75, first 2 shown]
	ds_read_b128 v[252:255], v184 offset:1504
	ds_read_b128 v[118:121], v184 offset:1520
	v_add_f64 v[0:1], v[0:1], v[10:11]
	v_add_f64 v[0:1], v[0:1], v[12:13]
	;; [unrolled: 1-line block ×5, first 2 shown]
	s_waitcnt lgkmcnt(0)
	v_mul_f64 v[10:11], v[118:119], v[20:21]
	ds_read_b128 v[122:125], v184 offset:1536
	v_fmac_f64_e32 v[10:11], v[120:121], v[22:23]
	v_accvgpr_write_b32 a191, v23
	v_accvgpr_write_b32 a190, v22
	v_mul_f64 v[56:57], v[96:97], v[56:57]
	s_waitcnt vmcnt(62)
	v_mul_f64 v[6:7], v[252:253], v[106:107]
	v_fmac_f64_e32 v[6:7], v[254:255], v[116:117]
	v_pk_mov_b32 v[4:5], v[2:3], v[2:3] op_sel:[0,1]
	v_mul_f64 v[2:3], v[98:99], v[102:103]
	v_fmac_f64_e32 v[2:3], v[100:101], v[104:105]
	v_add_f64 v[0:1], v[0:1], v[2:3]
	v_add_f64 v[0:1], v[0:1], v[6:7]
	;; [unrolled: 1-line block ×3, first 2 shown]
	ds_read_b128 v[10:13], v184 offset:1552
	s_waitcnt lgkmcnt(1)
	v_mul_f64 v[14:15], v[122:123], v[138:139]
	v_fmac_f64_e32 v[14:15], v[124:125], v[142:143]
	v_add_f64 v[0:1], v[0:1], v[14:15]
	ds_read_b128 v[14:17], v184 offset:1568
	s_waitcnt lgkmcnt(1)
	v_mul_f64 v[18:19], v[10:11], v[8:9]
	v_fmac_f64_e32 v[18:19], v[12:13], v[4:5]
	v_add_f64 v[0:1], v[0:1], v[18:19]
	ds_read_b128 v[18:21], v184 offset:1584
	s_waitcnt vmcnt(58) lgkmcnt(1)
	v_mul_f64 v[22:23], v[14:15], v[146:147]
	s_waitcnt vmcnt(56)
	v_fmac_f64_e32 v[22:23], v[16:17], v[150:151]
	v_add_f64 v[0:1], v[0:1], v[22:23]
	ds_read_b128 v[22:25], v184 offset:1600
	s_waitcnt lgkmcnt(1)
	v_mul_f64 v[26:27], v[18:19], v[126:127]
	v_fmac_f64_e32 v[26:27], v[20:21], v[128:129]
	v_add_f64 v[0:1], v[0:1], v[26:27]
	ds_read_b128 v[26:29], v184 offset:1616
	s_waitcnt vmcnt(50) lgkmcnt(1)
	v_mul_f64 v[30:31], v[22:23], v[154:155]
	s_waitcnt vmcnt(48)
	;; [unrolled: 11-line block ×4, first 2 shown]
	v_fmac_f64_e32 v[46:47], v[40:41], v[174:175]
	v_add_f64 v[0:1], v[0:1], v[46:47]
	ds_read_b128 v[46:49], v184 offset:1696
	s_waitcnt lgkmcnt(1)
	v_mul_f64 v[50:51], v[42:43], v[140:141]
	v_fmac_f64_e32 v[50:51], v[44:45], v[144:145]
	v_add_f64 v[0:1], v[0:1], v[50:51]
	ds_read_b128 v[50:53], v184 offset:1712
	buffer_load_dword v197, off, s[0:3], 0 offset:860
	buffer_load_dword v196, off, s[0:3], 0 offset:856
	;; [unrolled: 1-line block ×8, first 2 shown]
	s_waitcnt vmcnt(34) lgkmcnt(1)
	v_mul_f64 v[200:201], v[46:47], v[178:179]
	s_waitcnt vmcnt(32)
	v_fmac_f64_e32 v[200:201], v[48:49], v[180:181]
	v_add_f64 v[0:1], v[0:1], v[200:201]
	buffer_load_dword v201, off, s[0:3], 0 offset:908
	buffer_load_dword v207, off, s[0:3], 0 offset:892
	;; [unrolled: 1-line block ×8, first 2 shown]
	v_fma_f64 v[6:7], v[94:95], v[54:55], -v[56:57]
	ds_read_b128 v[54:57], v184 offset:1728
	buffer_load_dword v213, off, s[0:3], 0 offset:924
	buffer_load_dword v212, off, s[0:3], 0 offset:920
	buffer_load_dword v215, off, s[0:3], 0 offset:916
	buffer_load_dword v214, off, s[0:3], 0 offset:912
	buffer_load_dword v216, off, s[0:3], 0 offset:936
	buffer_load_dword v218, off, s[0:3], 0 offset:928
	buffer_load_dword v217, off, s[0:3], 0 offset:940
	buffer_load_dword v219, off, s[0:3], 0 offset:932
	buffer_load_dword v221, off, s[0:3], 0 offset:956
	buffer_load_dword v220, off, s[0:3], 0 offset:952
	buffer_load_dword v223, off, s[0:3], 0 offset:948
	buffer_load_dword v222, off, s[0:3], 0 offset:944
	v_accvgpr_write_b32 a193, v5
	v_accvgpr_write_b32 a192, v4
	s_waitcnt lgkmcnt(1)
	v_mul_f64 v[4:5], v[50:51], v[148:149]
	v_fmac_f64_e32 v[4:5], v[52:53], v[152:153]
	v_add_f64 v[0:1], v[0:1], v[4:5]
	v_mul_f64 v[4:5], v[226:227], v[68:69]
	v_fma_f64 v[4:5], v[224:225], v[82:83], -v[4:5]
	buffer_load_dword v224, off, s[0:3], 0 offset:968
	buffer_load_dword v226, off, s[0:3], 0 offset:960
	;; [unrolled: 1-line block ×4, first 2 shown]
	v_fma_f64 v[94:95], v[108:109], v[58:59], -v[62:63]
	v_mul_f64 v[58:59], v[114:115], v[60:61]
	v_fma_f64 v[96:97], v[112:113], v[84:85], -v[58:59]
	s_waitcnt vmcnt(50) lgkmcnt(0)
	v_mul_f64 v[58:59], v[54:55], v[182:183]
	s_waitcnt vmcnt(48)
	v_fmac_f64_e32 v[58:59], v[56:57], v[186:187]
	v_add_f64 v[0:1], v[0:1], v[58:59]
	ds_read_b128 v[58:61], v184 offset:1744
	v_mul_f64 v[62:63], v[230:231], v[64:65]
	v_fma_f64 v[82:83], v[228:229], v[66:67], -v[62:63]
	ds_read_b128 v[62:65], v184 offset:1760
	v_mul_f64 v[66:67], v[234:235], v[70:71]
	v_fma_f64 v[232:233], v[232:233], v[72:73], -v[66:67]
	ds_read_b128 v[66:69], v184 offset:1776
	s_waitcnt lgkmcnt(2)
	v_mul_f64 v[84:85], v[58:59], v[156:157]
	v_fmac_f64_e32 v[84:85], v[60:61], v[160:161]
	s_waitcnt vmcnt(42) lgkmcnt(1)
	v_mul_f64 v[70:71], v[62:63], v[188:189]
	v_add_f64 v[0:1], v[0:1], v[84:85]
	s_waitcnt vmcnt(40)
	v_fmac_f64_e32 v[70:71], v[64:65], v[190:191]
	v_add_f64 v[0:1], v[0:1], v[70:71]
	v_fma_f64 v[84:85], v[236:237], v[76:77], -v[74:75]
	ds_read_b128 v[74:77], v184 offset:1808
	s_waitcnt lgkmcnt(1)
	v_mul_f64 v[70:71], v[66:67], v[164:165]
	v_fmac_f64_e32 v[70:71], v[68:69], v[168:169]
	v_add_f64 v[0:1], v[0:1], v[70:71]
	ds_read_b128 v[70:73], v184 offset:1792
	v_fma_f64 v[228:229], v[240:241], v[80:81], -v[78:79]
	ds_read_b128 v[78:81], v184 offset:1824
	ds_read_b128 v[238:241], v184 offset:1840
	;; [unrolled: 1-line block ×3, first 2 shown]
	s_waitcnt vmcnt(34) lgkmcnt(3)
	v_mul_f64 v[108:109], v[70:71], v[192:193]
	s_waitcnt vmcnt(32)
	v_fmac_f64_e32 v[108:109], v[72:73], v[194:195]
	v_add_f64 v[0:1], v[0:1], v[108:109]
	v_mul_f64 v[108:109], v[74:75], v[172:173]
	v_fmac_f64_e32 v[108:109], v[76:77], v[176:177]
	v_add_f64 v[0:1], v[0:1], v[108:109]
	ds_read_b128 v[90:93], v184 offset:1872
	ds_read_b128 v[234:237], v184 offset:1888
	v_mul_f64 v[100:101], v[100:101], v[102:103]
	v_fma_f64 v[2:3], v[98:99], v[104:105], -v[100:101]
	ds_read_b128 v[98:101], v184 offset:1904
	v_mul_f64 v[102:103], v[254:255], v[106:107]
	v_fma_f64 v[250:251], v[252:253], v[116:117], -v[102:103]
	ds_read_b128 v[102:105], v184 offset:1920
	v_add_f64 v[6:7], v[6:7], 0
	v_add_f64 v[6:7], v[6:7], v[94:95]
	;; [unrolled: 1-line block ×10, first 2 shown]
	v_accvgpr_read_b32 v6, a190
	v_accvgpr_read_b32 v7, a191
	s_waitcnt vmcnt(30) lgkmcnt(6)
	v_mul_f64 v[108:109], v[78:79], v[196:197]
	s_waitcnt vmcnt(28)
	v_fmac_f64_e32 v[108:109], v[80:81], v[198:199]
	v_add_f64 v[0:1], v[0:1], v[108:109]
	s_waitcnt vmcnt(25) lgkmcnt(5)
	v_mul_f64 v[108:109], v[238:239], v[202:203]
	s_waitcnt vmcnt(24)
	v_fmac_f64_e32 v[108:109], v[240:241], v[204:205]
	v_add_f64 v[0:1], v[0:1], v[108:109]
	s_waitcnt vmcnt(21) lgkmcnt(4)
	v_mul_f64 v[108:109], v[86:87], v[206:207]
	s_waitcnt vmcnt(19)
	v_fmac_f64_e32 v[108:109], v[88:89], v[210:211]
	v_add_f64 v[0:1], v[0:1], v[108:109]
	s_waitcnt vmcnt(18) lgkmcnt(3)
	v_mul_f64 v[108:109], v[90:91], v[200:201]
	s_waitcnt vmcnt(16)
	v_fmac_f64_e32 v[108:109], v[92:93], v[208:209]
	v_add_f64 v[0:1], v[0:1], v[108:109]
	s_waitcnt vmcnt(14) lgkmcnt(2)
	v_mul_f64 v[108:109], v[234:235], v[212:213]
	s_waitcnt vmcnt(12)
	v_fmac_f64_e32 v[108:109], v[236:237], v[214:215]
	s_waitcnt vmcnt(9) lgkmcnt(1)
	v_mul_f64 v[106:107], v[98:99], v[216:217]
	v_add_f64 v[0:1], v[0:1], v[108:109]
	s_waitcnt vmcnt(8)
	v_fmac_f64_e32 v[106:107], v[100:101], v[218:219]
	v_add_f64 v[0:1], v[0:1], v[106:107]
	s_waitcnt vmcnt(6) lgkmcnt(0)
	v_mul_f64 v[106:107], v[102:103], v[220:221]
	s_waitcnt vmcnt(4)
	v_fmac_f64_e32 v[106:107], v[104:105], v[222:223]
	v_add_f64 v[0:1], v[0:1], v[106:107]
	ds_read_b128 v[106:109], v184 offset:1936
	buffer_load_dword v255, off, s[0:3], 0 offset:988
	buffer_load_dword v254, off, s[0:3], 0 offset:984
	buffer_load_dword v231, off, s[0:3], 0 offset:980
	buffer_load_dword v230, off, s[0:3], 0 offset:976
	s_waitcnt vmcnt(5) lgkmcnt(0)
	v_mul_f64 v[110:111], v[106:107], v[224:225]
	s_waitcnt vmcnt(4)
	v_fmac_f64_e32 v[110:111], v[108:109], v[226:227]
	v_add_f64 v[0:1], v[0:1], v[110:111]
	ds_read_b128 v[110:113], v184 offset:1952
	buffer_load_dword v242, off, s[0:3], 0 offset:1000
	buffer_load_dword v243, off, s[0:3], 0 offset:1004
	buffer_load_dword v244, off, s[0:3], 0 offset:992
	buffer_load_dword v245, off, s[0:3], 0 offset:996
	;; [unrolled: 10-line block ×3, first 2 shown]
	s_waitcnt vmcnt(6) lgkmcnt(0)
	v_mul_f64 v[252:253], v[114:115], v[242:243]
	s_waitcnt vmcnt(4)
	v_fmac_f64_e32 v[252:253], v[116:117], v[244:245]
	v_add_f64 v[0:1], v[0:1], v[252:253]
	v_add_f64 v[252:253], v[4:5], v[2:3]
	v_accvgpr_read_b32 v4, a188
	v_accvgpr_read_b32 v5, a189
	v_mul_f64 v[4:5], v[120:121], v[4:5]
	v_add_f64 v[2:3], v[252:253], v[250:251]
	v_fma_f64 v[4:5], v[118:119], v[6:7], -v[4:5]
	v_add_f64 v[2:3], v[2:3], v[4:5]
	v_mul_f64 v[4:5], v[124:125], v[138:139]
	v_fma_f64 v[4:5], v[122:123], v[142:143], -v[4:5]
	v_accvgpr_read_b32 v6, a192
	v_add_f64 v[2:3], v[2:3], v[4:5]
	v_mul_f64 v[4:5], v[12:13], v[8:9]
	v_accvgpr_read_b32 v7, a193
	v_fma_f64 v[4:5], v[10:11], v[6:7], -v[4:5]
	v_add_f64 v[2:3], v[2:3], v[4:5]
	v_mul_f64 v[4:5], v[16:17], v[146:147]
	v_fma_f64 v[4:5], v[14:15], v[150:151], -v[4:5]
	v_add_f64 v[2:3], v[2:3], v[4:5]
	v_mul_f64 v[4:5], v[20:21], v[126:127]
	;; [unrolled: 3-line block ×26, first 2 shown]
	v_fma_f64 v[4:5], v[114:115], v[244:245], -v[4:5]
	v_add_f64 v[2:3], v[2:3], v[4:5]
	s_waitcnt vmcnt(2)
	v_add_f64 v[2:3], v[248:249], -v[2:3]
	s_waitcnt vmcnt(0)
	v_add_f64 v[0:1], v[246:247], -v[0:1]
	buffer_store_dword v3, off, s[0:3], 0 offset:340
	buffer_store_dword v2, off, s[0:3], 0 offset:336
	;; [unrolled: 1-line block ×4, first 2 shown]
	s_and_saveexec_b64 s[4:5], vcc
	s_cbranch_execz .LBB125_359
; %bb.358:
	v_accvgpr_read_b32 v0, a166
	buffer_load_dword v2, v0, s[0:3], 0 offen
	buffer_load_dword v3, v0, s[0:3], 0 offen offset:4
	buffer_load_dword v4, v0, s[0:3], 0 offen offset:8
	;; [unrolled: 1-line block ×3, first 2 shown]
	v_accvgpr_read_b32 v0, a186
	buffer_store_dword v184, off, s[0:3], 0 offset:320
	buffer_store_dword v184, off, s[0:3], 0 offset:324
	;; [unrolled: 1-line block ×4, first 2 shown]
	s_waitcnt vmcnt(4)
	ds_write_b128 v0, v[2:5]
.LBB125_359:
	s_or_b64 exec, exec, s[4:5]
	s_waitcnt lgkmcnt(0)
	; wave barrier
	s_waitcnt lgkmcnt(0)
	buffer_load_dword v58, off, s[0:3], 0 offset:336
	buffer_load_dword v59, off, s[0:3], 0 offset:340
	;; [unrolled: 1-line block ×42, first 2 shown]
	ds_read_b128 v[110:113], v184 offset:1312
	ds_read_b128 v[114:117], v184 offset:1328
	;; [unrolled: 1-line block ×10, first 2 shown]
	buffer_load_dword v1, off, s[0:3], 0 offset:484
	buffer_load_dword v0, off, s[0:3], 0 offset:480
	ds_read_b128 v[90:93], v184 offset:1472
	buffer_load_dword v105, off, s[0:3], 0 offset:540
	buffer_load_dword v104, off, s[0:3], 0 offset:536
	;; [unrolled: 1-line block ×6, first 2 shown]
	s_waitcnt vmcnt(46) lgkmcnt(10)
	v_mul_f64 v[2:3], v[110:111], v[60:61]
	v_fmac_f64_e32 v[2:3], v[112:113], v[58:59]
	v_add_f64 v[2:3], v[2:3], 0
	v_mul_f64 v[60:61], v[112:113], v[60:61]
	s_waitcnt vmcnt(42) lgkmcnt(9)
	v_mul_f64 v[4:5], v[114:115], v[62:63]
	v_fmac_f64_e32 v[4:5], v[116:117], v[56:57]
	v_add_f64 v[2:3], v[2:3], v[4:5]
	buffer_load_dword v249, off, s[0:3], 0 offset:516
	buffer_load_dword v248, off, s[0:3], 0 offset:512
	;; [unrolled: 1-line block ×4, first 2 shown]
	s_waitcnt vmcnt(44) lgkmcnt(8)
	v_mul_f64 v[6:7], v[212:213], v[220:221]
	s_waitcnt vmcnt(42) lgkmcnt(6)
	v_mul_f64 v[10:11], v[224:225], v[64:65]
	s_waitcnt vmcnt(40)
	v_fmac_f64_e32 v[10:11], v[226:227], v[66:67]
	s_waitcnt vmcnt(38)
	v_mul_f64 v[8:9], v[216:217], v[68:69]
	s_waitcnt vmcnt(36) lgkmcnt(4)
	v_mul_f64 v[14:15], v[232:233], v[70:71]
	s_waitcnt vmcnt(34)
	v_fmac_f64_e32 v[14:15], v[234:235], v[72:73]
	s_waitcnt vmcnt(32)
	v_mul_f64 v[12:13], v[228:229], v[74:75]
	s_waitcnt vmcnt(30) lgkmcnt(2)
	v_mul_f64 v[18:19], v[240:241], v[78:79]
	v_mul_f64 v[78:79], v[242:243], v[78:79]
	s_waitcnt vmcnt(27)
	v_mul_f64 v[16:17], v[236:237], v[76:77]
	s_waitcnt vmcnt(25) lgkmcnt(1)
	v_mul_f64 v[20:21], v[82:83], v[86:87]
	s_waitcnt vmcnt(23)
	v_fmac_f64_e32 v[6:7], v[214:215], v[100:101]
	v_add_f64 v[2:3], v[2:3], v[6:7]
	s_waitcnt vmcnt(21)
	v_fmac_f64_e32 v[8:9], v[218:219], v[98:99]
	v_add_f64 v[2:3], v[2:3], v[8:9]
	s_waitcnt vmcnt(19)
	v_fmac_f64_e32 v[12:13], v[230:231], v[94:95]
	v_add_f64 v[2:3], v[2:3], v[10:11]
	v_add_f64 v[2:3], v[2:3], v[12:13]
	s_waitcnt vmcnt(17)
	v_fmac_f64_e32 v[16:17], v[238:239], v[88:89]
	v_add_f64 v[2:3], v[2:3], v[14:15]
	s_waitcnt vmcnt(16)
	v_fmac_f64_e32 v[18:19], v[242:243], v[80:81]
	v_add_f64 v[2:3], v[2:3], v[16:17]
	v_add_f64 v[2:3], v[2:3], v[18:19]
	s_waitcnt vmcnt(10)
	v_fmac_f64_e32 v[20:21], v[84:85], v[0:1]
	v_add_f64 v[2:3], v[2:3], v[20:21]
	v_mul_f64 v[84:85], v[84:85], v[86:87]
	s_waitcnt vmcnt(0)
	v_pk_mov_b32 v[18:19], v[4:5], v[4:5] op_sel:[0,1]
	buffer_load_dword v5, off, s[0:3], 0 offset:564
	buffer_load_dword v4, off, s[0:3], 0 offset:560
	v_accvgpr_write_b32 a189, v19
	v_accvgpr_write_b32 a188, v18
	s_waitcnt vmcnt(0)
	v_pk_mov_b32 v[22:23], v[4:5], v[4:5] op_sel:[0,1]
	buffer_load_dword v135, off, s[0:3], 0 offset:556
	buffer_load_dword v134, off, s[0:3], 0 offset:552
	;; [unrolled: 1-line block ×6, first 2 shown]
	v_accvgpr_write_b32 a191, v23
	v_accvgpr_write_b32 a190, v22
	s_waitcnt vmcnt(0)
	v_pk_mov_b32 v[26:27], v[4:5], v[4:5] op_sel:[0,1]
	buffer_load_dword v5, off, s[0:3], 0 offset:596
	buffer_load_dword v4, off, s[0:3], 0 offset:592
	v_accvgpr_write_b32 a193, v27
	v_accvgpr_write_b32 a192, v26
	s_waitcnt vmcnt(0)
	v_pk_mov_b32 v[28:29], v[4:5], v[4:5] op_sel:[0,1]
	buffer_load_dword v143, off, s[0:3], 0 offset:588
	buffer_load_dword v142, off, s[0:3], 0 offset:584
	;; [unrolled: 1-line block ×60, first 2 shown]
	ds_read_b128 v[244:247], v184 offset:1488
	ds_read_b128 v[252:255], v184 offset:1504
	;; [unrolled: 1-line block ×5, first 2 shown]
	v_accvgpr_write_b32 a195, v29
	s_waitcnt lgkmcnt(3)
	v_mul_f64 v[8:9], v[252:253], v[104:105]
	v_fmac_f64_e32 v[8:9], v[254:255], v[106:107]
	s_waitcnt lgkmcnt(2)
	v_mul_f64 v[12:13], v[118:119], v[134:135]
	v_fmac_f64_e32 v[12:13], v[120:121], v[138:139]
	;; [unrolled: 3-line block ×3, first 2 shown]
	v_accvgpr_write_b32 a194, v28
	s_waitcnt vmcnt(54)
	v_pk_mov_b32 v[34:35], v[4:5], v[4:5] op_sel:[0,1]
	v_mul_f64 v[4:5], v[90:91], v[96:97]
	v_fmac_f64_e32 v[4:5], v[92:93], v[102:103]
	v_add_f64 v[2:3], v[2:3], v[4:5]
	v_mul_f64 v[4:5], v[244:245], v[108:109]
	v_fmac_f64_e32 v[4:5], v[246:247], v[248:249]
	v_add_f64 v[6:7], v[2:3], v[4:5]
	v_add_f64 v[10:11], v[6:7], v[8:9]
	;; [unrolled: 1-line block ×4, first 2 shown]
	ds_read_b128 v[14:17], v184 offset:1568
	s_waitcnt lgkmcnt(1)
	v_mul_f64 v[20:21], v[122:123], v[142:143]
	v_fmac_f64_e32 v[20:21], v[124:125], v[146:147]
	v_add_f64 v[22:23], v[18:19], v[20:21]
	ds_read_b128 v[18:21], v184 offset:1584
	s_waitcnt lgkmcnt(1)
	v_mul_f64 v[24:25], v[14:15], v[26:27]
	v_fmac_f64_e32 v[24:25], v[16:17], v[28:29]
	v_add_f64 v[26:27], v[22:23], v[24:25]
	ds_read_b128 v[22:25], v184 offset:1600
	s_waitcnt vmcnt(50) lgkmcnt(1)
	v_mul_f64 v[28:29], v[18:19], v[150:151]
	s_waitcnt vmcnt(48)
	v_fmac_f64_e32 v[28:29], v[20:21], v[154:155]
	v_add_f64 v[30:31], v[26:27], v[28:29]
	ds_read_b128 v[26:29], v184 offset:1616
	s_waitcnt lgkmcnt(1)
	v_mul_f64 v[32:33], v[22:23], v[34:35]
	v_accvgpr_write_b32 a197, v35
	v_fmac_f64_e32 v[32:33], v[24:25], v[128:129]
	v_accvgpr_write_b32 a196, v34
	v_add_f64 v[34:35], v[30:31], v[32:33]
	ds_read_b128 v[30:33], v184 offset:1632
	s_waitcnt vmcnt(42) lgkmcnt(1)
	v_mul_f64 v[36:37], v[26:27], v[158:159]
	s_waitcnt vmcnt(40)
	v_fmac_f64_e32 v[36:37], v[28:29], v[162:163]
	v_add_f64 v[38:39], v[34:35], v[36:37]
	ds_read_b128 v[34:37], v184 offset:1648
	s_waitcnt lgkmcnt(1)
	v_mul_f64 v[40:41], v[30:31], v[130:131]
	v_fmac_f64_e32 v[40:41], v[32:33], v[132:133]
	v_add_f64 v[42:43], v[38:39], v[40:41]
	ds_read_b128 v[38:41], v184 offset:1664
	s_waitcnt vmcnt(34) lgkmcnt(1)
	v_mul_f64 v[44:45], v[34:35], v[166:167]
	s_waitcnt vmcnt(32)
	v_fmac_f64_e32 v[44:45], v[36:37], v[170:171]
	v_add_f64 v[46:47], v[42:43], v[44:45]
	ds_read_b128 v[42:45], v184 offset:1680
	s_waitcnt lgkmcnt(1)
	v_mul_f64 v[48:49], v[38:39], v[136:137]
	v_fmac_f64_e32 v[48:49], v[40:41], v[140:141]
	v_add_f64 v[50:51], v[46:47], v[48:49]
	ds_read_b128 v[46:49], v184 offset:1696
	s_waitcnt vmcnt(26) lgkmcnt(1)
	v_mul_f64 v[52:53], v[42:43], v[174:175]
	s_waitcnt vmcnt(24)
	v_fmac_f64_e32 v[52:53], v[44:45], v[176:177]
	v_add_f64 v[250:251], v[50:51], v[52:53]
	ds_read_b128 v[50:53], v184 offset:1712
	buffer_load_dword v13, off, s[0:3], 0 offset:844
	buffer_load_dword v12, off, s[0:3], 0 offset:840
	;; [unrolled: 1-line block ×20, first 2 shown]
	v_mul_f64 v[4:5], v[116:117], v[62:63]
	v_fma_f64 v[8:9], v[114:115], v[56:57], -v[4:5]
	v_mul_f64 v[56:57], v[214:215], v[220:221]
	v_fma_f64 v[100:101], v[212:213], v[100:101], -v[56:57]
	;; [unrolled: 2-line block ×3, first 2 shown]
	buffer_load_dword v214, off, s[0:3], 0 offset:920
	buffer_load_dword v216, off, s[0:3], 0 offset:912
	;; [unrolled: 1-line block ×12, first 2 shown]
	s_waitcnt lgkmcnt(1)
	v_mul_f64 v[54:55], v[46:47], v[144:145]
	v_fmac_f64_e32 v[54:55], v[48:49], v[148:149]
	v_fma_f64 v[10:11], v[110:111], v[58:59], -v[60:61]
	v_add_f64 v[58:59], v[250:251], v[54:55]
	v_mul_f64 v[54:55], v[226:227], v[64:65]
	v_fma_f64 v[250:251], v[224:225], v[66:67], -v[54:55]
	buffer_load_dword v225, off, s[0:3], 0 offset:972
	buffer_load_dword v224, off, s[0:3], 0 offset:968
	;; [unrolled: 1-line block ×4, first 2 shown]
	s_waitcnt vmcnt(54) lgkmcnt(0)
	v_mul_f64 v[60:61], v[50:51], v[178:179]
	ds_read_b128 v[54:57], v184 offset:1728
	s_waitcnt vmcnt(52)
	v_fmac_f64_e32 v[60:61], v[52:53], v[180:181]
	v_add_f64 v[62:63], v[58:59], v[60:61]
	v_mul_f64 v[58:59], v[230:231], v[74:75]
	v_fma_f64 v[94:95], v[228:229], v[94:95], -v[58:59]
	ds_read_b128 v[58:61], v184 offset:1744
	s_waitcnt lgkmcnt(1)
	v_mul_f64 v[64:65], v[54:55], v[152:153]
	v_fmac_f64_e32 v[64:65], v[56:57], v[156:157]
	v_add_f64 v[74:75], v[62:63], v[64:65]
	ds_read_b128 v[62:65], v184 offset:1760
	v_mul_f64 v[66:67], v[234:235], v[70:71]
	s_waitcnt vmcnt(46) lgkmcnt(1)
	v_mul_f64 v[70:71], v[58:59], v[182:183]
	v_fma_f64 v[232:233], v[232:233], v[72:73], -v[66:67]
	ds_read_b128 v[66:69], v184 offset:1776
	s_waitcnt vmcnt(44)
	v_fmac_f64_e32 v[70:71], v[60:61], v[186:187]
	v_add_f64 v[74:75], v[74:75], v[70:71]
	v_mul_f64 v[70:71], v[238:239], v[76:77]
	v_fma_f64 v[6:7], v[236:237], v[88:89], -v[70:71]
	ds_read_b128 v[70:73], v184 offset:1792
	s_waitcnt lgkmcnt(2)
	v_mul_f64 v[110:111], v[62:63], v[160:161]
	v_fmac_f64_e32 v[110:111], v[64:65], v[164:165]
	s_waitcnt vmcnt(38) lgkmcnt(1)
	v_mul_f64 v[76:77], v[66:67], v[188:189]
	v_add_f64 v[74:75], v[74:75], v[110:111]
	s_waitcnt vmcnt(36)
	v_fmac_f64_e32 v[76:77], v[68:69], v[190:191]
	v_add_f64 v[74:75], v[74:75], v[76:77]
	v_fma_f64 v[4:5], v[240:241], v[80:81], -v[78:79]
	ds_read_b128 v[78:81], v184 offset:1824
	s_waitcnt lgkmcnt(1)
	v_mul_f64 v[76:77], v[70:71], v[168:169]
	v_fmac_f64_e32 v[76:77], v[72:73], v[172:173]
	v_add_f64 v[88:89], v[74:75], v[76:77]
	ds_read_b128 v[74:77], v184 offset:1808
	v_fma_f64 v[2:3], v[82:83], v[0:1], -v[84:85]
	ds_read_b128 v[82:85], v184 offset:1840
	v_mul_f64 v[92:93], v[92:93], v[96:97]
	v_fma_f64 v[0:1], v[90:91], v[102:103], -v[92:93]
	ds_read_b128 v[234:237], v184 offset:1888
	ds_read_b128 v[238:241], v184 offset:1904
	v_add_f64 v[10:11], v[10:11], 0
	v_add_f64 v[8:9], v[10:11], v[8:9]
	;; [unrolled: 1-line block ×7, first 2 shown]
	ds_read_b128 v[90:93], v184 offset:1872
	v_add_f64 v[6:7], v[8:9], v[6:7]
	v_add_f64 v[4:5], v[6:7], v[4:5]
	;; [unrolled: 1-line block ×3, first 2 shown]
	v_accvgpr_read_b32 v4, a190
	v_accvgpr_read_b32 v5, a191
	s_waitcnt vmcnt(25) lgkmcnt(3)
	v_mul_f64 v[96:97], v[82:83], v[202:203]
	s_waitcnt vmcnt(23)
	v_fmac_f64_e32 v[96:97], v[84:85], v[208:209]
	v_mul_f64 v[110:111], v[74:75], v[12:13]
	v_fmac_f64_e32 v[110:111], v[76:77], v[126:127]
	v_mul_f64 v[86:87], v[78:79], v[198:199]
	v_add_f64 v[88:89], v[88:89], v[110:111]
	v_fmac_f64_e32 v[86:87], v[80:81], v[200:201]
	v_add_f64 v[110:111], v[88:89], v[86:87]
	ds_read_b128 v[86:89], v184 offset:1856
	v_add_f64 v[96:97], v[110:111], v[96:97]
	s_waitcnt vmcnt(18) lgkmcnt(1)
	v_mul_f64 v[110:111], v[90:91], v[204:205]
	s_waitcnt vmcnt(16)
	v_fmac_f64_e32 v[110:111], v[92:93], v[210:211]
	s_waitcnt lgkmcnt(0)
	v_mul_f64 v[102:103], v[86:87], v[196:197]
	v_fmac_f64_e32 v[102:103], v[88:89], v[206:207]
	v_add_f64 v[102:103], v[96:97], v[102:103]
	v_mul_f64 v[96:97], v[246:247], v[108:109]
	v_add_f64 v[108:109], v[102:103], v[110:111]
	v_mul_f64 v[102:103], v[254:255], v[104:105]
	v_fma_f64 v[252:253], v[252:253], v[106:107], -v[102:103]
	ds_read_b128 v[102:105], v184 offset:1920
	s_waitcnt vmcnt(13)
	v_mul_f64 v[106:107], v[234:235], v[214:215]
	s_waitcnt vmcnt(12)
	v_fmac_f64_e32 v[106:107], v[236:237], v[216:217]
	v_add_f64 v[106:107], v[108:109], v[106:107]
	s_waitcnt vmcnt(9)
	v_mul_f64 v[108:109], v[238:239], v[220:221]
	s_waitcnt vmcnt(7)
	v_fmac_f64_e32 v[108:109], v[240:241], v[222:223]
	v_add_f64 v[106:107], v[106:107], v[108:109]
	s_waitcnt vmcnt(5) lgkmcnt(0)
	v_mul_f64 v[108:109], v[102:103], v[212:213]
	s_waitcnt vmcnt(4)
	v_fmac_f64_e32 v[108:109], v[104:105], v[218:219]
	v_add_f64 v[110:111], v[106:107], v[108:109]
	ds_read_b128 v[106:109], v184 offset:1936
	buffer_load_dword v228, off, s[0:3], 0 offset:984
	buffer_load_dword v229, off, s[0:3], 0 offset:988
	;; [unrolled: 1-line block ×4, first 2 shown]
	v_fma_f64 v[96:97], v[244:245], v[248:249], -v[96:97]
	v_add_f64 v[254:255], v[2:3], v[0:1]
	v_add_f64 v[0:1], v[254:255], v[96:97]
	s_waitcnt vmcnt(6) lgkmcnt(0)
	v_mul_f64 v[112:113], v[106:107], v[224:225]
	s_waitcnt vmcnt(4)
	v_fmac_f64_e32 v[112:113], v[108:109], v[226:227]
	v_add_f64 v[114:115], v[110:111], v[112:113]
	ds_read_b128 v[110:113], v184 offset:1952
	buffer_load_dword v243, off, s[0:3], 0 offset:1004
	buffer_load_dword v242, off, s[0:3], 0 offset:1000
	;; [unrolled: 1-line block ×4, first 2 shown]
	v_mul_f64 v[2:3], v[120:121], v[134:135]
	v_add_f64 v[0:1], v[0:1], v[252:253]
	v_fma_f64 v[2:3], v[118:119], v[138:139], -v[2:3]
	v_add_f64 v[0:1], v[0:1], v[2:3]
	v_accvgpr_read_b32 v2, a188
	v_accvgpr_read_b32 v3, a189
	v_mul_f64 v[2:3], v[194:195], v[2:3]
	v_fma_f64 v[2:3], v[192:193], v[4:5], -v[2:3]
	v_add_f64 v[0:1], v[0:1], v[2:3]
	v_mul_f64 v[2:3], v[124:125], v[142:143]
	v_fma_f64 v[2:3], v[122:123], v[146:147], -v[2:3]
	v_add_f64 v[0:1], v[0:1], v[2:3]
	v_accvgpr_read_b32 v2, a192
	v_accvgpr_read_b32 v3, a193
	;; [unrolled: 1-line block ×3, first 2 shown]
	v_mul_f64 v[2:3], v[16:17], v[2:3]
	v_accvgpr_read_b32 v5, a195
	v_fma_f64 v[2:3], v[14:15], v[4:5], -v[2:3]
	v_add_f64 v[0:1], v[0:1], v[2:3]
	v_mul_f64 v[2:3], v[20:21], v[150:151]
	v_fma_f64 v[2:3], v[18:19], v[154:155], -v[2:3]
	v_add_f64 v[0:1], v[0:1], v[2:3]
	v_accvgpr_read_b32 v2, a196
	v_accvgpr_read_b32 v3, a197
	v_mul_f64 v[2:3], v[24:25], v[2:3]
	v_fma_f64 v[2:3], v[22:23], v[128:129], -v[2:3]
	v_add_f64 v[0:1], v[0:1], v[2:3]
	v_mul_f64 v[2:3], v[28:29], v[158:159]
	v_fma_f64 v[2:3], v[26:27], v[162:163], -v[2:3]
	v_add_f64 v[0:1], v[0:1], v[2:3]
	;; [unrolled: 3-line block ×15, first 2 shown]
	s_waitcnt vmcnt(6) lgkmcnt(0)
	v_mul_f64 v[116:117], v[110:111], v[228:229]
	v_mul_f64 v[2:3], v[84:85], v[202:203]
	s_waitcnt vmcnt(4)
	v_fmac_f64_e32 v[116:117], v[112:113], v[230:231]
	v_add_f64 v[246:247], v[114:115], v[116:117]
	ds_read_b128 v[114:117], v184 offset:1968
	v_fma_f64 v[2:3], v[82:83], v[208:209], -v[2:3]
	v_add_f64 v[0:1], v[0:1], v[2:3]
	v_mul_f64 v[2:3], v[88:89], v[196:197]
	v_fma_f64 v[2:3], v[86:87], v[206:207], -v[2:3]
	s_waitcnt vmcnt(2) lgkmcnt(0)
	v_mul_f64 v[184:185], v[114:115], v[242:243]
	s_waitcnt vmcnt(0)
	v_fmac_f64_e32 v[184:185], v[116:117], v[244:245]
	v_add_f64 v[184:185], v[246:247], v[184:185]
	buffer_load_dword v248, off, s[0:3], 0 offset:320
	buffer_load_dword v249, off, s[0:3], 0 offset:324
	;; [unrolled: 1-line block ×4, first 2 shown]
	v_add_f64 v[0:1], v[0:1], v[2:3]
	v_mul_f64 v[2:3], v[92:93], v[204:205]
	v_fma_f64 v[2:3], v[90:91], v[210:211], -v[2:3]
	v_add_f64 v[0:1], v[0:1], v[2:3]
	v_mul_f64 v[2:3], v[236:237], v[214:215]
	v_fma_f64 v[2:3], v[234:235], v[216:217], -v[2:3]
	;; [unrolled: 3-line block ×7, first 2 shown]
	v_add_f64 v[0:1], v[0:1], v[2:3]
	s_waitcnt vmcnt(2)
	v_add_f64 v[0:1], v[248:249], -v[0:1]
	s_waitcnt vmcnt(0)
	v_add_f64 v[2:3], v[246:247], -v[184:185]
	v_accvgpr_read_b32 v185, a185
	v_cmp_lt_u32_e32 vcc, 18, v185
	buffer_store_dword v1, off, s[0:3], 0 offset:324
	buffer_store_dword v0, off, s[0:3], 0 offset:320
	;; [unrolled: 1-line block ×4, first 2 shown]
	s_and_saveexec_b64 s[4:5], vcc
	s_cbranch_execz .LBB125_361
; %bb.360:
	v_accvgpr_read_b32 v0, a167
	buffer_load_dword v2, v0, s[0:3], 0 offen
	buffer_load_dword v3, v0, s[0:3], 0 offen offset:4
	buffer_load_dword v4, v0, s[0:3], 0 offen offset:8
	;; [unrolled: 1-line block ×3, first 2 shown]
	v_mov_b32_e32 v0, 0
	v_accvgpr_read_b32 v1, a186
	buffer_store_dword v0, off, s[0:3], 0 offset:304
	buffer_store_dword v0, off, s[0:3], 0 offset:308
	buffer_store_dword v0, off, s[0:3], 0 offset:312
	buffer_store_dword v0, off, s[0:3], 0 offset:316
	s_waitcnt vmcnt(4)
	ds_write_b128 v1, v[2:5]
.LBB125_361:
	s_or_b64 exec, exec, s[4:5]
	s_waitcnt lgkmcnt(0)
	; wave barrier
	s_waitcnt lgkmcnt(0)
	buffer_load_dword v50, off, s[0:3], 0 offset:320
	buffer_load_dword v51, off, s[0:3], 0 offset:324
	;; [unrolled: 1-line block ×54, first 2 shown]
	v_mov_b32_e32 v184, 0
	ds_read_b128 v[102:105], v184 offset:1296
	ds_read_b128 v[106:109], v184 offset:1312
	;; [unrolled: 1-line block ×9, first 2 shown]
	v_cmp_lt_u32_e32 vcc, 17, v185
	s_waitcnt vmcnt(46) lgkmcnt(7)
	v_mul_f64 v[2:3], v[106:107], v[58:59]
	v_fmac_f64_e32 v[2:3], v[108:109], v[52:53]
	s_waitcnt vmcnt(44) lgkmcnt(6)
	v_mul_f64 v[4:5], v[110:111], v[54:55]
	s_waitcnt vmcnt(42) lgkmcnt(4)
	v_mul_f64 v[8:9], v[208:209], v[62:63]
	s_waitcnt vmcnt(40)
	v_fmac_f64_e32 v[8:9], v[210:211], v[60:61]
	s_waitcnt vmcnt(38)
	v_mul_f64 v[6:7], v[114:115], v[64:65]
	s_waitcnt vmcnt(36) lgkmcnt(2)
	v_mul_f64 v[12:13], v[228:229], v[66:67]
	s_waitcnt vmcnt(34)
	v_fmac_f64_e32 v[12:13], v[230:231], v[70:71]
	s_waitcnt vmcnt(32)
	;; [unrolled: 6-line block ×3, first 2 shown]
	v_fmac_f64_e32 v[6:7], v[116:117], v[212:213]
	s_waitcnt vmcnt(24)
	v_fmac_f64_e32 v[10:11], v[226:227], v[78:79]
	s_waitcnt vmcnt(22)
	;; [unrolled: 2-line block ×3, first 2 shown]
	v_pk_mov_b32 v[16:17], v[0:1], v[0:1] op_sel:[0,1]
	v_mul_f64 v[0:1], v[102:103], v[56:57]
	v_fmac_f64_e32 v[0:1], v[104:105], v[50:51]
	v_add_f64 v[0:1], v[0:1], 0
	v_add_f64 v[0:1], v[0:1], v[2:3]
	;; [unrolled: 1-line block ×7, first 2 shown]
	buffer_load_dword v1, off, s[0:3], 0 offset:548
	buffer_load_dword v0, off, s[0:3], 0 offset:544
	v_add_f64 v[2:3], v[2:3], v[14:15]
	v_accvgpr_write_b32 a189, v17
	v_accvgpr_write_b32 a188, v16
	v_mul_f64 v[56:57], v[104:105], v[56:57]
	s_waitcnt vmcnt(0)
	v_pk_mov_b32 v[18:19], v[0:1], v[0:1] op_sel:[0,1]
	buffer_load_dword v179, off, s[0:3], 0 offset:540
	buffer_load_dword v178, off, s[0:3], 0 offset:536
	;; [unrolled: 1-line block ×6, first 2 shown]
	v_accvgpr_write_b32 a191, v19
	v_accvgpr_write_b32 a190, v18
	s_waitcnt vmcnt(0)
	v_pk_mov_b32 v[22:23], v[4:5], v[4:5] op_sel:[0,1]
	buffer_load_dword v5, off, s[0:3], 0 offset:580
	buffer_load_dword v4, off, s[0:3], 0 offset:576
	;; [unrolled: 1-line block ×54, first 2 shown]
	ds_read_b128 v[240:243], v184 offset:1440
	ds_read_b128 v[244:247], v184 offset:1456
	;; [unrolled: 1-line block ×7, first 2 shown]
	v_accvgpr_write_b32 a193, v23
	v_accvgpr_write_b32 a192, v22
	s_waitcnt lgkmcnt(2)
	v_mul_f64 v[8:9], v[80:81], v[178:179]
	v_fmac_f64_e32 v[8:9], v[82:83], v[0:1]
	s_waitcnt lgkmcnt(1)
	v_mul_f64 v[12:13], v[122:123], v[16:17]
	v_fmac_f64_e32 v[12:13], v[124:125], v[18:19]
	s_waitcnt vmcnt(52)
	v_pk_mov_b32 v[24:25], v[4:5], v[4:5] op_sel:[0,1]
	v_mul_f64 v[4:5], v[236:237], v[74:75]
	v_fmac_f64_e32 v[4:5], v[238:239], v[84:85]
	v_add_f64 v[2:3], v[2:3], v[4:5]
	v_mul_f64 v[4:5], v[240:241], v[90:91]
	v_fmac_f64_e32 v[4:5], v[242:243], v[92:93]
	v_add_f64 v[2:3], v[2:3], v[4:5]
	;; [unrolled: 3-line block ×5, first 2 shown]
	v_add_f64 v[10:11], v[6:7], v[8:9]
	v_add_f64 v[14:15], v[10:11], v[12:13]
	ds_read_b128 v[10:13], v184 offset:1552
	s_waitcnt vmcnt(50) lgkmcnt(1)
	v_mul_f64 v[16:17], v[118:119], v[138:139]
	s_waitcnt vmcnt(48)
	v_fmac_f64_e32 v[16:17], v[120:121], v[142:143]
	v_add_f64 v[18:19], v[14:15], v[16:17]
	ds_read_b128 v[14:17], v184 offset:1568
	s_waitcnt lgkmcnt(1)
	v_mul_f64 v[20:21], v[10:11], v[22:23]
	v_fmac_f64_e32 v[20:21], v[12:13], v[24:25]
	v_add_f64 v[22:23], v[18:19], v[20:21]
	ds_read_b128 v[18:21], v184 offset:1584
	v_accvgpr_write_b32 a195, v25
	v_accvgpr_write_b32 a194, v24
	s_waitcnt vmcnt(42) lgkmcnt(1)
	v_mul_f64 v[24:25], v[14:15], v[146:147]
	s_waitcnt vmcnt(40)
	v_fmac_f64_e32 v[24:25], v[16:17], v[150:151]
	s_waitcnt lgkmcnt(0)
	v_mul_f64 v[28:29], v[18:19], v[126:127]
	v_add_f64 v[26:27], v[22:23], v[24:25]
	ds_read_b128 v[22:25], v184 offset:1600
	v_fmac_f64_e32 v[28:29], v[20:21], v[128:129]
	v_add_f64 v[30:31], v[26:27], v[28:29]
	ds_read_b128 v[26:29], v184 offset:1616
	v_fma_f64 v[6:7], v[102:103], v[50:51], -v[56:57]
	s_waitcnt vmcnt(34) lgkmcnt(1)
	v_mul_f64 v[32:33], v[22:23], v[154:155]
	s_waitcnt vmcnt(32)
	v_fmac_f64_e32 v[32:33], v[24:25], v[158:159]
	v_add_f64 v[34:35], v[30:31], v[32:33]
	s_waitcnt lgkmcnt(0)
	v_mul_f64 v[36:37], v[26:27], v[130:131]
	ds_read_b128 v[30:33], v184 offset:1632
	v_fmac_f64_e32 v[36:37], v[28:29], v[132:133]
	v_add_f64 v[38:39], v[34:35], v[36:37]
	ds_read_b128 v[34:37], v184 offset:1648
	v_mul_f64 v[50:51], v[108:109], v[58:59]
	s_waitcnt vmcnt(26) lgkmcnt(1)
	v_mul_f64 v[40:41], v[30:31], v[162:163]
	s_waitcnt vmcnt(24)
	v_fmac_f64_e32 v[40:41], v[32:33], v[164:165]
	v_add_f64 v[42:43], v[38:39], v[40:41]
	s_waitcnt lgkmcnt(0)
	v_mul_f64 v[44:45], v[34:35], v[134:135]
	v_fmac_f64_e32 v[44:45], v[36:37], v[136:137]
	ds_read_b128 v[38:41], v184 offset:1664
	v_add_f64 v[46:47], v[42:43], v[44:45]
	ds_read_b128 v[42:45], v184 offset:1680
	buffer_load_dword v9, off, s[0:3], 0 offset:812
	buffer_load_dword v181, off, s[0:3], 0 offset:796
	;; [unrolled: 1-line block ×8, first 2 shown]
	v_fma_f64 v[102:103], v[106:107], v[52:53], -v[50:51]
	s_waitcnt vmcnt(26) lgkmcnt(1)
	v_mul_f64 v[48:49], v[38:39], v[166:167]
	s_waitcnt vmcnt(24)
	v_fmac_f64_e32 v[48:49], v[40:41], v[168:169]
	v_add_f64 v[192:193], v[46:47], v[48:49]
	ds_read_b128 v[46:49], v184 offset:1696
	buffer_load_dword v189, off, s[0:3], 0 offset:828
	buffer_load_dword v188, off, s[0:3], 0 offset:824
	;; [unrolled: 1-line block ×4, first 2 shown]
	s_waitcnt lgkmcnt(1)
	v_mul_f64 v[194:195], v[42:43], v[140:141]
	v_fmac_f64_e32 v[194:195], v[44:45], v[144:145]
	v_add_f64 v[2:3], v[192:193], v[194:195]
	buffer_load_dword v193, off, s[0:3], 0 offset:844
	buffer_load_dword v192, off, s[0:3], 0 offset:840
	;; [unrolled: 1-line block ×12, first 2 shown]
	v_mul_f64 v[50:51], v[112:113], v[54:55]
	v_fma_f64 v[104:105], v[110:111], v[204:205], -v[50:51]
	buffer_load_dword v205, off, s[0:3], 0 offset:892
	buffer_load_dword v204, off, s[0:3], 0 offset:888
	;; [unrolled: 1-line block ×4, first 2 shown]
	v_mul_f64 v[50:51], v[116:117], v[64:65]
	v_fma_f64 v[106:107], v[114:115], v[212:213], -v[50:51]
	v_mul_f64 v[50:51], v[210:211], v[62:63]
	buffer_load_dword v211, off, s[0:3], 0 offset:908
	buffer_load_dword v210, off, s[0:3], 0 offset:904
	;; [unrolled: 1-line block ×4, first 2 shown]
	v_fma_f64 v[108:109], v[208:209], v[60:61], -v[50:51]
	buffer_load_dword v209, off, s[0:3], 0 offset:940
	buffer_load_dword v215, off, s[0:3], 0 offset:924
	;; [unrolled: 1-line block ×12, first 2 shown]
	ds_read_b128 v[50:53], v184 offset:1712
	v_mul_f64 v[54:55], v[226:227], v[76:77]
	v_fma_f64 v[224:225], v[224:225], v[78:79], -v[54:55]
	ds_read_b128 v[54:57], v184 offset:1728
	s_waitcnt vmcnt(54) lgkmcnt(2)
	v_mul_f64 v[58:59], v[46:47], v[170:171]
	s_waitcnt vmcnt(52)
	v_fmac_f64_e32 v[58:59], v[48:49], v[172:173]
	v_add_f64 v[2:3], v[2:3], v[58:59]
	s_waitcnt lgkmcnt(1)
	v_mul_f64 v[58:59], v[50:51], v[148:149]
	v_fmac_f64_e32 v[58:59], v[52:53], v[152:153]
	v_add_f64 v[2:3], v[2:3], v[58:59]
	s_waitcnt vmcnt(46) lgkmcnt(0)
	v_mul_f64 v[58:59], v[54:55], v[174:175]
	s_waitcnt vmcnt(44)
	v_fmac_f64_e32 v[58:59], v[56:57], v[176:177]
	v_add_f64 v[2:3], v[2:3], v[58:59]
	ds_read_b128 v[58:61], v184 offset:1744
	v_mul_f64 v[62:63], v[230:231], v[66:67]
	v_fma_f64 v[226:227], v[228:229], v[70:71], -v[62:63]
	ds_read_b128 v[62:65], v184 offset:1760
	v_mul_f64 v[66:67], v[234:235], v[68:69]
	v_fma_f64 v[232:233], v[232:233], v[72:73], -v[66:67]
	ds_read_b128 v[66:69], v184 offset:1776
	s_waitcnt lgkmcnt(2)
	v_mul_f64 v[70:71], v[58:59], v[156:157]
	v_fmac_f64_e32 v[70:71], v[60:61], v[160:161]
	v_add_f64 v[2:3], v[2:3], v[70:71]
	v_mul_f64 v[74:75], v[238:239], v[74:75]
	v_fma_f64 v[228:229], v[236:237], v[84:85], -v[74:75]
	ds_read_b128 v[74:77], v184 offset:1808
	v_mul_f64 v[84:85], v[242:243], v[90:91]
	v_fma_f64 v[4:5], v[240:241], v[92:93], -v[84:85]
	ds_read_b128 v[238:241], v184 offset:1840
	ds_read_b128 v[90:93], v184 offset:1872
	buffer_load_dword v84, off, s[0:3], 0 offset:968
	v_add_f64 v[6:7], v[6:7], 0
	v_add_f64 v[6:7], v[6:7], v[102:103]
	;; [unrolled: 1-line block ×6, first 2 shown]
	ds_read_b128 v[234:237], v184 offset:1824
	v_add_f64 v[6:7], v[6:7], v[226:227]
	v_add_f64 v[6:7], v[6:7], v[232:233]
	;; [unrolled: 1-line block ×4, first 2 shown]
	v_accvgpr_read_b32 v6, a188
	v_accvgpr_read_b32 v7, a189
	;; [unrolled: 1-line block ×3, first 2 shown]
	v_mul_f64 v[6:7], v[124:125], v[6:7]
	v_accvgpr_read_b32 v103, a191
	v_fma_f64 v[6:7], v[122:123], v[102:103], -v[6:7]
	s_waitcnt vmcnt(42) lgkmcnt(5)
	v_mul_f64 v[70:71], v[62:63], v[180:181]
	s_waitcnt vmcnt(40)
	v_fmac_f64_e32 v[70:71], v[64:65], v[186:187]
	v_add_f64 v[2:3], v[2:3], v[70:71]
	s_waitcnt vmcnt(39) lgkmcnt(4)
	v_mul_f64 v[70:71], v[66:67], v[8:9]
	s_waitcnt vmcnt(37)
	v_fmac_f64_e32 v[70:71], v[68:69], v[182:183]
	v_add_f64 v[2:3], v[2:3], v[70:71]
	ds_read_b128 v[70:73], v184 offset:1792
	s_waitcnt vmcnt(35) lgkmcnt(0)
	v_mul_f64 v[78:79], v[70:71], v[188:189]
	s_waitcnt vmcnt(33)
	v_fmac_f64_e32 v[78:79], v[72:73], v[190:191]
	v_add_f64 v[2:3], v[2:3], v[78:79]
	s_waitcnt vmcnt(31)
	v_mul_f64 v[78:79], v[74:75], v[192:193]
	s_waitcnt vmcnt(29)
	v_fmac_f64_e32 v[78:79], v[76:77], v[196:197]
	v_add_f64 v[2:3], v[2:3], v[78:79]
	s_waitcnt vmcnt(27)
	v_mul_f64 v[78:79], v[234:235], v[194:195]
	s_waitcnt vmcnt(25)
	v_fmac_f64_e32 v[78:79], v[236:237], v[198:199]
	v_add_f64 v[2:3], v[2:3], v[78:79]
	v_mul_f64 v[78:79], v[246:247], v[86:87]
	v_fma_f64 v[246:247], v[244:245], v[88:89], -v[78:79]
	ds_read_b128 v[86:89], v184 offset:1856
	s_waitcnt vmcnt(22)
	v_mul_f64 v[78:79], v[238:239], v[200:201]
	s_waitcnt vmcnt(21)
	v_fmac_f64_e32 v[78:79], v[240:241], v[202:203]
	v_add_f64 v[2:3], v[2:3], v[78:79]
	v_mul_f64 v[78:79], v[250:251], v[98:99]
	v_fma_f64 v[248:249], v[248:249], v[100:101], -v[78:79]
	s_waitcnt vmcnt(19) lgkmcnt(0)
	v_mul_f64 v[78:79], v[86:87], v[204:205]
	s_waitcnt vmcnt(17)
	v_fmac_f64_e32 v[78:79], v[88:89], v[206:207]
	v_add_f64 v[2:3], v[2:3], v[78:79]
	v_mul_f64 v[78:79], v[254:255], v[94:95]
	v_fma_f64 v[252:253], v[252:253], v[96:97], -v[78:79]
	ds_read_b128 v[94:97], v184 offset:1888
	s_waitcnt vmcnt(15)
	v_mul_f64 v[78:79], v[90:91], v[210:211]
	s_waitcnt vmcnt(13)
	v_fmac_f64_e32 v[78:79], v[92:93], v[212:213]
	v_add_f64 v[78:79], v[2:3], v[78:79]
	v_mul_f64 v[2:3], v[82:83], v[178:179]
	ds_read_b128 v[98:101], v184 offset:1904
	v_fma_f64 v[0:1], v[80:81], v[0:1], -v[2:3]
	v_accvgpr_write_b32 a197, v1
	v_accvgpr_write_b32 a196, v0
	ds_read_b128 v[0:3], v184 offset:1920
	buffer_load_dword v82, off, s[0:3], 0 offset:960
	buffer_load_dword v85, off, s[0:3], 0 offset:972
	;; [unrolled: 1-line block ×3, first 2 shown]
	s_waitcnt vmcnt(13) lgkmcnt(2)
	v_mul_f64 v[80:81], v[94:95], v[214:215]
	s_waitcnt vmcnt(11)
	v_fmac_f64_e32 v[80:81], v[96:97], v[220:221]
	v_add_f64 v[78:79], v[78:79], v[80:81]
	s_waitcnt vmcnt(10) lgkmcnt(1)
	v_mul_f64 v[80:81], v[98:99], v[208:209]
	s_waitcnt vmcnt(8)
	v_fmac_f64_e32 v[80:81], v[100:101], v[218:219]
	v_add_f64 v[78:79], v[78:79], v[80:81]
	;; [unrolled: 5-line block ×3, first 2 shown]
	ds_read_b128 v[78:81], v184 offset:1936
	buffer_load_dword v255, off, s[0:3], 0 offset:988
	buffer_load_dword v254, off, s[0:3], 0 offset:984
	;; [unrolled: 1-line block ×4, first 2 shown]
	v_add_f64 v[4:5], v[4:5], v[246:247]
	v_add_f64 v[4:5], v[4:5], v[248:249]
	;; [unrolled: 1-line block ×3, first 2 shown]
	v_accvgpr_read_b32 v4, a196
	v_accvgpr_read_b32 v5, a197
	v_add_f64 v[4:5], v[252:253], v[4:5]
	v_add_f64 v[4:5], v[4:5], v[6:7]
	v_mul_f64 v[6:7], v[120:121], v[138:139]
	v_fma_f64 v[6:7], v[118:119], v[142:143], -v[6:7]
	v_add_f64 v[4:5], v[4:5], v[6:7]
	v_accvgpr_read_b32 v6, a192
	v_accvgpr_read_b32 v7, a193
	v_mul_f64 v[6:7], v[12:13], v[6:7]
	v_accvgpr_read_b32 v12, a194
	v_accvgpr_read_b32 v13, a195
	v_fma_f64 v[6:7], v[10:11], v[12:13], -v[6:7]
	v_add_f64 v[4:5], v[4:5], v[6:7]
	v_mul_f64 v[6:7], v[16:17], v[146:147]
	v_fma_f64 v[6:7], v[14:15], v[150:151], -v[6:7]
	v_add_f64 v[4:5], v[4:5], v[6:7]
	v_mul_f64 v[6:7], v[20:21], v[126:127]
	;; [unrolled: 3-line block ×17, first 2 shown]
	v_fma_f64 v[6:7], v[234:235], v[198:199], -v[6:7]
	s_waitcnt vmcnt(5) lgkmcnt(0)
	v_mul_f64 v[112:113], v[78:79], v[84:85]
	s_waitcnt vmcnt(4)
	v_fmac_f64_e32 v[112:113], v[80:81], v[82:83]
	v_add_f64 v[114:115], v[110:111], v[112:113]
	ds_read_b128 v[110:113], v184 offset:1952
	buffer_load_dword v242, off, s[0:3], 0 offset:1000
	buffer_load_dword v243, off, s[0:3], 0 offset:1004
	buffer_load_dword v244, off, s[0:3], 0 offset:992
	buffer_load_dword v245, off, s[0:3], 0 offset:996
	v_add_f64 v[4:5], v[4:5], v[6:7]
	v_mul_f64 v[6:7], v[240:241], v[200:201]
	v_fma_f64 v[6:7], v[238:239], v[202:203], -v[6:7]
	v_add_f64 v[4:5], v[4:5], v[6:7]
	v_mul_f64 v[6:7], v[88:89], v[204:205]
	s_waitcnt vmcnt(6) lgkmcnt(0)
	v_mul_f64 v[116:117], v[110:111], v[254:255]
	v_fma_f64 v[6:7], v[86:87], v[206:207], -v[6:7]
	s_waitcnt vmcnt(4)
	v_fmac_f64_e32 v[116:117], v[112:113], v[230:231]
	v_add_f64 v[178:179], v[114:115], v[116:117]
	ds_read_b128 v[114:117], v184 offset:1968
	buffer_load_dword v248, off, s[0:3], 0 offset:304
	buffer_load_dword v249, off, s[0:3], 0 offset:308
	;; [unrolled: 1-line block ×4, first 2 shown]
	v_add_f64 v[4:5], v[4:5], v[6:7]
	v_mul_f64 v[6:7], v[92:93], v[210:211]
	v_fma_f64 v[6:7], v[90:91], v[212:213], -v[6:7]
	v_add_f64 v[4:5], v[4:5], v[6:7]
	v_mul_f64 v[6:7], v[96:97], v[214:215]
	v_fma_f64 v[6:7], v[94:95], v[220:221], -v[6:7]
	;; [unrolled: 3-line block ×3, first 2 shown]
	v_mul_f64 v[2:3], v[2:3], v[216:217]
	v_add_f64 v[4:5], v[4:5], v[6:7]
	v_fma_f64 v[0:1], v[0:1], v[222:223], -v[2:3]
	v_mul_f64 v[2:3], v[80:81], v[84:85]
	v_add_f64 v[0:1], v[4:5], v[0:1]
	v_fma_f64 v[2:3], v[78:79], v[82:83], -v[2:3]
	v_add_f64 v[0:1], v[0:1], v[2:3]
	v_mul_f64 v[2:3], v[112:113], v[254:255]
	v_fma_f64 v[2:3], v[110:111], v[230:231], -v[2:3]
	v_add_f64 v[0:1], v[0:1], v[2:3]
	s_waitcnt vmcnt(6) lgkmcnt(0)
	v_mul_f64 v[2:3], v[116:117], v[242:243]
	v_mul_f64 v[250:251], v[114:115], v[242:243]
	s_waitcnt vmcnt(4)
	v_fma_f64 v[2:3], v[114:115], v[244:245], -v[2:3]
	v_fmac_f64_e32 v[250:251], v[116:117], v[244:245]
	v_add_f64 v[0:1], v[0:1], v[2:3]
	v_add_f64 v[178:179], v[178:179], v[250:251]
	s_waitcnt vmcnt(2)
	v_add_f64 v[0:1], v[248:249], -v[0:1]
	s_waitcnt vmcnt(0)
	v_add_f64 v[2:3], v[246:247], -v[178:179]
	buffer_store_dword v1, off, s[0:3], 0 offset:308
	buffer_store_dword v0, off, s[0:3], 0 offset:304
	;; [unrolled: 1-line block ×4, first 2 shown]
	s_and_saveexec_b64 s[4:5], vcc
	s_cbranch_execz .LBB125_363
; %bb.362:
	v_accvgpr_read_b32 v0, a168
	buffer_load_dword v2, v0, s[0:3], 0 offen
	buffer_load_dword v3, v0, s[0:3], 0 offen offset:4
	buffer_load_dword v4, v0, s[0:3], 0 offen offset:8
	;; [unrolled: 1-line block ×3, first 2 shown]
	v_accvgpr_read_b32 v0, a186
	buffer_store_dword v184, off, s[0:3], 0 offset:288
	buffer_store_dword v184, off, s[0:3], 0 offset:292
	;; [unrolled: 1-line block ×4, first 2 shown]
	s_waitcnt vmcnt(4)
	ds_write_b128 v0, v[2:5]
.LBB125_363:
	s_or_b64 exec, exec, s[4:5]
	s_waitcnt lgkmcnt(0)
	; wave barrier
	s_waitcnt lgkmcnt(0)
	buffer_load_dword v90, off, s[0:3], 0 offset:304
	buffer_load_dword v91, off, s[0:3], 0 offset:308
	;; [unrolled: 1-line block ×36, first 2 shown]
	ds_read_b128 v[82:85], v184 offset:1280
	ds_read_b128 v[78:81], v184 offset:1296
	;; [unrolled: 1-line block ×9, first 2 shown]
	buffer_load_dword v227, off, s[0:3], 0 offset:476
	buffer_load_dword v226, off, s[0:3], 0 offset:472
	;; [unrolled: 1-line block ×19, first 2 shown]
	s_waitcnt vmcnt(51) lgkmcnt(8)
	v_mul_f64 v[0:1], v[82:83], v[92:93]
	v_fmac_f64_e32 v[0:1], v[84:85], v[90:91]
	v_add_f64 v[0:1], v[0:1], 0
	s_waitcnt vmcnt(47) lgkmcnt(7)
	v_mul_f64 v[2:3], v[78:79], v[94:95]
	v_fmac_f64_e32 v[2:3], v[80:81], v[196:197]
	s_waitcnt vmcnt(45) lgkmcnt(6)
	v_mul_f64 v[4:5], v[74:75], v[88:89]
	v_add_f64 v[0:1], v[0:1], v[2:3]
	s_waitcnt vmcnt(43) lgkmcnt(4)
	v_mul_f64 v[8:9], v[62:63], v[96:97]
	v_mul_f64 v[80:81], v[80:81], v[94:95]
	s_waitcnt vmcnt(41)
	v_fmac_f64_e32 v[8:9], v[64:65], v[98:99]
	v_fma_f64 v[202:203], v[78:79], v[196:197], -v[80:81]
	s_waitcnt vmcnt(39)
	v_mul_f64 v[6:7], v[70:71], v[100:101]
	v_mul_f64 v[64:65], v[64:65], v[96:97]
	s_waitcnt vmcnt(37) lgkmcnt(2)
	v_mul_f64 v[12:13], v[54:55], v[104:105]
	v_fma_f64 v[94:95], v[62:63], v[98:99], -v[64:65]
	s_waitcnt vmcnt(35)
	v_fmac_f64_e32 v[12:13], v[56:57], v[108:109]
	v_mul_f64 v[56:57], v[56:57], v[104:105]
	s_waitcnt vmcnt(33)
	v_mul_f64 v[10:11], v[50:51], v[112:113]
	v_fma_f64 v[98:99], v[54:55], v[108:109], -v[56:57]
	s_waitcnt vmcnt(31) lgkmcnt(1)
	v_mul_f64 v[14:15], v[58:59], v[106:107]
	s_waitcnt vmcnt(29)
	v_fmac_f64_e32 v[4:5], v[76:77], v[200:201]
	v_add_f64 v[0:1], v[0:1], v[4:5]
	s_waitcnt vmcnt(27)
	v_fmac_f64_e32 v[6:7], v[72:73], v[116:117]
	v_add_f64 v[0:1], v[0:1], v[6:7]
	;; [unrolled: 3-line block ×3, first 2 shown]
	v_add_f64 v[0:1], v[0:1], v[10:11]
	v_add_f64 v[0:1], v[0:1], v[12:13]
	buffer_load_dword v242, off, s[0:3], 0 offset:528
	buffer_load_dword v13, off, s[0:3], 0 offset:524
	;; [unrolled: 1-line block ×7, first 2 shown]
	s_waitcnt vmcnt(30)
	v_fmac_f64_e32 v[14:15], v[60:61], v[110:111]
	v_add_f64 v[0:1], v[0:1], v[14:15]
	v_mul_f64 v[76:77], v[76:77], v[88:89]
	v_mul_f64 v[52:53], v[52:53], v[112:113]
	v_fma_f64 v[96:97], v[50:51], v[114:115], -v[52:53]
	v_mul_f64 v[60:61], v[60:61], v[106:107]
	v_mul_f64 v[72:73], v[72:73], v[100:101]
	v_fma_f64 v[100:101], v[58:59], v[110:111], -v[60:61]
	s_waitcnt vmcnt(0)
	v_pk_mov_b32 v[18:19], v[2:3], v[2:3] op_sel:[0,1]
	buffer_load_dword v3, off, s[0:3], 0 offset:564
	buffer_load_dword v2, off, s[0:3], 0 offset:560
	v_accvgpr_write_b32 a189, v19
	v_accvgpr_write_b32 a188, v18
	s_waitcnt vmcnt(0)
	v_pk_mov_b32 v[20:21], v[2:3], v[2:3] op_sel:[0,1]
	buffer_load_dword v241, off, s[0:3], 0 offset:556
	buffer_load_dword v240, off, s[0:3], 0 offset:552
	buffer_load_dword v139, off, s[0:3], 0 offset:548
	buffer_load_dword v138, off, s[0:3], 0 offset:544
	buffer_load_dword v3, off, s[0:3], 0 offset:604
	buffer_load_dword v2, off, s[0:3], 0 offset:600
	v_accvgpr_write_b32 a191, v21
	v_accvgpr_write_b32 a190, v20
	s_waitcnt vmcnt(0)
	v_pk_mov_b32 v[26:27], v[2:3], v[2:3] op_sel:[0,1]
	buffer_load_dword v3, off, s[0:3], 0 offset:596
	buffer_load_dword v2, off, s[0:3], 0 offset:592
	v_accvgpr_write_b32 a193, v27
	v_accvgpr_write_b32 a192, v26
	s_waitcnt vmcnt(0)
	v_pk_mov_b32 v[28:29], v[2:3], v[2:3] op_sel:[0,1]
	buffer_load_dword v143, off, s[0:3], 0 offset:588
	buffer_load_dword v142, off, s[0:3], 0 offset:584
	buffer_load_dword v147, off, s[0:3], 0 offset:580
	buffer_load_dword v146, off, s[0:3], 0 offset:576
	buffer_load_dword v3, off, s[0:3], 0 offset:636
	buffer_load_dword v2, off, s[0:3], 0 offset:632
	v_accvgpr_write_b32 a195, v29
	v_accvgpr_write_b32 a194, v28
	s_waitcnt vmcnt(0)
	v_pk_mov_b32 v[34:35], v[2:3], v[2:3] op_sel:[0,1]
	buffer_load_dword v3, off, s[0:3], 0 offset:628
	buffer_load_dword v2, off, s[0:3], 0 offset:624
	v_accvgpr_write_b32 a197, v35
	v_accvgpr_write_b32 a196, v34
	s_waitcnt vmcnt(0)
	v_pk_mov_b32 v[36:37], v[2:3], v[2:3] op_sel:[0,1]
	buffer_load_dword v151, off, s[0:3], 0 offset:620
	buffer_load_dword v150, off, s[0:3], 0 offset:616
	buffer_load_dword v155, off, s[0:3], 0 offset:612
	buffer_load_dword v154, off, s[0:3], 0 offset:608
	buffer_load_dword v3, off, s[0:3], 0 offset:668
	buffer_load_dword v2, off, s[0:3], 0 offset:664
	v_accvgpr_write_b32 a199, v37
	v_accvgpr_write_b32 a198, v36
	s_waitcnt vmcnt(0)
	v_pk_mov_b32 v[42:43], v[2:3], v[2:3] op_sel:[0,1]
	buffer_load_dword v3, off, s[0:3], 0 offset:660
	buffer_load_dword v2, off, s[0:3], 0 offset:656
	v_accvgpr_write_b32 a201, v43
	v_accvgpr_write_b32 a200, v42
	s_waitcnt vmcnt(0)
	v_pk_mov_b32 v[44:45], v[2:3], v[2:3] op_sel:[0,1]
	buffer_load_dword v159, off, s[0:3], 0 offset:652
	buffer_load_dword v158, off, s[0:3], 0 offset:648
	;; [unrolled: 1-line block ×28, first 2 shown]
	ds_read_b128 v[248:251], v184 offset:1424
	ds_read_b128 v[252:255], v184 offset:1440
	;; [unrolled: 1-line block ×7, first 2 shown]
	v_accvgpr_write_b32 a203, v45
	v_accvgpr_write_b32 a202, v44
	s_waitcnt lgkmcnt(5)
	v_mul_f64 v[78:79], v[254:255], v[226:227]
	s_waitcnt lgkmcnt(0)
	v_mul_f64 v[24:25], v[122:123], v[26:27]
	v_fmac_f64_e32 v[24:25], v[124:125], v[28:29]
	s_waitcnt vmcnt(22)
	v_pk_mov_b32 v[174:175], v[2:3], v[2:3] op_sel:[0,1]
	v_mul_f64 v[2:3], v[66:67], v[102:103]
	v_fmac_f64_e32 v[2:3], v[68:69], v[224:225]
	v_add_f64 v[0:1], v[0:1], v[2:3]
	v_mul_f64 v[2:3], v[248:249], v[230:231]
	v_fmac_f64_e32 v[2:3], v[250:251], v[232:233]
	v_add_f64 v[0:1], v[0:1], v[2:3]
	;; [unrolled: 3-line block ×3, first 2 shown]
	ds_read_b128 v[0:3], v184 offset:1472
	v_mul_f64 v[6:7], v[118:119], v[238:239]
	v_fmac_f64_e32 v[6:7], v[120:121], v[246:247]
	v_add_f64 v[8:9], v[4:5], v[6:7]
	ds_read_b128 v[4:7], v184 offset:1488
	s_waitcnt lgkmcnt(1)
	v_mul_f64 v[10:11], v[0:1], v[236:237]
	v_fmac_f64_e32 v[10:11], v[2:3], v[244:245]
	v_add_f64 v[14:15], v[8:9], v[10:11]
	ds_read_b128 v[8:11], v184 offset:1504
	s_waitcnt lgkmcnt(1)
	v_mul_f64 v[16:17], v[4:5], v[12:13]
	v_fmac_f64_e32 v[16:17], v[6:7], v[86:87]
	v_add_f64 v[14:15], v[14:15], v[16:17]
	v_accvgpr_write_b32 a205, v175
	s_waitcnt lgkmcnt(0)
	v_mul_f64 v[16:17], v[8:9], v[234:235]
	v_fmac_f64_e32 v[16:17], v[10:11], v[242:243]
	v_add_f64 v[14:15], v[14:15], v[16:17]
	v_mul_f64 v[16:17], v[134:135], v[240:241]
	v_fmac_f64_e32 v[16:17], v[136:137], v[138:139]
	v_add_f64 v[14:15], v[14:15], v[16:17]
	v_mul_f64 v[16:17], v[126:127], v[18:19]
	v_fmac_f64_e32 v[16:17], v[128:129], v[20:21]
	v_mul_f64 v[20:21], v[130:131], v[142:143]
	v_add_f64 v[18:19], v[14:15], v[16:17]
	v_fmac_f64_e32 v[20:21], v[132:133], v[146:147]
	v_add_f64 v[22:23], v[18:19], v[20:21]
	ds_read_b128 v[18:21], v184 offset:1584
	v_add_f64 v[26:27], v[22:23], v[24:25]
	ds_read_b128 v[22:25], v184 offset:1600
	v_accvgpr_write_b32 a204, v174
	v_mul_f64 v[16:17], v[84:85], v[92:93]
	s_waitcnt lgkmcnt(1)
	v_mul_f64 v[28:29], v[18:19], v[150:151]
	v_fmac_f64_e32 v[28:29], v[20:21], v[154:155]
	v_add_f64 v[30:31], v[26:27], v[28:29]
	ds_read_b128 v[26:29], v184 offset:1616
	s_waitcnt lgkmcnt(1)
	v_mul_f64 v[32:33], v[22:23], v[34:35]
	v_fmac_f64_e32 v[32:33], v[24:25], v[36:37]
	v_add_f64 v[34:35], v[30:31], v[32:33]
	ds_read_b128 v[30:33], v184 offset:1632
	;; [unrolled: 5-line block ×4, first 2 shown]
	s_waitcnt vmcnt(18) lgkmcnt(1)
	v_mul_f64 v[44:45], v[34:35], v[162:163]
	s_waitcnt vmcnt(16)
	v_fmac_f64_e32 v[44:45], v[36:37], v[164:165]
	v_add_f64 v[46:47], v[42:43], v[44:45]
	ds_read_b128 v[42:45], v184 offset:1680
	s_waitcnt lgkmcnt(1)
	v_mul_f64 v[48:49], v[38:39], v[174:175]
	buffer_load_dword v175, off, s[0:3], 0 offset:780
	buffer_load_dword v174, off, s[0:3], 0 offset:776
	;; [unrolled: 1-line block ×4, first 2 shown]
	v_fmac_f64_e32 v[48:49], v[40:41], v[140:141]
	v_add_f64 v[178:179], v[46:47], v[48:49]
	ds_read_b128 v[46:49], v184 offset:1696
	buffer_load_dword v181, off, s[0:3], 0 offset:796
	buffer_load_dword v180, off, s[0:3], 0 offset:792
	buffer_load_dword v183, off, s[0:3], 0 offset:788
	buffer_load_dword v182, off, s[0:3], 0 offset:784
	s_waitcnt vmcnt(18) lgkmcnt(1)
	v_mul_f64 v[186:187], v[42:43], v[166:167]
	s_waitcnt vmcnt(16)
	v_fmac_f64_e32 v[186:187], v[44:45], v[168:169]
	v_add_f64 v[14:15], v[178:179], v[186:187]
	buffer_load_dword v179, off, s[0:3], 0 offset:828
	buffer_load_dword v189, off, s[0:3], 0 offset:812
	;; [unrolled: 1-line block ×16, first 2 shown]
	v_fma_f64 v[16:17], v[82:83], v[90:91], -v[16:17]
	v_fma_f64 v[90:91], v[74:75], v[200:201], -v[76:77]
	buffer_load_dword v201, off, s[0:3], 0 offset:892
	buffer_load_dword v89, off, s[0:3], 0 offset:876
	;; [unrolled: 1-line block ×12, first 2 shown]
	s_waitcnt lgkmcnt(0)
	v_mul_f64 v[50:51], v[46:47], v[144:145]
	v_fmac_f64_e32 v[50:51], v[48:49], v[148:149]
	buffer_load_dword v215, off, s[0:3], 0 offset:924
	buffer_load_dword v214, off, s[0:3], 0 offset:920
	;; [unrolled: 1-line block ×12, first 2 shown]
	v_add_f64 v[14:15], v[14:15], v[50:51]
	ds_read_b128 v[50:53], v184 offset:1712
	ds_read_b128 v[54:57], v184 offset:1728
	;; [unrolled: 1-line block ×3, first 2 shown]
	v_mul_f64 v[68:69], v[68:69], v[102:103]
	v_fma_f64 v[102:103], v[66:67], v[224:225], -v[68:69]
	ds_read_b128 v[66:69], v184 offset:1776
	s_waitcnt vmcnt(50) lgkmcnt(3)
	v_mul_f64 v[62:63], v[50:51], v[170:171]
	s_waitcnt vmcnt(48)
	v_fmac_f64_e32 v[62:63], v[52:53], v[172:173]
	v_add_f64 v[14:15], v[14:15], v[62:63]
	s_waitcnt lgkmcnt(2)
	v_mul_f64 v[62:63], v[54:55], v[152:153]
	v_fmac_f64_e32 v[62:63], v[56:57], v[156:157]
	v_add_f64 v[14:15], v[14:15], v[62:63]
	v_fma_f64 v[92:93], v[70:71], v[116:117], -v[72:73]
	v_mul_f64 v[70:71], v[250:251], v[230:231]
	v_fma_f64 v[104:105], v[248:249], v[232:233], -v[70:71]
	v_fma_f64 v[248:249], v[252:253], v[228:229], -v[78:79]
	v_mul_f64 v[2:3], v[2:3], v[236:237]
	v_mul_f64 v[6:7], v[6:7], v[12:13]
	;; [unrolled: 1-line block ×3, first 2 shown]
	v_fma_f64 v[236:237], v[0:1], v[244:245], -v[2:3]
	ds_read_b128 v[0:3], v184 offset:1872
	v_fma_f64 v[250:251], v[4:5], v[86:87], -v[6:7]
	ds_read_b128 v[4:7], v184 offset:1904
	;; [unrolled: 2-line block ×3, first 2 shown]
	v_add_f64 v[16:17], v[16:17], 0
	v_add_f64 v[16:17], v[16:17], v[202:203]
	;; [unrolled: 1-line block ×10, first 2 shown]
	ds_read_b128 v[70:73], v184 offset:1792
	v_add_f64 v[16:17], v[16:17], v[248:249]
	v_accvgpr_read_b32 v90, a190
	v_accvgpr_read_b32 v91, a191
	v_mul_f64 v[20:21], v[20:21], v[150:151]
	v_fma_f64 v[18:19], v[18:19], v[154:155], -v[20:21]
	v_accvgpr_read_b32 v20, a198
	v_accvgpr_read_b32 v21, a199
	ds_read_b128 v[78:81], v184 offset:1824
	s_waitcnt vmcnt(46) lgkmcnt(6)
	v_mul_f64 v[62:63], v[58:59], v[174:175]
	s_waitcnt vmcnt(44)
	v_fmac_f64_e32 v[62:63], v[60:61], v[176:177]
	v_add_f64 v[14:15], v[14:15], v[62:63]
	ds_read_b128 v[62:65], v184 offset:1760
	s_waitcnt vmcnt(42) lgkmcnt(0)
	v_mul_f64 v[74:75], v[62:63], v[180:181]
	s_waitcnt vmcnt(40)
	v_fmac_f64_e32 v[74:75], v[64:65], v[182:183]
	v_add_f64 v[14:15], v[14:15], v[74:75]
	s_waitcnt vmcnt(37)
	v_mul_f64 v[74:75], v[66:67], v[188:189]
	s_waitcnt vmcnt(35)
	v_fmac_f64_e32 v[74:75], v[68:69], v[192:193]
	v_add_f64 v[14:15], v[14:15], v[74:75]
	s_waitcnt vmcnt(34)
	v_mul_f64 v[74:75], v[70:71], v[178:179]
	s_waitcnt vmcnt(32)
	v_fmac_f64_e32 v[74:75], v[72:73], v[190:191]
	v_add_f64 v[14:15], v[14:15], v[74:75]
	ds_read_b128 v[74:77], v184 offset:1808
	s_waitcnt vmcnt(25)
	v_mul_f64 v[106:107], v[78:79], v[186:187]
	s_waitcnt vmcnt(24)
	v_fmac_f64_e32 v[106:107], v[80:81], v[196:197]
	s_waitcnt lgkmcnt(0)
	v_mul_f64 v[82:83], v[74:75], v[194:195]
	v_fmac_f64_e32 v[82:83], v[76:77], v[198:199]
	v_add_f64 v[14:15], v[14:15], v[82:83]
	v_mul_f64 v[82:83], v[120:121], v[238:239]
	v_fma_f64 v[238:239], v[118:119], v[246:247], -v[82:83]
	ds_read_b128 v[82:85], v184 offset:1840
	ds_read_b128 v[118:121], v184 offset:1856
	v_add_f64 v[14:15], v[14:15], v[106:107]
	v_add_f64 v[16:17], v[16:17], v[238:239]
	;; [unrolled: 1-line block ×3, first 2 shown]
	s_waitcnt vmcnt(21) lgkmcnt(1)
	v_mul_f64 v[106:107], v[82:83], v[88:89]
	s_waitcnt vmcnt(19)
	v_fmac_f64_e32 v[106:107], v[84:85], v[208:209]
	v_add_f64 v[14:15], v[14:15], v[106:107]
	s_waitcnt vmcnt(18) lgkmcnt(0)
	v_mul_f64 v[106:107], v[118:119], v[200:201]
	s_waitcnt vmcnt(16)
	v_fmac_f64_e32 v[106:107], v[120:121], v[206:207]
	v_add_f64 v[106:107], v[14:15], v[106:107]
	ds_read_b128 v[12:15], v184 offset:1888
	buffer_load_dword v225, off, s[0:3], 0 offset:972
	buffer_load_dword v224, off, s[0:3], 0 offset:968
	;; [unrolled: 1-line block ×4, first 2 shown]
	s_waitcnt vmcnt(18)
	v_mul_f64 v[108:109], v[0:1], v[204:205]
	s_waitcnt vmcnt(16)
	v_fmac_f64_e32 v[108:109], v[2:3], v[210:211]
	v_add_f64 v[86:87], v[106:107], v[108:109]
	s_waitcnt vmcnt(14) lgkmcnt(0)
	v_mul_f64 v[106:107], v[12:13], v[214:215]
	s_waitcnt vmcnt(12)
	v_fmac_f64_e32 v[106:107], v[14:15], v[216:217]
	v_add_f64 v[86:87], v[86:87], v[106:107]
	s_waitcnt vmcnt(9)
	v_mul_f64 v[106:107], v[4:5], v[220:221]
	s_waitcnt vmcnt(7)
	v_fmac_f64_e32 v[106:107], v[6:7], v[222:223]
	v_add_f64 v[86:87], v[86:87], v[106:107]
	s_waitcnt vmcnt(5)
	v_mul_f64 v[106:107], v[8:9], v[212:213]
	s_waitcnt vmcnt(4)
	v_fmac_f64_e32 v[106:107], v[10:11], v[218:219]
	v_add_f64 v[86:87], v[86:87], v[106:107]
	ds_read_b128 v[106:109], v184 offset:1936
	buffer_load_dword v228, off, s[0:3], 0 offset:984
	buffer_load_dword v229, off, s[0:3], 0 offset:988
	buffer_load_dword v230, off, s[0:3], 0 offset:976
	buffer_load_dword v231, off, s[0:3], 0 offset:980
	v_add_f64 v[16:17], v[254:255], v[250:251]
	v_add_f64 v[16:17], v[16:17], v[252:253]
	v_mul_f64 v[2:3], v[2:3], v[204:205]
	v_fma_f64 v[0:1], v[0:1], v[210:211], -v[2:3]
	v_mul_f64 v[2:3], v[14:15], v[214:215]
	v_fma_f64 v[2:3], v[12:13], v[216:217], -v[2:3]
	s_waitcnt vmcnt(6) lgkmcnt(0)
	v_mul_f64 v[110:111], v[106:107], v[224:225]
	s_waitcnt vmcnt(4)
	v_fmac_f64_e32 v[110:111], v[108:109], v[226:227]
	v_add_f64 v[86:87], v[86:87], v[110:111]
	ds_read_b128 v[110:113], v184 offset:1952
	buffer_load_dword v243, off, s[0:3], 0 offset:1004
	buffer_load_dword v242, off, s[0:3], 0 offset:1000
	;; [unrolled: 1-line block ×4, first 2 shown]
	s_waitcnt vmcnt(6) lgkmcnt(0)
	v_mul_f64 v[114:115], v[110:111], v[228:229]
	s_waitcnt vmcnt(4)
	v_fmac_f64_e32 v[114:115], v[112:113], v[230:231]
	v_add_f64 v[86:87], v[86:87], v[114:115]
	ds_read_b128 v[114:117], v184 offset:1968
	buffer_load_dword v248, off, s[0:3], 0 offset:288
	buffer_load_dword v249, off, s[0:3], 0 offset:292
	;; [unrolled: 1-line block ×4, first 2 shown]
	s_waitcnt vmcnt(6) lgkmcnt(0)
	v_mul_f64 v[184:185], v[114:115], v[242:243]
	s_waitcnt vmcnt(4)
	v_fmac_f64_e32 v[184:185], v[116:117], v[244:245]
	v_add_f64 v[232:233], v[86:87], v[184:185]
	v_mul_f64 v[86:87], v[136:137], v[240:241]
	v_fma_f64 v[86:87], v[134:135], v[138:139], -v[86:87]
	v_add_f64 v[16:17], v[16:17], v[86:87]
	v_accvgpr_read_b32 v86, a188
	v_accvgpr_read_b32 v87, a189
	v_mul_f64 v[86:87], v[128:129], v[86:87]
	v_fma_f64 v[86:87], v[126:127], v[90:91], -v[86:87]
	v_add_f64 v[16:17], v[16:17], v[86:87]
	v_mul_f64 v[86:87], v[132:133], v[142:143]
	v_fma_f64 v[86:87], v[130:131], v[146:147], -v[86:87]
	v_add_f64 v[16:17], v[16:17], v[86:87]
	v_accvgpr_read_b32 v86, a192
	v_accvgpr_read_b32 v87, a193
	;; [unrolled: 1-line block ×3, first 2 shown]
	v_mul_f64 v[86:87], v[124:125], v[86:87]
	v_accvgpr_read_b32 v91, a195
	v_fma_f64 v[86:87], v[122:123], v[90:91], -v[86:87]
	v_add_f64 v[16:17], v[16:17], v[86:87]
	v_add_f64 v[16:17], v[16:17], v[18:19]
	v_accvgpr_read_b32 v18, a196
	v_accvgpr_read_b32 v19, a197
	v_mul_f64 v[18:19], v[24:25], v[18:19]
	v_fma_f64 v[18:19], v[22:23], v[20:21], -v[18:19]
	v_add_f64 v[16:17], v[16:17], v[18:19]
	v_mul_f64 v[18:19], v[28:29], v[158:159]
	v_fma_f64 v[18:19], v[26:27], v[160:161], -v[18:19]
	v_add_f64 v[16:17], v[16:17], v[18:19]
	v_accvgpr_read_b32 v18, a200
	v_accvgpr_read_b32 v19, a201
	;; [unrolled: 1-line block ×3, first 2 shown]
	v_mul_f64 v[18:19], v[32:33], v[18:19]
	v_accvgpr_read_b32 v21, a203
	v_fma_f64 v[18:19], v[30:31], v[20:21], -v[18:19]
	v_add_f64 v[16:17], v[16:17], v[18:19]
	v_mul_f64 v[18:19], v[36:37], v[162:163]
	v_fma_f64 v[18:19], v[34:35], v[164:165], -v[18:19]
	v_add_f64 v[16:17], v[16:17], v[18:19]
	v_accvgpr_read_b32 v18, a204
	v_accvgpr_read_b32 v19, a205
	v_mul_f64 v[18:19], v[40:41], v[18:19]
	v_fma_f64 v[18:19], v[38:39], v[140:141], -v[18:19]
	v_add_f64 v[16:17], v[16:17], v[18:19]
	v_mul_f64 v[18:19], v[44:45], v[166:167]
	v_fma_f64 v[18:19], v[42:43], v[168:169], -v[18:19]
	v_add_f64 v[16:17], v[16:17], v[18:19]
	;; [unrolled: 3-line block ×13, first 2 shown]
	v_add_f64 v[0:1], v[16:17], v[0:1]
	v_add_f64 v[0:1], v[0:1], v[2:3]
	v_mul_f64 v[2:3], v[6:7], v[220:221]
	v_fma_f64 v[2:3], v[4:5], v[222:223], -v[2:3]
	v_add_f64 v[0:1], v[0:1], v[2:3]
	v_mul_f64 v[2:3], v[10:11], v[212:213]
	v_fma_f64 v[2:3], v[8:9], v[218:219], -v[2:3]
	;; [unrolled: 3-line block ×5, first 2 shown]
	v_add_f64 v[0:1], v[0:1], v[2:3]
	v_accvgpr_read_b32 v185, a185
	s_waitcnt vmcnt(2)
	v_add_f64 v[0:1], v[248:249], -v[0:1]
	v_cmp_lt_u32_e32 vcc, 16, v185
	s_waitcnt vmcnt(0)
	v_add_f64 v[2:3], v[246:247], -v[232:233]
	buffer_store_dword v1, off, s[0:3], 0 offset:292
	buffer_store_dword v0, off, s[0:3], 0 offset:288
	;; [unrolled: 1-line block ×4, first 2 shown]
	s_and_saveexec_b64 s[4:5], vcc
	s_cbranch_execz .LBB125_365
; %bb.364:
	v_accvgpr_read_b32 v3, a169
	buffer_load_dword v0, v3, s[0:3], 0 offen
	buffer_load_dword v1, v3, s[0:3], 0 offen offset:4
	buffer_load_dword v2, v3, s[0:3], 0 offen offset:8
	s_nop 0
	buffer_load_dword v3, v3, s[0:3], 0 offen offset:12
	v_mov_b32_e32 v4, 0
	v_accvgpr_read_b32 v5, a186
	buffer_store_dword v4, off, s[0:3], 0 offset:272
	buffer_store_dword v4, off, s[0:3], 0 offset:276
	;; [unrolled: 1-line block ×4, first 2 shown]
	s_waitcnt vmcnt(4)
	ds_write_b128 v5, v[0:3]
.LBB125_365:
	s_or_b64 exec, exec, s[4:5]
	s_waitcnt lgkmcnt(0)
	; wave barrier
	s_waitcnt lgkmcnt(0)
	buffer_load_dword v56, off, s[0:3], 0 offset:288
	buffer_load_dword v57, off, s[0:3], 0 offset:292
	;; [unrolled: 1-line block ×36, first 2 shown]
	v_mov_b32_e32 v184, 0
	buffer_load_dword v87, off, s[0:3], 0 offset:460
	buffer_load_dword v86, off, s[0:3], 0 offset:456
	;; [unrolled: 1-line block ×18, first 2 shown]
	ds_read_b128 v[110:113], v184 offset:1264
	ds_read_b128 v[114:117], v184 offset:1280
	;; [unrolled: 1-line block ×9, first 2 shown]
	v_cmp_lt_u32_e32 vcc, 15, v185
	s_waitcnt vmcnt(50) lgkmcnt(8)
	v_mul_f64 v[0:1], v[110:111], v[58:59]
	v_fmac_f64_e32 v[0:1], v[112:113], v[56:57]
	v_add_f64 v[0:1], v[0:1], 0
	v_mul_f64 v[58:59], v[112:113], v[58:59]
	s_waitcnt vmcnt(46) lgkmcnt(7)
	v_mul_f64 v[2:3], v[114:115], v[54:55]
	v_fmac_f64_e32 v[2:3], v[116:117], v[52:53]
	s_waitcnt vmcnt(44) lgkmcnt(6)
	v_mul_f64 v[4:5], v[196:197], v[50:51]
	v_add_f64 v[0:1], v[0:1], v[2:3]
	s_waitcnt vmcnt(42) lgkmcnt(4)
	v_mul_f64 v[8:9], v[204:205], v[60:61]
	v_mul_f64 v[50:51], v[198:199], v[50:51]
	s_waitcnt vmcnt(40)
	v_fmac_f64_e32 v[8:9], v[206:207], v[62:63]
	v_mul_f64 v[54:55], v[116:117], v[54:55]
	s_waitcnt vmcnt(38)
	v_mul_f64 v[6:7], v[200:201], v[64:65]
	s_waitcnt vmcnt(36) lgkmcnt(2)
	v_mul_f64 v[12:13], v[214:215], v[74:75]
	s_waitcnt vmcnt(34)
	v_fmac_f64_e32 v[12:13], v[216:217], v[72:73]
	s_waitcnt vmcnt(32)
	v_mul_f64 v[10:11], v[208:209], v[76:77]
	s_waitcnt vmcnt(30) lgkmcnt(1)
	v_mul_f64 v[14:15], v[220:221], v[68:69]
	s_waitcnt vmcnt(28)
	v_fmac_f64_e32 v[4:5], v[198:199], v[82:83]
	v_add_f64 v[0:1], v[0:1], v[4:5]
	s_waitcnt vmcnt(26)
	v_fmac_f64_e32 v[6:7], v[202:203], v[80:81]
	v_add_f64 v[0:1], v[0:1], v[6:7]
	;; [unrolled: 3-line block ×3, first 2 shown]
	v_add_f64 v[0:1], v[0:1], v[10:11]
	v_add_f64 v[2:3], v[0:1], v[12:13]
	buffer_load_dword v105, off, s[0:3], 0 offset:516
	buffer_load_dword v104, off, s[0:3], 0 offset:512
	buffer_load_dword v171, off, s[0:3], 0 offset:508
	buffer_load_dword v170, off, s[0:3], 0 offset:504
	buffer_load_dword v1, off, s[0:3], 0 offset:500
	buffer_load_dword v0, off, s[0:3], 0 offset:496
	buffer_load_dword v5, off, s[0:3], 0 offset:556
	buffer_load_dword v4, off, s[0:3], 0 offset:552
	s_waitcnt vmcnt(30)
	v_fmac_f64_e32 v[14:15], v[222:223], v[70:71]
	v_add_f64 v[2:3], v[2:3], v[14:15]
	v_fma_f64 v[112:113], v[196:197], v[82:83], -v[50:51]
	v_mul_f64 v[50:51], v[202:203], v[64:65]
	v_fma_f64 v[80:81], v[200:201], v[80:81], -v[50:51]
	v_mul_f64 v[50:51], v[206:207], v[60:61]
	v_fma_f64 v[212:213], v[204:205], v[62:63], -v[50:51]
	s_waitcnt vmcnt(0)
	v_pk_mov_b32 v[8:9], v[4:5], v[4:5] op_sel:[0,1]
	buffer_load_dword v5, off, s[0:3], 0 offset:548
	buffer_load_dword v4, off, s[0:3], 0 offset:544
	v_accvgpr_write_b32 a189, v9
	v_accvgpr_write_b32 a188, v8
	s_waitcnt vmcnt(0)
	v_pk_mov_b32 v[12:13], v[4:5], v[4:5] op_sel:[0,1]
	buffer_load_dword v107, off, s[0:3], 0 offset:540
	buffer_load_dword v106, off, s[0:3], 0 offset:536
	buffer_load_dword v109, off, s[0:3], 0 offset:532
	buffer_load_dword v108, off, s[0:3], 0 offset:528
	buffer_load_dword v5, off, s[0:3], 0 offset:588
	buffer_load_dword v4, off, s[0:3], 0 offset:584
	v_accvgpr_write_b32 a191, v13
	v_accvgpr_write_b32 a190, v12
	s_waitcnt vmcnt(0)
	v_pk_mov_b32 v[20:21], v[4:5], v[4:5] op_sel:[0,1]
	buffer_load_dword v5, off, s[0:3], 0 offset:580
	buffer_load_dword v4, off, s[0:3], 0 offset:576
	v_accvgpr_write_b32 a193, v21
	v_accvgpr_write_b32 a192, v20
	s_waitcnt vmcnt(0)
	v_pk_mov_b32 v[22:23], v[4:5], v[4:5] op_sel:[0,1]
	buffer_load_dword v139, off, s[0:3], 0 offset:572
	buffer_load_dword v138, off, s[0:3], 0 offset:568
	;; [unrolled: 1-line block ×6, first 2 shown]
	v_accvgpr_write_b32 a195, v23
	v_accvgpr_write_b32 a194, v22
	s_waitcnt vmcnt(0)
	v_pk_mov_b32 v[28:29], v[4:5], v[4:5] op_sel:[0,1]
	buffer_load_dword v5, off, s[0:3], 0 offset:612
	buffer_load_dword v4, off, s[0:3], 0 offset:608
	;; [unrolled: 1-line block ×38, first 2 shown]
	ds_read_b128 v[228:231], v184 offset:1408
	ds_read_b128 v[232:235], v184 offset:1424
	;; [unrolled: 1-line block ×11, first 2 shown]
	v_accvgpr_write_b32 a197, v29
	s_waitcnt lgkmcnt(3)
	v_mul_f64 v[10:11], v[118:119], v[8:9]
	v_fmac_f64_e32 v[10:11], v[120:121], v[12:13]
	s_waitcnt lgkmcnt(2)
	v_mul_f64 v[14:15], v[122:123], v[138:139]
	v_fmac_f64_e32 v[14:15], v[124:125], v[142:143]
	s_waitcnt lgkmcnt(1)
	v_mul_f64 v[18:19], v[126:127], v[20:21]
	v_fmac_f64_e32 v[18:19], v[128:129], v[22:23]
	v_accvgpr_write_b32 a196, v28
	v_fma_f64 v[12:13], v[110:111], v[56:57], -v[58:59]
	v_fma_f64 v[110:111], v[114:115], v[52:53], -v[54:55]
	v_mul_f64 v[54:55], v[210:211], v[76:77]
	v_fma_f64 v[82:83], v[208:209], v[78:79], -v[54:55]
	v_mul_f64 v[54:55], v[216:217], v[74:75]
	v_mul_f64 v[56:57], v[222:223], v[68:69]
	v_fma_f64 v[8:9], v[220:221], v[70:71], -v[56:57]
	v_mul_f64 v[58:59], v[226:227], v[66:67]
	v_mul_f64 v[70:71], v[234:235], v[86:87]
	v_add_f64 v[12:13], v[12:13], 0
	v_add_f64 v[12:13], v[12:13], v[110:111]
	;; [unrolled: 1-line block ×6, first 2 shown]
	s_waitcnt vmcnt(36)
	v_accvgpr_write_b32 a199, v5
	v_accvgpr_write_b32 a198, v4
	s_waitcnt vmcnt(28)
	v_pk_mov_b32 v[36:37], v[6:7], v[6:7] op_sel:[0,1]
	v_mul_f64 v[6:7], v[224:225], v[66:67]
	v_fmac_f64_e32 v[6:7], v[226:227], v[84:85]
	v_add_f64 v[2:3], v[2:3], v[6:7]
	v_mul_f64 v[6:7], v[228:229], v[90:91]
	v_fmac_f64_e32 v[6:7], v[230:231], v[92:93]
	v_add_f64 v[2:3], v[2:3], v[6:7]
	;; [unrolled: 3-line block ×8, first 2 shown]
	v_add_f64 v[2:3], v[2:3], v[10:11]
	v_add_f64 v[2:3], v[2:3], v[14:15]
	;; [unrolled: 1-line block ×3, first 2 shown]
	ds_read_b128 v[18:21], v184 offset:1584
	s_waitcnt lgkmcnt(1)
	v_mul_f64 v[22:23], v[130:131], v[146:147]
	v_fmac_f64_e32 v[22:23], v[132:133], v[150:151]
	v_add_f64 v[2:3], v[2:3], v[22:23]
	ds_read_b128 v[22:25], v184 offset:1600
	s_waitcnt lgkmcnt(1)
	v_mul_f64 v[26:27], v[18:19], v[28:29]
	v_fmac_f64_e32 v[26:27], v[20:21], v[4:5]
	v_add_f64 v[2:3], v[2:3], v[26:27]
	ds_read_b128 v[26:29], v184 offset:1616
	s_waitcnt vmcnt(26) lgkmcnt(1)
	v_mul_f64 v[30:31], v[22:23], v[154:155]
	s_waitcnt vmcnt(24)
	v_fmac_f64_e32 v[30:31], v[24:25], v[156:157]
	v_add_f64 v[2:3], v[2:3], v[30:31]
	ds_read_b128 v[30:33], v184 offset:1632
	s_waitcnt lgkmcnt(1)
	v_mul_f64 v[34:35], v[26:27], v[16:17]
	v_fmac_f64_e32 v[34:35], v[28:29], v[36:37]
	v_accvgpr_write_b32 a201, v37
	v_accvgpr_write_b32 a200, v36
	v_add_f64 v[2:3], v[2:3], v[34:35]
	ds_read_b128 v[34:37], v184 offset:1648
	s_waitcnt vmcnt(18) lgkmcnt(1)
	v_mul_f64 v[38:39], v[30:31], v[158:159]
	s_waitcnt vmcnt(16)
	v_fmac_f64_e32 v[38:39], v[32:33], v[160:161]
	v_add_f64 v[2:3], v[2:3], v[38:39]
	ds_read_b128 v[38:41], v184 offset:1664
	s_waitcnt lgkmcnt(1)
	v_mul_f64 v[42:43], v[34:35], v[134:135]
	v_fmac_f64_e32 v[42:43], v[36:37], v[136:137]
	v_add_f64 v[2:3], v[2:3], v[42:43]
	ds_read_b128 v[42:45], v184 offset:1680
	s_waitcnt vmcnt(10) lgkmcnt(1)
	v_mul_f64 v[46:47], v[38:39], v[162:163]
	s_waitcnt vmcnt(8)
	v_fmac_f64_e32 v[46:47], v[40:41], v[164:165]
	v_add_f64 v[172:173], v[2:3], v[46:47]
	ds_read_b128 v[46:49], v184 offset:1696
	buffer_load_dword v15, off, s[0:3], 0 offset:764
	buffer_load_dword v14, off, s[0:3], 0 offset:760
	;; [unrolled: 1-line block ×4, first 2 shown]
	s_waitcnt lgkmcnt(1)
	v_mul_f64 v[176:177], v[42:43], v[140:141]
	v_fmac_f64_e32 v[176:177], v[44:45], v[144:145]
	v_add_f64 v[2:3], v[172:173], v[176:177]
	buffer_load_dword v177, off, s[0:3], 0 offset:780
	buffer_load_dword v176, off, s[0:3], 0 offset:776
	;; [unrolled: 1-line block ×32, first 2 shown]
	ds_read_b128 v[50:53], v184 offset:1712
	v_fma_f64 v[10:11], v[214:215], v[72:73], -v[54:55]
	s_waitcnt vmcnt(38) lgkmcnt(1)
	v_mul_f64 v[54:55], v[46:47], v[166:167]
	s_waitcnt vmcnt(36)
	v_fmac_f64_e32 v[54:55], v[48:49], v[168:169]
	v_add_f64 v[2:3], v[2:3], v[54:55]
	s_waitcnt lgkmcnt(0)
	v_mul_f64 v[54:55], v[50:51], v[148:149]
	v_fmac_f64_e32 v[54:55], v[52:53], v[152:153]
	buffer_load_dword v211, off, s[0:3], 0 offset:908
	buffer_load_dword v210, off, s[0:3], 0 offset:904
	;; [unrolled: 1-line block ×16, first 2 shown]
	v_add_f64 v[2:3], v[2:3], v[54:55]
	ds_read_b128 v[54:57], v184 offset:1728
	v_fma_f64 v[84:85], v[224:225], v[84:85], -v[58:59]
	ds_read_b128 v[58:61], v184 offset:1744
	v_fma_f64 v[232:233], v[232:233], v[88:89], -v[70:71]
	ds_read_b128 v[70:73], v184 offset:1792
	v_add_f64 v[10:11], v[12:13], v[10:11]
	v_add_f64 v[8:9], v[10:11], v[8:9]
	;; [unrolled: 1-line block ×3, first 2 shown]
	v_accvgpr_read_b32 v10, a190
	v_accvgpr_read_b32 v11, a191
	s_waitcnt vmcnt(50) lgkmcnt(2)
	v_mul_f64 v[62:63], v[54:55], v[14:15]
	s_waitcnt vmcnt(48)
	v_fmac_f64_e32 v[62:63], v[56:57], v[174:175]
	v_add_f64 v[2:3], v[2:3], v[62:63]
	v_mul_f64 v[62:63], v[230:231], v[90:91]
	v_fma_f64 v[224:225], v[228:229], v[92:93], -v[62:63]
	ds_read_b128 v[62:65], v184 offset:1760
	s_waitcnt vmcnt(46) lgkmcnt(2)
	v_mul_f64 v[66:67], v[58:59], v[176:177]
	s_waitcnt vmcnt(44)
	v_fmac_f64_e32 v[66:67], v[60:61], v[178:179]
	v_add_f64 v[2:3], v[2:3], v[66:67]
	ds_read_b128 v[66:69], v184 offset:1776
	s_waitcnt vmcnt(41) lgkmcnt(1)
	v_mul_f64 v[74:75], v[62:63], v[182:183]
	s_waitcnt vmcnt(39)
	v_fmac_f64_e32 v[74:75], v[64:65], v[188:189]
	v_add_f64 v[2:3], v[2:3], v[74:75]
	v_mul_f64 v[74:75], v[238:239], v[100:101]
	v_fma_f64 v[6:7], v[236:237], v[102:103], -v[74:75]
	ds_read_b128 v[74:77], v184 offset:1808
	s_waitcnt vmcnt(38) lgkmcnt(1)
	v_mul_f64 v[86:87], v[66:67], v[172:173]
	s_waitcnt vmcnt(36)
	v_fmac_f64_e32 v[86:87], v[68:69], v[186:187]
	v_add_f64 v[2:3], v[2:3], v[86:87]
	s_waitcnt vmcnt(33)
	v_mul_f64 v[86:87], v[70:71], v[192:193]
	s_waitcnt vmcnt(31)
	v_fmac_f64_e32 v[86:87], v[72:73], v[194:195]
	v_add_f64 v[2:3], v[2:3], v[86:87]
	s_waitcnt vmcnt(29) lgkmcnt(0)
	v_mul_f64 v[86:87], v[74:75], v[180:181]
	s_waitcnt vmcnt(28)
	v_fmac_f64_e32 v[86:87], v[76:77], v[190:191]
	ds_read_b128 v[234:237], v184 offset:1824
	v_add_f64 v[2:3], v[2:3], v[86:87]
	v_mul_f64 v[86:87], v[242:243], v[96:97]
	v_fma_f64 v[4:5], v[240:241], v[98:99], -v[86:87]
	ds_read_b128 v[238:241], v184 offset:1840
	v_mul_f64 v[86:87], v[246:247], v[170:171]
	v_fma_f64 v[246:247], v[244:245], v[0:1], -v[86:87]
	ds_read_b128 v[86:89], v184 offset:1856
	s_waitcnt vmcnt(26) lgkmcnt(2)
	v_mul_f64 v[90:91], v[234:235], v[196:197]
	s_waitcnt vmcnt(24)
	v_fmac_f64_e32 v[90:91], v[236:237], v[198:199]
	v_add_f64 v[0:1], v[2:3], v[90:91]
	ds_read_b128 v[90:93], v184 offset:1872
	s_waitcnt vmcnt(22) lgkmcnt(2)
	v_mul_f64 v[2:3], v[238:239], v[200:201]
	s_waitcnt vmcnt(20)
	v_fmac_f64_e32 v[2:3], v[240:241], v[204:205]
	v_add_f64 v[0:1], v[0:1], v[2:3]
	s_waitcnt vmcnt(18) lgkmcnt(1)
	v_mul_f64 v[2:3], v[86:87], v[202:203]
	s_waitcnt vmcnt(16)
	v_fmac_f64_e32 v[2:3], v[88:89], v[206:207]
	v_add_f64 v[0:1], v[0:1], v[2:3]
	v_mul_f64 v[2:3], v[250:251], v[94:95]
	v_mul_f64 v[98:99], v[254:255], v[106:107]
	v_fma_f64 v[248:249], v[248:249], v[104:105], -v[2:3]
	ds_read_b128 v[94:97], v184 offset:1888
	v_fma_f64 v[250:251], v[252:253], v[108:109], -v[98:99]
	ds_read_b128 v[98:101], v184 offset:1904
	ds_read_b128 v[102:105], v184 offset:1920
	buffer_load_dword v170, off, s[0:3], 0 offset:968
	buffer_load_dword v171, off, s[0:3], 0 offset:972
	buffer_load_dword v226, off, s[0:3], 0 offset:960
	buffer_load_dword v227, off, s[0:3], 0 offset:964
	ds_read_b128 v[106:109], v184 offset:1936
	buffer_load_dword v229, off, s[0:3], 0 offset:988
	buffer_load_dword v228, off, s[0:3], 0 offset:984
	buffer_load_dword v231, off, s[0:3], 0 offset:980
	buffer_load_dword v230, off, s[0:3], 0 offset:976
	s_waitcnt vmcnt(22) lgkmcnt(4)
	v_mul_f64 v[2:3], v[90:91], v[210:211]
	s_waitcnt vmcnt(20)
	v_fmac_f64_e32 v[2:3], v[92:93], v[78:79]
	v_add_f64 v[0:1], v[0:1], v[2:3]
	s_waitcnt vmcnt(17) lgkmcnt(3)
	v_mul_f64 v[2:3], v[94:95], v[216:217]
	s_waitcnt vmcnt(15)
	v_fmac_f64_e32 v[2:3], v[96:97], v[218:219]
	v_add_f64 v[0:1], v[0:1], v[2:3]
	;; [unrolled: 5-line block ×4, first 2 shown]
	v_add_f64 v[8:9], v[8:9], v[224:225]
	v_add_f64 v[8:9], v[8:9], v[232:233]
	;; [unrolled: 1-line block ×5, first 2 shown]
	v_accvgpr_read_b32 v8, a188
	v_accvgpr_read_b32 v9, a189
	v_mul_f64 v[8:9], v[120:121], v[8:9]
	v_fma_f64 v[8:9], v[118:119], v[10:11], -v[8:9]
	v_accvgpr_read_b32 v10, a194
	v_accvgpr_read_b32 v11, a195
	s_waitcnt vmcnt(6) lgkmcnt(0)
	v_mul_f64 v[2:3], v[106:107], v[170:171]
	s_waitcnt vmcnt(4)
	v_fmac_f64_e32 v[2:3], v[108:109], v[226:227]
	v_add_f64 v[114:115], v[0:1], v[2:3]
	ds_read_b128 v[0:3], v184 offset:1952
	buffer_load_dword v242, off, s[0:3], 0 offset:1000
	buffer_load_dword v243, off, s[0:3], 0 offset:1004
	;; [unrolled: 1-line block ×4, first 2 shown]
	s_waitcnt vmcnt(6) lgkmcnt(0)
	v_mul_f64 v[116:117], v[0:1], v[228:229]
	s_waitcnt vmcnt(4)
	v_fmac_f64_e32 v[116:117], v[2:3], v[230:231]
	v_add_f64 v[252:253], v[114:115], v[116:117]
	ds_read_b128 v[114:117], v184 offset:1968
	buffer_load_dword v4, off, s[0:3], 0 offset:272
	buffer_load_dword v5, off, s[0:3], 0 offset:276
	;; [unrolled: 1-line block ×4, first 2 shown]
	v_mul_f64 v[2:3], v[2:3], v[228:229]
	v_fma_f64 v[0:1], v[0:1], v[230:231], -v[2:3]
	s_waitcnt vmcnt(6) lgkmcnt(0)
	v_mul_f64 v[254:255], v[114:115], v[242:243]
	v_mul_f64 v[2:3], v[116:117], v[242:243]
	s_waitcnt vmcnt(4)
	v_fmac_f64_e32 v[254:255], v[116:117], v[244:245]
	v_add_f64 v[254:255], v[252:253], v[254:255]
	v_add_f64 v[252:253], v[6:7], v[248:249]
	;; [unrolled: 1-line block ×4, first 2 shown]
	v_mul_f64 v[8:9], v[124:125], v[138:139]
	v_fma_f64 v[8:9], v[122:123], v[142:143], -v[8:9]
	v_add_f64 v[6:7], v[6:7], v[8:9]
	v_accvgpr_read_b32 v8, a192
	v_accvgpr_read_b32 v9, a193
	v_mul_f64 v[8:9], v[128:129], v[8:9]
	v_fma_f64 v[8:9], v[126:127], v[10:11], -v[8:9]
	v_add_f64 v[6:7], v[6:7], v[8:9]
	v_mul_f64 v[8:9], v[132:133], v[146:147]
	v_fma_f64 v[8:9], v[130:131], v[150:151], -v[8:9]
	v_add_f64 v[6:7], v[6:7], v[8:9]
	v_accvgpr_read_b32 v8, a196
	v_accvgpr_read_b32 v9, a197
	;; [unrolled: 1-line block ×3, first 2 shown]
	v_mul_f64 v[8:9], v[20:21], v[8:9]
	v_accvgpr_read_b32 v11, a199
	v_fma_f64 v[8:9], v[18:19], v[10:11], -v[8:9]
	v_add_f64 v[6:7], v[6:7], v[8:9]
	v_mul_f64 v[8:9], v[24:25], v[154:155]
	v_fma_f64 v[8:9], v[22:23], v[156:157], -v[8:9]
	v_accvgpr_read_b32 v10, a200
	v_add_f64 v[6:7], v[6:7], v[8:9]
	v_mul_f64 v[8:9], v[28:29], v[16:17]
	v_accvgpr_read_b32 v11, a201
	v_fma_f64 v[8:9], v[26:27], v[10:11], -v[8:9]
	v_add_f64 v[6:7], v[6:7], v[8:9]
	v_mul_f64 v[8:9], v[32:33], v[158:159]
	v_fma_f64 v[8:9], v[30:31], v[160:161], -v[8:9]
	v_add_f64 v[6:7], v[6:7], v[8:9]
	v_mul_f64 v[8:9], v[36:37], v[134:135]
	;; [unrolled: 3-line block ×20, first 2 shown]
	v_fma_f64 v[8:9], v[106:107], v[226:227], -v[8:9]
	v_add_f64 v[6:7], v[6:7], v[8:9]
	v_add_f64 v[0:1], v[6:7], v[0:1]
	v_fma_f64 v[2:3], v[114:115], v[244:245], -v[2:3]
	v_add_f64 v[0:1], v[0:1], v[2:3]
	s_waitcnt vmcnt(2)
	v_add_f64 v[0:1], v[4:5], -v[0:1]
	s_waitcnt vmcnt(0)
	v_add_f64 v[2:3], v[246:247], -v[254:255]
	buffer_store_dword v1, off, s[0:3], 0 offset:276
	buffer_store_dword v0, off, s[0:3], 0 offset:272
	buffer_store_dword v3, off, s[0:3], 0 offset:284
	buffer_store_dword v2, off, s[0:3], 0 offset:280
	s_and_saveexec_b64 s[4:5], vcc
	s_cbranch_execz .LBB125_367
; %bb.366:
	v_accvgpr_read_b32 v3, a170
	buffer_load_dword v0, v3, s[0:3], 0 offen
	buffer_load_dword v1, v3, s[0:3], 0 offen offset:4
	buffer_load_dword v2, v3, s[0:3], 0 offen offset:8
	s_nop 0
	buffer_load_dword v3, v3, s[0:3], 0 offen offset:12
	v_accvgpr_read_b32 v4, a186
	buffer_store_dword v184, off, s[0:3], 0 offset:256
	buffer_store_dword v184, off, s[0:3], 0 offset:260
	;; [unrolled: 1-line block ×4, first 2 shown]
	s_waitcnt vmcnt(4)
	ds_write_b128 v4, v[0:3]
.LBB125_367:
	s_or_b64 exec, exec, s[4:5]
	s_waitcnt lgkmcnt(0)
	; wave barrier
	s_waitcnt lgkmcnt(0)
	buffer_load_dword v60, off, s[0:3], 0 offset:272
	buffer_load_dword v61, off, s[0:3], 0 offset:276
	;; [unrolled: 1-line block ×42, first 2 shown]
	ds_read_b128 v[114:117], v184 offset:1248
	ds_read_b128 v[180:183], v184 offset:1264
	;; [unrolled: 1-line block ×10, first 2 shown]
	buffer_load_dword v1, off, s[0:3], 0 offset:420
	buffer_load_dword v0, off, s[0:3], 0 offset:416
	ds_read_b128 v[62:65], v184 offset:1408
	buffer_load_dword v101, off, s[0:3], 0 offset:476
	buffer_load_dword v100, off, s[0:3], 0 offset:472
	;; [unrolled: 1-line block ×6, first 2 shown]
	v_cmp_lt_u32_e32 vcc, 14, v185
	s_waitcnt vmcnt(46) lgkmcnt(10)
	v_mul_f64 v[2:3], v[114:115], v[66:67]
	v_fmac_f64_e32 v[2:3], v[116:117], v[60:61]
	v_add_f64 v[2:3], v[2:3], 0
	s_waitcnt vmcnt(42) lgkmcnt(9)
	v_mul_f64 v[4:5], v[180:181], v[58:59]
	v_fmac_f64_e32 v[4:5], v[182:183], v[50:51]
	v_add_f64 v[2:3], v[2:3], v[4:5]
	buffer_load_dword v249, off, s[0:3], 0 offset:452
	buffer_load_dword v248, off, s[0:3], 0 offset:448
	;; [unrolled: 1-line block ×20, first 2 shown]
	s_waitcnt vmcnt(60) lgkmcnt(8)
	v_mul_f64 v[6:7], v[186:187], v[52:53]
	s_waitcnt vmcnt(58) lgkmcnt(6)
	v_mul_f64 v[10:11], v[200:201], v[68:69]
	s_waitcnt vmcnt(56)
	v_fmac_f64_e32 v[10:11], v[202:203], v[70:71]
	v_mul_f64 v[58:59], v[182:183], v[58:59]
	s_waitcnt vmcnt(54)
	v_mul_f64 v[8:9], v[194:195], v[72:73]
	v_fma_f64 v[218:219], v[180:181], v[50:51], -v[58:59]
	s_waitcnt vmcnt(52) lgkmcnt(4)
	v_mul_f64 v[14:15], v[208:209], v[74:75]
	v_mul_f64 v[50:51], v[188:189], v[52:53]
	s_waitcnt vmcnt(50)
	v_fmac_f64_e32 v[14:15], v[210:211], v[76:77]
	s_waitcnt vmcnt(48)
	v_mul_f64 v[12:13], v[204:205], v[78:79]
	s_waitcnt vmcnt(46) lgkmcnt(2)
	v_mul_f64 v[18:19], v[220:221], v[82:83]
	s_waitcnt vmcnt(43)
	v_mul_f64 v[16:17], v[212:213], v[216:217]
	s_waitcnt vmcnt(41) lgkmcnt(1)
	v_mul_f64 v[20:21], v[54:55], v[80:81]
	s_waitcnt vmcnt(39)
	v_fmac_f64_e32 v[6:7], v[188:189], v[96:97]
	v_add_f64 v[2:3], v[2:3], v[6:7]
	s_waitcnt vmcnt(37)
	v_fmac_f64_e32 v[8:9], v[196:197], v[92:93]
	v_add_f64 v[2:3], v[2:3], v[8:9]
	;; [unrolled: 3-line block ×3, first 2 shown]
	v_add_f64 v[2:3], v[2:3], v[12:13]
	s_waitcnt vmcnt(33)
	v_fmac_f64_e32 v[16:17], v[214:215], v[88:89]
	v_add_f64 v[2:3], v[2:3], v[14:15]
	s_waitcnt vmcnt(32)
	v_fmac_f64_e32 v[18:19], v[222:223], v[84:85]
	v_add_f64 v[2:3], v[2:3], v[16:17]
	v_add_f64 v[2:3], v[2:3], v[18:19]
	v_fma_f64 v[58:59], v[186:187], v[96:97], -v[50:51]
	s_waitcnt vmcnt(26)
	v_fmac_f64_e32 v[20:21], v[56:57], v[0:1]
	v_add_f64 v[2:3], v[2:3], v[20:21]
	v_mul_f64 v[50:51], v[196:197], v[72:73]
	v_mul_f64 v[56:57], v[56:57], v[80:81]
	s_waitcnt vmcnt(0)
	v_pk_mov_b32 v[18:19], v[4:5], v[4:5] op_sel:[0,1]
	buffer_load_dword v5, off, s[0:3], 0 offset:564
	buffer_load_dword v4, off, s[0:3], 0 offset:560
	v_accvgpr_write_b32 a191, v19
	v_accvgpr_write_b32 a190, v18
	s_waitcnt vmcnt(0)
	v_pk_mov_b32 v[22:23], v[4:5], v[4:5] op_sel:[0,1]
	buffer_load_dword v5, off, s[0:3], 0 offset:556
	buffer_load_dword v4, off, s[0:3], 0 offset:552
	v_accvgpr_write_b32 a193, v23
	v_accvgpr_write_b32 a192, v22
	s_waitcnt vmcnt(0)
	v_pk_mov_b32 v[14:15], v[4:5], v[4:5] op_sel:[0,1]
	buffer_load_dword v139, off, s[0:3], 0 offset:548
	buffer_load_dword v138, off, s[0:3], 0 offset:544
	buffer_load_dword v5, off, s[0:3], 0 offset:604
	buffer_load_dword v4, off, s[0:3], 0 offset:600
	v_accvgpr_write_b32 a189, v15
	v_accvgpr_write_b32 a188, v14
	s_waitcnt vmcnt(0)
	v_pk_mov_b32 v[26:27], v[4:5], v[4:5] op_sel:[0,1]
	buffer_load_dword v5, off, s[0:3], 0 offset:596
	buffer_load_dword v4, off, s[0:3], 0 offset:592
	v_accvgpr_write_b32 a195, v27
	v_accvgpr_write_b32 a194, v26
	s_waitcnt vmcnt(0)
	v_pk_mov_b32 v[28:29], v[4:5], v[4:5] op_sel:[0,1]
	buffer_load_dword v143, off, s[0:3], 0 offset:588
	buffer_load_dword v142, off, s[0:3], 0 offset:584
	buffer_load_dword v147, off, s[0:3], 0 offset:580
	buffer_load_dword v146, off, s[0:3], 0 offset:576
	buffer_load_dword v5, off, s[0:3], 0 offset:636
	buffer_load_dword v4, off, s[0:3], 0 offset:632
	v_accvgpr_write_b32 a197, v29
	v_accvgpr_write_b32 a196, v28
	s_waitcnt vmcnt(0)
	v_pk_mov_b32 v[34:35], v[4:5], v[4:5] op_sel:[0,1]
	buffer_load_dword v5, off, s[0:3], 0 offset:628
	buffer_load_dword v4, off, s[0:3], 0 offset:624
	v_accvgpr_write_b32 a199, v35
	v_accvgpr_write_b32 a198, v34
	s_waitcnt vmcnt(0)
	v_pk_mov_b32 v[36:37], v[4:5], v[4:5] op_sel:[0,1]
	buffer_load_dword v151, off, s[0:3], 0 offset:620
	buffer_load_dword v150, off, s[0:3], 0 offset:616
	;; [unrolled: 16-line block ×3, first 2 shown]
	buffer_load_dword v161, off, s[0:3], 0 offset:644
	buffer_load_dword v160, off, s[0:3], 0 offset:640
	;; [unrolled: 1-line block ×26, first 2 shown]
	ds_read_b128 v[224:227], v184 offset:1424
	ds_read_b128 v[228:231], v184 offset:1440
	;; [unrolled: 1-line block ×10, first 2 shown]
	s_waitcnt lgkmcnt(4)
	v_mul_f64 v[8:9], v[244:245], v[106:107]
	v_fmac_f64_e32 v[8:9], v[246:247], v[108:109]
	s_waitcnt lgkmcnt(3)
	v_mul_f64 v[12:13], v[134:135], v[14:15]
	v_fmac_f64_e32 v[12:13], v[136:137], v[138:139]
	;; [unrolled: 3-line block ×4, first 2 shown]
	ds_read_b128 v[118:121], v184 offset:1584
	s_waitcnt lgkmcnt(1)
	v_mul_f64 v[24:25], v[122:123], v[26:27]
	v_fmac_f64_e32 v[24:25], v[124:125], v[28:29]
	v_accvgpr_write_b32 a205, v45
	v_accvgpr_write_b32 a204, v44
	s_waitcnt vmcnt(22)
	v_pk_mov_b32 v[174:175], v[4:5], v[4:5] op_sel:[0,1]
	v_mul_f64 v[4:5], v[62:63], v[94:95]
	v_fmac_f64_e32 v[4:5], v[64:65], v[98:99]
	v_add_f64 v[2:3], v[2:3], v[4:5]
	v_mul_f64 v[4:5], v[224:225], v[104:105]
	v_fmac_f64_e32 v[4:5], v[226:227], v[248:249]
	v_add_f64 v[2:3], v[2:3], v[4:5]
	;; [unrolled: 3-line block ×6, first 2 shown]
	v_add_f64 v[10:11], v[6:7], v[8:9]
	v_add_f64 v[14:15], v[10:11], v[12:13]
	;; [unrolled: 1-line block ×5, first 2 shown]
	ds_read_b128 v[22:25], v184 offset:1600
	s_waitcnt lgkmcnt(1)
	v_mul_f64 v[28:29], v[118:119], v[150:151]
	v_fmac_f64_e32 v[28:29], v[120:121], v[154:155]
	v_add_f64 v[30:31], v[26:27], v[28:29]
	ds_read_b128 v[26:29], v184 offset:1616
	s_waitcnt lgkmcnt(1)
	v_mul_f64 v[32:33], v[22:23], v[34:35]
	v_fmac_f64_e32 v[32:33], v[24:25], v[36:37]
	v_add_f64 v[34:35], v[30:31], v[32:33]
	;; [unrolled: 5-line block ×4, first 2 shown]
	ds_read_b128 v[38:41], v184 offset:1664
	ds_read_b128 v[42:45], v184 offset:1680
	s_waitcnt vmcnt(18) lgkmcnt(2)
	v_mul_f64 v[48:49], v[34:35], v[162:163]
	s_waitcnt vmcnt(16)
	v_fmac_f64_e32 v[48:49], v[36:37], v[164:165]
	v_add_f64 v[46:47], v[46:47], v[48:49]
	s_waitcnt lgkmcnt(1)
	v_mul_f64 v[48:49], v[38:39], v[174:175]
	v_fmac_f64_e32 v[48:49], v[40:41], v[140:141]
	v_add_f64 v[46:47], v[46:47], v[48:49]
	s_waitcnt vmcnt(10) lgkmcnt(0)
	v_mul_f64 v[48:49], v[42:43], v[166:167]
	v_accvgpr_write_b32 a207, v175
	s_waitcnt vmcnt(8)
	v_fmac_f64_e32 v[48:49], v[44:45], v[168:169]
	v_accvgpr_write_b32 a206, v174
	v_add_f64 v[2:3], v[46:47], v[48:49]
	ds_read_b128 v[46:49], v184 offset:1696
	buffer_load_dword v175, off, s[0:3], 0 offset:780
	buffer_load_dword v174, off, s[0:3], 0 offset:776
	;; [unrolled: 1-line block ×16, first 2 shown]
	v_mul_f64 v[4:5], v[116:117], v[66:67]
	v_fma_f64 v[14:15], v[114:115], v[60:61], -v[4:5]
	v_fma_f64 v[60:61], v[194:195], v[92:93], -v[50:51]
	buffer_load_dword v182, off, s[0:3], 0 offset:856
	buffer_load_dword v197, off, s[0:3], 0 offset:844
	;; [unrolled: 1-line block ×8, first 2 shown]
	v_mul_f64 v[50:51], v[202:203], v[68:69]
	v_fma_f64 v[92:93], v[200:201], v[70:71], -v[50:51]
	buffer_load_dword v201, off, s[0:3], 0 offset:876
	buffer_load_dword v200, off, s[0:3], 0 offset:872
	;; [unrolled: 1-line block ×4, first 2 shown]
	v_mul_f64 v[50:51], v[206:207], v[78:79]
	v_fma_f64 v[90:91], v[204:205], v[90:91], -v[50:51]
	v_mul_f64 v[50:51], v[210:211], v[74:75]
	v_fma_f64 v[10:11], v[208:209], v[76:77], -v[50:51]
	buffer_load_dword v206, off, s[0:3], 0 offset:888
	buffer_load_dword v208, off, s[0:3], 0 offset:880
	;; [unrolled: 1-line block ×4, first 2 shown]
	v_mul_f64 v[8:9], v[214:215], v[216:217]
	v_fma_f64 v[8:9], v[212:213], v[88:89], -v[8:9]
	buffer_load_dword v205, off, s[0:3], 0 offset:924
	buffer_load_dword v211, off, s[0:3], 0 offset:908
	;; [unrolled: 1-line block ×12, first 2 shown]
	v_mul_f64 v[66:67], v[222:223], v[82:83]
	ds_read_b128 v[50:53], v184 offset:1712
	v_fma_f64 v[6:7], v[220:221], v[84:85], -v[66:67]
	buffer_load_dword v220, off, s[0:3], 0 offset:952
	buffer_load_dword v222, off, s[0:3], 0 offset:944
	;; [unrolled: 1-line block ×4, first 2 shown]
	v_fma_f64 v[4:5], v[54:55], v[0:1], -v[56:57]
	ds_read_b128 v[54:57], v184 offset:1728
	ds_read_b128 v[18:21], v184 offset:1744
	s_waitcnt lgkmcnt(3)
	v_mul_f64 v[12:13], v[46:47], v[144:145]
	v_fmac_f64_e32 v[12:13], v[48:49], v[148:149]
	v_add_f64 v[2:3], v[2:3], v[12:13]
	s_waitcnt vmcnt(50) lgkmcnt(2)
	v_mul_f64 v[12:13], v[50:51], v[170:171]
	s_waitcnt vmcnt(48)
	v_fmac_f64_e32 v[12:13], v[52:53], v[172:173]
	v_add_f64 v[2:3], v[2:3], v[12:13]
	s_waitcnt lgkmcnt(1)
	v_mul_f64 v[12:13], v[54:55], v[152:153]
	v_mul_f64 v[16:17], v[64:65], v[94:95]
	v_fmac_f64_e32 v[12:13], v[56:57], v[156:157]
	v_fma_f64 v[16:17], v[62:63], v[98:99], -v[16:17]
	ds_read_b128 v[62:65], v184 offset:1760
	v_add_f64 v[2:3], v[2:3], v[12:13]
	v_mul_f64 v[74:75], v[230:231], v[100:101]
	v_mul_f64 v[94:95], v[238:239], v[110:111]
	v_fma_f64 v[0:1], v[236:237], v[112:113], -v[94:95]
	ds_read_b128 v[94:97], v184 offset:1888
	ds_read_b128 v[98:101], v184 offset:1904
	s_waitcnt vmcnt(46) lgkmcnt(3)
	v_mul_f64 v[66:67], v[18:19], v[174:175]
	s_waitcnt vmcnt(44)
	v_fmac_f64_e32 v[66:67], v[20:21], v[178:179]
	v_add_f64 v[2:3], v[2:3], v[66:67]
	v_mul_f64 v[66:67], v[226:227], v[104:105]
	v_fma_f64 v[248:249], v[224:225], v[248:249], -v[66:67]
	ds_read_b128 v[66:69], v184 offset:1776
	s_waitcnt vmcnt(41) lgkmcnt(3)
	v_mul_f64 v[70:71], v[62:63], v[176:177]
	s_waitcnt vmcnt(40)
	v_fmac_f64_e32 v[70:71], v[64:65], v[180:181]
	v_add_f64 v[2:3], v[2:3], v[70:71]
	ds_read_b128 v[70:73], v184 offset:1792
	s_waitcnt vmcnt(38) lgkmcnt(1)
	v_mul_f64 v[78:79], v[66:67], v[186:187]
	v_fma_f64 v[224:225], v[228:229], v[102:103], -v[74:75]
	ds_read_b128 v[74:77], v184 offset:1808
	s_waitcnt vmcnt(36)
	v_fmac_f64_e32 v[78:79], v[68:69], v[190:191]
	v_add_f64 v[2:3], v[2:3], v[78:79]
	v_mul_f64 v[78:79], v[234:235], v[250:251]
	v_fma_f64 v[232:233], v[232:233], v[252:253], -v[78:79]
	ds_read_b128 v[78:81], v184 offset:1824
	ds_read_b128 v[234:237], v184 offset:1856
	s_waitcnt vmcnt(34) lgkmcnt(3)
	v_mul_f64 v[82:83], v[70:71], v[188:189]
	s_waitcnt vmcnt(32)
	v_fmac_f64_e32 v[82:83], v[72:73], v[192:193]
	v_add_f64 v[2:3], v[2:3], v[82:83]
	s_waitcnt vmcnt(29) lgkmcnt(2)
	v_mul_f64 v[82:83], v[74:75], v[196:197]
	s_waitcnt vmcnt(27)
	v_fmac_f64_e32 v[82:83], v[76:77], v[198:199]
	v_add_f64 v[2:3], v[2:3], v[82:83]
	;; [unrolled: 5-line block ×3, first 2 shown]
	ds_read_b128 v[82:85], v184 offset:1840
	ds_read_b128 v[102:105], v184 offset:1920
	s_waitcnt vmcnt(22) lgkmcnt(1)
	v_mul_f64 v[12:13], v[82:83], v[200:201]
	s_waitcnt vmcnt(20)
	v_fmac_f64_e32 v[12:13], v[84:85], v[202:203]
	v_add_f64 v[2:3], v[2:3], v[12:13]
	v_mul_f64 v[12:13], v[242:243], v[254:255]
	v_fma_f64 v[250:251], v[240:241], v[86:87], -v[12:13]
	ds_read_b128 v[238:241], v184 offset:1872
	s_waitcnt vmcnt(17)
	v_mul_f64 v[12:13], v[234:235], v[206:207]
	s_waitcnt vmcnt(16)
	v_fmac_f64_e32 v[12:13], v[236:237], v[208:209]
	v_add_f64 v[2:3], v[2:3], v[12:13]
	v_mul_f64 v[12:13], v[246:247], v[106:107]
	v_fma_f64 v[252:253], v[244:245], v[108:109], -v[12:13]
	s_waitcnt vmcnt(13) lgkmcnt(0)
	v_mul_f64 v[12:13], v[238:239], v[210:211]
	s_waitcnt vmcnt(11)
	v_fmac_f64_e32 v[12:13], v[240:241], v[216:217]
	v_add_f64 v[2:3], v[2:3], v[12:13]
	s_waitcnt vmcnt(10)
	v_mul_f64 v[12:13], v[94:95], v[204:205]
	s_waitcnt vmcnt(8)
	v_fmac_f64_e32 v[12:13], v[96:97], v[214:215]
	v_add_f64 v[2:3], v[2:3], v[12:13]
	s_waitcnt vmcnt(6)
	;; [unrolled: 5-line block ×3, first 2 shown]
	v_mul_f64 v[12:13], v[102:103], v[220:221]
	s_waitcnt vmcnt(0)
	v_fmac_f64_e32 v[12:13], v[104:105], v[222:223]
	v_add_f64 v[12:13], v[2:3], v[12:13]
	buffer_load_dword v3, off, s[0:3], 0 offset:972
	buffer_load_dword v2, off, s[0:3], 0 offset:968
	buffer_load_dword v227, off, s[0:3], 0 offset:964
	buffer_load_dword v226, off, s[0:3], 0 offset:960
	ds_read_b128 v[106:109], v184 offset:1936
	buffer_load_dword v228, off, s[0:3], 0 offset:984
	buffer_load_dword v229, off, s[0:3], 0 offset:988
	buffer_load_dword v230, off, s[0:3], 0 offset:976
	buffer_load_dword v231, off, s[0:3], 0 offset:980
	ds_read_b128 v[110:113], v184 offset:1952
	;; [unrolled: 5-line block ×3, first 2 shown]
	s_waitcnt vmcnt(10) lgkmcnt(2)
	v_mul_f64 v[86:87], v[106:107], v[2:3]
	v_mul_f64 v[2:3], v[108:109], v[2:3]
	s_waitcnt vmcnt(8)
	v_fmac_f64_e32 v[86:87], v[108:109], v[226:227]
	v_add_f64 v[12:13], v[12:13], v[86:87]
	s_waitcnt vmcnt(6) lgkmcnt(1)
	v_mul_f64 v[86:87], v[110:111], v[228:229]
	s_waitcnt vmcnt(4)
	v_fmac_f64_e32 v[86:87], v[112:113], v[230:231]
	v_add_f64 v[12:13], v[12:13], v[86:87]
	s_waitcnt vmcnt(2) lgkmcnt(0)
	v_mul_f64 v[86:87], v[114:115], v[242:243]
	s_waitcnt vmcnt(0)
	v_fmac_f64_e32 v[86:87], v[116:117], v[244:245]
	v_add_f64 v[86:87], v[12:13], v[86:87]
	v_add_f64 v[12:13], v[14:15], 0
	;; [unrolled: 1-line block ×13, first 2 shown]
	buffer_load_dword v248, off, s[0:3], 0 offset:256
	buffer_load_dword v249, off, s[0:3], 0 offset:260
	;; [unrolled: 1-line block ×4, first 2 shown]
	v_add_f64 v[4:5], v[4:5], v[224:225]
	v_add_f64 v[4:5], v[4:5], v[232:233]
	;; [unrolled: 1-line block ×3, first 2 shown]
	v_accvgpr_read_b32 v4, a188
	v_accvgpr_read_b32 v5, a189
	v_add_f64 v[0:1], v[254:255], v[250:251]
	v_mul_f64 v[4:5], v[136:137], v[4:5]
	v_add_f64 v[0:1], v[0:1], v[252:253]
	v_fma_f64 v[4:5], v[134:135], v[138:139], -v[4:5]
	v_add_f64 v[0:1], v[0:1], v[4:5]
	v_accvgpr_read_b32 v4, a190
	v_accvgpr_read_b32 v5, a191
	v_accvgpr_read_b32 v6, a192
	v_mul_f64 v[4:5], v[132:133], v[4:5]
	v_accvgpr_read_b32 v7, a193
	v_fma_f64 v[4:5], v[130:131], v[6:7], -v[4:5]
	v_add_f64 v[0:1], v[0:1], v[4:5]
	v_mul_f64 v[4:5], v[128:129], v[142:143]
	v_fma_f64 v[4:5], v[126:127], v[146:147], -v[4:5]
	v_add_f64 v[0:1], v[0:1], v[4:5]
	v_accvgpr_read_b32 v4, a194
	v_accvgpr_read_b32 v5, a195
	v_accvgpr_read_b32 v6, a196
	v_mul_f64 v[4:5], v[124:125], v[4:5]
	v_accvgpr_read_b32 v7, a197
	v_fma_f64 v[4:5], v[122:123], v[6:7], -v[4:5]
	v_add_f64 v[0:1], v[0:1], v[4:5]
	v_mul_f64 v[4:5], v[120:121], v[150:151]
	;; [unrolled: 10-line block ×4, first 2 shown]
	v_fma_f64 v[4:5], v[34:35], v[164:165], -v[4:5]
	v_add_f64 v[0:1], v[0:1], v[4:5]
	v_accvgpr_read_b32 v4, a206
	v_accvgpr_read_b32 v5, a207
	v_mul_f64 v[4:5], v[40:41], v[4:5]
	v_fma_f64 v[4:5], v[38:39], v[140:141], -v[4:5]
	v_add_f64 v[0:1], v[0:1], v[4:5]
	v_mul_f64 v[4:5], v[44:45], v[166:167]
	v_fma_f64 v[4:5], v[42:43], v[168:169], -v[4:5]
	v_add_f64 v[0:1], v[0:1], v[4:5]
	;; [unrolled: 3-line block ×17, first 2 shown]
	v_fma_f64 v[2:3], v[106:107], v[226:227], -v[2:3]
	v_add_f64 v[0:1], v[0:1], v[2:3]
	v_mul_f64 v[2:3], v[112:113], v[228:229]
	v_fma_f64 v[2:3], v[110:111], v[230:231], -v[2:3]
	v_add_f64 v[0:1], v[0:1], v[2:3]
	v_mul_f64 v[2:3], v[116:117], v[242:243]
	v_fma_f64 v[2:3], v[114:115], v[244:245], -v[2:3]
	v_add_f64 v[0:1], v[0:1], v[2:3]
	s_waitcnt vmcnt(2)
	v_add_f64 v[0:1], v[248:249], -v[0:1]
	s_waitcnt vmcnt(0)
	v_add_f64 v[2:3], v[246:247], -v[86:87]
	buffer_store_dword v1, off, s[0:3], 0 offset:260
	buffer_store_dword v0, off, s[0:3], 0 offset:256
	;; [unrolled: 1-line block ×4, first 2 shown]
	s_and_saveexec_b64 s[4:5], vcc
	s_cbranch_execz .LBB125_369
; %bb.368:
	v_accvgpr_read_b32 v3, a171
	buffer_load_dword v0, v3, s[0:3], 0 offen
	buffer_load_dword v1, v3, s[0:3], 0 offen offset:4
	buffer_load_dword v2, v3, s[0:3], 0 offen offset:8
	s_nop 0
	buffer_load_dword v3, v3, s[0:3], 0 offen offset:12
	v_mov_b32_e32 v4, 0
	v_accvgpr_read_b32 v5, a186
	buffer_store_dword v4, off, s[0:3], 0 offset:240
	buffer_store_dword v4, off, s[0:3], 0 offset:244
	;; [unrolled: 1-line block ×4, first 2 shown]
	s_waitcnt vmcnt(4)
	ds_write_b128 v5, v[0:3]
.LBB125_369:
	s_or_b64 exec, exec, s[4:5]
	s_waitcnt lgkmcnt(0)
	; wave barrier
	s_waitcnt lgkmcnt(0)
	buffer_load_dword v48, off, s[0:3], 0 offset:256
	buffer_load_dword v49, off, s[0:3], 0 offset:260
	;; [unrolled: 1-line block ×42, first 2 shown]
	v_mov_b32_e32 v184, 0
	buffer_load_dword v99, off, s[0:3], 0 offset:404
	buffer_load_dword v98, off, s[0:3], 0 offset:400
	;; [unrolled: 1-line block ×7, first 2 shown]
	ds_read_b128 v[112:115], v184 offset:1232
	ds_read_b128 v[170:173], v184 offset:1248
	;; [unrolled: 1-line block ×11, first 2 shown]
	v_cmp_lt_u32_e32 vcc, 13, v185
	s_waitcnt vmcnt(45) lgkmcnt(10)
	v_mul_f64 v[0:1], v[112:113], v[52:53]
	v_fmac_f64_e32 v[0:1], v[114:115], v[48:49]
	v_add_f64 v[0:1], v[0:1], 0
	s_waitcnt vmcnt(41) lgkmcnt(9)
	v_mul_f64 v[2:3], v[170:171], v[54:55]
	v_fmac_f64_e32 v[2:3], v[172:173], v[50:51]
	s_waitcnt vmcnt(39) lgkmcnt(8)
	v_mul_f64 v[4:5], v[178:179], v[46:47]
	v_add_f64 v[0:1], v[0:1], v[2:3]
	s_waitcnt vmcnt(37) lgkmcnt(6)
	v_mul_f64 v[8:9], v[190:191], v[62:63]
	v_mul_f64 v[46:47], v[180:181], v[46:47]
	s_waitcnt vmcnt(35)
	v_fmac_f64_e32 v[8:9], v[192:193], v[56:57]
	s_waitcnt vmcnt(33)
	v_mul_f64 v[6:7], v[186:187], v[64:65]
	s_waitcnt vmcnt(31) lgkmcnt(4)
	v_mul_f64 v[12:13], v[200:201], v[66:67]
	s_waitcnt vmcnt(29)
	v_fmac_f64_e32 v[12:13], v[202:203], v[68:69]
	s_waitcnt vmcnt(27)
	v_mul_f64 v[10:11], v[196:197], v[70:71]
	s_waitcnt vmcnt(25) lgkmcnt(2)
	v_mul_f64 v[16:17], v[214:215], v[76:77]
	s_waitcnt vmcnt(22)
	v_mul_f64 v[14:15], v[204:205], v[78:79]
	s_waitcnt vmcnt(20) lgkmcnt(1)
	v_mul_f64 v[18:19], v[220:221], v[72:73]
	s_waitcnt vmcnt(18)
	v_fmac_f64_e32 v[4:5], v[180:181], v[90:91]
	v_add_f64 v[0:1], v[0:1], v[4:5]
	s_waitcnt vmcnt(16)
	v_fmac_f64_e32 v[6:7], v[188:189], v[88:89]
	v_add_f64 v[0:1], v[0:1], v[6:7]
	;; [unrolled: 3-line block ×3, first 2 shown]
	v_add_f64 v[0:1], v[0:1], v[10:11]
	s_waitcnt vmcnt(12)
	v_fmac_f64_e32 v[14:15], v[206:207], v[80:81]
	v_add_f64 v[0:1], v[0:1], v[12:13]
	s_waitcnt vmcnt(11)
	v_fmac_f64_e32 v[16:17], v[216:217], v[74:75]
	v_add_f64 v[0:1], v[0:1], v[14:15]
	v_add_f64 v[2:3], v[0:1], v[16:17]
	buffer_load_dword v96, off, s[0:3], 0 offset:440
	buffer_load_dword v117, off, s[0:3], 0 offset:436
	;; [unrolled: 1-line block ×21, first 2 shown]
	s_waitcnt vmcnt(26)
	v_fmac_f64_e32 v[18:19], v[222:223], v[98:99]
	v_add_f64 v[2:3], v[2:3], v[18:19]
	v_fma_f64 v[90:91], v[178:179], v[90:91], -v[46:47]
	v_mul_f64 v[46:47], v[188:189], v[64:65]
	v_fma_f64 v[88:89], v[186:187], v[88:89], -v[46:47]
	v_mul_f64 v[46:47], v[192:193], v[62:63]
	s_waitcnt vmcnt(0)
	v_pk_mov_b32 v[8:9], v[4:5], v[4:5] op_sel:[0,1]
	buffer_load_dword v5, off, s[0:3], 0 offset:548
	buffer_load_dword v4, off, s[0:3], 0 offset:544
	v_accvgpr_write_b32 a189, v9
	v_accvgpr_write_b32 a188, v8
	s_waitcnt vmcnt(0)
	v_pk_mov_b32 v[12:13], v[4:5], v[4:5] op_sel:[0,1]
	buffer_load_dword v105, off, s[0:3], 0 offset:540
	buffer_load_dword v104, off, s[0:3], 0 offset:536
	buffer_load_dword v107, off, s[0:3], 0 offset:532
	buffer_load_dword v106, off, s[0:3], 0 offset:528
	buffer_load_dword v5, off, s[0:3], 0 offset:588
	buffer_load_dword v4, off, s[0:3], 0 offset:584
	v_accvgpr_write_b32 a191, v13
	v_accvgpr_write_b32 a190, v12
	s_waitcnt vmcnt(0)
	v_pk_mov_b32 v[16:17], v[4:5], v[4:5] op_sel:[0,1]
	buffer_load_dword v5, off, s[0:3], 0 offset:580
	buffer_load_dword v4, off, s[0:3], 0 offset:576
	v_accvgpr_write_b32 a193, v17
	v_accvgpr_write_b32 a192, v16
	s_waitcnt vmcnt(0)
	v_pk_mov_b32 v[22:23], v[4:5], v[4:5] op_sel:[0,1]
	buffer_load_dword v139, off, s[0:3], 0 offset:572
	buffer_load_dword v138, off, s[0:3], 0 offset:568
	buffer_load_dword v143, off, s[0:3], 0 offset:564
	buffer_load_dword v142, off, s[0:3], 0 offset:560
	buffer_load_dword v5, off, s[0:3], 0 offset:620
	buffer_load_dword v4, off, s[0:3], 0 offset:616
	v_accvgpr_write_b32 a195, v23
	v_accvgpr_write_b32 a194, v22
	;; [unrolled: 16-line block ×3, first 2 shown]
	s_waitcnt vmcnt(0)
	v_pk_mov_b32 v[36:37], v[4:5], v[4:5] op_sel:[0,1]
	buffer_load_dword v5, off, s[0:3], 0 offset:644
	buffer_load_dword v4, off, s[0:3], 0 offset:640
	;; [unrolled: 1-line block ×30, first 2 shown]
	ds_read_b128 v[224:227], v184 offset:1408
	ds_read_b128 v[228:231], v184 offset:1424
	;; [unrolled: 1-line block ×12, first 2 shown]
	s_waitcnt lgkmcnt(4)
	v_mul_f64 v[10:11], v[118:119], v[8:9]
	v_fmac_f64_e32 v[10:11], v[120:121], v[12:13]
	s_waitcnt lgkmcnt(3)
	v_mul_f64 v[14:15], v[122:123], v[138:139]
	v_fmac_f64_e32 v[14:15], v[124:125], v[142:143]
	;; [unrolled: 3-line block ×5, first 2 shown]
	v_accvgpr_write_b32 a201, v37
	v_accvgpr_write_b32 a200, v36
	s_waitcnt vmcnt(28)
	v_accvgpr_write_b32 a203, v5
	v_accvgpr_write_b32 a202, v4
	s_waitcnt vmcnt(20)
	v_pk_mov_b32 v[44:45], v[6:7], v[6:7] op_sel:[0,1]
	v_mul_f64 v[6:7], v[58:59], v[84:85]
	v_fmac_f64_e32 v[6:7], v[60:61], v[86:87]
	v_add_f64 v[2:3], v[2:3], v[6:7]
	v_mul_f64 v[6:7], v[224:225], v[96:97]
	v_fmac_f64_e32 v[6:7], v[226:227], v[116:117]
	v_add_f64 v[2:3], v[2:3], v[6:7]
	;; [unrolled: 3-line block ×8, first 2 shown]
	v_add_f64 v[2:3], v[2:3], v[10:11]
	v_add_f64 v[2:3], v[2:3], v[14:15]
	;; [unrolled: 1-line block ×4, first 2 shown]
	ds_read_b128 v[22:25], v184 offset:1600
	v_add_f64 v[2:3], v[2:3], v[26:27]
	ds_read_b128 v[26:29], v184 offset:1616
	v_accvgpr_write_b32 a205, v45
	v_mul_f64 v[6:7], v[172:173], v[54:55]
	s_waitcnt lgkmcnt(1)
	v_mul_f64 v[30:31], v[22:23], v[154:155]
	v_fmac_f64_e32 v[30:31], v[24:25], v[156:157]
	s_waitcnt lgkmcnt(0)
	v_mul_f64 v[34:35], v[26:27], v[36:37]
	v_add_f64 v[2:3], v[2:3], v[30:31]
	ds_read_b128 v[30:33], v184 offset:1632
	v_fmac_f64_e32 v[34:35], v[28:29], v[4:5]
	v_add_f64 v[2:3], v[2:3], v[34:35]
	ds_read_b128 v[34:37], v184 offset:1648
	v_mul_f64 v[4:5], v[114:115], v[52:53]
	s_waitcnt vmcnt(18) lgkmcnt(1)
	v_mul_f64 v[38:39], v[30:31], v[158:159]
	s_waitcnt vmcnt(16)
	v_fmac_f64_e32 v[38:39], v[32:33], v[160:161]
	v_add_f64 v[2:3], v[2:3], v[38:39]
	s_waitcnt lgkmcnt(0)
	v_mul_f64 v[42:43], v[34:35], v[20:21]
	v_fmac_f64_e32 v[42:43], v[36:37], v[44:45]
	ds_read_b128 v[38:41], v184 offset:1664
	v_accvgpr_write_b32 a204, v44
	v_add_f64 v[2:3], v[2:3], v[42:43]
	ds_read_b128 v[42:45], v184 offset:1680
	v_fma_f64 v[16:17], v[112:113], v[48:49], -v[4:5]
	v_fma_f64 v[112:113], v[170:171], v[50:51], -v[6:7]
	buffer_load_dword v171, off, s[0:3], 0 offset:764
	buffer_load_dword v170, off, s[0:3], 0 offset:760
	;; [unrolled: 1-line block ×16, first 2 shown]
	v_fma_f64 v[14:15], v[190:191], v[56:57], -v[46:47]
	buffer_load_dword v180, off, s[0:3], 0 offset:840
	buffer_load_dword v193, off, s[0:3], 0 offset:828
	;; [unrolled: 1-line block ×8, first 2 shown]
	v_mul_f64 v[50:51], v[198:199], v[70:71]
	ds_read_b128 v[46:49], v184 offset:1696
	v_fma_f64 v[12:13], v[196:197], v[82:83], -v[50:51]
	buffer_load_dword v197, off, s[0:3], 0 offset:860
	buffer_load_dword v196, off, s[0:3], 0 offset:856
	;; [unrolled: 1-line block ×4, first 2 shown]
	v_mul_f64 v[50:51], v[202:203], v[66:67]
	v_fma_f64 v[10:11], v[200:201], v[68:69], -v[50:51]
	buffer_load_dword v200, off, s[0:3], 0 offset:872
	buffer_load_dword v202, off, s[0:3], 0 offset:864
	;; [unrolled: 1-line block ×4, first 2 shown]
	v_mul_f64 v[50:51], v[206:207], v[78:79]
	buffer_load_dword v207, off, s[0:3], 0 offset:892
	buffer_load_dword v206, off, s[0:3], 0 offset:888
	;; [unrolled: 1-line block ×8, first 2 shown]
	s_waitcnt vmcnt(50) lgkmcnt(2)
	v_mul_f64 v[52:53], v[38:39], v[162:163]
	v_fma_f64 v[8:9], v[204:205], v[80:81], -v[50:51]
	v_mul_f64 v[50:51], v[216:217], v[76:77]
	s_waitcnt vmcnt(48)
	v_fmac_f64_e32 v[52:53], v[40:41], v[164:165]
	v_fma_f64 v[6:7], v[214:215], v[74:75], -v[50:51]
	v_mul_f64 v[50:51], v[222:223], v[72:73]
	buffer_load_dword v204, off, s[0:3], 0 offset:936
	buffer_load_dword v217, off, s[0:3], 0 offset:924
	;; [unrolled: 1-line block ×8, first 2 shown]
	v_add_f64 v[2:3], v[2:3], v[52:53]
	v_fma_f64 v[220:221], v[220:221], v[98:99], -v[50:51]
	ds_read_b128 v[50:53], v184 offset:1712
	s_waitcnt lgkmcnt(2)
	v_mul_f64 v[54:55], v[42:43], v[140:141]
	v_fmac_f64_e32 v[54:55], v[44:45], v[144:145]
	v_add_f64 v[2:3], v[2:3], v[54:55]
	s_waitcnt vmcnt(50) lgkmcnt(1)
	v_mul_f64 v[54:55], v[46:47], v[166:167]
	s_waitcnt vmcnt(48)
	v_fmac_f64_e32 v[54:55], v[48:49], v[168:169]
	v_mul_f64 v[60:61], v[60:61], v[84:85]
	v_add_f64 v[2:3], v[2:3], v[54:55]
	v_fma_f64 v[86:87], v[58:59], v[86:87], -v[60:61]
	ds_read_b128 v[58:61], v184 offset:1744
	s_waitcnt lgkmcnt(1)
	v_mul_f64 v[54:55], v[50:51], v[148:149]
	v_fmac_f64_e32 v[54:55], v[52:53], v[152:153]
	v_add_f64 v[2:3], v[2:3], v[54:55]
	ds_read_b128 v[54:57], v184 offset:1728
	v_mul_f64 v[70:71], v[230:231], v[92:93]
	v_fma_f64 v[92:93], v[228:229], v[94:95], -v[70:71]
	ds_read_b128 v[70:73], v184 offset:1792
	v_mul_f64 v[82:83], v[238:239], v[108:109]
	s_waitcnt vmcnt(46) lgkmcnt(1)
	v_mul_f64 v[62:63], v[54:55], v[170:171]
	s_waitcnt vmcnt(44)
	v_fmac_f64_e32 v[62:63], v[56:57], v[176:177]
	v_add_f64 v[2:3], v[2:3], v[62:63]
	v_mul_f64 v[62:63], v[226:227], v[96:97]
	v_fma_f64 v[222:223], v[224:225], v[116:117], -v[62:63]
	ds_read_b128 v[62:65], v184 offset:1760
	s_waitcnt vmcnt(41)
	v_mul_f64 v[66:67], v[58:59], v[172:173]
	s_waitcnt vmcnt(40)
	v_fmac_f64_e32 v[66:67], v[60:61], v[18:19]
	v_add_f64 v[2:3], v[2:3], v[66:67]
	ds_read_b128 v[66:69], v184 offset:1776
	s_waitcnt vmcnt(37) lgkmcnt(1)
	v_mul_f64 v[74:75], v[62:63], v[182:183]
	s_waitcnt vmcnt(35)
	v_fmac_f64_e32 v[74:75], v[64:65], v[186:187]
	v_add_f64 v[2:3], v[2:3], v[74:75]
	v_mul_f64 v[74:75], v[234:235], v[252:253]
	v_fma_f64 v[252:253], v[232:233], v[254:255], -v[74:75]
	ds_read_b128 v[74:77], v184 offset:1808
	s_waitcnt vmcnt(34) lgkmcnt(1)
	v_mul_f64 v[78:79], v[66:67], v[178:179]
	s_waitcnt vmcnt(32)
	v_fmac_f64_e32 v[78:79], v[68:69], v[188:189]
	v_add_f64 v[2:3], v[2:3], v[78:79]
	s_waitcnt vmcnt(29)
	v_mul_f64 v[78:79], v[70:71], v[192:193]
	s_waitcnt vmcnt(27)
	v_fmac_f64_e32 v[78:79], v[72:73], v[194:195]
	v_add_f64 v[2:3], v[2:3], v[78:79]
	v_fma_f64 v[254:255], v[236:237], v[110:111], -v[82:83]
	ds_read_b128 v[82:85], v184 offset:1840
	s_waitcnt vmcnt(25) lgkmcnt(1)
	v_mul_f64 v[78:79], v[74:75], v[180:181]
	s_waitcnt vmcnt(24)
	v_fmac_f64_e32 v[78:79], v[76:77], v[190:191]
	v_add_f64 v[2:3], v[2:3], v[78:79]
	ds_read_b128 v[78:81], v184 offset:1824
	ds_read_b128 v[234:237], v184 offset:1872
	s_waitcnt vmcnt(22) lgkmcnt(1)
	v_mul_f64 v[94:95], v[78:79], v[196:197]
	s_waitcnt vmcnt(20)
	v_fmac_f64_e32 v[94:95], v[80:81], v[198:199]
	v_add_f64 v[2:3], v[2:3], v[94:95]
	v_mul_f64 v[94:95], v[242:243], v[174:175]
	v_fma_f64 v[4:5], v[240:241], v[0:1], -v[94:95]
	ds_read_b128 v[238:241], v184 offset:1856
	s_waitcnt vmcnt(17)
	v_mul_f64 v[94:95], v[82:83], v[200:201]
	s_waitcnt vmcnt(16)
	v_fmac_f64_e32 v[94:95], v[84:85], v[202:203]
	v_add_f64 v[2:3], v[2:3], v[94:95]
	v_mul_f64 v[94:95], v[246:247], v[100:101]
	v_fma_f64 v[0:1], v[244:245], v[102:103], -v[94:95]
	ds_read_b128 v[94:97], v184 offset:1888
	s_waitcnt vmcnt(14) lgkmcnt(1)
	v_mul_f64 v[98:99], v[238:239], v[206:207]
	s_waitcnt vmcnt(12)
	v_fmac_f64_e32 v[98:99], v[240:241], v[210:211]
	v_add_f64 v[2:3], v[2:3], v[98:99]
	v_mul_f64 v[98:99], v[250:251], v[104:105]
	v_fma_f64 v[250:251], v[248:249], v[106:107], -v[98:99]
	ds_read_b128 v[98:101], v184 offset:1904
	buffer_load_dword v175, off, s[0:3], 0 offset:956
	buffer_load_dword v174, off, s[0:3], 0 offset:952
	;; [unrolled: 1-line block ×4, first 2 shown]
	s_waitcnt vmcnt(14)
	v_mul_f64 v[102:103], v[234:235], v[208:209]
	s_waitcnt vmcnt(12)
	v_fmac_f64_e32 v[102:103], v[236:237], v[212:213]
	v_add_f64 v[2:3], v[2:3], v[102:103]
	s_waitcnt vmcnt(9) lgkmcnt(1)
	v_mul_f64 v[102:103], v[94:95], v[216:217]
	s_waitcnt vmcnt(7)
	v_fmac_f64_e32 v[102:103], v[96:97], v[218:219]
	v_add_f64 v[2:3], v[2:3], v[102:103]
	s_waitcnt vmcnt(5) lgkmcnt(0)
	v_mul_f64 v[102:103], v[98:99], v[204:205]
	s_waitcnt vmcnt(4)
	v_fmac_f64_e32 v[102:103], v[100:101], v[214:215]
	v_add_f64 v[2:3], v[2:3], v[102:103]
	ds_read_b128 v[102:105], v184 offset:1920
	buffer_load_dword v224, off, s[0:3], 0 offset:968
	buffer_load_dword v225, off, s[0:3], 0 offset:972
	;; [unrolled: 1-line block ×4, first 2 shown]
	s_waitcnt vmcnt(6) lgkmcnt(0)
	v_mul_f64 v[106:107], v[102:103], v[174:175]
	s_waitcnt vmcnt(4)
	v_fmac_f64_e32 v[106:107], v[104:105], v[110:111]
	v_add_f64 v[2:3], v[2:3], v[106:107]
	ds_read_b128 v[106:109], v184 offset:1936
	buffer_load_dword v229, off, s[0:3], 0 offset:988
	buffer_load_dword v228, off, s[0:3], 0 offset:984
	;; [unrolled: 1-line block ×4, first 2 shown]
	ds_read_b128 v[246:249], v184 offset:1952
	buffer_load_dword v242, off, s[0:3], 0 offset:1000
	buffer_load_dword v243, off, s[0:3], 0 offset:1004
	;; [unrolled: 1-line block ×4, first 2 shown]
	s_waitcnt vmcnt(10) lgkmcnt(1)
	v_mul_f64 v[114:115], v[106:107], v[224:225]
	s_waitcnt vmcnt(8)
	v_fmac_f64_e32 v[114:115], v[108:109], v[226:227]
	v_add_f64 v[2:3], v[2:3], v[114:115]
	s_waitcnt vmcnt(6) lgkmcnt(0)
	v_mul_f64 v[114:115], v[246:247], v[228:229]
	s_waitcnt vmcnt(4)
	v_fmac_f64_e32 v[114:115], v[248:249], v[230:231]
	v_add_f64 v[2:3], v[2:3], v[114:115]
	ds_read_b128 v[114:117], v184 offset:1968
	s_waitcnt vmcnt(2) lgkmcnt(0)
	v_mul_f64 v[232:233], v[114:115], v[242:243]
	s_waitcnt vmcnt(0)
	v_fmac_f64_e32 v[232:233], v[116:117], v[244:245]
	v_add_f64 v[232:233], v[2:3], v[232:233]
	v_add_f64 v[2:3], v[16:17], 0
	;; [unrolled: 1-line block ×17, first 2 shown]
	buffer_load_dword v2, off, s[0:3], 0 offset:240
	buffer_load_dword v3, off, s[0:3], 0 offset:244
	v_add_f64 v[252:253], v[4:5], v[0:1]
	buffer_load_dword v0, off, s[0:3], 0 offset:248
	buffer_load_dword v1, off, s[0:3], 0 offset:252
	v_accvgpr_read_b32 v6, a188
	v_accvgpr_read_b32 v7, a189
	;; [unrolled: 1-line block ×3, first 2 shown]
	v_mul_f64 v[6:7], v[120:121], v[6:7]
	v_accvgpr_read_b32 v9, a191
	v_add_f64 v[4:5], v[252:253], v[250:251]
	v_fma_f64 v[6:7], v[118:119], v[8:9], -v[6:7]
	v_add_f64 v[4:5], v[4:5], v[6:7]
	v_mul_f64 v[6:7], v[124:125], v[138:139]
	v_fma_f64 v[6:7], v[122:123], v[142:143], -v[6:7]
	v_add_f64 v[4:5], v[4:5], v[6:7]
	v_accvgpr_read_b32 v6, a192
	v_accvgpr_read_b32 v7, a193
	v_accvgpr_read_b32 v8, a194
	v_mul_f64 v[6:7], v[128:129], v[6:7]
	v_accvgpr_read_b32 v9, a195
	v_fma_f64 v[6:7], v[126:127], v[8:9], -v[6:7]
	v_add_f64 v[4:5], v[4:5], v[6:7]
	v_mul_f64 v[6:7], v[132:133], v[146:147]
	v_fma_f64 v[6:7], v[130:131], v[150:151], -v[6:7]
	v_add_f64 v[4:5], v[4:5], v[6:7]
	v_accvgpr_read_b32 v6, a196
	v_accvgpr_read_b32 v7, a197
	v_accvgpr_read_b32 v8, a198
	v_mul_f64 v[6:7], v[136:137], v[6:7]
	v_accvgpr_read_b32 v9, a199
	;; [unrolled: 10-line block ×3, first 2 shown]
	v_fma_f64 v[6:7], v[26:27], v[8:9], -v[6:7]
	v_add_f64 v[4:5], v[4:5], v[6:7]
	v_mul_f64 v[6:7], v[32:33], v[158:159]
	v_fma_f64 v[6:7], v[30:31], v[160:161], -v[6:7]
	v_accvgpr_read_b32 v8, a204
	v_add_f64 v[4:5], v[4:5], v[6:7]
	v_mul_f64 v[6:7], v[36:37], v[20:21]
	v_accvgpr_read_b32 v9, a205
	v_fma_f64 v[6:7], v[34:35], v[8:9], -v[6:7]
	v_add_f64 v[4:5], v[4:5], v[6:7]
	v_mul_f64 v[6:7], v[40:41], v[162:163]
	v_fma_f64 v[6:7], v[38:39], v[164:165], -v[6:7]
	v_add_f64 v[4:5], v[4:5], v[6:7]
	v_mul_f64 v[6:7], v[44:45], v[140:141]
	;; [unrolled: 3-line block ×20, first 2 shown]
	v_fma_f64 v[6:7], v[114:115], v[244:245], -v[6:7]
	v_add_f64 v[4:5], v[4:5], v[6:7]
	s_waitcnt vmcnt(2)
	v_add_f64 v[2:3], v[2:3], -v[4:5]
	s_waitcnt vmcnt(0)
	v_add_f64 v[0:1], v[0:1], -v[232:233]
	buffer_store_dword v3, off, s[0:3], 0 offset:244
	buffer_store_dword v2, off, s[0:3], 0 offset:240
	;; [unrolled: 1-line block ×4, first 2 shown]
	s_and_saveexec_b64 s[4:5], vcc
	s_cbranch_execz .LBB125_371
; %bb.370:
	v_accvgpr_read_b32 v3, a172
	buffer_load_dword v0, v3, s[0:3], 0 offen
	buffer_load_dword v1, v3, s[0:3], 0 offen offset:4
	buffer_load_dword v2, v3, s[0:3], 0 offen offset:8
	s_nop 0
	buffer_load_dword v3, v3, s[0:3], 0 offen offset:12
	v_accvgpr_read_b32 v4, a186
	buffer_store_dword v184, off, s[0:3], 0 offset:224
	buffer_store_dword v184, off, s[0:3], 0 offset:228
	;; [unrolled: 1-line block ×4, first 2 shown]
	s_waitcnt vmcnt(4)
	ds_write_b128 v4, v[0:3]
.LBB125_371:
	s_or_b64 exec, exec, s[4:5]
	s_waitcnt lgkmcnt(0)
	; wave barrier
	s_waitcnt lgkmcnt(0)
	buffer_load_dword v42, off, s[0:3], 0 offset:240
	buffer_load_dword v43, off, s[0:3], 0 offset:244
	;; [unrolled: 1-line block ×42, first 2 shown]
	ds_read_b128 v[110:113], v184 offset:1216
	ds_read_b128 v[114:117], v184 offset:1232
	;; [unrolled: 1-line block ×10, first 2 shown]
	buffer_load_dword v1, off, s[0:3], 0 offset:388
	buffer_load_dword v0, off, s[0:3], 0 offset:384
	ds_read_b128 v[50:53], v184 offset:1376
	buffer_load_dword v89, off, s[0:3], 0 offset:444
	buffer_load_dword v88, off, s[0:3], 0 offset:440
	;; [unrolled: 1-line block ×8, first 2 shown]
	s_waitcnt vmcnt(48) lgkmcnt(10)
	v_mul_f64 v[2:3], v[110:111], v[48:49]
	v_fmac_f64_e32 v[2:3], v[112:113], v[42:43]
	v_add_f64 v[2:3], v[2:3], 0
	v_mul_f64 v[48:49], v[112:113], v[48:49]
	s_waitcnt vmcnt(44) lgkmcnt(9)
	v_mul_f64 v[4:5], v[114:115], v[54:55]
	v_fmac_f64_e32 v[4:5], v[116:117], v[44:45]
	s_waitcnt vmcnt(42) lgkmcnt(8)
	v_mul_f64 v[6:7], v[174:175], v[46:47]
	v_add_f64 v[2:3], v[2:3], v[4:5]
	s_waitcnt vmcnt(40) lgkmcnt(6)
	v_mul_f64 v[10:11], v[188:189], v[58:59]
	v_mul_f64 v[46:47], v[176:177], v[46:47]
	s_waitcnt vmcnt(38)
	v_fmac_f64_e32 v[10:11], v[190:191], v[56:57]
	s_waitcnt vmcnt(36)
	v_mul_f64 v[8:9], v[178:179], v[60:61]
	s_waitcnt vmcnt(34) lgkmcnt(4)
	v_mul_f64 v[14:15], v[196:197], v[62:63]
	s_waitcnt vmcnt(32)
	v_fmac_f64_e32 v[14:15], v[198:199], v[64:65]
	s_waitcnt vmcnt(30)
	v_mul_f64 v[12:13], v[192:193], v[66:67]
	s_waitcnt vmcnt(28) lgkmcnt(2)
	v_mul_f64 v[18:19], v[204:205], v[68:69]
	s_waitcnt vmcnt(25)
	v_mul_f64 v[16:17], v[200:201], v[74:75]
	s_waitcnt vmcnt(23) lgkmcnt(1)
	v_mul_f64 v[20:21], v[210:211], v[72:73]
	s_waitcnt vmcnt(21)
	v_fmac_f64_e32 v[6:7], v[176:177], v[82:83]
	v_add_f64 v[2:3], v[2:3], v[6:7]
	s_waitcnt vmcnt(19)
	v_fmac_f64_e32 v[8:9], v[180:181], v[80:81]
	v_add_f64 v[2:3], v[2:3], v[8:9]
	;; [unrolled: 3-line block ×3, first 2 shown]
	v_add_f64 v[2:3], v[2:3], v[12:13]
	s_waitcnt vmcnt(15)
	v_fmac_f64_e32 v[16:17], v[202:203], v[76:77]
	v_add_f64 v[2:3], v[2:3], v[14:15]
	s_waitcnt vmcnt(14)
	v_fmac_f64_e32 v[18:19], v[206:207], v[70:71]
	v_add_f64 v[2:3], v[2:3], v[16:17]
	v_add_f64 v[6:7], v[2:3], v[18:19]
	buffer_load_dword v107, off, s[0:3], 0 offset:476
	buffer_load_dword v106, off, s[0:3], 0 offset:472
	;; [unrolled: 1-line block ×26, first 2 shown]
	s_waitcnt vmcnt(34)
	v_fmac_f64_e32 v[20:21], v[212:213], v[0:1]
	v_add_f64 v[6:7], v[6:7], v[20:21]
	v_fma_f64 v[82:83], v[174:175], v[82:83], -v[46:47]
	v_mul_f64 v[46:47], v[180:181], v[60:61]
	v_fma_f64 v[80:81], v[178:179], v[80:81], -v[46:47]
	v_mul_f64 v[46:47], v[190:191], v[58:59]
	s_waitcnt vmcnt(0)
	v_pk_mov_b32 v[18:19], v[4:5], v[4:5] op_sel:[0,1]
	buffer_load_dword v5, off, s[0:3], 0 offset:564
	buffer_load_dword v9, off, s[0:3], 0 offset:556
	;; [unrolled: 1-line block ×3, first 2 shown]
	v_accvgpr_write_b32 a193, v19
	v_accvgpr_write_b32 a192, v18
	s_waitcnt vmcnt(0)
	v_pk_mov_b32 v[14:15], v[8:9], v[8:9] op_sel:[0,1]
	buffer_load_dword v9, off, s[0:3], 0 offset:548
	buffer_load_dword v8, off, s[0:3], 0 offset:544
	;; [unrolled: 1-line block ×3, first 2 shown]
	v_accvgpr_write_b32 a189, v15
	v_accvgpr_write_b32 a188, v14
	s_waitcnt vmcnt(1)
	v_pk_mov_b32 v[16:17], v[8:9], v[8:9] op_sel:[0,1]
	s_waitcnt vmcnt(0)
	v_pk_mov_b32 v[22:23], v[4:5], v[4:5] op_sel:[0,1]
	buffer_load_dword v5, off, s[0:3], 0 offset:604
	buffer_load_dword v4, off, s[0:3], 0 offset:600
	s_waitcnt lgkmcnt(0)
	v_mul_f64 v[8:9], v[50:51], v[84:85]
	v_fmac_f64_e32 v[8:9], v[52:53], v[86:87]
	v_add_f64 v[6:7], v[6:7], v[8:9]
	v_accvgpr_write_b32 a191, v17
	v_accvgpr_write_b32 a190, v16
	v_accvgpr_write_b32 a195, v23
	v_accvgpr_write_b32 a194, v22
	s_waitcnt vmcnt(0)
	v_pk_mov_b32 v[26:27], v[4:5], v[4:5] op_sel:[0,1]
	buffer_load_dword v5, off, s[0:3], 0 offset:596
	buffer_load_dword v141, off, s[0:3], 0 offset:588
	buffer_load_dword v140, off, s[0:3], 0 offset:584
	buffer_load_dword v145, off, s[0:3], 0 offset:580
	buffer_load_dword v144, off, s[0:3], 0 offset:576
	buffer_load_dword v4, off, s[0:3], 0 offset:592
	v_accvgpr_write_b32 a197, v27
	v_accvgpr_write_b32 a196, v26
	s_waitcnt vmcnt(0)
	v_pk_mov_b32 v[28:29], v[4:5], v[4:5] op_sel:[0,1]
	buffer_load_dword v5, off, s[0:3], 0 offset:636
	buffer_load_dword v4, off, s[0:3], 0 offset:632
	v_accvgpr_write_b32 a199, v29
	v_accvgpr_write_b32 a198, v28
	s_waitcnt vmcnt(0)
	v_pk_mov_b32 v[34:35], v[4:5], v[4:5] op_sel:[0,1]
	buffer_load_dword v5, off, s[0:3], 0 offset:628
	buffer_load_dword v149, off, s[0:3], 0 offset:620
	;; [unrolled: 1-line block ×6, first 2 shown]
	v_accvgpr_write_b32 a201, v35
	v_accvgpr_write_b32 a200, v34
	s_waitcnt vmcnt(0)
	v_pk_mov_b32 v[36:37], v[4:5], v[4:5] op_sel:[0,1]
	buffer_load_dword v5, off, s[0:3], 0 offset:668
	buffer_load_dword v4, off, s[0:3], 0 offset:664
	v_accvgpr_write_b32 a203, v37
	v_accvgpr_write_b32 a202, v36
	s_waitcnt vmcnt(0)
	v_pk_mov_b32 v[38:39], v[4:5], v[4:5] op_sel:[0,1]
	buffer_load_dword v5, off, s[0:3], 0 offset:660
	buffer_load_dword v153, off, s[0:3], 0 offset:652
	;; [unrolled: 1-line block ×20, first 2 shown]
	ds_read_b128 v[220:223], v184 offset:1392
	ds_read_b128 v[224:227], v184 offset:1408
	;; [unrolled: 1-line block ×6, first 2 shown]
	s_waitcnt lgkmcnt(5)
	v_mul_f64 v[8:9], v[220:221], v[96:97]
	v_fmac_f64_e32 v[8:9], v[222:223], v[248:249]
	v_add_f64 v[6:7], v[6:7], v[8:9]
	s_waitcnt lgkmcnt(4)
	v_mul_f64 v[8:9], v[224:225], v[88:89]
	v_fmac_f64_e32 v[8:9], v[226:227], v[90:91]
	v_add_f64 v[6:7], v[6:7], v[8:9]
	;; [unrolled: 4-line block ×3, first 2 shown]
	s_waitcnt lgkmcnt(2)
	v_mul_f64 v[8:9], v[232:233], v[106:107]
	v_fmac_f64_e32 v[8:9], v[234:235], v[108:109]
	ds_read_b128 v[244:247], v184 offset:1488
	ds_read_b128 v[252:255], v184 offset:1504
	v_add_f64 v[6:7], v[6:7], v[8:9]
	s_waitcnt lgkmcnt(3)
	v_mul_f64 v[8:9], v[236:237], v[2:3]
	v_fmac_f64_e32 v[8:9], v[238:239], v[78:79]
	v_add_f64 v[6:7], v[6:7], v[8:9]
	s_waitcnt lgkmcnt(2)
	v_mul_f64 v[8:9], v[240:241], v[92:93]
	ds_read_b128 v[134:137], v184 offset:1520
	ds_read_b128 v[130:133], v184 offset:1536
	v_fmac_f64_e32 v[8:9], v[242:243], v[94:95]
	v_add_f64 v[6:7], v[6:7], v[8:9]
	s_waitcnt lgkmcnt(3)
	v_mul_f64 v[8:9], v[244:245], v[102:103]
	ds_read_b128 v[126:129], v184 offset:1552
	ds_read_b128 v[122:125], v184 offset:1568
	v_fmac_f64_e32 v[8:9], v[246:247], v[104:105]
	v_add_f64 v[6:7], v[6:7], v[8:9]
	s_waitcnt lgkmcnt(4)
	v_mul_f64 v[8:9], v[252:253], v[98:99]
	v_fmac_f64_e32 v[8:9], v[254:255], v[100:101]
	s_waitcnt lgkmcnt(3)
	v_mul_f64 v[12:13], v[134:135], v[14:15]
	v_add_f64 v[10:11], v[6:7], v[8:9]
	v_fmac_f64_e32 v[12:13], v[136:137], v[16:17]
	s_waitcnt lgkmcnt(2)
	v_mul_f64 v[16:17], v[130:131], v[18:19]
	ds_read_b128 v[118:121], v184 offset:1584
	v_add_f64 v[14:15], v[10:11], v[12:13]
	v_fmac_f64_e32 v[16:17], v[132:133], v[22:23]
	s_waitcnt lgkmcnt(2)
	v_mul_f64 v[20:21], v[126:127], v[140:141]
	v_add_f64 v[18:19], v[14:15], v[16:17]
	v_fmac_f64_e32 v[20:21], v[128:129], v[144:145]
	s_waitcnt lgkmcnt(1)
	v_mul_f64 v[24:25], v[122:123], v[26:27]
	v_add_f64 v[22:23], v[18:19], v[20:21]
	v_fmac_f64_e32 v[24:25], v[124:125], v[28:29]
	v_add_f64 v[26:27], v[22:23], v[24:25]
	ds_read_b128 v[22:25], v184 offset:1600
	s_waitcnt lgkmcnt(1)
	v_mul_f64 v[28:29], v[118:119], v[148:149]
	v_fmac_f64_e32 v[28:29], v[120:121], v[150:151]
	v_add_f64 v[30:31], v[26:27], v[28:29]
	ds_read_b128 v[26:29], v184 offset:1616
	s_waitcnt lgkmcnt(1)
	v_mul_f64 v[32:33], v[22:23], v[34:35]
	v_fmac_f64_e32 v[32:33], v[24:25], v[36:37]
	v_add_f64 v[34:35], v[30:31], v[32:33]
	ds_read_b128 v[30:33], v184 offset:1632
	v_accvgpr_write_b32 a205, v39
	v_accvgpr_write_b32 a204, v38
	v_mul_f64 v[8:9], v[116:117], v[54:55]
	v_fma_f64 v[14:15], v[110:111], v[42:43], -v[48:49]
	s_waitcnt vmcnt(17) lgkmcnt(1)
	v_mul_f64 v[36:37], v[26:27], v[152:153]
	s_waitcnt lgkmcnt(0)
	v_mul_f64 v[166:167], v[30:31], v[38:39]
	s_waitcnt vmcnt(15)
	v_fmac_f64_e32 v[36:37], v[28:29], v[154:155]
	v_add_f64 v[164:165], v[34:35], v[36:37]
	ds_read_b128 v[34:37], v184 offset:1648
	ds_read_b128 v[38:41], v184 offset:1664
	s_waitcnt vmcnt(14)
	v_fmac_f64_e32 v[166:167], v[32:33], v[4:5]
	v_add_f64 v[164:165], v[164:165], v[166:167]
	v_accvgpr_write_b32 a207, v5
	s_waitcnt vmcnt(9) lgkmcnt(1)
	v_mul_f64 v[166:167], v[34:35], v[156:157]
	s_waitcnt vmcnt(7)
	v_fmac_f64_e32 v[166:167], v[36:37], v[160:161]
	v_add_f64 v[164:165], v[164:165], v[166:167]
	s_waitcnt lgkmcnt(0)
	v_mul_f64 v[166:167], v[38:39], v[138:139]
	s_waitcnt vmcnt(6)
	v_fmac_f64_e32 v[166:167], v[40:41], v[142:143]
	v_accvgpr_write_b32 a206, v4
	v_add_f64 v[4:5], v[164:165], v[166:167]
	buffer_load_dword v167, off, s[0:3], 0 offset:724
	buffer_load_dword v166, off, s[0:3], 0 offset:720
	;; [unrolled: 1-line block ×10, first 2 shown]
	v_fma_f64 v[10:11], v[114:115], v[44:45], -v[8:9]
	ds_read_b128 v[42:45], v184 offset:1680
	buffer_load_dword v175, off, s[0:3], 0 offset:780
	buffer_load_dword v174, off, s[0:3], 0 offset:776
	;; [unrolled: 1-line block ×12, first 2 shown]
	v_fma_f64 v[110:111], v[188:189], v[56:57], -v[46:47]
	buffer_load_dword v188, off, s[0:3], 0 offset:824
	v_mul_f64 v[46:47], v[194:195], v[66:67]
	v_fma_f64 v[112:113], v[192:193], v[208:209], -v[46:47]
	buffer_load_dword v192, off, s[0:3], 0 offset:816
	buffer_load_dword v189, off, s[0:3], 0 offset:828
	;; [unrolled: 1-line block ×3, first 2 shown]
	v_mul_f64 v[46:47], v[198:199], v[62:63]
	v_fma_f64 v[8:9], v[196:197], v[64:65], -v[46:47]
	buffer_load_dword v190, off, s[0:3], 0 offset:856
	buffer_load_dword v197, off, s[0:3], 0 offset:844
	;; [unrolled: 1-line block ×8, first 2 shown]
	v_mul_f64 v[46:47], v[202:203], v[74:75]
	v_fma_f64 v[6:7], v[200:201], v[76:77], -v[46:47]
	buffer_load_dword v201, off, s[0:3], 0 offset:876
	buffer_load_dword v200, off, s[0:3], 0 offset:872
	;; [unrolled: 1-line block ×4, first 2 shown]
	v_mul_f64 v[16:17], v[206:207], v[68:69]
	buffer_load_dword v207, off, s[0:3], 0 offset:892
	buffer_load_dword v206, off, s[0:3], 0 offset:888
	;; [unrolled: 1-line block ×4, first 2 shown]
	s_waitcnt vmcnt(44) lgkmcnt(0)
	v_mul_f64 v[12:13], v[42:43], v[158:159]
	v_mul_f64 v[46:47], v[212:213], v[72:73]
	s_waitcnt vmcnt(42)
	v_fmac_f64_e32 v[12:13], v[44:45], v[162:163]
	v_fma_f64 v[16:17], v[204:205], v[70:71], -v[16:17]
	v_fma_f64 v[0:1], v[210:211], v[0:1], -v[46:47]
	buffer_load_dword v204, off, s[0:3], 0 offset:920
	buffer_load_dword v213, off, s[0:3], 0 offset:908
	;; [unrolled: 1-line block ×12, first 2 shown]
	ds_read_b128 v[46:49], v184 offset:1696
	v_add_f64 v[4:5], v[4:5], v[12:13]
	v_mul_f64 v[12:13], v[52:53], v[84:85]
	v_fma_f64 v[12:13], v[50:51], v[86:87], -v[12:13]
	ds_read_b128 v[50:53], v184 offset:1712
	v_mul_f64 v[54:55], v[222:223], v[96:97]
	v_fma_f64 v[84:85], v[220:221], v[248:249], -v[54:55]
	ds_read_b128 v[54:57], v184 offset:1728
	ds_read_b128 v[58:61], v184 offset:1744
	s_waitcnt lgkmcnt(3)
	v_mul_f64 v[20:21], v[46:47], v[146:147]
	ds_read_b128 v[62:65], v184 offset:1760
	v_mul_f64 v[66:67], v[230:231], v[250:251]
	v_fma_f64 v[214:215], v[228:229], v[214:215], -v[66:67]
	ds_read_b128 v[66:69], v184 offset:1776
	v_mul_f64 v[74:75], v[234:235], v[106:107]
	v_fma_f64 v[248:249], v[232:233], v[108:109], -v[74:75]
	v_mul_f64 v[2:3], v[238:239], v[2:3]
	v_fma_f64 v[78:79], v[236:237], v[78:79], -v[2:3]
	ds_read_b128 v[234:237], v184 offset:1824
	v_mul_f64 v[98:99], v[254:255], v[98:99]
	v_fma_f64 v[252:253], v[252:253], v[100:101], -v[98:99]
	v_add_f64 v[14:15], v[14:15], 0
	v_add_f64 v[10:11], v[14:15], v[10:11]
	;; [unrolled: 1-line block ×12, first 2 shown]
	v_accvgpr_read_b32 v6, a188
	v_accvgpr_read_b32 v7, a189
	;; [unrolled: 1-line block ×3, first 2 shown]
	v_mul_f64 v[6:7], v[136:137], v[6:7]
	v_accvgpr_read_b32 v9, a191
	v_fma_f64 v[6:7], v[134:135], v[8:9], -v[6:7]
	v_accvgpr_read_b32 v8, a194
	v_accvgpr_read_b32 v9, a195
	ds_read_b128 v[74:77], v184 offset:1808
	ds_read_b128 v[98:101], v184 offset:1904
	s_waitcnt vmcnt(52)
	v_fmac_f64_e32 v[20:21], v[48:49], v[166:167]
	v_add_f64 v[4:5], v[4:5], v[20:21]
	s_waitcnt vmcnt(49) lgkmcnt(7)
	v_mul_f64 v[20:21], v[50:51], v[170:171]
	s_waitcnt vmcnt(47)
	v_fmac_f64_e32 v[20:21], v[52:53], v[172:173]
	v_add_f64 v[4:5], v[4:5], v[20:21]
	s_waitcnt vmcnt(45) lgkmcnt(6)
	v_mul_f64 v[20:21], v[54:55], v[164:165]
	s_waitcnt vmcnt(44)
	v_fmac_f64_e32 v[20:21], v[56:57], v[168:169]
	s_waitcnt vmcnt(42) lgkmcnt(5)
	v_mul_f64 v[70:71], v[58:59], v[174:175]
	v_add_f64 v[4:5], v[4:5], v[20:21]
	s_waitcnt vmcnt(40)
	v_fmac_f64_e32 v[70:71], v[60:61], v[176:177]
	v_add_f64 v[4:5], v[4:5], v[70:71]
	s_waitcnt vmcnt(38) lgkmcnt(4)
	v_mul_f64 v[70:71], v[62:63], v[178:179]
	s_waitcnt vmcnt(36)
	v_fmac_f64_e32 v[70:71], v[64:65], v[182:183]
	v_add_f64 v[4:5], v[4:5], v[70:71]
	s_waitcnt vmcnt(34) lgkmcnt(3)
	v_mul_f64 v[70:71], v[66:67], v[180:181]
	s_waitcnt vmcnt(32)
	v_fmac_f64_e32 v[70:71], v[68:69], v[186:187]
	v_add_f64 v[4:5], v[4:5], v[70:71]
	ds_read_b128 v[70:73], v184 offset:1792
	v_mul_f64 v[20:21], v[226:227], v[88:89]
	v_fma_f64 v[20:21], v[224:225], v[90:91], -v[20:21]
	v_mul_f64 v[90:91], v[246:247], v[102:103]
	v_fma_f64 v[250:251], v[244:245], v[104:105], -v[90:91]
	s_waitcnt vmcnt(29) lgkmcnt(0)
	v_mul_f64 v[86:87], v[70:71], v[188:189]
	s_waitcnt vmcnt(28)
	v_fmac_f64_e32 v[86:87], v[72:73], v[192:193]
	v_add_f64 v[2:3], v[4:5], v[86:87]
	s_waitcnt vmcnt(25)
	v_mul_f64 v[4:5], v[74:75], v[196:197]
	s_waitcnt vmcnt(23)
	v_fmac_f64_e32 v[4:5], v[76:77], v[198:199]
	v_mul_f64 v[86:87], v[242:243], v[92:93]
	v_add_f64 v[2:3], v[2:3], v[4:5]
	v_fma_f64 v[232:233], v[240:241], v[94:95], -v[86:87]
	ds_read_b128 v[86:89], v184 offset:1856
	s_waitcnt vmcnt(21)
	v_mul_f64 v[4:5], v[234:235], v[190:191]
	s_waitcnt vmcnt(20)
	v_fmac_f64_e32 v[4:5], v[236:237], v[194:195]
	v_add_f64 v[96:97], v[2:3], v[4:5]
	ds_read_b128 v[2:5], v184 offset:1840
	ds_read_b128 v[90:93], v184 offset:1872
	v_add_f64 v[0:1], v[0:1], v[20:21]
	v_add_f64 v[0:1], v[0:1], v[214:215]
	;; [unrolled: 1-line block ×3, first 2 shown]
	s_waitcnt vmcnt(18) lgkmcnt(1)
	v_mul_f64 v[94:95], v[2:3], v[200:201]
	s_waitcnt vmcnt(16)
	v_fmac_f64_e32 v[94:95], v[4:5], v[202:203]
	v_add_f64 v[94:95], v[96:97], v[94:95]
	s_waitcnt vmcnt(14)
	v_mul_f64 v[96:97], v[86:87], v[206:207]
	s_waitcnt vmcnt(12)
	v_fmac_f64_e32 v[96:97], v[88:89], v[208:209]
	v_add_f64 v[102:103], v[94:95], v[96:97]
	ds_read_b128 v[94:97], v184 offset:1888
	buffer_load_dword v220, off, s[0:3], 0 offset:952
	buffer_load_dword v221, off, s[0:3], 0 offset:956
	;; [unrolled: 1-line block ×4, first 2 shown]
	s_waitcnt vmcnt(13) lgkmcnt(1)
	v_mul_f64 v[104:105], v[90:91], v[212:213]
	s_waitcnt vmcnt(11)
	v_fmac_f64_e32 v[104:105], v[92:93], v[216:217]
	v_add_f64 v[102:103], v[102:103], v[104:105]
	s_waitcnt vmcnt(9) lgkmcnt(0)
	v_mul_f64 v[104:105], v[94:95], v[204:205]
	s_waitcnt vmcnt(8)
	v_fmac_f64_e32 v[104:105], v[96:97], v[210:211]
	v_add_f64 v[102:103], v[102:103], v[104:105]
	s_waitcnt vmcnt(6)
	v_mul_f64 v[104:105], v[98:99], v[18:19]
	s_waitcnt vmcnt(4)
	v_fmac_f64_e32 v[104:105], v[100:101], v[218:219]
	v_add_f64 v[106:107], v[102:103], v[104:105]
	ds_read_b128 v[102:105], v184 offset:1920
	buffer_load_dword v225, off, s[0:3], 0 offset:972
	buffer_load_dword v224, off, s[0:3], 0 offset:968
	buffer_load_dword v227, off, s[0:3], 0 offset:964
	buffer_load_dword v226, off, s[0:3], 0 offset:960
	v_add_f64 v[0:1], v[0:1], v[78:79]
	v_add_f64 v[254:255], v[0:1], v[232:233]
	;; [unrolled: 1-line block ×5, first 2 shown]
	v_accvgpr_read_b32 v6, a192
	v_accvgpr_read_b32 v7, a193
	v_mul_f64 v[6:7], v[132:133], v[6:7]
	v_fma_f64 v[6:7], v[130:131], v[8:9], -v[6:7]
	v_add_f64 v[0:1], v[0:1], v[6:7]
	v_mul_f64 v[6:7], v[128:129], v[140:141]
	v_fma_f64 v[6:7], v[126:127], v[144:145], -v[6:7]
	v_add_f64 v[0:1], v[0:1], v[6:7]
	v_accvgpr_read_b32 v6, a196
	v_accvgpr_read_b32 v7, a197
	v_accvgpr_read_b32 v8, a198
	v_mul_f64 v[6:7], v[124:125], v[6:7]
	v_accvgpr_read_b32 v9, a199
	v_fma_f64 v[6:7], v[122:123], v[8:9], -v[6:7]
	v_add_f64 v[0:1], v[0:1], v[6:7]
	v_mul_f64 v[6:7], v[120:121], v[148:149]
	v_fma_f64 v[6:7], v[118:119], v[150:151], -v[6:7]
	v_add_f64 v[0:1], v[0:1], v[6:7]
	v_accvgpr_read_b32 v6, a200
	v_accvgpr_read_b32 v7, a201
	v_accvgpr_read_b32 v8, a202
	v_mul_f64 v[6:7], v[24:25], v[6:7]
	v_accvgpr_read_b32 v9, a203
	;; [unrolled: 10-line block ×3, first 2 shown]
	v_fma_f64 v[6:7], v[30:31], v[8:9], -v[6:7]
	v_add_f64 v[0:1], v[0:1], v[6:7]
	v_mul_f64 v[6:7], v[36:37], v[156:157]
	v_fma_f64 v[6:7], v[34:35], v[160:161], -v[6:7]
	v_add_f64 v[0:1], v[0:1], v[6:7]
	v_mul_f64 v[6:7], v[40:41], v[138:139]
	;; [unrolled: 3-line block ×9, first 2 shown]
	v_fma_f64 v[6:7], v[66:67], v[186:187], -v[6:7]
	s_waitcnt vmcnt(6) lgkmcnt(0)
	v_mul_f64 v[108:109], v[102:103], v[220:221]
	v_add_f64 v[0:1], v[0:1], v[6:7]
	s_waitcnt vmcnt(4)
	v_fmac_f64_e32 v[108:109], v[104:105], v[222:223]
	v_add_f64 v[114:115], v[106:107], v[108:109]
	ds_read_b128 v[106:109], v184 offset:1936
	buffer_load_dword v228, off, s[0:3], 0 offset:984
	buffer_load_dword v229, off, s[0:3], 0 offset:988
	;; [unrolled: 1-line block ×4, first 2 shown]
	ds_read_b128 v[238:241], v184 offset:1952
	buffer_load_dword v243, off, s[0:3], 0 offset:1004
	buffer_load_dword v242, off, s[0:3], 0 offset:1000
	;; [unrolled: 1-line block ×4, first 2 shown]
	v_mul_f64 v[6:7], v[72:73], v[188:189]
	v_fma_f64 v[6:7], v[70:71], v[192:193], -v[6:7]
	v_add_f64 v[0:1], v[0:1], v[6:7]
	s_waitcnt vmcnt(10) lgkmcnt(1)
	v_mul_f64 v[116:117], v[106:107], v[224:225]
	v_mul_f64 v[6:7], v[76:77], v[196:197]
	s_waitcnt vmcnt(8)
	v_fmac_f64_e32 v[116:117], v[108:109], v[226:227]
	v_add_f64 v[114:115], v[114:115], v[116:117]
	v_fma_f64 v[6:7], v[74:75], v[198:199], -v[6:7]
	v_add_f64 v[0:1], v[0:1], v[6:7]
	v_mul_f64 v[6:7], v[236:237], v[190:191]
	v_fma_f64 v[6:7], v[234:235], v[194:195], -v[6:7]
	v_mul_f64 v[4:5], v[4:5], v[200:201]
	v_add_f64 v[0:1], v[0:1], v[6:7]
	v_fma_f64 v[2:3], v[2:3], v[202:203], -v[4:5]
	v_add_f64 v[0:1], v[0:1], v[2:3]
	v_mul_f64 v[2:3], v[88:89], v[206:207]
	v_fma_f64 v[2:3], v[86:87], v[208:209], -v[2:3]
	v_add_f64 v[0:1], v[0:1], v[2:3]
	v_mul_f64 v[2:3], v[92:93], v[212:213]
	;; [unrolled: 3-line block ×6, first 2 shown]
	v_fma_f64 v[2:3], v[106:107], v[226:227], -v[2:3]
	v_add_f64 v[0:1], v[0:1], v[2:3]
	s_waitcnt vmcnt(6) lgkmcnt(0)
	v_mul_f64 v[116:117], v[238:239], v[228:229]
	v_mul_f64 v[2:3], v[240:241], v[228:229]
	s_waitcnt vmcnt(4)
	v_fmac_f64_e32 v[116:117], v[240:241], v[230:231]
	v_add_f64 v[246:247], v[114:115], v[116:117]
	ds_read_b128 v[114:117], v184 offset:1968
	v_fma_f64 v[2:3], v[238:239], v[230:231], -v[2:3]
	v_add_f64 v[0:1], v[0:1], v[2:3]
	s_waitcnt vmcnt(2) lgkmcnt(0)
	v_mul_f64 v[184:185], v[114:115], v[242:243]
	s_waitcnt vmcnt(0)
	v_fmac_f64_e32 v[184:185], v[116:117], v[244:245]
	v_add_f64 v[184:185], v[246:247], v[184:185]
	buffer_load_dword v248, off, s[0:3], 0 offset:224
	buffer_load_dword v249, off, s[0:3], 0 offset:228
	;; [unrolled: 1-line block ×4, first 2 shown]
	v_mul_f64 v[2:3], v[116:117], v[242:243]
	v_fma_f64 v[2:3], v[114:115], v[244:245], -v[2:3]
	v_add_f64 v[0:1], v[0:1], v[2:3]
	s_waitcnt vmcnt(2)
	v_add_f64 v[0:1], v[248:249], -v[0:1]
	s_waitcnt vmcnt(0)
	v_add_f64 v[2:3], v[246:247], -v[184:185]
	v_accvgpr_read_b32 v185, a185
	v_cmp_lt_u32_e32 vcc, 12, v185
	buffer_store_dword v1, off, s[0:3], 0 offset:228
	buffer_store_dword v0, off, s[0:3], 0 offset:224
	;; [unrolled: 1-line block ×4, first 2 shown]
	s_and_saveexec_b64 s[4:5], vcc
	s_cbranch_execz .LBB125_373
; %bb.372:
	v_accvgpr_read_b32 v3, a173
	buffer_load_dword v0, v3, s[0:3], 0 offen
	buffer_load_dword v1, v3, s[0:3], 0 offen offset:4
	buffer_load_dword v2, v3, s[0:3], 0 offen offset:8
	s_nop 0
	buffer_load_dword v3, v3, s[0:3], 0 offen offset:12
	v_mov_b32_e32 v4, 0
	v_accvgpr_read_b32 v5, a186
	buffer_store_dword v4, off, s[0:3], 0 offset:208
	buffer_store_dword v4, off, s[0:3], 0 offset:212
	;; [unrolled: 1-line block ×4, first 2 shown]
	s_waitcnt vmcnt(4)
	ds_write_b128 v5, v[0:3]
.LBB125_373:
	s_or_b64 exec, exec, s[4:5]
	s_waitcnt lgkmcnt(0)
	; wave barrier
	s_waitcnt lgkmcnt(0)
	buffer_load_dword v38, off, s[0:3], 0 offset:224
	buffer_load_dword v39, off, s[0:3], 0 offset:228
	;; [unrolled: 1-line block ×42, first 2 shown]
	v_mov_b32_e32 v184, 0
	buffer_load_dword v99, off, s[0:3], 0 offset:372
	buffer_load_dword v98, off, s[0:3], 0 offset:368
	buffer_load_dword v79, off, s[0:3], 0 offset:428
	buffer_load_dword v78, off, s[0:3], 0 offset:424
	buffer_load_dword v81, off, s[0:3], 0 offset:420
	buffer_load_dword v80, off, s[0:3], 0 offset:416
	buffer_load_dword v85, off, s[0:3], 0 offset:412
	ds_read_b128 v[108:111], v184 offset:1200
	ds_read_b128 v[112:115], v184 offset:1216
	;; [unrolled: 1-line block ×11, first 2 shown]
	v_cmp_lt_u32_e32 vcc, 11, v185
	s_waitcnt vmcnt(45) lgkmcnt(10)
	v_mul_f64 v[0:1], v[108:109], v[40:41]
	v_fmac_f64_e32 v[0:1], v[110:111], v[38:39]
	v_add_f64 v[0:1], v[0:1], 0
	v_mul_f64 v[40:41], v[110:111], v[40:41]
	s_waitcnt vmcnt(41) lgkmcnt(9)
	v_mul_f64 v[2:3], v[112:113], v[46:47]
	v_fmac_f64_e32 v[2:3], v[114:115], v[44:45]
	s_waitcnt vmcnt(39) lgkmcnt(8)
	v_mul_f64 v[4:5], v[170:171], v[42:43]
	v_add_f64 v[0:1], v[0:1], v[2:3]
	s_waitcnt vmcnt(37) lgkmcnt(6)
	v_mul_f64 v[8:9], v[180:181], v[48:49]
	v_mul_f64 v[42:43], v[172:173], v[42:43]
	s_waitcnt vmcnt(35)
	v_fmac_f64_e32 v[8:9], v[182:183], v[50:51]
	s_waitcnt vmcnt(33)
	v_mul_f64 v[6:7], v[174:175], v[52:53]
	s_waitcnt vmcnt(31) lgkmcnt(4)
	v_mul_f64 v[12:13], v[192:193], v[56:57]
	s_waitcnt vmcnt(29)
	v_fmac_f64_e32 v[12:13], v[194:195], v[54:55]
	s_waitcnt vmcnt(27)
	v_mul_f64 v[10:11], v[186:187], v[58:59]
	s_waitcnt vmcnt(25) lgkmcnt(2)
	v_mul_f64 v[16:17], v[200:201], v[64:65]
	s_waitcnt vmcnt(22)
	v_mul_f64 v[14:15], v[196:197], v[66:67]
	s_waitcnt vmcnt(20) lgkmcnt(1)
	v_mul_f64 v[18:19], v[204:205], v[60:61]
	s_waitcnt vmcnt(18)
	v_fmac_f64_e32 v[4:5], v[172:173], v[74:75]
	v_add_f64 v[0:1], v[0:1], v[4:5]
	s_waitcnt vmcnt(16)
	v_fmac_f64_e32 v[6:7], v[176:177], v[72:73]
	v_add_f64 v[0:1], v[0:1], v[6:7]
	;; [unrolled: 3-line block ×3, first 2 shown]
	v_add_f64 v[0:1], v[0:1], v[10:11]
	s_waitcnt vmcnt(12)
	v_fmac_f64_e32 v[14:15], v[198:199], v[68:69]
	v_add_f64 v[0:1], v[0:1], v[12:13]
	s_waitcnt vmcnt(11)
	v_fmac_f64_e32 v[16:17], v[202:203], v[62:63]
	v_add_f64 v[0:1], v[0:1], v[14:15]
	v_add_f64 v[2:3], v[0:1], v[16:17]
	buffer_load_dword v84, off, s[0:3], 0 offset:408
	buffer_load_dword v117, off, s[0:3], 0 offset:404
	buffer_load_dword v116, off, s[0:3], 0 offset:400
	buffer_load_dword v105, off, s[0:3], 0 offset:460
	buffer_load_dword v104, off, s[0:3], 0 offset:456
	buffer_load_dword v107, off, s[0:3], 0 offset:452
	buffer_load_dword v106, off, s[0:3], 0 offset:448
	buffer_load_dword v253, off, s[0:3], 0 offset:444
	buffer_load_dword v252, off, s[0:3], 0 offset:440
	buffer_load_dword v255, off, s[0:3], 0 offset:436
	buffer_load_dword v254, off, s[0:3], 0 offset:432
	buffer_load_dword v87, off, s[0:3], 0 offset:492
	buffer_load_dword v86, off, s[0:3], 0 offset:488
	buffer_load_dword v89, off, s[0:3], 0 offset:484
	buffer_load_dword v88, off, s[0:3], 0 offset:480
	buffer_load_dword v163, off, s[0:3], 0 offset:476
	buffer_load_dword v162, off, s[0:3], 0 offset:472
	buffer_load_dword v1, off, s[0:3], 0 offset:468
	buffer_load_dword v0, off, s[0:3], 0 offset:464
	buffer_load_dword v91, off, s[0:3], 0 offset:524
	buffer_load_dword v90, off, s[0:3], 0 offset:520
	buffer_load_dword v93, off, s[0:3], 0 offset:516
	buffer_load_dword v92, off, s[0:3], 0 offset:512
	buffer_load_dword v101, off, s[0:3], 0 offset:508
	buffer_load_dword v100, off, s[0:3], 0 offset:504
	buffer_load_dword v103, off, s[0:3], 0 offset:500
	buffer_load_dword v102, off, s[0:3], 0 offset:496
	buffer_load_dword v5, off, s[0:3], 0 offset:556
	buffer_load_dword v4, off, s[0:3], 0 offset:552
	s_waitcnt vmcnt(34)
	v_fmac_f64_e32 v[18:19], v[206:207], v[98:99]
	s_waitcnt lgkmcnt(0)
	v_mul_f64 v[6:7], v[208:209], v[76:77]
	v_add_f64 v[2:3], v[2:3], v[18:19]
	v_fmac_f64_e32 v[6:7], v[210:211], v[82:83]
	v_add_f64 v[2:3], v[2:3], v[6:7]
	s_waitcnt vmcnt(0)
	v_pk_mov_b32 v[8:9], v[4:5], v[4:5] op_sel:[0,1]
	buffer_load_dword v5, off, s[0:3], 0 offset:548
	buffer_load_dword v4, off, s[0:3], 0 offset:544
	v_accvgpr_write_b32 a189, v9
	v_accvgpr_write_b32 a188, v8
	s_waitcnt vmcnt(0)
	v_pk_mov_b32 v[12:13], v[4:5], v[4:5] op_sel:[0,1]
	buffer_load_dword v95, off, s[0:3], 0 offset:540
	buffer_load_dword v94, off, s[0:3], 0 offset:536
	buffer_load_dword v97, off, s[0:3], 0 offset:532
	buffer_load_dword v96, off, s[0:3], 0 offset:528
	buffer_load_dword v5, off, s[0:3], 0 offset:588
	buffer_load_dword v4, off, s[0:3], 0 offset:584
	v_accvgpr_write_b32 a191, v13
	v_accvgpr_write_b32 a190, v12
	s_waitcnt vmcnt(0)
	v_pk_mov_b32 v[16:17], v[4:5], v[4:5] op_sel:[0,1]
	buffer_load_dword v5, off, s[0:3], 0 offset:580
	buffer_load_dword v4, off, s[0:3], 0 offset:576
	v_accvgpr_write_b32 a193, v17
	v_accvgpr_write_b32 a192, v16
	s_waitcnt vmcnt(0)
	v_pk_mov_b32 v[20:21], v[4:5], v[4:5] op_sel:[0,1]
	buffer_load_dword v25, off, s[0:3], 0 offset:572
	buffer_load_dword v24, off, s[0:3], 0 offset:568
	buffer_load_dword v143, off, s[0:3], 0 offset:564
	buffer_load_dword v142, off, s[0:3], 0 offset:560
	buffer_load_dword v5, off, s[0:3], 0 offset:620
	buffer_load_dword v4, off, s[0:3], 0 offset:616
	v_accvgpr_write_b32 a195, v21
	v_accvgpr_write_b32 a194, v20
	;; [unrolled: 16-line block ×4, first 2 shown]
	s_waitcnt vmcnt(0)
	v_pk_mov_b32 v[166:167], v[4:5], v[4:5] op_sel:[0,1]
	buffer_load_dword v5, off, s[0:3], 0 offset:676
	buffer_load_dword v4, off, s[0:3], 0 offset:672
	v_accvgpr_write_b32 a205, v167
	v_accvgpr_write_b32 a204, v166
	s_waitcnt vmcnt(0)
	v_pk_mov_b32 v[168:169], v[4:5], v[4:5] op_sel:[0,1]
	buffer_load_dword v155, off, s[0:3], 0 offset:668
	buffer_load_dword v154, off, s[0:3], 0 offset:664
	;; [unrolled: 1-line block ×12, first 2 shown]
	ds_read_b128 v[216:219], v184 offset:1376
	ds_read_b128 v[220:223], v184 offset:1392
	;; [unrolled: 1-line block ×6, first 2 shown]
	s_waitcnt lgkmcnt(5)
	v_mul_f64 v[6:7], v[216:217], v[84:85]
	v_fmac_f64_e32 v[6:7], v[218:219], v[116:117]
	v_add_f64 v[2:3], v[2:3], v[6:7]
	s_waitcnt lgkmcnt(4)
	v_mul_f64 v[6:7], v[220:221], v[78:79]
	v_fmac_f64_e32 v[6:7], v[222:223], v[80:81]
	v_add_f64 v[2:3], v[2:3], v[6:7]
	;; [unrolled: 4-line block ×3, first 2 shown]
	s_waitcnt lgkmcnt(2)
	v_mul_f64 v[6:7], v[228:229], v[104:105]
	v_fmac_f64_e32 v[6:7], v[230:231], v[106:107]
	ds_read_b128 v[240:243], v184 offset:1472
	ds_read_b128 v[244:247], v184 offset:1488
	v_add_f64 v[2:3], v[2:3], v[6:7]
	s_waitcnt lgkmcnt(3)
	v_mul_f64 v[6:7], v[232:233], v[162:163]
	v_fmac_f64_e32 v[6:7], v[234:235], v[0:1]
	v_add_f64 v[2:3], v[2:3], v[6:7]
	s_waitcnt lgkmcnt(2)
	v_mul_f64 v[6:7], v[236:237], v[86:87]
	v_fmac_f64_e32 v[6:7], v[238:239], v[88:89]
	ds_read_b128 v[248:251], v184 offset:1504
	ds_read_b128 v[118:121], v184 offset:1520
	v_add_f64 v[2:3], v[2:3], v[6:7]
	s_waitcnt lgkmcnt(3)
	v_mul_f64 v[6:7], v[240:241], v[100:101]
	v_fmac_f64_e32 v[6:7], v[242:243], v[102:103]
	ds_read_b128 v[122:125], v184 offset:1536
	ds_read_b128 v[126:129], v184 offset:1552
	;; [unrolled: 6-line block ×3, first 2 shown]
	v_add_f64 v[2:3], v[2:3], v[6:7]
	s_waitcnt lgkmcnt(5)
	v_mul_f64 v[6:7], v[248:249], v[94:95]
	v_fmac_f64_e32 v[6:7], v[250:251], v[96:97]
	s_waitcnt lgkmcnt(4)
	v_mul_f64 v[10:11], v[118:119], v[8:9]
	v_add_f64 v[2:3], v[2:3], v[6:7]
	v_fmac_f64_e32 v[10:11], v[120:121], v[12:13]
	s_waitcnt lgkmcnt(3)
	v_mul_f64 v[14:15], v[122:123], v[24:25]
	v_add_f64 v[2:3], v[2:3], v[10:11]
	;; [unrolled: 4-line block ×5, first 2 shown]
	ds_read_b128 v[138:141], v184 offset:1600
	v_fmac_f64_e32 v[26:27], v[136:137], v[30:31]
	v_add_f64 v[2:3], v[2:3], v[26:27]
	ds_read_b128 v[26:29], v184 offset:1616
	v_fma_f64 v[20:21], v[108:109], v[38:39], -v[40:41]
	s_waitcnt lgkmcnt(1)
	v_mul_f64 v[30:31], v[138:139], v[150:151]
	v_fmac_f64_e32 v[30:31], v[140:141], v[152:153]
	v_add_f64 v[2:3], v[2:3], v[30:31]
	s_waitcnt lgkmcnt(0)
	v_mul_f64 v[34:35], v[26:27], v[36:37]
	ds_read_b128 v[30:33], v184 offset:1632
	v_fmac_f64_e32 v[34:35], v[28:29], v[164:165]
	v_add_f64 v[2:3], v[2:3], v[34:35]
	ds_read_b128 v[34:37], v184 offset:1648
	ds_read_b128 v[38:41], v184 offset:1664
	buffer_load_dword v23, off, s[0:3], 0 offset:732
	buffer_load_dword v22, off, s[0:3], 0 offset:728
	buffer_load_dword v165, off, s[0:3], 0 offset:724
	buffer_load_dword v164, off, s[0:3], 0 offset:720
	s_waitcnt vmcnt(14) lgkmcnt(2)
	v_mul_f64 v[108:109], v[30:31], v[154:155]
	v_accvgpr_write_b32 a207, v169
	s_waitcnt vmcnt(12)
	v_fmac_f64_e32 v[108:109], v[32:33], v[156:157]
	v_add_f64 v[2:3], v[2:3], v[108:109]
	s_waitcnt lgkmcnt(1)
	v_mul_f64 v[108:109], v[34:35], v[166:167]
	v_fmac_f64_e32 v[108:109], v[36:37], v[168:169]
	v_accvgpr_write_b32 a206, v168
	buffer_load_dword v166, off, s[0:3], 0 offset:744
	buffer_load_dword v168, off, s[0:3], 0 offset:736
	;; [unrolled: 1-line block ×4, first 2 shown]
	s_waitcnt vmcnt(10) lgkmcnt(0)
	v_mul_f64 v[110:111], v[38:39], v[158:159]
	v_add_f64 v[108:109], v[2:3], v[108:109]
	s_waitcnt vmcnt(8)
	v_fmac_f64_e32 v[110:111], v[40:41], v[160:161]
	v_add_f64 v[108:109], v[108:109], v[110:111]
	v_fma_f64 v[110:111], v[170:171], v[74:75], -v[42:43]
	v_mul_f64 v[42:43], v[176:177], v[52:53]
	buffer_load_dword v171, off, s[0:3], 0 offset:780
	buffer_load_dword v173, off, s[0:3], 0 offset:764
	;; [unrolled: 1-line block ×8, first 2 shown]
	v_mul_f64 v[2:3], v[114:115], v[46:47]
	v_mul_f64 v[46:47], v[182:183], v[48:49]
	v_fma_f64 v[18:19], v[112:113], v[44:45], -v[2:3]
	v_fma_f64 v[112:113], v[174:175], v[72:73], -v[42:43]
	ds_read_b128 v[42:45], v184 offset:1680
	v_fma_f64 v[114:115], v[180:181], v[50:51], -v[46:47]
	buffer_load_dword v174, off, s[0:3], 0 offset:808
	buffer_load_dword v181, off, s[0:3], 0 offset:796
	buffer_load_dword v180, off, s[0:3], 0 offset:792
	buffer_load_dword v183, off, s[0:3], 0 offset:788
	buffer_load_dword v182, off, s[0:3], 0 offset:784
	v_mul_f64 v[46:47], v[188:189], v[58:59]
	v_fma_f64 v[16:17], v[186:187], v[70:71], -v[46:47]
	buffer_load_dword v186, off, s[0:3], 0 offset:800
	buffer_load_dword v175, off, s[0:3], 0 offset:812
	;; [unrolled: 1-line block ×7, first 2 shown]
	v_mul_f64 v[46:47], v[194:195], v[56:57]
	v_fma_f64 v[14:15], v[192:193], v[54:55], -v[46:47]
	v_mul_f64 v[46:47], v[198:199], v[66:67]
	v_fma_f64 v[12:13], v[196:197], v[68:69], -v[46:47]
	buffer_load_dword v194, off, s[0:3], 0 offset:840
	buffer_load_dword v196, off, s[0:3], 0 offset:832
	;; [unrolled: 1-line block ×4, first 2 shown]
	v_mul_f64 v[46:47], v[202:203], v[64:65]
	v_fma_f64 v[10:11], v[200:201], v[62:63], -v[46:47]
	buffer_load_dword v193, off, s[0:3], 0 offset:876
	buffer_load_dword v199, off, s[0:3], 0 offset:860
	;; [unrolled: 1-line block ×8, first 2 shown]
	v_mul_f64 v[52:53], v[206:207], v[60:61]
	ds_read_b128 v[46:49], v184 offset:1696
	v_fma_f64 v[8:9], v[204:205], v[98:99], -v[52:53]
	buffer_load_dword v205, off, s[0:3], 0 offset:892
	buffer_load_dword v204, off, s[0:3], 0 offset:888
	buffer_load_dword v207, off, s[0:3], 0 offset:884
	buffer_load_dword v206, off, s[0:3], 0 offset:880
	v_mul_f64 v[52:53], v[210:211], v[76:77]
	v_fma_f64 v[6:7], v[208:209], v[82:83], -v[52:53]
	buffer_load_dword v208, off, s[0:3], 0 offset:904
	buffer_load_dword v210, off, s[0:3], 0 offset:896
	buffer_load_dword v209, off, s[0:3], 0 offset:908
	buffer_load_dword v211, off, s[0:3], 0 offset:900
	buffer_load_dword v213, off, s[0:3], 0 offset:924
	buffer_load_dword v212, off, s[0:3], 0 offset:920
	buffer_load_dword v215, off, s[0:3], 0 offset:916
	buffer_load_dword v214, off, s[0:3], 0 offset:912
	v_mul_f64 v[52:53], v[218:219], v[84:85]
	v_fma_f64 v[116:117], v[216:217], v[116:117], -v[52:53]
	buffer_load_dword v216, off, s[0:3], 0 offset:936
	buffer_load_dword v218, off, s[0:3], 0 offset:928
	;; [unrolled: 1-line block ×4, first 2 shown]
	s_waitcnt lgkmcnt(1)
	v_mul_f64 v[50:51], v[42:43], v[4:5]
	v_fmac_f64_e32 v[50:51], v[44:45], v[144:145]
	v_add_f64 v[50:51], v[108:109], v[50:51]
	v_mul_f64 v[54:55], v[222:223], v[78:79]
	v_fma_f64 v[220:221], v[220:221], v[80:81], -v[54:55]
	ds_read_b128 v[54:57], v184 offset:1728
	v_mul_f64 v[58:59], v[226:227], v[252:253]
	v_fma_f64 v[252:253], v[224:225], v[254:255], -v[58:59]
	ds_read_b128 v[58:61], v184 offset:1744
	;; [unrolled: 3-line block ×3, first 2 shown]
	v_mul_f64 v[70:71], v[234:235], v[162:163]
	v_fma_f64 v[162:163], v[232:233], v[0:1], -v[70:71]
	v_accvgpr_write_b32 a209, v5
	v_mul_f64 v[78:79], v[238:239], v[86:87]
	v_accvgpr_write_b32 a208, v4
	v_fma_f64 v[4:5], v[236:237], v[88:89], -v[78:79]
	v_mul_f64 v[82:83], v[242:243], v[100:101]
	v_fma_f64 v[2:3], v[240:241], v[102:103], -v[82:83]
	ds_read_b128 v[82:85], v184 offset:1840
	v_mul_f64 v[90:91], v[246:247], v[90:91]
	v_fma_f64 v[246:247], v[244:245], v[92:93], -v[90:91]
	ds_read_b128 v[90:93], v184 offset:1872
	v_mul_f64 v[94:95], v[250:251], v[94:95]
	v_fma_f64 v[250:251], v[248:249], v[96:97], -v[94:95]
	v_add_f64 v[20:21], v[20:21], 0
	v_add_f64 v[18:19], v[20:21], v[18:19]
	v_add_f64 v[18:19], v[18:19], v[110:111]
	v_add_f64 v[18:19], v[18:19], v[112:113]
	v_add_f64 v[18:19], v[18:19], v[114:115]
	v_add_f64 v[16:17], v[18:19], v[16:17]
	ds_read_b128 v[70:73], v184 offset:1792
	s_waitcnt vmcnt(54) lgkmcnt(6)
	v_mul_f64 v[52:53], v[46:47], v[22:23]
	v_add_f64 v[14:15], v[16:17], v[14:15]
	s_waitcnt vmcnt(52)
	v_fmac_f64_e32 v[52:53], v[48:49], v[164:165]
	v_add_f64 v[62:63], v[50:51], v[52:53]
	ds_read_b128 v[50:53], v184 offset:1712
	v_add_f64 v[12:13], v[14:15], v[12:13]
	v_add_f64 v[10:11], v[12:13], v[10:11]
	;; [unrolled: 1-line block ×4, first 2 shown]
	s_waitcnt vmcnt(49) lgkmcnt(0)
	v_mul_f64 v[64:65], v[50:51], v[166:167]
	s_waitcnt vmcnt(48)
	v_fmac_f64_e32 v[64:65], v[52:53], v[168:169]
	v_add_f64 v[62:63], v[62:63], v[64:65]
	s_waitcnt vmcnt(45)
	v_mul_f64 v[64:65], v[54:55], v[172:173]
	ds_read_b128 v[78:81], v184 offset:1824
	s_waitcnt vmcnt(43)
	v_fmac_f64_e32 v[64:65], v[56:57], v[178:179]
	v_add_f64 v[62:63], v[62:63], v[64:65]
	s_waitcnt vmcnt(42)
	v_mul_f64 v[64:65], v[58:59], v[170:171]
	s_waitcnt vmcnt(40)
	v_fmac_f64_e32 v[64:65], v[60:61], v[176:177]
	v_add_f64 v[74:75], v[62:63], v[64:65]
	ds_read_b128 v[62:65], v184 offset:1760
	v_add_f64 v[6:7], v[6:7], v[116:117]
	ds_read_b128 v[94:97], v184 offset:1888
	v_add_f64 v[6:7], v[6:7], v[220:221]
	v_add_f64 v[6:7], v[6:7], v[252:253]
	s_waitcnt vmcnt(37) lgkmcnt(1)
	v_mul_f64 v[76:77], v[62:63], v[180:181]
	s_waitcnt vmcnt(35)
	v_fmac_f64_e32 v[76:77], v[64:65], v[182:183]
	v_add_f64 v[0:1], v[74:75], v[76:77]
	s_waitcnt vmcnt(33)
	v_mul_f64 v[74:75], v[66:67], v[174:175]
	s_waitcnt vmcnt(32)
	v_fmac_f64_e32 v[74:75], v[68:69], v[186:187]
	v_add_f64 v[0:1], v[0:1], v[74:75]
	s_waitcnt vmcnt(30)
	v_mul_f64 v[74:75], v[70:71], v[188:189]
	s_waitcnt vmcnt(28)
	v_fmac_f64_e32 v[74:75], v[72:73], v[190:191]
	v_add_f64 v[0:1], v[0:1], v[74:75]
	ds_read_b128 v[74:77], v184 offset:1808
	v_add_f64 v[6:7], v[6:7], v[254:255]
	v_add_f64 v[6:7], v[6:7], v[162:163]
	;; [unrolled: 1-line block ×4, first 2 shown]
	s_waitcnt vmcnt(25) lgkmcnt(0)
	v_mul_f64 v[86:87], v[74:75], v[194:195]
	s_waitcnt vmcnt(24)
	v_fmac_f64_e32 v[86:87], v[76:77], v[196:197]
	v_add_f64 v[0:1], v[0:1], v[86:87]
	s_waitcnt vmcnt(21)
	v_mul_f64 v[86:87], v[78:79], v[198:199]
	s_waitcnt vmcnt(19)
	v_fmac_f64_e32 v[86:87], v[80:81], v[202:203]
	v_add_f64 v[0:1], v[0:1], v[86:87]
	s_waitcnt vmcnt(18)
	v_mul_f64 v[86:87], v[82:83], v[192:193]
	s_waitcnt vmcnt(16)
	v_fmac_f64_e32 v[86:87], v[84:85], v[200:201]
	v_add_f64 v[0:1], v[0:1], v[86:87]
	ds_read_b128 v[86:89], v184 offset:1856
	v_add_f64 v[252:253], v[2:3], v[246:247]
	v_accvgpr_read_b32 v4, a188
	v_accvgpr_read_b32 v5, a189
	;; [unrolled: 1-line block ×3, first 2 shown]
	s_waitcnt vmcnt(14) lgkmcnt(0)
	v_mul_f64 v[98:99], v[86:87], v[204:205]
	s_waitcnt vmcnt(12)
	v_fmac_f64_e32 v[98:99], v[88:89], v[206:207]
	v_add_f64 v[0:1], v[0:1], v[98:99]
	s_waitcnt vmcnt(9)
	v_mul_f64 v[98:99], v[90:91], v[208:209]
	s_waitcnt vmcnt(8)
	v_fmac_f64_e32 v[98:99], v[92:93], v[210:211]
	v_add_f64 v[0:1], v[0:1], v[98:99]
	s_waitcnt vmcnt(6)
	v_mul_f64 v[98:99], v[94:95], v[212:213]
	s_waitcnt vmcnt(4)
	v_fmac_f64_e32 v[98:99], v[96:97], v[214:215]
	v_add_f64 v[0:1], v[0:1], v[98:99]
	ds_read_b128 v[98:101], v184 offset:1904
	v_mul_f64 v[4:5], v[120:121], v[4:5]
	v_accvgpr_read_b32 v7, a191
	v_add_f64 v[2:3], v[252:253], v[250:251]
	v_fma_f64 v[4:5], v[118:119], v[6:7], -v[4:5]
	s_waitcnt vmcnt(1) lgkmcnt(0)
	v_mul_f64 v[102:103], v[98:99], v[216:217]
	s_waitcnt vmcnt(0)
	v_fmac_f64_e32 v[102:103], v[100:101], v[218:219]
	v_add_f64 v[106:107], v[0:1], v[102:103]
	buffer_load_dword v1, off, s[0:3], 0 offset:956
	buffer_load_dword v0, off, s[0:3], 0 offset:952
	;; [unrolled: 1-line block ×4, first 2 shown]
	ds_read_b128 v[102:105], v184 offset:1920
	buffer_load_dword v224, off, s[0:3], 0 offset:968
	buffer_load_dword v225, off, s[0:3], 0 offset:972
	;; [unrolled: 1-line block ×4, first 2 shown]
	v_add_f64 v[2:3], v[2:3], v[4:5]
	v_mul_f64 v[4:5], v[124:125], v[24:25]
	v_fma_f64 v[4:5], v[122:123], v[142:143], -v[4:5]
	v_add_f64 v[2:3], v[2:3], v[4:5]
	v_accvgpr_read_b32 v4, a192
	v_accvgpr_read_b32 v5, a193
	v_accvgpr_read_b32 v6, a194
	v_mul_f64 v[4:5], v[128:129], v[4:5]
	v_accvgpr_read_b32 v7, a195
	v_fma_f64 v[4:5], v[126:127], v[6:7], -v[4:5]
	v_add_f64 v[2:3], v[2:3], v[4:5]
	v_mul_f64 v[4:5], v[132:133], v[146:147]
	v_fma_f64 v[4:5], v[130:131], v[148:149], -v[4:5]
	v_add_f64 v[2:3], v[2:3], v[4:5]
	v_accvgpr_read_b32 v4, a196
	v_accvgpr_read_b32 v5, a197
	v_accvgpr_read_b32 v6, a198
	v_mul_f64 v[4:5], v[136:137], v[4:5]
	v_accvgpr_read_b32 v7, a199
	v_fma_f64 v[4:5], v[134:135], v[6:7], -v[4:5]
	;; [unrolled: 10-line block ×4, first 2 shown]
	v_add_f64 v[2:3], v[2:3], v[4:5]
	v_mul_f64 v[4:5], v[40:41], v[158:159]
	v_fma_f64 v[4:5], v[38:39], v[160:161], -v[4:5]
	v_add_f64 v[2:3], v[2:3], v[4:5]
	v_accvgpr_read_b32 v4, a208
	v_accvgpr_read_b32 v5, a209
	v_mul_f64 v[4:5], v[44:45], v[4:5]
	v_fma_f64 v[4:5], v[42:43], v[144:145], -v[4:5]
	v_add_f64 v[2:3], v[2:3], v[4:5]
	v_mul_f64 v[4:5], v[48:49], v[22:23]
	v_fma_f64 v[4:5], v[46:47], v[164:165], -v[4:5]
	v_add_f64 v[2:3], v[2:3], v[4:5]
	;; [unrolled: 3-line block ×9, first 2 shown]
	v_mul_f64 v[4:5], v[80:81], v[198:199]
	v_fma_f64 v[4:5], v[78:79], v[202:203], -v[4:5]
	s_waitcnt vmcnt(6) lgkmcnt(0)
	v_mul_f64 v[108:109], v[102:103], v[0:1]
	v_add_f64 v[2:3], v[2:3], v[4:5]
	s_waitcnt vmcnt(4)
	v_fmac_f64_e32 v[108:109], v[104:105], v[222:223]
	v_add_f64 v[228:229], v[106:107], v[108:109]
	ds_read_b128 v[106:109], v184 offset:1936
	v_mul_f64 v[4:5], v[84:85], v[192:193]
	v_fma_f64 v[4:5], v[82:83], v[200:201], -v[4:5]
	v_add_f64 v[2:3], v[2:3], v[4:5]
	v_mul_f64 v[4:5], v[88:89], v[204:205]
	s_waitcnt vmcnt(2) lgkmcnt(0)
	v_mul_f64 v[230:231], v[106:107], v[224:225]
	s_waitcnt vmcnt(0)
	v_fmac_f64_e32 v[230:231], v[108:109], v[226:227]
	v_add_f64 v[232:233], v[228:229], v[230:231]
	buffer_load_dword v229, off, s[0:3], 0 offset:988
	buffer_load_dword v228, off, s[0:3], 0 offset:984
	;; [unrolled: 1-line block ×4, first 2 shown]
	ds_read_b128 v[234:237], v184 offset:1952
	buffer_load_dword v242, off, s[0:3], 0 offset:1000
	buffer_load_dword v243, off, s[0:3], 0 offset:1004
	;; [unrolled: 1-line block ×4, first 2 shown]
	v_fma_f64 v[4:5], v[86:87], v[206:207], -v[4:5]
	v_add_f64 v[2:3], v[2:3], v[4:5]
	v_mul_f64 v[4:5], v[92:93], v[208:209]
	v_fma_f64 v[4:5], v[90:91], v[210:211], -v[4:5]
	v_add_f64 v[2:3], v[2:3], v[4:5]
	v_mul_f64 v[4:5], v[96:97], v[212:213]
	;; [unrolled: 3-line block ×3, first 2 shown]
	v_fma_f64 v[4:5], v[98:99], v[218:219], -v[4:5]
	v_mul_f64 v[0:1], v[104:105], v[0:1]
	v_add_f64 v[2:3], v[2:3], v[4:5]
	v_fma_f64 v[0:1], v[102:103], v[222:223], -v[0:1]
	v_add_f64 v[0:1], v[2:3], v[0:1]
	v_mul_f64 v[2:3], v[108:109], v[224:225]
	v_fma_f64 v[2:3], v[106:107], v[226:227], -v[2:3]
	v_add_f64 v[0:1], v[0:1], v[2:3]
	s_waitcnt vmcnt(6) lgkmcnt(0)
	v_mul_f64 v[238:239], v[234:235], v[228:229]
	v_mul_f64 v[2:3], v[236:237], v[228:229]
	s_waitcnt vmcnt(4)
	v_fmac_f64_e32 v[238:239], v[236:237], v[230:231]
	v_add_f64 v[232:233], v[232:233], v[238:239]
	ds_read_b128 v[238:241], v184 offset:1968
	v_fma_f64 v[2:3], v[234:235], v[230:231], -v[2:3]
	v_add_f64 v[0:1], v[0:1], v[2:3]
	s_waitcnt vmcnt(2) lgkmcnt(0)
	v_mul_f64 v[248:249], v[238:239], v[242:243]
	s_waitcnt vmcnt(0)
	v_fmac_f64_e32 v[248:249], v[240:241], v[244:245]
	v_add_f64 v[232:233], v[232:233], v[248:249]
	buffer_load_dword v248, off, s[0:3], 0 offset:208
	buffer_load_dword v249, off, s[0:3], 0 offset:212
	buffer_load_dword v246, off, s[0:3], 0 offset:216
	buffer_load_dword v247, off, s[0:3], 0 offset:220
	v_mul_f64 v[2:3], v[240:241], v[242:243]
	v_fma_f64 v[2:3], v[238:239], v[244:245], -v[2:3]
	v_add_f64 v[0:1], v[0:1], v[2:3]
	s_waitcnt vmcnt(2)
	v_add_f64 v[0:1], v[248:249], -v[0:1]
	s_waitcnt vmcnt(0)
	v_add_f64 v[2:3], v[246:247], -v[232:233]
	buffer_store_dword v1, off, s[0:3], 0 offset:212
	buffer_store_dword v0, off, s[0:3], 0 offset:208
	;; [unrolled: 1-line block ×4, first 2 shown]
	s_and_saveexec_b64 s[4:5], vcc
	s_cbranch_execz .LBB125_375
; %bb.374:
	v_accvgpr_read_b32 v3, a174
	buffer_load_dword v0, v3, s[0:3], 0 offen
	buffer_load_dword v1, v3, s[0:3], 0 offen offset:4
	buffer_load_dword v2, v3, s[0:3], 0 offen offset:8
	s_nop 0
	buffer_load_dword v3, v3, s[0:3], 0 offen offset:12
	v_accvgpr_read_b32 v4, a186
	buffer_store_dword v184, off, s[0:3], 0 offset:192
	buffer_store_dword v184, off, s[0:3], 0 offset:196
	;; [unrolled: 1-line block ×4, first 2 shown]
	s_waitcnt vmcnt(4)
	ds_write_b128 v4, v[0:3]
.LBB125_375:
	s_or_b64 exec, exec, s[4:5]
	s_waitcnt lgkmcnt(0)
	; wave barrier
	s_waitcnt lgkmcnt(0)
	buffer_load_dword v34, off, s[0:3], 0 offset:208
	buffer_load_dword v35, off, s[0:3], 0 offset:212
	;; [unrolled: 1-line block ×42, first 2 shown]
	ds_read_b128 v[42:45], v184 offset:1184
	ds_read_b128 v[108:111], v184 offset:1200
	;; [unrolled: 1-line block ×10, first 2 shown]
	buffer_load_dword v1, off, s[0:3], 0 offset:356
	buffer_load_dword v0, off, s[0:3], 0 offset:352
	ds_read_b128 v[46:49], v184 offset:1344
	buffer_load_dword v85, off, s[0:3], 0 offset:412
	buffer_load_dword v84, off, s[0:3], 0 offset:408
	;; [unrolled: 1-line block ×6, first 2 shown]
	s_waitcnt vmcnt(46) lgkmcnt(10)
	v_mul_f64 v[2:3], v[42:43], v[36:37]
	v_fmac_f64_e32 v[2:3], v[44:45], v[34:35]
	v_add_f64 v[2:3], v[2:3], 0
	v_mul_f64 v[36:37], v[44:45], v[36:37]
	s_waitcnt vmcnt(42) lgkmcnt(9)
	v_mul_f64 v[4:5], v[108:109], v[40:41]
	v_fmac_f64_e32 v[4:5], v[110:111], v[38:39]
	s_waitcnt vmcnt(40) lgkmcnt(8)
	v_mul_f64 v[6:7], v[112:113], v[158:159]
	v_add_f64 v[2:3], v[2:3], v[4:5]
	s_waitcnt vmcnt(38) lgkmcnt(6)
	v_mul_f64 v[10:11], v[170:171], v[52:53]
	v_mul_f64 v[52:53], v[172:173], v[52:53]
	s_waitcnt vmcnt(36)
	v_fmac_f64_e32 v[10:11], v[172:173], v[54:55]
	s_waitcnt vmcnt(34)
	v_mul_f64 v[8:9], v[166:167], v[56:57]
	v_mul_f64 v[56:57], v[168:169], v[56:57]
	s_waitcnt vmcnt(32) lgkmcnt(4)
	v_mul_f64 v[14:15], v[186:187], v[58:59]
	s_waitcnt vmcnt(30)
	v_fmac_f64_e32 v[14:15], v[188:189], v[60:61]
	s_waitcnt vmcnt(28)
	v_mul_f64 v[12:13], v[178:179], v[182:183]
	s_waitcnt vmcnt(26) lgkmcnt(2)
	v_mul_f64 v[18:19], v[194:195], v[64:65]
	s_waitcnt vmcnt(23)
	v_mul_f64 v[16:17], v[190:191], v[70:71]
	s_waitcnt vmcnt(21) lgkmcnt(1)
	v_mul_f64 v[20:21], v[198:199], v[68:69]
	s_waitcnt vmcnt(19)
	v_fmac_f64_e32 v[6:7], v[114:115], v[78:79]
	v_add_f64 v[2:3], v[2:3], v[6:7]
	s_waitcnt vmcnt(17)
	v_fmac_f64_e32 v[8:9], v[168:169], v[76:77]
	v_add_f64 v[2:3], v[2:3], v[8:9]
	;; [unrolled: 3-line block ×3, first 2 shown]
	v_add_f64 v[2:3], v[2:3], v[12:13]
	s_waitcnt vmcnt(13)
	v_fmac_f64_e32 v[16:17], v[192:193], v[72:73]
	v_add_f64 v[2:3], v[2:3], v[14:15]
	s_waitcnt vmcnt(12)
	v_fmac_f64_e32 v[18:19], v[196:197], v[66:67]
	v_add_f64 v[2:3], v[2:3], v[16:17]
	v_add_f64 v[6:7], v[2:3], v[18:19]
	buffer_load_dword v209, off, s[0:3], 0 offset:388
	buffer_load_dword v208, off, s[0:3], 0 offset:384
	;; [unrolled: 1-line block ×36, first 2 shown]
	s_waitcnt vmcnt(42)
	v_fmac_f64_e32 v[20:21], v[200:201], v[0:1]
	s_waitcnt lgkmcnt(0)
	v_mul_f64 v[8:9], v[46:47], v[80:81]
	v_add_f64 v[6:7], v[6:7], v[20:21]
	v_fmac_f64_e32 v[8:9], v[48:49], v[82:83]
	v_add_f64 v[6:7], v[6:7], v[8:9]
	v_fma_f64 v[210:211], v[166:167], v[76:77], -v[56:57]
	v_fma_f64 v[76:77], v[170:171], v[54:55], -v[52:53]
	v_mul_f64 v[52:53], v[180:181], v[182:183]
	v_fma_f64 v[74:75], v[178:179], v[74:75], -v[52:53]
	v_mul_f64 v[52:53], v[188:189], v[58:59]
	v_mul_f64 v[54:55], v[192:193], v[70:71]
	s_waitcnt vmcnt(0)
	v_pk_mov_b32 v[18:19], v[4:5], v[4:5] op_sel:[0,1]
	buffer_load_dword v5, off, s[0:3], 0 offset:564
	buffer_load_dword v4, off, s[0:3], 0 offset:560
	v_accvgpr_write_b32 a193, v19
	v_accvgpr_write_b32 a192, v18
	s_waitcnt vmcnt(0)
	v_pk_mov_b32 v[22:23], v[4:5], v[4:5] op_sel:[0,1]
	buffer_load_dword v5, off, s[0:3], 0 offset:556
	buffer_load_dword v4, off, s[0:3], 0 offset:552
	v_accvgpr_write_b32 a195, v23
	v_accvgpr_write_b32 a194, v22
	;; [unrolled: 6-line block ×5, first 2 shown]
	s_waitcnt vmcnt(0)
	v_pk_mov_b32 v[28:29], v[4:5], v[4:5] op_sel:[0,1]
	buffer_load_dword v143, off, s[0:3], 0 offset:588
	buffer_load_dword v142, off, s[0:3], 0 offset:584
	;; [unrolled: 1-line block ×6, first 2 shown]
	v_accvgpr_write_b32 a199, v29
	v_accvgpr_write_b32 a198, v28
	s_waitcnt vmcnt(0)
	v_pk_mov_b32 v[160:161], v[4:5], v[4:5] op_sel:[0,1]
	buffer_load_dword v5, off, s[0:3], 0 offset:628
	buffer_load_dword v4, off, s[0:3], 0 offset:624
	v_accvgpr_write_b32 a201, v161
	v_accvgpr_write_b32 a200, v160
	s_waitcnt vmcnt(0)
	v_pk_mov_b32 v[162:163], v[4:5], v[4:5] op_sel:[0,1]
	buffer_load_dword v147, off, s[0:3], 0 offset:620
	buffer_load_dword v146, off, s[0:3], 0 offset:616
	;; [unrolled: 1-line block ×6, first 2 shown]
	v_accvgpr_write_b32 a203, v163
	v_accvgpr_write_b32 a202, v162
	s_waitcnt vmcnt(0)
	v_pk_mov_b32 v[164:165], v[4:5], v[4:5] op_sel:[0,1]
	buffer_load_dword v5, off, s[0:3], 0 offset:660
	buffer_load_dword v4, off, s[0:3], 0 offset:656
	v_accvgpr_write_b32 a205, v165
	v_accvgpr_write_b32 a204, v164
	s_waitcnt vmcnt(0)
	v_pk_mov_b32 v[174:175], v[4:5], v[4:5] op_sel:[0,1]
	buffer_load_dword v151, off, s[0:3], 0 offset:652
	buffer_load_dword v150, off, s[0:3], 0 offset:648
	;; [unrolled: 1-line block ×6, first 2 shown]
	v_accvgpr_write_b32 a207, v175
	v_accvgpr_write_b32 a206, v174
	s_waitcnt vmcnt(0)
	v_pk_mov_b32 v[212:213], v[4:5], v[4:5] op_sel:[0,1]
	buffer_load_dword v5, off, s[0:3], 0 offset:692
	buffer_load_dword v4, off, s[0:3], 0 offset:688
	;; [unrolled: 1-line block ×6, first 2 shown]
	ds_read_b128 v[204:207], v184 offset:1360
	ds_read_b128 v[216:219], v184 offset:1376
	;; [unrolled: 1-line block ×6, first 2 shown]
	s_waitcnt lgkmcnt(5)
	v_mul_f64 v[8:9], v[204:205], v[116:117]
	v_fmac_f64_e32 v[8:9], v[206:207], v[208:209]
	v_add_f64 v[6:7], v[6:7], v[8:9]
	s_waitcnt lgkmcnt(4)
	v_mul_f64 v[8:9], v[216:217], v[84:85]
	v_fmac_f64_e32 v[8:9], v[218:219], v[86:87]
	v_add_f64 v[6:7], v[6:7], v[8:9]
	s_waitcnt lgkmcnt(3)
	v_mul_f64 v[8:9], v[220:221], v[202:203]
	v_fmac_f64_e32 v[8:9], v[222:223], v[50:51]
	v_add_f64 v[6:7], v[6:7], v[8:9]
	s_waitcnt lgkmcnt(2)
	v_mul_f64 v[8:9], v[224:225], v[248:249]
	v_fmac_f64_e32 v[8:9], v[226:227], v[250:251]
	ds_read_b128 v[236:239], v184 offset:1456
	ds_read_b128 v[240:243], v184 offset:1472
	v_add_f64 v[6:7], v[6:7], v[8:9]
	s_waitcnt lgkmcnt(3)
	v_mul_f64 v[8:9], v[228:229], v[2:3]
	v_fmac_f64_e32 v[8:9], v[230:231], v[62:63]
	v_add_f64 v[6:7], v[6:7], v[8:9]
	s_waitcnt lgkmcnt(2)
	v_mul_f64 v[8:9], v[232:233], v[100:101]
	v_fmac_f64_e32 v[8:9], v[234:235], v[102:103]
	ds_read_b128 v[244:247], v184 offset:1488
	ds_read_b128 v[252:255], v184 offset:1504
	v_add_f64 v[6:7], v[6:7], v[8:9]
	s_waitcnt lgkmcnt(3)
	v_mul_f64 v[8:9], v[236:237], v[104:105]
	v_fmac_f64_e32 v[8:9], v[238:239], v[106:107]
	v_add_f64 v[6:7], v[6:7], v[8:9]
	s_waitcnt lgkmcnt(2)
	v_mul_f64 v[8:9], v[240:241], v[88:89]
	ds_read_b128 v[138:141], v184 offset:1520
	ds_read_b128 v[134:137], v184 offset:1536
	v_fmac_f64_e32 v[8:9], v[242:243], v[92:93]
	v_add_f64 v[6:7], v[6:7], v[8:9]
	s_waitcnt lgkmcnt(3)
	v_mul_f64 v[8:9], v[244:245], v[90:91]
	ds_read_b128 v[130:133], v184 offset:1552
	ds_read_b128 v[126:129], v184 offset:1568
	;; [unrolled: 6-line block ×3, first 2 shown]
	v_fmac_f64_e32 v[8:9], v[254:255], v[96:97]
	s_waitcnt lgkmcnt(5)
	v_mul_f64 v[12:13], v[138:139], v[14:15]
	v_add_f64 v[10:11], v[6:7], v[8:9]
	v_fmac_f64_e32 v[12:13], v[140:141], v[16:17]
	s_waitcnt lgkmcnt(4)
	v_mul_f64 v[16:17], v[134:135], v[18:19]
	v_add_f64 v[14:15], v[10:11], v[12:13]
	;; [unrolled: 4-line block ×6, first 2 shown]
	ds_read_b128 v[26:29], v184 offset:1616
	v_fmac_f64_e32 v[32:33], v[120:121], v[162:163]
	v_add_f64 v[160:161], v[30:31], v[32:33]
	ds_read_b128 v[30:33], v184 offset:1632
	v_fma_f64 v[18:19], v[42:43], v[34:35], -v[36:37]
	ds_read_b128 v[34:37], v184 offset:1648
	s_waitcnt lgkmcnt(2)
	v_mul_f64 v[42:43], v[26:27], v[150:151]
	v_fmac_f64_e32 v[42:43], v[28:29], v[152:153]
	s_waitcnt lgkmcnt(1)
	v_mul_f64 v[44:45], v[30:31], v[164:165]
	v_add_f64 v[42:43], v[160:161], v[42:43]
	v_fmac_f64_e32 v[44:45], v[32:33], v[174:175]
	v_add_f64 v[42:43], v[42:43], v[44:45]
	v_mul_f64 v[8:9], v[110:111], v[40:41]
	v_fma_f64 v[14:15], v[108:109], v[38:39], -v[8:9]
	v_mul_f64 v[108:109], v[114:115], v[158:159]
	s_waitcnt vmcnt(2) lgkmcnt(0)
	v_mul_f64 v[44:45], v[34:35], v[154:155]
	v_fma_f64 v[78:79], v[112:113], v[78:79], -v[108:109]
	s_waitcnt vmcnt(0)
	v_fmac_f64_e32 v[44:45], v[36:37], v[156:157]
	v_add_f64 v[20:21], v[42:43], v[44:45]
	ds_read_b128 v[42:45], v184 offset:1664
	ds_read_b128 v[38:41], v184 offset:1680
	buffer_load_dword v158, off, s[0:3], 0 offset:728
	buffer_load_dword v163, off, s[0:3], 0 offset:716
	;; [unrolled: 1-line block ×24, first 2 shown]
	v_fma_f64 v[108:109], v[186:187], v[60:61], -v[52:53]
	buffer_load_dword v183, off, s[0:3], 0 offset:812
	buffer_load_dword v182, off, s[0:3], 0 offset:808
	;; [unrolled: 1-line block ×4, first 2 shown]
	v_fma_f64 v[10:11], v[190:191], v[72:73], -v[54:55]
	buffer_load_dword v190, off, s[0:3], 0 offset:824
	buffer_load_dword v192, off, s[0:3], 0 offset:816
	;; [unrolled: 1-line block ×4, first 2 shown]
	v_mul_f64 v[12:13], v[196:197], v[64:65]
	v_mul_f64 v[54:55], v[200:201], v[68:69]
	v_fma_f64 v[12:13], v[194:195], v[66:67], -v[12:13]
	v_fma_f64 v[8:9], v[198:199], v[0:1], -v[54:55]
	buffer_load_dword v189, off, s[0:3], 0 offset:860
	buffer_load_dword v195, off, s[0:3], 0 offset:844
	;; [unrolled: 1-line block ×12, first 2 shown]
	v_mul_f64 v[16:17], v[48:49], v[80:81]
	v_accvgpr_write_b32 a208, v212
	v_fma_f64 v[16:17], v[46:47], v[82:83], -v[16:17]
	v_mul_f64 v[46:47], v[206:207], v[116:117]
	s_waitcnt lgkmcnt(1)
	v_mul_f64 v[52:53], v[42:43], v[212:213]
	v_accvgpr_write_b32 a209, v213
	v_fma_f64 v[6:7], v[204:205], v[208:209], -v[46:47]
	buffer_load_dword v206, off, s[0:3], 0 offset:888
	buffer_load_dword v208, off, s[0:3], 0 offset:880
	;; [unrolled: 1-line block ×12, first 2 shown]
	v_fmac_f64_e32 v[52:53], v[44:45], v[4:5]
	v_accvgpr_write_b32 a211, v5
	v_accvgpr_write_b32 a210, v4
	v_add_f64 v[4:5], v[20:21], v[52:53]
	v_mul_f64 v[20:21], v[218:219], v[84:85]
	v_fma_f64 v[20:21], v[216:217], v[86:87], -v[20:21]
	buffer_load_dword v217, off, s[0:3], 0 offset:940
	buffer_load_dword v216, off, s[0:3], 0 offset:936
	buffer_load_dword v219, off, s[0:3], 0 offset:932
	buffer_load_dword v218, off, s[0:3], 0 offset:928
	ds_read_b128 v[46:49], v184 offset:1696
	v_mul_f64 v[58:59], v[226:227], v[248:249]
	v_fma_f64 v[248:249], v[224:225], v[250:251], -v[58:59]
	v_mul_f64 v[2:3], v[230:231], v[2:3]
	v_fma_f64 v[250:251], v[228:229], v[62:63], -v[2:3]
	ds_read_b128 v[70:73], v184 offset:1792
	v_mul_f64 v[82:83], v[242:243], v[88:89]
	v_mul_f64 v[94:95], v[254:255], v[94:95]
	v_fma_f64 v[252:253], v[252:253], v[96:97], -v[94:95]
	ds_read_b128 v[94:97], v184 offset:1888
	v_add_f64 v[18:19], v[18:19], 0
	v_add_f64 v[14:15], v[18:19], v[14:15]
	;; [unrolled: 1-line block ×13, first 2 shown]
	v_accvgpr_read_b32 v8, a190
	v_accvgpr_read_b32 v9, a191
	ds_read_b128 v[58:61], v184 offset:1744
	s_waitcnt vmcnt(57) lgkmcnt(4)
	v_mul_f64 v[52:53], v[38:39], v[162:163]
	s_waitcnt vmcnt(55)
	v_fmac_f64_e32 v[52:53], v[40:41], v[164:165]
	v_add_f64 v[4:5], v[4:5], v[52:53]
	v_mul_f64 v[52:53], v[222:223], v[202:203]
	v_fma_f64 v[202:203], v[220:221], v[50:51], -v[52:53]
	ds_read_b128 v[50:53], v184 offset:1712
	s_waitcnt vmcnt(53) lgkmcnt(4)
	v_mul_f64 v[54:55], v[46:47], v[158:159]
	s_waitcnt vmcnt(52)
	v_fmac_f64_e32 v[54:55], v[48:49], v[166:167]
	v_add_f64 v[4:5], v[4:5], v[54:55]
	ds_read_b128 v[54:57], v184 offset:1728
	s_waitcnt vmcnt(48) lgkmcnt(1)
	v_mul_f64 v[64:65], v[50:51], v[174:175]
	s_waitcnt vmcnt(46)
	v_fmac_f64_e32 v[64:65], v[52:53], v[176:177]
	v_add_f64 v[4:5], v[4:5], v[64:65]
	ds_read_b128 v[62:65], v184 offset:1760
	s_waitcnt lgkmcnt(1)
	v_mul_f64 v[66:67], v[54:55], v[160:161]
	s_waitcnt vmcnt(44)
	v_fmac_f64_e32 v[66:67], v[56:57], v[172:173]
	v_add_f64 v[2:3], v[4:5], v[66:67]
	ds_read_b128 v[66:69], v184 offset:1776
	s_waitcnt vmcnt(40)
	v_mul_f64 v[4:5], v[58:59], v[178:179]
	s_waitcnt vmcnt(38)
	v_fmac_f64_e32 v[4:5], v[60:61], v[180:181]
	v_add_f64 v[2:3], v[2:3], v[4:5]
	s_waitcnt vmcnt(37) lgkmcnt(1)
	v_mul_f64 v[4:5], v[62:63], v[168:169]
	s_waitcnt vmcnt(36)
	v_fmac_f64_e32 v[4:5], v[64:65], v[170:171]
	v_add_f64 v[2:3], v[2:3], v[4:5]
	v_mul_f64 v[4:5], v[234:235], v[100:101]
	v_fma_f64 v[232:233], v[232:233], v[102:103], -v[4:5]
	s_waitcnt vmcnt(34) lgkmcnt(0)
	v_mul_f64 v[4:5], v[66:67], v[182:183]
	s_waitcnt vmcnt(32)
	v_fmac_f64_e32 v[4:5], v[68:69], v[186:187]
	v_add_f64 v[2:3], v[2:3], v[4:5]
	v_mul_f64 v[4:5], v[238:239], v[104:105]
	v_fma_f64 v[0:1], v[236:237], v[106:107], -v[4:5]
	ds_read_b128 v[234:237], v184 offset:1808
	s_waitcnt vmcnt(29)
	v_mul_f64 v[4:5], v[70:71], v[190:191]
	s_waitcnt vmcnt(28)
	v_fmac_f64_e32 v[4:5], v[72:73], v[192:193]
	v_add_f64 v[24:25], v[2:3], v[4:5]
	ds_read_b128 v[2:5], v184 offset:1824
	v_fma_f64 v[106:107], v[240:241], v[92:93], -v[82:83]
	ds_read_b128 v[82:85], v184 offset:1840
	s_waitcnt vmcnt(25) lgkmcnt(2)
	v_mul_f64 v[86:87], v[234:235], v[194:195]
	s_waitcnt vmcnt(23)
	v_fmac_f64_e32 v[86:87], v[236:237], v[200:201]
	v_add_f64 v[24:25], v[24:25], v[86:87]
	s_waitcnt vmcnt(22) lgkmcnt(1)
	v_mul_f64 v[86:87], v[2:3], v[188:189]
	s_waitcnt vmcnt(20)
	v_fmac_f64_e32 v[86:87], v[4:5], v[198:199]
	v_add_f64 v[86:87], v[24:25], v[86:87]
	s_waitcnt vmcnt(18) lgkmcnt(0)
	v_mul_f64 v[88:89], v[82:83], v[196:197]
	v_mul_f64 v[24:25], v[246:247], v[90:91]
	ds_read_b128 v[90:93], v184 offset:1856
	s_waitcnt vmcnt(16)
	v_fmac_f64_e32 v[88:89], v[84:85], v[22:23]
	v_fma_f64 v[24:25], v[244:245], v[98:99], -v[24:25]
	v_add_f64 v[98:99], v[86:87], v[88:89]
	ds_read_b128 v[86:89], v184 offset:1872
	s_waitcnt vmcnt(13) lgkmcnt(1)
	v_mul_f64 v[100:101], v[90:91], v[206:207]
	s_waitcnt vmcnt(12)
	v_fmac_f64_e32 v[100:101], v[92:93], v[208:209]
	v_add_f64 v[98:99], v[98:99], v[100:101]
	v_add_f64 v[6:7], v[6:7], v[202:203]
	s_waitcnt vmcnt(9) lgkmcnt(0)
	v_mul_f64 v[100:101], v[86:87], v[212:213]
	s_waitcnt vmcnt(7)
	v_fmac_f64_e32 v[100:101], v[88:89], v[214:215]
	v_add_f64 v[98:99], v[98:99], v[100:101]
	s_waitcnt vmcnt(5)
	v_mul_f64 v[100:101], v[94:95], v[204:205]
	s_waitcnt vmcnt(4)
	v_fmac_f64_e32 v[100:101], v[96:97], v[80:81]
	v_add_f64 v[102:103], v[98:99], v[100:101]
	ds_read_b128 v[98:101], v184 offset:1904
	buffer_load_dword v220, off, s[0:3], 0 offset:952
	buffer_load_dword v221, off, s[0:3], 0 offset:956
	;; [unrolled: 1-line block ×4, first 2 shown]
	v_add_f64 v[6:7], v[6:7], v[248:249]
	v_add_f64 v[6:7], v[6:7], v[250:251]
	;; [unrolled: 1-line block ×3, first 2 shown]
	s_waitcnt vmcnt(6) lgkmcnt(0)
	v_mul_f64 v[104:105], v[98:99], v[216:217]
	s_waitcnt vmcnt(4)
	v_fmac_f64_e32 v[104:105], v[100:101], v[218:219]
	v_add_f64 v[110:111], v[102:103], v[104:105]
	ds_read_b128 v[102:105], v184 offset:1920
	buffer_load_dword v225, off, s[0:3], 0 offset:972
	buffer_load_dword v224, off, s[0:3], 0 offset:968
	;; [unrolled: 1-line block ×4, first 2 shown]
	ds_read_b128 v[238:241], v184 offset:1936
	buffer_load_dword v228, off, s[0:3], 0 offset:984
	buffer_load_dword v229, off, s[0:3], 0 offset:988
	;; [unrolled: 1-line block ×4, first 2 shown]
	v_add_f64 v[0:1], v[6:7], v[0:1]
	v_accvgpr_read_b32 v6, a188
	v_add_f64 v[254:255], v[0:1], v[106:107]
	v_accvgpr_read_b32 v7, a189
	v_add_f64 v[0:1], v[254:255], v[24:25]
	v_mul_f64 v[6:7], v[140:141], v[6:7]
	v_add_f64 v[0:1], v[0:1], v[252:253]
	v_fma_f64 v[6:7], v[138:139], v[8:9], -v[6:7]
	v_add_f64 v[0:1], v[0:1], v[6:7]
	v_accvgpr_read_b32 v6, a192
	v_accvgpr_read_b32 v7, a193
	v_accvgpr_read_b32 v8, a194
	v_mul_f64 v[6:7], v[136:137], v[6:7]
	v_accvgpr_read_b32 v9, a195
	v_fma_f64 v[6:7], v[134:135], v[8:9], -v[6:7]
	v_add_f64 v[0:1], v[0:1], v[6:7]
	v_mul_f64 v[6:7], v[132:133], v[142:143]
	v_fma_f64 v[6:7], v[130:131], v[144:145], -v[6:7]
	v_add_f64 v[0:1], v[0:1], v[6:7]
	v_accvgpr_read_b32 v6, a196
	v_accvgpr_read_b32 v7, a197
	v_accvgpr_read_b32 v8, a198
	v_mul_f64 v[6:7], v[128:129], v[6:7]
	v_accvgpr_read_b32 v9, a199
	v_fma_f64 v[6:7], v[126:127], v[8:9], -v[6:7]
	v_add_f64 v[0:1], v[0:1], v[6:7]
	v_mul_f64 v[6:7], v[124:125], v[146:147]
	;; [unrolled: 10-line block ×5, first 2 shown]
	v_fma_f64 v[6:7], v[38:39], v[164:165], -v[6:7]
	v_add_f64 v[0:1], v[0:1], v[6:7]
	v_mul_f64 v[6:7], v[48:49], v[158:159]
	v_fma_f64 v[6:7], v[46:47], v[166:167], -v[6:7]
	v_add_f64 v[0:1], v[0:1], v[6:7]
	v_mul_f64 v[6:7], v[52:53], v[174:175]
	;; [unrolled: 3-line block ×3, first 2 shown]
	v_fma_f64 v[6:7], v[54:55], v[172:173], -v[6:7]
	s_waitcnt vmcnt(10) lgkmcnt(1)
	v_mul_f64 v[112:113], v[102:103], v[220:221]
	v_add_f64 v[0:1], v[0:1], v[6:7]
	s_waitcnt vmcnt(8)
	v_fmac_f64_e32 v[112:113], v[104:105], v[222:223]
	v_add_f64 v[110:111], v[110:111], v[112:113]
	v_mul_f64 v[6:7], v[60:61], v[178:179]
	v_fma_f64 v[6:7], v[58:59], v[180:181], -v[6:7]
	v_add_f64 v[0:1], v[0:1], v[6:7]
	v_mul_f64 v[6:7], v[64:65], v[168:169]
	s_waitcnt vmcnt(6) lgkmcnt(0)
	v_mul_f64 v[112:113], v[238:239], v[224:225]
	v_fma_f64 v[6:7], v[62:63], v[170:171], -v[6:7]
	s_waitcnt vmcnt(4)
	v_fmac_f64_e32 v[112:113], v[240:241], v[226:227]
	v_add_f64 v[114:115], v[110:111], v[112:113]
	ds_read_b128 v[110:113], v184 offset:1952
	buffer_load_dword v243, off, s[0:3], 0 offset:1004
	buffer_load_dword v242, off, s[0:3], 0 offset:1000
	;; [unrolled: 1-line block ×4, first 2 shown]
	v_add_f64 v[0:1], v[0:1], v[6:7]
	v_mul_f64 v[6:7], v[68:69], v[182:183]
	v_fma_f64 v[6:7], v[66:67], v[186:187], -v[6:7]
	s_waitcnt vmcnt(6) lgkmcnt(0)
	v_mul_f64 v[116:117], v[110:111], v[228:229]
	s_waitcnt vmcnt(4)
	v_fmac_f64_e32 v[116:117], v[112:113], v[230:231]
	v_add_f64 v[246:247], v[114:115], v[116:117]
	ds_read_b128 v[114:117], v184 offset:1968
	v_add_f64 v[0:1], v[0:1], v[6:7]
	v_mul_f64 v[6:7], v[72:73], v[190:191]
	v_fma_f64 v[6:7], v[70:71], v[192:193], -v[6:7]
	v_add_f64 v[0:1], v[0:1], v[6:7]
	v_mul_f64 v[6:7], v[236:237], v[194:195]
	v_fma_f64 v[6:7], v[234:235], v[200:201], -v[6:7]
	v_mul_f64 v[4:5], v[4:5], v[188:189]
	v_add_f64 v[0:1], v[0:1], v[6:7]
	v_fma_f64 v[2:3], v[2:3], v[198:199], -v[4:5]
	v_add_f64 v[0:1], v[0:1], v[2:3]
	v_mul_f64 v[2:3], v[84:85], v[196:197]
	v_fma_f64 v[2:3], v[82:83], v[22:23], -v[2:3]
	v_add_f64 v[0:1], v[0:1], v[2:3]
	v_mul_f64 v[2:3], v[92:93], v[206:207]
	;; [unrolled: 3-line block ×8, first 2 shown]
	v_fma_f64 v[2:3], v[110:111], v[230:231], -v[2:3]
	v_add_f64 v[0:1], v[0:1], v[2:3]
	s_waitcnt vmcnt(2) lgkmcnt(0)
	v_mul_f64 v[184:185], v[114:115], v[242:243]
	v_mul_f64 v[2:3], v[116:117], v[242:243]
	s_waitcnt vmcnt(0)
	v_fmac_f64_e32 v[184:185], v[116:117], v[244:245]
	v_add_f64 v[184:185], v[246:247], v[184:185]
	buffer_load_dword v248, off, s[0:3], 0 offset:192
	buffer_load_dword v249, off, s[0:3], 0 offset:196
	;; [unrolled: 1-line block ×4, first 2 shown]
	v_fma_f64 v[2:3], v[114:115], v[244:245], -v[2:3]
	v_add_f64 v[0:1], v[0:1], v[2:3]
	s_waitcnt vmcnt(2)
	v_add_f64 v[0:1], v[248:249], -v[0:1]
	s_waitcnt vmcnt(0)
	v_add_f64 v[2:3], v[246:247], -v[184:185]
	buffer_store_dword v1, off, s[0:3], 0 offset:196
	buffer_store_dword v0, off, s[0:3], 0 offset:192
	;; [unrolled: 1-line block ×4, first 2 shown]
	v_accvgpr_read_b32 v0, a185
	v_cmp_lt_u32_e32 vcc, 10, v0
	s_and_saveexec_b64 s[4:5], vcc
	s_cbranch_execz .LBB125_377
; %bb.376:
	v_accvgpr_read_b32 v3, a175
	buffer_load_dword v0, v3, s[0:3], 0 offen
	buffer_load_dword v1, v3, s[0:3], 0 offen offset:4
	buffer_load_dword v2, v3, s[0:3], 0 offen offset:8
	s_nop 0
	buffer_load_dword v3, v3, s[0:3], 0 offen offset:12
	v_mov_b32_e32 v4, 0
	v_accvgpr_read_b32 v5, a186
	buffer_store_dword v4, off, s[0:3], 0 offset:176
	buffer_store_dword v4, off, s[0:3], 0 offset:180
	;; [unrolled: 1-line block ×4, first 2 shown]
	s_waitcnt vmcnt(4)
	ds_write_b128 v5, v[0:3]
.LBB125_377:
	s_or_b64 exec, exec, s[4:5]
	s_waitcnt lgkmcnt(0)
	; wave barrier
	s_waitcnt lgkmcnt(0)
	buffer_load_dword v30, off, s[0:3], 0 offset:192
	buffer_load_dword v31, off, s[0:3], 0 offset:196
	;; [unrolled: 1-line block ×36, first 2 shown]
	v_mov_b32_e32 v234, 0
	buffer_load_dword v67, off, s[0:3], 0 offset:364
	buffer_load_dword v66, off, s[0:3], 0 offset:360
	;; [unrolled: 1-line block ×18, first 2 shown]
	ds_read_b128 v[114:117], v234 offset:1168
	ds_read_b128 v[156:159], v234 offset:1184
	;; [unrolled: 1-line block ×9, first 2 shown]
	s_waitcnt vmcnt(50) lgkmcnt(8)
	v_mul_f64 v[0:1], v[114:115], v[32:33]
	v_fmac_f64_e32 v[0:1], v[116:117], v[30:31]
	v_add_f64 v[0:1], v[0:1], 0
	v_mul_f64 v[32:33], v[116:117], v[32:33]
	s_waitcnt vmcnt(46) lgkmcnt(7)
	v_mul_f64 v[2:3], v[156:157], v[38:39]
	v_fmac_f64_e32 v[2:3], v[158:159], v[36:37]
	v_add_f64 v[0:1], v[0:1], v[2:3]
	buffer_load_dword v109, off, s[0:3], 0 offset:420
	buffer_load_dword v108, off, s[0:3], 0 offset:416
	;; [unrolled: 1-line block ×32, first 2 shown]
	s_waitcnt vmcnt(62) lgkmcnt(6)
	v_mul_f64 v[4:5], v[166:167], v[34:35]
	s_waitcnt lgkmcnt(4)
	v_mul_f64 v[8:9], v[174:175], v[40:41]
	v_fmac_f64_e32 v[8:9], v[176:177], v[42:43]
	v_mul_f64 v[38:39], v[158:159], v[38:39]
	v_mul_f64 v[6:7], v[170:171], v[44:45]
	;; [unrolled: 1-line block ×3, first 2 shown]
	s_waitcnt lgkmcnt(2)
	v_mul_f64 v[12:13], v[182:183], v[48:49]
	v_fmac_f64_e32 v[12:13], v[184:185], v[50:51]
	v_mul_f64 v[10:11], v[178:179], v[56:57]
	s_waitcnt lgkmcnt(1)
	v_mul_f64 v[14:15], v[186:187], v[52:53]
	s_waitcnt vmcnt(60)
	v_fmac_f64_e32 v[4:5], v[168:169], v[62:63]
	v_add_f64 v[0:1], v[0:1], v[4:5]
	s_waitcnt vmcnt(58)
	v_fmac_f64_e32 v[6:7], v[172:173], v[60:61]
	v_add_f64 v[0:1], v[0:1], v[6:7]
	;; [unrolled: 3-line block ×3, first 2 shown]
	v_add_f64 v[0:1], v[0:1], v[10:11]
	s_waitcnt vmcnt(54)
	v_fmac_f64_e32 v[14:15], v[188:189], v[54:55]
	v_add_f64 v[0:1], v[0:1], v[12:13]
	v_add_f64 v[0:1], v[0:1], v[14:15]
	v_fma_f64 v[116:117], v[166:167], v[62:63], -v[34:35]
	v_mul_f64 v[34:35], v[172:173], v[44:45]
	v_fma_f64 v[168:169], v[170:171], v[60:61], -v[34:35]
	s_waitcnt vmcnt(0)
	v_pk_mov_b32 v[16:17], v[2:3], v[2:3] op_sel:[0,1]
	buffer_load_dword v3, off, s[0:3], 0 offset:548
	buffer_load_dword v2, off, s[0:3], 0 offset:544
	v_accvgpr_write_b32 a189, v17
	v_accvgpr_write_b32 a188, v16
	s_waitcnt vmcnt(0)
	v_pk_mov_b32 v[18:19], v[2:3], v[2:3] op_sel:[0,1]
	buffer_load_dword v95, off, s[0:3], 0 offset:540
	buffer_load_dword v94, off, s[0:3], 0 offset:536
	;; [unrolled: 1-line block ×6, first 2 shown]
	v_accvgpr_write_b32 a191, v19
	v_accvgpr_write_b32 a190, v18
	s_waitcnt vmcnt(0)
	v_pk_mov_b32 v[22:23], v[2:3], v[2:3] op_sel:[0,1]
	buffer_load_dword v3, off, s[0:3], 0 offset:580
	buffer_load_dword v2, off, s[0:3], 0 offset:576
	v_accvgpr_write_b32 a197, v23
	v_accvgpr_write_b32 a196, v22
	s_waitcnt vmcnt(0)
	v_pk_mov_b32 v[24:25], v[2:3], v[2:3] op_sel:[0,1]
	buffer_load_dword v3, off, s[0:3], 0 offset:572
	buffer_load_dword v2, off, s[0:3], 0 offset:568
	v_accvgpr_write_b32 a199, v25
	v_accvgpr_write_b32 a198, v24
	s_waitcnt vmcnt(0)
	v_pk_mov_b32 v[20:21], v[2:3], v[2:3] op_sel:[0,1]
	buffer_load_dword v3, off, s[0:3], 0 offset:564
	buffer_load_dword v2, off, s[0:3], 0 offset:560
	v_accvgpr_write_b32 a193, v21
	v_accvgpr_write_b32 a192, v20
	s_waitcnt vmcnt(0)
	v_pk_mov_b32 v[26:27], v[2:3], v[2:3] op_sel:[0,1]
	buffer_load_dword v3, off, s[0:3], 0 offset:620
	buffer_load_dword v2, off, s[0:3], 0 offset:616
	v_accvgpr_write_b32 a195, v27
	v_accvgpr_write_b32 a194, v26
	s_waitcnt vmcnt(0)
	v_pk_mov_b32 v[154:155], v[2:3], v[2:3] op_sel:[0,1]
	buffer_load_dword v3, off, s[0:3], 0 offset:612
	buffer_load_dword v2, off, s[0:3], 0 offset:608
	v_accvgpr_write_b32 a205, v155
	v_accvgpr_write_b32 a204, v154
	s_waitcnt vmcnt(0)
	v_pk_mov_b32 v[160:161], v[2:3], v[2:3] op_sel:[0,1]
	buffer_load_dword v3, off, s[0:3], 0 offset:604
	buffer_load_dword v2, off, s[0:3], 0 offset:600
	v_accvgpr_write_b32 a207, v161
	v_accvgpr_write_b32 a206, v160
	s_waitcnt vmcnt(0)
	v_pk_mov_b32 v[140:141], v[2:3], v[2:3] op_sel:[0,1]
	buffer_load_dword v3, off, s[0:3], 0 offset:596
	buffer_load_dword v2, off, s[0:3], 0 offset:592
	v_accvgpr_write_b32 a201, v141
	v_accvgpr_write_b32 a200, v140
	s_waitcnt vmcnt(0)
	v_pk_mov_b32 v[142:143], v[2:3], v[2:3] op_sel:[0,1]
	buffer_load_dword v3, off, s[0:3], 0 offset:652
	buffer_load_dword v2, off, s[0:3], 0 offset:648
	v_accvgpr_write_b32 a203, v143
	v_accvgpr_write_b32 a202, v142
	s_waitcnt vmcnt(0)
	v_pk_mov_b32 v[162:163], v[2:3], v[2:3] op_sel:[0,1]
	buffer_load_dword v3, off, s[0:3], 0 offset:644
	buffer_load_dword v2, off, s[0:3], 0 offset:640
	v_accvgpr_write_b32 a211, v163
	v_accvgpr_write_b32 a210, v162
	s_waitcnt vmcnt(0)
	v_pk_mov_b32 v[164:165], v[2:3], v[2:3] op_sel:[0,1]
	buffer_load_dword v3, off, s[0:3], 0 offset:636
	buffer_load_dword v2, off, s[0:3], 0 offset:632
	buffer_load_dword v145, off, s[0:3], 0 offset:628
	buffer_load_dword v144, off, s[0:3], 0 offset:624
	ds_read_b128 v[196:199], v234 offset:1312
	ds_read_b128 v[200:203], v234 offset:1328
	ds_read_b128 v[204:207], v234 offset:1344
	ds_read_b128 v[208:211], v234 offset:1360
	ds_read_b128 v[216:219], v234 offset:1376
	ds_read_b128 v[220:223], v234 offset:1392
	ds_read_b128 v[224:227], v234 offset:1408
	ds_read_b128 v[228:231], v234 offset:1424
	buffer_load_dword v139, off, s[0:3], 0 offset:684
	buffer_load_dword v149, off, s[0:3], 0 offset:668
	;; [unrolled: 1-line block ×8, first 2 shown]
	ds_read_b128 v[236:239], v234 offset:1440
	ds_read_b128 v[240:243], v234 offset:1456
	;; [unrolled: 1-line block ×4, first 2 shown]
	s_waitcnt lgkmcnt(4)
	v_mul_f64 v[4:5], v[228:229], v[90:91]
	v_fmac_f64_e32 v[4:5], v[230:231], v[98:99]
	ds_read_b128 v[252:255], v234 offset:1504
	ds_read_b128 v[134:137], v234 offset:1520
	;; [unrolled: 1-line block ×6, first 2 shown]
	s_waitcnt lgkmcnt(5)
	v_mul_f64 v[8:9], v[252:253], v[94:95]
	v_fmac_f64_e32 v[8:9], v[254:255], v[96:97]
	s_waitcnt lgkmcnt(4)
	v_mul_f64 v[12:13], v[134:135], v[16:17]
	v_fmac_f64_e32 v[12:13], v[136:137], v[18:19]
	s_waitcnt lgkmcnt(3)
	v_mul_f64 v[16:17], v[130:131], v[20:21]
	s_waitcnt lgkmcnt(1)
	v_mul_f64 v[28:29], v[122:123], v[140:141]
	v_fmac_f64_e32 v[16:17], v[132:133], v[26:27]
	v_mul_f64 v[20:21], v[126:127], v[22:23]
	v_fmac_f64_e32 v[28:29], v[124:125], v[142:143]
	ds_read_b128 v[140:143], v234 offset:1600
	v_fmac_f64_e32 v[20:21], v[128:129], v[24:25]
	v_fma_f64 v[24:25], v[114:115], v[30:31], -v[32:33]
	ds_read_b128 v[30:33], v234 offset:1632
	v_accvgpr_write_b32 a213, v165
	v_accvgpr_write_b32 a212, v164
	v_mul_f64 v[94:95], v[254:255], v[94:95]
	v_add_f64 v[24:25], v[24:25], 0
	s_waitcnt vmcnt(10)
	v_pk_mov_b32 v[190:191], v[2:3], v[2:3] op_sel:[0,1]
	v_mul_f64 v[2:3], v[192:193], v[46:47]
	v_fmac_f64_e32 v[2:3], v[194:195], v[64:65]
	v_add_f64 v[0:1], v[0:1], v[2:3]
	v_mul_f64 v[2:3], v[196:197], v[70:71]
	v_fmac_f64_e32 v[2:3], v[198:199], v[72:73]
	v_add_f64 v[0:1], v[0:1], v[2:3]
	;; [unrolled: 3-line block ×8, first 2 shown]
	v_add_f64 v[2:3], v[2:3], v[4:5]
	v_mul_f64 v[4:5], v[236:237], v[102:103]
	v_fmac_f64_e32 v[4:5], v[238:239], v[106:107]
	v_add_f64 v[2:3], v[2:3], v[4:5]
	v_mul_f64 v[4:5], v[240:241], v[78:79]
	v_fmac_f64_e32 v[4:5], v[242:243], v[80:81]
	;; [unrolled: 3-line block ×4, first 2 shown]
	v_add_f64 v[6:7], v[2:3], v[4:5]
	v_add_f64 v[10:11], v[6:7], v[8:9]
	;; [unrolled: 1-line block ×6, first 2 shown]
	s_waitcnt lgkmcnt(2)
	v_mul_f64 v[28:29], v[118:119], v[154:155]
	v_fmac_f64_e32 v[28:29], v[120:121], v[160:161]
	v_add_f64 v[26:27], v[26:27], v[28:29]
	s_waitcnt lgkmcnt(1)
	v_mul_f64 v[28:29], v[140:141], v[190:191]
	s_waitcnt vmcnt(8)
	v_fmac_f64_e32 v[28:29], v[142:143], v[144:145]
	v_add_f64 v[154:155], v[26:27], v[28:29]
	ds_read_b128 v[26:29], v234 offset:1616
	v_accvgpr_write_b32 a209, v191
	v_accvgpr_write_b32 a208, v190
	v_fma_f64 v[190:191], v[156:157], v[36:37], -v[38:39]
	s_waitcnt vmcnt(5) lgkmcnt(1)
	v_mul_f64 v[38:39], v[30:31], v[148:149]
	s_waitcnt lgkmcnt(0)
	v_mul_f64 v[114:115], v[26:27], v[162:163]
	v_fmac_f64_e32 v[114:115], v[28:29], v[164:165]
	v_add_f64 v[114:115], v[154:155], v[114:115]
	buffer_load_dword v155, off, s[0:3], 0 offset:716
	buffer_load_dword v154, off, s[0:3], 0 offset:712
	;; [unrolled: 1-line block ×13, first 2 shown]
	ds_read_b128 v[34:37], v234 offset:1648
	s_waitcnt vmcnt(16)
	v_fmac_f64_e32 v[38:39], v[32:33], v[152:153]
	v_add_f64 v[38:39], v[114:115], v[38:39]
	buffer_load_dword v114, off, s[0:3], 0 offset:736
	buffer_load_dword v159, off, s[0:3], 0 offset:748
	;; [unrolled: 1-line block ×3, first 2 shown]
	v_mul_f64 v[4:5], v[180:181], v[56:57]
	s_waitcnt vmcnt(18) lgkmcnt(0)
	v_mul_f64 v[44:45], v[34:35], v[138:139]
	s_waitcnt vmcnt(16)
	v_fmac_f64_e32 v[44:45], v[36:37], v[150:151]
	v_add_f64 v[60:61], v[38:39], v[44:45]
	v_mul_f64 v[38:39], v[176:177], v[40:41]
	v_fma_f64 v[22:23], v[174:175], v[42:43], -v[38:39]
	buffer_load_dword v171, off, s[0:3], 0 offset:780
	buffer_load_dword v173, off, s[0:3], 0 offset:764
	;; [unrolled: 1-line block ×8, first 2 shown]
	v_fma_f64 v[18:19], v[178:179], v[58:59], -v[4:5]
	ds_read_b128 v[38:41], v234 offset:1664
	buffer_load_dword v179, off, s[0:3], 0 offset:796
	buffer_load_dword v178, off, s[0:3], 0 offset:792
	;; [unrolled: 1-line block ×4, first 2 shown]
	v_mul_f64 v[42:43], v[184:185], v[48:49]
	v_mul_f64 v[8:9], v[188:189], v[52:53]
	v_fma_f64 v[14:15], v[182:183], v[50:51], -v[42:43]
	v_fma_f64 v[10:11], v[186:187], v[54:55], -v[8:9]
	buffer_load_dword v183, off, s[0:3], 0 offset:812
	buffer_load_dword v182, off, s[0:3], 0 offset:808
	;; [unrolled: 1-line block ×8, first 2 shown]
	v_mul_f64 v[42:43], v[194:195], v[46:47]
	v_fma_f64 v[8:9], v[192:193], v[64:65], -v[42:43]
	buffer_load_dword v192, off, s[0:3], 0 offset:840
	buffer_load_dword v194, off, s[0:3], 0 offset:832
	;; [unrolled: 1-line block ×4, first 2 shown]
	v_mul_f64 v[12:13], v[198:199], v[70:71]
	v_fma_f64 v[12:13], v[196:197], v[72:73], -v[12:13]
	buffer_load_dword v197, off, s[0:3], 0 offset:860
	buffer_load_dword v196, off, s[0:3], 0 offset:856
	;; [unrolled: 1-line block ×4, first 2 shown]
	v_mul_f64 v[16:17], v[206:207], v[100:101]
	v_mul_f64 v[42:43], v[202:203], v[66:67]
	v_fma_f64 v[16:17], v[204:205], v[104:105], -v[16:17]
	buffer_load_dword v203, off, s[0:3], 0 offset:876
	buffer_load_dword v202, off, s[0:3], 0 offset:872
	;; [unrolled: 1-line block ×4, first 2 shown]
	v_fma_f64 v[6:7], v[200:201], v[68:69], -v[42:43]
	v_mul_f64 v[42:43], v[210:211], v[92:93]
	v_fma_f64 v[4:5], v[208:209], v[76:77], -v[42:43]
	buffer_load_dword v201, off, s[0:3], 0 offset:908
	buffer_load_dword v207, off, s[0:3], 0 offset:892
	;; [unrolled: 1-line block ×12, first 2 shown]
	ds_read_b128 v[42:45], v234 offset:1680
	v_mul_f64 v[46:47], v[218:219], v[232:233]
	v_fma_f64 v[146:147], v[216:217], v[146:147], -v[46:47]
	ds_read_b128 v[46:49], v234 offset:1696
	v_mul_f64 v[54:55], v[222:223], v[74:75]
	v_fma_f64 v[232:233], v[220:221], v[108:109], -v[54:55]
	v_mul_f64 v[58:59], v[226:227], v[110:111]
	v_fma_f64 v[216:217], v[224:225], v[112:113], -v[58:59]
	;; [unrolled: 2-line block ×4, first 2 shown]
	ds_read_b128 v[66:69], v234 offset:1776
	v_mul_f64 v[78:79], v[242:243], v[78:79]
	v_fma_f64 v[0:1], v[240:241], v[80:81], -v[78:79]
	ds_read_b128 v[54:57], v234 offset:1728
	v_mul_f64 v[82:83], v[246:247], v[82:83]
	v_fma_f64 v[246:247], v[244:245], v[84:85], -v[82:83]
	;; [unrolled: 3-line block ×3, first 2 shown]
	ds_read_b128 v[86:89], v234 offset:1856
	buffer_load_dword v240, off, s[0:3], 0 offset:936
	v_fma_f64 v[250:251], v[252:253], v[96:97], -v[94:95]
	v_add_f64 v[24:25], v[24:25], v[190:191]
	v_add_f64 v[24:25], v[24:25], v[116:117]
	ds_read_b128 v[70:73], v234 offset:1792
	v_add_f64 v[24:25], v[24:25], v[168:169]
	v_add_f64 v[22:23], v[24:25], v[22:23]
	;; [unrolled: 1-line block ×10, first 2 shown]
	ds_read_b128 v[78:81], v234 offset:1824
	v_add_f64 v[4:5], v[4:5], v[146:147]
	v_add_f64 v[4:5], v[4:5], v[232:233]
	;; [unrolled: 1-line block ×3, first 2 shown]
	s_waitcnt vmcnt(55) lgkmcnt(8)
	v_mul_f64 v[20:21], v[38:39], v[160:161]
	s_waitcnt lgkmcnt(7)
	v_mul_f64 v[50:51], v[42:43], v[154:155]
	s_waitcnt vmcnt(53)
	v_fmac_f64_e32 v[20:21], v[40:41], v[164:165]
	v_add_f64 v[20:21], v[60:61], v[20:21]
	v_fmac_f64_e32 v[50:51], v[44:45], v[156:157]
	v_add_f64 v[20:21], v[20:21], v[50:51]
	s_waitcnt vmcnt(50) lgkmcnt(6)
	v_mul_f64 v[50:51], v[46:47], v[162:163]
	s_waitcnt vmcnt(48)
	v_fmac_f64_e32 v[50:51], v[48:49], v[166:167]
	v_add_f64 v[20:21], v[20:21], v[50:51]
	ds_read_b128 v[50:53], v234 offset:1712
	ds_read_b128 v[58:61], v234 offset:1744
	;; [unrolled: 1-line block ×3, first 2 shown]
	v_add_f64 v[4:5], v[4:5], v[218:219]
	v_add_f64 v[2:3], v[4:5], v[2:3]
	s_waitcnt vmcnt(46) lgkmcnt(2)
	v_mul_f64 v[62:63], v[50:51], v[158:159]
	s_waitcnt vmcnt(45)
	v_fmac_f64_e32 v[62:63], v[52:53], v[114:115]
	v_add_f64 v[20:21], v[20:21], v[62:63]
	s_waitcnt vmcnt(42)
	v_mul_f64 v[62:63], v[54:55], v[172:173]
	s_waitcnt vmcnt(40)
	v_fmac_f64_e32 v[62:63], v[56:57], v[176:177]
	v_add_f64 v[20:21], v[20:21], v[62:63]
	s_waitcnt vmcnt(39) lgkmcnt(1)
	v_mul_f64 v[62:63], v[58:59], v[170:171]
	s_waitcnt vmcnt(37)
	v_fmac_f64_e32 v[62:63], v[60:61], v[174:175]
	v_add_f64 v[20:21], v[20:21], v[62:63]
	ds_read_b128 v[62:65], v234 offset:1760
	v_add_f64 v[0:1], v[2:3], v[0:1]
	v_add_f64 v[2:3], v[0:1], v[246:247]
	v_accvgpr_read_b32 v4, a188
	v_accvgpr_read_b32 v5, a189
	s_waitcnt vmcnt(35) lgkmcnt(0)
	v_mul_f64 v[74:75], v[62:63], v[178:179]
	s_waitcnt vmcnt(33)
	v_fmac_f64_e32 v[74:75], v[64:65], v[180:181]
	v_add_f64 v[20:21], v[20:21], v[74:75]
	s_waitcnt vmcnt(31)
	v_mul_f64 v[74:75], v[66:67], v[182:183]
	s_waitcnt vmcnt(29)
	v_fmac_f64_e32 v[74:75], v[68:69], v[188:189]
	v_add_f64 v[20:21], v[20:21], v[74:75]
	s_waitcnt vmcnt(27)
	v_mul_f64 v[74:75], v[70:71], v[186:187]
	s_waitcnt vmcnt(25)
	v_fmac_f64_e32 v[74:75], v[72:73], v[184:185]
	v_add_f64 v[20:21], v[20:21], v[74:75]
	ds_read_b128 v[74:77], v234 offset:1808
	s_waitcnt vmcnt(10)
	v_mul_f64 v[98:99], v[86:87], v[206:207]
	s_waitcnt vmcnt(8)
	v_fmac_f64_e32 v[98:99], v[88:89], v[212:213]
	v_accvgpr_read_b32 v6, a190
	v_mul_f64 v[4:5], v[136:137], v[4:5]
	s_waitcnt lgkmcnt(0)
	v_mul_f64 v[90:91], v[74:75], v[192:193]
	v_fmac_f64_e32 v[90:91], v[76:77], v[194:195]
	v_add_f64 v[20:21], v[20:21], v[90:91]
	v_mul_f64 v[90:91], v[78:79], v[196:197]
	v_fmac_f64_e32 v[90:91], v[80:81], v[198:199]
	v_add_f64 v[20:21], v[20:21], v[90:91]
	;; [unrolled: 3-line block ×3, first 2 shown]
	ds_read_b128 v[90:93], v234 offset:1872
	buffer_load_dword v254, off, s[0:3], 0 offset:928
	buffer_load_dword v241, off, s[0:3], 0 offset:940
	;; [unrolled: 1-line block ×3, first 2 shown]
	v_add_f64 v[20:21], v[20:21], v[98:99]
	v_accvgpr_read_b32 v7, a191
	v_fma_f64 v[4:5], v[134:135], v[6:7], -v[4:5]
	s_waitcnt vmcnt(10) lgkmcnt(0)
	v_mul_f64 v[98:99], v[90:91], v[200:201]
	s_waitcnt vmcnt(8)
	v_fmac_f64_e32 v[98:99], v[92:93], v[210:211]
	v_add_f64 v[20:21], v[20:21], v[98:99]
	s_waitcnt vmcnt(6)
	v_mul_f64 v[98:99], v[94:95], v[208:209]
	s_waitcnt vmcnt(4)
	v_fmac_f64_e32 v[98:99], v[96:97], v[214:215]
	v_add_f64 v[20:21], v[20:21], v[98:99]
	ds_read_b128 v[98:101], v234 offset:1904
	buffer_load_dword v221, off, s[0:3], 0 offset:956
	buffer_load_dword v220, off, s[0:3], 0 offset:952
	;; [unrolled: 1-line block ×4, first 2 shown]
	v_accvgpr_read_b32 v6, a194
	v_accvgpr_read_b32 v7, a195
	s_waitcnt vmcnt(5) lgkmcnt(0)
	v_mul_f64 v[102:103], v[98:99], v[240:241]
	s_waitcnt vmcnt(4)
	v_fmac_f64_e32 v[102:103], v[100:101], v[254:255]
	v_add_f64 v[20:21], v[20:21], v[102:103]
	ds_read_b128 v[102:105], v234 offset:1920
	buffer_load_dword v224, off, s[0:3], 0 offset:968
	buffer_load_dword v225, off, s[0:3], 0 offset:972
	buffer_load_dword v226, off, s[0:3], 0 offset:960
	buffer_load_dword v227, off, s[0:3], 0 offset:964
	s_waitcnt vmcnt(6) lgkmcnt(0)
	v_mul_f64 v[106:107], v[102:103], v[220:221]
	s_waitcnt vmcnt(4)
	v_fmac_f64_e32 v[106:107], v[104:105], v[222:223]
	v_add_f64 v[20:21], v[20:21], v[106:107]
	ds_read_b128 v[106:109], v234 offset:1936
	buffer_load_dword v229, off, s[0:3], 0 offset:988
	buffer_load_dword v228, off, s[0:3], 0 offset:984
	buffer_load_dword v231, off, s[0:3], 0 offset:980
	buffer_load_dword v230, off, s[0:3], 0 offset:976
	;; [unrolled: 10-line block ×4, first 2 shown]
	s_waitcnt vmcnt(6) lgkmcnt(0)
	v_mul_f64 v[252:253], v[236:237], v[242:243]
	s_waitcnt vmcnt(4)
	v_fmac_f64_e32 v[252:253], v[238:239], v[244:245]
	v_add_f64 v[20:21], v[20:21], v[252:253]
	v_add_f64 v[252:253], v[2:3], v[248:249]
	;; [unrolled: 1-line block ×4, first 2 shown]
	v_accvgpr_read_b32 v4, a192
	v_accvgpr_read_b32 v5, a193
	v_mul_f64 v[4:5], v[132:133], v[4:5]
	v_fma_f64 v[4:5], v[130:131], v[6:7], -v[4:5]
	v_add_f64 v[2:3], v[2:3], v[4:5]
	v_accvgpr_read_b32 v4, a196
	v_accvgpr_read_b32 v5, a197
	v_accvgpr_read_b32 v6, a198
	v_mul_f64 v[4:5], v[128:129], v[4:5]
	v_accvgpr_read_b32 v7, a199
	v_fma_f64 v[4:5], v[126:127], v[6:7], -v[4:5]
	v_add_f64 v[2:3], v[2:3], v[4:5]
	v_accvgpr_read_b32 v4, a200
	v_accvgpr_read_b32 v5, a201
	v_accvgpr_read_b32 v6, a202
	v_mul_f64 v[4:5], v[124:125], v[4:5]
	v_accvgpr_read_b32 v7, a203
	;; [unrolled: 7-line block ×3, first 2 shown]
	v_fma_f64 v[4:5], v[118:119], v[6:7], -v[4:5]
	v_add_f64 v[2:3], v[2:3], v[4:5]
	v_accvgpr_read_b32 v4, a208
	v_accvgpr_read_b32 v5, a209
	v_mul_f64 v[4:5], v[142:143], v[4:5]
	v_fma_f64 v[4:5], v[140:141], v[144:145], -v[4:5]
	v_add_f64 v[2:3], v[2:3], v[4:5]
	v_accvgpr_read_b32 v4, a210
	v_accvgpr_read_b32 v5, a211
	;; [unrolled: 1-line block ×3, first 2 shown]
	v_mul_f64 v[4:5], v[28:29], v[4:5]
	v_accvgpr_read_b32 v7, a213
	v_fma_f64 v[4:5], v[26:27], v[6:7], -v[4:5]
	v_add_f64 v[2:3], v[2:3], v[4:5]
	v_mul_f64 v[4:5], v[32:33], v[148:149]
	v_fma_f64 v[4:5], v[30:31], v[152:153], -v[4:5]
	v_add_f64 v[2:3], v[2:3], v[4:5]
	v_mul_f64 v[4:5], v[36:37], v[138:139]
	;; [unrolled: 3-line block ×22, first 2 shown]
	v_fma_f64 v[4:5], v[236:237], v[244:245], -v[4:5]
	v_add_f64 v[2:3], v[2:3], v[4:5]
	s_waitcnt vmcnt(2)
	v_add_f64 v[0:1], v[0:1], -v[2:3]
	s_waitcnt vmcnt(0)
	v_add_f64 v[2:3], v[246:247], -v[20:21]
	buffer_store_dword v1, off, s[0:3], 0 offset:180
	buffer_store_dword v0, off, s[0:3], 0 offset:176
	;; [unrolled: 1-line block ×4, first 2 shown]
	v_accvgpr_read_b32 v0, a185
	v_cmp_lt_u32_e32 vcc, 9, v0
	s_and_saveexec_b64 s[4:5], vcc
	s_cbranch_execz .LBB125_379
; %bb.378:
	v_accvgpr_read_b32 v3, a176
	buffer_load_dword v0, v3, s[0:3], 0 offen
	buffer_load_dword v1, v3, s[0:3], 0 offen offset:4
	buffer_load_dword v2, v3, s[0:3], 0 offen offset:8
	s_nop 0
	buffer_load_dword v3, v3, s[0:3], 0 offen offset:12
	v_accvgpr_read_b32 v4, a186
	buffer_store_dword v234, off, s[0:3], 0 offset:160
	buffer_store_dword v234, off, s[0:3], 0 offset:164
	;; [unrolled: 1-line block ×4, first 2 shown]
	s_waitcnt vmcnt(4)
	ds_write_b128 v4, v[0:3]
.LBB125_379:
	s_or_b64 exec, exec, s[4:5]
	s_waitcnt lgkmcnt(0)
	; wave barrier
	s_waitcnt lgkmcnt(0)
	buffer_load_dword v22, off, s[0:3], 0 offset:176
	buffer_load_dword v23, off, s[0:3], 0 offset:180
	;; [unrolled: 1-line block ×36, first 2 shown]
	ds_read_b128 v[18:21], v234 offset:1152
	ds_read_b128 v[26:29], v234 offset:1168
	;; [unrolled: 1-line block ×9, first 2 shown]
	buffer_load_dword v91, off, s[0:3], 0 offset:348
	buffer_load_dword v90, off, s[0:3], 0 offset:344
	;; [unrolled: 1-line block ×19, first 2 shown]
	s_waitcnt vmcnt(51) lgkmcnt(8)
	v_mul_f64 v[0:1], v[18:19], v[24:25]
	v_fmac_f64_e32 v[0:1], v[20:21], v[22:23]
	v_add_f64 v[0:1], v[0:1], 0
	v_mul_f64 v[20:21], v[20:21], v[24:25]
	s_waitcnt vmcnt(47) lgkmcnt(7)
	v_mul_f64 v[2:3], v[26:27], v[62:63]
	v_fmac_f64_e32 v[2:3], v[28:29], v[60:61]
	s_waitcnt vmcnt(45) lgkmcnt(6)
	v_mul_f64 v[4:5], v[54:55], v[58:59]
	v_add_f64 v[0:1], v[0:1], v[2:3]
	s_waitcnt vmcnt(43) lgkmcnt(4)
	v_mul_f64 v[8:9], v[34:35], v[64:65]
	v_mul_f64 v[28:29], v[28:29], v[62:63]
	s_waitcnt vmcnt(41)
	v_fmac_f64_e32 v[8:9], v[36:37], v[66:67]
	v_fma_f64 v[24:25], v[18:19], v[22:23], -v[20:21]
	s_waitcnt vmcnt(39)
	v_mul_f64 v[6:7], v[30:31], v[68:69]
	v_mul_f64 v[36:37], v[36:37], v[64:65]
	s_waitcnt vmcnt(37) lgkmcnt(2)
	v_mul_f64 v[12:13], v[50:51], v[74:75]
	v_add_f64 v[24:25], v[24:25], 0
	s_waitcnt vmcnt(35)
	v_fmac_f64_e32 v[12:13], v[52:53], v[76:77]
	v_mul_f64 v[52:53], v[52:53], v[74:75]
	s_waitcnt vmcnt(33)
	v_mul_f64 v[10:11], v[38:39], v[80:81]
	s_waitcnt vmcnt(31) lgkmcnt(1)
	v_mul_f64 v[14:15], v[46:47], v[72:73]
	s_waitcnt vmcnt(29)
	v_fmac_f64_e32 v[4:5], v[56:57], v[86:87]
	v_add_f64 v[0:1], v[0:1], v[4:5]
	s_waitcnt vmcnt(27)
	v_fmac_f64_e32 v[6:7], v[32:33], v[84:85]
	v_add_f64 v[0:1], v[0:1], v[6:7]
	;; [unrolled: 3-line block ×3, first 2 shown]
	v_add_f64 v[0:1], v[0:1], v[10:11]
	v_add_f64 v[0:1], v[0:1], v[12:13]
	buffer_load_dword v104, off, s[0:3], 0 offset:400
	buffer_load_dword v13, off, s[0:3], 0 offset:396
	;; [unrolled: 1-line block ×39, first 2 shown]
	s_waitcnt vmcnt(62)
	v_fmac_f64_e32 v[14:15], v[48:49], v[78:79]
	v_add_f64 v[0:1], v[0:1], v[14:15]
	v_mul_f64 v[32:33], v[32:33], v[68:69]
	v_mul_f64 v[40:41], v[40:41], v[80:81]
	v_fma_f64 v[82:83], v[38:39], v[82:83], -v[40:41]
	v_mul_f64 v[48:49], v[48:49], v[72:73]
	v_fma_f64 v[182:183], v[46:47], v[78:79], -v[48:49]
	s_waitcnt vmcnt(0)
	v_pk_mov_b32 v[122:123], v[2:3], v[2:3] op_sel:[0,1]
	buffer_load_dword v3, off, s[0:3], 0 offset:564
	buffer_load_dword v2, off, s[0:3], 0 offset:560
	v_accvgpr_write_b32 a193, v123
	v_accvgpr_write_b32 a192, v122
	s_waitcnt vmcnt(0)
	v_pk_mov_b32 v[124:125], v[2:3], v[2:3] op_sel:[0,1]
	buffer_load_dword v3, off, s[0:3], 0 offset:556
	buffer_load_dword v2, off, s[0:3], 0 offset:552
	v_accvgpr_write_b32 a195, v125
	v_accvgpr_write_b32 a194, v124
	;; [unrolled: 6-line block ×10, first 2 shown]
	s_waitcnt vmcnt(0)
	v_pk_mov_b32 v[170:171], v[2:3], v[2:3] op_sel:[0,1]
	buffer_load_dword v3, off, s[0:3], 0 offset:612
	buffer_load_dword v2, off, s[0:3], 0 offset:608
	ds_read_b128 v[186:189], v234 offset:1296
	ds_read_b128 v[194:197], v234 offset:1312
	ds_read_b128 v[198:201], v234 offset:1328
	ds_read_b128 v[208:211], v234 offset:1344
	ds_read_b128 v[212:215], v234 offset:1360
	ds_read_b128 v[236:239], v234 offset:1376
	ds_read_b128 v[240:243], v234 offset:1392
	ds_read_b128 v[244:247], v234 offset:1408
	ds_read_b128 v[248:251], v234 offset:1424
	buffer_load_dword v5, off, s[0:3], 0 offset:652
	buffer_load_dword v4, off, s[0:3], 0 offset:648
	v_accvgpr_write_b32 a205, v171
	v_accvgpr_write_b32 a204, v170
	s_waitcnt lgkmcnt(3)
	v_mul_f64 v[46:47], v[238:239], v[102:103]
	s_waitcnt lgkmcnt(0)
	v_mul_f64 v[62:63], v[250:251], v[224:225]
	s_waitcnt vmcnt(2)
	v_pk_mov_b32 v[172:173], v[2:3], v[2:3] op_sel:[0,1]
	v_mul_f64 v[2:3], v[42:43], v[70:71]
	v_fmac_f64_e32 v[2:3], v[44:45], v[88:89]
	v_add_f64 v[0:1], v[0:1], v[2:3]
	v_mul_f64 v[2:3], v[186:187], v[94:95]
	v_fmac_f64_e32 v[2:3], v[188:189], v[98:99]
	v_add_f64 v[0:1], v[0:1], v[2:3]
	;; [unrolled: 3-line block ×3, first 2 shown]
	s_waitcnt vmcnt(0)
	v_pk_mov_b32 v[174:175], v[4:5], v[4:5] op_sel:[0,1]
	buffer_load_dword v5, off, s[0:3], 0 offset:644
	buffer_load_dword v4, off, s[0:3], 0 offset:640
	v_mul_f64 v[2:3], v[198:199], v[184:185]
	v_fmac_f64_e32 v[2:3], v[200:201], v[192:193]
	v_add_f64 v[0:1], v[0:1], v[2:3]
	v_mul_f64 v[2:3], v[208:209], v[204:205]
	v_fmac_f64_e32 v[2:3], v[210:211], v[206:207]
	v_add_f64 v[0:1], v[0:1], v[2:3]
	;; [unrolled: 3-line block ×4, first 2 shown]
	v_mul_f64 v[2:3], v[240:241], v[228:229]
	v_fmac_f64_e32 v[2:3], v[242:243], v[230:231]
	ds_read_b128 v[252:255], v234 offset:1440
	v_add_f64 v[0:1], v[0:1], v[2:3]
	v_mul_f64 v[2:3], v[244:245], v[220:221]
	v_fmac_f64_e32 v[2:3], v[246:247], v[222:223]
	v_add_f64 v[0:1], v[0:1], v[2:3]
	v_mul_f64 v[2:3], v[248:249], v[224:225]
	v_fmac_f64_e32 v[2:3], v[250:251], v[226:227]
	buffer_load_dword v133, off, s[0:3], 0 offset:668
	buffer_load_dword v132, off, s[0:3], 0 offset:664
	;; [unrolled: 1-line block ×4, first 2 shown]
	v_add_f64 v[0:1], v[0:1], v[2:3]
	buffer_load_dword v151, off, s[0:3], 0 offset:684
	buffer_load_dword v150, off, s[0:3], 0 offset:680
	;; [unrolled: 1-line block ×4, first 2 shown]
	ds_read_b128 v[118:121], v234 offset:1456
	s_waitcnt lgkmcnt(1)
	v_mul_f64 v[2:3], v[252:253], v[114:115]
	v_fmac_f64_e32 v[2:3], v[254:255], v[116:117]
	ds_read_b128 v[138:141], v234 offset:1520
	ds_read_b128 v[134:137], v234 offset:1536
	v_accvgpr_write_b32 a207, v173
	v_accvgpr_write_b32 a213, v175
	;; [unrolled: 1-line block ×4, first 2 shown]
	v_mul_f64 v[44:45], v[44:45], v[70:71]
	v_fma_f64 v[18:19], v[42:43], v[88:89], -v[44:45]
	v_mul_f64 v[42:43], v[188:189], v[94:95]
	v_fma_f64 v[94:95], v[186:187], v[98:99], -v[42:43]
	v_mul_f64 v[42:43], v[196:197], v[90:91]
	v_mul_f64 v[12:13], v[214:215], v[12:13]
	v_fma_f64 v[202:203], v[212:213], v[202:203], -v[12:13]
	v_fma_f64 v[12:13], v[236:237], v[104:105], -v[46:47]
	;; [unrolled: 1-line block ×3, first 2 shown]
	v_mul_f64 v[70:71], v[254:255], v[114:115]
	v_fma_f64 v[254:255], v[252:253], v[116:117], -v[70:71]
	s_waitcnt vmcnt(8)
	v_pk_mov_b32 v[176:177], v[4:5], v[4:5] op_sel:[0,1]
	v_add_f64 v[4:5], v[0:1], v[2:3]
	ds_read_b128 v[0:3], v234 offset:1472
	s_waitcnt lgkmcnt(3)
	v_mul_f64 v[6:7], v[118:119], v[216:217]
	v_fmac_f64_e32 v[6:7], v[120:121], v[218:219]
	v_add_f64 v[8:9], v[4:5], v[6:7]
	ds_read_b128 v[4:7], v234 offset:1488
	s_waitcnt lgkmcnt(1)
	v_mul_f64 v[10:11], v[0:1], v[106:107]
	v_fmac_f64_e32 v[10:11], v[2:3], v[110:111]
	;; [unrolled: 5-line block ×3, first 2 shown]
	v_add_f64 v[14:15], v[14:15], v[16:17]
	buffer_load_dword v155, off, s[0:3], 0 offset:700
	buffer_load_dword v154, off, s[0:3], 0 offset:696
	s_waitcnt lgkmcnt(0)
	v_mul_f64 v[16:17], v[8:9], v[96:97]
	v_fmac_f64_e32 v[16:17], v[10:11], v[100:101]
	ds_read_b128 v[146:149], v234 offset:1552
	ds_read_b128 v[142:145], v234 offset:1568
	v_add_f64 v[14:15], v[14:15], v[16:17]
	v_mul_f64 v[16:17], v[138:139], v[126:127]
	v_fmac_f64_e32 v[16:17], v[140:141], v[128:129]
	v_add_f64 v[14:15], v[14:15], v[16:17]
	v_mul_f64 v[16:17], v[134:135], v[122:123]
	v_fmac_f64_e32 v[16:17], v[136:137], v[124:125]
	ds_read_b128 v[126:129], v234 offset:1584
	ds_read_b128 v[122:125], v234 offset:1600
	s_waitcnt lgkmcnt(3)
	v_mul_f64 v[158:159], v[146:147], v[166:167]
	v_add_f64 v[156:157], v[14:15], v[16:17]
	v_fmac_f64_e32 v[158:159], v[148:149], v[168:169]
	v_add_f64 v[16:17], v[156:157], v[158:159]
	s_waitcnt lgkmcnt(2)
	v_mul_f64 v[22:23], v[142:143], v[130:131]
	v_fma_f64 v[156:157], v[26:27], v[60:61], -v[28:29]
	ds_read_b128 v[26:29], v234 offset:1616
	v_fmac_f64_e32 v[22:23], v[144:145], v[160:161]
	buffer_load_dword v161, off, s[0:3], 0 offset:692
	buffer_load_dword v160, off, s[0:3], 0 offset:688
	v_add_f64 v[16:17], v[16:17], v[22:23]
	s_waitcnt lgkmcnt(2)
	v_mul_f64 v[22:23], v[126:127], v[170:171]
	s_waitcnt lgkmcnt(1)
	v_mul_f64 v[60:61], v[122:123], v[162:163]
	buffer_load_dword v130, off, s[0:3], 0 offset:728
	buffer_load_dword v158, off, s[0:3], 0 offset:720
	;; [unrolled: 1-line block ×4, first 2 shown]
	v_fmac_f64_e32 v[22:23], v[128:129], v[172:173]
	v_add_f64 v[16:17], v[16:17], v[22:23]
	v_fmac_f64_e32 v[60:61], v[124:125], v[164:165]
	buffer_load_dword v165, off, s[0:3], 0 offset:708
	buffer_load_dword v164, off, s[0:3], 0 offset:704
	;; [unrolled: 1-line block ×3, first 2 shown]
	v_add_f64 v[60:61], v[16:17], v[60:61]
	v_mul_f64 v[16:17], v[56:57], v[58:59]
	v_fma_f64 v[56:57], v[30:31], v[84:85], -v[32:33]
	s_waitcnt lgkmcnt(0)
	v_mul_f64 v[30:31], v[26:27], v[174:175]
	buffer_load_dword v159, off, s[0:3], 0 offset:724
	v_fmac_f64_e32 v[30:31], v[28:29], v[176:177]
	v_add_f64 v[58:59], v[60:61], v[30:31]
	ds_read_b128 v[30:33], v234 offset:1632
	v_fma_f64 v[84:85], v[34:35], v[66:67], -v[36:37]
	ds_read_b128 v[34:37], v234 offset:1648
	ds_read_b128 v[38:41], v234 offset:1664
	buffer_load_dword v167, off, s[0:3], 0 offset:748
	buffer_load_dword v166, off, s[0:3], 0 offset:744
	;; [unrolled: 1-line block ×8, first 2 shown]
	v_accvgpr_write_b32 a215, v177
	v_accvgpr_write_b32 a214, v176
	buffer_load_dword v171, off, s[0:3], 0 offset:796
	buffer_load_dword v170, off, s[0:3], 0 offset:792
	;; [unrolled: 1-line block ×16, first 2 shown]
	v_fma_f64 v[54:55], v[54:55], v[86:87], -v[16:17]
	v_fma_f64 v[16:17], v[194:195], v[92:93], -v[42:43]
	v_mul_f64 v[42:43], v[200:201], v[184:185]
	v_fma_f64 v[14:15], v[198:199], v[192:193], -v[42:43]
	buffer_load_dword v193, off, s[0:3], 0 offset:860
	buffer_load_dword v195, off, s[0:3], 0 offset:844
	;; [unrolled: 1-line block ×12, first 2 shown]
	v_mul_f64 v[42:43], v[210:211], v[204:205]
	s_waitcnt vmcnt(54) lgkmcnt(2)
	v_mul_f64 v[60:61], v[30:31], v[132:133]
	v_fma_f64 v[204:205], v[208:209], v[206:207], -v[42:43]
	buffer_load_dword v207, off, s[0:3], 0 offset:892
	buffer_load_dword v206, off, s[0:3], 0 offset:888
	;; [unrolled: 1-line block ×12, first 2 shown]
	ds_read_b128 v[42:45], v234 offset:1680
	ds_read_b128 v[46:49], v234 offset:1696
	s_waitcnt vmcnt(62)
	v_fmac_f64_e32 v[60:61], v[32:33], v[232:233]
	v_add_f64 v[58:59], v[58:59], v[60:61]
	s_waitcnt lgkmcnt(3)
	v_mul_f64 v[60:61], v[34:35], v[150:151]
	s_waitcnt vmcnt(60)
	v_fmac_f64_e32 v[60:61], v[36:37], v[152:153]
	v_fma_f64 v[86:87], v[50:51], v[76:77], -v[52:53]
	v_mul_f64 v[50:51], v[242:243], v[228:229]
	v_add_f64 v[58:59], v[58:59], v[60:61]
	v_fma_f64 v[240:241], v[240:241], v[230:231], -v[50:51]
	ds_read_b128 v[50:53], v234 offset:1712
	ds_read_b128 v[236:239], v234 offset:1728
	v_mul_f64 v[2:3], v[2:3], v[106:107]
	ds_read_b128 v[62:65], v234 offset:1760
	v_add_f64 v[24:25], v[24:25], v[156:157]
	v_add_f64 v[24:25], v[24:25], v[54:55]
	;; [unrolled: 1-line block ×4, first 2 shown]
	v_mul_f64 v[6:7], v[6:7], v[108:109]
	v_mul_f64 v[10:11], v[10:11], v[96:97]
	v_add_f64 v[24:25], v[24:25], v[82:83]
	v_fma_f64 v[250:251], v[4:5], v[112:113], -v[6:7]
	ds_read_b128 v[70:73], v234 offset:1792
	ds_read_b128 v[4:7], v234 offset:1872
	s_waitcnt vmcnt(58) lgkmcnt(7)
	v_mul_f64 v[20:21], v[38:39], v[154:155]
	v_fma_f64 v[252:253], v[8:9], v[100:101], -v[10:11]
	ds_read_b128 v[8:11], v234 offset:1888
	v_add_f64 v[24:25], v[24:25], v[86:87]
	v_add_f64 v[24:25], v[24:25], v[182:183]
	;; [unrolled: 1-line block ×10, first 2 shown]
	v_accvgpr_read_b32 v14, a188
	v_accvgpr_read_b32 v15, a189
	;; [unrolled: 1-line block ×3, first 2 shown]
	v_mul_f64 v[14:15], v[140:141], v[14:15]
	v_accvgpr_read_b32 v17, a191
	v_fma_f64 v[14:15], v[138:139], v[16:17], -v[14:15]
	v_accvgpr_read_b32 v16, a194
	v_accvgpr_read_b32 v17, a195
	s_waitcnt vmcnt(56)
	v_fmac_f64_e32 v[20:21], v[40:41], v[160:161]
	v_add_f64 v[20:21], v[58:59], v[20:21]
	s_waitcnt vmcnt(52) lgkmcnt(7)
	v_mul_f64 v[58:59], v[42:43], v[162:163]
	s_waitcnt vmcnt(50)
	v_fmac_f64_e32 v[58:59], v[44:45], v[164:165]
	v_add_f64 v[20:21], v[20:21], v[58:59]
	s_waitcnt vmcnt(49) lgkmcnt(6)
	v_mul_f64 v[58:59], v[46:47], v[130:131]
	;; [unrolled: 5-line block ×3, first 2 shown]
	s_waitcnt vmcnt(42) lgkmcnt(4)
	v_mul_f64 v[66:67], v[236:237], v[172:173]
	v_fmac_f64_e32 v[58:59], v[52:53], v[168:169]
	v_add_f64 v[20:21], v[20:21], v[58:59]
	v_mul_f64 v[58:59], v[246:247], v[220:221]
	v_fma_f64 v[246:247], v[244:245], v[222:223], -v[58:59]
	ds_read_b128 v[58:61], v234 offset:1744
	s_waitcnt vmcnt(40)
	v_fmac_f64_e32 v[66:67], v[238:239], v[174:175]
	v_add_f64 v[20:21], v[20:21], v[66:67]
	s_waitcnt vmcnt(25) lgkmcnt(3)
	v_mul_f64 v[78:79], v[70:71], v[186:187]
	s_waitcnt vmcnt(24)
	v_fmac_f64_e32 v[78:79], v[72:73], v[188:189]
	s_waitcnt lgkmcnt(0)
	v_mul_f64 v[66:67], v[58:59], v[178:179]
	v_fmac_f64_e32 v[66:67], v[60:61], v[180:181]
	v_add_f64 v[20:21], v[20:21], v[66:67]
	v_mul_f64 v[66:67], v[62:63], v[170:171]
	v_fmac_f64_e32 v[66:67], v[64:65], v[176:177]
	v_add_f64 v[20:21], v[20:21], v[66:67]
	ds_read_b128 v[66:69], v234 offset:1776
	v_add_f64 v[12:13], v[12:13], v[246:247]
	v_add_f64 v[12:13], v[12:13], v[248:249]
	;; [unrolled: 1-line block ×3, first 2 shown]
	s_waitcnt lgkmcnt(0)
	v_mul_f64 v[74:75], v[66:67], v[88:89]
	v_fmac_f64_e32 v[74:75], v[68:69], v[190:191]
	v_add_f64 v[20:21], v[20:21], v[74:75]
	v_mul_f64 v[74:75], v[120:121], v[216:217]
	v_fma_f64 v[120:121], v[118:119], v[218:219], -v[74:75]
	ds_read_b128 v[74:77], v234 offset:1808
	v_add_f64 v[20:21], v[20:21], v[78:79]
	ds_read_b128 v[78:81], v234 offset:1824
	v_fma_f64 v[118:119], v[0:1], v[110:111], -v[2:3]
	ds_read_b128 v[0:3], v234 offset:1840
	s_waitcnt vmcnt(21) lgkmcnt(2)
	v_mul_f64 v[90:91], v[74:75], v[194:195]
	s_waitcnt vmcnt(19)
	v_fmac_f64_e32 v[90:91], v[76:77], v[200:201]
	v_add_f64 v[20:21], v[20:21], v[90:91]
	s_waitcnt vmcnt(18) lgkmcnt(1)
	v_mul_f64 v[90:91], v[78:79], v[192:193]
	s_waitcnt vmcnt(16)
	v_fmac_f64_e32 v[90:91], v[80:81], v[198:199]
	v_add_f64 v[20:21], v[20:21], v[90:91]
	ds_read_b128 v[90:93], v234 offset:1856
	s_waitcnt vmcnt(14) lgkmcnt(1)
	v_mul_f64 v[98:99], v[0:1], v[196:197]
	buffer_load_dword v217, off, s[0:3], 0 offset:940
	buffer_load_dword v216, off, s[0:3], 0 offset:936
	;; [unrolled: 1-line block ×4, first 2 shown]
	s_waitcnt vmcnt(16)
	v_fmac_f64_e32 v[98:99], v[2:3], v[184:185]
	v_add_f64 v[20:21], v[20:21], v[98:99]
	ds_read_b128 v[98:101], v234 offset:1904
	buffer_load_dword v220, off, s[0:3], 0 offset:952
	buffer_load_dword v221, off, s[0:3], 0 offset:956
	buffer_load_dword v222, off, s[0:3], 0 offset:944
	buffer_load_dword v223, off, s[0:3], 0 offset:948
	ds_read_b128 v[102:105], v234 offset:1920
	buffer_load_dword v225, off, s[0:3], 0 offset:972
	buffer_load_dword v224, off, s[0:3], 0 offset:968
	buffer_load_dword v227, off, s[0:3], 0 offset:964
	buffer_load_dword v226, off, s[0:3], 0 offset:960
	;; [unrolled: 5-line block ×5, first 2 shown]
	v_add_f64 v[12:13], v[12:13], v[120:121]
	v_add_f64 v[254:255], v[12:13], v[118:119]
	;; [unrolled: 1-line block ×5, first 2 shown]
	v_accvgpr_read_b32 v14, a192
	v_accvgpr_read_b32 v15, a193
	v_mul_f64 v[14:15], v[136:137], v[14:15]
	v_fma_f64 v[14:15], v[134:135], v[16:17], -v[14:15]
	v_add_f64 v[12:13], v[12:13], v[14:15]
	v_accvgpr_read_b32 v14, a196
	v_accvgpr_read_b32 v15, a197
	v_accvgpr_read_b32 v16, a198
	v_mul_f64 v[14:15], v[148:149], v[14:15]
	v_accvgpr_read_b32 v17, a199
	v_fma_f64 v[14:15], v[146:147], v[16:17], -v[14:15]
	v_add_f64 v[12:13], v[12:13], v[14:15]
	v_accvgpr_read_b32 v14, a200
	v_accvgpr_read_b32 v15, a201
	v_accvgpr_read_b32 v16, a202
	v_mul_f64 v[14:15], v[144:145], v[14:15]
	v_accvgpr_read_b32 v17, a203
	;; [unrolled: 7-line block ×5, first 2 shown]
	v_fma_f64 v[14:15], v[26:27], v[16:17], -v[14:15]
	v_add_f64 v[12:13], v[12:13], v[14:15]
	v_mul_f64 v[14:15], v[32:33], v[132:133]
	v_fma_f64 v[14:15], v[30:31], v[232:233], -v[14:15]
	v_add_f64 v[12:13], v[12:13], v[14:15]
	v_mul_f64 v[14:15], v[36:37], v[150:151]
	;; [unrolled: 3-line block ×13, first 2 shown]
	v_fma_f64 v[14:15], v[78:79], v[198:199], -v[14:15]
	v_mul_f64 v[2:3], v[2:3], v[196:197]
	v_add_f64 v[12:13], v[12:13], v[14:15]
	v_fma_f64 v[0:1], v[0:1], v[184:185], -v[2:3]
	s_waitcnt vmcnt(34) lgkmcnt(5)
	v_mul_f64 v[2:3], v[92:93], v[206:207]
	v_mul_f64 v[96:97], v[90:91], v[206:207]
	v_add_f64 v[0:1], v[12:13], v[0:1]
	s_waitcnt vmcnt(32)
	v_fma_f64 v[2:3], v[90:91], v[208:209], -v[2:3]
	v_fmac_f64_e32 v[96:97], v[92:93], v[208:209]
	v_add_f64 v[0:1], v[0:1], v[2:3]
	s_waitcnt vmcnt(29)
	v_mul_f64 v[2:3], v[6:7], v[212:213]
	v_add_f64 v[20:21], v[20:21], v[96:97]
	v_mul_f64 v[96:97], v[4:5], v[212:213]
	s_waitcnt vmcnt(27)
	v_fma_f64 v[2:3], v[4:5], v[214:215], -v[2:3]
	v_fmac_f64_e32 v[96:97], v[6:7], v[214:215]
	v_add_f64 v[0:1], v[0:1], v[2:3]
	s_waitcnt vmcnt(25)
	v_mul_f64 v[2:3], v[10:11], v[22:23]
	v_add_f64 v[20:21], v[20:21], v[96:97]
	v_mul_f64 v[96:97], v[8:9], v[22:23]
	s_waitcnt vmcnt(24)
	v_fma_f64 v[2:3], v[8:9], v[210:211], -v[2:3]
	v_fmac_f64_e32 v[96:97], v[10:11], v[210:211]
	v_add_f64 v[0:1], v[0:1], v[2:3]
	s_waitcnt vmcnt(22) lgkmcnt(4)
	v_mul_f64 v[2:3], v[100:101], v[216:217]
	v_add_f64 v[20:21], v[20:21], v[96:97]
	v_mul_f64 v[96:97], v[98:99], v[216:217]
	s_waitcnt vmcnt(20)
	v_fma_f64 v[2:3], v[98:99], v[218:219], -v[2:3]
	v_fmac_f64_e32 v[96:97], v[100:101], v[218:219]
	v_add_f64 v[0:1], v[0:1], v[2:3]
	s_waitcnt vmcnt(18) lgkmcnt(3)
	;; [unrolled: 8-line block ×5, first 2 shown]
	v_mul_f64 v[2:3], v[116:117], v[242:243]
	v_add_f64 v[20:21], v[20:21], v[96:97]
	v_mul_f64 v[96:97], v[114:115], v[242:243]
	s_waitcnt vmcnt(4)
	v_fma_f64 v[2:3], v[114:115], v[244:245], -v[2:3]
	v_fmac_f64_e32 v[96:97], v[116:117], v[244:245]
	v_add_f64 v[0:1], v[0:1], v[2:3]
	v_accvgpr_read_b32 v151, a185
	v_add_f64 v[20:21], v[20:21], v[96:97]
	s_waitcnt vmcnt(2)
	v_add_f64 v[0:1], v[248:249], -v[0:1]
	v_cmp_lt_u32_e32 vcc, 8, v151
	s_waitcnt vmcnt(0)
	v_add_f64 v[2:3], v[246:247], -v[20:21]
	buffer_store_dword v1, off, s[0:3], 0 offset:164
	buffer_store_dword v0, off, s[0:3], 0 offset:160
	;; [unrolled: 1-line block ×4, first 2 shown]
	s_and_saveexec_b64 s[4:5], vcc
	s_cbranch_execz .LBB125_381
; %bb.380:
	v_accvgpr_read_b32 v3, a177
	buffer_load_dword v0, v3, s[0:3], 0 offen
	buffer_load_dword v1, v3, s[0:3], 0 offen offset:4
	buffer_load_dword v2, v3, s[0:3], 0 offen offset:8
	s_nop 0
	buffer_load_dword v3, v3, s[0:3], 0 offen offset:12
	v_mov_b32_e32 v4, 0
	v_accvgpr_read_b32 v5, a186
	buffer_store_dword v4, off, s[0:3], 0 offset:144
	buffer_store_dword v4, off, s[0:3], 0 offset:148
	;; [unrolled: 1-line block ×4, first 2 shown]
	s_waitcnt vmcnt(4)
	ds_write_b128 v5, v[0:3]
.LBB125_381:
	s_or_b64 exec, exec, s[4:5]
	s_waitcnt lgkmcnt(0)
	; wave barrier
	s_waitcnt lgkmcnt(0)
	buffer_load_dword v130, off, s[0:3], 0 offset:160
	buffer_load_dword v131, off, s[0:3], 0 offset:164
	;; [unrolled: 1-line block ×36, first 2 shown]
	v_mov_b32_e32 v150, 0
	buffer_load_dword v55, off, s[0:3], 0 offset:332
	buffer_load_dword v54, off, s[0:3], 0 offset:328
	;; [unrolled: 1-line block ×18, first 2 shown]
	ds_read_b128 v[22:25], v150 offset:1136
	ds_read_b128 v[110:113], v150 offset:1152
	;; [unrolled: 1-line block ×9, first 2 shown]
	v_cmp_lt_u32_e32 vcc, 7, v151
	s_waitcnt vmcnt(50) lgkmcnt(8)
	v_mul_f64 v[0:1], v[22:23], v[16:17]
	v_fmac_f64_e32 v[0:1], v[24:25], v[130:131]
	v_add_f64 v[0:1], v[0:1], 0
	v_mul_f64 v[16:17], v[24:25], v[16:17]
	s_waitcnt vmcnt(46) lgkmcnt(7)
	v_mul_f64 v[2:3], v[110:111], v[20:21]
	v_fmac_f64_e32 v[2:3], v[112:113], v[154:155]
	v_add_f64 v[0:1], v[0:1], v[2:3]
	buffer_load_dword v109, off, s[0:3], 0 offset:388
	buffer_load_dword v108, off, s[0:3], 0 offset:384
	;; [unrolled: 1-line block ×40, first 2 shown]
	s_waitcnt vmcnt(62) lgkmcnt(6)
	v_mul_f64 v[4:5], v[114:115], v[26:27]
	s_waitcnt lgkmcnt(4)
	v_mul_f64 v[8:9], v[164:165], v[30:31]
	v_fmac_f64_e32 v[8:9], v[166:167], v[32:33]
	v_fma_f64 v[252:253], v[22:23], v[130:131], -v[16:17]
	v_mul_f64 v[6:7], v[160:161], v[28:29]
	v_mul_f64 v[20:21], v[112:113], v[20:21]
	s_waitcnt lgkmcnt(2)
	v_mul_f64 v[12:13], v[172:173], v[44:45]
	v_fma_f64 v[254:255], v[110:111], v[154:155], -v[20:21]
	v_fmac_f64_e32 v[12:13], v[174:175], v[46:47]
	v_mul_f64 v[26:27], v[116:117], v[26:27]
	v_mul_f64 v[10:11], v[168:169], v[34:35]
	;; [unrolled: 1-line block ×3, first 2 shown]
	s_waitcnt lgkmcnt(1)
	v_mul_f64 v[138:139], v[176:177], v[42:43]
	v_fma_f64 v[110:111], v[164:165], v[32:33], -v[30:31]
	v_fmac_f64_e32 v[4:5], v[116:117], v[250:251]
	v_add_f64 v[0:1], v[0:1], v[4:5]
	v_fmac_f64_e32 v[6:7], v[162:163], v[38:39]
	v_add_f64 v[0:1], v[0:1], v[6:7]
	v_add_f64 v[0:1], v[0:1], v[8:9]
	v_fmac_f64_e32 v[10:11], v[170:171], v[36:37]
	v_add_f64 v[0:1], v[0:1], v[10:11]
	;; [unrolled: 3-line block ×3, first 2 shown]
	v_fma_f64 v[250:251], v[114:115], v[250:251], -v[26:27]
	v_mul_f64 v[34:35], v[170:171], v[34:35]
	v_fma_f64 v[112:113], v[168:169], v[36:37], -v[34:35]
	v_mul_f64 v[44:45], v[174:175], v[44:45]
	v_mul_f64 v[42:43], v[178:179], v[42:43]
	v_fma_f64 v[114:115], v[172:173], v[46:47], -v[44:45]
	v_fma_f64 v[116:117], v[176:177], v[50:51], -v[42:43]
	s_waitcnt vmcnt(58) lgkmcnt(0)
	v_mul_f64 v[42:43], v[182:183], v[48:49]
	v_fma_f64 v[24:25], v[180:181], v[52:53], -v[42:43]
	s_waitcnt vmcnt(0)
	v_pk_mov_b32 v[4:5], v[2:3], v[2:3] op_sel:[0,1]
	buffer_load_dword v3, off, s[0:3], 0 offset:548
	buffer_load_dword v2, off, s[0:3], 0 offset:544
	v_pk_mov_b32 v[144:145], v[4:5], v[4:5] op_sel:[0,1]
	s_waitcnt vmcnt(0)
	v_pk_mov_b32 v[6:7], v[2:3], v[2:3] op_sel:[0,1]
	buffer_load_dword v91, off, s[0:3], 0 offset:540
	buffer_load_dword v90, off, s[0:3], 0 offset:536
	;; [unrolled: 1-line block ×6, first 2 shown]
	v_accvgpr_write_b32 a193, v7
	v_accvgpr_write_b32 a192, v6
	s_waitcnt vmcnt(0)
	v_pk_mov_b32 v[8:9], v[2:3], v[2:3] op_sel:[0,1]
	buffer_load_dword v3, off, s[0:3], 0 offset:580
	buffer_load_dword v2, off, s[0:3], 0 offset:576
	v_accvgpr_write_b32 a199, v9
	v_accvgpr_write_b32 a198, v8
	s_waitcnt vmcnt(0)
	v_pk_mov_b32 v[12:13], v[2:3], v[2:3] op_sel:[0,1]
	buffer_load_dword v3, off, s[0:3], 0 offset:572
	buffer_load_dword v2, off, s[0:3], 0 offset:568
	;; [unrolled: 6-line block ×7, first 2 shown]
	ds_read_b128 v[186:189], v150 offset:1280
	ds_read_b128 v[190:193], v150 offset:1296
	;; [unrolled: 1-line block ×9, first 2 shown]
	buffer_load_dword v19, off, s[0:3], 0 offset:636
	buffer_load_dword v18, off, s[0:3], 0 offset:632
	;; [unrolled: 1-line block ×4, first 2 shown]
	ds_read_b128 v[224:227], v150 offset:1424
	buffer_load_dword v41, off, s[0:3], 0 offset:652
	buffer_load_dword v40, off, s[0:3], 0 offset:648
	buffer_load_dword v185, off, s[0:3], 0 offset:644
	buffer_load_dword v184, off, s[0:3], 0 offset:640
	buffer_load_dword v127, off, s[0:3], 0 offset:684
	buffer_load_dword v137, off, s[0:3], 0 offset:668
	buffer_load_dword v136, off, s[0:3], 0 offset:664
	buffer_load_dword v153, off, s[0:3], 0 offset:660
	buffer_load_dword v152, off, s[0:3], 0 offset:656
	buffer_load_dword v126, off, s[0:3], 0 offset:680
	buffer_load_dword v129, off, s[0:3], 0 offset:676
	buffer_load_dword v128, off, s[0:3], 0 offset:672
	ds_read_b128 v[228:231], v150 offset:1440
	ds_read_b128 v[232:235], v150 offset:1456
	;; [unrolled: 1-line block ×8, first 2 shown]
	v_accvgpr_write_b32 a203, v135
	s_waitcnt lgkmcnt(3)
	v_mul_f64 v[10:11], v[244:245], v[90:91]
	v_fmac_f64_e32 v[10:11], v[246:247], v[92:93]
	s_waitcnt lgkmcnt(1)
	v_accvgpr_write_b32 a191, v141
	v_accvgpr_write_b32 a190, v140
	;; [unrolled: 1-line block ×5, first 2 shown]
	v_mul_f64 v[42:43], v[188:189], v[58:59]
	v_mul_f64 v[16:17], v[214:215], v[104:105]
	v_fma_f64 v[16:17], v[212:213], v[106:107], -v[16:17]
	v_mul_f64 v[50:51], v[218:219], v[84:85]
	v_mul_f64 v[90:91], v[246:247], v[90:91]
	v_fma_f64 v[90:91], v[244:245], v[92:93], -v[90:91]
	v_accvgpr_write_b32 a217, v91
	v_accvgpr_write_b32 a216, v90
	ds_read_b128 v[154:157], v150 offset:1584
	s_waitcnt lgkmcnt(0)
	v_mul_f64 v[26:27], v[154:155], v[118:119]
	v_fmac_f64_e32 v[26:27], v[156:157], v[120:121]
	s_waitcnt vmcnt(16)
	v_pk_mov_b32 v[158:159], v[2:3], v[2:3] op_sel:[0,1]
	v_mul_f64 v[2:3], v[180:181], v[48:49]
	v_fmac_f64_e32 v[2:3], v[182:183], v[52:53]
	v_add_f64 v[0:1], v[0:1], v[2:3]
	v_mul_f64 v[2:3], v[186:187], v[58:59]
	v_fmac_f64_e32 v[2:3], v[188:189], v[60:61]
	v_add_f64 v[0:1], v[0:1], v[2:3]
	;; [unrolled: 3-line block ×15, first 2 shown]
	v_add_f64 v[0:1], v[0:1], v[10:11]
	v_mul_f64 v[10:11], v[146:147], v[4:5]
	v_fmac_f64_e32 v[10:11], v[148:149], v[6:7]
	v_add_f64 v[0:1], v[0:1], v[10:11]
	v_mul_f64 v[10:11], v[138:139], v[122:123]
	v_fmac_f64_e32 v[10:11], v[140:141], v[124:125]
	ds_read_b128 v[138:141], v150 offset:1552
	v_add_f64 v[0:1], v[0:1], v[10:11]
	v_accvgpr_write_b32 a205, v159
	v_accvgpr_write_b32 a204, v158
	ds_read_b128 v[122:125], v150 offset:1600
	s_waitcnt lgkmcnt(1)
	v_mul_f64 v[22:23], v[138:139], v[8:9]
	v_fmac_f64_e32 v[22:23], v[140:141], v[12:13]
	v_add_f64 v[0:1], v[0:1], v[22:23]
	v_mul_f64 v[22:23], v[130:131], v[134:135]
	v_fmac_f64_e32 v[22:23], v[132:133], v[158:159]
	v_add_f64 v[0:1], v[0:1], v[22:23]
	buffer_load_dword v159, off, s[0:3], 0 offset:700
	buffer_load_dword v158, off, s[0:3], 0 offset:696
	v_add_f64 v[0:1], v[0:1], v[26:27]
	v_mul_f64 v[26:27], v[162:163], v[28:29]
	buffer_load_dword v134, off, s[0:3], 0 offset:712
	buffer_load_dword v142, off, s[0:3], 0 offset:704
	v_fma_f64 v[28:29], v[160:161], v[38:39], -v[26:27]
	buffer_load_dword v161, off, s[0:3], 0 offset:692
	buffer_load_dword v160, off, s[0:3], 0 offset:688
	;; [unrolled: 1-line block ×3, first 2 shown]
	ds_read_b128 v[118:121], v150 offset:1616
	ds_read_b128 v[30:33], v150 offset:1632
	buffer_load_dword v143, off, s[0:3], 0 offset:708
	s_waitcnt vmcnt(22) lgkmcnt(2)
	v_mul_f64 v[26:27], v[122:123], v[18:19]
	ds_read_b128 v[34:37], v150 offset:1648
	s_waitcnt vmcnt(20)
	v_fmac_f64_e32 v[26:27], v[124:125], v[14:15]
	s_waitcnt vmcnt(18) lgkmcnt(2)
	v_mul_f64 v[38:39], v[118:119], v[40:41]
	v_add_f64 v[0:1], v[0:1], v[26:27]
	s_waitcnt vmcnt(16)
	v_fmac_f64_e32 v[38:39], v[120:121], v[184:185]
	v_add_f64 v[0:1], v[0:1], v[38:39]
	s_waitcnt vmcnt(13) lgkmcnt(1)
	v_mul_f64 v[38:39], v[30:31], v[136:137]
	s_waitcnt vmcnt(11)
	v_fmac_f64_e32 v[38:39], v[32:33], v[152:153]
	v_add_f64 v[0:1], v[0:1], v[38:39]
	s_waitcnt vmcnt(10) lgkmcnt(0)
	v_mul_f64 v[38:39], v[34:35], v[126:127]
	v_accvgpr_write_b32 a215, v41
	s_waitcnt vmcnt(8)
	v_fmac_f64_e32 v[38:39], v[36:37], v[128:129]
	v_accvgpr_write_b32 a214, v40
	v_add_f64 v[0:1], v[0:1], v[38:39]
	ds_read_b128 v[38:41], v150 offset:1664
	buffer_load_dword v163, off, s[0:3], 0 offset:732
	buffer_load_dword v162, off, s[0:3], 0 offset:728
	;; [unrolled: 1-line block ×17, first 2 shown]
	v_fma_f64 v[22:23], v[186:187], v[60:61], -v[42:43]
	buffer_load_dword v183, off, s[0:3], 0 offset:796
	buffer_load_dword v182, off, s[0:3], 0 offset:792
	;; [unrolled: 1-line block ×7, first 2 shown]
	v_mul_f64 v[42:43], v[192:193], v[54:55]
	v_fma_f64 v[20:21], v[190:191], v[56:57], -v[42:43]
	buffer_load_dword v189, off, s[0:3], 0 offset:828
	buffer_load_dword v188, off, s[0:3], 0 offset:824
	;; [unrolled: 1-line block ×4, first 2 shown]
	v_accvgpr_write_b32 a211, v19
	v_mul_f64 v[42:43], v[196:197], v[96:97]
	v_accvgpr_write_b32 a210, v18
	v_accvgpr_write_b32 a213, v15
	v_fma_f64 v[18:19], v[194:195], v[98:99], -v[42:43]
	v_mul_f64 v[42:43], v[200:201], v[64:65]
	v_accvgpr_write_b32 a212, v14
	v_fma_f64 v[14:15], v[198:199], v[66:67], -v[42:43]
	buffer_load_dword v193, off, s[0:3], 0 offset:844
	buffer_load_dword v192, off, s[0:3], 0 offset:840
	;; [unrolled: 1-line block ×8, first 2 shown]
	v_mul_f64 v[42:43], v[204:205], v[210:211]
	v_fma_f64 v[248:249], v[202:203], v[248:249], -v[42:43]
	buffer_load_dword v203, off, s[0:3], 0 offset:876
	buffer_load_dword v202, off, s[0:3], 0 offset:872
	;; [unrolled: 1-line block ×4, first 2 shown]
	v_mul_f64 v[42:43], v[208:209], v[62:63]
	v_fma_f64 v[12:13], v[206:207], v[108:109], -v[42:43]
	buffer_load_dword v200, off, s[0:3], 0 offset:904
	buffer_load_dword v209, off, s[0:3], 0 offset:892
	;; [unrolled: 1-line block ×8, first 2 shown]
	ds_read_b128 v[42:45], v150 offset:1680
	buffer_load_dword v213, off, s[0:3], 0 offset:924
	buffer_load_dword v212, off, s[0:3], 0 offset:920
	;; [unrolled: 1-line block ×4, first 2 shown]
	v_fma_f64 v[10:11], v[216:217], v[94:95], -v[50:51]
	v_mul_f64 v[62:63], v[226:227], v[68:69]
	ds_read_b128 v[50:53], v150 offset:1712
	v_fma_f64 v[6:7], v[224:225], v[70:71], -v[62:63]
	ds_read_b128 v[62:65], v150 offset:1760
	v_mul_f64 v[74:75], v[234:235], v[74:75]
	v_fma_f64 v[2:3], v[232:233], v[76:77], -v[74:75]
	v_mul_f64 v[78:79], v[238:239], v[78:79]
	v_fma_f64 v[232:233], v[236:237], v[80:81], -v[78:79]
	ds_read_b128 v[78:81], v150 offset:1824
	ds_read_b128 v[74:77], v150 offset:1808
	;; [unrolled: 1-line block ×3, first 2 shown]
	s_waitcnt vmcnt(58) lgkmcnt(6)
	v_mul_f64 v[46:47], v[38:39], v[158:159]
	s_waitcnt vmcnt(54)
	v_fmac_f64_e32 v[46:47], v[40:41], v[160:161]
	v_add_f64 v[0:1], v[0:1], v[46:47]
	s_waitcnt vmcnt(53) lgkmcnt(5)
	v_mul_f64 v[46:47], v[42:43], v[134:135]
	s_waitcnt vmcnt(52)
	v_fmac_f64_e32 v[46:47], v[44:45], v[142:143]
	v_add_f64 v[0:1], v[0:1], v[46:47]
	ds_read_b128 v[46:49], v150 offset:1696
	s_waitcnt vmcnt(50) lgkmcnt(0)
	v_mul_f64 v[54:55], v[46:47], v[162:163]
	s_waitcnt vmcnt(48)
	v_fmac_f64_e32 v[54:55], v[48:49], v[168:169]
	v_add_f64 v[0:1], v[0:1], v[54:55]
	v_mul_f64 v[54:55], v[222:223], v[100:101]
	v_fma_f64 v[8:9], v[220:221], v[102:103], -v[54:55]
	ds_read_b128 v[54:57], v150 offset:1728
	s_waitcnt vmcnt(46)
	v_mul_f64 v[58:59], v[50:51], v[166:167]
	s_waitcnt vmcnt(44)
	v_fmac_f64_e32 v[58:59], v[52:53], v[170:171]
	v_add_f64 v[0:1], v[0:1], v[58:59]
	ds_read_b128 v[58:61], v150 offset:1744
	s_waitcnt vmcnt(41) lgkmcnt(1)
	v_mul_f64 v[66:67], v[54:55], v[174:175]
	s_waitcnt vmcnt(39)
	v_fmac_f64_e32 v[66:67], v[56:57], v[178:179]
	v_add_f64 v[0:1], v[0:1], v[66:67]
	v_mul_f64 v[66:67], v[230:231], v[72:73]
	v_fma_f64 v[4:5], v[228:229], v[82:83], -v[66:67]
	ds_read_b128 v[66:69], v150 offset:1776
	s_waitcnt vmcnt(38) lgkmcnt(1)
	v_mul_f64 v[70:71], v[58:59], v[164:165]
	s_waitcnt vmcnt(36)
	v_fmac_f64_e32 v[70:71], v[60:61], v[176:177]
	v_add_f64 v[0:1], v[0:1], v[70:71]
	s_waitcnt vmcnt(33)
	v_mul_f64 v[70:71], v[62:63], v[182:183]
	s_waitcnt vmcnt(31)
	v_fmac_f64_e32 v[70:71], v[64:65], v[186:187]
	v_add_f64 v[0:1], v[0:1], v[70:71]
	s_waitcnt vmcnt(29) lgkmcnt(0)
	v_mul_f64 v[70:71], v[66:67], v[172:173]
	s_waitcnt vmcnt(28)
	v_fmac_f64_e32 v[70:71], v[68:69], v[180:181]
	v_add_f64 v[0:1], v[0:1], v[70:71]
	ds_read_b128 v[70:73], v150 offset:1792
	ds_read_b128 v[82:85], v150 offset:1840
	s_waitcnt vmcnt(26) lgkmcnt(1)
	v_mul_f64 v[26:27], v[70:71], v[188:189]
	s_waitcnt vmcnt(24)
	v_fmac_f64_e32 v[26:27], v[72:73], v[190:191]
	v_add_f64 v[0:1], v[0:1], v[26:27]
	s_waitcnt vmcnt(22)
	v_mul_f64 v[26:27], v[74:75], v[192:193]
	s_waitcnt vmcnt(20)
	v_fmac_f64_e32 v[26:27], v[76:77], v[196:197]
	v_add_f64 v[0:1], v[0:1], v[26:27]
	s_waitcnt vmcnt(18)
	v_mul_f64 v[26:27], v[78:79], v[194:195]
	s_waitcnt vmcnt(16)
	v_fmac_f64_e32 v[26:27], v[80:81], v[198:199]
	v_add_f64 v[26:27], v[0:1], v[26:27]
	v_mul_f64 v[0:1], v[242:243], v[86:87]
	v_fma_f64 v[0:1], v[240:241], v[88:89], -v[0:1]
	ds_read_b128 v[86:89], v150 offset:1856
	s_waitcnt vmcnt(14) lgkmcnt(1)
	v_mul_f64 v[94:95], v[82:83], v[202:203]
	s_waitcnt vmcnt(12)
	v_fmac_f64_e32 v[94:95], v[84:85], v[204:205]
	v_add_f64 v[26:27], v[26:27], v[94:95]
	s_waitcnt vmcnt(9) lgkmcnt(0)
	v_mul_f64 v[94:95], v[86:87], v[208:209]
	s_waitcnt vmcnt(7)
	v_fmac_f64_e32 v[94:95], v[88:89], v[210:211]
	v_add_f64 v[26:27], v[26:27], v[94:95]
	s_waitcnt vmcnt(5)
	v_mul_f64 v[94:95], v[90:91], v[200:201]
	s_waitcnt vmcnt(4)
	v_fmac_f64_e32 v[94:95], v[92:93], v[206:207]
	v_add_f64 v[26:27], v[26:27], v[94:95]
	ds_read_b128 v[94:97], v150 offset:1888
	buffer_load_dword v216, off, s[0:3], 0 offset:936
	buffer_load_dword v217, off, s[0:3], 0 offset:940
	buffer_load_dword v218, off, s[0:3], 0 offset:928
	buffer_load_dword v219, off, s[0:3], 0 offset:932
	s_waitcnt vmcnt(6) lgkmcnt(0)
	v_mul_f64 v[98:99], v[94:95], v[212:213]
	s_waitcnt vmcnt(4)
	v_fmac_f64_e32 v[98:99], v[96:97], v[214:215]
	v_add_f64 v[26:27], v[26:27], v[98:99]
	ds_read_b128 v[98:101], v150 offset:1904
	buffer_load_dword v221, off, s[0:3], 0 offset:956
	buffer_load_dword v220, off, s[0:3], 0 offset:952
	buffer_load_dword v223, off, s[0:3], 0 offset:948
	buffer_load_dword v222, off, s[0:3], 0 offset:944
	s_waitcnt vmcnt(6) lgkmcnt(0)
	;; [unrolled: 10-line block ×3, first 2 shown]
	v_mul_f64 v[106:107], v[102:103], v[220:221]
	s_waitcnt vmcnt(4)
	v_fmac_f64_e32 v[106:107], v[104:105], v[222:223]
	v_add_f64 v[26:27], v[26:27], v[106:107]
	ds_read_b128 v[106:109], v150 offset:1936
	s_waitcnt vmcnt(2) lgkmcnt(0)
	v_mul_f64 v[228:229], v[106:107], v[224:225]
	s_waitcnt vmcnt(0)
	v_fmac_f64_e32 v[228:229], v[108:109], v[226:227]
	v_add_f64 v[26:27], v[26:27], v[228:229]
	buffer_load_dword v229, off, s[0:3], 0 offset:988
	buffer_load_dword v228, off, s[0:3], 0 offset:984
	;; [unrolled: 1-line block ×4, first 2 shown]
	ds_read_b128 v[234:237], v150 offset:1952
	buffer_load_dword v242, off, s[0:3], 0 offset:1000
	buffer_load_dword v243, off, s[0:3], 0 offset:1004
	;; [unrolled: 1-line block ×4, first 2 shown]
	s_waitcnt vmcnt(6) lgkmcnt(0)
	v_mul_f64 v[238:239], v[234:235], v[228:229]
	s_waitcnt vmcnt(4)
	v_fmac_f64_e32 v[238:239], v[236:237], v[230:231]
	v_add_f64 v[26:27], v[26:27], v[238:239]
	ds_read_b128 v[238:241], v150 offset:1968
	s_waitcnt vmcnt(2) lgkmcnt(0)
	v_mul_f64 v[246:247], v[238:239], v[242:243]
	s_waitcnt vmcnt(0)
	v_fmac_f64_e32 v[246:247], v[240:241], v[244:245]
	v_add_f64 v[26:27], v[26:27], v[246:247]
	v_add_f64 v[246:247], v[252:253], 0
	;; [unrolled: 1-line block ×17, first 2 shown]
	buffer_load_dword v248, off, s[0:3], 0 offset:144
	buffer_load_dword v249, off, s[0:3], 0 offset:148
	v_add_f64 v[10:11], v[12:13], v[10:11]
	buffer_load_dword v246, off, s[0:3], 0 offset:152
	buffer_load_dword v247, off, s[0:3], 0 offset:156
	v_add_f64 v[8:9], v[10:11], v[8:9]
	v_add_f64 v[6:7], v[8:9], v[6:7]
	;; [unrolled: 1-line block ×6, first 2 shown]
	v_accvgpr_read_b32 v0, a216
	v_accvgpr_read_b32 v4, a192
	;; [unrolled: 1-line block ×3, first 2 shown]
	v_mul_f64 v[2:3], v[148:149], v[144:145]
	v_accvgpr_read_b32 v5, a193
	v_add_f64 v[0:1], v[252:253], v[0:1]
	v_fma_f64 v[2:3], v[146:147], v[4:5], -v[2:3]
	v_add_f64 v[0:1], v[0:1], v[2:3]
	v_accvgpr_read_b32 v4, a188
	v_accvgpr_read_b32 v2, a194
	;; [unrolled: 1-line block ×5, first 2 shown]
	v_mul_f64 v[2:3], v[6:7], v[2:3]
	v_accvgpr_read_b32 v6, a196
	v_accvgpr_read_b32 v5, a189
	;; [unrolled: 1-line block ×3, first 2 shown]
	v_fma_f64 v[2:3], v[4:5], v[6:7], -v[2:3]
	v_add_f64 v[0:1], v[0:1], v[2:3]
	v_accvgpr_read_b32 v2, a198
	v_accvgpr_read_b32 v3, a199
	v_accvgpr_read_b32 v4, a200
	v_mul_f64 v[2:3], v[140:141], v[2:3]
	v_accvgpr_read_b32 v5, a201
	v_fma_f64 v[2:3], v[138:139], v[4:5], -v[2:3]
	v_add_f64 v[0:1], v[0:1], v[2:3]
	v_accvgpr_read_b32 v2, a202
	v_accvgpr_read_b32 v3, a203
	v_accvgpr_read_b32 v4, a204
	v_mul_f64 v[2:3], v[132:133], v[2:3]
	v_accvgpr_read_b32 v5, a205
	;; [unrolled: 7-line block ×4, first 2 shown]
	v_fma_f64 v[2:3], v[122:123], v[4:5], -v[2:3]
	v_add_f64 v[0:1], v[0:1], v[2:3]
	v_accvgpr_read_b32 v2, a214
	v_accvgpr_read_b32 v3, a215
	v_mul_f64 v[2:3], v[120:121], v[2:3]
	v_fma_f64 v[2:3], v[118:119], v[184:185], -v[2:3]
	v_add_f64 v[0:1], v[0:1], v[2:3]
	v_mul_f64 v[2:3], v[32:33], v[136:137]
	v_fma_f64 v[2:3], v[30:31], v[152:153], -v[2:3]
	v_add_f64 v[0:1], v[0:1], v[2:3]
	;; [unrolled: 3-line block ×23, first 2 shown]
	s_waitcnt vmcnt(2)
	v_add_f64 v[0:1], v[248:249], -v[0:1]
	s_waitcnt vmcnt(0)
	v_add_f64 v[2:3], v[246:247], -v[26:27]
	buffer_store_dword v1, off, s[0:3], 0 offset:148
	buffer_store_dword v0, off, s[0:3], 0 offset:144
	;; [unrolled: 1-line block ×4, first 2 shown]
	s_and_saveexec_b64 s[4:5], vcc
	s_cbranch_execz .LBB125_383
; %bb.382:
	v_accvgpr_read_b32 v3, a178
	buffer_load_dword v0, v3, s[0:3], 0 offen
	buffer_load_dword v1, v3, s[0:3], 0 offen offset:4
	buffer_load_dword v2, v3, s[0:3], 0 offen offset:8
	s_nop 0
	buffer_load_dword v3, v3, s[0:3], 0 offen offset:12
	v_accvgpr_read_b32 v4, a186
	buffer_store_dword v150, off, s[0:3], 0 offset:128
	buffer_store_dword v150, off, s[0:3], 0 offset:132
	;; [unrolled: 1-line block ×4, first 2 shown]
	s_waitcnt vmcnt(4)
	ds_write_b128 v4, v[0:3]
.LBB125_383:
	s_or_b64 exec, exec, s[4:5]
	s_waitcnt lgkmcnt(0)
	; wave barrier
	s_waitcnt lgkmcnt(0)
	buffer_load_dword v132, off, s[0:3], 0 offset:144
	buffer_load_dword v133, off, s[0:3], 0 offset:148
	;; [unrolled: 1-line block ×42, first 2 shown]
	ds_read_b128 v[14:17], v150 offset:1120
	ds_read_b128 v[26:29], v150 offset:1136
	;; [unrolled: 1-line block ×10, first 2 shown]
	buffer_load_dword v105, off, s[0:3], 0 offset:292
	buffer_load_dword v104, off, s[0:3], 0 offset:288
	ds_read_b128 v[42:45], v150 offset:1280
	buffer_load_dword v65, off, s[0:3], 0 offset:348
	buffer_load_dword v64, off, s[0:3], 0 offset:344
	;; [unrolled: 1-line block ×6, first 2 shown]
	s_waitcnt vmcnt(46) lgkmcnt(10)
	v_mul_f64 v[2:3], v[14:15], v[8:9]
	v_fmac_f64_e32 v[2:3], v[16:17], v[132:133]
	v_add_f64 v[2:3], v[2:3], 0
	v_mul_f64 v[8:9], v[16:17], v[8:9]
	s_waitcnt vmcnt(42) lgkmcnt(9)
	v_mul_f64 v[4:5], v[26:27], v[12:13]
	v_fmac_f64_e32 v[4:5], v[28:29], v[130:131]
	s_waitcnt vmcnt(40) lgkmcnt(8)
	v_mul_f64 v[66:67], v[106:107], v[18:19]
	v_add_f64 v[2:3], v[2:3], v[4:5]
	s_waitcnt vmcnt(38) lgkmcnt(6)
	v_mul_f64 v[72:73], v[114:115], v[30:31]
	v_fma_f64 v[138:139], v[14:15], v[132:133], -v[8:9]
	s_waitcnt vmcnt(36)
	v_fmac_f64_e32 v[72:73], v[116:117], v[32:33]
	v_mul_f64 v[12:13], v[28:29], v[12:13]
	s_waitcnt vmcnt(34)
	v_mul_f64 v[68:69], v[110:111], v[22:23]
	v_mul_f64 v[30:31], v[116:117], v[30:31]
	s_waitcnt vmcnt(32) lgkmcnt(4)
	v_mul_f64 v[76:77], v[162:163], v[38:39]
	v_mul_f64 v[18:19], v[108:109], v[18:19]
	s_waitcnt vmcnt(30)
	v_fmac_f64_e32 v[76:77], v[164:165], v[40:41]
	v_mul_f64 v[22:23], v[112:113], v[22:23]
	s_waitcnt vmcnt(28)
	v_mul_f64 v[74:75], v[154:155], v[34:35]
	v_mul_f64 v[34:35], v[156:157], v[34:35]
	s_waitcnt vmcnt(26) lgkmcnt(2)
	v_mul_f64 v[80:81], v[170:171], v[52:53]
	v_mul_f64 v[52:53], v[172:173], v[52:53]
	s_waitcnt vmcnt(23)
	v_mul_f64 v[78:79], v[166:167], v[56:57]
	s_waitcnt vmcnt(21) lgkmcnt(1)
	v_mul_f64 v[142:143], v[46:47], v[50:51]
	s_waitcnt vmcnt(19)
	v_fmac_f64_e32 v[66:67], v[108:109], v[20:21]
	v_add_f64 v[2:3], v[2:3], v[66:67]
	s_waitcnt vmcnt(17)
	v_fmac_f64_e32 v[68:69], v[112:113], v[24:25]
	v_add_f64 v[2:3], v[2:3], v[68:69]
	;; [unrolled: 3-line block ×3, first 2 shown]
	v_add_f64 v[2:3], v[2:3], v[74:75]
	s_waitcnt vmcnt(13)
	v_fmac_f64_e32 v[78:79], v[168:169], v[58:59]
	v_add_f64 v[2:3], v[2:3], v[76:77]
	s_waitcnt vmcnt(12)
	v_fmac_f64_e32 v[80:81], v[172:173], v[54:55]
	v_add_f64 v[2:3], v[2:3], v[78:79]
	v_add_f64 v[2:3], v[2:3], v[80:81]
	buffer_load_dword v187, off, s[0:3], 0 offset:324
	buffer_load_dword v186, off, s[0:3], 0 offset:320
	;; [unrolled: 1-line block ×52, first 2 shown]
	s_waitcnt vmcnt(58)
	v_fmac_f64_e32 v[142:143], v[48:49], v[104:105]
	v_add_f64 v[2:3], v[2:3], v[142:143]
	v_fma_f64 v[108:109], v[114:115], v[32:33], -v[30:31]
	v_fma_f64 v[16:17], v[170:171], v[54:55], -v[52:53]
	s_waitcnt vmcnt(0)
	v_pk_mov_b32 v[120:121], v[4:5], v[4:5] op_sel:[0,1]
	buffer_load_dword v5, off, s[0:3], 0 offset:564
	buffer_load_dword v4, off, s[0:3], 0 offset:560
	v_accvgpr_write_b32 a195, v121
	v_accvgpr_write_b32 a194, v120
	s_waitcnt vmcnt(0)
	v_pk_mov_b32 v[122:123], v[4:5], v[4:5] op_sel:[0,1]
	buffer_load_dword v5, off, s[0:3], 0 offset:556
	buffer_load_dword v4, off, s[0:3], 0 offset:552
	v_accvgpr_write_b32 a197, v123
	v_accvgpr_write_b32 a196, v122
	;; [unrolled: 6-line block ×3, first 2 shown]
	s_waitcnt vmcnt(0)
	v_pk_mov_b32 v[128:129], v[4:5], v[4:5] op_sel:[0,1]
	buffer_load_dword v5, off, s[0:3], 0 offset:604
	buffer_load_dword v4, off, s[0:3], 0 offset:600
	s_waitcnt vmcnt(0)
	v_pk_mov_b32 v[144:145], v[4:5], v[4:5] op_sel:[0,1]
	buffer_load_dword v5, off, s[0:3], 0 offset:596
	buffer_load_dword v4, off, s[0:3], 0 offset:592
	v_accvgpr_write_b32 a203, v145
	v_accvgpr_write_b32 a202, v144
	s_waitcnt vmcnt(0)
	v_pk_mov_b32 v[160:161], v[4:5], v[4:5] op_sel:[0,1]
	buffer_load_dword v5, off, s[0:3], 0 offset:588
	buffer_load_dword v4, off, s[0:3], 0 offset:584
	v_accvgpr_write_b32 a205, v161
	v_accvgpr_write_b32 a204, v160
	s_waitcnt vmcnt(0)
	v_pk_mov_b32 v[146:147], v[4:5], v[4:5] op_sel:[0,1]
	buffer_load_dword v5, off, s[0:3], 0 offset:580
	buffer_load_dword v4, off, s[0:3], 0 offset:576
	v_accvgpr_write_b32 a199, v147
	v_accvgpr_write_b32 a198, v146
	s_waitcnt vmcnt(0)
	v_pk_mov_b32 v[148:149], v[4:5], v[4:5] op_sel:[0,1]
	buffer_load_dword v5, off, s[0:3], 0 offset:636
	buffer_load_dword v4, off, s[0:3], 0 offset:632
	v_accvgpr_write_b32 a201, v149
	v_accvgpr_write_b32 a200, v148
	s_waitcnt vmcnt(0)
	v_pk_mov_b32 v[180:181], v[4:5], v[4:5] op_sel:[0,1]
	buffer_load_dword v5, off, s[0:3], 0 offset:628
	buffer_load_dword v4, off, s[0:3], 0 offset:624
	v_accvgpr_write_b32 a207, v181
	v_accvgpr_write_b32 a206, v180
	s_waitcnt vmcnt(0)
	v_pk_mov_b32 v[182:183], v[4:5], v[4:5] op_sel:[0,1]
	buffer_load_dword v5, off, s[0:3], 0 offset:620
	buffer_load_dword v4, off, s[0:3], 0 offset:616
	v_accvgpr_write_b32 a209, v183
	v_accvgpr_write_b32 a208, v182
	s_waitcnt vmcnt(0)
	v_pk_mov_b32 v[188:189], v[4:5], v[4:5] op_sel:[0,1]
	buffer_load_dword v5, off, s[0:3], 0 offset:612
	buffer_load_dword v4, off, s[0:3], 0 offset:608
	ds_read_b128 v[174:177], v150 offset:1296
	ds_read_b128 v[192:195], v150 offset:1312
	;; [unrolled: 1-line block ×7, first 2 shown]
	buffer_load_dword v11, off, s[0:3], 0 offset:652
	buffer_load_dword v10, off, s[0:3], 0 offset:648
	;; [unrolled: 1-line block ×4, first 2 shown]
	ds_read_b128 v[220:223], v150 offset:1408
	buffer_load_dword v124, off, s[0:3], 0 offset:664
	buffer_load_dword v125, off, s[0:3], 0 offset:668
	;; [unrolled: 1-line block ×4, first 2 shown]
	ds_read_b128 v[224:227], v150 offset:1424
	ds_read_b128 v[228:231], v150 offset:1440
	;; [unrolled: 1-line block ×4, first 2 shown]
	buffer_load_dword v7, off, s[0:3], 0 offset:684
	buffer_load_dword v6, off, s[0:3], 0 offset:680
	buffer_load_dword v185, off, s[0:3], 0 offset:676
	buffer_load_dword v184, off, s[0:3], 0 offset:672
	ds_read_b128 v[240:243], v150 offset:1488
	ds_read_b128 v[244:247], v150 offset:1504
	;; [unrolled: 1-line block ×5, first 2 shown]
	v_accvgpr_write_b32 a211, v189
	v_accvgpr_write_b32 a210, v188
	s_waitcnt lgkmcnt(2)
	v_accvgpr_write_b32 a191, v143
	s_waitcnt lgkmcnt(1)
	v_mul_f64 v[14:15], v[132:133], v[120:121]
	v_accvgpr_write_b32 a225, v135
	v_accvgpr_write_b32 a190, v142
	;; [unrolled: 1-line block ×4, first 2 shown]
	v_fmac_f64_e32 v[14:15], v[134:135], v[122:123]
	v_accvgpr_write_b32 a224, v134
	v_accvgpr_write_b32 a223, v133
	;; [unrolled: 1-line block ×3, first 2 shown]
	ds_read_b128 v[120:123], v150 offset:1616
	s_waitcnt vmcnt(12)
	v_pk_mov_b32 v[190:191], v[4:5], v[4:5] op_sel:[0,1]
	v_mul_f64 v[4:5], v[42:43], v[60:61]
	v_fmac_f64_e32 v[4:5], v[44:45], v[62:63]
	v_add_f64 v[2:3], v[2:3], v[4:5]
	v_mul_f64 v[4:5], v[174:175], v[0:1]
	v_fmac_f64_e32 v[4:5], v[176:177], v[186:187]
	v_add_f64 v[2:3], v[2:3], v[4:5]
	;; [unrolled: 3-line block ×16, first 2 shown]
	v_fma_f64 v[158:159], v[26:27], v[130:131], -v[12:13]
	ds_read_b128 v[26:29], v150 offset:1552
	v_pk_mov_b32 v[140:141], v[128:129], v[128:129] op_sel:[0,1]
	ds_read_b128 v[126:129], v150 offset:1568
	v_add_f64 v[4:5], v[4:5], v[14:15]
	v_fma_f64 v[130:131], v[106:107], v[20:21], -v[18:19]
	s_waitcnt lgkmcnt(1)
	v_pk_mov_b32 v[134:135], v[28:29], v[28:29] op_sel:[0,1]
	v_pk_mov_b32 v[132:133], v[26:27], v[26:27] op_sel:[0,1]
	v_mul_f64 v[26:27], v[132:133], v[146:147]
	v_fmac_f64_e32 v[26:27], v[134:135], v[148:149]
	ds_read_b128 v[146:149], v150 offset:1584
	v_add_f64 v[4:5], v[4:5], v[26:27]
	s_waitcnt lgkmcnt(1)
	v_mul_f64 v[26:27], v[126:127], v[144:145]
	ds_read_b128 v[142:145], v150 offset:1600
	v_fmac_f64_e32 v[26:27], v[128:129], v[160:161]
	v_add_f64 v[4:5], v[4:5], v[26:27]
	s_waitcnt lgkmcnt(1)
	v_mul_f64 v[26:27], v[146:147], v[188:189]
	v_fmac_f64_e32 v[26:27], v[148:149], v[190:191]
	v_add_f64 v[4:5], v[4:5], v[26:27]
	s_waitcnt lgkmcnt(0)
	v_mul_f64 v[26:27], v[142:143], v[180:181]
	v_fma_f64 v[106:107], v[110:111], v[24:25], -v[22:23]
	v_fmac_f64_e32 v[26:27], v[144:145], v[182:183]
	s_waitcnt vmcnt(10)
	v_mul_f64 v[110:111], v[120:121], v[10:11]
	v_add_f64 v[4:5], v[4:5], v[26:27]
	s_waitcnt vmcnt(8)
	v_fmac_f64_e32 v[110:111], v[122:123], v[118:119]
	v_add_f64 v[4:5], v[4:5], v[110:111]
	v_fma_f64 v[110:111], v[154:155], v[36:37], -v[34:35]
	ds_read_b128 v[34:37], v150 offset:1648
	buffer_load_dword v155, off, s[0:3], 0 offset:700
	buffer_load_dword v154, off, s[0:3], 0 offset:696
	s_waitcnt vmcnt(8)
	v_mul_f64 v[112:113], v[30:31], v[124:125]
	buffer_load_dword v161, off, s[0:3], 0 offset:692
	buffer_load_dword v160, off, s[0:3], 0 offset:688
	s_waitcnt vmcnt(8)
	v_fmac_f64_e32 v[112:113], v[32:33], v[178:179]
	v_add_f64 v[112:113], v[4:5], v[112:113]
	v_mul_f64 v[4:5], v[164:165], v[38:39]
	v_fma_f64 v[180:181], v[162:163], v[40:41], -v[4:5]
	buffer_load_dword v156, off, s[0:3], 0 offset:728
	buffer_load_dword v26, off, s[0:3], 0 offset:720
	buffer_load_dword v163, off, s[0:3], 0 offset:716
	buffer_load_dword v162, off, s[0:3], 0 offset:712
	buffer_load_dword v165, off, s[0:3], 0 offset:708
	buffer_load_dword v164, off, s[0:3], 0 offset:704
	buffer_load_dword v157, off, s[0:3], 0 offset:732
	buffer_load_dword v27, off, s[0:3], 0 offset:724
	v_mul_f64 v[38:39], v[168:169], v[56:57]
	v_fma_f64 v[18:19], v[166:167], v[58:59], -v[38:39]
	ds_read_b128 v[38:41], v150 offset:1664
	buffer_load_dword v167, off, s[0:3], 0 offset:748
	buffer_load_dword v166, off, s[0:3], 0 offset:744
	;; [unrolled: 1-line block ×8, first 2 shown]
	s_waitcnt vmcnt(22) lgkmcnt(1)
	v_mul_f64 v[8:9], v[34:35], v[6:7]
	s_waitcnt vmcnt(20)
	v_fmac_f64_e32 v[8:9], v[36:37], v[184:185]
	v_add_f64 v[8:9], v[112:113], v[8:9]
	v_mul_f64 v[14:15], v[176:177], v[0:1]
	buffer_load_dword v177, off, s[0:3], 0 offset:780
	buffer_load_dword v176, off, s[0:3], 0 offset:776
	;; [unrolled: 1-line block ×8, first 2 shown]
	v_accvgpr_write_b32 a213, v191
	v_accvgpr_write_b32 a212, v190
	v_fma_f64 v[14:15], v[174:175], v[186:187], -v[14:15]
	buffer_load_dword v174, off, s[0:3], 0 offset:824
	buffer_load_dword v189, off, s[0:3], 0 offset:812
	;; [unrolled: 1-line block ×8, first 2 shown]
	v_accvgpr_write_b32 a217, v11
	v_mul_f64 v[44:45], v[44:45], v[60:61]
	v_accvgpr_write_b32 a216, v10
	v_accvgpr_write_b32 a219, v125
	v_fma_f64 v[10:11], v[42:43], v[62:63], -v[44:45]
	v_mul_f64 v[42:43], v[194:195], v[64:65]
	v_accvgpr_write_b32 a218, v124
	v_pk_mov_b32 v[124:125], v[6:7], v[6:7] op_sel:[0,1]
	v_fma_f64 v[6:7], v[192:193], v[70:71], -v[42:43]
	buffer_load_dword v193, off, s[0:3], 0 offset:844
	buffer_load_dword v192, off, s[0:3], 0 offset:840
	;; [unrolled: 1-line block ×4, first 2 shown]
	v_mul_f64 v[42:43], v[202:203], v[208:209]
	v_mul_f64 v[20:21], v[198:199], v[248:249]
	v_fma_f64 v[248:249], v[200:201], v[210:211], -v[42:43]
	buffer_load_dword v198, off, s[0:3], 0 offset:856
	buffer_load_dword v200, off, s[0:3], 0 offset:848
	;; [unrolled: 1-line block ×4, first 2 shown]
	v_mul_f64 v[42:43], v[206:207], v[252:253]
	v_fma_f64 v[20:21], v[196:197], v[250:251], -v[20:21]
	v_fma_f64 v[254:255], v[204:205], v[254:255], -v[42:43]
	buffer_load_dword v197, off, s[0:3], 0 offset:892
	buffer_load_dword v203, off, s[0:3], 0 offset:876
	;; [unrolled: 1-line block ×12, first 2 shown]
	v_mul_f64 v[12:13], v[48:49], v[50:51]
	v_fma_f64 v[12:13], v[46:47], v[104:105], -v[12:13]
	ds_read_b128 v[42:45], v150 offset:1680
	v_mul_f64 v[46:47], v[214:215], v[96:97]
	v_fma_f64 v[250:251], v[212:213], v[98:99], -v[46:47]
	v_mul_f64 v[46:47], v[218:219], v[100:101]
	buffer_load_dword v212, off, s[0:3], 0 offset:920
	buffer_load_dword v214, off, s[0:3], 0 offset:912
	;; [unrolled: 1-line block ×4, first 2 shown]
	v_fma_f64 v[4:5], v[216:217], v[102:103], -v[46:47]
	ds_read_b128 v[46:49], v150 offset:1696
	ds_read_b128 v[54:57], v150 offset:1728
	v_mul_f64 v[66:67], v[230:231], v[66:67]
	v_fma_f64 v[0:1], v[228:229], v[68:69], -v[66:67]
	ds_read_b128 v[66:69], v150 offset:1776
	v_mul_f64 v[70:71], v[234:235], v[72:73]
	v_fma_f64 v[232:233], v[232:233], v[74:75], -v[70:71]
	;; [unrolled: 3-line block ×3, first 2 shown]
	v_accvgpr_write_b32 a215, v119
	v_accvgpr_write_b32 a214, v118
	v_add_f64 v[118:119], v[138:139], 0
	v_add_f64 v[118:119], v[118:119], v[158:159]
	;; [unrolled: 1-line block ×6, first 2 shown]
	ds_read_b128 v[90:93], v150 offset:1872
	v_add_f64 v[106:107], v[106:107], v[180:181]
	v_add_f64 v[18:19], v[106:107], v[18:19]
	;; [unrolled: 1-line block ×8, first 2 shown]
	v_accvgpr_write_b32 a221, v179
	v_add_f64 v[6:7], v[6:7], v[248:249]
	v_accvgpr_write_b32 a220, v178
	v_pk_mov_b32 v[178:179], v[184:185], v[184:185] op_sel:[0,1]
	s_waitcnt vmcnt(58) lgkmcnt(6)
	v_mul_f64 v[50:51], v[38:39], v[154:155]
	v_add_f64 v[6:7], v[6:7], v[254:255]
	s_waitcnt vmcnt(56)
	v_fmac_f64_e32 v[50:51], v[40:41], v[160:161]
	v_add_f64 v[8:9], v[8:9], v[50:51]
	ds_read_b128 v[50:53], v150 offset:1712
	v_add_f64 v[6:7], v[6:7], v[250:251]
	v_add_f64 v[4:5], v[6:7], v[4:5]
	s_waitcnt vmcnt(52) lgkmcnt(6)
	v_mul_f64 v[24:25], v[42:43], v[162:163]
	s_waitcnt vmcnt(50)
	v_fmac_f64_e32 v[24:25], v[44:45], v[164:165]
	v_add_f64 v[8:9], v[8:9], v[24:25]
	s_waitcnt vmcnt(49) lgkmcnt(5)
	v_mul_f64 v[24:25], v[46:47], v[156:157]
	s_waitcnt vmcnt(48)
	v_fmac_f64_e32 v[24:25], v[48:49], v[26:27]
	s_waitcnt vmcnt(46) lgkmcnt(0)
	v_mul_f64 v[58:59], v[50:51], v[166:167]
	v_add_f64 v[8:9], v[8:9], v[24:25]
	s_waitcnt vmcnt(44)
	v_fmac_f64_e32 v[58:59], v[52:53], v[170:171]
	v_add_f64 v[8:9], v[8:9], v[58:59]
	v_mul_f64 v[58:59], v[226:227], v[88:89]
	v_fma_f64 v[2:3], v[224:225], v[94:95], -v[58:59]
	ds_read_b128 v[58:61], v150 offset:1744
	s_waitcnt vmcnt(41)
	v_mul_f64 v[62:63], v[54:55], v[168:169]
	s_waitcnt vmcnt(40)
	v_fmac_f64_e32 v[62:63], v[56:57], v[172:173]
	v_add_f64 v[8:9], v[8:9], v[62:63]
	ds_read_b128 v[62:65], v150 offset:1760
	s_waitcnt vmcnt(38) lgkmcnt(1)
	v_mul_f64 v[28:29], v[58:59], v[176:177]
	s_waitcnt vmcnt(36)
	v_fmac_f64_e32 v[28:29], v[60:61], v[112:113]
	v_add_f64 v[8:9], v[8:9], v[28:29]
	v_mul_f64 v[24:25], v[222:223], v[76:77]
	s_waitcnt vmcnt(34) lgkmcnt(0)
	v_mul_f64 v[28:29], v[62:63], v[22:23]
	s_waitcnt vmcnt(32)
	v_fmac_f64_e32 v[28:29], v[64:65], v[182:183]
	v_add_f64 v[8:9], v[8:9], v[28:29]
	s_waitcnt vmcnt(29)
	v_mul_f64 v[28:29], v[66:67], v[188:189]
	s_waitcnt vmcnt(27)
	v_fmac_f64_e32 v[28:29], v[68:69], v[190:191]
	v_add_f64 v[8:9], v[8:9], v[28:29]
	ds_read_b128 v[74:77], v150 offset:1808
	s_waitcnt vmcnt(25)
	v_mul_f64 v[28:29], v[70:71], v[174:175]
	s_waitcnt vmcnt(24)
	v_fmac_f64_e32 v[28:29], v[72:73], v[186:187]
	v_add_f64 v[8:9], v[8:9], v[28:29]
	v_mul_f64 v[28:29], v[238:239], v[78:79]
	v_fma_f64 v[28:29], v[236:237], v[80:81], -v[28:29]
	ds_read_b128 v[78:81], v150 offset:1824
	v_fma_f64 v[24:25], v[220:221], v[86:87], -v[24:25]
	s_waitcnt vmcnt(22) lgkmcnt(1)
	v_mul_f64 v[86:87], v[74:75], v[192:193]
	s_waitcnt vmcnt(20)
	v_fmac_f64_e32 v[86:87], v[76:77], v[194:195]
	v_add_f64 v[86:87], v[8:9], v[86:87]
	v_mul_f64 v[8:9], v[242:243], v[82:83]
	v_fma_f64 v[8:9], v[240:241], v[84:85], -v[8:9]
	ds_read_b128 v[82:85], v150 offset:1840
	s_waitcnt vmcnt(17) lgkmcnt(1)
	v_mul_f64 v[88:89], v[78:79], v[198:199]
	s_waitcnt vmcnt(16)
	v_fmac_f64_e32 v[88:89], v[80:81], v[200:201]
	v_add_f64 v[94:95], v[86:87], v[88:89]
	ds_read_b128 v[86:89], v150 offset:1856
	s_waitcnt vmcnt(13) lgkmcnt(1)
	v_mul_f64 v[96:97], v[82:83], v[202:203]
	s_waitcnt vmcnt(11)
	v_fmac_f64_e32 v[96:97], v[84:85], v[208:209]
	v_add_f64 v[94:95], v[94:95], v[96:97]
	v_add_f64 v[4:5], v[4:5], v[24:25]
	s_waitcnt vmcnt(10) lgkmcnt(0)
	v_mul_f64 v[96:97], v[86:87], v[196:197]
	s_waitcnt vmcnt(8)
	v_fmac_f64_e32 v[96:97], v[88:89], v[206:207]
	v_add_f64 v[94:95], v[94:95], v[96:97]
	s_waitcnt vmcnt(6)
	v_mul_f64 v[96:97], v[90:91], v[204:205]
	s_waitcnt vmcnt(4)
	v_fmac_f64_e32 v[96:97], v[92:93], v[210:211]
	v_add_f64 v[98:99], v[94:95], v[96:97]
	ds_read_b128 v[94:97], v150 offset:1888
	buffer_load_dword v217, off, s[0:3], 0 offset:940
	buffer_load_dword v216, off, s[0:3], 0 offset:936
	;; [unrolled: 1-line block ×4, first 2 shown]
	v_add_f64 v[2:3], v[4:5], v[2:3]
	v_add_f64 v[0:1], v[2:3], v[0:1]
	v_add_f64 v[0:1], v[0:1], v[232:233]
	s_waitcnt vmcnt(5) lgkmcnt(0)
	v_mul_f64 v[100:101], v[94:95], v[212:213]
	s_waitcnt vmcnt(4)
	v_fmac_f64_e32 v[100:101], v[96:97], v[214:215]
	v_add_f64 v[102:103], v[98:99], v[100:101]
	ds_read_b128 v[98:101], v150 offset:1904
	buffer_load_dword v220, off, s[0:3], 0 offset:952
	buffer_load_dword v221, off, s[0:3], 0 offset:956
	;; [unrolled: 1-line block ×4, first 2 shown]
	v_accvgpr_read_b32 v4, a188
	v_accvgpr_read_b32 v2, a192
	v_add_f64 v[254:255], v[0:1], v[28:29]
	v_accvgpr_read_b32 v6, a190
	v_accvgpr_read_b32 v7, a191
	;; [unrolled: 1-line block ×3, first 2 shown]
	v_add_f64 v[0:1], v[254:255], v[8:9]
	v_accvgpr_read_b32 v5, a189
	v_mul_f64 v[2:3], v[6:7], v[2:3]
	v_add_f64 v[0:1], v[0:1], v[252:253]
	v_fma_f64 v[2:3], v[4:5], v[140:141], -v[2:3]
	v_add_f64 v[0:1], v[0:1], v[2:3]
	v_accvgpr_read_b32 v2, a194
	v_accvgpr_read_b32 v6, a222
	;; [unrolled: 1-line block ×7, first 2 shown]
	v_mul_f64 v[2:3], v[8:9], v[2:3]
	v_accvgpr_read_b32 v5, a197
	v_fma_f64 v[2:3], v[6:7], v[4:5], -v[2:3]
	v_add_f64 v[0:1], v[0:1], v[2:3]
	v_accvgpr_read_b32 v2, a198
	v_accvgpr_read_b32 v3, a199
	v_accvgpr_read_b32 v4, a200
	v_mul_f64 v[2:3], v[134:135], v[2:3]
	v_accvgpr_read_b32 v5, a201
	v_fma_f64 v[2:3], v[132:133], v[4:5], -v[2:3]
	v_add_f64 v[0:1], v[0:1], v[2:3]
	v_accvgpr_read_b32 v2, a202
	v_accvgpr_read_b32 v3, a203
	v_accvgpr_read_b32 v4, a204
	;; [unrolled: 7-line block ×6, first 2 shown]
	v_mul_f64 v[2:3], v[32:33], v[2:3]
	v_accvgpr_read_b32 v5, a221
	v_fma_f64 v[2:3], v[30:31], v[4:5], -v[2:3]
	v_add_f64 v[0:1], v[0:1], v[2:3]
	v_mul_f64 v[2:3], v[36:37], v[124:125]
	v_fma_f64 v[2:3], v[34:35], v[178:179], -v[2:3]
	v_add_f64 v[0:1], v[0:1], v[2:3]
	v_mul_f64 v[2:3], v[40:41], v[154:155]
	s_waitcnt vmcnt(6) lgkmcnt(0)
	v_mul_f64 v[104:105], v[98:99], v[216:217]
	v_fma_f64 v[2:3], v[38:39], v[160:161], -v[2:3]
	s_waitcnt vmcnt(4)
	v_fmac_f64_e32 v[104:105], v[100:101], v[218:219]
	v_add_f64 v[114:115], v[102:103], v[104:105]
	ds_read_b128 v[102:105], v150 offset:1920
	buffer_load_dword v225, off, s[0:3], 0 offset:972
	buffer_load_dword v224, off, s[0:3], 0 offset:968
	buffer_load_dword v227, off, s[0:3], 0 offset:964
	buffer_load_dword v226, off, s[0:3], 0 offset:960
	ds_read_b128 v[234:237], v150 offset:1936
	buffer_load_dword v228, off, s[0:3], 0 offset:984
	buffer_load_dword v229, off, s[0:3], 0 offset:988
	buffer_load_dword v230, off, s[0:3], 0 offset:976
	buffer_load_dword v231, off, s[0:3], 0 offset:980
	;; [unrolled: 5-line block ×3, first 2 shown]
	s_waitcnt vmcnt(14) lgkmcnt(2)
	v_mul_f64 v[116:117], v[102:103], v[220:221]
	s_waitcnt vmcnt(12)
	v_fmac_f64_e32 v[116:117], v[104:105], v[222:223]
	v_add_f64 v[114:115], v[114:115], v[116:117]
	v_add_f64 v[0:1], v[0:1], v[2:3]
	v_mul_f64 v[2:3], v[44:45], v[162:163]
	v_fma_f64 v[2:3], v[42:43], v[164:165], -v[2:3]
	v_add_f64 v[0:1], v[0:1], v[2:3]
	v_mul_f64 v[2:3], v[48:49], v[156:157]
	v_fma_f64 v[2:3], v[46:47], v[26:27], -v[2:3]
	;; [unrolled: 3-line block ×16, first 2 shown]
	v_add_f64 v[0:1], v[0:1], v[2:3]
	v_accvgpr_read_b32 v93, a185
	v_cmp_lt_u32_e32 vcc, 6, v93
	s_waitcnt vmcnt(10) lgkmcnt(1)
	v_mul_f64 v[116:117], v[234:235], v[224:225]
	v_mul_f64 v[2:3], v[236:237], v[224:225]
	s_waitcnt vmcnt(8)
	v_fmac_f64_e32 v[116:117], v[236:237], v[226:227]
	v_add_f64 v[114:115], v[114:115], v[116:117]
	s_waitcnt vmcnt(6) lgkmcnt(0)
	v_mul_f64 v[116:117], v[238:239], v[228:229]
	s_waitcnt vmcnt(4)
	v_fmac_f64_e32 v[116:117], v[240:241], v[230:231]
	v_add_f64 v[246:247], v[114:115], v[116:117]
	ds_read_b128 v[114:117], v150 offset:1968
	v_fma_f64 v[2:3], v[234:235], v[226:227], -v[2:3]
	v_add_f64 v[0:1], v[0:1], v[2:3]
	v_mul_f64 v[2:3], v[240:241], v[228:229]
	v_fma_f64 v[2:3], v[238:239], v[230:231], -v[2:3]
	s_waitcnt vmcnt(2) lgkmcnt(0)
	v_mul_f64 v[184:185], v[114:115], v[242:243]
	s_waitcnt vmcnt(0)
	v_fmac_f64_e32 v[184:185], v[116:117], v[244:245]
	v_add_f64 v[184:185], v[246:247], v[184:185]
	buffer_load_dword v248, off, s[0:3], 0 offset:128
	buffer_load_dword v249, off, s[0:3], 0 offset:132
	;; [unrolled: 1-line block ×4, first 2 shown]
	v_add_f64 v[0:1], v[0:1], v[2:3]
	v_mul_f64 v[2:3], v[116:117], v[242:243]
	v_fma_f64 v[2:3], v[114:115], v[244:245], -v[2:3]
	v_add_f64 v[0:1], v[0:1], v[2:3]
	s_waitcnt vmcnt(2)
	v_add_f64 v[0:1], v[248:249], -v[0:1]
	s_waitcnt vmcnt(0)
	v_add_f64 v[2:3], v[246:247], -v[184:185]
	buffer_store_dword v1, off, s[0:3], 0 offset:132
	buffer_store_dword v0, off, s[0:3], 0 offset:128
	;; [unrolled: 1-line block ×4, first 2 shown]
	s_and_saveexec_b64 s[4:5], vcc
	s_cbranch_execz .LBB125_385
; %bb.384:
	v_accvgpr_read_b32 v3, a179
	buffer_load_dword v0, v3, s[0:3], 0 offen
	buffer_load_dword v1, v3, s[0:3], 0 offen offset:4
	buffer_load_dword v2, v3, s[0:3], 0 offen offset:8
	s_nop 0
	buffer_load_dword v3, v3, s[0:3], 0 offen offset:12
	v_mov_b32_e32 v4, 0
	v_accvgpr_read_b32 v5, a186
	buffer_store_dword v4, off, s[0:3], 0 offset:112
	buffer_store_dword v4, off, s[0:3], 0 offset:116
	;; [unrolled: 1-line block ×4, first 2 shown]
	s_waitcnt vmcnt(4)
	ds_write_b128 v5, v[0:3]
.LBB125_385:
	s_or_b64 exec, exec, s[4:5]
	s_waitcnt lgkmcnt(0)
	; wave barrier
	s_waitcnt lgkmcnt(0)
	buffer_load_dword v2, off, s[0:3], 0 offset:128
	buffer_load_dword v3, off, s[0:3], 0 offset:132
	;; [unrolled: 1-line block ×42, first 2 shown]
	v_mov_b32_e32 v92, 0
	buffer_load_dword v83, off, s[0:3], 0 offset:276
	buffer_load_dword v82, off, s[0:3], 0 offset:272
	;; [unrolled: 1-line block ×7, first 2 shown]
	ds_read_b128 v[10:13], v92 offset:1104
	ds_read_b128 v[22:25], v92 offset:1120
	;; [unrolled: 1-line block ×11, first 2 shown]
	v_cmp_lt_u32_e32 vcc, 5, v93
	s_waitcnt vmcnt(45) lgkmcnt(10)
	v_mul_f64 v[0:1], v[10:11], v[4:5]
	v_fmac_f64_e32 v[0:1], v[12:13], v[2:3]
	v_add_f64 v[0:1], v[0:1], 0
	v_mul_f64 v[4:5], v[12:13], v[4:5]
	s_waitcnt vmcnt(41) lgkmcnt(9)
	v_mul_f64 v[56:57], v[22:23], v[8:9]
	v_fmac_f64_e32 v[56:57], v[24:25], v[136:137]
	s_waitcnt vmcnt(39) lgkmcnt(8)
	v_mul_f64 v[58:59], v[98:99], v[14:15]
	v_add_f64 v[0:1], v[0:1], v[56:57]
	s_waitcnt vmcnt(37) lgkmcnt(6)
	v_mul_f64 v[62:63], v[106:107], v[26:27]
	v_mul_f64 v[14:15], v[100:101], v[14:15]
	s_waitcnt vmcnt(35)
	v_fmac_f64_e32 v[62:63], v[108:109], v[28:29]
	v_mul_f64 v[26:27], v[108:109], v[26:27]
	s_waitcnt vmcnt(33)
	v_mul_f64 v[60:61], v[102:103], v[18:19]
	v_mul_f64 v[18:19], v[104:105], v[18:19]
	s_waitcnt vmcnt(31) lgkmcnt(4)
	v_mul_f64 v[66:67], v[114:115], v[34:35]
	v_mul_f64 v[34:35], v[116:117], v[34:35]
	s_waitcnt vmcnt(29)
	v_fmac_f64_e32 v[66:67], v[116:117], v[36:37]
	s_waitcnt vmcnt(27)
	v_mul_f64 v[64:65], v[110:111], v[30:31]
	s_waitcnt vmcnt(25) lgkmcnt(2)
	v_mul_f64 v[70:71], v[164:165], v[38:39]
	s_waitcnt vmcnt(22)
	v_mul_f64 v[68:69], v[160:161], v[44:45]
	s_waitcnt vmcnt(20) lgkmcnt(1)
	v_mul_f64 v[138:139], v[170:171], v[42:43]
	s_waitcnt vmcnt(18)
	v_fmac_f64_e32 v[58:59], v[100:101], v[16:17]
	v_add_f64 v[0:1], v[0:1], v[58:59]
	s_waitcnt vmcnt(16)
	v_fmac_f64_e32 v[60:61], v[104:105], v[20:21]
	v_add_f64 v[0:1], v[0:1], v[60:61]
	;; [unrolled: 3-line block ×3, first 2 shown]
	v_add_f64 v[0:1], v[0:1], v[64:65]
	s_waitcnt vmcnt(12)
	v_fmac_f64_e32 v[68:69], v[162:163], v[46:47]
	v_add_f64 v[0:1], v[0:1], v[66:67]
	s_waitcnt vmcnt(11)
	v_fmac_f64_e32 v[70:71], v[166:167], v[40:41]
	v_add_f64 v[0:1], v[0:1], v[68:69]
	v_add_f64 v[0:1], v[0:1], v[70:71]
	buffer_load_dword v72, off, s[0:3], 0 offset:312
	buffer_load_dword v183, off, s[0:3], 0 offset:308
	;; [unrolled: 1-line block ×53, first 2 shown]
	s_waitcnt vmcnt(58)
	v_fmac_f64_e32 v[138:139], v[172:173], v[82:83]
	v_add_f64 v[0:1], v[0:1], v[138:139]
	s_waitcnt lgkmcnt(0)
	v_mul_f64 v[138:139], v[174:175], v[184:185]
	v_fmac_f64_e32 v[138:139], v[176:177], v[50:51]
	v_add_f64 v[0:1], v[0:1], v[138:139]
	v_fma_f64 v[100:101], v[106:107], v[28:29], -v[26:27]
	s_waitcnt vmcnt(0)
	v_pk_mov_b32 v[122:123], v[90:91], v[90:91] op_sel:[0,1]
	buffer_load_dword v91, off, s[0:3], 0 offset:548
	buffer_load_dword v90, off, s[0:3], 0 offset:544
	v_accvgpr_write_b32 a193, v123
	v_accvgpr_write_b32 a192, v122
	s_waitcnt vmcnt(0)
	v_pk_mov_b32 v[124:125], v[90:91], v[90:91] op_sel:[0,1]
	buffer_load_dword v91, off, s[0:3], 0 offset:540
	buffer_load_dword v90, off, s[0:3], 0 offset:536
	buffer_load_dword v49, off, s[0:3], 0 offset:532
	buffer_load_dword v48, off, s[0:3], 0 offset:528
	buffer_load_dword v119, off, s[0:3], 0 offset:588
	buffer_load_dword v118, off, s[0:3], 0 offset:584
	v_accvgpr_write_b32 a195, v125
	v_accvgpr_write_b32 a194, v124
	s_waitcnt vmcnt(0)
	v_pk_mov_b32 v[126:127], v[118:119], v[118:119] op_sel:[0,1]
	buffer_load_dword v119, off, s[0:3], 0 offset:580
	buffer_load_dword v118, off, s[0:3], 0 offset:576
	v_accvgpr_write_b32 a209, v127
	v_accvgpr_write_b32 a208, v126
	s_waitcnt vmcnt(0)
	v_pk_mov_b32 v[128:129], v[118:119], v[118:119] op_sel:[0,1]
	buffer_load_dword v119, off, s[0:3], 0 offset:572
	buffer_load_dword v118, off, s[0:3], 0 offset:568
	;; [unrolled: 6-line block ×7, first 2 shown]
	ds_read_b128 v[178:181], v92 offset:1280
	ds_read_b128 v[186:189], v92 offset:1296
	;; [unrolled: 1-line block ×7, first 2 shown]
	s_waitcnt lgkmcnt(6)
	v_mul_f64 v[138:139], v[178:179], v[72:73]
	v_fmac_f64_e32 v[138:139], v[180:181], v[182:183]
	v_add_f64 v[0:1], v[0:1], v[138:139]
	s_waitcnt lgkmcnt(5)
	v_mul_f64 v[138:139], v[186:187], v[54:55]
	v_fmac_f64_e32 v[138:139], v[188:189], v[52:53]
	v_add_f64 v[0:1], v[0:1], v[138:139]
	;; [unrolled: 4-line block ×4, first 2 shown]
	s_waitcnt lgkmcnt(2)
	v_mul_f64 v[138:139], v[198:199], v[252:253]
	v_fmac_f64_e32 v[138:139], v[200:201], v[254:255]
	s_waitcnt lgkmcnt(1)
	v_mul_f64 v[142:143], v[206:207], v[250:251]
	v_add_f64 v[0:1], v[0:1], v[138:139]
	v_fmac_f64_e32 v[142:143], v[208:209], v[96:97]
	s_waitcnt lgkmcnt(0)
	v_mul_f64 v[144:145], v[212:213], v[84:85]
	v_add_f64 v[0:1], v[0:1], v[142:143]
	v_fmac_f64_e32 v[144:145], v[214:215], v[94:95]
	v_add_f64 v[0:1], v[0:1], v[144:145]
	v_fma_f64 v[138:139], v[10:11], v[2:3], -v[4:5]
	v_accvgpr_write_b32 a217, v153
	v_accvgpr_write_b32 a216, v152
	s_waitcnt vmcnt(0)
	v_pk_mov_b32 v[154:155], v[118:119], v[118:119] op_sel:[0,1]
	buffer_load_dword v119, off, s[0:3], 0 offset:636
	buffer_load_dword v118, off, s[0:3], 0 offset:632
	v_accvgpr_write_b32 a219, v155
	v_accvgpr_write_b32 a218, v154
	s_waitcnt vmcnt(0)
	v_pk_mov_b32 v[156:157], v[118:119], v[118:119] op_sel:[0,1]
	buffer_load_dword v119, off, s[0:3], 0 offset:628
	buffer_load_dword v118, off, s[0:3], 0 offset:624
	ds_read_b128 v[216:219], v92 offset:1392
	v_accvgpr_write_b32 a221, v157
	v_accvgpr_write_b32 a220, v156
	s_waitcnt lgkmcnt(0)
	v_mul_f64 v[146:147], v[216:217], v[56:57]
	v_fmac_f64_e32 v[146:147], v[218:219], v[58:59]
	v_add_f64 v[0:1], v[0:1], v[146:147]
	s_waitcnt vmcnt(0)
	v_pk_mov_b32 v[158:159], v[118:119], v[118:119] op_sel:[0,1]
	buffer_load_dword v118, off, s[0:3], 0 offset:648
	buffer_load_dword v119, off, s[0:3], 0 offset:652
	v_accvgpr_write_b32 a223, v159
	v_accvgpr_write_b32 a222, v158
	s_waitcnt vmcnt(0)
	v_pk_mov_b32 v[168:169], v[118:119], v[118:119] op_sel:[0,1]
	buffer_load_dword v118, off, s[0:3], 0 offset:640
	buffer_load_dword v119, off, s[0:3], 0 offset:644
	ds_read_b128 v[220:223], v92 offset:1408
	ds_read_b128 v[224:227], v92 offset:1424
	;; [unrolled: 1-line block ×4, first 2 shown]
	buffer_load_dword v7, off, s[0:3], 0 offset:668
	buffer_load_dword v6, off, s[0:3], 0 offset:664
	;; [unrolled: 1-line block ×4, first 2 shown]
	s_waitcnt lgkmcnt(3)
	v_mul_f64 v[146:147], v[220:221], v[60:61]
	v_fmac_f64_e32 v[146:147], v[222:223], v[70:71]
	v_add_f64 v[0:1], v[0:1], v[146:147]
	s_waitcnt lgkmcnt(2)
	v_mul_f64 v[146:147], v[224:225], v[62:63]
	ds_read_b128 v[236:239], v92 offset:1472
	ds_read_b128 v[240:243], v92 offset:1488
	v_fmac_f64_e32 v[146:147], v[226:227], v[64:65]
	s_waitcnt lgkmcnt(3)
	v_mul_f64 v[150:151], v[228:229], v[66:67]
	v_add_f64 v[0:1], v[0:1], v[146:147]
	v_fmac_f64_e32 v[150:151], v[230:231], v[68:69]
	v_add_f64 v[0:1], v[0:1], v[150:151]
	s_waitcnt lgkmcnt(2)
	v_mul_f64 v[150:151], v[232:233], v[74:75]
	ds_read_b128 v[244:247], v92 offset:1504
	ds_read_b128 v[10:13], v92 offset:1520
	v_fmac_f64_e32 v[150:151], v[234:235], v[76:77]
	v_add_f64 v[0:1], v[0:1], v[150:151]
	s_waitcnt lgkmcnt(3)
	v_mul_f64 v[150:151], v[236:237], v[78:79]
	v_fmac_f64_e32 v[150:151], v[238:239], v[80:81]
	v_add_f64 v[0:1], v[0:1], v[150:151]
	s_waitcnt lgkmcnt(2)
	v_mul_f64 v[150:151], v[240:241], v[86:87]
	v_fmac_f64_e32 v[150:151], v[242:243], v[88:89]
	s_waitcnt lgkmcnt(1)
	v_mul_f64 v[4:5], v[244:245], v[90:91]
	v_add_f64 v[0:1], v[0:1], v[150:151]
	v_fmac_f64_e32 v[4:5], v[246:247], v[48:49]
	v_add_f64 v[0:1], v[0:1], v[4:5]
	v_mul_f64 v[4:5], v[24:25], v[8:9]
	v_fma_f64 v[136:137], v[22:23], v[136:137], -v[4:5]
	ds_read_b128 v[22:25], v92 offset:1536
	s_waitcnt lgkmcnt(1)
	v_pk_mov_b32 v[2:3], v[10:11], v[10:11] op_sel:[0,1]
	v_pk_mov_b32 v[4:5], v[12:13], v[12:13] op_sel:[0,1]
	v_mul_f64 v[10:11], v[2:3], v[122:123]
	v_fmac_f64_e32 v[10:11], v[4:5], v[124:125]
	v_add_f64 v[0:1], v[0:1], v[10:11]
	ds_read_b128 v[8:11], v92 offset:1552
	v_accvgpr_write_b32 a191, v5
	v_accvgpr_write_b32 a190, v4
	;; [unrolled: 1-line block ×4, first 2 shown]
	s_waitcnt lgkmcnt(1)
	v_pk_mov_b32 v[2:3], v[22:23], v[22:23] op_sel:[0,1]
	ds_read_b128 v[144:147], v92 offset:1568
	ds_read_b128 v[140:143], v92 offset:1584
	v_pk_mov_b32 v[4:5], v[24:25], v[24:25] op_sel:[0,1]
	v_mul_f64 v[22:23], v[2:3], v[132:133]
	v_fmac_f64_e32 v[22:23], v[4:5], v[134:135]
	v_add_f64 v[0:1], v[0:1], v[22:23]
	s_waitcnt lgkmcnt(2)
	v_mul_f64 v[22:23], v[8:9], v[126:127]
	v_fmac_f64_e32 v[22:23], v[10:11], v[128:129]
	v_add_f64 v[0:1], v[0:1], v[22:23]
	s_waitcnt lgkmcnt(1)
	v_mul_f64 v[22:23], v[144:145], v[152:153]
	v_fmac_f64_e32 v[22:23], v[146:147], v[154:155]
	ds_read_b128 v[132:135], v92 offset:1600
	v_add_f64 v[0:1], v[0:1], v[22:23]
	s_waitcnt lgkmcnt(1)
	v_mul_f64 v[22:23], v[140:141], v[130:131]
	ds_read_b128 v[128:131], v92 offset:1616
	v_fma_f64 v[150:151], v[98:99], v[16:17], -v[14:15]
	v_accvgpr_write_b32 a207, v11
	v_fma_f64 v[98:99], v[102:103], v[20:21], -v[18:19]
	v_fmac_f64_e32 v[22:23], v[142:143], v[148:149]
	s_waitcnt lgkmcnt(1)
	v_mul_f64 v[102:103], v[132:133], v[156:157]
	ds_read_b128 v[124:127], v92 offset:1632
	buffer_load_dword v123, off, s[0:3], 0 offset:684
	buffer_load_dword v122, off, s[0:3], 0 offset:680
	v_accvgpr_write_b32 a206, v10
	v_accvgpr_write_b32 a205, v9
	;; [unrolled: 1-line block ×3, first 2 shown]
	v_add_f64 v[0:1], v[0:1], v[22:23]
	v_fmac_f64_e32 v[102:103], v[134:135], v[158:159]
	s_waitcnt lgkmcnt(1)
	v_mul_f64 v[8:9], v[128:129], v[168:169]
	buffer_load_dword v157, off, s[0:3], 0 offset:676
	buffer_load_dword v156, off, s[0:3], 0 offset:672
	;; [unrolled: 1-line block ×6, first 2 shown]
	v_add_f64 v[102:103], v[0:1], v[102:103]
	v_accvgpr_write_b32 a225, v169
	v_accvgpr_write_b32 a224, v168
	v_mul_f64 v[10:11], v[172:173], v[42:43]
	v_fma_f64 v[18:19], v[170:171], v[82:83], -v[10:11]
	s_waitcnt vmcnt(12)
	v_fmac_f64_e32 v[8:9], v[130:131], v[118:119]
	v_add_f64 v[8:9], v[102:103], v[8:9]
	v_fma_f64 v[102:103], v[114:115], v[36:37], -v[34:35]
	v_mul_f64 v[34:35], v[162:163], v[44:45]
	v_fma_f64 v[104:105], v[160:161], v[46:47], -v[34:35]
	buffer_load_dword v163, off, s[0:3], 0 offset:692
	buffer_load_dword v162, off, s[0:3], 0 offset:688
	;; [unrolled: 1-line block ×4, first 2 shown]
	v_mul_f64 v[34:35], v[166:167], v[38:39]
	v_fma_f64 v[24:25], v[164:165], v[40:41], -v[34:35]
	buffer_load_dword v160, off, s[0:3], 0 offset:744
	buffer_load_dword v165, off, s[0:3], 0 offset:732
	;; [unrolled: 1-line block ×8, first 2 shown]
	v_mul_f64 v[34:35], v[176:177], v[184:185]
	v_fma_f64 v[14:15], v[174:175], v[50:51], -v[34:35]
	v_mul_f64 v[16:17], v[180:181], v[72:73]
	buffer_load_dword v171, off, s[0:3], 0 offset:780
	buffer_load_dword v175, off, s[0:3], 0 offset:764
	;; [unrolled: 1-line block ×6, first 2 shown]
	v_fma_f64 v[16:17], v[178:179], v[182:183], -v[16:17]
	buffer_load_dword v179, off, s[0:3], 0 offset:772
	buffer_load_dword v178, off, s[0:3], 0 offset:768
	v_mul_f64 v[34:35], v[188:189], v[54:55]
	v_fma_f64 v[12:13], v[186:187], v[52:53], -v[34:35]
	buffer_load_dword v172, off, s[0:3], 0 offset:808
	buffer_load_dword v183, off, s[0:3], 0 offset:796
	;; [unrolled: 1-line block ×8, first 2 shown]
	v_mul_f64 v[42:43], v[192:193], v[210:211]
	ds_read_b128 v[38:41], v92 offset:1648
	ds_read_b128 v[34:37], v92 offset:1664
	v_fma_f64 v[248:249], v[190:191], v[248:249], -v[42:43]
	buffer_load_dword v189, off, s[0:3], 0 offset:828
	buffer_load_dword v188, off, s[0:3], 0 offset:824
	;; [unrolled: 1-line block ×4, first 2 shown]
	v_mul_f64 v[42:43], v[196:197], v[202:203]
	v_fma_f64 v[196:197], v[194:195], v[204:205], -v[42:43]
	buffer_load_dword v192, off, s[0:3], 0 offset:840
	buffer_load_dword v194, off, s[0:3], 0 offset:832
	;; [unrolled: 1-line block ×4, first 2 shown]
	v_mul_f64 v[42:43], v[200:201], v[252:253]
	v_fma_f64 v[252:253], v[198:199], v[254:255], -v[42:43]
	buffer_load_dword v199, off, s[0:3], 0 offset:860
	buffer_load_dword v198, off, s[0:3], 0 offset:856
	;; [unrolled: 1-line block ×8, first 2 shown]
	v_mul_f64 v[42:43], v[208:209], v[250:251]
	v_fma_f64 v[250:251], v[206:207], v[96:97], -v[42:43]
	buffer_load_dword v254, off, s[0:3], 0 offset:904
	buffer_load_dword v209, off, s[0:3], 0 offset:892
	;; [unrolled: 1-line block ×8, first 2 shown]
	s_waitcnt vmcnt(62) lgkmcnt(2)
	v_mul_f64 v[44:45], v[124:125], v[6:7]
	s_waitcnt vmcnt(60)
	v_fmac_f64_e32 v[44:45], v[126:127], v[120:121]
	v_mul_f64 v[42:43], v[214:215], v[84:85]
	v_mul_f64 v[0:1], v[112:113], v[30:31]
	v_add_f64 v[8:9], v[8:9], v[44:45]
	v_fma_f64 v[10:11], v[212:213], v[94:95], -v[42:43]
	ds_read_b128 v[42:45], v92 offset:1680
	v_fma_f64 v[26:27], v[110:111], v[32:33], -v[0:1]
	ds_read_b128 v[30:33], v92 offset:1696
	ds_read_b128 v[50:53], v92 offset:1712
	v_accvgpr_write_b32 a231, v7
	v_accvgpr_write_b32 a230, v6
	;; [unrolled: 1-line block ×3, first 2 shown]
	v_mul_f64 v[66:67], v[230:231], v[66:67]
	v_accvgpr_write_b32 a198, v4
	v_accvgpr_write_b32 a197, v3
	;; [unrolled: 1-line block ×3, first 2 shown]
	v_fma_f64 v[4:5], v[228:229], v[68:69], -v[66:67]
	ds_read_b128 v[66:69], v92 offset:1776
	v_mul_f64 v[78:79], v[238:239], v[78:79]
	v_fma_f64 v[2:3], v[236:237], v[80:81], -v[78:79]
	v_mul_f64 v[86:87], v[242:243], v[86:87]
	v_fma_f64 v[0:1], v[240:241], v[88:89], -v[86:87]
	v_accvgpr_write_b32 a229, v121
	v_accvgpr_write_b32 a227, v119
	;; [unrolled: 1-line block ×3, first 2 shown]
	v_add_f64 v[120:121], v[138:139], 0
	v_accvgpr_write_b32 a226, v118
	v_add_f64 v[118:119], v[120:121], v[136:137]
	v_add_f64 v[118:119], v[118:119], v[150:151]
	;; [unrolled: 1-line block ×5, first 2 shown]
	s_waitcnt vmcnt(58) lgkmcnt(5)
	v_mul_f64 v[46:47], v[38:39], v[122:123]
	v_add_f64 v[26:27], v[26:27], v[102:103]
	v_add_f64 v[26:27], v[26:27], v[104:105]
	;; [unrolled: 1-line block ×6, first 2 shown]
	s_waitcnt vmcnt(56)
	v_fmac_f64_e32 v[46:47], v[40:41], v[156:157]
	s_waitcnt vmcnt(52) lgkmcnt(4)
	v_mul_f64 v[22:23], v[34:35], v[158:159]
	v_add_f64 v[8:9], v[8:9], v[46:47]
	v_add_f64 v[12:13], v[14:15], v[12:13]
	;; [unrolled: 1-line block ×4, first 2 shown]
	ds_read_b128 v[78:81], v92 offset:1824
	v_add_f64 v[12:13], v[12:13], v[252:253]
	v_add_f64 v[12:13], v[12:13], v[250:251]
	;; [unrolled: 1-line block ×3, first 2 shown]
	s_waitcnt vmcnt(50)
	v_fmac_f64_e32 v[22:23], v[36:37], v[162:163]
	v_add_f64 v[8:9], v[8:9], v[22:23]
	s_waitcnt vmcnt(49) lgkmcnt(4)
	v_mul_f64 v[22:23], v[42:43], v[152:153]
	s_waitcnt vmcnt(48)
	v_fmac_f64_e32 v[22:23], v[44:45], v[154:155]
	s_waitcnt vmcnt(45) lgkmcnt(3)
	v_mul_f64 v[54:55], v[30:31], v[164:165]
	v_add_f64 v[8:9], v[8:9], v[22:23]
	s_waitcnt vmcnt(43)
	v_fmac_f64_e32 v[54:55], v[32:33], v[168:169]
	v_add_f64 v[8:9], v[8:9], v[54:55]
	v_mul_f64 v[54:55], v[222:223], v[60:61]
	v_mul_f64 v[22:23], v[218:219], v[56:57]
	v_fma_f64 v[6:7], v[220:221], v[70:71], -v[54:55]
	ds_read_b128 v[54:57], v92 offset:1728
	s_waitcnt vmcnt(41) lgkmcnt(3)
	v_mul_f64 v[20:21], v[50:51], v[160:161]
	s_waitcnt vmcnt(40)
	v_fmac_f64_e32 v[20:21], v[52:53], v[166:167]
	v_fma_f64 v[22:23], v[216:217], v[58:59], -v[22:23]
	v_add_f64 v[8:9], v[8:9], v[20:21]
	ds_read_b128 v[58:61], v92 offset:1744
	v_mul_f64 v[20:21], v[226:227], v[62:63]
	v_fma_f64 v[20:21], v[224:225], v[64:65], -v[20:21]
	ds_read_b128 v[62:65], v92 offset:1760
	s_waitcnt vmcnt(37) lgkmcnt(2)
	v_mul_f64 v[70:71], v[54:55], v[174:175]
	s_waitcnt vmcnt(35)
	v_fmac_f64_e32 v[70:71], v[56:57], v[176:177]
	v_add_f64 v[8:9], v[8:9], v[70:71]
	s_waitcnt vmcnt(34) lgkmcnt(1)
	v_mul_f64 v[70:71], v[58:59], v[170:171]
	s_waitcnt vmcnt(32)
	v_fmac_f64_e32 v[70:71], v[60:61], v[178:179]
	s_waitcnt vmcnt(29) lgkmcnt(0)
	v_mul_f64 v[28:29], v[62:63], v[182:183]
	v_add_f64 v[8:9], v[8:9], v[70:71]
	s_waitcnt vmcnt(27)
	v_fmac_f64_e32 v[28:29], v[64:65], v[186:187]
	v_add_f64 v[8:9], v[8:9], v[28:29]
	ds_read_b128 v[70:73], v92 offset:1792
	s_waitcnt vmcnt(25)
	v_mul_f64 v[28:29], v[66:67], v[172:173]
	s_waitcnt vmcnt(24)
	v_fmac_f64_e32 v[28:29], v[68:69], v[180:181]
	v_add_f64 v[8:9], v[8:9], v[28:29]
	v_mul_f64 v[28:29], v[234:235], v[74:75]
	v_fma_f64 v[28:29], v[232:233], v[76:77], -v[28:29]
	ds_read_b128 v[74:77], v92 offset:1808
	s_waitcnt vmcnt(22) lgkmcnt(1)
	v_mul_f64 v[82:83], v[70:71], v[188:189]
	s_waitcnt vmcnt(20)
	v_fmac_f64_e32 v[82:83], v[72:73], v[190:191]
	v_add_f64 v[8:9], v[8:9], v[82:83]
	s_waitcnt vmcnt(14)
	v_mul_f64 v[94:95], v[78:79], v[198:199]
	s_waitcnt lgkmcnt(0)
	v_mul_f64 v[82:83], v[74:75], v[192:193]
	v_fmac_f64_e32 v[82:83], v[76:77], v[194:195]
	v_add_f64 v[8:9], v[8:9], v[82:83]
	ds_read_b128 v[82:85], v92 offset:1840
	ds_read_b128 v[86:89], v92 offset:1856
	s_waitcnt vmcnt(12)
	v_fmac_f64_e32 v[94:95], v[80:81], v[202:203]
	v_add_f64 v[94:95], v[8:9], v[94:95]
	v_mul_f64 v[8:9], v[246:247], v[90:91]
	v_fma_f64 v[8:9], v[244:245], v[48:49], -v[8:9]
	ds_read_b128 v[46:49], v92 offset:1872
	s_waitcnt vmcnt(10) lgkmcnt(2)
	v_mul_f64 v[96:97], v[82:83], v[200:201]
	s_waitcnt vmcnt(8)
	v_fmac_f64_e32 v[96:97], v[84:85], v[204:205]
	v_add_f64 v[94:95], v[94:95], v[96:97]
	s_waitcnt vmcnt(5) lgkmcnt(1)
	v_mul_f64 v[96:97], v[86:87], v[208:209]
	s_waitcnt vmcnt(3)
	v_fmac_f64_e32 v[96:97], v[88:89], v[210:211]
	v_add_f64 v[94:95], v[94:95], v[96:97]
	s_waitcnt vmcnt(1) lgkmcnt(0)
	v_mul_f64 v[96:97], v[46:47], v[254:255]
	buffer_load_dword v213, off, s[0:3], 0 offset:924
	buffer_load_dword v212, off, s[0:3], 0 offset:920
	;; [unrolled: 1-line block ×4, first 2 shown]
	s_waitcnt vmcnt(4)
	v_fmac_f64_e32 v[96:97], v[48:49], v[206:207]
	v_add_f64 v[106:107], v[94:95], v[96:97]
	ds_read_b128 v[94:97], v92 offset:1888
	buffer_load_dword v216, off, s[0:3], 0 offset:936
	buffer_load_dword v217, off, s[0:3], 0 offset:940
	buffer_load_dword v218, off, s[0:3], 0 offset:928
	buffer_load_dword v219, off, s[0:3], 0 offset:932
	ds_read_b128 v[234:237], v92 offset:1904
	buffer_load_dword v221, off, s[0:3], 0 offset:956
	buffer_load_dword v220, off, s[0:3], 0 offset:952
	buffer_load_dword v223, off, s[0:3], 0 offset:948
	buffer_load_dword v222, off, s[0:3], 0 offset:944
	;; [unrolled: 5-line block ×3, first 2 shown]
	v_add_f64 v[10:11], v[10:11], v[22:23]
	v_add_f64 v[6:7], v[10:11], v[6:7]
	;; [unrolled: 1-line block ×7, first 2 shown]
	v_accvgpr_read_b32 v4, a188
	v_accvgpr_read_b32 v2, a192
	;; [unrolled: 1-line block ×5, first 2 shown]
	v_mul_f64 v[2:3], v[6:7], v[2:3]
	v_accvgpr_read_b32 v6, a194
	v_accvgpr_read_b32 v5, a189
	v_accvgpr_read_b32 v7, a195
	v_add_f64 v[0:1], v[252:253], v[8:9]
	v_fma_f64 v[2:3], v[4:5], v[6:7], -v[2:3]
	v_add_f64 v[0:1], v[0:1], v[2:3]
	v_accvgpr_read_b32 v4, a196
	v_accvgpr_read_b32 v2, a200
	;; [unrolled: 1-line block ×5, first 2 shown]
	v_mul_f64 v[2:3], v[6:7], v[2:3]
	v_accvgpr_read_b32 v6, a202
	v_accvgpr_read_b32 v5, a197
	;; [unrolled: 1-line block ×3, first 2 shown]
	v_fma_f64 v[2:3], v[4:5], v[6:7], -v[2:3]
	v_add_f64 v[0:1], v[0:1], v[2:3]
	v_accvgpr_read_b32 v4, a204
	v_accvgpr_read_b32 v2, a208
	;; [unrolled: 1-line block ×5, first 2 shown]
	v_mul_f64 v[2:3], v[6:7], v[2:3]
	v_accvgpr_read_b32 v6, a210
	v_accvgpr_read_b32 v5, a205
	;; [unrolled: 1-line block ×3, first 2 shown]
	v_fma_f64 v[2:3], v[4:5], v[6:7], -v[2:3]
	v_add_f64 v[0:1], v[0:1], v[2:3]
	v_accvgpr_read_b32 v2, a216
	v_accvgpr_read_b32 v3, a217
	v_accvgpr_read_b32 v4, a218
	v_mul_f64 v[2:3], v[146:147], v[2:3]
	v_accvgpr_read_b32 v5, a219
	v_fma_f64 v[2:3], v[144:145], v[4:5], -v[2:3]
	v_add_f64 v[0:1], v[0:1], v[2:3]
	v_accvgpr_read_b32 v2, a212
	v_accvgpr_read_b32 v3, a213
	v_accvgpr_read_b32 v4, a214
	v_mul_f64 v[2:3], v[142:143], v[2:3]
	v_accvgpr_read_b32 v5, a215
	;; [unrolled: 7-line block ×4, first 2 shown]
	v_fma_f64 v[2:3], v[128:129], v[4:5], -v[2:3]
	v_add_f64 v[0:1], v[0:1], v[2:3]
	s_waitcnt vmcnt(14) lgkmcnt(2)
	v_mul_f64 v[108:109], v[94:95], v[212:213]
	v_accvgpr_read_b32 v2, a230
	s_waitcnt vmcnt(12)
	v_fmac_f64_e32 v[108:109], v[96:97], v[214:215]
	v_add_f64 v[106:107], v[106:107], v[108:109]
	s_waitcnt vmcnt(10) lgkmcnt(1)
	v_mul_f64 v[108:109], v[234:235], v[216:217]
	v_accvgpr_read_b32 v3, a231
	s_waitcnt vmcnt(8)
	v_fmac_f64_e32 v[108:109], v[236:237], v[218:219]
	v_add_f64 v[106:107], v[106:107], v[108:109]
	s_waitcnt vmcnt(6) lgkmcnt(0)
	v_mul_f64 v[108:109], v[238:239], v[220:221]
	s_waitcnt vmcnt(4)
	v_fmac_f64_e32 v[108:109], v[240:241], v[222:223]
	v_add_f64 v[110:111], v[106:107], v[108:109]
	ds_read_b128 v[106:109], v92 offset:1936
	buffer_load_dword v229, off, s[0:3], 0 offset:988
	buffer_load_dword v228, off, s[0:3], 0 offset:984
	buffer_load_dword v231, off, s[0:3], 0 offset:980
	buffer_load_dword v230, off, s[0:3], 0 offset:976
	v_accvgpr_read_b32 v4, a228
	v_mul_f64 v[2:3], v[126:127], v[2:3]
	v_accvgpr_read_b32 v5, a229
	s_waitcnt vmcnt(6) lgkmcnt(0)
	v_mul_f64 v[112:113], v[106:107], v[224:225]
	s_waitcnt vmcnt(4)
	v_fmac_f64_e32 v[112:113], v[108:109], v[226:227]
	v_add_f64 v[114:115], v[110:111], v[112:113]
	ds_read_b128 v[110:113], v92 offset:1952
	buffer_load_dword v242, off, s[0:3], 0 offset:1000
	buffer_load_dword v243, off, s[0:3], 0 offset:1004
	;; [unrolled: 1-line block ×4, first 2 shown]
	v_fma_f64 v[2:3], v[124:125], v[4:5], -v[2:3]
	v_add_f64 v[0:1], v[0:1], v[2:3]
	v_mul_f64 v[2:3], v[40:41], v[122:123]
	v_fma_f64 v[2:3], v[38:39], v[156:157], -v[2:3]
	v_add_f64 v[0:1], v[0:1], v[2:3]
	v_mul_f64 v[2:3], v[36:37], v[158:159]
	;; [unrolled: 3-line block ×19, first 2 shown]
	v_fma_f64 v[2:3], v[106:107], v[226:227], -v[2:3]
	v_add_f64 v[0:1], v[0:1], v[2:3]
	s_waitcnt vmcnt(6) lgkmcnt(0)
	v_mul_f64 v[116:117], v[110:111], v[228:229]
	v_mul_f64 v[2:3], v[112:113], v[228:229]
	s_waitcnt vmcnt(4)
	v_fmac_f64_e32 v[116:117], v[112:113], v[230:231]
	v_add_f64 v[148:149], v[114:115], v[116:117]
	ds_read_b128 v[114:117], v92 offset:1968
	buffer_load_dword v248, off, s[0:3], 0 offset:112
	buffer_load_dword v249, off, s[0:3], 0 offset:116
	buffer_load_dword v246, off, s[0:3], 0 offset:120
	buffer_load_dword v247, off, s[0:3], 0 offset:124
	v_fma_f64 v[2:3], v[110:111], v[230:231], -v[2:3]
	v_add_f64 v[0:1], v[0:1], v[2:3]
	s_waitcnt vmcnt(6) lgkmcnt(0)
	v_mul_f64 v[2:3], v[116:117], v[242:243]
	v_mul_f64 v[232:233], v[114:115], v[242:243]
	s_waitcnt vmcnt(4)
	v_fma_f64 v[2:3], v[114:115], v[244:245], -v[2:3]
	v_fmac_f64_e32 v[232:233], v[116:117], v[244:245]
	v_add_f64 v[0:1], v[0:1], v[2:3]
	v_add_f64 v[232:233], v[148:149], v[232:233]
	s_waitcnt vmcnt(2)
	v_add_f64 v[0:1], v[248:249], -v[0:1]
	s_waitcnt vmcnt(0)
	v_add_f64 v[2:3], v[246:247], -v[232:233]
	buffer_store_dword v1, off, s[0:3], 0 offset:116
	buffer_store_dword v0, off, s[0:3], 0 offset:112
	;; [unrolled: 1-line block ×4, first 2 shown]
	s_and_saveexec_b64 s[4:5], vcc
	s_cbranch_execz .LBB125_387
; %bb.386:
	v_accvgpr_read_b32 v3, a180
	buffer_load_dword v0, v3, s[0:3], 0 offen
	buffer_load_dword v1, v3, s[0:3], 0 offen offset:4
	buffer_load_dword v2, v3, s[0:3], 0 offen offset:8
	s_nop 0
	buffer_load_dword v3, v3, s[0:3], 0 offen offset:12
	v_accvgpr_read_b32 v4, a186
	buffer_store_dword v92, off, s[0:3], 0 offset:96
	buffer_store_dword v92, off, s[0:3], 0 offset:100
	;; [unrolled: 1-line block ×4, first 2 shown]
	s_waitcnt vmcnt(4)
	ds_write_b128 v4, v[0:3]
.LBB125_387:
	s_or_b64 exec, exec, s[4:5]
	s_waitcnt lgkmcnt(0)
	; wave barrier
	s_waitcnt lgkmcnt(0)
	buffer_load_dword v4, off, s[0:3], 0 offset:112
	buffer_load_dword v5, off, s[0:3], 0 offset:116
	;; [unrolled: 1-line block ×42, first 2 shown]
	ds_read_b128 v[102:105], v92 offset:1088
	ds_read_b128 v[106:109], v92 offset:1104
	ds_read_b128 v[110:113], v92 offset:1120
	ds_read_b128 v[114:117], v92 offset:1136
	ds_read_b128 v[150:153], v92 offset:1152
	ds_read_b128 v[154:157], v92 offset:1168
	ds_read_b128 v[158:161], v92 offset:1184
	ds_read_b128 v[162:165], v92 offset:1200
	ds_read_b128 v[42:45], v92 offset:1216
	ds_read_b128 v[34:37], v92 offset:1232
	buffer_load_dword v1, off, s[0:3], 0 offset:260
	buffer_load_dword v0, off, s[0:3], 0 offset:256
	ds_read_b128 v[38:41], v92 offset:1248
	buffer_load_dword v87, off, s[0:3], 0 offset:316
	buffer_load_dword v86, off, s[0:3], 0 offset:312
	;; [unrolled: 1-line block ×6, first 2 shown]
	s_waitcnt vmcnt(46) lgkmcnt(10)
	v_mul_f64 v[56:57], v[102:103], v[10:11]
	v_fmac_f64_e32 v[56:57], v[104:105], v[4:5]
	v_add_f64 v[56:57], v[56:57], 0
	v_mul_f64 v[10:11], v[104:105], v[10:11]
	s_waitcnt vmcnt(42) lgkmcnt(9)
	v_mul_f64 v[58:59], v[106:107], v[8:9]
	v_fmac_f64_e32 v[58:59], v[108:109], v[2:3]
	s_waitcnt vmcnt(40) lgkmcnt(8)
	v_mul_f64 v[62:63], v[110:111], v[6:7]
	v_add_f64 v[56:57], v[56:57], v[58:59]
	s_waitcnt vmcnt(38) lgkmcnt(6)
	v_mul_f64 v[66:67], v[150:151], v[14:15]
	v_fma_f64 v[234:235], v[102:103], v[4:5], -v[10:11]
	s_waitcnt vmcnt(36)
	v_fmac_f64_e32 v[66:67], v[152:153], v[144:145]
	v_mul_f64 v[8:9], v[108:109], v[8:9]
	s_waitcnt vmcnt(34)
	v_mul_f64 v[64:65], v[114:115], v[142:143]
	v_fma_f64 v[236:237], v[106:107], v[2:3], -v[8:9]
	s_waitcnt vmcnt(32) lgkmcnt(4)
	v_mul_f64 v[70:71], v[158:159], v[26:27]
	v_mul_f64 v[6:7], v[112:113], v[6:7]
	s_waitcnt vmcnt(30)
	v_fmac_f64_e32 v[70:71], v[160:161], v[28:29]
	v_mul_f64 v[10:11], v[116:117], v[142:143]
	s_waitcnt vmcnt(28)
	v_mul_f64 v[68:69], v[154:155], v[146:147]
	v_mul_f64 v[14:15], v[152:153], v[14:15]
	s_waitcnt vmcnt(26) lgkmcnt(2)
	v_mul_f64 v[74:75], v[42:43], v[46:47]
	v_mul_f64 v[26:27], v[160:161], v[26:27]
	s_waitcnt vmcnt(23)
	v_mul_f64 v[72:73], v[162:163], v[30:31]
	v_mul_f64 v[30:31], v[164:165], v[30:31]
	s_waitcnt vmcnt(21) lgkmcnt(1)
	v_mul_f64 v[134:135], v[34:35], v[50:51]
	s_waitcnt vmcnt(19)
	v_fmac_f64_e32 v[62:63], v[112:113], v[24:25]
	v_add_f64 v[56:57], v[56:57], v[62:63]
	s_waitcnt vmcnt(17)
	v_fmac_f64_e32 v[64:65], v[116:117], v[22:23]
	v_add_f64 v[56:57], v[56:57], v[64:65]
	;; [unrolled: 3-line block ×3, first 2 shown]
	v_add_f64 v[56:57], v[56:57], v[68:69]
	s_waitcnt vmcnt(13)
	v_fmac_f64_e32 v[72:73], v[164:165], v[32:33]
	v_add_f64 v[56:57], v[56:57], v[70:71]
	s_waitcnt vmcnt(12)
	v_fmac_f64_e32 v[74:75], v[44:45], v[18:19]
	v_add_f64 v[56:57], v[56:57], v[72:73]
	v_add_f64 v[136:137], v[56:57], v[74:75]
	buffer_load_dword v175, off, s[0:3], 0 offset:292
	buffer_load_dword v174, off, s[0:3], 0 offset:288
	;; [unrolled: 1-line block ×60, first 2 shown]
	s_waitcnt vmcnt(62)
	v_fmac_f64_e32 v[134:135], v[36:37], v[0:1]
	v_add_f64 v[134:135], v[136:137], v[134:135]
	s_waitcnt lgkmcnt(0)
	v_mul_f64 v[136:137], v[38:39], v[52:53]
	v_fmac_f64_e32 v[136:137], v[40:41], v[54:55]
	v_add_f64 v[134:135], v[134:135], v[136:137]
	v_fma_f64 v[254:255], v[110:111], v[24:25], -v[6:7]
	v_fma_f64 v[252:253], v[114:115], v[22:23], -v[10:11]
	;; [unrolled: 1-line block ×3, first 2 shown]
	v_mul_f64 v[44:45], v[44:45], v[46:47]
	s_waitcnt vmcnt(0)
	v_pk_mov_b32 v[120:121], v[118:119], v[118:119] op_sel:[0,1]
	buffer_load_dword v119, off, s[0:3], 0 offset:564
	buffer_load_dword v118, off, s[0:3], 0 offset:560
	v_accvgpr_write_b32 a205, v121
	v_accvgpr_write_b32 a204, v120
	s_waitcnt vmcnt(0)
	v_pk_mov_b32 v[122:123], v[118:119], v[118:119] op_sel:[0,1]
	buffer_load_dword v119, off, s[0:3], 0 offset:556
	buffer_load_dword v118, off, s[0:3], 0 offset:552
	v_accvgpr_write_b32 a207, v123
	v_accvgpr_write_b32 a206, v122
	;; [unrolled: 6-line block ×6, first 2 shown]
	s_waitcnt vmcnt(0)
	v_pk_mov_b32 v[176:177], v[118:119], v[118:119] op_sel:[0,1]
	buffer_load_dword v119, off, s[0:3], 0 offset:580
	buffer_load_dword v118, off, s[0:3], 0 offset:576
	ds_read_b128 v[170:173], v92 offset:1264
	ds_read_b128 v[178:181], v92 offset:1280
	;; [unrolled: 1-line block ×6, first 2 shown]
	s_waitcnt lgkmcnt(5)
	v_mul_f64 v[136:137], v[170:171], v[98:99]
	v_fmac_f64_e32 v[136:137], v[172:173], v[174:175]
	v_add_f64 v[134:135], v[134:135], v[136:137]
	s_waitcnt lgkmcnt(4)
	v_mul_f64 v[136:137], v[178:179], v[86:87]
	v_fmac_f64_e32 v[136:137], v[180:181], v[60:61]
	v_add_f64 v[134:135], v[134:135], v[136:137]
	;; [unrolled: 4-line block ×3, first 2 shown]
	s_waitcnt lgkmcnt(2)
	v_mul_f64 v[136:137], v[190:191], v[206:207]
	v_fmac_f64_e32 v[136:137], v[192:193], v[208:209]
	ds_read_b128 v[202:205], v92 offset:1360
	ds_read_b128 v[212:215], v92 offset:1376
	v_add_f64 v[134:135], v[134:135], v[136:137]
	s_waitcnt lgkmcnt(3)
	v_mul_f64 v[136:137], v[194:195], v[232:233]
	v_fmac_f64_e32 v[136:137], v[196:197], v[246:247]
	v_add_f64 v[134:135], v[134:135], v[136:137]
	s_waitcnt lgkmcnt(2)
	v_mul_f64 v[136:137], v[198:199], v[96:97]
	v_fmac_f64_e32 v[136:137], v[200:201], v[100:101]
	;; [unrolled: 4-line block ×3, first 2 shown]
	ds_read_b128 v[216:219], v92 offset:1392
	v_add_f64 v[134:135], v[134:135], v[136:137]
	s_waitcnt lgkmcnt(1)
	v_mul_f64 v[136:137], v[212:213], v[74:75]
	v_fmac_f64_e32 v[136:137], v[214:215], v[76:77]
	buffer_load_dword v13, off, s[0:3], 0 offset:620
	buffer_load_dword v12, off, s[0:3], 0 offset:616
	buffer_load_dword v133, off, s[0:3], 0 offset:612
	buffer_load_dword v132, off, s[0:3], 0 offset:608
	v_add_f64 v[138:139], v[134:135], v[136:137]
	ds_read_b128 v[220:223], v92 offset:1408
	buffer_load_dword v184, off, s[0:3], 0 offset:632
	buffer_load_dword v136, off, s[0:3], 0 offset:624
	;; [unrolled: 1-line block ×4, first 2 shown]
	s_waitcnt lgkmcnt(1)
	v_mul_f64 v[140:141], v[216:217], v[88:89]
	v_fmac_f64_e32 v[140:141], v[218:219], v[94:95]
	v_add_f64 v[166:167], v[138:139], v[140:141]
	ds_read_b128 v[224:227], v92 offset:1424
	buffer_load_dword v135, off, s[0:3], 0 offset:668
	buffer_load_dword v49, off, s[0:3], 0 offset:652
	;; [unrolled: 1-line block ×8, first 2 shown]
	ds_read_b128 v[228:231], v92 offset:1440
	ds_read_b128 v[238:241], v92 offset:1456
	s_waitcnt lgkmcnt(3)
	v_mul_f64 v[168:169], v[220:221], v[56:57]
	v_fmac_f64_e32 v[168:169], v[222:223], v[58:59]
	v_add_f64 v[166:167], v[166:167], v[168:169]
	s_waitcnt lgkmcnt(2)
	v_mul_f64 v[168:169], v[224:225], v[62:63]
	ds_read_b128 v[242:245], v92 offset:1472
	ds_read_b128 v[102:105], v92 offset:1488
	v_fmac_f64_e32 v[168:169], v[226:227], v[64:65]
	v_add_f64 v[166:167], v[166:167], v[168:169]
	s_waitcnt lgkmcnt(3)
	v_mul_f64 v[168:169], v[228:229], v[66:67]
	v_fmac_f64_e32 v[168:169], v[230:231], v[68:69]
	v_add_f64 v[166:167], v[166:167], v[168:169]
	s_waitcnt lgkmcnt(2)
	v_mul_f64 v[168:169], v[238:239], v[70:71]
	ds_read_b128 v[106:109], v92 offset:1504
	ds_read_b128 v[6:9], v92 offset:1536
	v_fmac_f64_e32 v[168:169], v[240:241], v[72:73]
	s_waitcnt lgkmcnt(3)
	v_mul_f64 v[4:5], v[242:243], v[78:79]
	v_add_f64 v[166:167], v[166:167], v[168:169]
	v_fmac_f64_e32 v[4:5], v[244:245], v[80:81]
	v_add_f64 v[2:3], v[166:167], v[4:5]
	s_waitcnt lgkmcnt(2)
	v_mul_f64 v[4:5], v[102:103], v[82:83]
	v_fmac_f64_e32 v[4:5], v[104:105], v[84:85]
	v_add_f64 v[2:3], v[2:3], v[4:5]
	s_waitcnt lgkmcnt(1)
	v_mul_f64 v[4:5], v[106:107], v[90:91]
	v_fmac_f64_e32 v[4:5], v[108:109], v[16:17]
	v_add_f64 v[166:167], v[2:3], v[4:5]
	ds_read_b128 v[2:5], v92 offset:1520
	s_waitcnt lgkmcnt(1)
	v_accvgpr_write_b32 a199, v9
	v_accvgpr_write_b32 a198, v8
	;; [unrolled: 1-line block ×4, first 2 shown]
	s_waitcnt lgkmcnt(0)
	v_mul_f64 v[24:25], v[2:3], v[128:129]
	v_accvgpr_write_b32 a191, v5
	v_fmac_f64_e32 v[24:25], v[4:5], v[130:131]
	v_accvgpr_write_b32 a190, v4
	v_accvgpr_write_b32 a189, v3
	v_accvgpr_write_b32 a188, v2
	ds_read_b128 v[2:5], v92 offset:1552
	v_add_f64 v[22:23], v[166:167], v[24:25]
	v_mul_f64 v[24:25], v[6:7], v[120:121]
	v_fmac_f64_e32 v[24:25], v[8:9], v[122:123]
	ds_read_b128 v[6:9], v92 offset:1568
	v_add_f64 v[22:23], v[22:23], v[24:25]
	s_waitcnt lgkmcnt(1)
	v_mul_f64 v[24:25], v[2:3], v[176:177]
	v_accvgpr_write_b32 a203, v5
	s_waitcnt vmcnt(16)
	v_accvgpr_write_b32 a211, v119
	v_fmac_f64_e32 v[24:25], v[4:5], v[118:119]
	v_accvgpr_write_b32 a202, v4
	v_accvgpr_write_b32 a201, v3
	;; [unrolled: 1-line block ×4, first 2 shown]
	v_fma_f64 v[118:119], v[150:151], v[144:145], -v[14:15]
	buffer_load_dword v141, off, s[0:3], 0 offset:684
	buffer_load_dword v140, off, s[0:3], 0 offset:680
	;; [unrolled: 1-line block ×4, first 2 shown]
	v_mul_f64 v[4:5], v[156:157], v[146:147]
	ds_read_b128 v[150:153], v92 offset:1584
	v_fma_f64 v[116:117], v[154:155], v[148:149], -v[4:5]
	ds_read_b128 v[146:149], v92 offset:1600
	v_add_f64 v[22:23], v[22:23], v[24:25]
	s_waitcnt lgkmcnt(2)
	v_mul_f64 v[24:25], v[6:7], v[124:125]
	ds_read_b128 v[142:145], v92 offset:1616
	ds_read_b128 v[128:131], v92 offset:1632
	v_fmac_f64_e32 v[24:25], v[8:9], v[126:127]
	v_add_f64 v[22:23], v[22:23], v[24:25]
	buffer_load_dword v154, off, s[0:3], 0 offset:696
	buffer_load_dword v158, off, s[0:3], 0 offset:688
	buffer_load_dword v155, off, s[0:3], 0 offset:700
	buffer_load_dword v159, off, s[0:3], 0 offset:692
	v_fma_f64 v[156:157], v[162:163], v[32:33], -v[30:31]
	v_accvgpr_write_b32 a215, v9
	v_accvgpr_write_b32 a214, v8
	s_waitcnt vmcnt(22) lgkmcnt(3)
	v_mul_f64 v[24:25], v[150:151], v[12:13]
	v_accvgpr_write_b32 a213, v7
	s_waitcnt vmcnt(20)
	v_fmac_f64_e32 v[24:25], v[152:153], v[132:133]
	v_add_f64 v[110:111], v[22:23], v[24:25]
	s_waitcnt vmcnt(17) lgkmcnt(2)
	v_mul_f64 v[114:115], v[146:147], v[184:185]
	s_waitcnt vmcnt(16)
	v_fmac_f64_e32 v[114:115], v[148:149], v[136:137]
	v_add_f64 v[110:111], v[110:111], v[114:115]
	s_waitcnt vmcnt(13) lgkmcnt(1)
	v_mul_f64 v[114:115], v[142:143], v[48:49]
	;; [unrolled: 5-line block ×3, first 2 shown]
	s_waitcnt vmcnt(8)
	v_fmac_f64_e32 v[114:115], v[130:131], v[138:139]
	v_add_f64 v[114:115], v[110:111], v[114:115]
	buffer_load_dword v110, off, s[0:3], 0 offset:728
	buffer_load_dword v163, off, s[0:3], 0 offset:716
	;; [unrolled: 1-line block ×8, first 2 shown]
	v_accvgpr_write_b32 a212, v6
	v_mul_f64 v[8:9], v[36:37], v[50:51]
	v_fma_f64 v[26:27], v[34:35], v[0:1], -v[8:9]
	v_mul_f64 v[0:1], v[40:41], v[52:53]
	v_fma_f64 v[22:23], v[38:39], v[54:55], -v[0:1]
	;; [unrolled: 2-line block ×3, first 2 shown]
	ds_read_b128 v[124:127], v92 offset:1648
	buffer_load_dword v167, off, s[0:3], 0 offset:748
	buffer_load_dword v166, off, s[0:3], 0 offset:744
	;; [unrolled: 1-line block ×4, first 2 shown]
	v_fma_f64 v[18:19], v[170:171], v[174:175], -v[38:39]
	buffer_load_dword v171, off, s[0:3], 0 offset:764
	buffer_load_dword v170, off, s[0:3], 0 offset:760
	v_accvgpr_write_b32 a209, v177
	v_accvgpr_write_b32 a208, v176
	buffer_load_dword v175, off, s[0:3], 0 offset:756
	buffer_load_dword v174, off, s[0:3], 0 offset:752
	;; [unrolled: 1-line block ×6, first 2 shown]
	v_accvgpr_write_b32 a221, v13
	v_accvgpr_write_b32 a220, v12
	v_mul_f64 v[12:13], v[180:181], v[86:87]
	v_fma_f64 v[44:45], v[178:179], v[60:61], -v[12:13]
	buffer_load_dword v178, off, s[0:3], 0 offset:792
	v_mul_f64 v[38:39], v[188:189], v[182:183]
	buffer_load_dword v182, off, s[0:3], 0 offset:784
	buffer_load_dword v179, off, s[0:3], 0 offset:796
	;; [unrolled: 1-line block ×3, first 2 shown]
	v_fma_f64 v[14:15], v[186:187], v[210:211], -v[38:39]
	v_mul_f64 v[38:39], v[192:193], v[206:207]
	v_fma_f64 v[12:13], v[190:191], v[208:209], -v[38:39]
	buffer_load_dword v180, off, s[0:3], 0 offset:824
	buffer_load_dword v189, off, s[0:3], 0 offset:812
	;; [unrolled: 1-line block ×8, first 2 shown]
	v_mul_f64 v[40:41], v[196:197], v[232:233]
	v_fma_f64 v[10:11], v[194:195], v[246:247], -v[40:41]
	buffer_load_dword v193, off, s[0:3], 0 offset:844
	buffer_load_dword v192, off, s[0:3], 0 offset:840
	;; [unrolled: 1-line block ×4, first 2 shown]
	v_mul_f64 v[40:41], v[200:201], v[96:97]
	v_fma_f64 v[8:9], v[198:199], v[100:101], -v[40:41]
	buffer_load_dword v199, off, s[0:3], 0 offset:860
	buffer_load_dword v198, off, s[0:3], 0 offset:856
	;; [unrolled: 1-line block ×4, first 2 shown]
	v_accvgpr_write_b32 a231, v21
	v_accvgpr_write_b32 a230, v20
	v_mul_f64 v[20:21], v[204:205], v[248:249]
	v_fma_f64 v[20:21], v[202:203], v[250:251], -v[20:21]
	buffer_load_dword v196, off, s[0:3], 0 offset:888
	buffer_load_dword v205, off, s[0:3], 0 offset:876
	;; [unrolled: 1-line block ×12, first 2 shown]
	ds_read_b128 v[120:123], v92 offset:1664
	v_accvgpr_write_b32 a223, v133
	v_accvgpr_write_b32 a227, v137
	;; [unrolled: 1-line block ×4, first 2 shown]
	v_pk_mov_b32 v[136:137], v[134:135], v[134:135] op_sel:[0,1]
	ds_read_b128 v[132:135], v92 offset:1680
	v_mul_f64 v[54:55], v[222:223], v[56:57]
	v_fma_f64 v[4:5], v[220:221], v[58:59], -v[54:55]
	ds_read_b128 v[54:57], v92 offset:1728
	v_mul_f64 v[42:43], v[214:215], v[74:75]
	s_waitcnt vmcnt(58) lgkmcnt(3)
	v_mul_f64 v[38:39], v[124:125], v[140:141]
	v_mul_f64 v[58:59], v[226:227], v[62:63]
	s_waitcnt vmcnt(56)
	v_fmac_f64_e32 v[38:39], v[126:127], v[2:3]
	v_add_f64 v[50:51], v[114:115], v[38:39]
	ds_read_b128 v[38:41], v92 offset:1696
	v_fma_f64 v[114:115], v[224:225], v[64:65], -v[58:59]
	ds_read_b128 v[58:61], v92 offset:1744
	v_accvgpr_write_b32 a229, v49
	v_mul_f64 v[66:67], v[230:231], v[66:67]
	v_accvgpr_write_b32 a228, v48
	v_pk_mov_b32 v[48:49], v[2:3], v[2:3] op_sel:[0,1]
	v_fma_f64 v[2:3], v[228:229], v[68:69], -v[66:67]
	ds_read_b128 v[66:69], v92 offset:1776
	s_waitcnt vmcnt(53) lgkmcnt(5)
	v_mul_f64 v[52:53], v[120:121], v[154:155]
	s_waitcnt vmcnt(52)
	v_fmac_f64_e32 v[52:53], v[122:123], v[158:159]
	v_add_f64 v[50:51], v[50:51], v[52:53]
	v_mul_f64 v[70:71], v[240:241], v[70:71]
	v_fma_f64 v[232:233], v[238:239], v[72:73], -v[70:71]
	ds_read_b128 v[70:73], v92 offset:1792
	v_fma_f64 v[250:251], v[212:213], v[76:77], -v[42:43]
	v_mul_f64 v[46:47], v[218:219], v[88:89]
	ds_read_b128 v[86:89], v92 offset:1856
	ds_read_b128 v[34:37], v92 offset:1872
	v_fma_f64 v[6:7], v[216:217], v[94:95], -v[46:47]
	v_accvgpr_write_b32 a225, v185
	v_accvgpr_write_b32 a224, v184
	s_waitcnt vmcnt(49) lgkmcnt(7)
	v_mul_f64 v[52:53], v[132:133], v[162:163]
	s_waitcnt vmcnt(47)
	v_fmac_f64_e32 v[52:53], v[134:135], v[164:165]
	v_add_f64 v[50:51], v[50:51], v[52:53]
	s_waitcnt vmcnt(45) lgkmcnt(5)
	v_mul_f64 v[52:53], v[38:39], v[110:111]
	s_waitcnt vmcnt(44)
	v_fmac_f64_e32 v[52:53], v[40:41], v[160:161]
	v_add_f64 v[74:75], v[50:51], v[52:53]
	ds_read_b128 v[50:53], v92 offset:1712
	s_waitcnt vmcnt(42) lgkmcnt(0)
	v_mul_f64 v[24:25], v[50:51], v[166:167]
	s_waitcnt vmcnt(40)
	v_fmac_f64_e32 v[24:25], v[52:53], v[168:169]
	v_add_f64 v[24:25], v[74:75], v[24:25]
	s_waitcnt vmcnt(38)
	v_mul_f64 v[62:63], v[54:55], v[170:171]
	s_waitcnt vmcnt(36)
	v_fmac_f64_e32 v[62:63], v[56:57], v[174:175]
	v_add_f64 v[24:25], v[24:25], v[62:63]
	s_waitcnt vmcnt(34)
	v_mul_f64 v[62:63], v[58:59], v[172:173]
	s_waitcnt vmcnt(32)
	v_fmac_f64_e32 v[62:63], v[60:61], v[176:177]
	v_add_f64 v[24:25], v[24:25], v[62:63]
	ds_read_b128 v[62:65], v92 offset:1760
	ds_read_b128 v[74:77], v92 offset:1808
	s_waitcnt vmcnt(29) lgkmcnt(1)
	v_mul_f64 v[28:29], v[62:63], v[178:179]
	s_waitcnt vmcnt(28)
	v_fmac_f64_e32 v[28:29], v[64:65], v[182:183]
	v_add_f64 v[24:25], v[24:25], v[28:29]
	s_waitcnt vmcnt(25)
	v_mul_f64 v[28:29], v[66:67], v[188:189]
	s_waitcnt vmcnt(23)
	v_fmac_f64_e32 v[28:29], v[68:69], v[190:191]
	v_add_f64 v[24:25], v[24:25], v[28:29]
	s_waitcnt vmcnt(21)
	v_mul_f64 v[28:29], v[70:71], v[180:181]
	s_waitcnt vmcnt(20)
	v_fmac_f64_e32 v[28:29], v[72:73], v[186:187]
	v_add_f64 v[28:29], v[24:25], v[28:29]
	v_mul_f64 v[24:25], v[244:245], v[78:79]
	v_fma_f64 v[0:1], v[242:243], v[80:81], -v[24:25]
	ds_read_b128 v[78:81], v92 offset:1824
	v_mul_f64 v[24:25], v[104:105], v[82:83]
	v_fma_f64 v[24:25], v[102:103], v[84:85], -v[24:25]
	ds_read_b128 v[82:85], v92 offset:1840
	s_waitcnt vmcnt(18) lgkmcnt(2)
	v_mul_f64 v[32:33], v[74:75], v[192:193]
	s_waitcnt vmcnt(16)
	v_fmac_f64_e32 v[32:33], v[76:77], v[194:195]
	v_add_f64 v[28:29], v[28:29], v[32:33]
	s_waitcnt vmcnt(14) lgkmcnt(1)
	v_mul_f64 v[32:33], v[78:79], v[198:199]
	buffer_load_dword v212, off, s[0:3], 0 offset:920
	buffer_load_dword v213, off, s[0:3], 0 offset:924
	;; [unrolled: 1-line block ×4, first 2 shown]
	s_waitcnt vmcnt(16)
	v_fmac_f64_e32 v[32:33], v[80:81], v[200:201]
	s_waitcnt vmcnt(13) lgkmcnt(0)
	v_mul_f64 v[94:95], v[82:83], v[204:205]
	v_add_f64 v[32:33], v[28:29], v[32:33]
	s_waitcnt vmcnt(11)
	v_fmac_f64_e32 v[94:95], v[84:85], v[208:209]
	v_add_f64 v[32:33], v[32:33], v[94:95]
	s_waitcnt vmcnt(9)
	v_mul_f64 v[94:95], v[86:87], v[196:197]
	s_waitcnt vmcnt(8)
	v_fmac_f64_e32 v[94:95], v[88:89], v[202:203]
	v_add_f64 v[32:33], v[32:33], v[94:95]
	s_waitcnt vmcnt(6)
	v_mul_f64 v[94:95], v[34:35], v[206:207]
	s_waitcnt vmcnt(4)
	v_fmac_f64_e32 v[94:95], v[36:37], v[210:211]
	v_add_f64 v[32:33], v[32:33], v[94:95]
	ds_read_b128 v[94:97], v92 offset:1888
	buffer_load_dword v217, off, s[0:3], 0 offset:940
	buffer_load_dword v216, off, s[0:3], 0 offset:936
	;; [unrolled: 1-line block ×4, first 2 shown]
	v_mul_f64 v[28:29], v[108:109], v[90:91]
	v_fma_f64 v[28:29], v[106:107], v[16:17], -v[28:29]
	s_waitcnt vmcnt(6) lgkmcnt(0)
	v_mul_f64 v[98:99], v[94:95], v[212:213]
	s_waitcnt vmcnt(4)
	v_fmac_f64_e32 v[98:99], v[96:97], v[214:215]
	v_add_f64 v[32:33], v[32:33], v[98:99]
	ds_read_b128 v[98:101], v92 offset:1904
	buffer_load_dword v220, off, s[0:3], 0 offset:952
	buffer_load_dword v221, off, s[0:3], 0 offset:956
	;; [unrolled: 1-line block ×4, first 2 shown]
	s_waitcnt vmcnt(6) lgkmcnt(0)
	v_mul_f64 v[102:103], v[98:99], v[216:217]
	s_waitcnt vmcnt(4)
	v_fmac_f64_e32 v[102:103], v[100:101], v[218:219]
	v_add_f64 v[32:33], v[32:33], v[102:103]
	ds_read_b128 v[102:105], v92 offset:1920
	buffer_load_dword v225, off, s[0:3], 0 offset:972
	buffer_load_dword v224, off, s[0:3], 0 offset:968
	;; [unrolled: 1-line block ×4, first 2 shown]
	s_waitcnt vmcnt(6) lgkmcnt(0)
	v_mul_f64 v[106:107], v[102:103], v[220:221]
	s_waitcnt vmcnt(4)
	v_fmac_f64_e32 v[106:107], v[104:105], v[222:223]
	v_add_f64 v[32:33], v[32:33], v[106:107]
	ds_read_b128 v[106:109], v92 offset:1936
	s_waitcnt vmcnt(2) lgkmcnt(0)
	v_mul_f64 v[228:229], v[106:107], v[224:225]
	s_waitcnt vmcnt(0)
	v_fmac_f64_e32 v[228:229], v[108:109], v[226:227]
	v_add_f64 v[32:33], v[32:33], v[228:229]
	buffer_load_dword v228, off, s[0:3], 0 offset:984
	buffer_load_dword v229, off, s[0:3], 0 offset:988
	;; [unrolled: 1-line block ×4, first 2 shown]
	ds_read_b128 v[238:241], v92 offset:1952
	s_waitcnt vmcnt(2) lgkmcnt(0)
	v_mul_f64 v[242:243], v[238:239], v[228:229]
	s_waitcnt vmcnt(0)
	v_fmac_f64_e32 v[242:243], v[240:241], v[230:231]
	v_add_f64 v[32:33], v[32:33], v[242:243]
	buffer_load_dword v243, off, s[0:3], 0 offset:1004
	buffer_load_dword v242, off, s[0:3], 0 offset:1000
	;; [unrolled: 1-line block ×4, first 2 shown]
	ds_read_b128 v[246:249], v92 offset:1968
	s_waitcnt vmcnt(2) lgkmcnt(0)
	v_mul_f64 v[184:185], v[246:247], v[242:243]
	s_waitcnt vmcnt(0)
	v_fmac_f64_e32 v[184:185], v[248:249], v[244:245]
	v_add_f64 v[184:185], v[32:33], v[184:185]
	v_add_f64 v[32:33], v[234:235], 0
	;; [unrolled: 1-line block ×26, first 2 shown]
	buffer_load_dword v250, off, s[0:3], 0 offset:96
	buffer_load_dword v251, off, s[0:3], 0 offset:100
	buffer_load_dword v0, off, s[0:3], 0 offset:104
	buffer_load_dword v1, off, s[0:3], 0 offset:108
	v_accvgpr_read_b32 v6, a188
	v_accvgpr_read_b32 v4, a192
	;; [unrolled: 1-line block ×5, first 2 shown]
	v_mul_f64 v[4:5], v[8:9], v[4:5]
	v_accvgpr_read_b32 v8, a194
	v_add_f64 v[2:3], v[254:255], v[24:25]
	v_accvgpr_read_b32 v7, a189
	v_accvgpr_read_b32 v9, a195
	v_add_f64 v[2:3], v[2:3], v[28:29]
	v_fma_f64 v[4:5], v[6:7], v[8:9], -v[4:5]
	v_add_f64 v[2:3], v[2:3], v[4:5]
	v_accvgpr_read_b32 v6, a196
	v_accvgpr_read_b32 v4, a204
	v_accvgpr_read_b32 v8, a198
	v_accvgpr_read_b32 v9, a199
	v_accvgpr_read_b32 v5, a205
	v_mul_f64 v[4:5], v[8:9], v[4:5]
	v_accvgpr_read_b32 v8, a206
	v_accvgpr_read_b32 v7, a197
	v_accvgpr_read_b32 v9, a207
	v_fma_f64 v[4:5], v[6:7], v[8:9], -v[4:5]
	v_add_f64 v[2:3], v[2:3], v[4:5]
	v_accvgpr_read_b32 v6, a200
	v_accvgpr_read_b32 v4, a208
	v_accvgpr_read_b32 v8, a202
	v_accvgpr_read_b32 v9, a203
	v_accvgpr_read_b32 v5, a209
	v_mul_f64 v[4:5], v[8:9], v[4:5]
	v_accvgpr_read_b32 v8, a210
	v_accvgpr_read_b32 v7, a201
	v_accvgpr_read_b32 v9, a211
	;; [unrolled: 11-line block ×3, first 2 shown]
	v_fma_f64 v[4:5], v[6:7], v[8:9], -v[4:5]
	v_add_f64 v[2:3], v[2:3], v[4:5]
	v_accvgpr_read_b32 v4, a220
	v_accvgpr_read_b32 v5, a221
	v_accvgpr_read_b32 v6, a222
	v_mul_f64 v[4:5], v[152:153], v[4:5]
	v_accvgpr_read_b32 v7, a223
	v_fma_f64 v[4:5], v[150:151], v[6:7], -v[4:5]
	v_add_f64 v[2:3], v[2:3], v[4:5]
	v_accvgpr_read_b32 v4, a224
	v_accvgpr_read_b32 v5, a225
	v_accvgpr_read_b32 v6, a226
	v_mul_f64 v[4:5], v[148:149], v[4:5]
	v_accvgpr_read_b32 v7, a227
	;; [unrolled: 7-line block ×3, first 2 shown]
	v_fma_f64 v[4:5], v[142:143], v[6:7], -v[4:5]
	v_add_f64 v[2:3], v[2:3], v[4:5]
	v_mul_f64 v[4:5], v[130:131], v[136:137]
	v_fma_f64 v[4:5], v[128:129], v[138:139], -v[4:5]
	v_add_f64 v[2:3], v[2:3], v[4:5]
	v_mul_f64 v[4:5], v[126:127], v[140:141]
	;; [unrolled: 3-line block ×22, first 2 shown]
	v_fma_f64 v[4:5], v[246:247], v[244:245], -v[4:5]
	v_add_f64 v[2:3], v[2:3], v[4:5]
	v_accvgpr_read_b32 v237, a185
	s_waitcnt vmcnt(2)
	v_add_f64 v[2:3], v[250:251], -v[2:3]
	v_cmp_lt_u32_e32 vcc, 4, v237
	s_waitcnt vmcnt(0)
	v_add_f64 v[0:1], v[0:1], -v[184:185]
	buffer_store_dword v3, off, s[0:3], 0 offset:100
	buffer_store_dword v2, off, s[0:3], 0 offset:96
	;; [unrolled: 1-line block ×4, first 2 shown]
	s_and_saveexec_b64 s[4:5], vcc
	s_cbranch_execz .LBB125_389
; %bb.388:
	v_accvgpr_read_b32 v3, a181
	buffer_load_dword v0, v3, s[0:3], 0 offen
	buffer_load_dword v1, v3, s[0:3], 0 offen offset:4
	buffer_load_dword v2, v3, s[0:3], 0 offen offset:8
	s_nop 0
	buffer_load_dword v3, v3, s[0:3], 0 offen offset:12
	v_mov_b32_e32 v4, 0
	v_accvgpr_read_b32 v5, a186
	buffer_store_dword v4, off, s[0:3], 0 offset:80
	buffer_store_dword v4, off, s[0:3], 0 offset:84
	;; [unrolled: 1-line block ×4, first 2 shown]
	s_waitcnt vmcnt(4)
	ds_write_b128 v5, v[0:3]
.LBB125_389:
	s_or_b64 exec, exec, s[4:5]
	s_waitcnt lgkmcnt(0)
	; wave barrier
	s_waitcnt lgkmcnt(0)
	buffer_load_dword v6, off, s[0:3], 0 offset:96
	buffer_load_dword v7, off, s[0:3], 0 offset:100
	;; [unrolled: 1-line block ×42, first 2 shown]
	v_mov_b32_e32 v236, 0
	buffer_load_dword v91, off, s[0:3], 0 offset:244
	buffer_load_dword v90, off, s[0:3], 0 offset:240
	;; [unrolled: 1-line block ×7, first 2 shown]
	ds_read_b128 v[104:107], v236 offset:1072
	ds_read_b128 v[108:111], v236 offset:1088
	;; [unrolled: 1-line block ×11, first 2 shown]
	v_cmp_lt_u32_e32 vcc, 3, v237
	s_waitcnt vmcnt(45) lgkmcnt(10)
	v_mul_f64 v[0:1], v[104:105], v[10:11]
	v_fmac_f64_e32 v[0:1], v[106:107], v[6:7]
	v_add_f64 v[0:1], v[0:1], 0
	v_mul_f64 v[10:11], v[106:107], v[10:11]
	s_waitcnt vmcnt(41) lgkmcnt(9)
	v_mul_f64 v[52:53], v[108:109], v[8:9]
	v_fmac_f64_e32 v[52:53], v[110:111], v[4:5]
	s_waitcnt vmcnt(39) lgkmcnt(8)
	v_mul_f64 v[54:55], v[112:113], v[2:3]
	v_add_f64 v[0:1], v[0:1], v[52:53]
	s_waitcnt vmcnt(37) lgkmcnt(6)
	v_mul_f64 v[58:59], v[154:155], v[136:137]
	v_fma_f64 v[6:7], v[104:105], v[6:7], -v[10:11]
	s_waitcnt vmcnt(35)
	v_fmac_f64_e32 v[58:59], v[156:157], v[14:15]
	v_mul_f64 v[8:9], v[110:111], v[8:9]
	s_waitcnt vmcnt(33)
	v_mul_f64 v[56:57], v[150:151], v[138:139]
	v_fma_f64 v[4:5], v[108:109], v[4:5], -v[8:9]
	s_waitcnt vmcnt(31) lgkmcnt(4)
	v_mul_f64 v[62:63], v[162:163], v[22:23]
	v_accvgpr_write_b32 a223, v7
	s_waitcnt vmcnt(29)
	v_fmac_f64_e32 v[62:63], v[164:165], v[24:25]
	v_mul_f64 v[2:3], v[114:115], v[2:3]
	s_waitcnt vmcnt(27)
	v_mul_f64 v[60:61], v[158:159], v[18:19]
	v_accvgpr_write_b32 a222, v6
	s_waitcnt vmcnt(25) lgkmcnt(2)
	v_mul_f64 v[66:67], v[170:171], v[30:31]
	v_accvgpr_write_b32 a225, v5
	v_accvgpr_write_b32 a224, v4
	s_waitcnt vmcnt(22)
	v_mul_f64 v[64:65], v[166:167], v[26:27]
	v_mul_f64 v[26:27], v[168:169], v[26:27]
	s_waitcnt vmcnt(20) lgkmcnt(1)
	v_mul_f64 v[116:117], v[174:175], v[38:39]
	v_mul_f64 v[30:31], v[172:173], v[30:31]
	s_waitcnt vmcnt(18)
	v_fmac_f64_e32 v[54:55], v[114:115], v[44:45]
	v_add_f64 v[0:1], v[0:1], v[54:55]
	s_waitcnt vmcnt(16)
	v_fmac_f64_e32 v[56:57], v[152:153], v[40:41]
	v_add_f64 v[0:1], v[0:1], v[56:57]
	;; [unrolled: 3-line block ×3, first 2 shown]
	v_add_f64 v[0:1], v[0:1], v[60:61]
	s_waitcnt vmcnt(12)
	v_fmac_f64_e32 v[64:65], v[168:169], v[28:29]
	v_add_f64 v[0:1], v[0:1], v[62:63]
	s_waitcnt vmcnt(11)
	v_fmac_f64_e32 v[66:67], v[172:173], v[32:33]
	v_add_f64 v[0:1], v[0:1], v[64:65]
	v_add_f64 v[0:1], v[0:1], v[66:67]
	buffer_load_dword v68, off, s[0:3], 0 offset:280
	buffer_load_dword v183, off, s[0:3], 0 offset:276
	buffer_load_dword v182, off, s[0:3], 0 offset:272
	buffer_load_dword v231, off, s[0:3], 0 offset:332
	buffer_load_dword v230, off, s[0:3], 0 offset:328
	buffer_load_dword v103, off, s[0:3], 0 offset:324
	buffer_load_dword v102, off, s[0:3], 0 offset:320
	buffer_load_dword v247, off, s[0:3], 0 offset:316
	buffer_load_dword v246, off, s[0:3], 0 offset:312
	buffer_load_dword v249, off, s[0:3], 0 offset:308
	buffer_load_dword v248, off, s[0:3], 0 offset:304
	buffer_load_dword v251, off, s[0:3], 0 offset:364
	buffer_load_dword v250, off, s[0:3], 0 offset:360
	buffer_load_dword v101, off, s[0:3], 0 offset:356
	buffer_load_dword v100, off, s[0:3], 0 offset:352
	buffer_load_dword v253, off, s[0:3], 0 offset:348
	buffer_load_dword v252, off, s[0:3], 0 offset:344
	buffer_load_dword v255, off, s[0:3], 0 offset:340
	buffer_load_dword v254, off, s[0:3], 0 offset:336
	buffer_load_dword v81, off, s[0:3], 0 offset:396
	buffer_load_dword v80, off, s[0:3], 0 offset:392
	buffer_load_dword v95, off, s[0:3], 0 offset:388
	buffer_load_dword v94, off, s[0:3], 0 offset:384
	buffer_load_dword v97, off, s[0:3], 0 offset:380
	buffer_load_dword v96, off, s[0:3], 0 offset:376
	buffer_load_dword v99, off, s[0:3], 0 offset:372
	buffer_load_dword v98, off, s[0:3], 0 offset:368
	buffer_load_dword v53, off, s[0:3], 0 offset:428
	buffer_load_dword v52, off, s[0:3], 0 offset:424
	buffer_load_dword v55, off, s[0:3], 0 offset:420
	buffer_load_dword v54, off, s[0:3], 0 offset:416
	buffer_load_dword v79, off, s[0:3], 0 offset:412
	buffer_load_dword v78, off, s[0:3], 0 offset:408
	buffer_load_dword v93, off, s[0:3], 0 offset:404
	buffer_load_dword v92, off, s[0:3], 0 offset:400
	buffer_load_dword v59, off, s[0:3], 0 offset:460
	buffer_load_dword v58, off, s[0:3], 0 offset:456
	buffer_load_dword v61, off, s[0:3], 0 offset:452
	buffer_load_dword v60, off, s[0:3], 0 offset:448
	buffer_load_dword v57, off, s[0:3], 0 offset:444
	buffer_load_dword v56, off, s[0:3], 0 offset:440
	buffer_load_dword v67, off, s[0:3], 0 offset:436
	buffer_load_dword v66, off, s[0:3], 0 offset:432
	buffer_load_dword v71, off, s[0:3], 0 offset:492
	buffer_load_dword v70, off, s[0:3], 0 offset:488
	buffer_load_dword v73, off, s[0:3], 0 offset:484
	buffer_load_dword v72, off, s[0:3], 0 offset:480
	buffer_load_dword v63, off, s[0:3], 0 offset:476
	buffer_load_dword v62, off, s[0:3], 0 offset:472
	buffer_load_dword v65, off, s[0:3], 0 offset:468
	buffer_load_dword v64, off, s[0:3], 0 offset:464
	buffer_load_dword v83, off, s[0:3], 0 offset:524
	buffer_load_dword v82, off, s[0:3], 0 offset:520
	buffer_load_dword v85, off, s[0:3], 0 offset:516
	buffer_load_dword v84, off, s[0:3], 0 offset:512
	buffer_load_dword v75, off, s[0:3], 0 offset:508
	buffer_load_dword v74, off, s[0:3], 0 offset:504
	buffer_load_dword v77, off, s[0:3], 0 offset:500
	buffer_load_dword v76, off, s[0:3], 0 offset:496
	buffer_load_dword v87, off, s[0:3], 0 offset:556
	buffer_load_dword v86, off, s[0:3], 0 offset:552
	s_waitcnt vmcnt(62)
	v_fmac_f64_e32 v[116:117], v[176:177], v[90:91]
	v_add_f64 v[0:1], v[0:1], v[116:117]
	s_waitcnt lgkmcnt(0)
	v_mul_f64 v[116:117], v[34:35], v[42:43]
	v_fmac_f64_e32 v[116:117], v[36:37], v[46:47]
	v_add_f64 v[0:1], v[0:1], v[116:117]
	v_fma_f64 v[234:235], v[112:113], v[44:45], -v[2:3]
	v_mul_f64 v[2:3], v[152:153], v[138:139]
	v_fma_f64 v[132:133], v[150:151], v[40:41], -v[2:3]
	v_mul_f64 v[36:37], v[36:37], v[42:43]
	v_mul_f64 v[38:39], v[176:177], v[38:39]
	s_waitcnt vmcnt(0)
	v_pk_mov_b32 v[118:119], v[86:87], v[86:87] op_sel:[0,1]
	buffer_load_dword v87, off, s[0:3], 0 offset:548
	buffer_load_dword v86, off, s[0:3], 0 offset:544
	v_accvgpr_write_b32 a193, v119
	v_accvgpr_write_b32 a192, v118
	s_waitcnt vmcnt(0)
	v_pk_mov_b32 v[124:125], v[86:87], v[86:87] op_sel:[0,1]
	buffer_load_dword v87, off, s[0:3], 0 offset:540
	buffer_load_dword v86, off, s[0:3], 0 offset:536
	;; [unrolled: 1-line block ×6, first 2 shown]
	v_accvgpr_write_b32 a195, v125
	v_accvgpr_write_b32 a194, v124
	s_waitcnt vmcnt(0)
	v_pk_mov_b32 v[126:127], v[120:121], v[120:121] op_sel:[0,1]
	buffer_load_dword v121, off, s[0:3], 0 offset:580
	buffer_load_dword v120, off, s[0:3], 0 offset:576
	v_accvgpr_write_b32 a205, v127
	v_accvgpr_write_b32 a204, v126
	s_waitcnt vmcnt(0)
	v_pk_mov_b32 v[128:129], v[120:121], v[120:121] op_sel:[0,1]
	buffer_load_dword v121, off, s[0:3], 0 offset:572
	buffer_load_dword v120, off, s[0:3], 0 offset:568
	;; [unrolled: 6-line block ×3, first 2 shown]
	ds_read_b128 v[178:181], v236 offset:1248
	ds_read_b128 v[186:189], v236 offset:1264
	;; [unrolled: 1-line block ×10, first 2 shown]
	s_waitcnt lgkmcnt(9)
	v_mul_f64 v[116:117], v[178:179], v[68:69]
	v_fmac_f64_e32 v[116:117], v[180:181], v[182:183]
	v_add_f64 v[0:1], v[0:1], v[116:117]
	s_waitcnt lgkmcnt(8)
	v_mul_f64 v[116:117], v[186:187], v[48:49]
	v_fmac_f64_e32 v[116:117], v[188:189], v[50:51]
	v_add_f64 v[0:1], v[0:1], v[116:117]
	;; [unrolled: 4-line block ×10, first 2 shown]
	v_accvgpr_write_b32 a201, v131
	v_accvgpr_write_b32 a200, v130
	s_waitcnt vmcnt(0)
	v_pk_mov_b32 v[134:135], v[120:121], v[120:121] op_sel:[0,1]
	buffer_load_dword v121, off, s[0:3], 0 offset:604
	buffer_load_dword v120, off, s[0:3], 0 offset:600
	v_accvgpr_write_b32 a203, v135
	v_accvgpr_write_b32 a202, v134
	s_waitcnt vmcnt(0)
	v_pk_mov_b32 v[142:143], v[120:121], v[120:121] op_sel:[0,1]
	buffer_load_dword v121, off, s[0:3], 0 offset:596
	buffer_load_dword v120, off, s[0:3], 0 offset:592
	ds_read_b128 v[222:225], v236 offset:1408
	v_accvgpr_write_b32 a209, v143
	v_accvgpr_write_b32 a208, v142
	s_waitcnt lgkmcnt(0)
	v_mul_f64 v[116:117], v[222:223], v[56:57]
	v_fmac_f64_e32 v[116:117], v[224:225], v[66:67]
	v_add_f64 v[0:1], v[0:1], v[116:117]
	s_waitcnt vmcnt(0)
	v_pk_mov_b32 v[144:145], v[120:121], v[120:121] op_sel:[0,1]
	buffer_load_dword v120, off, s[0:3], 0 offset:616
	buffer_load_dword v122, off, s[0:3], 0 offset:608
	;; [unrolled: 1-line block ×4, first 2 shown]
	ds_read_b128 v[226:229], v236 offset:1424
	v_accvgpr_write_b32 a211, v145
	v_accvgpr_write_b32 a210, v144
	s_waitcnt lgkmcnt(0)
	v_mul_f64 v[116:117], v[226:227], v[58:59]
	v_fmac_f64_e32 v[116:117], v[228:229], v[60:61]
	v_add_f64 v[0:1], v[0:1], v[116:117]
	v_fma_f64 v[116:117], v[166:167], v[28:29], -v[26:27]
	v_fma_f64 v[26:27], v[170:171], v[32:33], -v[30:31]
	v_mul_f64 v[58:59], v[228:229], v[58:59]
	s_waitcnt vmcnt(1)
	v_pk_mov_b32 v[146:147], v[120:121], v[120:121] op_sel:[0,1]
	buffer_load_dword v13, off, s[0:3], 0 offset:652
	buffer_load_dword v17, off, s[0:3], 0 offset:636
	;; [unrolled: 1-line block ×12, first 2 shown]
	ds_read_b128 v[238:241], v236 offset:1440
	ds_read_b128 v[104:107], v236 offset:1456
	;; [unrolled: 1-line block ×6, first 2 shown]
	s_waitcnt lgkmcnt(5)
	v_mul_f64 v[6:7], v[238:239], v[62:63]
	v_fmac_f64_e32 v[6:7], v[240:241], v[64:65]
	s_waitcnt lgkmcnt(4)
	v_mul_f64 v[4:5], v[104:105], v[70:71]
	v_add_f64 v[0:1], v[0:1], v[6:7]
	v_fmac_f64_e32 v[4:5], v[106:107], v[72:73]
	v_add_f64 v[0:1], v[0:1], v[4:5]
	s_waitcnt lgkmcnt(3)
	v_mul_f64 v[4:5], v[108:109], v[74:75]
	v_fmac_f64_e32 v[4:5], v[110:111], v[76:77]
	s_waitcnt lgkmcnt(2)
	v_mul_f64 v[6:7], v[242:243], v[82:83]
	v_add_f64 v[0:1], v[0:1], v[4:5]
	v_fmac_f64_e32 v[6:7], v[244:245], v[84:85]
	s_waitcnt lgkmcnt(1)
	v_mul_f64 v[4:5], v[112:113], v[86:87]
	v_add_f64 v[0:1], v[0:1], v[6:7]
	v_fmac_f64_e32 v[4:5], v[114:115], v[88:89]
	s_waitcnt lgkmcnt(0)
	v_accvgpr_write_b32 a191, v11
	v_add_f64 v[0:1], v[0:1], v[4:5]
	v_mul_f64 v[4:5], v[8:9], v[118:119]
	v_accvgpr_write_b32 a190, v10
	v_accvgpr_write_b32 a189, v9
	;; [unrolled: 1-line block ×3, first 2 shown]
	ds_read_b128 v[6:9], v236 offset:1536
	v_fmac_f64_e32 v[4:5], v[10:11], v[124:125]
	v_add_f64 v[0:1], v[0:1], v[4:5]
	v_mul_f64 v[4:5], v[156:157], v[136:137]
	s_waitcnt vmcnt(12)
	v_pk_mov_b32 v[148:149], v[122:123], v[122:123] op_sel:[0,1]
	v_fma_f64 v[122:123], v[154:155], v[14:15], -v[4:5]
	v_mul_f64 v[14:15], v[160:161], v[18:19]
	v_fma_f64 v[150:151], v[158:159], v[140:141], -v[14:15]
	ds_read_b128 v[138:141], v236 offset:1568
	s_waitcnt lgkmcnt(1)
	v_mul_f64 v[40:41], v[6:7], v[130:131]
	v_fmac_f64_e32 v[40:41], v[8:9], v[134:135]
	ds_read_b128 v[134:137], v236 offset:1552
	v_add_f64 v[0:1], v[0:1], v[40:41]
	v_accvgpr_write_b32 a213, v147
	v_accvgpr_write_b32 a215, v149
	;; [unrolled: 1-line block ×3, first 2 shown]
	s_waitcnt lgkmcnt(0)
	v_mul_f64 v[18:19], v[134:135], v[126:127]
	v_fmac_f64_e32 v[18:19], v[136:137], v[128:129]
	ds_read_b128 v[128:131], v236 offset:1584
	v_add_f64 v[0:1], v[0:1], v[18:19]
	v_mul_f64 v[18:19], v[138:139], v[142:143]
	v_fmac_f64_e32 v[18:19], v[140:141], v[144:145]
	v_add_f64 v[40:41], v[0:1], v[18:19]
	v_mul_f64 v[0:1], v[164:165], v[22:23]
	buffer_load_dword v142, off, s[0:3], 0 offset:680
	buffer_load_dword v143, off, s[0:3], 0 offset:684
	s_waitcnt lgkmcnt(0)
	v_mul_f64 v[22:23], v[128:129], v[146:147]
	v_fmac_f64_e32 v[22:23], v[130:131], v[148:149]
	v_accvgpr_write_b32 a214, v148
	ds_read_b128 v[146:149], v236 offset:1600
	buffer_load_dword v152, off, s[0:3], 0 offset:672
	buffer_load_dword v153, off, s[0:3], 0 offset:676
	ds_read_b128 v[124:127], v236 offset:1616
	ds_read_b128 v[30:33], v236 offset:1632
	buffer_load_dword v155, off, s[0:3], 0 offset:700
	buffer_load_dword v154, off, s[0:3], 0 offset:696
	;; [unrolled: 1-line block ×8, first 2 shown]
	v_fma_f64 v[118:119], v[162:163], v[24:25], -v[0:1]
	buffer_load_dword v163, off, s[0:3], 0 offset:748
	buffer_load_dword v165, off, s[0:3], 0 offset:732
	;; [unrolled: 1-line block ×8, first 2 shown]
	v_add_f64 v[40:41], v[40:41], v[22:23]
	v_fma_f64 v[24:25], v[174:175], v[90:91], -v[38:39]
	v_mul_f64 v[38:39], v[188:189], v[48:49]
	v_fma_f64 v[18:19], v[186:187], v[50:51], -v[38:39]
	v_mul_f64 v[38:39], v[192:193], v[246:247]
	v_fma_f64 v[248:249], v[190:191], v[248:249], -v[38:39]
	v_mul_f64 v[38:39], v[196:197], v[230:231]
	v_fma_f64 v[230:231], v[194:195], v[102:103], -v[38:39]
	s_waitcnt vmcnt(29) lgkmcnt(2)
	v_mul_f64 v[44:45], v[146:147], v[16:17]
	v_accvgpr_write_b32 a217, v17
	s_waitcnt vmcnt(27)
	v_fmac_f64_e32 v[44:45], v[148:149], v[120:121]
	v_add_f64 v[40:41], v[40:41], v[44:45]
	s_waitcnt vmcnt(26) lgkmcnt(1)
	v_mul_f64 v[44:45], v[124:125], v[12:13]
	s_waitcnt vmcnt(24)
	v_fmac_f64_e32 v[44:45], v[126:127], v[184:185]
	v_add_f64 v[40:41], v[40:41], v[44:45]
	s_waitcnt vmcnt(22)
	v_accvgpr_write_b32 a221, v21
	s_waitcnt lgkmcnt(0)
	v_mul_f64 v[44:45], v[30:31], v[20:21]
	v_accvgpr_write_b32 a220, v20
	v_fma_f64 v[20:21], v[34:35], v[46:47], -v[36:37]
	v_mul_f64 v[34:35], v[180:181], v[68:69]
	v_fma_f64 v[182:183], v[178:179], v[182:183], -v[34:35]
	ds_read_b128 v[34:37], v236 offset:1648
	buffer_load_dword v166, off, s[0:3], 0 offset:776
	buffer_load_dword v173, off, s[0:3], 0 offset:764
	;; [unrolled: 1-line block ×16, first 2 shown]
	v_mul_f64 v[38:39], v[200:201], v[252:253]
	v_accvgpr_write_b32 a216, v16
	v_fma_f64 v[16:17], v[198:199], v[254:255], -v[38:39]
	buffer_load_dword v255, off, s[0:3], 0 offset:844
	buffer_load_dword v191, off, s[0:3], 0 offset:828
	;; [unrolled: 1-line block ×8, first 2 shown]
	s_waitcnt vmcnt(44)
	v_fmac_f64_e32 v[44:45], v[32:33], v[232:233]
	v_mul_f64 v[38:39], v[204:205], v[250:251]
	v_add_f64 v[44:45], v[40:41], v[44:45]
	v_fma_f64 v[250:251], v[202:203], v[100:101], -v[38:39]
	ds_read_b128 v[38:41], v236 offset:1664
	buffer_load_dword v197, off, s[0:3], 0 offset:860
	buffer_load_dword v196, off, s[0:3], 0 offset:856
	;; [unrolled: 1-line block ×4, first 2 shown]
	v_mul_f64 v[46:47], v[208:209], v[96:97]
	v_fma_f64 v[14:15], v[206:207], v[98:99], -v[46:47]
	buffer_load_dword v200, off, s[0:3], 0 offset:872
	buffer_load_dword v202, off, s[0:3], 0 offset:864
	;; [unrolled: 1-line block ×8, first 2 shown]
	v_accvgpr_write_b32 a219, v13
	v_mul_f64 v[46:47], v[212:213], v[80:81]
	v_accvgpr_write_b32 a218, v12
	v_fma_f64 v[12:13], v[210:211], v[94:95], -v[46:47]
	buffer_load_dword v208, off, s[0:3], 0 offset:904
	buffer_load_dword v210, off, s[0:3], 0 offset:896
	;; [unrolled: 1-line block ×4, first 2 shown]
	v_accvgpr_write_b32 a199, v9
	v_mul_f64 v[46:47], v[220:221], v[52:53]
	v_accvgpr_write_b32 a198, v8
	v_accvgpr_write_b32 a197, v7
	;; [unrolled: 1-line block ×3, first 2 shown]
	v_fma_f64 v[8:9], v[218:219], v[54:55], -v[46:47]
	ds_read_b128 v[46:49], v236 offset:1696
	v_mul_f64 v[50:51], v[224:225], v[56:57]
	v_fma_f64 v[6:7], v[222:223], v[66:67], -v[50:51]
	ds_read_b128 v[50:53], v236 offset:1712
	v_fma_f64 v[4:5], v[226:227], v[60:61], -v[58:59]
	ds_read_b128 v[58:61], v236 offset:1744
	v_mul_f64 v[62:63], v[240:241], v[62:63]
	v_fma_f64 v[252:253], v[238:239], v[64:65], -v[62:63]
	ds_read_b128 v[62:65], v236 offset:1760
	v_mul_f64 v[70:71], v[106:107], v[70:71]
	v_fma_f64 v[2:3], v[104:105], v[72:73], -v[70:71]
	v_mul_f64 v[74:75], v[110:111], v[74:75]
	v_fma_f64 v[144:145], v[108:109], v[76:77], -v[74:75]
	ds_read_b128 v[74:77], v236 offset:1808
	ds_read_b128 v[70:73], v236 offset:1792
	s_waitcnt vmcnt(58) lgkmcnt(7)
	v_mul_f64 v[42:43], v[34:35], v[142:143]
	s_waitcnt vmcnt(56)
	v_fmac_f64_e32 v[42:43], v[36:37], v[152:153]
	v_add_f64 v[42:43], v[44:45], v[42:43]
	v_mul_f64 v[44:45], v[216:217], v[78:79]
	v_fma_f64 v[10:11], v[214:215], v[92:93], -v[44:45]
	s_waitcnt vmcnt(54) lgkmcnt(6)
	v_mul_f64 v[44:45], v[38:39], v[154:155]
	s_waitcnt vmcnt(52)
	v_fmac_f64_e32 v[44:45], v[40:41], v[156:157]
	v_add_f64 v[68:69], v[42:43], v[44:45]
	ds_read_b128 v[42:45], v236 offset:1680
	s_waitcnt vmcnt(45) lgkmcnt(6)
	v_mul_f64 v[56:57], v[46:47], v[164:165]
	s_waitcnt vmcnt(43)
	v_fmac_f64_e32 v[56:57], v[48:49], v[170:171]
	s_waitcnt lgkmcnt(0)
	v_mul_f64 v[54:55], v[42:43], v[158:159]
	v_fmac_f64_e32 v[54:55], v[44:45], v[160:161]
	v_add_f64 v[54:55], v[68:69], v[54:55]
	v_add_f64 v[54:55], v[54:55], v[56:57]
	s_waitcnt vmcnt(42)
	v_mul_f64 v[56:57], v[50:51], v[162:163]
	s_waitcnt vmcnt(40)
	v_fmac_f64_e32 v[56:57], v[52:53], v[168:169]
	v_add_f64 v[66:67], v[54:55], v[56:57]
	ds_read_b128 v[54:57], v236 offset:1728
	s_waitcnt vmcnt(37) lgkmcnt(0)
	v_mul_f64 v[22:23], v[54:55], v[172:173]
	s_waitcnt vmcnt(35)
	v_fmac_f64_e32 v[22:23], v[56:57], v[174:175]
	v_add_f64 v[22:23], v[66:67], v[22:23]
	s_waitcnt vmcnt(33)
	v_mul_f64 v[66:67], v[58:59], v[166:167]
	s_waitcnt vmcnt(32)
	v_fmac_f64_e32 v[66:67], v[60:61], v[176:177]
	v_add_f64 v[22:23], v[22:23], v[66:67]
	s_waitcnt vmcnt(30)
	v_mul_f64 v[66:67], v[62:63], v[178:179]
	s_waitcnt vmcnt(28)
	v_fmac_f64_e32 v[66:67], v[64:65], v[180:181]
	v_add_f64 v[22:23], v[22:23], v[66:67]
	ds_read_b128 v[66:69], v236 offset:1776
	s_waitcnt vmcnt(25) lgkmcnt(0)
	v_mul_f64 v[78:79], v[66:67], v[186:187]
	s_waitcnt vmcnt(24)
	v_fmac_f64_e32 v[78:79], v[68:69], v[188:189]
	v_add_f64 v[22:23], v[22:23], v[78:79]
	s_waitcnt vmcnt(21)
	v_mul_f64 v[78:79], v[70:71], v[190:191]
	s_waitcnt vmcnt(19)
	v_fmac_f64_e32 v[78:79], v[72:73], v[194:195]
	v_add_f64 v[22:23], v[22:23], v[78:79]
	s_waitcnt vmcnt(18)
	v_mul_f64 v[78:79], v[74:75], v[254:255]
	s_waitcnt vmcnt(16)
	v_fmac_f64_e32 v[78:79], v[76:77], v[192:193]
	v_add_f64 v[90:91], v[22:23], v[78:79]
	ds_read_b128 v[78:81], v236 offset:1824
	v_mul_f64 v[22:23], v[244:245], v[82:83]
	v_fma_f64 v[0:1], v[242:243], v[84:85], -v[22:23]
	ds_read_b128 v[82:85], v236 offset:1840
	v_mul_f64 v[22:23], v[114:115], v[86:87]
	v_fma_f64 v[22:23], v[112:113], v[88:89], -v[22:23]
	ds_read_b128 v[86:89], v236 offset:1856
	s_waitcnt vmcnt(14) lgkmcnt(2)
	v_mul_f64 v[28:29], v[78:79], v[196:197]
	s_waitcnt vmcnt(12)
	v_fmac_f64_e32 v[28:29], v[80:81], v[198:199]
	v_add_f64 v[28:29], v[90:91], v[28:29]
	s_waitcnt vmcnt(9) lgkmcnt(1)
	v_mul_f64 v[90:91], v[82:83], v[200:201]
	s_waitcnt vmcnt(8)
	v_fmac_f64_e32 v[90:91], v[84:85], v[202:203]
	v_add_f64 v[28:29], v[28:29], v[90:91]
	;; [unrolled: 5-line block ×3, first 2 shown]
	ds_read_b128 v[90:93], v236 offset:1872
	buffer_load_dword v213, off, s[0:3], 0 offset:924
	buffer_load_dword v212, off, s[0:3], 0 offset:920
	buffer_load_dword v215, off, s[0:3], 0 offset:916
	buffer_load_dword v214, off, s[0:3], 0 offset:912
	s_waitcnt vmcnt(5) lgkmcnt(0)
	v_mul_f64 v[94:95], v[90:91], v[208:209]
	s_waitcnt vmcnt(4)
	v_fmac_f64_e32 v[94:95], v[92:93], v[210:211]
	v_add_f64 v[28:29], v[28:29], v[94:95]
	ds_read_b128 v[94:97], v236 offset:1888
	buffer_load_dword v216, off, s[0:3], 0 offset:936
	buffer_load_dword v217, off, s[0:3], 0 offset:940
	buffer_load_dword v218, off, s[0:3], 0 offset:928
	buffer_load_dword v219, off, s[0:3], 0 offset:932
	s_waitcnt vmcnt(6) lgkmcnt(0)
	v_mul_f64 v[98:99], v[94:95], v[212:213]
	s_waitcnt vmcnt(4)
	v_fmac_f64_e32 v[98:99], v[96:97], v[214:215]
	v_add_f64 v[28:29], v[28:29], v[98:99]
	;; [unrolled: 10-line block ×6, first 2 shown]
	ds_read_b128 v[238:241], v236 offset:1968
	s_waitcnt vmcnt(2) lgkmcnt(0)
	v_mul_f64 v[242:243], v[238:239], v[244:245]
	s_waitcnt vmcnt(0)
	v_fmac_f64_e32 v[242:243], v[240:241], v[246:247]
	v_add_f64 v[28:29], v[28:29], v[242:243]
	v_accvgpr_write_b32 a227, v29
	v_accvgpr_write_b32 a226, v28
	v_accvgpr_read_b32 v28, a222
	v_accvgpr_read_b32 v29, a223
	;; [unrolled: 1-line block ×3, first 2 shown]
	v_add_f64 v[28:29], v[28:29], 0
	v_accvgpr_read_b32 v242, a224
	v_add_f64 v[28:29], v[28:29], v[242:243]
	v_add_f64 v[28:29], v[28:29], v[234:235]
	;; [unrolled: 1-line block ×23, first 2 shown]
	buffer_load_dword v250, off, s[0:3], 0 offset:80
	buffer_load_dword v251, off, s[0:3], 0 offset:84
	v_add_f64 v[2:3], v[4:5], v[2:3]
	buffer_load_dword v248, off, s[0:3], 0 offset:88
	buffer_load_dword v249, off, s[0:3], 0 offset:92
	v_add_f64 v[2:3], v[2:3], v[144:145]
	v_add_f64 v[0:1], v[2:3], v[0:1]
	v_accvgpr_read_b32 v4, a188
	v_accvgpr_read_b32 v2, a192
	;; [unrolled: 1-line block ×5, first 2 shown]
	v_mul_f64 v[2:3], v[6:7], v[2:3]
	v_accvgpr_read_b32 v6, a194
	v_accvgpr_read_b32 v5, a189
	;; [unrolled: 1-line block ×3, first 2 shown]
	v_add_f64 v[0:1], v[0:1], v[22:23]
	v_fma_f64 v[2:3], v[4:5], v[6:7], -v[2:3]
	v_add_f64 v[0:1], v[0:1], v[2:3]
	v_accvgpr_read_b32 v4, a196
	v_accvgpr_read_b32 v2, a200
	;; [unrolled: 1-line block ×5, first 2 shown]
	v_mul_f64 v[2:3], v[6:7], v[2:3]
	v_accvgpr_read_b32 v6, a202
	v_accvgpr_read_b32 v5, a197
	;; [unrolled: 1-line block ×3, first 2 shown]
	v_fma_f64 v[2:3], v[4:5], v[6:7], -v[2:3]
	v_add_f64 v[0:1], v[0:1], v[2:3]
	v_accvgpr_read_b32 v2, a204
	v_accvgpr_read_b32 v3, a205
	v_accvgpr_read_b32 v4, a206
	v_mul_f64 v[2:3], v[136:137], v[2:3]
	v_accvgpr_read_b32 v5, a207
	v_fma_f64 v[2:3], v[134:135], v[4:5], -v[2:3]
	v_add_f64 v[0:1], v[0:1], v[2:3]
	v_accvgpr_read_b32 v2, a208
	v_accvgpr_read_b32 v3, a209
	v_accvgpr_read_b32 v4, a210
	v_mul_f64 v[2:3], v[140:141], v[2:3]
	v_accvgpr_read_b32 v5, a211
	;; [unrolled: 7-line block ×3, first 2 shown]
	v_fma_f64 v[2:3], v[128:129], v[4:5], -v[2:3]
	v_add_f64 v[0:1], v[0:1], v[2:3]
	v_accvgpr_read_b32 v2, a216
	v_accvgpr_read_b32 v3, a217
	v_mul_f64 v[2:3], v[148:149], v[2:3]
	v_fma_f64 v[2:3], v[146:147], v[120:121], -v[2:3]
	v_add_f64 v[0:1], v[0:1], v[2:3]
	v_accvgpr_read_b32 v2, a218
	v_accvgpr_read_b32 v3, a219
	v_mul_f64 v[2:3], v[126:127], v[2:3]
	;; [unrolled: 5-line block ×3, first 2 shown]
	v_fma_f64 v[2:3], v[30:31], v[232:233], -v[2:3]
	v_add_f64 v[0:1], v[0:1], v[2:3]
	v_mul_f64 v[2:3], v[36:37], v[142:143]
	v_fma_f64 v[2:3], v[34:35], v[152:153], -v[2:3]
	v_add_f64 v[0:1], v[0:1], v[2:3]
	v_mul_f64 v[2:3], v[40:41], v[154:155]
	;; [unrolled: 3-line block ×21, first 2 shown]
	v_fma_f64 v[2:3], v[238:239], v[246:247], -v[2:3]
	v_add_f64 v[0:1], v[0:1], v[2:3]
	v_accvgpr_read_b32 v2, a226
	s_waitcnt vmcnt(2)
	v_add_f64 v[0:1], v[250:251], -v[0:1]
	v_accvgpr_read_b32 v3, a227
	s_waitcnt vmcnt(0)
	v_add_f64 v[2:3], v[248:249], -v[2:3]
	buffer_store_dword v1, off, s[0:3], 0 offset:84
	buffer_store_dword v0, off, s[0:3], 0 offset:80
	;; [unrolled: 1-line block ×4, first 2 shown]
	s_and_saveexec_b64 s[4:5], vcc
	s_cbranch_execz .LBB125_391
; %bb.390:
	v_accvgpr_read_b32 v3, a182
	buffer_load_dword v0, v3, s[0:3], 0 offen
	buffer_load_dword v1, v3, s[0:3], 0 offen offset:4
	buffer_load_dword v2, v3, s[0:3], 0 offen offset:8
	s_nop 0
	buffer_load_dword v3, v3, s[0:3], 0 offen offset:12
	v_accvgpr_read_b32 v4, a186
	buffer_store_dword v236, off, s[0:3], 0 offset:64
	buffer_store_dword v236, off, s[0:3], 0 offset:68
	;; [unrolled: 1-line block ×4, first 2 shown]
	s_waitcnt vmcnt(4)
	ds_write_b128 v4, v[0:3]
.LBB125_391:
	s_or_b64 exec, exec, s[4:5]
	s_waitcnt lgkmcnt(0)
	; wave barrier
	s_waitcnt lgkmcnt(0)
	buffer_load_dword v6, off, s[0:3], 0 offset:80
	buffer_load_dword v7, off, s[0:3], 0 offset:84
	;; [unrolled: 1-line block ×42, first 2 shown]
	ds_read_b128 v[104:107], v236 offset:1056
	ds_read_b128 v[108:111], v236 offset:1072
	;; [unrolled: 1-line block ×10, first 2 shown]
	buffer_load_dword v99, off, s[0:3], 0 offset:228
	buffer_load_dword v98, off, s[0:3], 0 offset:224
	ds_read_b128 v[38:41], v236 offset:1216
	buffer_load_dword v85, off, s[0:3], 0 offset:284
	buffer_load_dword v84, off, s[0:3], 0 offset:280
	;; [unrolled: 1-line block ×6, first 2 shown]
	s_waitcnt vmcnt(46) lgkmcnt(10)
	v_mul_f64 v[0:1], v[104:105], v[10:11]
	v_fmac_f64_e32 v[0:1], v[106:107], v[6:7]
	v_add_f64 v[0:1], v[0:1], 0
	v_mul_f64 v[10:11], v[106:107], v[10:11]
	s_waitcnt vmcnt(42) lgkmcnt(9)
	v_mul_f64 v[52:53], v[108:109], v[8:9]
	v_fmac_f64_e32 v[52:53], v[110:111], v[226:227]
	s_waitcnt vmcnt(40) lgkmcnt(8)
	v_mul_f64 v[54:55], v[112:113], v[144:145]
	v_add_f64 v[0:1], v[0:1], v[52:53]
	s_waitcnt vmcnt(38) lgkmcnt(6)
	v_mul_f64 v[58:59], v[150:151], v[240:241]
	v_fma_f64 v[6:7], v[104:105], v[6:7], -v[10:11]
	s_waitcnt vmcnt(36)
	v_fmac_f64_e32 v[58:59], v[152:153], v[14:15]
	v_mul_f64 v[8:9], v[110:111], v[8:9]
	s_waitcnt vmcnt(34)
	v_mul_f64 v[56:57], v[146:147], v[16:17]
	v_accvgpr_write_b32 a229, v7
	s_waitcnt vmcnt(32) lgkmcnt(4)
	v_mul_f64 v[62:63], v[158:159], v[18:19]
	v_accvgpr_write_b32 a228, v6
	s_waitcnt vmcnt(30)
	v_fmac_f64_e32 v[62:63], v[160:161], v[20:21]
	s_waitcnt vmcnt(28)
	v_mul_f64 v[60:61], v[154:155], v[22:23]
	v_mul_f64 v[10:11], v[156:157], v[22:23]
	s_waitcnt vmcnt(26) lgkmcnt(2)
	v_mul_f64 v[66:67], v[166:167], v[26:27]
	v_mul_f64 v[26:27], v[168:169], v[26:27]
	s_waitcnt vmcnt(23)
	v_mul_f64 v[64:65], v[162:163], v[24:25]
	s_waitcnt vmcnt(21) lgkmcnt(1)
	v_mul_f64 v[116:117], v[30:31], v[34:35]
	s_waitcnt vmcnt(19)
	v_fmac_f64_e32 v[54:55], v[114:115], v[46:47]
	v_add_f64 v[0:1], v[0:1], v[54:55]
	s_waitcnt vmcnt(17)
	v_fmac_f64_e32 v[56:57], v[148:149], v[44:45]
	v_add_f64 v[0:1], v[0:1], v[56:57]
	;; [unrolled: 3-line block ×3, first 2 shown]
	v_add_f64 v[0:1], v[0:1], v[60:61]
	s_waitcnt vmcnt(13)
	v_fmac_f64_e32 v[64:65], v[164:165], v[36:37]
	v_add_f64 v[0:1], v[0:1], v[62:63]
	s_waitcnt vmcnt(12)
	v_fmac_f64_e32 v[66:67], v[168:169], v[28:29]
	v_add_f64 v[0:1], v[0:1], v[64:65]
	v_add_f64 v[118:119], v[0:1], v[66:67]
	buffer_load_dword v183, off, s[0:3], 0 offset:260
	buffer_load_dword v182, off, s[0:3], 0 offset:256
	;; [unrolled: 1-line block ×68, first 2 shown]
	s_waitcnt vmcnt(62)
	v_fmac_f64_e32 v[116:117], v[32:33], v[98:99]
	v_add_f64 v[116:117], v[118:119], v[116:117]
	s_waitcnt lgkmcnt(0)
	v_mul_f64 v[118:119], v[38:39], v[48:49]
	v_fmac_f64_e32 v[118:119], v[40:41], v[50:51]
	v_add_f64 v[116:117], v[116:117], v[118:119]
	v_mul_f64 v[32:33], v[32:33], v[34:35]
	s_waitcnt vmcnt(0)
	v_pk_mov_b32 v[128:129], v[122:123], v[122:123] op_sel:[0,1]
	buffer_load_dword v123, off, s[0:3], 0 offset:564
	buffer_load_dword v122, off, s[0:3], 0 offset:560
	;; [unrolled: 1-line block ×4, first 2 shown]
	v_accvgpr_write_b32 a201, v129
	v_accvgpr_write_b32 a200, v128
	s_waitcnt vmcnt(2)
	v_accvgpr_write_b32 a203, v123
	v_accvgpr_write_b32 a202, v122
	s_waitcnt vmcnt(0)
	v_pk_mov_b32 v[130:131], v[124:125], v[124:125] op_sel:[0,1]
	buffer_load_dword v125, off, s[0:3], 0 offset:548
	buffer_load_dword v124, off, s[0:3], 0 offset:544
	ds_read_b128 v[170:173], v236 offset:1232
	ds_read_b128 v[174:177], v236 offset:1248
	;; [unrolled: 1-line block ×6, first 2 shown]
	s_waitcnt lgkmcnt(5)
	v_mul_f64 v[118:119], v[170:171], v[96:97]
	v_fmac_f64_e32 v[118:119], v[172:173], v[182:183]
	v_add_f64 v[116:117], v[116:117], v[118:119]
	s_waitcnt lgkmcnt(4)
	v_mul_f64 v[118:119], v[174:175], v[84:85]
	v_fmac_f64_e32 v[118:119], v[176:177], v[90:91]
	v_add_f64 v[116:117], v[116:117], v[118:119]
	;; [unrolled: 4-line block ×3, first 2 shown]
	s_waitcnt lgkmcnt(2)
	v_mul_f64 v[118:119], v[186:187], v[230:231]
	v_fmac_f64_e32 v[118:119], v[188:189], v[246:247]
	ds_read_b128 v[198:201], v236 offset:1328
	ds_read_b128 v[202:205], v236 offset:1344
	v_add_f64 v[116:117], v[116:117], v[118:119]
	s_waitcnt lgkmcnt(3)
	v_mul_f64 v[118:119], v[190:191], v[126:127]
	v_fmac_f64_e32 v[118:119], v[192:193], v[0:1]
	v_add_f64 v[116:117], v[116:117], v[118:119]
	s_waitcnt lgkmcnt(2)
	v_mul_f64 v[118:119], v[194:195], v[252:253]
	v_fmac_f64_e32 v[118:119], v[196:197], v[254:255]
	ds_read_b128 v[206:209], v236 offset:1360
	ds_read_b128 v[210:213], v236 offset:1376
	v_add_f64 v[116:117], v[116:117], v[118:119]
	s_waitcnt lgkmcnt(3)
	v_mul_f64 v[118:119], v[198:199], v[2:3]
	v_fmac_f64_e32 v[118:119], v[200:201], v[234:235]
	v_add_f64 v[116:117], v[116:117], v[118:119]
	s_waitcnt lgkmcnt(2)
	v_mul_f64 v[118:119], v[202:203], v[92:93]
	v_fmac_f64_e32 v[118:119], v[204:205], v[94:95]
	;; [unrolled: 4-line block ×3, first 2 shown]
	v_add_f64 v[116:117], v[116:117], v[118:119]
	ds_read_b128 v[214:217], v236 offset:1392
	v_accvgpr_write_b32 a193, v131
	v_accvgpr_write_b32 a192, v130
	s_waitcnt vmcnt(0)
	v_pk_mov_b32 v[132:133], v[124:125], v[124:125] op_sel:[0,1]
	buffer_load_dword v118, off, s[0:3], 0 offset:600
	buffer_load_dword v125, off, s[0:3], 0 offset:588
	;; [unrolled: 1-line block ×3, first 2 shown]
	v_accvgpr_write_b32 a195, v133
	v_accvgpr_write_b32 a194, v132
	s_waitcnt vmcnt(0)
	v_pk_mov_b32 v[134:135], v[124:125], v[124:125] op_sel:[0,1]
	buffer_load_dword v125, off, s[0:3], 0 offset:580
	buffer_load_dword v124, off, s[0:3], 0 offset:576
	v_accvgpr_write_b32 a213, v135
	v_accvgpr_write_b32 a212, v134
	s_waitcnt vmcnt(0)
	v_pk_mov_b32 v[140:141], v[124:125], v[124:125] op_sel:[0,1]
	buffer_load_dword v124, off, s[0:3], 0 offset:592
	buffer_load_dword v119, off, s[0:3], 0 offset:604
	;; [unrolled: 1-line block ×3, first 2 shown]
	ds_read_b128 v[218:221], v236 offset:1408
	v_accvgpr_write_b32 a219, v141
	v_accvgpr_write_b32 a218, v140
	s_waitcnt vmcnt(1)
	v_pk_mov_b32 v[136:137], v[118:119], v[118:119] op_sel:[0,1]
	s_waitcnt vmcnt(0)
	v_pk_mov_b32 v[138:139], v[124:125], v[124:125] op_sel:[0,1]
	buffer_load_dword v125, off, s[0:3], 0 offset:636
	buffer_load_dword v121, off, s[0:3], 0 offset:620
	;; [unrolled: 1-line block ×6, first 2 shown]
	s_waitcnt lgkmcnt(2)
	v_mul_f64 v[118:119], v[210:211], v[60:61]
	v_fmac_f64_e32 v[118:119], v[212:213], v[70:71]
	v_add_f64 v[116:117], v[116:117], v[118:119]
	s_waitcnt lgkmcnt(1)
	v_mul_f64 v[118:119], v[214:215], v[72:73]
	v_fmac_f64_e32 v[118:119], v[216:217], v[82:83]
	v_add_f64 v[116:117], v[116:117], v[118:119]
	;; [unrolled: 4-line block ×3, first 2 shown]
	v_fma_f64 v[118:119], v[108:109], v[226:227], -v[8:9]
	v_accvgpr_write_b32 a215, v137
	v_accvgpr_write_b32 a217, v139
	;; [unrolled: 1-line block ×4, first 2 shown]
	s_waitcnt vmcnt(3)
	v_accvgpr_write_b32 a221, v121
	v_accvgpr_write_b32 a220, v120
	s_waitcnt vmcnt(0)
	v_pk_mov_b32 v[184:185], v[124:125], v[124:125] op_sel:[0,1]
	buffer_load_dword v13, off, s[0:3], 0 offset:628
	buffer_load_dword v12, off, s[0:3], 0 offset:624
	;; [unrolled: 1-line block ×6, first 2 shown]
	ds_read_b128 v[222:225], v236 offset:1424
	ds_read_b128 v[104:107], v236 offset:1440
	;; [unrolled: 1-line block ×5, first 2 shown]
	s_waitcnt lgkmcnt(4)
	v_mul_f64 v[6:7], v[222:223], v[56:57]
	v_fmac_f64_e32 v[6:7], v[224:225], v[58:59]
	s_waitcnt lgkmcnt(3)
	v_mul_f64 v[8:9], v[104:105], v[62:63]
	v_add_f64 v[6:7], v[116:117], v[6:7]
	v_fmac_f64_e32 v[8:9], v[106:107], v[64:65]
	v_add_f64 v[6:7], v[6:7], v[8:9]
	s_waitcnt lgkmcnt(2)
	v_mul_f64 v[8:9], v[108:109], v[66:67]
	v_fmac_f64_e32 v[8:9], v[110:111], v[68:69]
	v_add_f64 v[6:7], v[6:7], v[8:9]
	v_mul_f64 v[8:9], v[114:115], v[144:145]
	v_fma_f64 v[232:233], v[112:113], v[46:47], -v[8:9]
	ds_read_b128 v[112:115], v236 offset:1488
	s_waitcnt lgkmcnt(2)
	v_mul_f64 v[8:9], v[226:227], v[74:75]
	v_fmac_f64_e32 v[8:9], v[228:229], v[76:77]
	v_add_f64 v[6:7], v[6:7], v[8:9]
	v_mul_f64 v[8:9], v[148:149], v[16:17]
	v_fma_f64 v[238:239], v[146:147], v[44:45], -v[8:9]
	s_waitcnt lgkmcnt(0)
	v_mul_f64 v[8:9], v[112:113], v[78:79]
	ds_read_b128 v[44:47], v236 offset:1520
	v_fmac_f64_e32 v[8:9], v[114:115], v[80:81]
	v_add_f64 v[6:7], v[6:7], v[8:9]
	v_mul_f64 v[8:9], v[152:153], v[240:241]
	v_fma_f64 v[240:241], v[150:151], v[14:15], -v[8:9]
	v_mul_f64 v[8:9], v[242:243], v[86:87]
	v_fmac_f64_e32 v[8:9], v[244:245], v[88:89]
	v_add_f64 v[6:7], v[6:7], v[8:9]
	s_waitcnt lgkmcnt(0)
	v_mul_f64 v[8:9], v[44:45], v[130:131]
	v_fmac_f64_e32 v[8:9], v[46:47], v[132:133]
	v_accvgpr_write_b32 a191, v47
	buffer_load_dword v150, off, s[0:3], 0 offset:664
	buffer_load_dword v151, off, s[0:3], 0 offset:668
	v_accvgpr_write_b32 a190, v46
	v_accvgpr_write_b32 a189, v45
	;; [unrolled: 1-line block ×3, first 2 shown]
	v_add_f64 v[44:45], v[6:7], v[8:9]
	ds_read_b128 v[6:9], v236 offset:1536
	ds_read_b128 v[130:133], v236 offset:1552
	v_mul_f64 v[14:15], v[160:161], v[18:19]
	ds_read_b128 v[144:147], v236 offset:1584
	v_fma_f64 v[148:149], v[158:159], v[20:21], -v[14:15]
	s_waitcnt lgkmcnt(2)
	v_mul_f64 v[22:23], v[6:7], v[128:129]
	v_fmac_f64_e32 v[22:23], v[8:9], v[122:123]
	v_accvgpr_write_b32 a199, v9
	v_accvgpr_write_b32 a198, v8
	;; [unrolled: 1-line block ×4, first 2 shown]
	ds_read_b128 v[6:9], v236 offset:1568
	v_add_f64 v[18:19], v[44:45], v[22:23]
	buffer_load_dword v44, off, s[0:3], 0 offset:656
	buffer_load_dword v45, off, s[0:3], 0 offset:660
	s_waitcnt lgkmcnt(2)
	v_mul_f64 v[20:21], v[130:131], v[134:135]
	v_fmac_f64_e32 v[20:21], v[132:133], v[140:141]
	v_accvgpr_write_b32 a207, v133
	v_add_f64 v[18:19], v[18:19], v[20:21]
	s_waitcnt lgkmcnt(0)
	v_mul_f64 v[20:21], v[6:7], v[136:137]
	v_accvgpr_write_b32 a211, v9
	v_fma_f64 v[116:117], v[154:155], v[42:43], -v[10:11]
	v_accvgpr_write_b32 a206, v132
	v_accvgpr_write_b32 a205, v131
	;; [unrolled: 1-line block ×3, first 2 shown]
	v_fmac_f64_e32 v[20:21], v[8:9], v[138:139]
	v_accvgpr_write_b32 a210, v8
	v_accvgpr_write_b32 a209, v7
	;; [unrolled: 1-line block ×3, first 2 shown]
	ds_read_b128 v[136:139], v236 offset:1600
	ds_read_b128 v[132:135], v236 offset:1616
	v_mul_f64 v[8:9], v[144:145], v[120:121]
	ds_read_b128 v[120:123], v236 offset:1632
	ds_read_b128 v[128:131], v236 offset:1648
	buffer_load_dword v140, off, s[0:3], 0 offset:696
	buffer_load_dword v155, off, s[0:3], 0 offset:684
	;; [unrolled: 1-line block ×10, first 2 shown]
	v_mul_f64 v[22:23], v[164:165], v[24:25]
	v_fma_f64 v[42:43], v[162:163], v[36:37], -v[22:23]
	v_fma_f64 v[24:25], v[166:167], v[28:29], -v[26:27]
	s_waitcnt lgkmcnt(3)
	v_mul_f64 v[36:37], v[136:137], v[184:185]
	s_waitcnt vmcnt(18)
	v_accvgpr_write_b32 a227, v13
	buffer_load_dword v167, off, s[0:3], 0 offset:716
	buffer_load_dword v166, off, s[0:3], 0 offset:712
	buffer_load_dword v169, off, s[0:3], 0 offset:708
	buffer_load_dword v168, off, s[0:3], 0 offset:704
	buffer_load_dword v165, off, s[0:3], 0 offset:724
	buffer_load_dword v164, off, s[0:3], 0 offset:720
	buffer_load_dword v160, off, s[0:3], 0 offset:760
	v_fmac_f64_e32 v[36:37], v[138:139], v[12:13]
	v_accvgpr_write_b32 a226, v12
	v_mul_f64 v[12:13], v[40:41], v[48:49]
	v_add_f64 v[46:47], v[18:19], v[20:21]
	v_fma_f64 v[20:21], v[38:39], v[50:51], -v[12:13]
	v_mul_f64 v[38:39], v[172:173], v[96:97]
	v_fma_f64 v[182:183], v[170:171], v[182:183], -v[38:39]
	buffer_load_dword v162, off, s[0:3], 0 offset:752
	buffer_load_dword v171, off, s[0:3], 0 offset:748
	;; [unrolled: 1-line block ×7, first 2 shown]
	v_mul_f64 v[38:39], v[176:177], v[84:85]
	v_fma_f64 v[14:15], v[174:175], v[90:91], -v[38:39]
	buffer_load_dword v175, off, s[0:3], 0 offset:780
	buffer_load_dword v174, off, s[0:3], 0 offset:776
	;; [unrolled: 1-line block ×4, first 2 shown]
	v_mul_f64 v[16:17], v[180:181], v[248:249]
	buffer_load_dword v180, off, s[0:3], 0 offset:792
	v_mul_f64 v[40:41], v[192:193], v[126:127]
	buffer_load_dword v126, off, s[0:3], 0 offset:784
	buffer_load_dword v181, off, s[0:3], 0 offset:796
	;; [unrolled: 1-line block ×3, first 2 shown]
	v_mul_f64 v[38:39], v[188:189], v[230:231]
	v_fma_f64 v[248:249], v[190:191], v[0:1], -v[40:41]
	v_mul_f64 v[0:1], v[196:197], v[252:253]
	v_fma_f64 v[16:17], v[178:179], v[250:251], -v[16:17]
	v_fma_f64 v[250:251], v[186:187], v[246:247], -v[38:39]
	;; [unrolled: 1-line block ×3, first 2 shown]
	buffer_load_dword v179, off, s[0:3], 0 offset:828
	buffer_load_dword v187, off, s[0:3], 0 offset:812
	;; [unrolled: 1-line block ×12, first 2 shown]
	v_fmac_f64_e32 v[8:9], v[146:147], v[142:143]
	v_add_f64 v[8:9], v[46:47], v[8:9]
	v_add_f64 v[8:9], v[8:9], v[36:37]
	s_waitcnt vmcnt(50) lgkmcnt(2)
	v_mul_f64 v[36:37], v[132:133], v[4:5]
	s_waitcnt vmcnt(48)
	v_fmac_f64_e32 v[36:37], v[134:135], v[124:125]
	v_mul_f64 v[0:1], v[200:201], v[2:3]
	v_add_f64 v[8:9], v[8:9], v[36:37]
	v_fma_f64 v[234:235], v[198:199], v[234:235], -v[0:1]
	v_mul_f64 v[0:1], v[204:205], v[92:93]
	v_mul_f64 v[2:3], v[208:209], v[100:101]
	;; [unrolled: 1-line block ×3, first 2 shown]
	v_fma_f64 v[12:13], v[202:203], v[94:95], -v[0:1]
	v_fma_f64 v[10:11], v[206:207], v[102:103], -v[2:3]
	s_waitcnt vmcnt(46) lgkmcnt(1)
	v_mul_f64 v[38:39], v[120:121], v[150:151]
	buffer_load_dword v198, off, s[0:3], 0 offset:856
	buffer_load_dword v200, off, s[0:3], 0 offset:848
	;; [unrolled: 1-line block ×12, first 2 shown]
	v_fma_f64 v[6:7], v[210:211], v[70:71], -v[18:19]
	buffer_load_dword v209, off, s[0:3], 0 offset:908
	buffer_load_dword v208, off, s[0:3], 0 offset:904
	;; [unrolled: 1-line block ×4, first 2 shown]
	v_fma_f64 v[22:23], v[30:31], v[98:99], -v[32:33]
	ds_read_b128 v[32:35], v236 offset:1680
	v_accvgpr_write_b32 a225, v5
	v_mul_f64 v[50:51], v[220:221], v[52:53]
	v_accvgpr_write_b32 a224, v4
	v_fma_f64 v[4:5], v[218:219], v[54:55], -v[50:51]
	ds_read_b128 v[50:53], v236 offset:1712
	v_mul_f64 v[54:55], v[224:225], v[56:57]
	v_fma_f64 v[252:253], v[222:223], v[58:59], -v[54:55]
	ds_read_b128 v[54:57], v236 offset:1728
	ds_read_b128 v[58:61], v236 offset:1744
	v_accvgpr_write_b32 a223, v185
	v_accvgpr_write_b32 a222, v184
	ds_read_b128 v[90:93], v236 offset:1872
	s_waitcnt vmcnt(60)
	v_fmac_f64_e32 v[38:39], v[122:123], v[44:45]
	v_add_f64 v[8:9], v[8:9], v[38:39]
	ds_read_b128 v[38:41], v236 offset:1664
	s_waitcnt vmcnt(57) lgkmcnt(6)
	v_mul_f64 v[18:19], v[128:129], v[154:155]
	s_waitcnt vmcnt(53) lgkmcnt(0)
	v_mul_f64 v[46:47], v[38:39], v[140:141]
	v_fmac_f64_e32 v[18:19], v[130:131], v[156:157]
	v_add_f64 v[8:9], v[8:9], v[18:19]
	s_waitcnt vmcnt(52)
	v_fmac_f64_e32 v[46:47], v[40:41], v[158:159]
	v_add_f64 v[8:9], v[8:9], v[46:47]
	ds_read_b128 v[46:49], v236 offset:1696
	s_waitcnt vmcnt(48)
	v_mul_f64 v[28:29], v[32:33], v[166:167]
	s_waitcnt vmcnt(46)
	v_fmac_f64_e32 v[28:29], v[34:35], v[168:169]
	v_add_f64 v[8:9], v[8:9], v[28:29]
	v_mul_f64 v[18:19], v[216:217], v[72:73]
	s_waitcnt lgkmcnt(0)
	v_mul_f64 v[28:29], v[46:47], v[152:153]
	s_waitcnt vmcnt(44)
	v_fmac_f64_e32 v[28:29], v[48:49], v[164:165]
	v_add_f64 v[8:9], v[8:9], v[28:29]
	s_waitcnt vmcnt(40)
	v_mul_f64 v[28:29], v[50:51], v[170:171]
	s_waitcnt vmcnt(38)
	v_fmac_f64_e32 v[28:29], v[52:53], v[172:173]
	v_add_f64 v[8:9], v[8:9], v[28:29]
	s_waitcnt vmcnt(37)
	v_mul_f64 v[28:29], v[54:55], v[160:161]
	s_waitcnt vmcnt(36)
	v_fmac_f64_e32 v[28:29], v[56:57], v[162:163]
	v_add_f64 v[8:9], v[8:9], v[28:29]
	v_mul_f64 v[28:29], v[106:107], v[62:63]
	v_fma_f64 v[2:3], v[104:105], v[64:65], -v[28:29]
	ds_read_b128 v[62:65], v236 offset:1760
	s_waitcnt vmcnt(34)
	v_mul_f64 v[26:27], v[58:59], v[174:175]
	s_waitcnt vmcnt(32)
	v_fmac_f64_e32 v[26:27], v[60:61], v[176:177]
	v_add_f64 v[8:9], v[8:9], v[26:27]
	v_mul_f64 v[26:27], v[110:111], v[66:67]
	v_fma_f64 v[26:27], v[108:109], v[68:69], -v[26:27]
	ds_read_b128 v[66:69], v236 offset:1776
	s_waitcnt vmcnt(29) lgkmcnt(1)
	v_mul_f64 v[28:29], v[62:63], v[180:181]
	s_waitcnt vmcnt(28)
	v_fmac_f64_e32 v[28:29], v[64:65], v[126:127]
	v_add_f64 v[8:9], v[8:9], v[28:29]
	ds_read_b128 v[70:73], v236 offset:1792
	v_mul_f64 v[28:29], v[228:229], v[74:75]
	v_fma_f64 v[0:1], v[226:227], v[76:77], -v[28:29]
	ds_read_b128 v[74:77], v236 offset:1808
	s_waitcnt vmcnt(25) lgkmcnt(2)
	v_mul_f64 v[28:29], v[66:67], v[186:187]
	s_waitcnt vmcnt(23)
	v_fmac_f64_e32 v[28:29], v[68:69], v[192:193]
	v_add_f64 v[8:9], v[8:9], v[28:29]
	s_waitcnt vmcnt(22) lgkmcnt(1)
	v_mul_f64 v[28:29], v[70:71], v[178:179]
	s_waitcnt vmcnt(20)
	v_fmac_f64_e32 v[28:29], v[72:73], v[190:191]
	s_waitcnt vmcnt(18) lgkmcnt(0)
	v_mul_f64 v[30:31], v[74:75], v[188:189]
	v_add_f64 v[28:29], v[8:9], v[28:29]
	s_waitcnt vmcnt(16)
	v_fmac_f64_e32 v[30:31], v[76:77], v[194:195]
	v_mul_f64 v[8:9], v[114:115], v[78:79]
	v_add_f64 v[28:29], v[28:29], v[30:31]
	v_mul_f64 v[30:31], v[244:245], v[86:87]
	v_fma_f64 v[18:19], v[214:215], v[82:83], -v[18:19]
	v_fma_f64 v[8:9], v[112:113], v[80:81], -v[8:9]
	ds_read_b128 v[82:85], v236 offset:1824
	ds_read_b128 v[78:81], v236 offset:1840
	v_fma_f64 v[36:37], v[242:243], v[88:89], -v[30:31]
	ds_read_b128 v[86:89], v236 offset:1856
	buffer_load_dword v212, off, s[0:3], 0 offset:920
	buffer_load_dword v213, off, s[0:3], 0 offset:924
	buffer_load_dword v214, off, s[0:3], 0 offset:912
	buffer_load_dword v215, off, s[0:3], 0 offset:916
	ds_read_b128 v[94:97], v236 offset:1888
	buffer_load_dword v217, off, s[0:3], 0 offset:940
	buffer_load_dword v216, off, s[0:3], 0 offset:936
	buffer_load_dword v219, off, s[0:3], 0 offset:932
	buffer_load_dword v218, off, s[0:3], 0 offset:928
	;; [unrolled: 5-line block ×6, first 2 shown]
	s_waitcnt vmcnt(37) lgkmcnt(7)
	v_mul_f64 v[30:31], v[82:83], v[198:199]
	s_waitcnt vmcnt(36)
	v_fmac_f64_e32 v[30:31], v[84:85], v[200:201]
	v_add_f64 v[28:29], v[28:29], v[30:31]
	s_waitcnt vmcnt(33) lgkmcnt(6)
	v_mul_f64 v[30:31], v[78:79], v[204:205]
	s_waitcnt vmcnt(31)
	v_fmac_f64_e32 v[30:31], v[80:81], v[206:207]
	v_add_f64 v[28:29], v[28:29], v[30:31]
	;; [unrolled: 5-line block ×3, first 2 shown]
	s_waitcnt vmcnt(26)
	v_mul_f64 v[30:31], v[90:91], v[208:209]
	s_waitcnt vmcnt(24)
	v_fmac_f64_e32 v[30:31], v[92:93], v[210:211]
	v_add_f64 v[28:29], v[28:29], v[30:31]
	s_waitcnt vmcnt(22) lgkmcnt(4)
	v_mul_f64 v[30:31], v[94:95], v[212:213]
	s_waitcnt vmcnt(20)
	v_fmac_f64_e32 v[30:31], v[96:97], v[214:215]
	v_add_f64 v[28:29], v[28:29], v[30:31]
	s_waitcnt vmcnt(18) lgkmcnt(3)
	;; [unrolled: 5-line block ×5, first 2 shown]
	v_mul_f64 v[30:31], v[110:111], v[228:229]
	s_waitcnt vmcnt(4)
	v_fmac_f64_e32 v[30:31], v[112:113], v[230:231]
	v_add_f64 v[114:115], v[28:29], v[30:31]
	ds_read_b128 v[28:31], v236 offset:1968
	s_waitcnt vmcnt(2) lgkmcnt(0)
	v_mul_f64 v[184:185], v[28:29], v[244:245]
	s_waitcnt vmcnt(0)
	v_fmac_f64_e32 v[184:185], v[30:31], v[246:247]
	v_add_f64 v[242:243], v[114:115], v[184:185]
	v_accvgpr_read_b32 v114, a228
	v_accvgpr_read_b32 v115, a229
	v_add_f64 v[114:115], v[114:115], 0
	v_add_f64 v[114:115], v[114:115], v[118:119]
	;; [unrolled: 1-line block ×25, first 2 shown]
	buffer_load_dword v254, off, s[0:3], 0 offset:64
	buffer_load_dword v255, off, s[0:3], 0 offset:68
	buffer_load_dword v250, off, s[0:3], 0 offset:72
	buffer_load_dword v251, off, s[0:3], 0 offset:76
	v_add_f64 v[2:3], v[2:3], v[26:27]
	v_add_f64 v[232:233], v[2:3], v[0:1]
	v_accvgpr_read_b32 v4, a188
	v_accvgpr_read_b32 v2, a192
	;; [unrolled: 1-line block ×5, first 2 shown]
	v_mul_f64 v[2:3], v[6:7], v[2:3]
	v_accvgpr_read_b32 v6, a194
	v_add_f64 v[0:1], v[232:233], v[8:9]
	v_accvgpr_read_b32 v5, a189
	v_accvgpr_read_b32 v7, a195
	v_add_f64 v[0:1], v[0:1], v[36:37]
	v_fma_f64 v[2:3], v[4:5], v[6:7], -v[2:3]
	v_add_f64 v[0:1], v[0:1], v[2:3]
	v_accvgpr_read_b32 v4, a196
	v_accvgpr_read_b32 v2, a200
	v_accvgpr_read_b32 v6, a198
	v_accvgpr_read_b32 v7, a199
	v_accvgpr_read_b32 v3, a201
	v_mul_f64 v[2:3], v[6:7], v[2:3]
	v_accvgpr_read_b32 v6, a202
	v_accvgpr_read_b32 v5, a197
	v_accvgpr_read_b32 v7, a203
	v_fma_f64 v[2:3], v[4:5], v[6:7], -v[2:3]
	v_add_f64 v[0:1], v[0:1], v[2:3]
	v_accvgpr_read_b32 v4, a204
	v_accvgpr_read_b32 v2, a212
	v_accvgpr_read_b32 v6, a206
	v_accvgpr_read_b32 v7, a207
	v_accvgpr_read_b32 v3, a213
	v_mul_f64 v[2:3], v[6:7], v[2:3]
	v_accvgpr_read_b32 v6, a218
	v_accvgpr_read_b32 v5, a205
	v_accvgpr_read_b32 v7, a219
	;; [unrolled: 11-line block ×3, first 2 shown]
	v_fma_f64 v[2:3], v[4:5], v[6:7], -v[2:3]
	v_add_f64 v[0:1], v[0:1], v[2:3]
	v_accvgpr_read_b32 v2, a220
	v_accvgpr_read_b32 v3, a221
	v_mul_f64 v[2:3], v[146:147], v[2:3]
	v_fma_f64 v[2:3], v[144:145], v[142:143], -v[2:3]
	v_add_f64 v[0:1], v[0:1], v[2:3]
	v_accvgpr_read_b32 v2, a222
	v_accvgpr_read_b32 v3, a223
	;; [unrolled: 1-line block ×3, first 2 shown]
	v_mul_f64 v[2:3], v[138:139], v[2:3]
	v_accvgpr_read_b32 v5, a227
	v_fma_f64 v[2:3], v[136:137], v[4:5], -v[2:3]
	v_add_f64 v[0:1], v[0:1], v[2:3]
	v_accvgpr_read_b32 v2, a224
	v_accvgpr_read_b32 v3, a225
	v_mul_f64 v[2:3], v[134:135], v[2:3]
	v_fma_f64 v[2:3], v[132:133], v[124:125], -v[2:3]
	v_add_f64 v[0:1], v[0:1], v[2:3]
	v_mul_f64 v[2:3], v[122:123], v[150:151]
	v_fma_f64 v[2:3], v[120:121], v[44:45], -v[2:3]
	v_add_f64 v[0:1], v[0:1], v[2:3]
	;; [unrolled: 3-line block ×23, first 2 shown]
	s_waitcnt vmcnt(2)
	v_add_f64 v[0:1], v[254:255], -v[0:1]
	s_waitcnt vmcnt(0)
	v_add_f64 v[2:3], v[250:251], -v[242:243]
	buffer_store_dword v1, off, s[0:3], 0 offset:68
	buffer_store_dword v0, off, s[0:3], 0 offset:64
	;; [unrolled: 1-line block ×4, first 2 shown]
	v_accvgpr_read_b32 v0, a185
	v_cmp_lt_u32_e32 vcc, 2, v0
	s_and_saveexec_b64 s[4:5], vcc
	s_cbranch_execz .LBB125_393
; %bb.392:
	v_accvgpr_read_b32 v3, a183
	buffer_load_dword v0, v3, s[0:3], 0 offen
	buffer_load_dword v1, v3, s[0:3], 0 offen offset:4
	buffer_load_dword v2, v3, s[0:3], 0 offen offset:8
	s_nop 0
	buffer_load_dword v3, v3, s[0:3], 0 offen offset:12
	v_mov_b32_e32 v4, 0
	v_accvgpr_read_b32 v5, a186
	buffer_store_dword v4, off, s[0:3], 0 offset:48
	buffer_store_dword v4, off, s[0:3], 0 offset:52
	;; [unrolled: 1-line block ×4, first 2 shown]
	s_waitcnt vmcnt(4)
	ds_write_b128 v5, v[0:3]
.LBB125_393:
	s_or_b64 exec, exec, s[4:5]
	s_waitcnt lgkmcnt(0)
	; wave barrier
	s_waitcnt lgkmcnt(0)
	buffer_load_dword v0, off, s[0:3], 0 offset:64
	buffer_load_dword v1, off, s[0:3], 0 offset:68
	;; [unrolled: 1-line block ×54, first 2 shown]
	v_mov_b32_e32 v252, 0
	ds_read_b128 v[138:141], v252 offset:1040
	ds_read_b128 v[142:145], v252 offset:1056
	;; [unrolled: 1-line block ×9, first 2 shown]
	s_waitcnt vmcnt(50) lgkmcnt(8)
	v_mul_f64 v[2:3], v[138:139], v[10:11]
	v_fmac_f64_e32 v[2:3], v[140:141], v[0:1]
	v_add_f64 v[2:3], v[2:3], 0
	s_waitcnt vmcnt(46) lgkmcnt(7)
	v_mul_f64 v[4:5], v[142:143], v[86:87]
	v_fmac_f64_e32 v[4:5], v[144:145], v[30:31]
	s_waitcnt vmcnt(44) lgkmcnt(6)
	v_mul_f64 v[34:35], v[146:147], v[8:9]
	v_add_f64 v[2:3], v[2:3], v[4:5]
	s_waitcnt vmcnt(42) lgkmcnt(4)
	v_mul_f64 v[50:51], v[154:155], v[12:13]
	v_mul_f64 v[8:9], v[148:149], v[8:9]
	s_waitcnt vmcnt(40)
	v_fmac_f64_e32 v[50:51], v[156:157], v[14:15]
	v_mul_f64 v[12:13], v[156:157], v[12:13]
	s_waitcnt vmcnt(38)
	v_mul_f64 v[46:47], v[150:151], v[16:17]
	v_mul_f64 v[16:17], v[152:153], v[16:17]
	s_waitcnt vmcnt(36) lgkmcnt(2)
	v_mul_f64 v[58:59], v[162:163], v[18:19]
	s_waitcnt vmcnt(34)
	v_fmac_f64_e32 v[58:59], v[164:165], v[24:25]
	s_waitcnt vmcnt(32)
	v_mul_f64 v[56:57], v[158:159], v[28:29]
	s_waitcnt vmcnt(30) lgkmcnt(1)
	v_mul_f64 v[80:81], v[166:167], v[20:21]
	s_waitcnt vmcnt(28)
	v_fmac_f64_e32 v[34:35], v[148:149], v[78:79]
	v_add_f64 v[2:3], v[2:3], v[34:35]
	s_waitcnt vmcnt(26)
	v_fmac_f64_e32 v[46:47], v[152:153], v[84:85]
	v_add_f64 v[2:3], v[2:3], v[46:47]
	s_waitcnt vmcnt(24)
	v_fmac_f64_e32 v[56:57], v[160:161], v[238:239]
	v_add_f64 v[2:3], v[2:3], v[50:51]
	v_add_f64 v[2:3], v[2:3], v[56:57]
	v_add_f64 v[2:3], v[2:3], v[58:59]
	buffer_load_dword v111, off, s[0:3], 0 offset:292
	buffer_load_dword v110, off, s[0:3], 0 offset:288
	;; [unrolled: 1-line block ×62, first 2 shown]
	ds_read_b128 v[174:177], v252 offset:1184
	ds_read_b128 v[178:181], v252 offset:1200
	s_waitcnt vmcnt(62)
	v_fmac_f64_e32 v[80:81], v[168:169], v[26:27]
	v_add_f64 v[2:3], v[2:3], v[80:81]
	s_waitcnt lgkmcnt(2)
	v_mul_f64 v[80:81], v[170:171], v[22:23]
	v_fmac_f64_e32 v[80:81], v[172:173], v[36:37]
	ds_read_b128 v[186:189], v252 offset:1216
	ds_read_b128 v[190:193], v252 offset:1232
	v_add_f64 v[2:3], v[2:3], v[80:81]
	s_waitcnt lgkmcnt(3)
	v_mul_f64 v[80:81], v[174:175], v[42:43]
	v_fmac_f64_e32 v[80:81], v[176:177], v[44:45]
	v_add_f64 v[2:3], v[2:3], v[80:81]
	s_waitcnt lgkmcnt(2)
	v_mul_f64 v[80:81], v[178:179], v[38:39]
	v_fmac_f64_e32 v[80:81], v[180:181], v[40:41]
	ds_read_b128 v[194:197], v252 offset:1248
	ds_read_b128 v[198:201], v252 offset:1264
	v_add_f64 v[2:3], v[2:3], v[80:81]
	s_waitcnt lgkmcnt(3)
	v_mul_f64 v[80:81], v[186:187], v[182:183]
	v_fmac_f64_e32 v[80:81], v[188:189], v[244:245]
	v_add_f64 v[2:3], v[2:3], v[80:81]
	s_waitcnt lgkmcnt(2)
	v_mul_f64 v[80:81], v[190:191], v[52:53]
	v_fmac_f64_e32 v[80:81], v[192:193], v[54:55]
	ds_read_b128 v[202:205], v252 offset:1280
	ds_read_b128 v[206:209], v252 offset:1296
	v_add_f64 v[2:3], v[2:3], v[80:81]
	s_waitcnt vmcnt(58) lgkmcnt(3)
	v_mul_f64 v[80:81], v[194:195], v[88:89]
	s_waitcnt vmcnt(56)
	v_fmac_f64_e32 v[80:81], v[196:197], v[236:237]
	v_add_f64 v[2:3], v[2:3], v[80:81]
	s_waitcnt lgkmcnt(2)
	v_mul_f64 v[80:81], v[198:199], v[48:49]
	v_fmac_f64_e32 v[80:81], v[200:201], v[110:111]
	ds_read_b128 v[210:213], v252 offset:1312
	ds_read_b128 v[214:217], v252 offset:1328
	v_add_f64 v[2:3], v[2:3], v[80:81]
	s_waitcnt vmcnt(50) lgkmcnt(3)
	v_mul_f64 v[80:81], v[202:203], v[4:5]
	s_waitcnt vmcnt(48)
	;; [unrolled: 11-line block ×3, first 2 shown]
	v_fmac_f64_e32 v[80:81], v[212:213], v[112:113]
	v_add_f64 v[2:3], v[2:3], v[80:81]
	s_waitcnt lgkmcnt(2)
	v_mul_f64 v[80:81], v[214:215], v[92:93]
	v_fmac_f64_e32 v[80:81], v[216:217], v[96:97]
	v_add_f64 v[2:3], v[2:3], v[80:81]
	s_waitcnt vmcnt(34) lgkmcnt(1)
	v_mul_f64 v[80:81], v[218:219], v[102:103]
	s_waitcnt vmcnt(32)
	v_fmac_f64_e32 v[80:81], v[220:221], v[106:107]
	v_add_f64 v[2:3], v[2:3], v[80:81]
	buffer_load_dword v81, off, s[0:3], 0 offset:556
	buffer_load_dword v101, off, s[0:3], 0 offset:540
	buffer_load_dword v100, off, s[0:3], 0 offset:536
	buffer_load_dword v105, off, s[0:3], 0 offset:532
	buffer_load_dword v104, off, s[0:3], 0 offset:528
	buffer_load_dword v80, off, s[0:3], 0 offset:552
	v_fma_f64 v[148:149], v[146:147], v[78:79], -v[8:9]
	v_mul_f64 v[22:23], v[172:173], v[22:23]
	v_fma_f64 v[146:147], v[170:171], v[36:37], -v[22:23]
	v_mul_f64 v[22:23], v[196:197], v[88:89]
	v_fma_f64 v[22:23], v[194:195], v[236:237], -v[22:23]
	s_waitcnt vmcnt(0)
	v_pk_mov_b32 v[128:129], v[80:81], v[80:81] op_sel:[0,1]
	buffer_load_dword v81, off, s[0:3], 0 offset:548
	buffer_load_dword v80, off, s[0:3], 0 offset:544
	ds_read_b128 v[226:229], v252 offset:1376
	v_accvgpr_write_b32 a193, v129
	v_accvgpr_write_b32 a192, v128
	s_waitcnt vmcnt(0)
	v_pk_mov_b32 v[130:131], v[80:81], v[80:81] op_sel:[0,1]
	s_waitcnt lgkmcnt(1)
	v_mul_f64 v[80:81], v[222:223], v[34:35]
	v_fmac_f64_e32 v[80:81], v[224:225], v[242:243]
	v_add_f64 v[2:3], v[2:3], v[80:81]
	buffer_load_dword v81, off, s[0:3], 0 offset:572
	buffer_load_dword v80, off, s[0:3], 0 offset:568
	v_accvgpr_write_b32 a195, v131
	v_accvgpr_write_b32 a194, v130
	v_mul_f64 v[34:35], v[224:225], v[34:35]
	s_waitcnt vmcnt(0)
	v_pk_mov_b32 v[132:133], v[80:81], v[80:81] op_sel:[0,1]
	buffer_load_dword v81, off, s[0:3], 0 offset:564
	buffer_load_dword v80, off, s[0:3], 0 offset:560
	ds_read_b128 v[246:249], v252 offset:1392
	v_accvgpr_write_b32 a201, v133
	v_accvgpr_write_b32 a200, v132
	s_waitcnt vmcnt(0)
	v_pk_mov_b32 v[134:135], v[80:81], v[80:81] op_sel:[0,1]
	buffer_load_dword v81, off, s[0:3], 0 offset:588
	buffer_load_dword v80, off, s[0:3], 0 offset:584
	;; [unrolled: 1-line block ×8, first 2 shown]
	ds_read_b128 v[116:119], v252 offset:1408
	buffer_load_dword v232, off, s[0:3], 0 offset:616
	buffer_load_dword v90, off, s[0:3], 0 offset:608
	;; [unrolled: 1-line block ×4, first 2 shown]
	ds_read_b128 v[120:123], v252 offset:1424
	v_accvgpr_write_b32 a203, v135
	v_accvgpr_write_b32 a202, v134
	s_waitcnt vmcnt(8)
	v_accvgpr_write_b32 a217, v127
	v_accvgpr_write_b32 a216, v126
	s_waitcnt vmcnt(6)
	v_accvgpr_write_b32 a215, v125
	v_pk_mov_b32 v[136:137], v[80:81], v[80:81] op_sel:[0,1]
	s_waitcnt lgkmcnt(3)
	v_mul_f64 v[80:81], v[226:227], v[68:69]
	v_fmac_f64_e32 v[80:81], v[228:229], v[82:83]
	v_add_f64 v[2:3], v[2:3], v[80:81]
	s_waitcnt lgkmcnt(2)
	v_mul_f64 v[80:81], v[246:247], v[46:47]
	v_fmac_f64_e32 v[80:81], v[248:249], v[50:51]
	v_add_f64 v[2:3], v[2:3], v[80:81]
	;; [unrolled: 4-line block ×3, first 2 shown]
	v_mul_f64 v[2:3], v[140:141], v[10:11]
	v_fma_f64 v[184:185], v[138:139], v[0:1], -v[2:3]
	ds_read_b128 v[0:3], v252 offset:1440
	s_waitcnt lgkmcnt(1)
	v_mul_f64 v[10:11], v[120:121], v[58:59]
	v_fmac_f64_e32 v[10:11], v[122:123], v[60:61]
	v_add_f64 v[10:11], v[80:81], v[10:11]
	v_mul_f64 v[80:81], v[144:145], v[86:87]
	v_fma_f64 v[250:251], v[142:143], v[30:31], -v[80:81]
	buffer_load_dword v235, off, s[0:3], 0 offset:652
	buffer_load_dword v241, off, s[0:3], 0 offset:636
	;; [unrolled: 1-line block ×8, first 2 shown]
	ds_read_b128 v[138:141], v252 offset:1456
	ds_read_b128 v[78:81], v252 offset:1472
	s_waitcnt lgkmcnt(2)
	v_mul_f64 v[86:87], v[0:1], v[62:63]
	v_fmac_f64_e32 v[86:87], v[2:3], v[64:65]
	v_fma_f64 v[144:145], v[150:151], v[84:85], -v[16:17]
	v_add_f64 v[10:11], v[10:11], v[86:87]
	s_waitcnt lgkmcnt(1)
	v_mul_f64 v[16:17], v[138:139], v[70:71]
	ds_read_b128 v[84:87], v252 offset:1488
	ds_read_b128 v[150:153], v252 offset:1504
	v_fmac_f64_e32 v[16:17], v[140:141], v[72:73]
	v_add_f64 v[10:11], v[10:11], v[16:17]
	s_waitcnt lgkmcnt(2)
	v_mul_f64 v[16:17], v[78:79], v[74:75]
	v_fmac_f64_e32 v[16:17], v[80:81], v[76:77]
	v_fma_f64 v[142:143], v[154:155], v[14:15], -v[12:13]
	v_mul_f64 v[14:15], v[160:161], v[28:29]
	v_add_f64 v[10:11], v[10:11], v[16:17]
	v_fma_f64 v[238:239], v[158:159], v[238:239], -v[14:15]
	ds_read_b128 v[14:17], v252 offset:1520
	s_waitcnt lgkmcnt(2)
	v_mul_f64 v[12:13], v[84:85], v[230:231]
	v_fmac_f64_e32 v[12:13], v[86:87], v[6:7]
	v_add_f64 v[10:11], v[10:11], v[12:13]
	s_waitcnt lgkmcnt(1)
	v_mul_f64 v[12:13], v[150:151], v[100:101]
	v_fmac_f64_e32 v[12:13], v[152:153], v[104:105]
	v_add_f64 v[10:11], v[10:11], v[12:13]
	s_waitcnt lgkmcnt(0)
	v_mul_f64 v[12:13], v[14:15], v[128:129]
	v_fmac_f64_e32 v[12:13], v[16:17], v[130:131]
	v_accvgpr_write_b32 a191, v17
	v_accvgpr_write_b32 a190, v16
	v_accvgpr_write_b32 a189, v15
	v_accvgpr_write_b32 a188, v14
	v_add_f64 v[28:29], v[10:11], v[12:13]
	ds_read_b128 v[12:15], v252 offset:1536
	ds_read_b128 v[128:131], v252 offset:1552
	v_mul_f64 v[10:11], v[164:165], v[18:19]
	s_waitcnt vmcnt(12)
	v_accvgpr_write_b32 a218, v254
	s_waitcnt vmcnt(9)
	v_accvgpr_write_b32 a224, v232
	s_waitcnt lgkmcnt(1)
	v_mul_f64 v[18:19], v[12:13], v[132:133]
	v_accvgpr_write_b32 a199, v15
	v_fmac_f64_e32 v[18:19], v[14:15], v[134:135]
	v_accvgpr_write_b32 a198, v14
	v_accvgpr_write_b32 a197, v13
	;; [unrolled: 1-line block ×3, first 2 shown]
	v_mul_f64 v[14:15], v[168:169], v[20:21]
	v_fma_f64 v[20:21], v[166:167], v[26:27], -v[14:15]
	ds_read_b128 v[14:17], v252 offset:1568
	v_add_f64 v[12:13], v[28:29], v[18:19]
	s_waitcnt lgkmcnt(1)
	v_mul_f64 v[18:19], v[128:129], v[136:137]
	v_fmac_f64_e32 v[18:19], v[130:131], v[126:127]
	v_add_f64 v[12:13], v[12:13], v[18:19]
	s_waitcnt lgkmcnt(0)
	v_mul_f64 v[18:19], v[14:15], v[124:125]
	v_accvgpr_write_b32 a211, v17
	v_fmac_f64_e32 v[18:19], v[16:17], v[254:255]
	v_accvgpr_write_b32 a210, v16
	v_accvgpr_write_b32 a209, v15
	;; [unrolled: 1-line block ×3, first 2 shown]
	ds_read_b128 v[14:17], v252 offset:1584
	v_accvgpr_write_b32 a214, v124
	ds_read_b128 v[124:127], v252 offset:1600
	v_accvgpr_write_b32 a219, v255
	v_accvgpr_write_b32 a225, v233
	s_waitcnt lgkmcnt(1)
	v_mul_f64 v[26:27], v[14:15], v[232:233]
	buffer_load_dword v255, off, s[0:3], 0 offset:684
	buffer_load_dword v254, off, s[0:3], 0 offset:680
	;; [unrolled: 1-line block ×13, first 2 shown]
	v_accvgpr_write_b32 a207, v131
	v_accvgpr_write_b32 a206, v130
	;; [unrolled: 1-line block ×4, first 2 shown]
	ds_read_b128 v[128:131], v252 offset:1616
	buffer_load_dword v160, off, s[0:3], 0 offset:704
	buffer_load_dword v33, off, s[0:3], 0 offset:716
	;; [unrolled: 1-line block ×3, first 2 shown]
	v_fma_f64 v[24:25], v[162:163], v[24:25], -v[10:11]
	buffer_load_dword v163, off, s[0:3], 0 offset:748
	buffer_load_dword v165, off, s[0:3], 0 offset:732
	;; [unrolled: 1-line block ×8, first 2 shown]
	v_add_f64 v[12:13], v[12:13], v[18:19]
	s_waitcnt vmcnt(32)
	v_fmac_f64_e32 v[26:27], v[16:17], v[90:91]
	v_add_f64 v[36:37], v[12:13], v[26:27]
	v_mul_f64 v[26:27], v[176:177], v[42:43]
	v_fma_f64 v[170:171], v[174:175], v[44:45], -v[26:27]
	v_mul_f64 v[26:27], v[180:181], v[38:39]
	s_waitcnt vmcnt(29) lgkmcnt(1)
	v_mul_f64 v[38:39], v[124:125], v[240:241]
	v_accvgpr_write_b32 a231, v127
	v_fma_f64 v[18:19], v[178:179], v[40:41], -v[26:27]
	s_waitcnt vmcnt(27)
	v_fmac_f64_e32 v[38:39], v[126:127], v[30:31]
	v_accvgpr_write_b32 a230, v126
	v_accvgpr_write_b32 a229, v125
	;; [unrolled: 1-line block ×3, first 2 shown]
	ds_read_b128 v[124:127], v252 offset:1632
	buffer_load_dword v27, off, s[0:3], 0 offset:764
	buffer_load_dword v26, off, s[0:3], 0 offset:760
	;; [unrolled: 1-line block ×4, first 2 shown]
	v_add_f64 v[36:37], v[36:37], v[38:39]
	s_waitcnt vmcnt(30) lgkmcnt(1)
	v_mul_f64 v[38:39], v[128:129], v[234:235]
	buffer_load_dword v175, off, s[0:3], 0 offset:780
	buffer_load_dword v174, off, s[0:3], 0 offset:776
	;; [unrolled: 1-line block ×8, first 2 shown]
	v_accvgpr_write_b32 a223, v17
	s_waitcnt vmcnt(36)
	v_fmac_f64_e32 v[38:39], v[130:131], v[8:9]
	v_accvgpr_write_b32 a222, v16
	v_accvgpr_write_b32 a221, v15
	;; [unrolled: 1-line block ×3, first 2 shown]
	v_mul_f64 v[14:15], v[188:189], v[182:183]
	v_add_f64 v[42:43], v[36:37], v[38:39]
	v_mul_f64 v[36:37], v[192:193], v[52:53]
	v_fma_f64 v[16:17], v[186:187], v[244:245], -v[14:15]
	v_fma_f64 v[14:15], v[190:191], v[54:55], -v[36:37]
	v_mul_f64 v[36:37], v[200:201], v[48:49]
	v_fma_f64 v[110:111], v[198:199], v[110:111], -v[36:37]
	v_mul_f64 v[36:37], v[204:205], v[4:5]
	v_fma_f64 v[12:13], v[202:203], v[114:115], -v[36:37]
	v_mul_f64 v[36:37], v[208:209], v[94:95]
	v_fma_f64 v[186:187], v[206:207], v[98:99], -v[36:37]
	buffer_load_dword v182, off, s[0:3], 0 offset:808
	v_mul_f64 v[36:37], v[212:213], v[108:109]
	v_fma_f64 v[204:205], v[210:211], v[112:113], -v[36:37]
	buffer_load_dword v112, off, s[0:3], 0 offset:800
	buffer_load_dword v183, off, s[0:3], 0 offset:812
	;; [unrolled: 1-line block ×11, first 2 shown]
	v_fma_f64 v[208:209], v[222:223], v[242:243], -v[34:35]
	buffer_load_dword v193, off, s[0:3], 0 offset:876
	buffer_load_dword v199, off, s[0:3], 0 offset:860
	;; [unrolled: 1-line block ×12, first 2 shown]
	v_mul_f64 v[36:37], v[216:217], v[92:93]
	v_fma_f64 v[206:207], v[214:215], v[96:97], -v[36:37]
	v_mul_f64 v[36:37], v[220:221], v[102:103]
	v_fma_f64 v[92:93], v[218:219], v[106:107], -v[36:37]
	ds_read_b128 v[34:37], v252 offset:1648
	v_mul_f64 v[38:39], v[228:229], v[68:69]
	v_fma_f64 v[228:229], v[226:227], v[82:83], -v[38:39]
	ds_read_b128 v[38:41], v252 offset:1664
	;; [unrolled: 3-line block ×4, first 2 shown]
	v_accvgpr_write_b32 a213, v137
	v_mul_f64 v[58:59], v[122:123], v[58:59]
	v_accvgpr_write_b32 a212, v136
	v_fma_f64 v[136:137], v[120:121], v[60:61], -v[58:59]
	ds_read_b128 v[58:61], v252 offset:1744
	v_accvgpr_write_b32 a233, v9
	v_mul_f64 v[2:3], v[2:3], v[62:63]
	v_accvgpr_write_b32 a232, v8
	v_fma_f64 v[8:9], v[0:1], v[64:65], -v[2:3]
	ds_read_b128 v[62:65], v252 offset:1760
	v_mul_f64 v[70:71], v[140:141], v[70:71]
	s_waitcnt vmcnt(54) lgkmcnt(6)
	v_mul_f64 v[44:45], v[124:125], v[132:133]
	v_fma_f64 v[4:5], v[138:139], v[72:73], -v[70:71]
	s_waitcnt vmcnt(52)
	v_fmac_f64_e32 v[44:45], v[126:127], v[156:157]
	v_add_f64 v[42:43], v[42:43], v[44:45]
	s_waitcnt lgkmcnt(5)
	v_mul_f64 v[44:45], v[34:35], v[254:255]
	v_fmac_f64_e32 v[44:45], v[36:37], v[232:233]
	v_add_f64 v[42:43], v[42:43], v[44:45]
	s_waitcnt vmcnt(49) lgkmcnt(4)
	v_mul_f64 v[44:45], v[38:39], v[154:155]
	s_waitcnt vmcnt(47)
	v_fmac_f64_e32 v[44:45], v[40:41], v[158:159]
	v_add_f64 v[54:55], v[42:43], v[44:45]
	ds_read_b128 v[42:45], v252 offset:1680
	s_waitcnt vmcnt(41) lgkmcnt(4)
	v_mul_f64 v[56:57], v[46:47], v[164:165]
	s_waitcnt vmcnt(39)
	v_fmac_f64_e32 v[56:57], v[48:49], v[168:169]
	ds_read_b128 v[70:73], v252 offset:1792
	v_mul_f64 v[74:75], v[80:81], v[74:75]
	s_waitcnt lgkmcnt(1)
	v_mul_f64 v[68:69], v[42:43], v[32:33]
	v_fmac_f64_e32 v[68:69], v[44:45], v[160:161]
	v_add_f64 v[54:55], v[54:55], v[68:69]
	v_add_f64 v[54:55], v[54:55], v[56:57]
	s_waitcnt vmcnt(38)
	v_mul_f64 v[56:57], v[50:51], v[162:163]
	s_waitcnt vmcnt(36)
	v_fmac_f64_e32 v[56:57], v[52:53], v[166:167]
	v_add_f64 v[66:67], v[54:55], v[56:57]
	ds_read_b128 v[54:57], v252 offset:1728
	v_fma_f64 v[134:135], v[78:79], v[76:77], -v[74:75]
	ds_read_b128 v[74:77], v252 offset:1808
	buffer_load_dword v118, off, s[0:3], 0 offset:904
	v_accvgpr_write_b32 a227, v91
	s_waitcnt vmcnt(35) lgkmcnt(1)
	v_mul_f64 v[68:69], v[54:55], v[26:27]
	s_waitcnt vmcnt(33)
	v_fmac_f64_e32 v[68:69], v[56:57], v[172:173]
	v_add_f64 v[2:3], v[66:67], v[68:69]
	s_waitcnt vmcnt(31)
	v_mul_f64 v[66:67], v[58:59], v[174:175]
	s_waitcnt vmcnt(29)
	v_fmac_f64_e32 v[66:67], v[60:61], v[178:179]
	v_add_f64 v[2:3], v[2:3], v[66:67]
	s_waitcnt vmcnt(27)
	v_mul_f64 v[66:67], v[62:63], v[176:177]
	s_waitcnt vmcnt(25)
	v_fmac_f64_e32 v[66:67], v[64:65], v[180:181]
	v_add_f64 v[2:3], v[2:3], v[66:67]
	ds_read_b128 v[66:69], v252 offset:1776
	v_accvgpr_write_b32 a226, v90
	s_waitcnt vmcnt(22) lgkmcnt(0)
	v_mul_f64 v[82:83], v[66:67], v[182:183]
	s_waitcnt vmcnt(21)
	v_fmac_f64_e32 v[82:83], v[68:69], v[112:113]
	s_waitcnt vmcnt(19)
	v_mul_f64 v[78:79], v[70:71], v[188:189]
	v_add_f64 v[2:3], v[2:3], v[82:83]
	s_waitcnt vmcnt(17)
	v_fmac_f64_e32 v[78:79], v[72:73], v[190:191]
	v_add_f64 v[2:3], v[2:3], v[78:79]
	v_mul_f64 v[78:79], v[86:87], v[230:231]
	v_fma_f64 v[0:1], v[84:85], v[6:7], -v[78:79]
	ds_read_b128 v[78:81], v252 offset:1824
	s_waitcnt vmcnt(15)
	v_mul_f64 v[6:7], v[74:75], v[194:195]
	ds_read_b128 v[82:85], v252 offset:1840
	ds_read_b128 v[86:89], v252 offset:1856
	s_waitcnt vmcnt(13)
	v_fmac_f64_e32 v[6:7], v[76:77], v[196:197]
	v_add_f64 v[2:3], v[2:3], v[6:7]
	v_mul_f64 v[6:7], v[152:153], v[100:101]
	v_fma_f64 v[150:151], v[150:151], v[104:105], -v[6:7]
	s_waitcnt vmcnt(10) lgkmcnt(2)
	v_mul_f64 v[6:7], v[78:79], v[198:199]
	s_waitcnt vmcnt(8)
	v_fmac_f64_e32 v[6:7], v[80:81], v[244:245]
	v_add_f64 v[2:3], v[2:3], v[6:7]
	s_waitcnt vmcnt(7) lgkmcnt(1)
	v_mul_f64 v[6:7], v[82:83], v[192:193]
	s_waitcnt vmcnt(5)
	v_fmac_f64_e32 v[6:7], v[84:85], v[242:243]
	v_add_f64 v[2:3], v[2:3], v[6:7]
	;; [unrolled: 5-line block ×3, first 2 shown]
	buffer_load_dword v6, off, s[0:3], 0 offset:896
	buffer_load_dword v119, off, s[0:3], 0 offset:908
	buffer_load_dword v7, off, s[0:3], 0 offset:900
	ds_read_b128 v[120:123], v252 offset:1872
	buffer_load_dword v91, off, s[0:3], 0 offset:924
	buffer_load_dword v90, off, s[0:3], 0 offset:920
	buffer_load_dword v211, off, s[0:3], 0 offset:916
	buffer_load_dword v210, off, s[0:3], 0 offset:912
	ds_read_b128 v[94:97], v252 offset:1888
	buffer_load_dword v212, off, s[0:3], 0 offset:936
	;; [unrolled: 5-line block ×6, first 2 shown]
	buffer_load_dword v231, off, s[0:3], 0 offset:1004
	buffer_load_dword v246, off, s[0:3], 0 offset:992
	buffer_load_dword v247, off, s[0:3], 0 offset:996
	ds_read_b128 v[114:117], v252 offset:1968
	s_waitcnt vmcnt(25) lgkmcnt(6)
	v_mul_f64 v[28:29], v[120:121], v[118:119]
	s_waitcnt vmcnt(24)
	v_fmac_f64_e32 v[28:29], v[122:123], v[6:7]
	v_add_f64 v[2:3], v[2:3], v[28:29]
	s_waitcnt vmcnt(22) lgkmcnt(5)
	v_mul_f64 v[28:29], v[94:95], v[90:91]
	s_waitcnt vmcnt(20)
	v_fmac_f64_e32 v[28:29], v[96:97], v[210:211]
	v_add_f64 v[2:3], v[2:3], v[28:29]
	;; [unrolled: 5-line block ×7, first 2 shown]
	v_add_f64 v[28:29], v[184:185], 0
	v_add_f64 v[28:29], v[28:29], v[250:251]
	;; [unrolled: 1-line block ×27, first 2 shown]
	buffer_load_dword v8, off, s[0:3], 0 offset:48
	buffer_load_dword v9, off, s[0:3], 0 offset:52
	;; [unrolled: 1-line block ×4, first 2 shown]
	v_add_f64 v[4:5], v[4:5], v[134:135]
	v_add_f64 v[0:1], v[4:5], v[0:1]
	v_accvgpr_read_b32 v10, a188
	v_accvgpr_read_b32 v4, a192
	;; [unrolled: 1-line block ×5, first 2 shown]
	v_mul_f64 v[4:5], v[12:13], v[4:5]
	v_accvgpr_read_b32 v12, a194
	v_accvgpr_read_b32 v11, a189
	;; [unrolled: 1-line block ×3, first 2 shown]
	v_add_f64 v[0:1], v[0:1], v[150:151]
	v_fma_f64 v[4:5], v[10:11], v[12:13], -v[4:5]
	v_add_f64 v[0:1], v[0:1], v[4:5]
	v_accvgpr_read_b32 v10, a196
	v_accvgpr_read_b32 v4, a200
	v_accvgpr_read_b32 v12, a198
	v_accvgpr_read_b32 v13, a199
	v_accvgpr_read_b32 v5, a201
	v_mul_f64 v[4:5], v[12:13], v[4:5]
	v_accvgpr_read_b32 v12, a202
	v_accvgpr_read_b32 v11, a197
	v_accvgpr_read_b32 v13, a203
	v_fma_f64 v[4:5], v[10:11], v[12:13], -v[4:5]
	v_add_f64 v[0:1], v[0:1], v[4:5]
	v_accvgpr_read_b32 v10, a204
	v_accvgpr_read_b32 v4, a212
	v_accvgpr_read_b32 v12, a206
	v_accvgpr_read_b32 v13, a207
	v_accvgpr_read_b32 v5, a213
	v_mul_f64 v[4:5], v[12:13], v[4:5]
	v_accvgpr_read_b32 v12, a216
	v_accvgpr_read_b32 v11, a205
	v_accvgpr_read_b32 v13, a217
	v_fma_f64 v[4:5], v[10:11], v[12:13], -v[4:5]
	v_add_f64 v[0:1], v[0:1], v[4:5]
	v_accvgpr_read_b32 v10, a208
	v_accvgpr_read_b32 v4, a214
	v_accvgpr_read_b32 v12, a210
	v_accvgpr_read_b32 v13, a211
	v_accvgpr_read_b32 v5, a215
	v_mul_f64 v[4:5], v[12:13], v[4:5]
	v_accvgpr_read_b32 v12, a218
	v_accvgpr_read_b32 v11, a209
	v_accvgpr_read_b32 v13, a219
	v_fma_f64 v[4:5], v[10:11], v[12:13], -v[4:5]
	v_add_f64 v[0:1], v[0:1], v[4:5]
	v_accvgpr_read_b32 v10, a220
	v_accvgpr_read_b32 v4, a224
	v_accvgpr_read_b32 v12, a222
	v_accvgpr_read_b32 v13, a223
	v_accvgpr_read_b32 v5, a225
	v_mul_f64 v[4:5], v[12:13], v[4:5]
	v_accvgpr_read_b32 v12, a226
	v_accvgpr_read_b32 v11, a221
	v_accvgpr_read_b32 v13, a227
	v_fma_f64 v[4:5], v[10:11], v[12:13], -v[4:5]
	v_accvgpr_read_b32 v10, a228
	v_accvgpr_read_b32 v12, a230
	;; [unrolled: 1-line block ×3, first 2 shown]
	v_add_f64 v[0:1], v[0:1], v[4:5]
	v_accvgpr_read_b32 v11, a229
	v_mul_f64 v[4:5], v[12:13], v[240:241]
	v_fma_f64 v[4:5], v[10:11], v[30:31], -v[4:5]
	v_accvgpr_read_b32 v10, a232
	v_add_f64 v[0:1], v[0:1], v[4:5]
	v_mul_f64 v[4:5], v[130:131], v[234:235]
	v_accvgpr_read_b32 v11, a233
	v_fma_f64 v[4:5], v[128:129], v[10:11], -v[4:5]
	v_add_f64 v[0:1], v[0:1], v[4:5]
	v_mul_f64 v[4:5], v[126:127], v[132:133]
	v_fma_f64 v[4:5], v[124:125], v[156:157], -v[4:5]
	v_add_f64 v[0:1], v[0:1], v[4:5]
	v_mul_f64 v[4:5], v[36:37], v[254:255]
	;; [unrolled: 3-line block ×22, first 2 shown]
	v_fma_f64 v[4:5], v[114:115], v[246:247], -v[4:5]
	v_add_f64 v[0:1], v[0:1], v[4:5]
	s_waitcnt vmcnt(2)
	v_add_f64 v[0:1], v[8:9], -v[0:1]
	s_waitcnt vmcnt(0)
	v_add_f64 v[2:3], v[250:251], -v[2:3]
	buffer_store_dword v1, off, s[0:3], 0 offset:52
	buffer_store_dword v0, off, s[0:3], 0 offset:48
	;; [unrolled: 1-line block ×4, first 2 shown]
	v_accvgpr_read_b32 v0, a185
	v_cmp_lt_u32_e32 vcc, 1, v0
	s_and_saveexec_b64 s[4:5], vcc
	s_cbranch_execz .LBB125_395
; %bb.394:
	v_accvgpr_read_b32 v3, a184
	buffer_load_dword v0, v3, s[0:3], 0 offen
	buffer_load_dword v1, v3, s[0:3], 0 offen offset:4
	buffer_load_dword v2, v3, s[0:3], 0 offen offset:8
	s_nop 0
	buffer_load_dword v3, v3, s[0:3], 0 offen offset:12
	v_accvgpr_read_b32 v4, a186
	buffer_store_dword v252, off, s[0:3], 0 offset:32
	buffer_store_dword v252, off, s[0:3], 0 offset:36
	;; [unrolled: 1-line block ×4, first 2 shown]
	s_waitcnt vmcnt(4)
	ds_write_b128 v4, v[0:3]
.LBB125_395:
	s_or_b64 exec, exec, s[4:5]
	s_waitcnt lgkmcnt(0)
	; wave barrier
	s_waitcnt lgkmcnt(0)
	buffer_load_dword v140, off, s[0:3], 0 offset:48
	buffer_load_dword v141, off, s[0:3], 0 offset:52
	;; [unrolled: 1-line block ×36, first 2 shown]
	ds_read_b128 v[34:37], v252 offset:1024
	ds_read_b128 v[30:33], v252 offset:1040
	;; [unrolled: 1-line block ×9, first 2 shown]
	buffer_load_dword v83, off, s[0:3], 0 offset:220
	buffer_load_dword v82, off, s[0:3], 0 offset:216
	;; [unrolled: 1-line block ×19, first 2 shown]
	s_waitcnt vmcnt(51) lgkmcnt(8)
	v_mul_f64 v[2:3], v[34:35], v[0:1]
	v_fmac_f64_e32 v[2:3], v[36:37], v[140:141]
	v_add_f64 v[2:3], v[2:3], 0
	v_mul_f64 v[0:1], v[36:37], v[0:1]
	s_waitcnt vmcnt(47) lgkmcnt(7)
	v_mul_f64 v[4:5], v[30:31], v[138:139]
	v_fmac_f64_e32 v[4:5], v[32:33], v[64:65]
	s_waitcnt vmcnt(45) lgkmcnt(6)
	v_mul_f64 v[6:7], v[26:27], v[66:67]
	v_add_f64 v[2:3], v[2:3], v[4:5]
	s_waitcnt vmcnt(43) lgkmcnt(4)
	v_mul_f64 v[38:39], v[18:19], v[232:233]
	v_fma_f64 v[0:1], v[34:35], v[140:141], -v[0:1]
	s_waitcnt vmcnt(41)
	v_fmac_f64_e32 v[38:39], v[20:21], v[238:239]
	v_accvgpr_write_b32 a239, v1
	s_waitcnt vmcnt(39)
	v_mul_f64 v[8:9], v[22:23], v[10:11]
	v_accvgpr_write_b32 a238, v0
	s_waitcnt vmcnt(37) lgkmcnt(2)
	v_mul_f64 v[42:43], v[60:61], v[234:235]
	s_waitcnt vmcnt(35)
	v_fmac_f64_e32 v[42:43], v[62:63], v[228:229]
	s_waitcnt vmcnt(33)
	v_mul_f64 v[40:41], v[14:15], v[48:49]
	s_waitcnt vmcnt(31) lgkmcnt(1)
	v_mul_f64 v[44:45], v[242:243], v[12:13]
	s_waitcnt vmcnt(29)
	v_fmac_f64_e32 v[6:7], v[28:29], v[70:71]
	v_add_f64 v[2:3], v[2:3], v[6:7]
	s_waitcnt vmcnt(27)
	v_fmac_f64_e32 v[8:9], v[24:25], v[68:69]
	v_add_f64 v[2:3], v[2:3], v[8:9]
	buffer_load_dword v112, off, s[0:3], 0 offset:272
	buffer_load_dword v9, off, s[0:3], 0 offset:268
	;; [unrolled: 1-line block ×61, first 2 shown]
	ds_read_b128 v[134:137], v252 offset:1168
	ds_read_b128 v[150:153], v252 offset:1184
	s_waitcnt vmcnt(62)
	v_fmac_f64_e32 v[40:41], v[16:17], v[50:51]
	v_add_f64 v[2:3], v[2:3], v[38:39]
	v_add_f64 v[2:3], v[2:3], v[40:41]
	v_fmac_f64_e32 v[44:45], v[244:245], v[54:55]
	v_add_f64 v[2:3], v[2:3], v[42:43]
	s_waitcnt lgkmcnt(2)
	v_mul_f64 v[4:5], v[126:127], v[240:241]
	v_add_f64 v[2:3], v[2:3], v[44:45]
	v_fmac_f64_e32 v[4:5], v[128:129], v[250:251]
	ds_read_b128 v[176:179], v252 offset:1200
	ds_read_b128 v[186:189], v252 offset:1216
	v_add_f64 v[2:3], v[2:3], v[4:5]
	s_waitcnt lgkmcnt(3)
	v_mul_f64 v[4:5], v[134:135], v[94:95]
	v_fmac_f64_e32 v[4:5], v[136:137], v[96:97]
	v_add_f64 v[2:3], v[2:3], v[4:5]
	s_waitcnt lgkmcnt(2)
	v_mul_f64 v[4:5], v[150:151], v[82:83]
	v_fmac_f64_e32 v[4:5], v[152:153], v[84:85]
	ds_read_b128 v[190:193], v252 offset:1232
	ds_read_b128 v[202:205], v252 offset:1248
	v_add_f64 v[2:3], v[2:3], v[4:5]
	s_waitcnt lgkmcnt(3)
	v_mul_f64 v[4:5], v[176:177], v[142:143]
	v_fmac_f64_e32 v[4:5], v[178:179], v[148:149]
	v_add_f64 v[2:3], v[2:3], v[4:5]
	s_waitcnt lgkmcnt(2)
	v_mul_f64 v[4:5], v[186:187], v[144:145]
	v_fmac_f64_e32 v[4:5], v[188:189], v[146:147]
	ds_read_b128 v[206:209], v252 offset:1264
	ds_read_b128 v[210:213], v252 offset:1280
	v_add_f64 v[2:3], v[2:3], v[4:5]
	s_waitcnt vmcnt(58) lgkmcnt(3)
	v_mul_f64 v[4:5], v[190:191], v[8:9]
	s_waitcnt vmcnt(56)
	v_fmac_f64_e32 v[4:5], v[192:193], v[184:185]
	v_add_f64 v[2:3], v[2:3], v[4:5]
	s_waitcnt lgkmcnt(2)
	v_mul_f64 v[4:5], v[202:203], v[110:111]
	v_fmac_f64_e32 v[4:5], v[204:205], v[112:113]
	ds_read_b128 v[214:217], v252 offset:1296
	ds_read_b128 v[218:221], v252 offset:1312
	v_add_f64 v[2:3], v[2:3], v[4:5]
	s_waitcnt vmcnt(50) lgkmcnt(3)
	v_mul_f64 v[4:5], v[206:207], v[154:155]
	s_waitcnt vmcnt(48)
	;; [unrolled: 11-line block ×3, first 2 shown]
	v_fmac_f64_e32 v[4:5], v[216:217], v[166:167]
	v_add_f64 v[2:3], v[2:3], v[4:5]
	s_waitcnt lgkmcnt(2)
	v_mul_f64 v[4:5], v[218:219], v[168:169]
	v_fmac_f64_e32 v[4:5], v[220:221], v[170:171]
	ds_read_b128 v[38:41], v252 offset:1360
	v_add_f64 v[2:3], v[2:3], v[4:5]
	s_waitcnt vmcnt(34) lgkmcnt(2)
	v_mul_f64 v[4:5], v[222:223], v[172:173]
	s_waitcnt vmcnt(32)
	v_fmac_f64_e32 v[4:5], v[224:225], v[174:175]
	buffer_load_dword v195, off, s[0:3], 0 offset:524
	buffer_load_dword v194, off, s[0:3], 0 offset:520
	;; [unrolled: 1-line block ×4, first 2 shown]
	ds_read_b128 v[42:45], v252 offset:1376
	v_add_f64 v[2:3], v[2:3], v[4:5]
	s_waitcnt lgkmcnt(2)
	v_mul_f64 v[4:5], v[118:119], v[114:115]
	v_fmac_f64_e32 v[4:5], v[120:121], v[116:117]
	v_add_f64 v[2:3], v[2:3], v[4:5]
	s_waitcnt vmcnt(30) lgkmcnt(1)
	v_mul_f64 v[4:5], v[38:39], v[180:181]
	s_waitcnt vmcnt(28)
	v_fmac_f64_e32 v[4:5], v[40:41], v[182:183]
	v_add_f64 v[2:3], v[2:3], v[4:5]
	s_waitcnt lgkmcnt(0)
	v_mul_f64 v[4:5], v[42:43], v[46:47]
	v_fmac_f64_e32 v[4:5], v[44:45], v[52:53]
	buffer_load_dword v199, off, s[0:3], 0 offset:540
	buffer_load_dword v198, off, s[0:3], 0 offset:536
	ds_read_b128 v[102:105], v252 offset:1392
	buffer_load_dword v201, off, s[0:3], 0 offset:532
	buffer_load_dword v200, off, s[0:3], 0 offset:528
	v_add_f64 v[2:3], v[2:3], v[4:5]
	ds_read_b128 v[72:75], v252 offset:1408
	buffer_load_dword v5, off, s[0:3], 0 offset:556
	buffer_load_dword v4, off, s[0:3], 0 offset:552
	v_mul_f64 v[8:9], v[192:193], v[8:9]
	s_waitcnt vmcnt(0)
	v_pk_mov_b32 v[226:227], v[4:5], v[4:5] op_sel:[0,1]
	buffer_load_dword v5, off, s[0:3], 0 offset:548
	buffer_load_dword v4, off, s[0:3], 0 offset:544
	;; [unrolled: 1-line block ×4, first 2 shown]
	v_accvgpr_write_b32 a192, v226
	v_accvgpr_write_b32 a193, v227
	s_waitcnt vmcnt(2)
	v_pk_mov_b32 v[246:247], v[4:5], v[4:5] op_sel:[0,1]
	s_waitcnt lgkmcnt(1)
	v_mul_f64 v[4:5], v[102:103], v[106:107]
	v_fmac_f64_e32 v[4:5], v[104:105], v[108:109]
	s_waitcnt vmcnt(0)
	v_pk_mov_b32 v[248:249], v[6:7], v[6:7] op_sel:[0,1]
	buffer_load_dword v133, off, s[0:3], 0 offset:564
	buffer_load_dword v132, off, s[0:3], 0 offset:560
	;; [unrolled: 1-line block ×6, first 2 shown]
	v_add_f64 v[2:3], v[2:3], v[4:5]
	buffer_load_dword v0, off, s[0:3], 0 offset:600
	buffer_load_dword v4, off, s[0:3], 0 offset:592
	buffer_load_dword v1, off, s[0:3], 0 offset:604
	ds_read_b128 v[56:59], v252 offset:1424
	buffer_load_dword v5, off, s[0:3], 0 offset:596
	v_accvgpr_write_b32 a194, v246
	v_accvgpr_write_b32 a195, v247
	;; [unrolled: 1-line block ×4, first 2 shown]
	s_waitcnt vmcnt(8)
	v_accvgpr_write_b32 a207, v133
	v_accvgpr_write_b32 a206, v132
	s_waitcnt vmcnt(6)
	v_accvgpr_write_b32 a205, v131
	v_accvgpr_write_b32 a204, v130
	;; [unrolled: 3-line block ×3, first 2 shown]
	s_waitcnt vmcnt(1)
	v_pk_mov_b32 v[34:35], v[0:1], v[0:1] op_sel:[0,1]
	s_waitcnt lgkmcnt(1)
	v_mul_f64 v[0:1], v[72:73], v[90:91]
	v_fmac_f64_e32 v[0:1], v[74:75], v[92:93]
	v_add_f64 v[0:1], v[2:3], v[0:1]
	v_mul_f64 v[2:3], v[32:33], v[138:139]
	ds_read_b128 v[138:141], v252 offset:1440
	v_fma_f64 v[2:3], v[30:31], v[64:65], -v[2:3]
	v_accvgpr_write_b32 a241, v3
	v_accvgpr_write_b32 a240, v2
	s_waitcnt lgkmcnt(1)
	v_mul_f64 v[2:3], v[56:57], v[98:99]
	v_fmac_f64_e32 v[2:3], v[58:59], v[100:101]
	v_add_f64 v[0:1], v[0:1], v[2:3]
	v_mul_f64 v[2:3], v[28:29], v[66:67]
	v_fma_f64 v[230:231], v[26:27], v[70:71], -v[2:3]
	buffer_load_dword v3, off, s[0:3], 0 offset:620
	buffer_load_dword v2, off, s[0:3], 0 offset:616
	s_waitcnt vmcnt(2)
	v_pk_mov_b32 v[36:37], v[4:5], v[4:5] op_sel:[0,1]
	v_mul_f64 v[4:5], v[24:25], v[10:11]
	v_fma_f64 v[236:237], v[22:23], v[68:69], -v[4:5]
	v_mul_f64 v[4:5], v[16:17], v[48:49]
	v_mul_f64 v[16:17], v[62:63], v[234:235]
	v_fma_f64 v[234:235], v[60:61], v[228:229], -v[16:17]
	v_accvgpr_write_b32 a219, v37
	v_accvgpr_write_b32 a218, v36
	;; [unrolled: 1-line block ×4, first 2 shown]
	s_waitcnt vmcnt(0)
	v_pk_mov_b32 v[26:27], v[2:3], v[2:3] op_sel:[0,1]
	buffer_load_dword v3, off, s[0:3], 0 offset:612
	buffer_load_dword v2, off, s[0:3], 0 offset:608
	ds_read_b128 v[64:67], v252 offset:1456
	buffer_load_dword v123, off, s[0:3], 0 offset:636
	buffer_load_dword v122, off, s[0:3], 0 offset:632
	;; [unrolled: 1-line block ×8, first 2 shown]
	ds_read_b128 v[68:71], v252 offset:1472
	v_accvgpr_write_b32 a225, v27
	v_accvgpr_write_b32 a224, v26
	s_waitcnt vmcnt(6)
	v_accvgpr_write_b32 a229, v123
	v_pk_mov_b32 v[30:31], v[2:3], v[2:3] op_sel:[0,1]
	s_waitcnt lgkmcnt(2)
	v_mul_f64 v[2:3], v[138:139], v[78:79]
	v_fmac_f64_e32 v[2:3], v[140:141], v[80:81]
	v_add_f64 v[0:1], v[0:1], v[2:3]
	v_mul_f64 v[2:3], v[20:21], v[232:233]
	v_fma_f64 v[232:233], v[18:19], v[238:239], -v[2:3]
	v_fma_f64 v[238:239], v[14:15], v[50:51], -v[4:5]
	ds_read_b128 v[48:51], v252 offset:1488
	s_waitcnt lgkmcnt(2)
	v_mul_f64 v[2:3], v[64:65], v[86:87]
	v_fmac_f64_e32 v[2:3], v[66:67], v[88:89]
	v_add_f64 v[0:1], v[0:1], v[2:3]
	s_waitcnt lgkmcnt(1)
	v_mul_f64 v[2:3], v[68:69], v[158:159]
	v_fmac_f64_e32 v[2:3], v[70:71], v[76:77]
	v_add_f64 v[0:1], v[0:1], v[2:3]
	;; [unrolled: 4-line block ×3, first 2 shown]
	ds_read_b128 v[0:3], v252 offset:1504
	buffer_load_dword v5, off, s[0:3], 0 offset:668
	buffer_load_dword v4, off, s[0:3], 0 offset:664
	ds_read_b128 v[18:21], v252 offset:1520
	ds_read_b128 v[22:25], v252 offset:1536
	s_waitcnt vmcnt(6)
	v_accvgpr_write_b32 a231, v125
	s_waitcnt lgkmcnt(2)
	v_mul_f64 v[16:17], v[0:1], v[198:199]
	v_fmac_f64_e32 v[16:17], v[2:3], v[200:201]
	v_add_f64 v[14:15], v[14:15], v[16:17]
	v_mul_f64 v[16:17], v[244:245], v[12:13]
	v_fma_f64 v[244:245], v[242:243], v[54:55], -v[16:17]
	s_waitcnt lgkmcnt(1)
	v_mul_f64 v[16:17], v[18:19], v[226:227]
	v_accvgpr_write_b32 a191, v21
	v_fmac_f64_e32 v[16:17], v[20:21], v[246:247]
	v_accvgpr_write_b32 a190, v20
	v_accvgpr_write_b32 a189, v19
	;; [unrolled: 1-line block ×3, first 2 shown]
	ds_read_b128 v[18:21], v252 offset:1552
	v_mul_f64 v[12:13], v[128:129], v[240:241]
	v_fma_f64 v[228:229], v[126:127], v[250:251], -v[12:13]
	v_add_f64 v[12:13], v[14:15], v[16:17]
	s_waitcnt lgkmcnt(1)
	v_mul_f64 v[14:15], v[22:23], v[248:249]
	v_fmac_f64_e32 v[14:15], v[24:25], v[132:133]
	v_add_f64 v[12:13], v[12:13], v[14:15]
	s_waitcnt lgkmcnt(0)
	v_mul_f64 v[14:15], v[18:19], v[130:131]
	v_accvgpr_write_b32 a203, v21
	v_fmac_f64_e32 v[14:15], v[20:21], v[6:7]
	v_accvgpr_write_b32 a202, v20
	v_accvgpr_write_b32 a201, v19
	;; [unrolled: 1-line block ×3, first 2 shown]
	v_mul_f64 v[18:19], v[136:137], v[94:95]
	v_add_f64 v[12:13], v[12:13], v[14:15]
	ds_read_b128 v[14:17], v252 offset:1568
	v_fma_f64 v[134:135], v[134:135], v[96:97], -v[18:19]
	ds_read_b128 v[18:21], v252 offset:1584
	buffer_load_dword v227, off, s[0:3], 0 offset:660
	buffer_load_dword v226, off, s[0:3], 0 offset:656
	buffer_load_dword v6, off, s[0:3], 0 offset:696
	buffer_load_dword v250, off, s[0:3], 0 offset:688
	buffer_load_dword v241, off, s[0:3], 0 offset:684
	buffer_load_dword v240, off, s[0:3], 0 offset:680
	buffer_load_dword v137, off, s[0:3], 0 offset:676
	buffer_load_dword v136, off, s[0:3], 0 offset:672
	buffer_load_dword v7, off, s[0:3], 0 offset:700
	ds_read_b128 v[130:133], v252 offset:1600
	ds_read_b128 v[126:129], v252 offset:1616
	v_accvgpr_write_b32 a199, v25
	buffer_load_dword v251, off, s[0:3], 0 offset:692
	v_accvgpr_write_b32 a198, v24
	v_accvgpr_write_b32 a197, v23
	;; [unrolled: 1-line block ×3, first 2 shown]
	s_waitcnt lgkmcnt(3)
	v_mul_f64 v[22:23], v[14:15], v[34:35]
	v_mul_f64 v[24:25], v[178:179], v[142:143]
	s_waitcnt lgkmcnt(1)
	v_mul_f64 v[32:33], v[130:131], v[122:123]
	v_fmac_f64_e32 v[22:23], v[16:17], v[36:37]
	v_fma_f64 v[148:149], v[176:177], v[148:149], -v[24:25]
	v_mul_f64 v[24:25], v[18:19], v[26:27]
	v_mul_f64 v[26:27], v[188:189], v[144:145]
	v_accvgpr_write_b32 a228, v122
	v_fmac_f64_e32 v[32:33], v[132:133], v[124:125]
	v_accvgpr_write_b32 a230, v124
	ds_read_b128 v[122:125], v252 offset:1632
	buffer_load_dword v243, off, s[0:3], 0 offset:716
	buffer_load_dword v242, off, s[0:3], 0 offset:712
	;; [unrolled: 1-line block ×4, first 2 shown]
	v_add_f64 v[22:23], v[12:13], v[22:23]
	v_mul_f64 v[12:13], v[152:153], v[82:83]
	v_fma_f64 v[82:83], v[186:187], v[146:147], -v[26:27]
	buffer_load_dword v147, off, s[0:3], 0 offset:732
	buffer_load_dword v146, off, s[0:3], 0 offset:728
	;; [unrolled: 1-line block ×4, first 2 shown]
	v_mul_f64 v[36:37], v[208:209], v[154:155]
	v_fma_f64 v[150:151], v[150:151], v[84:85], -v[12:13]
	v_fma_f64 v[84:85], v[190:191], v[184:185], -v[8:9]
	v_fma_f64 v[94:95], v[206:207], v[156:157], -v[36:37]
	buffer_load_dword v185, off, s[0:3], 0 offset:764
	buffer_load_dword v184, off, s[0:3], 0 offset:760
	;; [unrolled: 1-line block ×8, first 2 shown]
	v_fmac_f64_e32 v[24:25], v[20:21], v[30:31]
	v_accvgpr_write_b32 a227, v31
	v_accvgpr_write_b32 a226, v30
	v_add_f64 v[30:31], v[22:23], v[24:25]
	s_waitcnt vmcnt(30) lgkmcnt(1)
	v_mul_f64 v[8:9], v[126:127], v[10:11]
	v_add_f64 v[34:35], v[30:31], v[32:33]
	s_waitcnt vmcnt(28)
	v_fmac_f64_e32 v[8:9], v[128:129], v[28:29]
	v_add_f64 v[34:35], v[34:35], v[8:9]
	v_mul_f64 v[8:9], v[204:205], v[110:111]
	v_mul_f64 v[36:37], v[212:213], v[160:161]
	;; [unrolled: 1-line block ×3, first 2 shown]
	v_fma_f64 v[22:23], v[202:203], v[112:113], -v[8:9]
	v_fma_f64 v[96:97], v[210:211], v[162:163], -v[36:37]
	;; [unrolled: 1-line block ×3, first 2 shown]
	buffer_load_dword v161, off, s[0:3], 0 offset:780
	buffer_load_dword v160, off, s[0:3], 0 offset:776
	buffer_load_dword v167, off, s[0:3], 0 offset:772
	buffer_load_dword v166, off, s[0:3], 0 offset:768
	buffer_load_dword v162, off, s[0:3], 0 offset:792
	buffer_load_dword v164, off, s[0:3], 0 offset:784
	buffer_load_dword v163, off, s[0:3], 0 offset:796
	buffer_load_dword v165, off, s[0:3], 0 offset:788
	v_mul_f64 v[54:55], v[220:221], v[168:169]
	v_accvgpr_write_b32 a223, v21
	v_fma_f64 v[218:219], v[218:219], v[170:171], -v[54:55]
	v_mul_f64 v[54:55], v[224:225], v[172:173]
	v_accvgpr_write_b32 a222, v20
	v_accvgpr_write_b32 a221, v19
	;; [unrolled: 1-line block ×3, first 2 shown]
	v_fma_f64 v[20:21], v[222:223], v[174:175], -v[54:55]
	buffer_load_dword v169, off, s[0:3], 0 offset:828
	buffer_load_dword v171, off, s[0:3], 0 offset:812
	buffer_load_dword v170, off, s[0:3], 0 offset:808
	buffer_load_dword v177, off, s[0:3], 0 offset:804
	buffer_load_dword v176, off, s[0:3], 0 offset:800
	buffer_load_dword v168, off, s[0:3], 0 offset:824
	buffer_load_dword v175, off, s[0:3], 0 offset:820
	buffer_load_dword v174, off, s[0:3], 0 offset:816
	buffer_load_dword v173, off, s[0:3], 0 offset:844
	buffer_load_dword v172, off, s[0:3], 0 offset:840
	buffer_load_dword v179, off, s[0:3], 0 offset:836
	buffer_load_dword v178, off, s[0:3], 0 offset:832
	v_accvgpr_write_b32 a215, v17
	v_accvgpr_write_b32 a214, v16
	;; [unrolled: 1-line block ×4, first 2 shown]
	v_mul_f64 v[16:17], v[40:41], v[180:181]
	v_fma_f64 v[16:17], v[38:39], v[182:183], -v[16:17]
	buffer_load_dword v183, off, s[0:3], 0 offset:860
	buffer_load_dword v182, off, s[0:3], 0 offset:856
	;; [unrolled: 1-line block ×12, first 2 shown]
	ds_read_b128 v[142:145], v252 offset:1648
	v_mul_f64 v[38:39], v[44:45], v[46:47]
	v_fma_f64 v[14:15], v[42:43], v[52:53], -v[38:39]
	ds_read_b128 v[38:41], v252 offset:1664
	v_mul_f64 v[42:43], v[104:105], v[106:107]
	s_waitcnt vmcnt(58) lgkmcnt(2)
	v_mul_f64 v[36:37], v[122:123], v[4:5]
	v_fma_f64 v[12:13], v[102:103], v[108:109], -v[42:43]
	ds_read_b128 v[42:45], v252 offset:1680
	ds_read_b128 v[30:33], v252 offset:1696
	v_mul_f64 v[54:55], v[120:121], v[114:115]
	v_fma_f64 v[18:19], v[118:119], v[116:117], -v[54:55]
	v_accvgpr_write_b32 a233, v11
	v_accvgpr_write_b32 a232, v10
	;; [unrolled: 1-line block ×6, first 2 shown]
	v_mul_f64 v[52:53], v[74:75], v[90:91]
	s_waitcnt vmcnt(56)
	v_fmac_f64_e32 v[36:37], v[124:125], v[226:227]
	s_waitcnt vmcnt(52) lgkmcnt(3)
	v_mul_f64 v[60:61], v[142:143], v[240:241]
	v_add_f64 v[54:55], v[34:35], v[36:37]
	s_waitcnt vmcnt(50)
	v_fmac_f64_e32 v[60:61], v[144:145], v[136:137]
	ds_read_b128 v[34:37], v252 offset:1712
	v_add_f64 v[24:25], v[54:55], v[60:61]
	s_waitcnt vmcnt(49) lgkmcnt(3)
	v_mul_f64 v[46:47], v[38:39], v[6:7]
	v_mul_f64 v[54:55], v[58:59], v[98:99]
	s_waitcnt vmcnt(48)
	v_fmac_f64_e32 v[46:47], v[40:41], v[250:251]
	v_fma_f64 v[10:11], v[56:57], v[100:101], -v[54:55]
	ds_read_b128 v[54:57], v252 offset:1728
	v_add_f64 v[24:25], v[24:25], v[46:47]
	v_pk_mov_b32 v[28:29], v[6:7], v[6:7] op_sel:[0,1]
	v_mul_f64 v[6:7], v[50:51], v[194:195]
	ds_read_b128 v[118:121], v252 offset:1792
	v_mul_f64 v[2:3], v[2:3], v[198:199]
	v_fma_f64 v[224:225], v[72:73], v[92:93], -v[52:53]
	s_waitcnt vmcnt(46) lgkmcnt(4)
	v_mul_f64 v[46:47], v[42:43], v[242:243]
	s_waitcnt vmcnt(44)
	v_fmac_f64_e32 v[46:47], v[44:45], v[246:247]
	v_add_f64 v[24:25], v[24:25], v[46:47]
	s_waitcnt vmcnt(42) lgkmcnt(3)
	v_mul_f64 v[60:61], v[30:31], v[146:147]
	v_fma_f64 v[46:47], v[48:49], v[196:197], -v[6:7]
	s_waitcnt vmcnt(40)
	v_fmac_f64_e32 v[60:61], v[32:33], v[152:153]
	s_waitcnt vmcnt(36) lgkmcnt(2)
	v_mul_f64 v[26:27], v[34:35], v[156:157]
	v_add_f64 v[24:25], v[24:25], v[60:61]
	s_waitcnt vmcnt(34)
	v_fmac_f64_e32 v[26:27], v[36:37], v[248:249]
	v_add_f64 v[24:25], v[24:25], v[26:27]
	s_waitcnt lgkmcnt(1)
	v_mul_f64 v[26:27], v[54:55], v[184:185]
	s_waitcnt vmcnt(32)
	v_fmac_f64_e32 v[26:27], v[56:57], v[154:155]
	ds_read_b128 v[58:61], v252 offset:1744
	v_add_f64 v[24:25], v[24:25], v[26:27]
	v_mul_f64 v[26:27], v[140:141], v[78:79]
	v_fma_f64 v[26:27], v[138:139], v[80:81], -v[26:27]
	ds_read_b128 v[138:141], v252 offset:1760
	ds_read_b128 v[4:7], v252 offset:1824
	;; [unrolled: 1-line block ×3, first 2 shown]
	s_waitcnt vmcnt(30) lgkmcnt(3)
	v_mul_f64 v[62:63], v[58:59], v[160:161]
	v_accvgpr_read_b32 v48, a240
	s_waitcnt vmcnt(28)
	v_fmac_f64_e32 v[62:63], v[60:61], v[166:167]
	v_add_f64 v[24:25], v[24:25], v[62:63]
	v_mul_f64 v[62:63], v[66:67], v[86:87]
	s_waitcnt vmcnt(25) lgkmcnt(2)
	v_mul_f64 v[66:67], v[138:139], v[162:163]
	v_fma_f64 v[8:9], v[64:65], v[88:89], -v[62:63]
	ds_read_b128 v[86:89], v252 offset:1856
	ds_read_b128 v[62:65], v252 offset:1776
	s_waitcnt vmcnt(24)
	v_fmac_f64_e32 v[66:67], v[140:141], v[164:165]
	v_add_f64 v[24:25], v[24:25], v[66:67]
	v_mul_f64 v[66:67], v[70:71], v[158:159]
	v_fma_f64 v[70:71], v[68:69], v[76:77], -v[66:67]
	ds_read_b128 v[74:77], v252 offset:1808
	buffer_load_dword v195, off, s[0:3], 0 offset:908
	buffer_load_dword v194, off, s[0:3], 0 offset:904
	;; [unrolled: 1-line block ×4, first 2 shown]
	s_waitcnt vmcnt(25) lgkmcnt(1)
	v_mul_f64 v[66:67], v[62:63], v[170:171]
	s_waitcnt vmcnt(23)
	v_fmac_f64_e32 v[66:67], v[64:65], v[176:177]
	v_add_f64 v[24:25], v[24:25], v[66:67]
	s_waitcnt vmcnt(22)
	v_mul_f64 v[66:67], v[118:119], v[168:169]
	s_waitcnt vmcnt(20)
	v_fmac_f64_e32 v[66:67], v[120:121], v[174:175]
	v_add_f64 v[66:67], v[24:25], v[66:67]
	v_fma_f64 v[24:25], v[0:1], v[200:201], -v[2:3]
	ds_read_b128 v[90:93], v252 offset:1872
	buffer_load_dword v198, off, s[0:3], 0 offset:920
	buffer_load_dword v199, off, s[0:3], 0 offset:924
	;; [unrolled: 1-line block ×4, first 2 shown]
	s_waitcnt vmcnt(22) lgkmcnt(1)
	v_mul_f64 v[68:69], v[74:75], v[172:173]
	s_waitcnt vmcnt(20)
	v_fmac_f64_e32 v[68:69], v[76:77], v[178:179]
	s_waitcnt vmcnt(18)
	v_mul_f64 v[2:3], v[4:5], v[182:183]
	v_add_f64 v[66:67], v[66:67], v[68:69]
	s_waitcnt vmcnt(16)
	v_fmac_f64_e32 v[2:3], v[6:7], v[186:187]
	v_add_f64 v[2:3], v[66:67], v[2:3]
	s_waitcnt vmcnt(13)
	v_mul_f64 v[66:67], v[78:79], v[190:191]
	s_waitcnt vmcnt(11)
	v_fmac_f64_e32 v[66:67], v[80:81], v[192:193]
	v_add_f64 v[2:3], v[2:3], v[66:67]
	s_waitcnt vmcnt(9)
	v_mul_f64 v[66:67], v[86:87], v[180:181]
	s_waitcnt vmcnt(8)
	v_fmac_f64_e32 v[66:67], v[88:89], v[188:189]
	v_add_f64 v[2:3], v[2:3], v[66:67]
	v_accvgpr_read_b32 v49, a241
	v_mul_f64 v[6:7], v[6:7], v[182:183]
	v_fma_f64 v[4:5], v[4:5], v[186:187], -v[6:7]
	s_waitcnt vmcnt(6) lgkmcnt(0)
	v_mul_f64 v[66:67], v[90:91], v[194:195]
	s_waitcnt vmcnt(4)
	v_fmac_f64_e32 v[66:67], v[92:93], v[196:197]
	v_add_f64 v[2:3], v[2:3], v[66:67]
	ds_read_b128 v[66:69], v252 offset:1888
	s_waitcnt vmcnt(2) lgkmcnt(0)
	v_mul_f64 v[98:99], v[66:67], v[198:199]
	s_waitcnt vmcnt(0)
	v_fmac_f64_e32 v[98:99], v[68:69], v[200:201]
	v_add_f64 v[102:103], v[2:3], v[98:99]
	buffer_load_dword v3, off, s[0:3], 0 offset:940
	buffer_load_dword v2, off, s[0:3], 0 offset:936
	;; [unrolled: 1-line block ×4, first 2 shown]
	ds_read_b128 v[98:101], v252 offset:1904
	buffer_load_dword v206, off, s[0:3], 0 offset:952
	buffer_load_dword v207, off, s[0:3], 0 offset:956
	buffer_load_dword v208, off, s[0:3], 0 offset:944
	buffer_load_dword v209, off, s[0:3], 0 offset:948
	s_waitcnt vmcnt(6) lgkmcnt(0)
	v_mul_f64 v[104:105], v[98:99], v[2:3]
	v_mul_f64 v[2:3], v[100:101], v[2:3]
	s_waitcnt vmcnt(4)
	v_fmac_f64_e32 v[104:105], v[100:101], v[204:205]
	v_add_f64 v[106:107], v[102:103], v[104:105]
	ds_read_b128 v[102:105], v252 offset:1920
	buffer_load_dword v211, off, s[0:3], 0 offset:972
	buffer_load_dword v210, off, s[0:3], 0 offset:968
	;; [unrolled: 1-line block ×4, first 2 shown]
	v_fma_f64 v[2:3], v[98:99], v[204:205], -v[2:3]
	s_waitcnt vmcnt(6) lgkmcnt(0)
	v_mul_f64 v[108:109], v[102:103], v[206:207]
	s_waitcnt vmcnt(4)
	v_fmac_f64_e32 v[108:109], v[104:105], v[208:209]
	v_add_f64 v[110:111], v[106:107], v[108:109]
	ds_read_b128 v[106:109], v252 offset:1936
	buffer_load_dword v214, off, s[0:3], 0 offset:984
	buffer_load_dword v215, off, s[0:3], 0 offset:988
	;; [unrolled: 1-line block ×4, first 2 shown]
	s_waitcnt vmcnt(6) lgkmcnt(0)
	v_mul_f64 v[112:113], v[106:107], v[210:211]
	s_waitcnt vmcnt(4)
	v_fmac_f64_e32 v[112:113], v[108:109], v[212:213]
	v_add_f64 v[114:115], v[110:111], v[112:113]
	ds_read_b128 v[110:113], v252 offset:1952
	buffer_load_dword v221, off, s[0:3], 0 offset:1004
	buffer_load_dword v220, off, s[0:3], 0 offset:1000
	;; [unrolled: 1-line block ×4, first 2 shown]
	s_waitcnt vmcnt(6) lgkmcnt(0)
	v_mul_f64 v[116:117], v[110:111], v[214:215]
	s_waitcnt vmcnt(4)
	v_fmac_f64_e32 v[116:117], v[112:113], v[216:217]
	v_add_f64 v[0:1], v[114:115], v[116:117]
	ds_read_b128 v[114:117], v252 offset:1968
	s_waitcnt vmcnt(2) lgkmcnt(0)
	v_mul_f64 v[254:255], v[114:115], v[220:221]
	s_waitcnt vmcnt(0)
	v_fmac_f64_e32 v[254:255], v[116:117], v[222:223]
	v_add_f64 v[254:255], v[0:1], v[254:255]
	v_accvgpr_read_b32 v0, a238
	v_accvgpr_read_b32 v1, a239
	v_add_f64 v[0:1], v[0:1], 0
	v_add_f64 v[0:1], v[0:1], v[48:49]
	;; [unrolled: 1-line block ×27, first 2 shown]
	buffer_load_dword v230, off, s[0:3], 0 offset:32
	buffer_load_dword v231, off, s[0:3], 0 offset:36
	;; [unrolled: 1-line block ×4, first 2 shown]
	v_add_f64 v[0:1], v[0:1], v[8:9]
	v_accvgpr_read_b32 v10, a188
	v_accvgpr_read_b32 v8, a192
	;; [unrolled: 1-line block ×5, first 2 shown]
	v_add_f64 v[232:233], v[0:1], v[70:71]
	v_mul_f64 v[8:9], v[12:13], v[8:9]
	v_accvgpr_read_b32 v12, a194
	v_add_f64 v[0:1], v[232:233], v[46:47]
	v_accvgpr_read_b32 v11, a189
	v_accvgpr_read_b32 v13, a195
	v_add_f64 v[0:1], v[0:1], v[24:25]
	v_fma_f64 v[8:9], v[10:11], v[12:13], -v[8:9]
	v_add_f64 v[0:1], v[0:1], v[8:9]
	v_accvgpr_read_b32 v10, a196
	v_accvgpr_read_b32 v8, a210
	v_accvgpr_read_b32 v12, a198
	v_accvgpr_read_b32 v13, a199
	v_accvgpr_read_b32 v9, a211
	v_mul_f64 v[8:9], v[12:13], v[8:9]
	v_accvgpr_read_b32 v12, a206
	v_accvgpr_read_b32 v11, a197
	v_accvgpr_read_b32 v13, a207
	v_fma_f64 v[8:9], v[10:11], v[12:13], -v[8:9]
	v_add_f64 v[0:1], v[0:1], v[8:9]
	v_accvgpr_read_b32 v10, a200
	v_accvgpr_read_b32 v8, a204
	v_accvgpr_read_b32 v12, a202
	v_accvgpr_read_b32 v13, a203
	v_accvgpr_read_b32 v9, a205
	v_mul_f64 v[8:9], v[12:13], v[8:9]
	v_accvgpr_read_b32 v12, a208
	v_accvgpr_read_b32 v11, a201
	v_accvgpr_read_b32 v13, a209
	;; [unrolled: 11-line block ×4, first 2 shown]
	v_fma_f64 v[8:9], v[10:11], v[12:13], -v[8:9]
	v_add_f64 v[0:1], v[0:1], v[8:9]
	v_accvgpr_read_b32 v8, a228
	v_accvgpr_read_b32 v9, a229
	v_accvgpr_read_b32 v10, a230
	v_mul_f64 v[8:9], v[132:133], v[8:9]
	v_accvgpr_read_b32 v11, a231
	v_fma_f64 v[8:9], v[130:131], v[10:11], -v[8:9]
	v_add_f64 v[0:1], v[0:1], v[8:9]
	v_accvgpr_read_b32 v8, a232
	v_accvgpr_read_b32 v9, a233
	;; [unrolled: 1-line block ×3, first 2 shown]
	v_mul_f64 v[8:9], v[128:129], v[8:9]
	v_accvgpr_read_b32 v11, a235
	v_fma_f64 v[8:9], v[126:127], v[10:11], -v[8:9]
	v_add_f64 v[0:1], v[0:1], v[8:9]
	v_accvgpr_read_b32 v8, a236
	v_accvgpr_read_b32 v9, a237
	v_mul_f64 v[8:9], v[124:125], v[8:9]
	v_fma_f64 v[8:9], v[122:123], v[226:227], -v[8:9]
	v_add_f64 v[0:1], v[0:1], v[8:9]
	v_mul_f64 v[8:9], v[144:145], v[240:241]
	v_fma_f64 v[8:9], v[142:143], v[136:137], -v[8:9]
	v_add_f64 v[0:1], v[0:1], v[8:9]
	v_mul_f64 v[8:9], v[40:41], v[28:29]
	v_fma_f64 v[8:9], v[38:39], v[250:251], -v[8:9]
	v_add_f64 v[0:1], v[0:1], v[8:9]
	v_mul_f64 v[8:9], v[44:45], v[242:243]
	v_fma_f64 v[8:9], v[42:43], v[246:247], -v[8:9]
	v_add_f64 v[0:1], v[0:1], v[8:9]
	v_mul_f64 v[8:9], v[32:33], v[146:147]
	v_fma_f64 v[8:9], v[30:31], v[152:153], -v[8:9]
	v_add_f64 v[0:1], v[0:1], v[8:9]
	v_mul_f64 v[8:9], v[36:37], v[156:157]
	v_fma_f64 v[8:9], v[34:35], v[248:249], -v[8:9]
	v_add_f64 v[0:1], v[0:1], v[8:9]
	v_mul_f64 v[8:9], v[56:57], v[184:185]
	v_fma_f64 v[8:9], v[54:55], v[154:155], -v[8:9]
	v_add_f64 v[0:1], v[0:1], v[8:9]
	v_mul_f64 v[8:9], v[60:61], v[160:161]
	v_fma_f64 v[8:9], v[58:59], v[166:167], -v[8:9]
	v_add_f64 v[0:1], v[0:1], v[8:9]
	v_mul_f64 v[8:9], v[140:141], v[162:163]
	v_fma_f64 v[8:9], v[138:139], v[164:165], -v[8:9]
	v_add_f64 v[0:1], v[0:1], v[8:9]
	v_mul_f64 v[8:9], v[64:65], v[170:171]
	v_fma_f64 v[8:9], v[62:63], v[176:177], -v[8:9]
	v_add_f64 v[0:1], v[0:1], v[8:9]
	v_mul_f64 v[8:9], v[120:121], v[168:169]
	v_fma_f64 v[8:9], v[118:119], v[174:175], -v[8:9]
	v_add_f64 v[0:1], v[0:1], v[8:9]
	v_mul_f64 v[8:9], v[76:77], v[172:173]
	v_fma_f64 v[8:9], v[74:75], v[178:179], -v[8:9]
	v_add_f64 v[0:1], v[0:1], v[8:9]
	v_add_f64 v[0:1], v[0:1], v[4:5]
	v_mul_f64 v[4:5], v[80:81], v[190:191]
	v_fma_f64 v[4:5], v[78:79], v[192:193], -v[4:5]
	v_add_f64 v[0:1], v[0:1], v[4:5]
	v_mul_f64 v[4:5], v[88:89], v[180:181]
	v_fma_f64 v[4:5], v[86:87], v[188:189], -v[4:5]
	v_add_f64 v[0:1], v[0:1], v[4:5]
	v_mul_f64 v[4:5], v[92:93], v[194:195]
	v_fma_f64 v[4:5], v[90:91], v[196:197], -v[4:5]
	v_add_f64 v[0:1], v[0:1], v[4:5]
	v_mul_f64 v[4:5], v[68:69], v[198:199]
	v_fma_f64 v[4:5], v[66:67], v[200:201], -v[4:5]
	v_add_f64 v[0:1], v[0:1], v[4:5]
	v_add_f64 v[0:1], v[0:1], v[2:3]
	v_mul_f64 v[2:3], v[104:105], v[206:207]
	v_fma_f64 v[2:3], v[102:103], v[208:209], -v[2:3]
	v_add_f64 v[0:1], v[0:1], v[2:3]
	v_mul_f64 v[2:3], v[108:109], v[210:211]
	v_fma_f64 v[2:3], v[106:107], v[212:213], -v[2:3]
	;; [unrolled: 3-line block ×4, first 2 shown]
	v_add_f64 v[0:1], v[0:1], v[2:3]
	s_waitcnt vmcnt(2)
	v_add_f64 v[0:1], v[230:231], -v[0:1]
	s_waitcnt vmcnt(0)
	v_add_f64 v[2:3], v[228:229], -v[254:255]
	buffer_store_dword v1, off, s[0:3], 0 offset:36
	buffer_store_dword v0, off, s[0:3], 0 offset:32
	;; [unrolled: 1-line block ×4, first 2 shown]
	v_accvgpr_read_b32 v0, a185
	v_cmp_ne_u32_e32 vcc, 0, v0
	s_and_saveexec_b64 s[4:5], vcc
	s_cbranch_execz .LBB125_397
; %bb.396:
	buffer_load_dword v0, off, s[0:3], 0 offset:16
	buffer_load_dword v1, off, s[0:3], 0 offset:20
	;; [unrolled: 1-line block ×4, first 2 shown]
	v_mov_b32_e32 v4, 0
	v_accvgpr_read_b32 v5, a186
	buffer_store_dword v4, off, s[0:3], 0 offset:16
	buffer_store_dword v4, off, s[0:3], 0 offset:20
	;; [unrolled: 1-line block ×4, first 2 shown]
	s_waitcnt vmcnt(4)
	ds_write_b128 v5, v[0:3]
.LBB125_397:
	s_or_b64 exec, exec, s[4:5]
	s_waitcnt lgkmcnt(0)
	; wave barrier
	s_waitcnt lgkmcnt(0)
	buffer_load_dword v2, off, s[0:3], 0 offset:32
	buffer_load_dword v3, off, s[0:3], 0 offset:36
	;; [unrolled: 1-line block ×36, first 2 shown]
	v_mov_b32_e32 v216, 0
	buffer_load_dword v253, off, s[0:3], 0 offset:204
	buffer_load_dword v252, off, s[0:3], 0 offset:200
	;; [unrolled: 1-line block ×18, first 2 shown]
	ds_read_b128 v[118:121], v216 offset:1008
	ds_read_b128 v[122:125], v216 offset:1024
	;; [unrolled: 1-line block ×9, first 2 shown]
	s_and_b64 vcc, exec, s[18:19]
	s_waitcnt vmcnt(50) lgkmcnt(8)
	v_mul_f64 v[4:5], v[118:119], v[190:191]
	v_fmac_f64_e32 v[4:5], v[120:121], v[2:3]
	v_add_f64 v[4:5], v[4:5], 0
	s_waitcnt vmcnt(46) lgkmcnt(7)
	v_mul_f64 v[6:7], v[122:123], v[32:33]
	v_fmac_f64_e32 v[6:7], v[124:125], v[0:1]
	s_waitcnt vmcnt(44) lgkmcnt(6)
	v_mul_f64 v[8:9], v[126:127], v[22:23]
	v_add_f64 v[4:5], v[4:5], v[6:7]
	s_waitcnt vmcnt(42) lgkmcnt(4)
	v_mul_f64 v[14:15], v[134:135], v[36:37]
	s_waitcnt vmcnt(40)
	v_fmac_f64_e32 v[14:15], v[136:137], v[234:235]
	s_waitcnt vmcnt(38)
	v_mul_f64 v[10:11], v[130:131], v[232:233]
	s_waitcnt vmcnt(36) lgkmcnt(2)
	v_mul_f64 v[18:19], v[154:155], v[238:239]
	s_waitcnt vmcnt(34)
	v_fmac_f64_e32 v[18:19], v[156:157], v[242:243]
	s_waitcnt vmcnt(32)
	v_mul_f64 v[16:17], v[150:151], v[236:237]
	s_waitcnt vmcnt(30) lgkmcnt(1)
	v_mul_f64 v[20:21], v[158:159], v[240:241]
	s_waitcnt vmcnt(28)
	v_fmac_f64_e32 v[8:9], v[128:129], v[34:35]
	v_add_f64 v[4:5], v[4:5], v[8:9]
	s_waitcnt vmcnt(26)
	v_fmac_f64_e32 v[10:11], v[132:133], v[38:39]
	v_add_f64 v[4:5], v[4:5], v[10:11]
	s_waitcnt vmcnt(24)
	v_fmac_f64_e32 v[16:17], v[152:153], v[12:13]
	v_add_f64 v[4:5], v[4:5], v[14:15]
	v_add_f64 v[4:5], v[4:5], v[16:17]
	v_add_f64 v[4:5], v[4:5], v[18:19]
	buffer_load_dword v139, off, s[0:3], 0 offset:260
	buffer_load_dword v138, off, s[0:3], 0 offset:256
	;; [unrolled: 1-line block ×62, first 2 shown]
	ds_read_b128 v[166:169], v216 offset:1152
	ds_read_b128 v[170:173], v216 offset:1168
	;; [unrolled: 1-line block ×15, first 2 shown]
	buffer_load_dword v101, off, s[0:3], 0 offset:524
	buffer_load_dword v115, off, s[0:3], 0 offset:508
	;; [unrolled: 1-line block ×8, first 2 shown]
	ds_read_b128 v[48:51], v216 offset:1392
	buffer_load_dword v109, off, s[0:3], 0 offset:540
	buffer_load_dword v108, off, s[0:3], 0 offset:536
	;; [unrolled: 1-line block ×6, first 2 shown]
	s_waitcnt vmcnt(62)
	v_fmac_f64_e32 v[20:21], v[160:161], v[244:245]
	s_waitcnt lgkmcnt(14)
	v_mul_f64 v[6:7], v[162:163], v[116:117]
	v_add_f64 v[4:5], v[4:5], v[20:21]
	v_fmac_f64_e32 v[6:7], v[164:165], v[246:247]
	v_add_f64 v[4:5], v[4:5], v[6:7]
	v_mul_f64 v[6:7], v[166:167], v[40:41]
	v_fmac_f64_e32 v[6:7], v[168:169], v[42:43]
	v_add_f64 v[4:5], v[4:5], v[6:7]
	v_mul_f64 v[6:7], v[170:171], v[252:253]
	v_fmac_f64_e32 v[6:7], v[172:173], v[254:255]
	v_add_f64 v[4:5], v[4:5], v[6:7]
	s_waitcnt lgkmcnt(13)
	v_mul_f64 v[6:7], v[174:175], v[92:93]
	v_fmac_f64_e32 v[6:7], v[176:177], v[94:95]
	v_add_f64 v[4:5], v[4:5], v[6:7]
	s_waitcnt lgkmcnt(12)
	;; [unrolled: 4-line block ×6, first 2 shown]
	v_mul_f64 v[6:7], v[202:203], v[18:19]
	v_fmac_f64_e32 v[6:7], v[204:205], v[52:53]
	v_add_f64 v[4:5], v[4:5], v[6:7]
	s_waitcnt vmcnt(56) lgkmcnt(7)
	v_mul_f64 v[6:7], v[206:207], v[104:105]
	s_waitcnt vmcnt(54)
	v_fmac_f64_e32 v[6:7], v[208:209], v[106:107]
	v_add_f64 v[4:5], v[4:5], v[6:7]
	s_waitcnt lgkmcnt(6)
	v_mul_f64 v[6:7], v[210:211], v[82:83]
	v_fmac_f64_e32 v[6:7], v[212:213], v[86:87]
	v_add_f64 v[4:5], v[4:5], v[6:7]
	s_waitcnt vmcnt(48) lgkmcnt(5)
	v_mul_f64 v[6:7], v[218:219], v[102:103]
	s_waitcnt vmcnt(46)
	v_fmac_f64_e32 v[6:7], v[220:221], v[90:91]
	v_add_f64 v[4:5], v[4:5], v[6:7]
	s_waitcnt lgkmcnt(4)
	;; [unrolled: 9-line block ×3, first 2 shown]
	v_mul_f64 v[6:7], v[24:25], v[74:75]
	v_fmac_f64_e32 v[6:7], v[26:27], v[70:71]
	v_add_f64 v[4:5], v[4:5], v[6:7]
	s_waitcnt vmcnt(32) lgkmcnt(1)
	v_mul_f64 v[6:7], v[28:29], v[58:59]
	s_waitcnt vmcnt(30)
	v_fmac_f64_e32 v[6:7], v[30:31], v[68:69]
	v_add_f64 v[4:5], v[4:5], v[6:7]
	v_mul_f64 v[6:7], v[120:121], v[190:191]
	v_fma_f64 v[2:3], v[118:119], v[2:3], -v[6:7]
	s_waitcnt lgkmcnt(0)
	v_mul_f64 v[6:7], v[48:49], v[64:65]
	v_fmac_f64_e32 v[6:7], v[50:51], v[62:63]
	v_accvgpr_write_b32 a239, v3
	v_add_f64 v[4:5], v[4:5], v[6:7]
	v_mul_f64 v[6:7], v[124:125], v[32:33]
	v_accvgpr_write_b32 a238, v2
	v_fma_f64 v[0:1], v[122:123], v[0:1], -v[6:7]
	v_accvgpr_write_b32 a241, v1
	v_accvgpr_write_b32 a240, v0
	v_mul_f64 v[0:1], v[128:129], v[22:23]
	v_fma_f64 v[0:1], v[126:127], v[34:35], -v[0:1]
	v_accvgpr_write_b32 a243, v1
	v_accvgpr_write_b32 a242, v0
	v_mul_f64 v[14:15], v[132:133], v[232:233]
	v_fma_f64 v[232:233], v[130:131], v[38:39], -v[14:15]
	v_mul_f64 v[120:121], v[160:161], v[240:241]
	v_fma_f64 v[240:241], v[158:159], v[244:245], -v[120:121]
	v_mul_f64 v[116:117], v[164:165], v[116:117]
	v_mul_f64 v[40:41], v[168:169], v[40:41]
	;; [unrolled: 1-line block ×3, first 2 shown]
	v_fma_f64 v[174:175], v[174:175], v[94:95], -v[92:93]
	v_mul_f64 v[56:57], v[196:197], v[56:57]
	v_fma_f64 v[176:177], v[194:195], v[138:139], -v[56:57]
	v_mul_f64 v[56:57], v[200:201], v[142:143]
	;; [unrolled: 2-line block ×3, first 2 shown]
	v_fma_f64 v[194:195], v[222:223], v[80:81], -v[76:77]
	s_waitcnt vmcnt(0)
	v_pk_mov_b32 v[248:249], v[8:9], v[8:9] op_sel:[0,1]
	buffer_load_dword v147, off, s[0:3], 0 offset:548
	buffer_load_dword v146, off, s[0:3], 0 offset:544
	;; [unrolled: 1-line block ×4, first 2 shown]
	v_accvgpr_write_b32 a190, v248
	v_accvgpr_write_b32 a191, v249
	v_mul_f64 v[82:83], v[212:213], v[82:83]
	v_fma_f64 v[82:83], v[210:211], v[86:87], -v[82:83]
	v_mul_f64 v[86:87], v[220:221], v[102:103]
	s_waitcnt vmcnt(2)
	v_accvgpr_write_b32 a195, v147
	v_accvgpr_write_b32 a194, v146
	s_waitcnt vmcnt(0)
	v_pk_mov_b32 v[250:251], v[8:9], v[8:9] op_sel:[0,1]
	buffer_load_dword v9, off, s[0:3], 0 offset:564
	buffer_load_dword v8, off, s[0:3], 0 offset:560
	;; [unrolled: 1-line block ×6, first 2 shown]
	ds_read_b128 v[44:47], v216 offset:1408
	v_accvgpr_write_b32 a192, v250
	v_accvgpr_write_b32 a193, v251
	s_waitcnt vmcnt(1)
	v_accvgpr_write_b32 a207, v183
	v_pk_mov_b32 v[190:191], v[8:9], v[8:9] op_sel:[0,1]
	buffer_load_dword v9, off, s[0:3], 0 offset:604
	buffer_load_dword v8, off, s[0:3], 0 offset:600
	;; [unrolled: 1-line block ×6, first 2 shown]
	s_waitcnt vmcnt(6)
	v_accvgpr_write_b32 a209, v3
	v_accvgpr_write_b32 a206, v182
	;; [unrolled: 1-line block ×5, first 2 shown]
	s_waitcnt vmcnt(4)
	v_pk_mov_b32 v[124:125], v[8:9], v[8:9] op_sel:[0,1]
	v_accvgpr_write_b32 a215, v125
	s_waitcnt vmcnt(0)
	v_pk_mov_b32 v[122:123], v[6:7], v[6:7] op_sel:[0,1]
	buffer_load_dword v7, off, s[0:3], 0 offset:612
	buffer_load_dword v6, off, s[0:3], 0 offset:608
	v_accvgpr_write_b32 a214, v124
	v_accvgpr_write_b32 a219, v123
	;; [unrolled: 1-line block ×5, first 2 shown]
	s_waitcnt vmcnt(0)
	v_pk_mov_b32 v[126:127], v[6:7], v[6:7] op_sel:[0,1]
	buffer_load_dword v7, off, s[0:3], 0 offset:652
	buffer_load_dword v9, off, s[0:3], 0 offset:636
	;; [unrolled: 1-line block ×8, first 2 shown]
	ds_read_b128 v[20:23], v216 offset:1424
	ds_read_b128 v[32:35], v216 offset:1440
	v_accvgpr_write_b32 a221, v127
	v_accvgpr_write_b32 a220, v126
	ds_read_b128 v[158:161], v216 offset:1536
	s_waitcnt lgkmcnt(0)
	v_accvgpr_write_b32 a199, v161
	v_accvgpr_write_b32 a198, v160
	;; [unrolled: 1-line block ×4, first 2 shown]
	s_waitcnt vmcnt(5)
	v_pk_mov_b32 v[132:133], v[8:9], v[8:9] op_sel:[0,1]
	s_waitcnt vmcnt(2)
	v_pk_mov_b32 v[128:129], v[6:7], v[6:7] op_sel:[0,1]
	v_mul_f64 v[6:7], v[44:45], v[60:61]
	v_fmac_f64_e32 v[6:7], v[46:47], v[54:55]
	v_add_f64 v[4:5], v[4:5], v[6:7]
	v_mul_f64 v[6:7], v[20:21], v[226:227]
	v_fmac_f64_e32 v[6:7], v[22:23], v[214:215]
	v_add_f64 v[4:5], v[4:5], v[6:7]
	;; [unrolled: 3-line block ×3, first 2 shown]
	ds_read_b128 v[4:7], v216 offset:1456
	v_mul_f64 v[8:9], v[136:137], v[36:37]
	v_mul_f64 v[36:37], v[152:153], v[236:237]
	v_fma_f64 v[236:237], v[150:151], v[12:13], -v[36:37]
	ds_read_b128 v[150:153], v216 offset:1472
	v_mul_f64 v[36:37], v[156:157], v[238:239]
	v_fma_f64 v[238:239], v[154:155], v[242:243], -v[36:37]
	ds_read_b128 v[36:39], v216 offset:1488
	ds_read_b128 v[154:157], v216 offset:1520
	s_waitcnt lgkmcnt(3)
	v_mul_f64 v[12:13], v[4:5], v[230:231]
	v_fmac_f64_e32 v[12:13], v[6:7], v[228:229]
	v_add_f64 v[12:13], v[14:15], v[12:13]
	s_waitcnt lgkmcnt(2)
	v_mul_f64 v[14:15], v[150:151], v[114:115]
	v_fmac_f64_e32 v[14:15], v[152:153], v[192:193]
	v_add_f64 v[12:13], v[12:13], v[14:15]
	;; [unrolled: 4-line block ×3, first 2 shown]
	ds_read_b128 v[12:15], v216 offset:1504
	v_fma_f64 v[234:235], v[134:135], v[234:235], -v[8:9]
	v_fma_f64 v[134:135], v[162:163], v[246:247], -v[116:117]
	s_waitcnt lgkmcnt(1)
	v_accvgpr_write_b32 a189, v157
	v_accvgpr_write_b32 a188, v156
	s_waitcnt lgkmcnt(0)
	v_mul_f64 v[120:121], v[12:13], v[108:109]
	v_fmac_f64_e32 v[120:121], v[14:15], v[112:113]
	v_add_f64 v[116:117], v[118:119], v[120:121]
	v_mul_f64 v[118:119], v[154:155], v[248:249]
	v_fmac_f64_e32 v[118:119], v[156:157], v[146:147]
	v_accvgpr_write_b32 a187, v155
	v_accvgpr_write_b32 a186, v154
	ds_read_b128 v[154:157], v216 offset:1552
	v_add_f64 v[116:117], v[116:117], v[118:119]
	v_mul_f64 v[118:119], v[158:159], v[250:251]
	v_fma_f64 v[250:251], v[166:167], v[42:43], -v[40:41]
	v_fmac_f64_e32 v[118:119], v[160:161], v[190:191]
	s_waitcnt lgkmcnt(0)
	v_mul_f64 v[42:43], v[154:155], v[182:183]
	v_add_f64 v[40:41], v[116:117], v[118:119]
	v_fmac_f64_e32 v[42:43], v[156:157], v[2:3]
	v_add_f64 v[40:41], v[40:41], v[42:43]
	v_mul_f64 v[42:43], v[172:173], v[252:253]
	buffer_load_dword v9, off, s[0:3], 0 offset:668
	buffer_load_dword v8, off, s[0:3], 0 offset:664
	ds_read_b128 v[118:121], v216 offset:1568
	v_fma_f64 v[182:183], v[170:171], v[254:255], -v[42:43]
	buffer_load_dword v2, off, s[0:3], 0 offset:680
	buffer_load_dword v43, off, s[0:3], 0 offset:660
	;; [unrolled: 1-line block ×3, first 2 shown]
	ds_read_b128 v[246:249], v216 offset:1584
	ds_read_b128 v[92:95], v216 offset:1600
	;; [unrolled: 1-line block ×3, first 2 shown]
	v_accvgpr_write_b32 a205, v157
	v_accvgpr_write_b32 a204, v156
	;; [unrolled: 1-line block ×6, first 2 shown]
	s_waitcnt lgkmcnt(3)
	v_accvgpr_write_b32 a213, v121
	v_accvgpr_write_b32 a212, v120
	;; [unrolled: 1-line block ×4, first 2 shown]
	v_fma_f64 v[172:173], v[218:219], v[90:91], -v[86:87]
	v_accvgpr_write_b32 a233, v17
	v_accvgpr_write_b32 a229, v133
	;; [unrolled: 1-line block ×4, first 2 shown]
	s_waitcnt vmcnt(5)
	v_accvgpr_write_b32 a231, v1
	v_accvgpr_write_b32 a230, v0
	v_mul_f64 v[6:7], v[6:7], v[230:231]
	v_fma_f64 v[4:5], v[4:5], v[228:229], -v[6:7]
	v_mul_f64 v[14:15], v[14:15], v[108:109]
	v_fma_f64 v[14:15], v[12:13], v[112:113], -v[14:15]
	s_waitcnt lgkmcnt(1)
	v_accvgpr_write_b32 a225, v95
	v_accvgpr_write_b32 a224, v94
	;; [unrolled: 1-line block ×4, first 2 shown]
	s_waitcnt vmcnt(3)
	v_accvgpr_write_b32 a235, v9
	v_accvgpr_write_b32 a234, v8
	s_waitcnt vmcnt(0)
	v_pk_mov_b32 v[116:117], v[42:43], v[42:43] op_sel:[0,1]
	v_mul_f64 v[42:43], v[118:119], v[124:125]
	v_fmac_f64_e32 v[42:43], v[120:121], v[10:11]
	v_add_f64 v[40:41], v[40:41], v[42:43]
	v_mul_f64 v[42:43], v[180:181], v[72:73]
	v_mul_f64 v[72:73], v[246:247], v[122:123]
	v_fmac_f64_e32 v[72:73], v[248:249], v[126:127]
	v_add_f64 v[40:41], v[40:41], v[72:73]
	v_mul_f64 v[72:73], v[92:93], v[132:133]
	v_fmac_f64_e32 v[72:73], v[94:95], v[16:17]
	v_add_f64 v[40:41], v[40:41], v[72:73]
	s_waitcnt lgkmcnt(0)
	v_mul_f64 v[72:73], v[252:253], v[128:129]
	buffer_load_dword v126, off, s[0:3], 0 offset:672
	buffer_load_dword v3, off, s[0:3], 0 offset:684
	;; [unrolled: 1-line block ×3, first 2 shown]
	v_fmac_f64_e32 v[72:73], v[254:255], v[0:1]
	v_add_f64 v[40:41], v[40:41], v[72:73]
	v_mul_f64 v[72:73], v[188:189], v[140:141]
	v_fma_f64 v[72:73], v[186:187], v[144:145], -v[72:73]
	buffer_load_dword v243, off, s[0:3], 0 offset:716
	buffer_load_dword v141, off, s[0:3], 0 offset:700
	;; [unrolled: 1-line block ×8, first 2 shown]
	ds_read_b128 v[136:139], v216 offset:1632
	buffer_load_dword v143, off, s[0:3], 0 offset:748
	buffer_load_dword v149, off, s[0:3], 0 offset:732
	;; [unrolled: 1-line block ×28, first 2 shown]
	v_fma_f64 v[42:43], v[178:179], v[78:79], -v[42:43]
	buffer_load_dword v121, off, s[0:3], 0 offset:844
	buffer_load_dword v120, off, s[0:3], 0 offset:840
	;; [unrolled: 1-line block ×16, first 2 shown]
	s_waitcnt lgkmcnt(0)
	v_mul_f64 v[86:87], v[136:137], v[8:9]
	v_accvgpr_write_b32 a237, v117
	ds_read_b128 v[222:225], v216 offset:1648
	v_fmac_f64_e32 v[86:87], v[138:139], v[116:117]
	v_accvgpr_write_b32 a236, v116
	ds_read_b128 v[116:119], v216 offset:1664
	v_mul_f64 v[78:79], v[204:205], v[18:19]
	v_mul_f64 v[18:19], v[98:99], v[84:85]
	v_fma_f64 v[16:17], v[96:97], v[88:89], -v[18:19]
	v_mul_f64 v[18:19], v[26:27], v[74:75]
	ds_read_b128 v[74:77], v216 offset:1680
	v_fma_f64 v[132:133], v[24:25], v[70:71], -v[18:19]
	v_mul_f64 v[18:19], v[30:31], v[58:59]
	v_fma_f64 v[58:59], v[28:29], v[68:69], -v[18:19]
	v_add_f64 v[40:41], v[40:41], v[86:87]
	v_mul_f64 v[26:27], v[50:51], v[64:65]
	v_fma_f64 v[84:85], v[48:49], v[62:63], -v[26:27]
	ds_read_b128 v[24:27], v216 offset:1696
	ds_read_b128 v[48:51], v216 offset:1712
	v_fma_f64 v[78:79], v[202:203], v[52:53], -v[78:79]
	ds_read_b128 v[68:71], v216 offset:1792
	v_mul_f64 v[92:93], v[208:209], v[104:105]
	v_fma_f64 v[170:171], v[206:207], v[106:107], -v[92:93]
	s_waitcnt vmcnt(53) lgkmcnt(5)
	v_mul_f64 v[28:29], v[222:223], v[2:3]
	s_waitcnt vmcnt(52)
	v_fmac_f64_e32 v[28:29], v[224:225], v[126:127]
	s_waitcnt vmcnt(49) lgkmcnt(4)
	v_mul_f64 v[30:31], v[116:117], v[140:141]
	v_add_f64 v[28:29], v[40:41], v[28:29]
	s_waitcnt vmcnt(47)
	v_fmac_f64_e32 v[30:31], v[118:119], v[146:147]
	v_add_f64 v[28:29], v[28:29], v[30:31]
	s_waitcnt vmcnt(46) lgkmcnt(3)
	v_mul_f64 v[30:31], v[74:75], v[242:243]
	s_waitcnt vmcnt(44)
	v_fmac_f64_e32 v[30:31], v[76:77], v[144:145]
	v_add_f64 v[28:29], v[28:29], v[30:31]
	v_mul_f64 v[30:31], v[46:47], v[60:61]
	v_fma_f64 v[40:41], v[44:45], v[54:55], -v[30:31]
	ds_read_b128 v[52:55], v216 offset:1728
	v_pk_mov_b32 v[18:19], v[2:3], v[2:3] op_sel:[0,1]
	s_waitcnt vmcnt(41) lgkmcnt(3)
	v_mul_f64 v[30:31], v[24:25], v[148:149]
	v_mul_f64 v[2:3], v[22:23], v[226:227]
	s_waitcnt vmcnt(39)
	v_fmac_f64_e32 v[30:31], v[26:27], v[244:245]
	v_fma_f64 v[86:87], v[20:21], v[214:215], -v[2:3]
	s_waitcnt vmcnt(38) lgkmcnt(2)
	v_mul_f64 v[2:3], v[48:49], v[142:143]
	v_add_f64 v[0:1], v[28:29], v[30:31]
	s_waitcnt vmcnt(36)
	v_fmac_f64_e32 v[2:3], v[50:51], v[154:155]
	v_add_f64 v[0:1], v[0:1], v[2:3]
	s_waitcnt vmcnt(34) lgkmcnt(0)
	v_mul_f64 v[2:3], v[52:53], v[124:125]
	ds_read_b128 v[28:31], v216 offset:1744
	ds_read_b128 v[60:63], v216 offset:1760
	s_waitcnt vmcnt(32)
	v_fmac_f64_e32 v[2:3], v[54:55], v[156:157]
	v_add_f64 v[0:1], v[0:1], v[2:3]
	v_mul_f64 v[2:3], v[34:35], v[184:185]
	v_fma_f64 v[2:3], v[32:33], v[66:67], -v[2:3]
	ds_read_b128 v[64:67], v216 offset:1776
	s_waitcnt vmcnt(29) lgkmcnt(2)
	v_mul_f64 v[8:9], v[28:29], v[158:159]
	s_waitcnt vmcnt(28)
	v_fmac_f64_e32 v[8:9], v[30:31], v[160:161]
	s_waitcnt vmcnt(25) lgkmcnt(1)
	v_mul_f64 v[6:7], v[60:61], v[164:165]
	v_add_f64 v[0:1], v[0:1], v[8:9]
	s_waitcnt vmcnt(23)
	v_fmac_f64_e32 v[6:7], v[62:63], v[168:169]
	v_add_f64 v[0:1], v[0:1], v[6:7]
	s_waitcnt vmcnt(22) lgkmcnt(0)
	v_mul_f64 v[6:7], v[64:65], v[162:163]
	s_waitcnt vmcnt(20)
	v_fmac_f64_e32 v[6:7], v[66:67], v[166:167]
	v_add_f64 v[0:1], v[0:1], v[6:7]
	v_mul_f64 v[6:7], v[152:153], v[114:115]
	v_fma_f64 v[6:7], v[150:151], v[192:193], -v[6:7]
	ds_read_b128 v[150:153], v216 offset:1808
	s_waitcnt vmcnt(18)
	v_mul_f64 v[8:9], v[68:69], v[122:123]
	s_waitcnt vmcnt(16)
	v_fmac_f64_e32 v[8:9], v[70:71], v[128:129]
	v_add_f64 v[32:33], v[0:1], v[8:9]
	ds_read_b128 v[8:11], v216 offset:1824
	s_waitcnt vmcnt(14) lgkmcnt(1)
	v_mul_f64 v[34:35], v[150:151], v[120:121]
	s_waitcnt vmcnt(12)
	v_fmac_f64_e32 v[34:35], v[152:153], v[178:179]
	v_add_f64 v[88:89], v[32:33], v[34:35]
	ds_read_b128 v[32:35], v216 offset:1840
	v_mul_f64 v[0:1], v[38:39], v[100:101]
	v_fma_f64 v[20:21], v[36:37], v[110:111], -v[0:1]
	ds_read_b128 v[36:39], v216 offset:1856
	s_waitcnt vmcnt(9) lgkmcnt(2)
	v_mul_f64 v[12:13], v[8:9], v[130:131]
	s_waitcnt vmcnt(7)
	v_fmac_f64_e32 v[12:13], v[10:11], v[188:189]
	v_add_f64 v[12:13], v[88:89], v[12:13]
	s_waitcnt vmcnt(5) lgkmcnt(1)
	v_mul_f64 v[88:89], v[32:33], v[80:81]
	s_waitcnt vmcnt(4)
	v_fmac_f64_e32 v[88:89], v[34:35], v[180:181]
	v_add_f64 v[12:13], v[12:13], v[88:89]
	s_waitcnt vmcnt(2) lgkmcnt(0)
	v_mul_f64 v[88:89], v[36:37], v[186:187]
	s_waitcnt vmcnt(0)
	v_fmac_f64_e32 v[88:89], v[38:39], v[190:191]
	v_add_f64 v[92:93], v[12:13], v[88:89]
	buffer_load_dword v192, off, s[0:3], 0 offset:904
	buffer_load_dword v193, off, s[0:3], 0 offset:908
	;; [unrolled: 1-line block ×4, first 2 shown]
	ds_read_b128 v[88:91], v216 offset:1872
	buffer_load_dword v197, off, s[0:3], 0 offset:924
	buffer_load_dword v196, off, s[0:3], 0 offset:920
	;; [unrolled: 1-line block ×4, first 2 shown]
	v_accvgpr_read_b32 v22, a240
	v_accvgpr_read_b32 v23, a241
	s_waitcnt vmcnt(6) lgkmcnt(0)
	v_mul_f64 v[94:95], v[88:89], v[192:193]
	s_waitcnt vmcnt(4)
	v_fmac_f64_e32 v[94:95], v[90:91], v[12:13]
	v_add_f64 v[96:97], v[92:93], v[94:95]
	ds_read_b128 v[92:95], v216 offset:1888
	buffer_load_dword v200, off, s[0:3], 0 offset:936
	buffer_load_dword v201, off, s[0:3], 0 offset:940
	buffer_load_dword v202, off, s[0:3], 0 offset:928
	buffer_load_dword v203, off, s[0:3], 0 offset:932
	s_waitcnt vmcnt(6) lgkmcnt(0)
	v_mul_f64 v[98:99], v[92:93], v[196:197]
	s_waitcnt vmcnt(4)
	v_fmac_f64_e32 v[98:99], v[94:95], v[198:199]
	v_add_f64 v[100:101], v[96:97], v[98:99]
	ds_read_b128 v[96:99], v216 offset:1904
	buffer_load_dword v205, off, s[0:3], 0 offset:956
	buffer_load_dword v204, off, s[0:3], 0 offset:952
	buffer_load_dword v207, off, s[0:3], 0 offset:948
	buffer_load_dword v206, off, s[0:3], 0 offset:944
	;; [unrolled: 10-line block ×6, first 2 shown]
	s_waitcnt vmcnt(6) lgkmcnt(0)
	v_mul_f64 v[216:217], v[112:113], v[218:219]
	s_waitcnt vmcnt(4)
	v_fmac_f64_e32 v[216:217], v[114:115], v[220:221]
	v_add_f64 v[216:217], v[0:1], v[216:217]
	v_accvgpr_read_b32 v0, a238
	v_accvgpr_read_b32 v1, a239
	v_add_f64 v[0:1], v[0:1], 0
	v_add_f64 v[0:1], v[0:1], v[22:23]
	v_accvgpr_read_b32 v22, a242
	v_accvgpr_read_b32 v23, a243
	v_add_f64 v[0:1], v[0:1], v[22:23]
	v_add_f64 v[0:1], v[0:1], v[232:233]
	;; [unrolled: 1-line block ×28, first 2 shown]
	v_accvgpr_read_b32 v4, a186
	v_accvgpr_read_b32 v2, a190
	;; [unrolled: 1-line block ×5, first 2 shown]
	v_mul_f64 v[2:3], v[6:7], v[2:3]
	v_accvgpr_read_b32 v6, a194
	v_add_f64 v[0:1], v[230:231], v[20:21]
	v_accvgpr_read_b32 v5, a187
	v_accvgpr_read_b32 v7, a195
	v_add_f64 v[0:1], v[0:1], v[14:15]
	v_fma_f64 v[2:3], v[4:5], v[6:7], -v[2:3]
	v_add_f64 v[0:1], v[0:1], v[2:3]
	v_accvgpr_read_b32 v2, a192
	v_accvgpr_read_b32 v4, a196
	v_accvgpr_read_b32 v3, a193
	v_accvgpr_read_b32 v6, a198
	v_accvgpr_read_b32 v7, a199
	v_mul_f64 v[2:3], v[6:7], v[2:3]
	v_accvgpr_read_b32 v6, a200
	v_accvgpr_read_b32 v5, a197
	v_accvgpr_read_b32 v7, a201
	v_fma_f64 v[2:3], v[4:5], v[6:7], -v[2:3]
	v_add_f64 v[0:1], v[0:1], v[2:3]
	v_accvgpr_read_b32 v4, a202
	v_accvgpr_read_b32 v2, a206
	v_accvgpr_read_b32 v6, a204
	v_accvgpr_read_b32 v7, a205
	v_accvgpr_read_b32 v3, a207
	v_mul_f64 v[2:3], v[6:7], v[2:3]
	v_accvgpr_read_b32 v6, a208
	v_accvgpr_read_b32 v5, a203
	v_accvgpr_read_b32 v7, a209
	;; [unrolled: 11-line block ×3, first 2 shown]
	v_fma_f64 v[2:3], v[4:5], v[6:7], -v[2:3]
	v_add_f64 v[0:1], v[0:1], v[2:3]
	v_accvgpr_read_b32 v2, a218
	v_accvgpr_read_b32 v3, a219
	;; [unrolled: 1-line block ×3, first 2 shown]
	v_mul_f64 v[2:3], v[248:249], v[2:3]
	v_accvgpr_read_b32 v5, a221
	v_fma_f64 v[2:3], v[246:247], v[4:5], -v[2:3]
	v_add_f64 v[0:1], v[0:1], v[2:3]
	v_accvgpr_read_b32 v4, a222
	v_accvgpr_read_b32 v2, a228
	;; [unrolled: 1-line block ×5, first 2 shown]
	v_mul_f64 v[2:3], v[6:7], v[2:3]
	v_accvgpr_read_b32 v6, a232
	v_accvgpr_read_b32 v5, a223
	;; [unrolled: 1-line block ×3, first 2 shown]
	v_fma_f64 v[2:3], v[4:5], v[6:7], -v[2:3]
	v_add_f64 v[0:1], v[0:1], v[2:3]
	v_accvgpr_read_b32 v2, a226
	v_accvgpr_read_b32 v3, a227
	;; [unrolled: 1-line block ×3, first 2 shown]
	v_mul_f64 v[2:3], v[254:255], v[2:3]
	v_accvgpr_read_b32 v5, a231
	v_fma_f64 v[2:3], v[252:253], v[4:5], -v[2:3]
	v_add_f64 v[0:1], v[0:1], v[2:3]
	v_accvgpr_read_b32 v2, a234
	v_accvgpr_read_b32 v3, a235
	;; [unrolled: 1-line block ×3, first 2 shown]
	v_mul_f64 v[2:3], v[138:139], v[2:3]
	v_accvgpr_read_b32 v5, a237
	v_fma_f64 v[2:3], v[136:137], v[4:5], -v[2:3]
	v_add_f64 v[0:1], v[0:1], v[2:3]
	v_mul_f64 v[2:3], v[224:225], v[18:19]
	v_fma_f64 v[2:3], v[222:223], v[126:127], -v[2:3]
	v_add_f64 v[0:1], v[0:1], v[2:3]
	v_mul_f64 v[2:3], v[118:119], v[140:141]
	;; [unrolled: 3-line block ×21, first 2 shown]
	v_fma_f64 v[2:3], v[112:113], v[220:221], -v[2:3]
	v_add_f64 v[0:1], v[0:1], v[2:3]
	s_waitcnt vmcnt(2)
	v_add_f64 v[0:1], v[228:229], -v[0:1]
	s_waitcnt vmcnt(0)
	v_add_f64 v[2:3], v[226:227], -v[216:217]
	buffer_store_dword v1, off, s[0:3], 0 offset:20
	buffer_store_dword v0, off, s[0:3], 0 offset:16
	;; [unrolled: 1-line block ×4, first 2 shown]
	s_cbranch_vccz .LBB125_521
; %bb.398:
	v_pk_mov_b32 v[0:1], s[16:17], s[16:17] op_sel:[0,1]
	flat_load_dword v0, v[0:1] offset:240
	s_waitcnt vmcnt(0) lgkmcnt(0)
	v_add_u32_e32 v0, -1, v0
	v_cmp_ne_u32_e32 vcc, 60, v0
	s_and_saveexec_b64 s[4:5], vcc
	s_cbranch_execz .LBB125_400
; %bb.399:
	v_mov_b32_e32 v1, 16
	v_accvgpr_read_b32 v9, a125
	v_lshl_add_u32 v0, v0, 4, v1
	buffer_load_dword v1, v9, s[0:3], 0 offen offset:4
	buffer_load_dword v2, v9, s[0:3], 0 offen offset:8
	buffer_load_dword v3, v9, s[0:3], 0 offen offset:12
	buffer_load_dword v4, v0, s[0:3], 0 offen
	buffer_load_dword v5, v0, s[0:3], 0 offen offset:4
	buffer_load_dword v6, v0, s[0:3], 0 offen offset:8
	buffer_load_dword v7, v0, s[0:3], 0 offen offset:12
	buffer_load_dword v8, v9, s[0:3], 0 offen
	s_waitcnt vmcnt(4)
	buffer_store_dword v4, v9, s[0:3], 0 offen
	s_waitcnt vmcnt(4)
	buffer_store_dword v5, v9, s[0:3], 0 offen offset:4
	s_waitcnt vmcnt(4)
	buffer_store_dword v6, v9, s[0:3], 0 offen offset:8
	s_waitcnt vmcnt(4)
	buffer_store_dword v7, v9, s[0:3], 0 offen offset:12
	buffer_store_dword v3, v0, s[0:3], 0 offen offset:12
	buffer_store_dword v2, v0, s[0:3], 0 offen offset:8
	buffer_store_dword v1, v0, s[0:3], 0 offen offset:4
	s_waitcnt vmcnt(7)
	buffer_store_dword v8, v0, s[0:3], 0 offen
.LBB125_400:
	s_or_b64 exec, exec, s[4:5]
	v_pk_mov_b32 v[0:1], s[16:17], s[16:17] op_sel:[0,1]
	flat_load_dword v0, v[0:1] offset:236
	s_waitcnt vmcnt(0) lgkmcnt(0)
	v_add_u32_e32 v0, -1, v0
	v_cmp_ne_u32_e32 vcc, 59, v0
	s_and_saveexec_b64 s[4:5], vcc
	s_cbranch_execz .LBB125_402
; %bb.401:
	v_mov_b32_e32 v1, 16
	v_accvgpr_read_b32 v9, a126
	v_lshl_add_u32 v0, v0, 4, v1
	buffer_load_dword v1, v9, s[0:3], 0 offen offset:4
	buffer_load_dword v2, v9, s[0:3], 0 offen offset:8
	buffer_load_dword v3, v9, s[0:3], 0 offen offset:12
	buffer_load_dword v4, v0, s[0:3], 0 offen
	buffer_load_dword v5, v0, s[0:3], 0 offen offset:4
	buffer_load_dword v6, v0, s[0:3], 0 offen offset:8
	buffer_load_dword v7, v0, s[0:3], 0 offen offset:12
	buffer_load_dword v8, v9, s[0:3], 0 offen
	s_waitcnt vmcnt(4)
	buffer_store_dword v4, v9, s[0:3], 0 offen
	s_waitcnt vmcnt(4)
	buffer_store_dword v5, v9, s[0:3], 0 offen offset:4
	s_waitcnt vmcnt(4)
	buffer_store_dword v6, v9, s[0:3], 0 offen offset:8
	s_waitcnt vmcnt(4)
	buffer_store_dword v7, v9, s[0:3], 0 offen offset:12
	buffer_store_dword v3, v0, s[0:3], 0 offen offset:12
	buffer_store_dword v2, v0, s[0:3], 0 offen offset:8
	buffer_store_dword v1, v0, s[0:3], 0 offen offset:4
	s_waitcnt vmcnt(7)
	buffer_store_dword v8, v0, s[0:3], 0 offen
.LBB125_402:
	s_or_b64 exec, exec, s[4:5]
	;; [unrolled: 34-line block ×60, first 2 shown]
	v_pk_mov_b32 v[0:1], s[16:17], s[16:17] op_sel:[0,1]
	flat_load_dword v0, v[0:1]
	s_waitcnt vmcnt(0) lgkmcnt(0)
	v_add_u32_e32 v0, -1, v0
	v_cmp_ne_u32_e32 vcc, 0, v0
	s_and_saveexec_b64 s[4:5], vcc
	s_cbranch_execz .LBB125_520
; %bb.519:
	v_mov_b32_e32 v1, 16
	v_lshl_add_u32 v0, v0, 4, v1
	buffer_load_dword v1, v0, s[0:3], 0 offen
	buffer_load_dword v2, v0, s[0:3], 0 offen offset:4
	buffer_load_dword v3, v0, s[0:3], 0 offen offset:8
	;; [unrolled: 1-line block ×3, first 2 shown]
	buffer_load_dword v5, off, s[0:3], 0 offset:28
	buffer_load_dword v6, off, s[0:3], 0 offset:24
	;; [unrolled: 1-line block ×4, first 2 shown]
	s_waitcnt vmcnt(7)
	buffer_store_dword v1, off, s[0:3], 0 offset:16
	s_waitcnt vmcnt(7)
	buffer_store_dword v2, off, s[0:3], 0 offset:20
	;; [unrolled: 2-line block ×4, first 2 shown]
	s_waitcnt vmcnt(7)
	buffer_store_dword v5, v0, s[0:3], 0 offen offset:12
	s_waitcnt vmcnt(7)
	buffer_store_dword v6, v0, s[0:3], 0 offen offset:8
	;; [unrolled: 2-line block ×3, first 2 shown]
	s_waitcnt vmcnt(7)
	buffer_store_dword v8, v0, s[0:3], 0 offen
.LBB125_520:
	s_or_b64 exec, exec, s[4:5]
.LBB125_521:
	buffer_load_dword v0, off, s[0:3], 0 offset:16
	buffer_load_dword v1, off, s[0:3], 0 offset:20
	buffer_load_dword v2, off, s[0:3], 0 offset:24
	buffer_load_dword v3, off, s[0:3], 0 offset:28
	v_accvgpr_read_b32 v4, a66
	v_accvgpr_read_b32 v5, a67
	s_waitcnt vmcnt(0)
	global_store_dwordx4 v[4:5], v[0:3], off
	s_nop 0
	v_accvgpr_read_b32 v3, a184
	buffer_load_dword v0, v3, s[0:3], 0 offen
	buffer_load_dword v1, v3, s[0:3], 0 offen offset:4
	buffer_load_dword v2, v3, s[0:3], 0 offen offset:8
	s_nop 0
	buffer_load_dword v3, v3, s[0:3], 0 offen offset:12
	v_accvgpr_read_b32 v4, a122
	v_accvgpr_read_b32 v5, a123
	s_waitcnt vmcnt(0)
	global_store_dwordx4 v[4:5], v[0:3], off
	s_nop 0
	v_accvgpr_read_b32 v3, a183
	buffer_load_dword v0, v3, s[0:3], 0 offen
	buffer_load_dword v1, v3, s[0:3], 0 offen offset:4
	buffer_load_dword v2, v3, s[0:3], 0 offen offset:8
	s_nop 0
	buffer_load_dword v3, v3, s[0:3], 0 offen offset:12
	;; [unrolled: 11-line block ×20, first 2 shown]
	v_accvgpr_read_b32 v4, a30
	v_accvgpr_read_b32 v5, a31
	s_waitcnt vmcnt(0)
	global_store_dwordx4 v[4:5], v[0:3], off
	v_accvgpr_read_b32 v4, a164
	buffer_load_dword v0, v4, s[0:3], 0 offen
	buffer_load_dword v1, v4, s[0:3], 0 offen offset:4
	buffer_load_dword v2, v4, s[0:3], 0 offen offset:8
	buffer_load_dword v3, v4, s[0:3], 0 offen offset:12
	v_accvgpr_read_b32 v4, a120
	v_accvgpr_read_b32 v5, a121
	s_waitcnt vmcnt(0)
	global_store_dwordx4 v[4:5], v[0:3], off
	v_accvgpr_read_b32 v4, a163
	buffer_load_dword v0, v4, s[0:3], 0 offen
	buffer_load_dword v1, v4, s[0:3], 0 offen offset:4
	buffer_load_dword v2, v4, s[0:3], 0 offen offset:8
	buffer_load_dword v3, v4, s[0:3], 0 offen offset:12
	;; [unrolled: 9-line block ×41, first 2 shown]
	v_accvgpr_read_b32 v5, a1
	v_accvgpr_read_b32 v4, a0
	s_waitcnt vmcnt(0)
	global_store_dwordx4 v[4:5], v[0:3], off
	s_endpgm
	.section	.rodata,"a",@progbits
	.p2align	6, 0x0
	.amdhsa_kernel _ZN9rocsolver6v33100L18getri_kernel_smallILi62E19rocblas_complex_numIdEPKPS3_EEvT1_iilPiilS8_bb
		.amdhsa_group_segment_fixed_size 1992
		.amdhsa_private_segment_fixed_size 1024
		.amdhsa_kernarg_size 60
		.amdhsa_user_sgpr_count 8
		.amdhsa_user_sgpr_private_segment_buffer 1
		.amdhsa_user_sgpr_dispatch_ptr 0
		.amdhsa_user_sgpr_queue_ptr 0
		.amdhsa_user_sgpr_kernarg_segment_ptr 1
		.amdhsa_user_sgpr_dispatch_id 0
		.amdhsa_user_sgpr_flat_scratch_init 1
		.amdhsa_user_sgpr_kernarg_preload_length 0
		.amdhsa_user_sgpr_kernarg_preload_offset 0
		.amdhsa_user_sgpr_private_segment_size 0
		.amdhsa_uses_dynamic_stack 0
		.amdhsa_system_sgpr_private_segment_wavefront_offset 1
		.amdhsa_system_sgpr_workgroup_id_x 1
		.amdhsa_system_sgpr_workgroup_id_y 0
		.amdhsa_system_sgpr_workgroup_id_z 0
		.amdhsa_system_sgpr_workgroup_info 0
		.amdhsa_system_vgpr_workitem_id 0
		.amdhsa_next_free_vgpr 500
		.amdhsa_next_free_sgpr 30
		.amdhsa_accum_offset 256
		.amdhsa_reserve_vcc 1
		.amdhsa_reserve_flat_scratch 1
		.amdhsa_float_round_mode_32 0
		.amdhsa_float_round_mode_16_64 0
		.amdhsa_float_denorm_mode_32 3
		.amdhsa_float_denorm_mode_16_64 3
		.amdhsa_dx10_clamp 1
		.amdhsa_ieee_mode 1
		.amdhsa_fp16_overflow 0
		.amdhsa_tg_split 0
		.amdhsa_exception_fp_ieee_invalid_op 0
		.amdhsa_exception_fp_denorm_src 0
		.amdhsa_exception_fp_ieee_div_zero 0
		.amdhsa_exception_fp_ieee_overflow 0
		.amdhsa_exception_fp_ieee_underflow 0
		.amdhsa_exception_fp_ieee_inexact 0
		.amdhsa_exception_int_div_zero 0
	.end_amdhsa_kernel
	.section	.text._ZN9rocsolver6v33100L18getri_kernel_smallILi62E19rocblas_complex_numIdEPKPS3_EEvT1_iilPiilS8_bb,"axG",@progbits,_ZN9rocsolver6v33100L18getri_kernel_smallILi62E19rocblas_complex_numIdEPKPS3_EEvT1_iilPiilS8_bb,comdat
.Lfunc_end125:
	.size	_ZN9rocsolver6v33100L18getri_kernel_smallILi62E19rocblas_complex_numIdEPKPS3_EEvT1_iilPiilS8_bb, .Lfunc_end125-_ZN9rocsolver6v33100L18getri_kernel_smallILi62E19rocblas_complex_numIdEPKPS3_EEvT1_iilPiilS8_bb
                                        ; -- End function
	.section	.AMDGPU.csdata,"",@progbits
; Kernel info:
; codeLenInByte = 239076
; NumSgprs: 36
; NumVgprs: 256
; NumAgprs: 244
; TotalNumVgprs: 500
; ScratchSize: 1024
; MemoryBound: 0
; FloatMode: 240
; IeeeMode: 1
; LDSByteSize: 1992 bytes/workgroup (compile time only)
; SGPRBlocks: 4
; VGPRBlocks: 62
; NumSGPRsForWavesPerEU: 36
; NumVGPRsForWavesPerEU: 500
; AccumOffset: 256
; Occupancy: 1
; WaveLimiterHint : 1
; COMPUTE_PGM_RSRC2:SCRATCH_EN: 1
; COMPUTE_PGM_RSRC2:USER_SGPR: 8
; COMPUTE_PGM_RSRC2:TRAP_HANDLER: 0
; COMPUTE_PGM_RSRC2:TGID_X_EN: 1
; COMPUTE_PGM_RSRC2:TGID_Y_EN: 0
; COMPUTE_PGM_RSRC2:TGID_Z_EN: 0
; COMPUTE_PGM_RSRC2:TIDIG_COMP_CNT: 0
; COMPUTE_PGM_RSRC3_GFX90A:ACCUM_OFFSET: 63
; COMPUTE_PGM_RSRC3_GFX90A:TG_SPLIT: 0
	.section	.text._ZN9rocsolver6v33100L18getri_kernel_smallILi63E19rocblas_complex_numIdEPKPS3_EEvT1_iilPiilS8_bb,"axG",@progbits,_ZN9rocsolver6v33100L18getri_kernel_smallILi63E19rocblas_complex_numIdEPKPS3_EEvT1_iilPiilS8_bb,comdat
	.globl	_ZN9rocsolver6v33100L18getri_kernel_smallILi63E19rocblas_complex_numIdEPKPS3_EEvT1_iilPiilS8_bb ; -- Begin function _ZN9rocsolver6v33100L18getri_kernel_smallILi63E19rocblas_complex_numIdEPKPS3_EEvT1_iilPiilS8_bb
	.p2align	8
	.type	_ZN9rocsolver6v33100L18getri_kernel_smallILi63E19rocblas_complex_numIdEPKPS3_EEvT1_iilPiilS8_bb,@function
_ZN9rocsolver6v33100L18getri_kernel_smallILi63E19rocblas_complex_numIdEPKPS3_EEvT1_iilPiilS8_bb: ; @_ZN9rocsolver6v33100L18getri_kernel_smallILi63E19rocblas_complex_numIdEPKPS3_EEvT1_iilPiilS8_bb
; %bb.0:
	s_add_u32 flat_scratch_lo, s6, s9
	s_addc_u32 flat_scratch_hi, s7, 0
	s_add_u32 s0, s0, s9
	v_mov_b32_e32 v254, v0
	s_addc_u32 s1, s1, 0
	v_cmp_gt_u32_e32 vcc, 63, v254
	s_and_saveexec_b64 s[6:7], vcc
	s_cbranch_execz .LBB126_278
; %bb.1:
	s_load_dword s10, s[4:5], 0x38
	s_load_dwordx2 s[6:7], s[4:5], 0x0
	s_load_dwordx4 s[12:15], s[4:5], 0x28
	s_waitcnt lgkmcnt(0)
	s_bitcmp1_b32 s10, 8
	s_cselect_b64 s[18:19], -1, 0
	s_ashr_i32 s9, s8, 31
	s_lshl_b64 s[16:17], s[8:9], 3
	s_add_u32 s6, s6, s16
	s_addc_u32 s7, s7, s17
	s_load_dwordx2 s[6:7], s[6:7], 0x0
	s_bfe_u32 s11, s10, 0x10008
	s_cmp_eq_u32 s11, 0
                                        ; implicit-def: $sgpr16_sgpr17
	s_cbranch_scc1 .LBB126_3
; %bb.2:
	s_load_dword s16, s[4:5], 0x20
	s_load_dwordx2 s[20:21], s[4:5], 0x18
	s_mul_i32 s11, s8, s13
	s_mul_hi_u32 s13, s8, s12
	s_add_i32 s11, s13, s11
	s_mul_i32 s13, s9, s12
	s_add_i32 s13, s11, s13
	s_mul_i32 s12, s8, s12
	s_waitcnt lgkmcnt(0)
	s_ashr_i32 s17, s16, 31
	s_lshl_b64 s[12:13], s[12:13], 2
	s_add_u32 s11, s20, s12
	s_addc_u32 s20, s21, s13
	s_lshl_b64 s[12:13], s[16:17], 2
	s_add_u32 s16, s11, s12
	s_addc_u32 s17, s20, s13
.LBB126_3:
	s_load_dwordx2 s[4:5], s[4:5], 0x8
	v_lshlrev_b32_e32 v1, 4, v254
	s_waitcnt lgkmcnt(0)
	s_ashr_i32 s13, s4, 31
	s_mov_b32 s12, s4
	s_lshl_b64 s[12:13], s[12:13], 4
	s_add_u32 s6, s6, s12
	s_addc_u32 s7, s7, s13
	v_mov_b32_e32 v0, s7
	v_add_co_u32_e32 v2, vcc, s6, v1
	s_ashr_i32 s13, s5, 31
	s_mov_b32 s12, s5
	s_add_i32 s4, s5, s5
	v_addc_co_u32_e32 v3, vcc, 0, v0, vcc
	s_lshl_b64 s[12:13], s[12:13], 4
	v_add_u32_e32 v10, s4, v254
	v_mov_b32_e32 v0, s13
	v_add_co_u32_e32 v4, vcc, s12, v2
	v_accvgpr_write_b32 a0, v2
	v_ashrrev_i32_e32 v11, 31, v10
	global_load_dwordx4 v[6:9], v1, s[6:7]
	v_accvgpr_write_b32 a1, v3
	v_addc_co_u32_e32 v5, vcc, v3, v0, vcc
	v_lshlrev_b64 v[2:3], 4, v[10:11]
	v_add_u32_e32 v10, s5, v10
	v_mov_b32_e32 v0, s7
	v_add_co_u32_e32 v2, vcc, s6, v2
	v_ashrrev_i32_e32 v11, 31, v10
	v_addc_co_u32_e32 v3, vcc, v0, v3, vcc
	v_add_u32_e32 v12, s5, v10
	v_lshlrev_b64 v[10:11], 4, v[10:11]
	v_ashrrev_i32_e32 v13, 31, v12
	v_add_co_u32_e32 v30, vcc, s6, v10
	global_load_dwordx4 v[26:29], v[4:5], off
	v_addc_co_u32_e32 v31, vcc, v0, v11, vcc
	v_lshlrev_b64 v[10:11], 4, v[12:13]
	v_mov_b32_e32 v16, s7
	v_add_co_u32_e32 v10, vcc, s6, v10
	v_addc_co_u32_e32 v11, vcc, v16, v11, vcc
	v_accvgpr_write_b32 a2, v4
	v_accvgpr_write_b32 a5, v3
	;; [unrolled: 1-line block ×5, first 2 shown]
	v_add_u32_e32 v14, s5, v12
	v_accvgpr_write_b32 a22, v10
	global_load_dwordx4 v[10:13], v[10:11], off
	v_ashrrev_i32_e32 v15, 31, v14
	global_load_dwordx4 v[2:5], v[2:3], off
	v_add_u32_e32 v18, s5, v14
	v_lshlrev_b64 v[20:21], 4, v[14:15]
	global_load_dwordx4 v[14:17], v[30:31], off
	v_mov_b32_e32 v23, s7
	v_ashrrev_i32_e32 v19, 31, v18
	v_add_co_u32_e32 v20, vcc, s6, v20
	v_add_u32_e32 v22, s5, v18
	v_addc_co_u32_e32 v21, vcc, v23, v21, vcc
	v_lshlrev_b64 v[18:19], 4, v[18:19]
	v_mov_b32_e32 v24, s7
	v_accvgpr_write_b32 a24, v30
	v_ashrrev_i32_e32 v23, 31, v22
	v_add_co_u32_e32 v18, vcc, s6, v18
	v_accvgpr_write_b32 a25, v31
	v_add_u32_e32 v34, s5, v22
	v_addc_co_u32_e32 v19, vcc, v24, v19, vcc
	v_lshlrev_b64 v[30:31], 4, v[22:23]
	global_load_dwordx4 v[22:25], v[20:21], off
	v_accvgpr_write_b32 a18, v20
	v_accvgpr_write_b32 a14, v18
	;; [unrolled: 1-line block ×4, first 2 shown]
	global_load_dwordx4 v[18:21], v[18:19], off
	v_mov_b32_e32 v32, s7
	v_add_co_u32_e32 v36, vcc, s6, v30
	v_addc_co_u32_e32 v37, vcc, v32, v31, vcc
	s_waitcnt vmcnt(6)
	buffer_store_dword v9, off, s[0:3], 0 offset:28
	buffer_store_dword v8, off, s[0:3], 0 offset:24
	;; [unrolled: 1-line block ×4, first 2 shown]
	s_waitcnt vmcnt(9)
	buffer_store_dword v29, off, s[0:3], 0 offset:44
	buffer_store_dword v28, off, s[0:3], 0 offset:40
	;; [unrolled: 1-line block ×4, first 2 shown]
	s_waitcnt vmcnt(11)
	buffer_store_dword v5, off, s[0:3], 0 offset:60
	v_ashrrev_i32_e32 v35, 31, v34
	global_load_dwordx4 v[26:29], v[36:37], off
	v_lshlrev_b64 v[30:31], 4, v[34:35]
	v_mov_b32_e32 v33, s7
	v_add_co_u32_e32 v30, vcc, s6, v30
	v_addc_co_u32_e32 v31, vcc, v33, v31, vcc
	v_accvgpr_write_b32 a6, v30
	v_add_u32_e32 v6, s5, v34
	v_accvgpr_write_b32 a7, v31
	global_load_dwordx4 v[30:33], v[30:31], off
	v_ashrrev_i32_e32 v7, 31, v6
	v_lshlrev_b64 v[8:9], 4, v[6:7]
	v_add_co_u32_e32 v34, vcc, s6, v8
	v_accvgpr_write_b32 a8, v36
	v_addc_co_u32_e32 v35, vcc, v0, v9, vcc
	v_add_u32_e32 v6, s5, v6
	v_accvgpr_write_b32 a10, v34
	v_accvgpr_write_b32 a9, v37
	v_ashrrev_i32_e32 v7, 31, v6
	v_accvgpr_write_b32 a11, v35
	global_load_dwordx4 v[34:37], v[34:35], off
	v_lshlrev_b64 v[8:9], 4, v[6:7]
	v_add_co_u32_e32 v8, vcc, s6, v8
	v_addc_co_u32_e32 v9, vcc, v0, v9, vcc
	global_load_dwordx4 v[38:41], v[8:9], off
	v_add_u32_e32 v6, s5, v6
	v_accvgpr_write_b32 a13, v9
	v_ashrrev_i32_e32 v7, 31, v6
	v_accvgpr_write_b32 a12, v8
	v_lshlrev_b64 v[8:9], 4, v[6:7]
	v_add_co_u32_e32 v42, vcc, s6, v8
	v_addc_co_u32_e32 v43, vcc, v0, v9, vcc
	v_add_u32_e32 v6, s5, v6
	v_accvgpr_write_b32 a16, v42
	v_ashrrev_i32_e32 v7, 31, v6
	v_accvgpr_write_b32 a17, v43
	global_load_dwordx4 v[42:45], v[42:43], off
	v_lshlrev_b64 v[8:9], 4, v[6:7]
	v_add_co_u32_e32 v8, vcc, s6, v8
	v_addc_co_u32_e32 v9, vcc, v0, v9, vcc
	global_load_dwordx4 v[46:49], v[8:9], off
	v_add_u32_e32 v6, s5, v6
	v_accvgpr_write_b32 a21, v9
	v_ashrrev_i32_e32 v7, 31, v6
	v_accvgpr_write_b32 a20, v8
	v_lshlrev_b64 v[8:9], 4, v[6:7]
	v_add_co_u32_e32 v50, vcc, s6, v8
	v_addc_co_u32_e32 v51, vcc, v0, v9, vcc
	v_add_u32_e32 v6, s5, v6
	;; [unrolled: 16-line block ×5, first 2 shown]
	v_accvgpr_write_b32 a38, v74
	v_ashrrev_i32_e32 v7, 31, v6
	v_accvgpr_write_b32 a39, v75
	global_load_dwordx4 v[74:77], v[74:75], off
	v_lshlrev_b64 v[8:9], 4, v[6:7]
	v_add_co_u32_e32 v8, vcc, s6, v8
	v_addc_co_u32_e32 v9, vcc, v0, v9, vcc
	global_load_dwordx4 v[78:81], v[8:9], off
	v_add_u32_e32 v6, s5, v6
	v_accvgpr_write_b32 a41, v9
	v_ashrrev_i32_e32 v7, 31, v6
	v_accvgpr_write_b32 a40, v8
	v_lshlrev_b64 v[8:9], 4, v[6:7]
	v_add_co_u32_e32 v8, vcc, s6, v8
	v_add_u32_e32 v86, s5, v6
	v_addc_co_u32_e32 v9, vcc, v0, v9, vcc
	v_ashrrev_i32_e32 v87, 31, v86
	global_load_dwordx4 v[82:85], v[8:9], off
	v_lshlrev_b64 v[6:7], 4, v[86:87]
	v_add_co_u32_e32 v6, vcc, s6, v6
	v_addc_co_u32_e32 v7, vcc, v0, v7, vcc
	v_accvgpr_write_b32 a43, v9
	v_accvgpr_write_b32 a45, v7
	;; [unrolled: 1-line block ×4, first 2 shown]
	global_load_dwordx4 v[6:9], v[6:7], off
	s_nop 0
	buffer_store_dword v4, off, s[0:3], 0 offset:56
	buffer_store_dword v3, off, s[0:3], 0 offset:52
	;; [unrolled: 1-line block ×3, first 2 shown]
	s_waitcnt vmcnt(30)
	buffer_store_dword v17, off, s[0:3], 0 offset:76
	buffer_store_dword v16, off, s[0:3], 0 offset:72
	;; [unrolled: 1-line block ×8, first 2 shown]
	s_waitcnt vmcnt(37)
	buffer_store_dword v25, off, s[0:3], 0 offset:108
	buffer_store_dword v24, off, s[0:3], 0 offset:104
	buffer_store_dword v23, off, s[0:3], 0 offset:100
	buffer_store_dword v22, off, s[0:3], 0 offset:96
	s_waitcnt vmcnt(40)
	buffer_store_dword v21, off, s[0:3], 0 offset:124
	buffer_store_dword v20, off, s[0:3], 0 offset:120
	buffer_store_dword v19, off, s[0:3], 0 offset:116
	buffer_store_dword v18, off, s[0:3], 0 offset:112
	;; [unrolled: 5-line block ×13, first 2 shown]
	buffer_store_dword v73, off, s[0:3], 0 offset:316
	buffer_store_dword v72, off, s[0:3], 0 offset:312
	;; [unrolled: 1-line block ×8, first 2 shown]
	s_waitcnt vmcnt(62)
	buffer_store_dword v81, off, s[0:3], 0 offset:348
	buffer_store_dword v80, off, s[0:3], 0 offset:344
	;; [unrolled: 1-line block ×9, first 2 shown]
	v_add_u32_e32 v2, s5, v86
	v_ashrrev_i32_e32 v3, 31, v2
	v_lshlrev_b64 v[4:5], 4, v[2:3]
	v_add_co_u32_e32 v10, vcc, s6, v4
	v_addc_co_u32_e32 v11, vcc, v0, v5, vcc
	v_add_u32_e32 v2, s5, v2
	v_ashrrev_i32_e32 v3, 31, v2
	v_accvgpr_write_b32 a47, v11
	v_lshlrev_b64 v[4:5], 4, v[2:3]
	v_accvgpr_write_b32 a46, v10
	global_load_dwordx4 v[10:13], v[10:11], off
	v_add_co_u32_e32 v4, vcc, s6, v4
	v_addc_co_u32_e32 v5, vcc, v0, v5, vcc
	v_add_u32_e32 v2, s5, v2
	v_accvgpr_write_b32 a49, v5
	v_ashrrev_i32_e32 v3, 31, v2
	v_accvgpr_write_b32 a48, v4
	global_load_dwordx4 v[14:17], v[4:5], off
	v_lshlrev_b64 v[4:5], 4, v[2:3]
	v_add_co_u32_e32 v18, vcc, s6, v4
	v_addc_co_u32_e32 v19, vcc, v0, v5, vcc
	v_add_u32_e32 v2, s5, v2
	v_ashrrev_i32_e32 v3, 31, v2
	v_accvgpr_write_b32 a51, v19
	v_lshlrev_b64 v[4:5], 4, v[2:3]
	v_accvgpr_write_b32 a50, v18
	global_load_dwordx4 v[18:21], v[18:19], off
	v_add_co_u32_e32 v4, vcc, s6, v4
	v_addc_co_u32_e32 v5, vcc, v0, v5, vcc
	global_load_dwordx4 v[22:25], v[4:5], off
	v_add_u32_e32 v2, s5, v2
	v_accvgpr_write_b32 a53, v5
	v_ashrrev_i32_e32 v3, 31, v2
	v_accvgpr_write_b32 a52, v4
	v_lshlrev_b64 v[4:5], 4, v[2:3]
	v_add_co_u32_e32 v26, vcc, s6, v4
	v_addc_co_u32_e32 v27, vcc, v0, v5, vcc
	v_add_u32_e32 v2, s5, v2
	v_ashrrev_i32_e32 v3, 31, v2
	v_accvgpr_write_b32 a55, v27
	v_lshlrev_b64 v[4:5], 4, v[2:3]
	v_accvgpr_write_b32 a54, v26
	global_load_dwordx4 v[26:29], v[26:27], off
	v_add_co_u32_e32 v4, vcc, s6, v4
	v_addc_co_u32_e32 v5, vcc, v0, v5, vcc
	global_load_dwordx4 v[30:33], v[4:5], off
	v_add_u32_e32 v2, s5, v2
	v_accvgpr_write_b32 a57, v5
	v_ashrrev_i32_e32 v3, 31, v2
	v_accvgpr_write_b32 a56, v4
	;; [unrolled: 16-line block ×7, first 2 shown]
	v_lshlrev_b64 v[4:5], 4, v[2:3]
	v_add_co_u32_e32 v74, vcc, s6, v4
	v_addc_co_u32_e32 v75, vcc, v0, v5, vcc
	v_add_u32_e32 v2, s5, v2
	v_accvgpr_write_b32 a79, v75
	v_ashrrev_i32_e32 v3, 31, v2
	v_accvgpr_write_b32 a78, v74
	global_load_dwordx4 v[74:77], v[74:75], off
	v_lshlrev_b64 v[4:5], 4, v[2:3]
	v_add_co_u32_e32 v4, vcc, s6, v4
	v_addc_co_u32_e32 v5, vcc, v0, v5, vcc
	global_load_dwordx4 v[78:81], v[4:5], off
	v_add_u32_e32 v2, s5, v2
	v_accvgpr_write_b32 a81, v5
	v_ashrrev_i32_e32 v3, 31, v2
	v_accvgpr_write_b32 a80, v4
	v_lshlrev_b64 v[4:5], 4, v[2:3]
	v_add_co_u32_e32 v4, vcc, s6, v4
	v_add_u32_e32 v86, s5, v2
	v_addc_co_u32_e32 v5, vcc, v0, v5, vcc
	v_ashrrev_i32_e32 v87, 31, v86
	v_lshlrev_b64 v[2:3], 4, v[86:87]
	global_load_dwordx4 v[82:85], v[4:5], off
	v_add_co_u32_e32 v2, vcc, s6, v2
	v_addc_co_u32_e32 v3, vcc, v0, v3, vcc
	v_accvgpr_write_b32 a83, v5
	v_accvgpr_write_b32 a87, v3
	;; [unrolled: 1-line block ×4, first 2 shown]
	global_load_dwordx4 v[2:5], v[2:3], off
	s_nop 0
	buffer_store_dword v8, off, s[0:3], 0 offset:376
	buffer_store_dword v7, off, s[0:3], 0 offset:372
	buffer_store_dword v6, off, s[0:3], 0 offset:368
	s_waitcnt vmcnt(22)
	buffer_store_dword v13, off, s[0:3], 0 offset:396
	buffer_store_dword v12, off, s[0:3], 0 offset:392
	buffer_store_dword v11, off, s[0:3], 0 offset:388
	buffer_store_dword v10, off, s[0:3], 0 offset:384
	s_waitcnt vmcnt(25)
	buffer_store_dword v17, off, s[0:3], 0 offset:412
	;; [unrolled: 5-line block ×15, first 2 shown]
	buffer_store_dword v68, off, s[0:3], 0 offset:616
	buffer_store_dword v67, off, s[0:3], 0 offset:612
	;; [unrolled: 1-line block ×11, first 2 shown]
	s_waitcnt vmcnt(62)
	buffer_store_dword v81, off, s[0:3], 0 offset:668
	buffer_store_dword v80, off, s[0:3], 0 offset:664
	buffer_store_dword v79, off, s[0:3], 0 offset:660
	buffer_store_dword v78, off, s[0:3], 0 offset:656
	buffer_store_dword v85, off, s[0:3], 0 offset:684
	buffer_store_dword v84, off, s[0:3], 0 offset:680
	buffer_store_dword v83, off, s[0:3], 0 offset:676
	buffer_store_dword v82, off, s[0:3], 0 offset:672
	buffer_store_dword v5, off, s[0:3], 0 offset:700
	v_add_u32_e32 v6, s5, v86
	v_ashrrev_i32_e32 v7, 31, v6
	v_lshlrev_b64 v[8:9], 4, v[6:7]
	v_add_u32_e32 v14, s5, v6
	v_add_co_u32_e32 v8, vcc, s6, v8
	v_ashrrev_i32_e32 v15, 31, v14
	v_addc_co_u32_e32 v9, vcc, v0, v9, vcc
	v_lshlrev_b64 v[6:7], 4, v[14:15]
	v_add_co_u32_e32 v10, vcc, s6, v6
	v_accvgpr_write_b32 a89, v9
	v_addc_co_u32_e32 v11, vcc, v0, v7, vcc
	v_accvgpr_write_b32 a88, v8
	global_load_dwordx4 v[6:9], v[8:9], off
	v_add_u32_e32 v14, s5, v14
	v_accvgpr_write_b32 a91, v11
	v_ashrrev_i32_e32 v15, 31, v14
	v_accvgpr_write_b32 a90, v10
	global_load_dwordx4 v[10:13], v[10:11], off
	v_lshlrev_b64 v[16:17], 4, v[14:15]
	v_add_u32_e32 v22, s5, v14
	v_add_co_u32_e32 v16, vcc, s6, v16
	v_ashrrev_i32_e32 v23, 31, v22
	v_addc_co_u32_e32 v17, vcc, v0, v17, vcc
	v_lshlrev_b64 v[14:15], 4, v[22:23]
	v_add_co_u32_e32 v18, vcc, s6, v14
	v_accvgpr_write_b32 a93, v17
	v_addc_co_u32_e32 v19, vcc, v0, v15, vcc
	v_accvgpr_write_b32 a92, v16
	global_load_dwordx4 v[14:17], v[16:17], off
	v_add_u32_e32 v22, s5, v22
	v_accvgpr_write_b32 a95, v19
	v_ashrrev_i32_e32 v23, 31, v22
	v_accvgpr_write_b32 a94, v18
	global_load_dwordx4 v[18:21], v[18:19], off
	;; [unrolled: 16-line block ×9, first 2 shown]
	v_lshlrev_b64 v[80:81], 4, v[78:79]
	v_add_co_u32_e32 v80, vcc, s6, v80
	v_addc_co_u32_e32 v81, vcc, v0, v81, vcc
	v_add_u32_e32 v78, s5, v78
	v_ashrrev_i32_e32 v79, 31, v78
	v_accvgpr_write_b32 a125, v81
	v_lshlrev_b64 v[82:83], 4, v[78:79]
	v_accvgpr_write_b32 a124, v80
	global_load_dwordx4 v[78:81], v[80:81], off
	v_add_co_u32_e32 v82, vcc, s6, v82
	v_addc_co_u32_e32 v83, vcc, v0, v83, vcc
	v_accvgpr_write_b32 a85, v83
	v_accvgpr_write_b32 a84, v82
	global_load_dwordx4 v[82:85], v[82:83], off
	v_mov_b32_e32 v0, 16
	buffer_store_dword v4, off, s[0:3], 0 offset:696
	buffer_store_dword v3, off, s[0:3], 0 offset:692
	buffer_store_dword v2, off, s[0:3], 0 offset:688
	s_waitcnt vmcnt(22)
	buffer_store_dword v9, off, s[0:3], 0 offset:716
	buffer_store_dword v8, off, s[0:3], 0 offset:712
	buffer_store_dword v7, off, s[0:3], 0 offset:708
	buffer_store_dword v6, off, s[0:3], 0 offset:704
	s_waitcnt vmcnt(25)
	buffer_store_dword v13, off, s[0:3], 0 offset:732
	;; [unrolled: 5-line block ×15, first 2 shown]
	buffer_store_dword v64, off, s[0:3], 0 offset:936
	buffer_store_dword v63, off, s[0:3], 0 offset:932
	;; [unrolled: 1-line block ×11, first 2 shown]
	s_waitcnt vmcnt(62)
	buffer_store_dword v77, off, s[0:3], 0 offset:988
	buffer_store_dword v76, off, s[0:3], 0 offset:984
	;; [unrolled: 1-line block ×12, first 2 shown]
	v_add_u32_e32 v2, 16, v0
	v_accvgpr_write_b32 a187, v2
	v_add_u32_e32 v2, 32, v0
	v_accvgpr_write_b32 a186, v2
	;; [unrolled: 2-line block ×60, first 2 shown]
	v_add_u32_e32 v2, 0x3d0, v0
	v_add_u32_e32 v0, 0x3e0, v0
	s_bitcmp0_b32 s10, 0
	v_accvgpr_write_b32 a127, v2
	v_accvgpr_write_b32 a126, v0
	s_mov_b64 s[6:7], -1
	s_cbranch_scc1 .LBB126_276
; %bb.4:
	v_cmp_eq_u32_e64 s[4:5], 0, v254
	s_and_saveexec_b64 s[6:7], s[4:5]
	s_cbranch_execz .LBB126_6
; %bb.5:
	v_mov_b32_e32 v0, 0
	ds_write_b32 v0, v0 offset:2016
.LBB126_6:
	s_or_b64 exec, exec, s[6:7]
	v_mov_b32_e32 v0, 16
	v_lshl_add_u32 v12, v254, 4, v0
	s_waitcnt lgkmcnt(0)
	; wave barrier
	s_waitcnt lgkmcnt(0)
	buffer_load_dword v2, v12, s[0:3], 0 offen
	buffer_load_dword v3, v12, s[0:3], 0 offen offset:4
	buffer_load_dword v4, v12, s[0:3], 0 offen offset:8
	;; [unrolled: 1-line block ×3, first 2 shown]
	s_waitcnt vmcnt(2)
	v_cmp_eq_f64_e32 vcc, 0, v[2:3]
	s_waitcnt vmcnt(0)
	v_cmp_eq_f64_e64 s[6:7], 0, v[4:5]
	s_and_b64 s[6:7], vcc, s[6:7]
	s_and_saveexec_b64 s[10:11], s[6:7]
	s_cbranch_execz .LBB126_10
; %bb.7:
	v_mov_b32_e32 v2, 0
	ds_read_b32 v0, v2 offset:2016
	v_add_u32_e32 v3, 1, v254
	s_waitcnt lgkmcnt(0)
	v_readfirstlane_b32 s6, v0
	s_cmp_eq_u32 s6, 0
	s_cselect_b64 s[12:13], -1, 0
	v_cmp_gt_i32_e32 vcc, s6, v3
	s_or_b64 s[12:13], s[12:13], vcc
	s_and_b64 exec, exec, s[12:13]
	s_cbranch_execz .LBB126_10
; %bb.8:
	s_mov_b64 s[12:13], 0
	v_mov_b32_e32 v4, s6
.LBB126_9:                              ; =>This Inner Loop Header: Depth=1
	ds_cmpst_rtn_b32 v4, v2, v4, v3 offset:2016
	s_waitcnt lgkmcnt(0)
	v_cmp_ne_u32_e32 vcc, 0, v4
	v_cmp_le_i32_e64 s[6:7], v4, v3
	s_and_b64 s[6:7], vcc, s[6:7]
	s_and_b64 s[6:7], exec, s[6:7]
	s_or_b64 s[12:13], s[6:7], s[12:13]
	s_andn2_b64 exec, exec, s[12:13]
	s_cbranch_execnz .LBB126_9
.LBB126_10:
	s_or_b64 exec, exec, s[10:11]
	v_mov_b32_e32 v3, 0
	s_waitcnt lgkmcnt(0)
	; wave barrier
	ds_read_b32 v2, v3 offset:2016
	s_and_saveexec_b64 s[6:7], s[4:5]
	s_cbranch_execz .LBB126_12
; %bb.11:
	s_lshl_b64 s[10:11], s[8:9], 2
	s_add_u32 s10, s14, s10
	s_addc_u32 s11, s15, s11
	s_waitcnt lgkmcnt(0)
	global_store_dword v3, v2, s[10:11]
.LBB126_12:
	s_or_b64 exec, exec, s[6:7]
	s_waitcnt lgkmcnt(0)
	v_cmp_ne_u32_e32 vcc, 0, v2
	s_mov_b64 s[6:7], 0
	s_cbranch_vccnz .LBB126_276
; %bb.13:
	buffer_load_dword v7, v12, s[0:3], 0 offen offset:4
	buffer_load_dword v6, v12, s[0:3], 0 offen
	buffer_load_dword v9, v12, s[0:3], 0 offen offset:12
	buffer_load_dword v8, v12, s[0:3], 0 offen offset:8
                                        ; implicit-def: $vgpr10_vgpr11
	s_waitcnt vmcnt(3)
	v_xor_b32_e32 v0, 0x80000000, v7
	s_waitcnt vmcnt(2)
	v_cmp_gt_f64_e32 vcc, 0, v[6:7]
	s_waitcnt vmcnt(1)
	v_xor_b32_e32 v4, 0x80000000, v9
	v_cndmask_b32_e32 v3, v7, v0, vcc
	s_waitcnt vmcnt(0)
	v_cmp_gt_f64_e32 vcc, 0, v[8:9]
	v_mov_b32_e32 v2, v6
	v_cndmask_b32_e32 v5, v9, v4, vcc
	v_mov_b32_e32 v4, v8
	v_cmp_ngt_f64_e32 vcc, v[2:3], v[4:5]
                                        ; implicit-def: $vgpr4_vgpr5
	s_and_saveexec_b64 s[6:7], vcc
	s_xor_b64 s[6:7], exec, s[6:7]
	s_cbranch_execz .LBB126_15
; %bb.14:
	v_div_scale_f64 v[2:3], s[10:11], v[8:9], v[8:9], v[6:7]
	v_rcp_f64_e32 v[4:5], v[2:3]
	v_div_scale_f64 v[10:11], vcc, v[6:7], v[8:9], v[6:7]
	v_fma_f64 v[14:15], -v[2:3], v[4:5], 1.0
	v_fmac_f64_e32 v[4:5], v[4:5], v[14:15]
	v_fma_f64 v[14:15], -v[2:3], v[4:5], 1.0
	v_fmac_f64_e32 v[4:5], v[4:5], v[14:15]
	v_mul_f64 v[14:15], v[10:11], v[4:5]
	v_fma_f64 v[2:3], -v[2:3], v[14:15], v[10:11]
	v_div_fmas_f64 v[2:3], v[2:3], v[4:5], v[14:15]
	v_div_fixup_f64 v[2:3], v[2:3], v[8:9], v[6:7]
	v_fmac_f64_e32 v[8:9], v[6:7], v[2:3]
	v_div_scale_f64 v[4:5], s[10:11], v[8:9], v[8:9], 1.0
	v_rcp_f64_e32 v[6:7], v[4:5]
	v_fma_f64 v[10:11], -v[4:5], v[6:7], 1.0
	v_fmac_f64_e32 v[6:7], v[6:7], v[10:11]
	v_fma_f64 v[10:11], -v[4:5], v[6:7], 1.0
	v_fmac_f64_e32 v[6:7], v[6:7], v[10:11]
	v_div_scale_f64 v[10:11], vcc, 1.0, v[8:9], 1.0
	v_mul_f64 v[14:15], v[10:11], v[6:7]
	v_fma_f64 v[4:5], -v[4:5], v[14:15], v[10:11]
	s_nop 1
	v_div_fmas_f64 v[4:5], v[4:5], v[6:7], v[14:15]
	v_div_fixup_f64 v[4:5], v[4:5], v[8:9], 1.0
	v_mul_f64 v[10:11], v[2:3], v[4:5]
	v_xor_b32_e32 v5, 0x80000000, v5
	v_xor_b32_e32 v3, 0x80000000, v11
	v_mov_b32_e32 v2, v10
                                        ; implicit-def: $vgpr6_vgpr7
                                        ; implicit-def: $vgpr8_vgpr9
.LBB126_15:
	s_andn2_saveexec_b64 s[6:7], s[6:7]
	s_cbranch_execz .LBB126_17
; %bb.16:
	v_div_scale_f64 v[2:3], s[10:11], v[6:7], v[6:7], v[8:9]
	v_rcp_f64_e32 v[4:5], v[2:3]
	v_div_scale_f64 v[10:11], vcc, v[8:9], v[6:7], v[8:9]
	v_fma_f64 v[14:15], -v[2:3], v[4:5], 1.0
	v_fmac_f64_e32 v[4:5], v[4:5], v[14:15]
	v_fma_f64 v[14:15], -v[2:3], v[4:5], 1.0
	v_fmac_f64_e32 v[4:5], v[4:5], v[14:15]
	v_mul_f64 v[14:15], v[10:11], v[4:5]
	v_fma_f64 v[2:3], -v[2:3], v[14:15], v[10:11]
	v_div_fmas_f64 v[2:3], v[2:3], v[4:5], v[14:15]
	v_div_fixup_f64 v[4:5], v[2:3], v[6:7], v[8:9]
	v_fmac_f64_e32 v[6:7], v[8:9], v[4:5]
	v_div_scale_f64 v[2:3], s[10:11], v[6:7], v[6:7], 1.0
	v_rcp_f64_e32 v[8:9], v[2:3]
	v_fma_f64 v[10:11], -v[2:3], v[8:9], 1.0
	v_fmac_f64_e32 v[8:9], v[8:9], v[10:11]
	v_fma_f64 v[10:11], -v[2:3], v[8:9], 1.0
	v_fmac_f64_e32 v[8:9], v[8:9], v[10:11]
	v_div_scale_f64 v[10:11], vcc, 1.0, v[6:7], 1.0
	v_mul_f64 v[14:15], v[10:11], v[8:9]
	v_fma_f64 v[2:3], -v[2:3], v[14:15], v[10:11]
	s_nop 1
	v_div_fmas_f64 v[2:3], v[2:3], v[8:9], v[14:15]
	v_div_fixup_f64 v[10:11], v[2:3], v[6:7], 1.0
	v_xor_b32_e32 v3, 0x80000000, v11
	v_mov_b32_e32 v2, v10
	v_mul_f64 v[4:5], v[4:5], -v[10:11]
.LBB126_17:
	s_or_b64 exec, exec, s[6:7]
	buffer_store_dword v11, v12, s[0:3], 0 offen offset:4
	buffer_store_dword v10, v12, s[0:3], 0 offen
	buffer_store_dword v5, v12, s[0:3], 0 offen offset:12
	buffer_store_dword v4, v12, s[0:3], 0 offen offset:8
	v_accvgpr_read_b32 v0, a187
	buffer_load_dword v11, v0, s[0:3], 0 offen offset:12
	buffer_load_dword v10, v0, s[0:3], 0 offen offset:8
	;; [unrolled: 1-line block ×3, first 2 shown]
	buffer_load_dword v8, v0, s[0:3], 0 offen
	v_xor_b32_e32 v5, 0x80000000, v5
	v_add_u32_e32 v6, 0x3f0, v1
	ds_write_b128 v1, v[2:5]
	s_waitcnt vmcnt(0)
	ds_write_b128 v1, v[8:11] offset:1008
	s_waitcnt lgkmcnt(0)
	; wave barrier
	s_waitcnt lgkmcnt(0)
	s_and_saveexec_b64 s[6:7], s[4:5]
	s_cbranch_execz .LBB126_19
; %bb.18:
	buffer_load_dword v14, v12, s[0:3], 0 offen offset:8
	buffer_load_dword v15, v12, s[0:3], 0 offen offset:12
	buffer_load_dword v16, v12, s[0:3], 0 offen
	buffer_load_dword v17, v12, s[0:3], 0 offen offset:4
	ds_read_b128 v[2:5], v6
	v_mov_b32_e32 v0, 0
	ds_read_b128 v[8:11], v0 offset:16
	s_waitcnt vmcnt(2) lgkmcnt(1)
	v_mul_f64 v[18:19], v[4:5], v[14:15]
	v_mul_f64 v[14:15], v[2:3], v[14:15]
	s_waitcnt vmcnt(0)
	v_fmac_f64_e32 v[14:15], v[4:5], v[16:17]
	v_fma_f64 v[2:3], v[2:3], v[16:17], -v[18:19]
	v_add_f64 v[4:5], v[14:15], 0
	v_add_f64 v[2:3], v[2:3], 0
	s_waitcnt lgkmcnt(0)
	v_mul_f64 v[14:15], v[4:5], v[10:11]
	v_mul_f64 v[10:11], v[2:3], v[10:11]
	v_fma_f64 v[2:3], v[2:3], v[8:9], -v[14:15]
	v_fmac_f64_e32 v[10:11], v[4:5], v[8:9]
	buffer_store_dword v2, off, s[0:3], 0 offset:32
	buffer_store_dword v3, off, s[0:3], 0 offset:36
	;; [unrolled: 1-line block ×4, first 2 shown]
.LBB126_19:
	s_or_b64 exec, exec, s[6:7]
	v_accvgpr_read_b32 v0, a186
	s_waitcnt lgkmcnt(0)
	; wave barrier
	buffer_load_dword v2, v0, s[0:3], 0 offen
	buffer_load_dword v3, v0, s[0:3], 0 offen offset:4
	buffer_load_dword v4, v0, s[0:3], 0 offen offset:8
	buffer_load_dword v5, v0, s[0:3], 0 offen offset:12
	v_cmp_gt_u32_e32 vcc, 2, v254
	s_waitcnt vmcnt(0)
	ds_write_b128 v6, v[2:5]
	s_waitcnt lgkmcnt(0)
	; wave barrier
	s_waitcnt lgkmcnt(0)
	s_and_saveexec_b64 s[6:7], vcc
	s_cbranch_execz .LBB126_23
; %bb.20:
	buffer_load_dword v8, v12, s[0:3], 0 offen offset:8
	buffer_load_dword v9, v12, s[0:3], 0 offen offset:12
	buffer_load_dword v10, v12, s[0:3], 0 offen
	buffer_load_dword v11, v12, s[0:3], 0 offen offset:4
	ds_read_b128 v[2:5], v6
	s_waitcnt vmcnt(2) lgkmcnt(0)
	v_mul_f64 v[14:15], v[4:5], v[8:9]
	v_mul_f64 v[8:9], v[2:3], v[8:9]
	s_waitcnt vmcnt(0)
	v_fma_f64 v[2:3], v[2:3], v[10:11], -v[14:15]
	v_fmac_f64_e32 v[8:9], v[4:5], v[10:11]
	v_add_f64 v[4:5], v[2:3], 0
	v_add_f64 v[2:3], v[8:9], 0
	s_and_saveexec_b64 s[10:11], s[4:5]
	s_cbranch_execz .LBB126_22
; %bb.21:
	buffer_load_dword v14, off, s[0:3], 0 offset:40
	buffer_load_dword v15, off, s[0:3], 0 offset:44
	;; [unrolled: 1-line block ×4, first 2 shown]
	v_mov_b32_e32 v0, 0
	ds_read_b128 v[8:11], v0 offset:1024
	s_waitcnt vmcnt(2) lgkmcnt(0)
	v_mul_f64 v[18:19], v[8:9], v[14:15]
	v_mul_f64 v[14:15], v[10:11], v[14:15]
	s_waitcnt vmcnt(0)
	v_fmac_f64_e32 v[18:19], v[10:11], v[16:17]
	v_fma_f64 v[8:9], v[8:9], v[16:17], -v[14:15]
	v_add_f64 v[2:3], v[2:3], v[18:19]
	v_add_f64 v[4:5], v[4:5], v[8:9]
.LBB126_22:
	s_or_b64 exec, exec, s[10:11]
	v_mov_b32_e32 v0, 0
	ds_read_b128 v[8:11], v0 offset:32
	s_waitcnt lgkmcnt(0)
	v_mul_f64 v[14:15], v[2:3], v[10:11]
	v_mul_f64 v[10:11], v[4:5], v[10:11]
	v_fma_f64 v[4:5], v[4:5], v[8:9], -v[14:15]
	v_fmac_f64_e32 v[10:11], v[2:3], v[8:9]
	buffer_store_dword v5, off, s[0:3], 0 offset:52
	buffer_store_dword v4, off, s[0:3], 0 offset:48
	;; [unrolled: 1-line block ×4, first 2 shown]
.LBB126_23:
	s_or_b64 exec, exec, s[6:7]
	v_accvgpr_read_b32 v0, a185
	s_waitcnt lgkmcnt(0)
	; wave barrier
	buffer_load_dword v2, v0, s[0:3], 0 offen
	buffer_load_dword v3, v0, s[0:3], 0 offen offset:4
	buffer_load_dword v4, v0, s[0:3], 0 offen offset:8
	;; [unrolled: 1-line block ×3, first 2 shown]
	v_cmp_gt_u32_e64 s[6:7], 3, v254
	v_add_u32_e32 v7, -1, v254
	s_waitcnt vmcnt(0)
	ds_write_b128 v6, v[2:5]
	s_waitcnt lgkmcnt(0)
	; wave barrier
	s_waitcnt lgkmcnt(0)
	s_and_saveexec_b64 s[10:11], s[6:7]
	s_cbranch_execz .LBB126_27
; %bb.24:
	v_pk_mov_b32 v[2:3], 0, 0
	v_add_u32_e32 v8, -1, v254
	v_add_u32_e32 v9, 0x3f0, v1
	v_add_u32_e32 v10, 16, v1
	s_mov_b64 s[12:13], 0
	v_pk_mov_b32 v[4:5], v[2:3], v[2:3] op_sel:[0,1]
.LBB126_25:                             ; =>This Inner Loop Header: Depth=1
	buffer_load_dword v18, v10, s[0:3], 0 offen offset:8
	buffer_load_dword v19, v10, s[0:3], 0 offen offset:12
	buffer_load_dword v20, v10, s[0:3], 0 offen
	buffer_load_dword v21, v10, s[0:3], 0 offen offset:4
	ds_read_b128 v[14:17], v9
	v_add_u32_e32 v8, 1, v8
	v_cmp_lt_u32_e64 s[6:7], 1, v8
	v_add_u32_e32 v9, 16, v9
	v_add_u32_e32 v10, 16, v10
	s_or_b64 s[12:13], s[6:7], s[12:13]
	s_waitcnt vmcnt(2) lgkmcnt(0)
	v_mul_f64 v[22:23], v[16:17], v[18:19]
	v_mul_f64 v[18:19], v[14:15], v[18:19]
	s_waitcnt vmcnt(0)
	v_fma_f64 v[14:15], v[14:15], v[20:21], -v[22:23]
	v_fmac_f64_e32 v[18:19], v[16:17], v[20:21]
	v_add_f64 v[4:5], v[4:5], v[14:15]
	v_add_f64 v[2:3], v[2:3], v[18:19]
	s_andn2_b64 exec, exec, s[12:13]
	s_cbranch_execnz .LBB126_25
; %bb.26:
	s_or_b64 exec, exec, s[12:13]
	v_mov_b32_e32 v0, 0
	ds_read_b128 v[8:11], v0 offset:48
	s_waitcnt lgkmcnt(0)
	v_mul_f64 v[14:15], v[2:3], v[10:11]
	v_mul_f64 v[10:11], v[4:5], v[10:11]
	v_fma_f64 v[4:5], v[4:5], v[8:9], -v[14:15]
	v_fmac_f64_e32 v[10:11], v[2:3], v[8:9]
	buffer_store_dword v5, off, s[0:3], 0 offset:68
	buffer_store_dword v4, off, s[0:3], 0 offset:64
	buffer_store_dword v11, off, s[0:3], 0 offset:76
	buffer_store_dword v10, off, s[0:3], 0 offset:72
.LBB126_27:
	s_or_b64 exec, exec, s[10:11]
	v_accvgpr_read_b32 v0, a184
	s_waitcnt lgkmcnt(0)
	; wave barrier
	buffer_load_dword v2, v0, s[0:3], 0 offen
	buffer_load_dword v3, v0, s[0:3], 0 offen offset:4
	buffer_load_dword v4, v0, s[0:3], 0 offen offset:8
	buffer_load_dword v5, v0, s[0:3], 0 offen offset:12
	v_cmp_gt_u32_e64 s[6:7], 4, v254
	s_waitcnt vmcnt(0)
	ds_write_b128 v6, v[2:5]
	s_waitcnt lgkmcnt(0)
	; wave barrier
	s_waitcnt lgkmcnt(0)
	s_and_saveexec_b64 s[12:13], s[6:7]
	s_cbranch_execz .LBB126_31
; %bb.28:
	v_pk_mov_b32 v[2:3], 0, 0
	v_add_u32_e32 v8, -1, v254
	v_add_u32_e32 v9, 0x3f0, v1
	v_add_u32_e32 v10, 16, v1
	s_mov_b64 s[20:21], 0
	v_pk_mov_b32 v[4:5], v[2:3], v[2:3] op_sel:[0,1]
.LBB126_29:                             ; =>This Inner Loop Header: Depth=1
	buffer_load_dword v18, v10, s[0:3], 0 offen offset:8
	buffer_load_dword v19, v10, s[0:3], 0 offen offset:12
	buffer_load_dword v20, v10, s[0:3], 0 offen
	buffer_load_dword v21, v10, s[0:3], 0 offen offset:4
	ds_read_b128 v[14:17], v9
	v_add_u32_e32 v8, 1, v8
	v_cmp_lt_u32_e64 s[10:11], 2, v8
	v_add_u32_e32 v9, 16, v9
	v_add_u32_e32 v10, 16, v10
	s_or_b64 s[20:21], s[10:11], s[20:21]
	s_waitcnt vmcnt(2) lgkmcnt(0)
	v_mul_f64 v[22:23], v[16:17], v[18:19]
	v_mul_f64 v[18:19], v[14:15], v[18:19]
	s_waitcnt vmcnt(0)
	v_fma_f64 v[14:15], v[14:15], v[20:21], -v[22:23]
	v_fmac_f64_e32 v[18:19], v[16:17], v[20:21]
	v_add_f64 v[4:5], v[4:5], v[14:15]
	v_add_f64 v[2:3], v[2:3], v[18:19]
	s_andn2_b64 exec, exec, s[20:21]
	s_cbranch_execnz .LBB126_29
; %bb.30:
	s_or_b64 exec, exec, s[20:21]
	v_mov_b32_e32 v0, 0
	ds_read_b128 v[8:11], v0 offset:64
	s_waitcnt lgkmcnt(0)
	v_mul_f64 v[14:15], v[2:3], v[10:11]
	v_mul_f64 v[10:11], v[4:5], v[10:11]
	v_fma_f64 v[4:5], v[4:5], v[8:9], -v[14:15]
	v_fmac_f64_e32 v[10:11], v[2:3], v[8:9]
	buffer_store_dword v5, off, s[0:3], 0 offset:84
	buffer_store_dword v4, off, s[0:3], 0 offset:80
	buffer_store_dword v11, off, s[0:3], 0 offset:92
	buffer_store_dword v10, off, s[0:3], 0 offset:88
.LBB126_31:
	s_or_b64 exec, exec, s[12:13]
	v_accvgpr_read_b32 v0, a183
	s_waitcnt lgkmcnt(0)
	; wave barrier
	buffer_load_dword v2, v0, s[0:3], 0 offen
	buffer_load_dword v3, v0, s[0:3], 0 offen offset:4
	buffer_load_dword v4, v0, s[0:3], 0 offen offset:8
	buffer_load_dword v5, v0, s[0:3], 0 offen offset:12
	v_cmp_gt_u32_e64 s[10:11], 5, v254
	;; [unrolled: 58-line block ×5, first 2 shown]
	s_waitcnt vmcnt(0)
	ds_write_b128 v6, v[2:5]
	s_waitcnt lgkmcnt(0)
	; wave barrier
	s_waitcnt lgkmcnt(0)
	s_and_saveexec_b64 s[20:21], s[12:13]
	s_cbranch_execz .LBB126_59
; %bb.44:
	buffer_load_dword v8, v12, s[0:3], 0 offen offset:8
	buffer_load_dword v9, v12, s[0:3], 0 offen offset:12
	buffer_load_dword v10, v12, s[0:3], 0 offen
	buffer_load_dword v11, v12, s[0:3], 0 offen offset:4
	ds_read_b128 v[2:5], v6
	v_cmp_ne_u32_e64 s[12:13], 7, v254
	s_waitcnt vmcnt(2) lgkmcnt(0)
	v_mul_f64 v[14:15], v[4:5], v[8:9]
	v_mul_f64 v[8:9], v[2:3], v[8:9]
	s_waitcnt vmcnt(0)
	v_fma_f64 v[2:3], v[2:3], v[10:11], -v[14:15]
	v_fmac_f64_e32 v[8:9], v[4:5], v[10:11]
	v_add_f64 v[4:5], v[2:3], 0
	v_add_f64 v[2:3], v[8:9], 0
	s_and_saveexec_b64 s[22:23], s[12:13]
	s_cbranch_execz .LBB126_58
; %bb.45:
	buffer_load_dword v14, v12, s[0:3], 0 offen offset:24
	buffer_load_dword v15, v12, s[0:3], 0 offen offset:28
	;; [unrolled: 1-line block ×4, first 2 shown]
	ds_read_b128 v[8:11], v6 offset:16
	s_waitcnt vmcnt(2) lgkmcnt(0)
	v_mul_f64 v[18:19], v[10:11], v[14:15]
	v_mul_f64 v[14:15], v[8:9], v[14:15]
	s_waitcnt vmcnt(0)
	v_fma_f64 v[8:9], v[8:9], v[16:17], -v[18:19]
	v_fmac_f64_e32 v[14:15], v[10:11], v[16:17]
	v_add_f64 v[4:5], v[4:5], v[8:9]
	v_add_f64 v[2:3], v[2:3], v[14:15]
	s_and_saveexec_b64 s[12:13], s[10:11]
	s_cbranch_execz .LBB126_57
; %bb.46:
	buffer_load_dword v14, v12, s[0:3], 0 offen offset:40
	buffer_load_dword v15, v12, s[0:3], 0 offen offset:44
	;; [unrolled: 1-line block ×4, first 2 shown]
	ds_read_b128 v[8:11], v6 offset:32
	v_cmp_ne_u32_e64 s[10:11], 5, v254
	s_waitcnt vmcnt(2) lgkmcnt(0)
	v_mul_f64 v[18:19], v[10:11], v[14:15]
	v_mul_f64 v[14:15], v[8:9], v[14:15]
	s_waitcnt vmcnt(0)
	v_fma_f64 v[8:9], v[8:9], v[16:17], -v[18:19]
	v_fmac_f64_e32 v[14:15], v[10:11], v[16:17]
	v_add_f64 v[4:5], v[4:5], v[8:9]
	v_add_f64 v[2:3], v[2:3], v[14:15]
	s_and_saveexec_b64 s[24:25], s[10:11]
	s_cbranch_execz .LBB126_56
; %bb.47:
	buffer_load_dword v14, v12, s[0:3], 0 offen offset:56
	buffer_load_dword v15, v12, s[0:3], 0 offen offset:60
	;; [unrolled: 1-line block ×4, first 2 shown]
	ds_read_b128 v[8:11], v6 offset:48
	s_waitcnt vmcnt(2) lgkmcnt(0)
	v_mul_f64 v[18:19], v[10:11], v[14:15]
	v_mul_f64 v[14:15], v[8:9], v[14:15]
	s_waitcnt vmcnt(0)
	v_fma_f64 v[8:9], v[8:9], v[16:17], -v[18:19]
	v_fmac_f64_e32 v[14:15], v[10:11], v[16:17]
	v_add_f64 v[4:5], v[4:5], v[8:9]
	v_add_f64 v[2:3], v[2:3], v[14:15]
	s_and_saveexec_b64 s[10:11], s[6:7]
	s_cbranch_execz .LBB126_55
; %bb.48:
	buffer_load_dword v14, v12, s[0:3], 0 offen offset:72
	buffer_load_dword v15, v12, s[0:3], 0 offen offset:76
	;; [unrolled: 1-line block ×4, first 2 shown]
	ds_read_b128 v[8:11], v6 offset:64
	v_cmp_ne_u32_e64 s[6:7], 3, v254
	s_waitcnt vmcnt(2) lgkmcnt(0)
	v_mul_f64 v[18:19], v[10:11], v[14:15]
	v_mul_f64 v[14:15], v[8:9], v[14:15]
	s_waitcnt vmcnt(0)
	v_fma_f64 v[8:9], v[8:9], v[16:17], -v[18:19]
	v_fmac_f64_e32 v[14:15], v[10:11], v[16:17]
	v_add_f64 v[4:5], v[4:5], v[8:9]
	v_add_f64 v[2:3], v[2:3], v[14:15]
	s_and_saveexec_b64 s[26:27], s[6:7]
	s_cbranch_execz .LBB126_54
; %bb.49:
	buffer_load_dword v14, v12, s[0:3], 0 offen offset:88
	buffer_load_dword v15, v12, s[0:3], 0 offen offset:92
	;; [unrolled: 1-line block ×4, first 2 shown]
	ds_read_b128 v[8:11], v6 offset:80
	s_waitcnt vmcnt(2) lgkmcnt(0)
	v_mul_f64 v[18:19], v[10:11], v[14:15]
	v_mul_f64 v[14:15], v[8:9], v[14:15]
	s_waitcnt vmcnt(0)
	v_fma_f64 v[8:9], v[8:9], v[16:17], -v[18:19]
	v_fmac_f64_e32 v[14:15], v[10:11], v[16:17]
	v_add_f64 v[4:5], v[4:5], v[8:9]
	v_add_f64 v[2:3], v[2:3], v[14:15]
	s_and_saveexec_b64 s[6:7], vcc
	s_cbranch_execz .LBB126_53
; %bb.50:
	buffer_load_dword v14, v12, s[0:3], 0 offen offset:104
	buffer_load_dword v15, v12, s[0:3], 0 offen offset:108
	buffer_load_dword v16, v12, s[0:3], 0 offen offset:96
	buffer_load_dword v17, v12, s[0:3], 0 offen offset:100
	ds_read_b128 v[8:11], v6 offset:96
	s_waitcnt vmcnt(2) lgkmcnt(0)
	v_mul_f64 v[18:19], v[10:11], v[14:15]
	v_mul_f64 v[14:15], v[8:9], v[14:15]
	s_waitcnt vmcnt(0)
	v_fma_f64 v[8:9], v[8:9], v[16:17], -v[18:19]
	v_fmac_f64_e32 v[14:15], v[10:11], v[16:17]
	v_add_f64 v[4:5], v[4:5], v[8:9]
	v_add_f64 v[2:3], v[2:3], v[14:15]
	s_and_saveexec_b64 s[28:29], s[4:5]
	s_cbranch_execz .LBB126_52
; %bb.51:
	buffer_load_dword v14, v12, s[0:3], 0 offen offset:120
	buffer_load_dword v15, v12, s[0:3], 0 offen offset:124
	;; [unrolled: 1-line block ×4, first 2 shown]
	ds_read_b128 v[8:11], v6 offset:112
	s_waitcnt vmcnt(2) lgkmcnt(0)
	v_mul_f64 v[12:13], v[10:11], v[14:15]
	v_mul_f64 v[14:15], v[8:9], v[14:15]
	s_waitcnt vmcnt(0)
	v_fma_f64 v[8:9], v[8:9], v[16:17], -v[12:13]
	v_fmac_f64_e32 v[14:15], v[10:11], v[16:17]
	v_add_f64 v[4:5], v[4:5], v[8:9]
	v_add_f64 v[2:3], v[2:3], v[14:15]
.LBB126_52:
	s_or_b64 exec, exec, s[28:29]
.LBB126_53:
	s_or_b64 exec, exec, s[6:7]
.LBB126_54:
	s_or_b64 exec, exec, s[26:27]
.LBB126_55:
	s_or_b64 exec, exec, s[10:11]
.LBB126_56:
	s_or_b64 exec, exec, s[24:25]
.LBB126_57:
	s_or_b64 exec, exec, s[12:13]
.LBB126_58:
	s_or_b64 exec, exec, s[22:23]
	v_mov_b32_e32 v0, 0
	ds_read_b128 v[8:11], v0 offset:128
	s_waitcnt lgkmcnt(0)
	v_mul_f64 v[12:13], v[2:3], v[10:11]
	v_mul_f64 v[10:11], v[4:5], v[10:11]
	v_fma_f64 v[4:5], v[4:5], v[8:9], -v[12:13]
	v_fmac_f64_e32 v[10:11], v[2:3], v[8:9]
	buffer_store_dword v5, off, s[0:3], 0 offset:148
	buffer_store_dword v4, off, s[0:3], 0 offset:144
	;; [unrolled: 1-line block ×4, first 2 shown]
.LBB126_59:
	s_or_b64 exec, exec, s[20:21]
	v_accvgpr_read_b32 v0, a179
	s_waitcnt lgkmcnt(0)
	; wave barrier
	buffer_load_dword v2, v0, s[0:3], 0 offen
	buffer_load_dword v3, v0, s[0:3], 0 offen offset:4
	buffer_load_dword v4, v0, s[0:3], 0 offen offset:8
	buffer_load_dword v5, v0, s[0:3], 0 offen offset:12
	v_cmp_gt_u32_e32 vcc, 9, v254
	s_waitcnt vmcnt(0)
	ds_write_b128 v6, v[2:5]
	s_waitcnt lgkmcnt(0)
	; wave barrier
	s_waitcnt lgkmcnt(0)
	s_and_saveexec_b64 s[4:5], vcc
	s_cbranch_execz .LBB126_63
; %bb.60:
	v_pk_mov_b32 v[2:3], 0, 0
	v_add_u32_e32 v8, -1, v254
	v_add_u32_e32 v9, 0x3f0, v1
	v_add_u32_e32 v10, 16, v1
	s_mov_b64 s[6:7], 0
	v_pk_mov_b32 v[4:5], v[2:3], v[2:3] op_sel:[0,1]
.LBB126_61:                             ; =>This Inner Loop Header: Depth=1
	buffer_load_dword v16, v10, s[0:3], 0 offen offset:8
	buffer_load_dword v17, v10, s[0:3], 0 offen offset:12
	buffer_load_dword v18, v10, s[0:3], 0 offen
	buffer_load_dword v19, v10, s[0:3], 0 offen offset:4
	ds_read_b128 v[12:15], v9
	v_add_u32_e32 v8, 1, v8
	v_cmp_lt_u32_e32 vcc, 7, v8
	v_add_u32_e32 v9, 16, v9
	v_add_u32_e32 v10, 16, v10
	s_or_b64 s[6:7], vcc, s[6:7]
	s_waitcnt vmcnt(2) lgkmcnt(0)
	v_mul_f64 v[20:21], v[14:15], v[16:17]
	v_mul_f64 v[16:17], v[12:13], v[16:17]
	s_waitcnt vmcnt(0)
	v_fma_f64 v[12:13], v[12:13], v[18:19], -v[20:21]
	v_fmac_f64_e32 v[16:17], v[14:15], v[18:19]
	v_add_f64 v[4:5], v[4:5], v[12:13]
	v_add_f64 v[2:3], v[2:3], v[16:17]
	s_andn2_b64 exec, exec, s[6:7]
	s_cbranch_execnz .LBB126_61
; %bb.62:
	s_or_b64 exec, exec, s[6:7]
	v_mov_b32_e32 v0, 0
	ds_read_b128 v[8:11], v0 offset:144
	s_waitcnt lgkmcnt(0)
	v_mul_f64 v[12:13], v[2:3], v[10:11]
	v_mul_f64 v[10:11], v[4:5], v[10:11]
	v_fma_f64 v[4:5], v[4:5], v[8:9], -v[12:13]
	v_fmac_f64_e32 v[10:11], v[2:3], v[8:9]
	buffer_store_dword v5, off, s[0:3], 0 offset:164
	buffer_store_dword v4, off, s[0:3], 0 offset:160
	buffer_store_dword v11, off, s[0:3], 0 offset:172
	buffer_store_dword v10, off, s[0:3], 0 offset:168
.LBB126_63:
	s_or_b64 exec, exec, s[4:5]
	v_accvgpr_read_b32 v0, a178
	s_waitcnt lgkmcnt(0)
	; wave barrier
	buffer_load_dword v2, v0, s[0:3], 0 offen
	buffer_load_dword v3, v0, s[0:3], 0 offen offset:4
	buffer_load_dword v4, v0, s[0:3], 0 offen offset:8
	buffer_load_dword v5, v0, s[0:3], 0 offen offset:12
	v_cmp_gt_u32_e32 vcc, 10, v254
	s_waitcnt vmcnt(0)
	ds_write_b128 v6, v[2:5]
	s_waitcnt lgkmcnt(0)
	; wave barrier
	s_waitcnt lgkmcnt(0)
	s_and_saveexec_b64 s[4:5], vcc
	s_cbranch_execz .LBB126_67
; %bb.64:
	v_pk_mov_b32 v[2:3], 0, 0
	v_add_u32_e32 v8, -1, v254
	v_add_u32_e32 v9, 0x3f0, v1
	v_add_u32_e32 v10, 16, v1
	s_mov_b64 s[6:7], 0
	v_pk_mov_b32 v[4:5], v[2:3], v[2:3] op_sel:[0,1]
.LBB126_65:                             ; =>This Inner Loop Header: Depth=1
	buffer_load_dword v16, v10, s[0:3], 0 offen offset:8
	buffer_load_dword v17, v10, s[0:3], 0 offen offset:12
	buffer_load_dword v18, v10, s[0:3], 0 offen
	buffer_load_dword v19, v10, s[0:3], 0 offen offset:4
	ds_read_b128 v[12:15], v9
	v_add_u32_e32 v8, 1, v8
	v_cmp_lt_u32_e32 vcc, 8, v8
	v_add_u32_e32 v9, 16, v9
	v_add_u32_e32 v10, 16, v10
	s_or_b64 s[6:7], vcc, s[6:7]
	s_waitcnt vmcnt(2) lgkmcnt(0)
	v_mul_f64 v[20:21], v[14:15], v[16:17]
	v_mul_f64 v[16:17], v[12:13], v[16:17]
	s_waitcnt vmcnt(0)
	v_fma_f64 v[12:13], v[12:13], v[18:19], -v[20:21]
	v_fmac_f64_e32 v[16:17], v[14:15], v[18:19]
	v_add_f64 v[4:5], v[4:5], v[12:13]
	v_add_f64 v[2:3], v[2:3], v[16:17]
	s_andn2_b64 exec, exec, s[6:7]
	s_cbranch_execnz .LBB126_65
; %bb.66:
	s_or_b64 exec, exec, s[6:7]
	v_mov_b32_e32 v0, 0
	ds_read_b128 v[8:11], v0 offset:160
	s_waitcnt lgkmcnt(0)
	v_mul_f64 v[12:13], v[2:3], v[10:11]
	v_mul_f64 v[10:11], v[4:5], v[10:11]
	v_fma_f64 v[4:5], v[4:5], v[8:9], -v[12:13]
	v_fmac_f64_e32 v[10:11], v[2:3], v[8:9]
	buffer_store_dword v5, off, s[0:3], 0 offset:180
	buffer_store_dword v4, off, s[0:3], 0 offset:176
	buffer_store_dword v11, off, s[0:3], 0 offset:188
	buffer_store_dword v10, off, s[0:3], 0 offset:184
.LBB126_67:
	;; [unrolled: 58-line block ×10, first 2 shown]
	s_or_b64 exec, exec, s[4:5]
	v_accvgpr_read_b32 v0, a169
	s_waitcnt lgkmcnt(0)
	; wave barrier
	buffer_load_dword v2, v0, s[0:3], 0 offen
	buffer_load_dword v3, v0, s[0:3], 0 offen offset:4
	buffer_load_dword v4, v0, s[0:3], 0 offen offset:8
	buffer_load_dword v5, v0, s[0:3], 0 offen offset:12
	v_cmp_gt_u32_e32 vcc, 19, v254
	s_waitcnt vmcnt(0)
	ds_write_b128 v6, v[2:5]
	s_waitcnt lgkmcnt(0)
	; wave barrier
	s_waitcnt lgkmcnt(0)
	s_and_saveexec_b64 s[4:5], vcc
	s_cbranch_execz .LBB126_103
; %bb.100:
	v_pk_mov_b32 v[2:3], 0, 0
	v_add_u32_e32 v8, -1, v254
	v_add_u32_e32 v9, 0x3f0, v1
	v_add_u32_e32 v10, 16, v1
	s_mov_b64 s[6:7], 0
	v_pk_mov_b32 v[4:5], v[2:3], v[2:3] op_sel:[0,1]
.LBB126_101:                            ; =>This Inner Loop Header: Depth=1
	buffer_load_dword v16, v10, s[0:3], 0 offen offset:8
	buffer_load_dword v17, v10, s[0:3], 0 offen offset:12
	buffer_load_dword v18, v10, s[0:3], 0 offen
	buffer_load_dword v19, v10, s[0:3], 0 offen offset:4
	ds_read_b128 v[12:15], v9
	v_add_u32_e32 v8, 1, v8
	v_cmp_lt_u32_e32 vcc, 17, v8
	v_add_u32_e32 v9, 16, v9
	v_add_u32_e32 v10, 16, v10
	s_or_b64 s[6:7], vcc, s[6:7]
	s_waitcnt vmcnt(2) lgkmcnt(0)
	v_mul_f64 v[20:21], v[14:15], v[16:17]
	v_mul_f64 v[16:17], v[12:13], v[16:17]
	s_waitcnt vmcnt(0)
	v_fma_f64 v[12:13], v[12:13], v[18:19], -v[20:21]
	v_fmac_f64_e32 v[16:17], v[14:15], v[18:19]
	v_add_f64 v[4:5], v[4:5], v[12:13]
	v_add_f64 v[2:3], v[2:3], v[16:17]
	s_andn2_b64 exec, exec, s[6:7]
	s_cbranch_execnz .LBB126_101
; %bb.102:
	s_or_b64 exec, exec, s[6:7]
	v_mov_b32_e32 v0, 0
	ds_read_b128 v[8:11], v0 offset:304
	s_waitcnt lgkmcnt(0)
	v_mul_f64 v[12:13], v[2:3], v[10:11]
	v_mul_f64 v[10:11], v[4:5], v[10:11]
	v_fma_f64 v[4:5], v[4:5], v[8:9], -v[12:13]
	v_fmac_f64_e32 v[10:11], v[2:3], v[8:9]
	buffer_store_dword v5, off, s[0:3], 0 offset:324
	buffer_store_dword v4, off, s[0:3], 0 offset:320
	buffer_store_dword v11, off, s[0:3], 0 offset:332
	buffer_store_dword v10, off, s[0:3], 0 offset:328
.LBB126_103:
	s_or_b64 exec, exec, s[4:5]
	v_accvgpr_read_b32 v0, a168
	s_waitcnt lgkmcnt(0)
	; wave barrier
	buffer_load_dword v2, v0, s[0:3], 0 offen
	buffer_load_dword v3, v0, s[0:3], 0 offen offset:4
	buffer_load_dword v4, v0, s[0:3], 0 offen offset:8
	buffer_load_dword v5, v0, s[0:3], 0 offen offset:12
	v_cmp_gt_u32_e32 vcc, 20, v254
	s_waitcnt vmcnt(0)
	ds_write_b128 v6, v[2:5]
	s_waitcnt lgkmcnt(0)
	; wave barrier
	s_waitcnt lgkmcnt(0)
	s_and_saveexec_b64 s[4:5], vcc
	s_cbranch_execz .LBB126_107
; %bb.104:
	v_pk_mov_b32 v[2:3], 0, 0
	v_add_u32_e32 v8, -1, v254
	v_add_u32_e32 v9, 0x3f0, v1
	v_add_u32_e32 v10, 16, v1
	s_mov_b64 s[6:7], 0
	v_pk_mov_b32 v[4:5], v[2:3], v[2:3] op_sel:[0,1]
.LBB126_105:                            ; =>This Inner Loop Header: Depth=1
	buffer_load_dword v16, v10, s[0:3], 0 offen offset:8
	buffer_load_dword v17, v10, s[0:3], 0 offen offset:12
	buffer_load_dword v18, v10, s[0:3], 0 offen
	buffer_load_dword v19, v10, s[0:3], 0 offen offset:4
	ds_read_b128 v[12:15], v9
	v_add_u32_e32 v8, 1, v8
	v_cmp_lt_u32_e32 vcc, 18, v8
	v_add_u32_e32 v9, 16, v9
	v_add_u32_e32 v10, 16, v10
	s_or_b64 s[6:7], vcc, s[6:7]
	s_waitcnt vmcnt(2) lgkmcnt(0)
	v_mul_f64 v[20:21], v[14:15], v[16:17]
	v_mul_f64 v[16:17], v[12:13], v[16:17]
	s_waitcnt vmcnt(0)
	v_fma_f64 v[12:13], v[12:13], v[18:19], -v[20:21]
	v_fmac_f64_e32 v[16:17], v[14:15], v[18:19]
	v_add_f64 v[4:5], v[4:5], v[12:13]
	v_add_f64 v[2:3], v[2:3], v[16:17]
	s_andn2_b64 exec, exec, s[6:7]
	s_cbranch_execnz .LBB126_105
; %bb.106:
	s_or_b64 exec, exec, s[6:7]
	v_mov_b32_e32 v0, 0
	ds_read_b128 v[8:11], v0 offset:320
	s_waitcnt lgkmcnt(0)
	v_mul_f64 v[12:13], v[2:3], v[10:11]
	v_mul_f64 v[10:11], v[4:5], v[10:11]
	v_fma_f64 v[4:5], v[4:5], v[8:9], -v[12:13]
	v_fmac_f64_e32 v[10:11], v[2:3], v[8:9]
	buffer_store_dword v5, off, s[0:3], 0 offset:340
	buffer_store_dword v4, off, s[0:3], 0 offset:336
	buffer_store_dword v11, off, s[0:3], 0 offset:348
	buffer_store_dword v10, off, s[0:3], 0 offset:344
.LBB126_107:
	;; [unrolled: 58-line block ×43, first 2 shown]
	s_or_b64 exec, exec, s[4:5]
	v_accvgpr_read_b32 v0, a126
	s_waitcnt lgkmcnt(0)
	; wave barrier
	buffer_load_dword v2, v0, s[0:3], 0 offen
	buffer_load_dword v3, v0, s[0:3], 0 offen offset:4
	buffer_load_dword v4, v0, s[0:3], 0 offen offset:8
	;; [unrolled: 1-line block ×3, first 2 shown]
	v_cmp_ne_u32_e32 vcc, 62, v254
	s_waitcnt vmcnt(0)
	ds_write_b128 v6, v[2:5]
	s_waitcnt lgkmcnt(0)
	; wave barrier
	s_waitcnt lgkmcnt(0)
	s_and_saveexec_b64 s[4:5], vcc
	s_cbranch_execz .LBB126_275
; %bb.272:
	v_pk_mov_b32 v[2:3], 0, 0
	v_add_u32_e32 v6, 0x3f0, v1
	v_add_u32_e32 v1, 16, v1
	s_mov_b64 s[6:7], 0
	v_pk_mov_b32 v[4:5], v[2:3], v[2:3] op_sel:[0,1]
.LBB126_273:                            ; =>This Inner Loop Header: Depth=1
	buffer_load_dword v12, v1, s[0:3], 0 offen offset:8
	buffer_load_dword v13, v1, s[0:3], 0 offen offset:12
	buffer_load_dword v14, v1, s[0:3], 0 offen
	buffer_load_dword v15, v1, s[0:3], 0 offen offset:4
	ds_read_b128 v[8:11], v6
	v_add_u32_e32 v7, 1, v7
	v_cmp_lt_u32_e32 vcc, 60, v7
	v_add_u32_e32 v6, 16, v6
	v_add_u32_e32 v1, 16, v1
	s_or_b64 s[6:7], vcc, s[6:7]
	s_waitcnt vmcnt(2) lgkmcnt(0)
	v_mul_f64 v[16:17], v[10:11], v[12:13]
	v_mul_f64 v[12:13], v[8:9], v[12:13]
	s_waitcnt vmcnt(0)
	v_fma_f64 v[8:9], v[8:9], v[14:15], -v[16:17]
	v_fmac_f64_e32 v[12:13], v[10:11], v[14:15]
	v_add_f64 v[4:5], v[4:5], v[8:9]
	v_add_f64 v[2:3], v[2:3], v[12:13]
	s_andn2_b64 exec, exec, s[6:7]
	s_cbranch_execnz .LBB126_273
; %bb.274:
	s_or_b64 exec, exec, s[6:7]
	v_mov_b32_e32 v0, 0
	ds_read_b128 v[6:9], v0 offset:992
	s_waitcnt lgkmcnt(0)
	v_mul_f64 v[0:1], v[2:3], v[8:9]
	v_mul_f64 v[8:9], v[4:5], v[8:9]
	v_fma_f64 v[0:1], v[4:5], v[6:7], -v[0:1]
	v_fmac_f64_e32 v[8:9], v[2:3], v[6:7]
	buffer_store_dword v1, off, s[0:3], 0 offset:1012
	buffer_store_dword v0, off, s[0:3], 0 offset:1008
	;; [unrolled: 1-line block ×4, first 2 shown]
.LBB126_275:
	s_or_b64 exec, exec, s[4:5]
	s_mov_b64 s[6:7], -1
	s_waitcnt lgkmcnt(0)
	; wave barrier
.LBB126_276:
	s_and_b64 vcc, exec, s[6:7]
	s_cbranch_vccz .LBB126_278
; %bb.277:
	s_lshl_b64 s[4:5], s[8:9], 2
	s_add_u32 s4, s14, s4
	s_addc_u32 s5, s15, s5
	v_mov_b32_e32 v0, 0
	global_load_dword v0, v0, s[4:5]
	s_waitcnt vmcnt(0)
	v_cmp_ne_u32_e32 vcc, 0, v0
	s_cbranch_vccz .LBB126_279
.LBB126_278:
	s_endpgm
.LBB126_279:
	v_mov_b32_e32 v0, 0x3f0
	v_lshl_add_u32 v0, v254, 4, v0
	v_accvgpr_write_b32 a189, v0
	v_cmp_eq_u32_e32 vcc, 62, v254
	s_and_saveexec_b64 s[4:5], vcc
	s_cbranch_execz .LBB126_281
; %bb.280:
	v_accvgpr_read_b32 v0, a127
	buffer_load_dword v2, v0, s[0:3], 0 offen
	buffer_load_dword v3, v0, s[0:3], 0 offen offset:4
	buffer_load_dword v4, v0, s[0:3], 0 offen offset:8
	buffer_load_dword v5, v0, s[0:3], 0 offen offset:12
	v_mov_b32_e32 v0, 0
	v_accvgpr_read_b32 v1, a189
	buffer_store_dword v0, off, s[0:3], 0 offset:992
	buffer_store_dword v0, off, s[0:3], 0 offset:996
	;; [unrolled: 1-line block ×4, first 2 shown]
	s_waitcnt vmcnt(4)
	ds_write_b128 v1, v[2:5]
.LBB126_281:
	s_or_b64 exec, exec, s[4:5]
	s_waitcnt lgkmcnt(0)
	; wave barrier
	s_waitcnt lgkmcnt(0)
	buffer_load_dword v6, off, s[0:3], 0 offset:1016
	buffer_load_dword v7, off, s[0:3], 0 offset:1020
	;; [unrolled: 1-line block ×8, first 2 shown]
	v_mov_b32_e32 v1, 0
	ds_read_b128 v[2:5], v1 offset:2000
	v_cmp_lt_u32_e32 vcc, 60, v254
	s_waitcnt vmcnt(6) lgkmcnt(0)
	v_mul_f64 v[14:15], v[2:3], v[6:7]
	v_mul_f64 v[6:7], v[4:5], v[6:7]
	s_waitcnt vmcnt(4)
	v_fma_f64 v[2:3], v[2:3], v[8:9], -v[6:7]
	v_fmac_f64_e32 v[14:15], v[4:5], v[8:9]
	v_add_f64 v[2:3], v[2:3], 0
	v_add_f64 v[4:5], v[14:15], 0
	s_waitcnt vmcnt(2)
	v_add_f64 v[2:3], v[10:11], -v[2:3]
	s_waitcnt vmcnt(0)
	v_add_f64 v[4:5], v[12:13], -v[4:5]
	buffer_store_dword v2, off, s[0:3], 0 offset:992
	buffer_store_dword v3, off, s[0:3], 0 offset:996
	;; [unrolled: 1-line block ×4, first 2 shown]
	s_and_saveexec_b64 s[4:5], vcc
	s_cbranch_execz .LBB126_283
; %bb.282:
	v_accvgpr_read_b32 v0, a128
	buffer_load_dword v2, v0, s[0:3], 0 offen
	buffer_load_dword v3, v0, s[0:3], 0 offen offset:4
	buffer_load_dword v4, v0, s[0:3], 0 offen offset:8
	;; [unrolled: 1-line block ×3, first 2 shown]
	v_accvgpr_read_b32 v0, a189
	buffer_store_dword v1, off, s[0:3], 0 offset:976
	buffer_store_dword v1, off, s[0:3], 0 offset:980
	buffer_store_dword v1, off, s[0:3], 0 offset:984
	buffer_store_dword v1, off, s[0:3], 0 offset:988
	s_waitcnt vmcnt(4)
	ds_write_b128 v0, v[2:5]
.LBB126_283:
	s_or_b64 exec, exec, s[4:5]
	s_waitcnt lgkmcnt(0)
	; wave barrier
	s_waitcnt lgkmcnt(0)
	buffer_load_dword v10, off, s[0:3], 0 offset:1000
	buffer_load_dword v11, off, s[0:3], 0 offset:1004
	;; [unrolled: 1-line block ×12, first 2 shown]
	ds_read_b128 v[2:5], v1 offset:1984
	ds_read_b128 v[6:9], v1 offset:2000
	v_cmp_lt_u32_e32 vcc, 59, v254
	s_waitcnt vmcnt(10) lgkmcnt(1)
	v_mul_f64 v[0:1], v[2:3], v[10:11]
	v_mul_f64 v[10:11], v[4:5], v[10:11]
	s_waitcnt vmcnt(8) lgkmcnt(0)
	v_mul_f64 v[22:23], v[6:7], v[12:13]
	v_mul_f64 v[12:13], v[8:9], v[12:13]
	s_waitcnt vmcnt(6)
	v_fma_f64 v[2:3], v[2:3], v[14:15], -v[10:11]
	v_fmac_f64_e32 v[0:1], v[4:5], v[14:15]
	s_waitcnt vmcnt(4)
	v_fma_f64 v[4:5], v[6:7], v[16:17], -v[12:13]
	v_add_f64 v[2:3], v[2:3], 0
	v_fmac_f64_e32 v[22:23], v[8:9], v[16:17]
	v_add_f64 v[0:1], v[0:1], 0
	v_add_f64 v[2:3], v[2:3], v[4:5]
	;; [unrolled: 1-line block ×3, first 2 shown]
	s_waitcnt vmcnt(2)
	v_add_f64 v[2:3], v[18:19], -v[2:3]
	s_waitcnt vmcnt(0)
	v_add_f64 v[0:1], v[20:21], -v[0:1]
	buffer_store_dword v2, off, s[0:3], 0 offset:976
	buffer_store_dword v3, off, s[0:3], 0 offset:980
	;; [unrolled: 1-line block ×4, first 2 shown]
	s_and_saveexec_b64 s[4:5], vcc
	s_cbranch_execz .LBB126_285
; %bb.284:
	v_accvgpr_read_b32 v0, a129
	buffer_load_dword v2, v0, s[0:3], 0 offen
	buffer_load_dword v3, v0, s[0:3], 0 offen offset:4
	buffer_load_dword v4, v0, s[0:3], 0 offen offset:8
	;; [unrolled: 1-line block ×3, first 2 shown]
	v_mov_b32_e32 v0, 0
	v_accvgpr_read_b32 v1, a189
	buffer_store_dword v0, off, s[0:3], 0 offset:960
	buffer_store_dword v0, off, s[0:3], 0 offset:964
	;; [unrolled: 1-line block ×4, first 2 shown]
	s_waitcnt vmcnt(4)
	ds_write_b128 v1, v[2:5]
.LBB126_285:
	s_or_b64 exec, exec, s[4:5]
	s_waitcnt lgkmcnt(0)
	; wave barrier
	s_waitcnt lgkmcnt(0)
	buffer_load_dword v14, off, s[0:3], 0 offset:984
	buffer_load_dword v15, off, s[0:3], 0 offset:988
	;; [unrolled: 1-line block ×16, first 2 shown]
	v_mov_b32_e32 v1, 0
	ds_read_b128 v[2:5], v1 offset:1968
	ds_read_b128 v[6:9], v1 offset:1984
	;; [unrolled: 1-line block ×3, first 2 shown]
	v_cmp_lt_u32_e32 vcc, 58, v254
	s_waitcnt vmcnt(14) lgkmcnt(2)
	v_mul_f64 v[30:31], v[2:3], v[14:15]
	v_mul_f64 v[14:15], v[4:5], v[14:15]
	s_waitcnt vmcnt(12) lgkmcnt(1)
	v_mul_f64 v[32:33], v[6:7], v[16:17]
	v_mul_f64 v[16:17], v[8:9], v[16:17]
	;; [unrolled: 3-line block ×3, first 2 shown]
	s_waitcnt vmcnt(8)
	v_fma_f64 v[2:3], v[2:3], v[20:21], -v[14:15]
	v_fmac_f64_e32 v[30:31], v[4:5], v[20:21]
	s_waitcnt vmcnt(6)
	v_fma_f64 v[4:5], v[6:7], v[22:23], -v[16:17]
	v_add_f64 v[2:3], v[2:3], 0
	v_fmac_f64_e32 v[32:33], v[8:9], v[22:23]
	s_waitcnt vmcnt(4)
	v_fma_f64 v[6:7], v[10:11], v[24:25], -v[18:19]
	v_add_f64 v[8:9], v[30:31], 0
	v_add_f64 v[2:3], v[2:3], v[4:5]
	v_fmac_f64_e32 v[34:35], v[12:13], v[24:25]
	v_add_f64 v[8:9], v[8:9], v[32:33]
	v_add_f64 v[2:3], v[2:3], v[6:7]
	;; [unrolled: 1-line block ×3, first 2 shown]
	s_waitcnt vmcnt(2)
	v_add_f64 v[2:3], v[26:27], -v[2:3]
	s_waitcnt vmcnt(0)
	v_add_f64 v[4:5], v[28:29], -v[4:5]
	buffer_store_dword v2, off, s[0:3], 0 offset:960
	buffer_store_dword v3, off, s[0:3], 0 offset:964
	buffer_store_dword v4, off, s[0:3], 0 offset:968
	buffer_store_dword v5, off, s[0:3], 0 offset:972
	s_and_saveexec_b64 s[4:5], vcc
	s_cbranch_execz .LBB126_287
; %bb.286:
	v_accvgpr_read_b32 v0, a130
	buffer_load_dword v2, v0, s[0:3], 0 offen
	buffer_load_dword v3, v0, s[0:3], 0 offen offset:4
	buffer_load_dword v4, v0, s[0:3], 0 offen offset:8
	;; [unrolled: 1-line block ×3, first 2 shown]
	v_accvgpr_read_b32 v0, a189
	buffer_store_dword v1, off, s[0:3], 0 offset:944
	buffer_store_dword v1, off, s[0:3], 0 offset:948
	;; [unrolled: 1-line block ×4, first 2 shown]
	s_waitcnt vmcnt(4)
	ds_write_b128 v0, v[2:5]
.LBB126_287:
	s_or_b64 exec, exec, s[4:5]
	s_waitcnt lgkmcnt(0)
	; wave barrier
	s_waitcnt lgkmcnt(0)
	buffer_load_dword v18, off, s[0:3], 0 offset:968
	buffer_load_dword v19, off, s[0:3], 0 offset:972
	;; [unrolled: 1-line block ×20, first 2 shown]
	ds_read_b128 v[2:5], v1 offset:1952
	ds_read_b128 v[6:9], v1 offset:1968
	;; [unrolled: 1-line block ×4, first 2 shown]
	v_cmp_lt_u32_e32 vcc, 57, v254
	s_waitcnt vmcnt(18) lgkmcnt(3)
	v_mul_f64 v[0:1], v[2:3], v[18:19]
	v_mul_f64 v[18:19], v[4:5], v[18:19]
	s_waitcnt vmcnt(16) lgkmcnt(2)
	v_mul_f64 v[38:39], v[6:7], v[20:21]
	v_mul_f64 v[20:21], v[8:9], v[20:21]
	;; [unrolled: 3-line block ×4, first 2 shown]
	s_waitcnt vmcnt(10)
	v_fma_f64 v[2:3], v[2:3], v[26:27], -v[18:19]
	v_fmac_f64_e32 v[0:1], v[4:5], v[26:27]
	s_waitcnt vmcnt(8)
	v_fma_f64 v[4:5], v[6:7], v[28:29], -v[20:21]
	v_add_f64 v[2:3], v[2:3], 0
	v_fmac_f64_e32 v[38:39], v[8:9], v[28:29]
	s_waitcnt vmcnt(6)
	v_fma_f64 v[6:7], v[10:11], v[30:31], -v[22:23]
	v_add_f64 v[0:1], v[0:1], 0
	v_add_f64 v[2:3], v[2:3], v[4:5]
	v_fmac_f64_e32 v[40:41], v[12:13], v[30:31]
	s_waitcnt vmcnt(4)
	v_fma_f64 v[8:9], v[14:15], v[32:33], -v[24:25]
	v_add_f64 v[0:1], v[0:1], v[38:39]
	v_add_f64 v[2:3], v[2:3], v[6:7]
	v_fmac_f64_e32 v[42:43], v[16:17], v[32:33]
	v_add_f64 v[0:1], v[0:1], v[40:41]
	v_add_f64 v[2:3], v[2:3], v[8:9]
	;; [unrolled: 1-line block ×3, first 2 shown]
	s_waitcnt vmcnt(2)
	v_add_f64 v[2:3], v[34:35], -v[2:3]
	s_waitcnt vmcnt(0)
	v_add_f64 v[0:1], v[36:37], -v[0:1]
	buffer_store_dword v2, off, s[0:3], 0 offset:944
	buffer_store_dword v3, off, s[0:3], 0 offset:948
	;; [unrolled: 1-line block ×4, first 2 shown]
	s_and_saveexec_b64 s[4:5], vcc
	s_cbranch_execz .LBB126_289
; %bb.288:
	v_accvgpr_read_b32 v0, a131
	buffer_load_dword v2, v0, s[0:3], 0 offen
	buffer_load_dword v3, v0, s[0:3], 0 offen offset:4
	buffer_load_dword v4, v0, s[0:3], 0 offen offset:8
	;; [unrolled: 1-line block ×3, first 2 shown]
	v_mov_b32_e32 v0, 0
	v_accvgpr_read_b32 v1, a189
	buffer_store_dword v0, off, s[0:3], 0 offset:928
	buffer_store_dword v0, off, s[0:3], 0 offset:932
	;; [unrolled: 1-line block ×4, first 2 shown]
	s_waitcnt vmcnt(4)
	ds_write_b128 v1, v[2:5]
.LBB126_289:
	s_or_b64 exec, exec, s[4:5]
	s_waitcnt lgkmcnt(0)
	; wave barrier
	s_waitcnt lgkmcnt(0)
	buffer_load_dword v22, off, s[0:3], 0 offset:952
	buffer_load_dword v23, off, s[0:3], 0 offset:956
	;; [unrolled: 1-line block ×24, first 2 shown]
	v_mov_b32_e32 v1, 0
	ds_read_b128 v[2:5], v1 offset:1936
	ds_read_b128 v[6:9], v1 offset:1952
	;; [unrolled: 1-line block ×5, first 2 shown]
	v_cmp_lt_u32_e32 vcc, 56, v254
	s_waitcnt vmcnt(22) lgkmcnt(4)
	v_mul_f64 v[46:47], v[2:3], v[22:23]
	v_mul_f64 v[22:23], v[4:5], v[22:23]
	s_waitcnt vmcnt(20) lgkmcnt(3)
	v_mul_f64 v[48:49], v[6:7], v[24:25]
	v_mul_f64 v[24:25], v[8:9], v[24:25]
	;; [unrolled: 3-line block ×4, first 2 shown]
	s_waitcnt vmcnt(13) lgkmcnt(0)
	v_mul_f64 v[54:55], v[18:19], v[28:29]
	s_waitcnt vmcnt(11)
	v_fma_f64 v[2:3], v[2:3], v[34:35], -v[22:23]
	v_fmac_f64_e32 v[46:47], v[4:5], v[34:35]
	s_waitcnt vmcnt(9)
	v_fma_f64 v[4:5], v[6:7], v[36:37], -v[24:25]
	v_add_f64 v[2:3], v[2:3], 0
	v_fmac_f64_e32 v[48:49], v[8:9], v[36:37]
	s_waitcnt vmcnt(7)
	v_fmac_f64_e32 v[50:51], v[12:13], v[38:39]
	v_fma_f64 v[6:7], v[10:11], v[38:39], -v[26:27]
	v_add_f64 v[12:13], v[46:47], 0
	v_add_f64 v[2:3], v[2:3], v[4:5]
	v_mul_f64 v[28:29], v[20:21], v[28:29]
	s_waitcnt vmcnt(5)
	v_fma_f64 v[8:9], v[14:15], v[40:41], -v[32:33]
	v_add_f64 v[12:13], v[12:13], v[48:49]
	v_add_f64 v[2:3], v[2:3], v[6:7]
	v_fmac_f64_e32 v[52:53], v[16:17], v[40:41]
	s_waitcnt vmcnt(4)
	v_fma_f64 v[10:11], v[18:19], v[30:31], -v[28:29]
	v_add_f64 v[4:5], v[12:13], v[50:51]
	v_add_f64 v[2:3], v[2:3], v[8:9]
	v_fmac_f64_e32 v[54:55], v[20:21], v[30:31]
	v_add_f64 v[4:5], v[4:5], v[52:53]
	v_add_f64 v[2:3], v[2:3], v[10:11]
	;; [unrolled: 1-line block ×3, first 2 shown]
	s_waitcnt vmcnt(2)
	v_add_f64 v[2:3], v[42:43], -v[2:3]
	s_waitcnt vmcnt(0)
	v_add_f64 v[4:5], v[44:45], -v[4:5]
	buffer_store_dword v3, off, s[0:3], 0 offset:932
	buffer_store_dword v2, off, s[0:3], 0 offset:928
	;; [unrolled: 1-line block ×4, first 2 shown]
	s_and_saveexec_b64 s[4:5], vcc
	s_cbranch_execz .LBB126_291
; %bb.290:
	v_accvgpr_read_b32 v0, a132
	buffer_load_dword v2, v0, s[0:3], 0 offen
	buffer_load_dword v3, v0, s[0:3], 0 offen offset:4
	buffer_load_dword v4, v0, s[0:3], 0 offen offset:8
	buffer_load_dword v5, v0, s[0:3], 0 offen offset:12
	v_accvgpr_read_b32 v0, a189
	buffer_store_dword v1, off, s[0:3], 0 offset:912
	buffer_store_dword v1, off, s[0:3], 0 offset:916
	;; [unrolled: 1-line block ×4, first 2 shown]
	s_waitcnt vmcnt(4)
	ds_write_b128 v0, v[2:5]
.LBB126_291:
	s_or_b64 exec, exec, s[4:5]
	s_waitcnt lgkmcnt(0)
	; wave barrier
	s_waitcnt lgkmcnt(0)
	buffer_load_dword v26, off, s[0:3], 0 offset:936
	buffer_load_dword v27, off, s[0:3], 0 offset:940
	;; [unrolled: 1-line block ×28, first 2 shown]
	ds_read_b128 v[2:5], v1 offset:1920
	ds_read_b128 v[6:9], v1 offset:1936
	;; [unrolled: 1-line block ×6, first 2 shown]
	v_cmp_lt_u32_e32 vcc, 55, v254
	s_waitcnt vmcnt(26) lgkmcnt(5)
	v_mul_f64 v[0:1], v[2:3], v[26:27]
	v_mul_f64 v[26:27], v[4:5], v[26:27]
	s_waitcnt vmcnt(24) lgkmcnt(4)
	v_mul_f64 v[54:55], v[6:7], v[28:29]
	v_mul_f64 v[28:29], v[8:9], v[28:29]
	;; [unrolled: 3-line block ×4, first 2 shown]
	s_waitcnt vmcnt(17)
	v_mul_f64 v[58:59], v[14:15], v[36:37]
	v_mul_f64 v[36:37], v[16:17], v[36:37]
	s_waitcnt vmcnt(15) lgkmcnt(0)
	v_mul_f64 v[62:63], v[22:23], v[38:39]
	v_mul_f64 v[38:39], v[24:25], v[38:39]
	s_waitcnt vmcnt(14)
	v_fmac_f64_e32 v[60:61], v[20:21], v[34:35]
	s_waitcnt vmcnt(12)
	v_fma_f64 v[2:3], v[2:3], v[40:41], -v[26:27]
	v_fmac_f64_e32 v[0:1], v[4:5], v[40:41]
	s_waitcnt vmcnt(10)
	v_fma_f64 v[4:5], v[6:7], v[42:43], -v[28:29]
	v_add_f64 v[2:3], v[2:3], 0
	v_fmac_f64_e32 v[54:55], v[8:9], v[42:43]
	s_waitcnt vmcnt(8)
	v_fma_f64 v[6:7], v[10:11], v[44:45], -v[30:31]
	v_add_f64 v[0:1], v[0:1], 0
	v_add_f64 v[2:3], v[2:3], v[4:5]
	v_fmac_f64_e32 v[56:57], v[12:13], v[44:45]
	s_waitcnt vmcnt(6)
	v_fma_f64 v[8:9], v[14:15], v[46:47], -v[36:37]
	v_add_f64 v[0:1], v[0:1], v[54:55]
	v_add_f64 v[2:3], v[2:3], v[6:7]
	v_fmac_f64_e32 v[58:59], v[16:17], v[46:47]
	v_fma_f64 v[10:11], v[18:19], v[34:35], -v[32:33]
	v_add_f64 v[0:1], v[0:1], v[56:57]
	v_add_f64 v[2:3], v[2:3], v[8:9]
	s_waitcnt vmcnt(4)
	v_fma_f64 v[12:13], v[22:23], v[48:49], -v[38:39]
	v_add_f64 v[0:1], v[0:1], v[58:59]
	v_add_f64 v[2:3], v[2:3], v[10:11]
	v_fmac_f64_e32 v[62:63], v[24:25], v[48:49]
	v_add_f64 v[0:1], v[0:1], v[60:61]
	v_add_f64 v[2:3], v[2:3], v[12:13]
	;; [unrolled: 1-line block ×3, first 2 shown]
	s_waitcnt vmcnt(2)
	v_add_f64 v[2:3], v[50:51], -v[2:3]
	s_waitcnt vmcnt(0)
	v_add_f64 v[0:1], v[52:53], -v[0:1]
	buffer_store_dword v3, off, s[0:3], 0 offset:916
	buffer_store_dword v2, off, s[0:3], 0 offset:912
	;; [unrolled: 1-line block ×4, first 2 shown]
	s_and_saveexec_b64 s[4:5], vcc
	s_cbranch_execz .LBB126_293
; %bb.292:
	v_accvgpr_read_b32 v0, a133
	buffer_load_dword v2, v0, s[0:3], 0 offen
	buffer_load_dword v3, v0, s[0:3], 0 offen offset:4
	buffer_load_dword v4, v0, s[0:3], 0 offen offset:8
	;; [unrolled: 1-line block ×3, first 2 shown]
	v_mov_b32_e32 v0, 0
	v_accvgpr_read_b32 v1, a189
	buffer_store_dword v0, off, s[0:3], 0 offset:896
	buffer_store_dword v0, off, s[0:3], 0 offset:900
	;; [unrolled: 1-line block ×4, first 2 shown]
	s_waitcnt vmcnt(4)
	ds_write_b128 v1, v[2:5]
.LBB126_293:
	s_or_b64 exec, exec, s[4:5]
	v_mov_b32_e32 v1, 0
	s_waitcnt lgkmcnt(0)
	; wave barrier
	s_waitcnt lgkmcnt(0)
	ds_read_b128 v[14:17], v1 offset:1904
	ds_read_b128 v[10:13], v1 offset:1920
	;; [unrolled: 1-line block ×4, first 2 shown]
	buffer_load_dword v28, off, s[0:3], 0 offset:896
	buffer_load_dword v29, off, s[0:3], 0 offset:900
	;; [unrolled: 1-line block ×20, first 2 shown]
	v_cmp_lt_u32_e32 vcc, 54, v254
	s_waitcnt vmcnt(12) lgkmcnt(3)
	v_mul_f64 v[18:19], v[14:15], v[36:37]
	v_fmac_f64_e32 v[18:19], v[16:17], v[30:31]
	v_add_f64 v[18:19], v[18:19], 0
	v_mul_f64 v[16:17], v[16:17], v[36:37]
	s_waitcnt vmcnt(8) lgkmcnt(2)
	v_mul_f64 v[20:21], v[10:11], v[38:39]
	v_fmac_f64_e32 v[20:21], v[12:13], v[32:33]
	v_add_f64 v[18:19], v[18:19], v[20:21]
	v_fma_f64 v[14:15], v[14:15], v[30:31], -v[16:17]
	s_waitcnt vmcnt(4) lgkmcnt(1)
	v_mul_f64 v[20:21], v[6:7], v[42:43]
	v_fmac_f64_e32 v[20:21], v[8:9], v[34:35]
	v_add_f64 v[18:19], v[18:19], v[20:21]
	s_waitcnt vmcnt(0) lgkmcnt(0)
	v_mul_f64 v[20:21], v[2:3], v[46:47]
	v_fmac_f64_e32 v[20:21], v[4:5], v[44:45]
	v_add_f64 v[22:23], v[18:19], v[20:21]
	ds_read_b128 v[18:21], v1 offset:1968
	buffer_load_dword v41, off, s[0:3], 0 offset:980
	buffer_load_dword v40, off, s[0:3], 0 offset:976
	;; [unrolled: 1-line block ×4, first 2 shown]
	ds_read_b128 v[50:53], v1 offset:1984
	buffer_load_dword v57, off, s[0:3], 0 offset:996
	buffer_load_dword v56, off, s[0:3], 0 offset:992
	;; [unrolled: 1-line block ×4, first 2 shown]
	v_mul_f64 v[12:13], v[12:13], v[38:39]
	v_add_f64 v[14:15], v[14:15], 0
	v_fma_f64 v[10:11], v[10:11], v[32:33], -v[12:13]
	v_mul_f64 v[8:9], v[8:9], v[42:43]
	v_add_f64 v[10:11], v[14:15], v[10:11]
	v_fma_f64 v[6:7], v[6:7], v[34:35], -v[8:9]
	;; [unrolled: 3-line block ×3, first 2 shown]
	v_add_f64 v[2:3], v[6:7], v[2:3]
	s_waitcnt vmcnt(4) lgkmcnt(1)
	v_mul_f64 v[24:25], v[18:19], v[54:55]
	v_fmac_f64_e32 v[24:25], v[20:21], v[40:41]
	v_add_f64 v[22:23], v[22:23], v[24:25]
	s_waitcnt vmcnt(0) lgkmcnt(0)
	v_mul_f64 v[24:25], v[50:51], v[58:59]
	v_fmac_f64_e32 v[24:25], v[52:53], v[56:57]
	v_add_f64 v[60:61], v[22:23], v[24:25]
	ds_read_b128 v[22:25], v1 offset:2000
	buffer_load_dword v49, off, s[0:3], 0 offset:1012
	buffer_load_dword v48, off, s[0:3], 0 offset:1008
	;; [unrolled: 1-line block ×4, first 2 shown]
	v_mul_f64 v[4:5], v[20:21], v[54:55]
	v_fma_f64 v[4:5], v[18:19], v[40:41], -v[4:5]
	v_add_f64 v[2:3], v[2:3], v[4:5]
	v_mul_f64 v[4:5], v[52:53], v[58:59]
	v_fma_f64 v[4:5], v[50:51], v[56:57], -v[4:5]
	v_add_f64 v[2:3], v[2:3], v[4:5]
	s_waitcnt vmcnt(0) lgkmcnt(0)
	v_mul_f64 v[4:5], v[24:25], v[62:63]
	v_mul_f64 v[64:65], v[22:23], v[62:63]
	v_fma_f64 v[4:5], v[22:23], v[48:49], -v[4:5]
	v_fmac_f64_e32 v[64:65], v[24:25], v[48:49]
	v_add_f64 v[2:3], v[2:3], v[4:5]
	v_add_f64 v[60:61], v[60:61], v[64:65]
	v_add_f64 v[2:3], v[28:29], -v[2:3]
	v_add_f64 v[4:5], v[26:27], -v[60:61]
	buffer_store_dword v3, off, s[0:3], 0 offset:900
	buffer_store_dword v2, off, s[0:3], 0 offset:896
	;; [unrolled: 1-line block ×4, first 2 shown]
	s_and_saveexec_b64 s[4:5], vcc
	s_cbranch_execz .LBB126_295
; %bb.294:
	v_accvgpr_read_b32 v0, a134
	buffer_load_dword v2, v0, s[0:3], 0 offen
	buffer_load_dword v3, v0, s[0:3], 0 offen offset:4
	buffer_load_dword v4, v0, s[0:3], 0 offen offset:8
	;; [unrolled: 1-line block ×3, first 2 shown]
	v_accvgpr_read_b32 v0, a189
	buffer_store_dword v1, off, s[0:3], 0 offset:880
	buffer_store_dword v1, off, s[0:3], 0 offset:884
	;; [unrolled: 1-line block ×4, first 2 shown]
	s_waitcnt vmcnt(4)
	ds_write_b128 v0, v[2:5]
.LBB126_295:
	s_or_b64 exec, exec, s[4:5]
	s_waitcnt lgkmcnt(0)
	; wave barrier
	s_waitcnt lgkmcnt(0)
	ds_read_b128 v[14:17], v1 offset:1888
	ds_read_b128 v[10:13], v1 offset:1904
	;; [unrolled: 1-line block ×4, first 2 shown]
	buffer_load_dword v36, off, s[0:3], 0 offset:880
	buffer_load_dword v37, off, s[0:3], 0 offset:884
	;; [unrolled: 1-line block ×20, first 2 shown]
	v_cmp_lt_u32_e32 vcc, 53, v254
	s_waitcnt vmcnt(12) lgkmcnt(3)
	v_mul_f64 v[18:19], v[14:15], v[44:45]
	v_fmac_f64_e32 v[18:19], v[16:17], v[38:39]
	v_add_f64 v[18:19], v[18:19], 0
	v_mul_f64 v[16:17], v[16:17], v[44:45]
	s_waitcnt vmcnt(8) lgkmcnt(2)
	v_mul_f64 v[20:21], v[10:11], v[46:47]
	v_fmac_f64_e32 v[20:21], v[12:13], v[40:41]
	v_add_f64 v[18:19], v[18:19], v[20:21]
	v_fma_f64 v[14:15], v[14:15], v[38:39], -v[16:17]
	s_waitcnt vmcnt(4) lgkmcnt(1)
	v_mul_f64 v[20:21], v[6:7], v[50:51]
	v_fmac_f64_e32 v[20:21], v[8:9], v[42:43]
	v_add_f64 v[18:19], v[18:19], v[20:21]
	s_waitcnt vmcnt(0) lgkmcnt(0)
	v_mul_f64 v[20:21], v[2:3], v[54:55]
	v_fmac_f64_e32 v[20:21], v[4:5], v[52:53]
	v_add_f64 v[22:23], v[18:19], v[20:21]
	ds_read_b128 v[18:21], v1 offset:1952
	buffer_load_dword v49, off, s[0:3], 0 offset:964
	buffer_load_dword v48, off, s[0:3], 0 offset:960
	;; [unrolled: 1-line block ×4, first 2 shown]
	ds_read_b128 v[30:33], v1 offset:1968
	buffer_load_dword v61, off, s[0:3], 0 offset:980
	buffer_load_dword v60, off, s[0:3], 0 offset:976
	;; [unrolled: 1-line block ×4, first 2 shown]
	v_mul_f64 v[12:13], v[12:13], v[46:47]
	v_add_f64 v[14:15], v[14:15], 0
	v_fma_f64 v[10:11], v[10:11], v[40:41], -v[12:13]
	v_mul_f64 v[8:9], v[8:9], v[50:51]
	v_add_f64 v[10:11], v[14:15], v[10:11]
	v_fma_f64 v[6:7], v[6:7], v[42:43], -v[8:9]
	;; [unrolled: 3-line block ×3, first 2 shown]
	v_add_f64 v[2:3], v[6:7], v[2:3]
	s_waitcnt vmcnt(4) lgkmcnt(1)
	v_mul_f64 v[24:25], v[18:19], v[64:65]
	v_fmac_f64_e32 v[24:25], v[20:21], v[48:49]
	v_add_f64 v[22:23], v[22:23], v[24:25]
	s_waitcnt vmcnt(0) lgkmcnt(0)
	v_mul_f64 v[24:25], v[30:31], v[62:63]
	v_fmac_f64_e32 v[24:25], v[32:33], v[60:61]
	v_add_f64 v[26:27], v[22:23], v[24:25]
	ds_read_b128 v[22:25], v1 offset:1984
	buffer_load_dword v57, off, s[0:3], 0 offset:996
	buffer_load_dword v56, off, s[0:3], 0 offset:992
	;; [unrolled: 1-line block ×4, first 2 shown]
	v_mul_f64 v[4:5], v[20:21], v[64:65]
	v_fma_f64 v[4:5], v[18:19], v[48:49], -v[4:5]
	v_add_f64 v[2:3], v[2:3], v[4:5]
	v_mul_f64 v[4:5], v[32:33], v[62:63]
	v_fma_f64 v[4:5], v[30:31], v[60:61], -v[4:5]
	v_add_f64 v[2:3], v[2:3], v[4:5]
	s_waitcnt vmcnt(0) lgkmcnt(0)
	v_mul_f64 v[28:29], v[22:23], v[66:67]
	v_fmac_f64_e32 v[28:29], v[24:25], v[56:57]
	v_add_f64 v[68:69], v[26:27], v[28:29]
	ds_read_b128 v[26:29], v1 offset:2000
	buffer_load_dword v59, off, s[0:3], 0 offset:1012
	buffer_load_dword v58, off, s[0:3], 0 offset:1008
	;; [unrolled: 1-line block ×4, first 2 shown]
	v_mul_f64 v[4:5], v[24:25], v[66:67]
	v_fma_f64 v[4:5], v[22:23], v[56:57], -v[4:5]
	v_add_f64 v[2:3], v[2:3], v[4:5]
	s_waitcnt vmcnt(0) lgkmcnt(0)
	v_mul_f64 v[70:71], v[26:27], v[0:1]
	v_mul_f64 v[0:1], v[28:29], v[0:1]
	v_fma_f64 v[0:1], v[26:27], v[58:59], -v[0:1]
	v_fmac_f64_e32 v[70:71], v[28:29], v[58:59]
	v_add_f64 v[0:1], v[2:3], v[0:1]
	v_add_f64 v[68:69], v[68:69], v[70:71]
	v_add_f64 v[0:1], v[36:37], -v[0:1]
	v_add_f64 v[2:3], v[34:35], -v[68:69]
	buffer_store_dword v1, off, s[0:3], 0 offset:884
	buffer_store_dword v0, off, s[0:3], 0 offset:880
	;; [unrolled: 1-line block ×4, first 2 shown]
	s_and_saveexec_b64 s[4:5], vcc
	s_cbranch_execz .LBB126_297
; %bb.296:
	v_accvgpr_read_b32 v0, a135
	buffer_load_dword v2, v0, s[0:3], 0 offen
	buffer_load_dword v3, v0, s[0:3], 0 offen offset:4
	buffer_load_dword v4, v0, s[0:3], 0 offen offset:8
	;; [unrolled: 1-line block ×3, first 2 shown]
	v_mov_b32_e32 v0, 0
	v_accvgpr_read_b32 v1, a189
	buffer_store_dword v0, off, s[0:3], 0 offset:864
	buffer_store_dword v0, off, s[0:3], 0 offset:868
	;; [unrolled: 1-line block ×4, first 2 shown]
	s_waitcnt vmcnt(4)
	ds_write_b128 v1, v[2:5]
.LBB126_297:
	s_or_b64 exec, exec, s[4:5]
	v_mov_b32_e32 v1, 0
	s_waitcnt lgkmcnt(0)
	; wave barrier
	s_waitcnt lgkmcnt(0)
	ds_read_b128 v[18:21], v1 offset:1872
	ds_read_b128 v[14:17], v1 offset:1888
	ds_read_b128 v[10:13], v1 offset:1904
	ds_read_b128 v[2:5], v1 offset:1920
	buffer_load_dword v40, off, s[0:3], 0 offset:864
	buffer_load_dword v41, off, s[0:3], 0 offset:868
	;; [unrolled: 1-line block ×20, first 2 shown]
	v_cmp_lt_u32_e32 vcc, 52, v254
	s_waitcnt vmcnt(12) lgkmcnt(3)
	v_mul_f64 v[6:7], v[18:19], v[56:57]
	v_fmac_f64_e32 v[6:7], v[20:21], v[44:45]
	v_add_f64 v[6:7], v[6:7], 0
	v_mul_f64 v[20:21], v[20:21], v[56:57]
	s_waitcnt vmcnt(8) lgkmcnt(2)
	v_mul_f64 v[8:9], v[14:15], v[54:55]
	v_fmac_f64_e32 v[8:9], v[16:17], v[50:51]
	v_add_f64 v[6:7], v[6:7], v[8:9]
	v_fma_f64 v[18:19], v[18:19], v[44:45], -v[20:21]
	s_waitcnt vmcnt(4) lgkmcnt(1)
	v_mul_f64 v[8:9], v[10:11], v[52:53]
	v_fmac_f64_e32 v[8:9], v[12:13], v[48:49]
	v_add_f64 v[6:7], v[6:7], v[8:9]
	s_waitcnt vmcnt(0) lgkmcnt(0)
	v_mul_f64 v[8:9], v[2:3], v[58:59]
	v_fmac_f64_e32 v[8:9], v[4:5], v[46:47]
	v_add_f64 v[22:23], v[6:7], v[8:9]
	ds_read_b128 v[6:9], v1 offset:1936
	buffer_load_dword v43, off, s[0:3], 0 offset:948
	buffer_load_dword v42, off, s[0:3], 0 offset:944
	;; [unrolled: 1-line block ×4, first 2 shown]
	v_mul_f64 v[16:17], v[16:17], v[54:55]
	v_add_f64 v[18:19], v[18:19], 0
	v_fma_f64 v[14:15], v[14:15], v[50:51], -v[16:17]
	v_mul_f64 v[12:13], v[12:13], v[52:53]
	v_add_f64 v[14:15], v[18:19], v[14:15]
	v_fma_f64 v[10:11], v[10:11], v[48:49], -v[12:13]
	v_mul_f64 v[4:5], v[4:5], v[58:59]
	v_add_f64 v[10:11], v[14:15], v[10:11]
	v_fma_f64 v[2:3], v[2:3], v[46:47], -v[4:5]
	v_add_f64 v[2:3], v[10:11], v[2:3]
	s_waitcnt vmcnt(0) lgkmcnt(0)
	v_mul_f64 v[24:25], v[6:7], v[60:61]
	v_fmac_f64_e32 v[24:25], v[8:9], v[42:43]
	v_add_f64 v[26:27], v[22:23], v[24:25]
	ds_read_b128 v[22:25], v1 offset:1952
	buffer_load_dword v63, off, s[0:3], 0 offset:964
	buffer_load_dword v62, off, s[0:3], 0 offset:960
	buffer_load_dword v65, off, s[0:3], 0 offset:972
	buffer_load_dword v64, off, s[0:3], 0 offset:968
	v_mul_f64 v[4:5], v[8:9], v[60:61]
	v_fma_f64 v[4:5], v[6:7], v[42:43], -v[4:5]
	v_add_f64 v[2:3], v[2:3], v[4:5]
	s_waitcnt vmcnt(0) lgkmcnt(0)
	v_mul_f64 v[28:29], v[22:23], v[64:65]
	v_fmac_f64_e32 v[28:29], v[24:25], v[62:63]
	v_add_f64 v[30:31], v[26:27], v[28:29]
	ds_read_b128 v[26:29], v1 offset:1968
	buffer_load_dword v67, off, s[0:3], 0 offset:980
	buffer_load_dword v66, off, s[0:3], 0 offset:976
	buffer_load_dword v69, off, s[0:3], 0 offset:988
	buffer_load_dword v68, off, s[0:3], 0 offset:984
	v_mul_f64 v[4:5], v[24:25], v[64:65]
	v_fma_f64 v[4:5], v[22:23], v[62:63], -v[4:5]
	v_add_f64 v[2:3], v[2:3], v[4:5]
	s_waitcnt vmcnt(0) lgkmcnt(0)
	v_mul_f64 v[32:33], v[26:27], v[68:69]
	v_fmac_f64_e32 v[32:33], v[28:29], v[66:67]
	v_add_f64 v[34:35], v[30:31], v[32:33]
	ds_read_b128 v[30:33], v1 offset:1984
	buffer_load_dword v71, off, s[0:3], 0 offset:996
	buffer_load_dword v70, off, s[0:3], 0 offset:992
	buffer_load_dword v73, off, s[0:3], 0 offset:1004
	buffer_load_dword v72, off, s[0:3], 0 offset:1000
	v_mul_f64 v[4:5], v[28:29], v[68:69]
	v_fma_f64 v[4:5], v[26:27], v[66:67], -v[4:5]
	v_add_f64 v[2:3], v[2:3], v[4:5]
	s_waitcnt vmcnt(0) lgkmcnt(0)
	v_mul_f64 v[36:37], v[30:31], v[72:73]
	v_fmac_f64_e32 v[36:37], v[32:33], v[70:71]
	v_add_f64 v[78:79], v[34:35], v[36:37]
	ds_read_b128 v[34:37], v1 offset:2000
	buffer_load_dword v75, off, s[0:3], 0 offset:1012
	buffer_load_dword v74, off, s[0:3], 0 offset:1008
	buffer_load_dword v77, off, s[0:3], 0 offset:1020
	buffer_load_dword v76, off, s[0:3], 0 offset:1016
	v_mul_f64 v[4:5], v[32:33], v[72:73]
	v_fma_f64 v[4:5], v[30:31], v[70:71], -v[4:5]
	v_add_f64 v[2:3], v[2:3], v[4:5]
	s_waitcnt vmcnt(0) lgkmcnt(0)
	v_mul_f64 v[4:5], v[36:37], v[76:77]
	v_mul_f64 v[80:81], v[34:35], v[76:77]
	v_fma_f64 v[4:5], v[34:35], v[74:75], -v[4:5]
	v_fmac_f64_e32 v[80:81], v[36:37], v[74:75]
	v_add_f64 v[2:3], v[2:3], v[4:5]
	v_add_f64 v[78:79], v[78:79], v[80:81]
	v_add_f64 v[2:3], v[40:41], -v[2:3]
	v_add_f64 v[4:5], v[38:39], -v[78:79]
	buffer_store_dword v3, off, s[0:3], 0 offset:868
	buffer_store_dword v2, off, s[0:3], 0 offset:864
	;; [unrolled: 1-line block ×4, first 2 shown]
	s_and_saveexec_b64 s[4:5], vcc
	s_cbranch_execz .LBB126_299
; %bb.298:
	v_accvgpr_read_b32 v0, a136
	buffer_load_dword v2, v0, s[0:3], 0 offen
	buffer_load_dword v3, v0, s[0:3], 0 offen offset:4
	buffer_load_dword v4, v0, s[0:3], 0 offen offset:8
	;; [unrolled: 1-line block ×3, first 2 shown]
	v_accvgpr_read_b32 v0, a189
	buffer_store_dword v1, off, s[0:3], 0 offset:848
	buffer_store_dword v1, off, s[0:3], 0 offset:852
	;; [unrolled: 1-line block ×4, first 2 shown]
	s_waitcnt vmcnt(4)
	ds_write_b128 v0, v[2:5]
.LBB126_299:
	s_or_b64 exec, exec, s[4:5]
	s_waitcnt lgkmcnt(0)
	; wave barrier
	s_waitcnt lgkmcnt(0)
	ds_read_b128 v[18:21], v1 offset:1856
	ds_read_b128 v[10:13], v1 offset:1872
	;; [unrolled: 1-line block ×4, first 2 shown]
	buffer_load_dword v44, off, s[0:3], 0 offset:848
	buffer_load_dword v45, off, s[0:3], 0 offset:852
	;; [unrolled: 1-line block ×20, first 2 shown]
	v_cmp_lt_u32_e32 vcc, 51, v254
	s_waitcnt vmcnt(12) lgkmcnt(3)
	v_mul_f64 v[14:15], v[18:19], v[62:63]
	v_fmac_f64_e32 v[14:15], v[20:21], v[58:59]
	v_add_f64 v[14:15], v[14:15], 0
	v_mul_f64 v[20:21], v[20:21], v[62:63]
	s_waitcnt vmcnt(8) lgkmcnt(2)
	v_mul_f64 v[16:17], v[10:11], v[60:61]
	v_fmac_f64_e32 v[16:17], v[12:13], v[56:57]
	v_add_f64 v[14:15], v[14:15], v[16:17]
	v_fma_f64 v[18:19], v[18:19], v[58:59], -v[20:21]
	s_waitcnt vmcnt(4) lgkmcnt(1)
	v_mul_f64 v[16:17], v[6:7], v[48:49]
	v_fmac_f64_e32 v[16:17], v[8:9], v[46:47]
	v_add_f64 v[14:15], v[14:15], v[16:17]
	s_waitcnt vmcnt(0) lgkmcnt(0)
	v_mul_f64 v[16:17], v[2:3], v[52:53]
	v_fmac_f64_e32 v[16:17], v[4:5], v[50:51]
	v_add_f64 v[22:23], v[14:15], v[16:17]
	ds_read_b128 v[14:17], v1 offset:1920
	buffer_load_dword v55, off, s[0:3], 0 offset:932
	buffer_load_dword v54, off, s[0:3], 0 offset:928
	;; [unrolled: 1-line block ×4, first 2 shown]
	v_mul_f64 v[12:13], v[12:13], v[60:61]
	v_add_f64 v[18:19], v[18:19], 0
	v_fma_f64 v[10:11], v[10:11], v[56:57], -v[12:13]
	v_mul_f64 v[8:9], v[8:9], v[48:49]
	v_add_f64 v[10:11], v[18:19], v[10:11]
	v_fma_f64 v[6:7], v[6:7], v[46:47], -v[8:9]
	;; [unrolled: 3-line block ×3, first 2 shown]
	v_add_f64 v[2:3], v[6:7], v[2:3]
	s_waitcnt vmcnt(0) lgkmcnt(0)
	v_mul_f64 v[24:25], v[14:15], v[64:65]
	v_fmac_f64_e32 v[24:25], v[16:17], v[54:55]
	v_add_f64 v[26:27], v[22:23], v[24:25]
	ds_read_b128 v[22:25], v1 offset:1936
	buffer_load_dword v67, off, s[0:3], 0 offset:948
	buffer_load_dword v66, off, s[0:3], 0 offset:944
	buffer_load_dword v69, off, s[0:3], 0 offset:956
	buffer_load_dword v68, off, s[0:3], 0 offset:952
	v_mul_f64 v[4:5], v[16:17], v[64:65]
	v_fma_f64 v[4:5], v[14:15], v[54:55], -v[4:5]
	v_add_f64 v[2:3], v[2:3], v[4:5]
	s_waitcnt vmcnt(0) lgkmcnt(0)
	v_mul_f64 v[28:29], v[22:23], v[68:69]
	v_fmac_f64_e32 v[28:29], v[24:25], v[66:67]
	v_add_f64 v[30:31], v[26:27], v[28:29]
	ds_read_b128 v[26:29], v1 offset:1952
	buffer_load_dword v71, off, s[0:3], 0 offset:964
	buffer_load_dword v70, off, s[0:3], 0 offset:960
	buffer_load_dword v73, off, s[0:3], 0 offset:972
	buffer_load_dword v72, off, s[0:3], 0 offset:968
	v_mul_f64 v[4:5], v[24:25], v[68:69]
	v_fma_f64 v[4:5], v[22:23], v[66:67], -v[4:5]
	;; [unrolled: 12-line block ×5, first 2 shown]
	v_add_f64 v[2:3], v[2:3], v[4:5]
	s_waitcnt vmcnt(0) lgkmcnt(0)
	v_mul_f64 v[86:87], v[38:39], v[0:1]
	v_mul_f64 v[0:1], v[40:41], v[0:1]
	v_fma_f64 v[0:1], v[38:39], v[82:83], -v[0:1]
	v_fmac_f64_e32 v[86:87], v[40:41], v[82:83]
	v_add_f64 v[0:1], v[2:3], v[0:1]
	v_add_f64 v[84:85], v[84:85], v[86:87]
	v_add_f64 v[0:1], v[44:45], -v[0:1]
	v_add_f64 v[2:3], v[42:43], -v[84:85]
	buffer_store_dword v1, off, s[0:3], 0 offset:852
	buffer_store_dword v0, off, s[0:3], 0 offset:848
	;; [unrolled: 1-line block ×4, first 2 shown]
	s_and_saveexec_b64 s[4:5], vcc
	s_cbranch_execz .LBB126_301
; %bb.300:
	v_accvgpr_read_b32 v0, a137
	buffer_load_dword v2, v0, s[0:3], 0 offen
	buffer_load_dword v3, v0, s[0:3], 0 offen offset:4
	buffer_load_dword v4, v0, s[0:3], 0 offen offset:8
	buffer_load_dword v5, v0, s[0:3], 0 offen offset:12
	v_mov_b32_e32 v0, 0
	v_accvgpr_read_b32 v1, a189
	buffer_store_dword v0, off, s[0:3], 0 offset:832
	buffer_store_dword v0, off, s[0:3], 0 offset:836
	;; [unrolled: 1-line block ×4, first 2 shown]
	s_waitcnt vmcnt(4)
	ds_write_b128 v1, v[2:5]
.LBB126_301:
	s_or_b64 exec, exec, s[4:5]
	v_mov_b32_e32 v1, 0
	s_waitcnt lgkmcnt(0)
	; wave barrier
	s_waitcnt lgkmcnt(0)
	ds_read_b128 v[14:17], v1 offset:1840
	ds_read_b128 v[10:13], v1 offset:1856
	;; [unrolled: 1-line block ×4, first 2 shown]
	buffer_load_dword v48, off, s[0:3], 0 offset:832
	buffer_load_dword v49, off, s[0:3], 0 offset:836
	;; [unrolled: 1-line block ×20, first 2 shown]
	v_cmp_lt_u32_e32 vcc, 50, v254
	s_waitcnt vmcnt(12) lgkmcnt(3)
	v_mul_f64 v[18:19], v[14:15], v[56:57]
	v_fmac_f64_e32 v[18:19], v[16:17], v[50:51]
	v_add_f64 v[18:19], v[18:19], 0
	v_mul_f64 v[16:17], v[16:17], v[56:57]
	s_waitcnt vmcnt(8) lgkmcnt(2)
	v_mul_f64 v[20:21], v[10:11], v[58:59]
	v_fmac_f64_e32 v[20:21], v[12:13], v[52:53]
	v_add_f64 v[18:19], v[18:19], v[20:21]
	v_fma_f64 v[14:15], v[14:15], v[50:51], -v[16:17]
	s_waitcnt vmcnt(4) lgkmcnt(1)
	v_mul_f64 v[20:21], v[6:7], v[60:61]
	v_fmac_f64_e32 v[20:21], v[8:9], v[54:55]
	v_add_f64 v[18:19], v[18:19], v[20:21]
	s_waitcnt vmcnt(0) lgkmcnt(0)
	v_mul_f64 v[20:21], v[2:3], v[64:65]
	v_fmac_f64_e32 v[20:21], v[4:5], v[62:63]
	v_add_f64 v[22:23], v[18:19], v[20:21]
	ds_read_b128 v[18:21], v1 offset:1904
	buffer_load_dword v67, off, s[0:3], 0 offset:916
	buffer_load_dword v66, off, s[0:3], 0 offset:912
	;; [unrolled: 1-line block ×4, first 2 shown]
	v_mul_f64 v[12:13], v[12:13], v[58:59]
	v_add_f64 v[14:15], v[14:15], 0
	v_fma_f64 v[10:11], v[10:11], v[52:53], -v[12:13]
	v_mul_f64 v[8:9], v[8:9], v[60:61]
	v_add_f64 v[10:11], v[14:15], v[10:11]
	v_fma_f64 v[6:7], v[6:7], v[54:55], -v[8:9]
	;; [unrolled: 3-line block ×3, first 2 shown]
	v_add_f64 v[2:3], v[6:7], v[2:3]
	s_waitcnt vmcnt(0) lgkmcnt(0)
	v_mul_f64 v[24:25], v[18:19], v[68:69]
	v_fmac_f64_e32 v[24:25], v[20:21], v[66:67]
	v_add_f64 v[26:27], v[22:23], v[24:25]
	ds_read_b128 v[22:25], v1 offset:1920
	buffer_load_dword v71, off, s[0:3], 0 offset:932
	buffer_load_dword v70, off, s[0:3], 0 offset:928
	buffer_load_dword v73, off, s[0:3], 0 offset:940
	buffer_load_dword v72, off, s[0:3], 0 offset:936
	v_mul_f64 v[4:5], v[20:21], v[68:69]
	v_fma_f64 v[4:5], v[18:19], v[66:67], -v[4:5]
	v_add_f64 v[2:3], v[2:3], v[4:5]
	s_waitcnt vmcnt(0) lgkmcnt(0)
	v_mul_f64 v[28:29], v[22:23], v[72:73]
	v_fmac_f64_e32 v[28:29], v[24:25], v[70:71]
	v_add_f64 v[30:31], v[26:27], v[28:29]
	ds_read_b128 v[26:29], v1 offset:1936
	buffer_load_dword v75, off, s[0:3], 0 offset:948
	buffer_load_dword v74, off, s[0:3], 0 offset:944
	buffer_load_dword v77, off, s[0:3], 0 offset:956
	buffer_load_dword v76, off, s[0:3], 0 offset:952
	v_mul_f64 v[4:5], v[24:25], v[72:73]
	v_fma_f64 v[4:5], v[22:23], v[70:71], -v[4:5]
	;; [unrolled: 12-line block ×6, first 2 shown]
	v_add_f64 v[2:3], v[2:3], v[4:5]
	s_waitcnt vmcnt(0) lgkmcnt(0)
	v_mul_f64 v[4:5], v[44:45], v[92:93]
	v_mul_f64 v[96:97], v[42:43], v[92:93]
	v_fma_f64 v[4:5], v[42:43], v[90:91], -v[4:5]
	v_fmac_f64_e32 v[96:97], v[44:45], v[90:91]
	v_add_f64 v[2:3], v[2:3], v[4:5]
	v_add_f64 v[94:95], v[94:95], v[96:97]
	v_add_f64 v[2:3], v[48:49], -v[2:3]
	v_add_f64 v[4:5], v[46:47], -v[94:95]
	buffer_store_dword v3, off, s[0:3], 0 offset:836
	buffer_store_dword v2, off, s[0:3], 0 offset:832
	;; [unrolled: 1-line block ×4, first 2 shown]
	s_and_saveexec_b64 s[4:5], vcc
	s_cbranch_execz .LBB126_303
; %bb.302:
	v_accvgpr_read_b32 v0, a138
	buffer_load_dword v2, v0, s[0:3], 0 offen
	buffer_load_dword v3, v0, s[0:3], 0 offen offset:4
	buffer_load_dword v4, v0, s[0:3], 0 offen offset:8
	;; [unrolled: 1-line block ×3, first 2 shown]
	v_accvgpr_read_b32 v0, a189
	buffer_store_dword v1, off, s[0:3], 0 offset:816
	buffer_store_dword v1, off, s[0:3], 0 offset:820
	;; [unrolled: 1-line block ×4, first 2 shown]
	s_waitcnt vmcnt(4)
	ds_write_b128 v0, v[2:5]
.LBB126_303:
	s_or_b64 exec, exec, s[4:5]
	s_waitcnt lgkmcnt(0)
	; wave barrier
	s_waitcnt lgkmcnt(0)
	ds_read_b128 v[14:17], v1 offset:1824
	ds_read_b128 v[10:13], v1 offset:1840
	;; [unrolled: 1-line block ×4, first 2 shown]
	buffer_load_dword v48, off, s[0:3], 0 offset:816
	buffer_load_dword v49, off, s[0:3], 0 offset:820
	;; [unrolled: 1-line block ×20, first 2 shown]
	v_cmp_lt_u32_e32 vcc, 49, v254
	s_waitcnt vmcnt(12) lgkmcnt(3)
	v_mul_f64 v[18:19], v[14:15], v[56:57]
	v_fmac_f64_e32 v[18:19], v[16:17], v[50:51]
	v_add_f64 v[18:19], v[18:19], 0
	v_mul_f64 v[16:17], v[16:17], v[56:57]
	s_waitcnt vmcnt(8) lgkmcnt(2)
	v_mul_f64 v[20:21], v[10:11], v[58:59]
	v_fmac_f64_e32 v[20:21], v[12:13], v[52:53]
	v_add_f64 v[18:19], v[18:19], v[20:21]
	v_fma_f64 v[14:15], v[14:15], v[50:51], -v[16:17]
	s_waitcnt vmcnt(4) lgkmcnt(1)
	v_mul_f64 v[20:21], v[6:7], v[60:61]
	v_fmac_f64_e32 v[20:21], v[8:9], v[54:55]
	v_add_f64 v[18:19], v[18:19], v[20:21]
	s_waitcnt vmcnt(0) lgkmcnt(0)
	v_mul_f64 v[20:21], v[2:3], v[64:65]
	v_fmac_f64_e32 v[20:21], v[4:5], v[62:63]
	v_add_f64 v[22:23], v[18:19], v[20:21]
	ds_read_b128 v[18:21], v1 offset:1888
	buffer_load_dword v67, off, s[0:3], 0 offset:900
	buffer_load_dword v66, off, s[0:3], 0 offset:896
	;; [unrolled: 1-line block ×4, first 2 shown]
	v_mul_f64 v[12:13], v[12:13], v[58:59]
	v_add_f64 v[14:15], v[14:15], 0
	v_fma_f64 v[10:11], v[10:11], v[52:53], -v[12:13]
	v_mul_f64 v[8:9], v[8:9], v[60:61]
	v_add_f64 v[10:11], v[14:15], v[10:11]
	v_fma_f64 v[6:7], v[6:7], v[54:55], -v[8:9]
	;; [unrolled: 3-line block ×3, first 2 shown]
	v_add_f64 v[2:3], v[6:7], v[2:3]
	s_waitcnt vmcnt(0) lgkmcnt(0)
	v_mul_f64 v[24:25], v[18:19], v[68:69]
	v_fmac_f64_e32 v[24:25], v[20:21], v[66:67]
	v_add_f64 v[26:27], v[22:23], v[24:25]
	ds_read_b128 v[22:25], v1 offset:1904
	buffer_load_dword v71, off, s[0:3], 0 offset:916
	buffer_load_dword v70, off, s[0:3], 0 offset:912
	buffer_load_dword v73, off, s[0:3], 0 offset:924
	buffer_load_dword v72, off, s[0:3], 0 offset:920
	v_mul_f64 v[4:5], v[20:21], v[68:69]
	v_fma_f64 v[4:5], v[18:19], v[66:67], -v[4:5]
	v_add_f64 v[2:3], v[2:3], v[4:5]
	s_waitcnt vmcnt(0) lgkmcnt(0)
	v_mul_f64 v[28:29], v[22:23], v[72:73]
	v_fmac_f64_e32 v[28:29], v[24:25], v[70:71]
	v_add_f64 v[30:31], v[26:27], v[28:29]
	ds_read_b128 v[26:29], v1 offset:1920
	buffer_load_dword v75, off, s[0:3], 0 offset:932
	buffer_load_dword v74, off, s[0:3], 0 offset:928
	buffer_load_dword v77, off, s[0:3], 0 offset:940
	buffer_load_dword v76, off, s[0:3], 0 offset:936
	v_mul_f64 v[4:5], v[24:25], v[72:73]
	v_fma_f64 v[4:5], v[22:23], v[70:71], -v[4:5]
	;; [unrolled: 12-line block ×7, first 2 shown]
	v_add_f64 v[2:3], v[2:3], v[4:5]
	s_waitcnt vmcnt(0) lgkmcnt(0)
	v_mul_f64 v[102:103], v[94:95], v[100:101]
	v_mul_f64 v[4:5], v[96:97], v[100:101]
	v_fmac_f64_e32 v[102:103], v[96:97], v[0:1]
	v_fma_f64 v[0:1], v[94:95], v[0:1], -v[4:5]
	v_add_f64 v[0:1], v[2:3], v[0:1]
	v_add_f64 v[98:99], v[98:99], v[102:103]
	v_add_f64 v[0:1], v[48:49], -v[0:1]
	v_add_f64 v[2:3], v[46:47], -v[98:99]
	buffer_store_dword v1, off, s[0:3], 0 offset:820
	buffer_store_dword v0, off, s[0:3], 0 offset:816
	;; [unrolled: 1-line block ×4, first 2 shown]
	s_and_saveexec_b64 s[4:5], vcc
	s_cbranch_execz .LBB126_305
; %bb.304:
	v_accvgpr_read_b32 v0, a139
	buffer_load_dword v2, v0, s[0:3], 0 offen
	buffer_load_dword v3, v0, s[0:3], 0 offen offset:4
	buffer_load_dword v4, v0, s[0:3], 0 offen offset:8
	;; [unrolled: 1-line block ×3, first 2 shown]
	v_mov_b32_e32 v0, 0
	v_accvgpr_read_b32 v1, a189
	buffer_store_dword v0, off, s[0:3], 0 offset:800
	buffer_store_dword v0, off, s[0:3], 0 offset:804
	;; [unrolled: 1-line block ×4, first 2 shown]
	s_waitcnt vmcnt(4)
	ds_write_b128 v1, v[2:5]
.LBB126_305:
	s_or_b64 exec, exec, s[4:5]
	s_waitcnt lgkmcnt(0)
	; wave barrier
	s_waitcnt lgkmcnt(0)
	buffer_load_dword v2, off, s[0:3], 0 offset:816
	buffer_load_dword v3, off, s[0:3], 0 offset:820
	;; [unrolled: 1-line block ×56, first 2 shown]
	v_mov_b32_e32 v1, 0
	ds_read_b128 v[30:33], v1 offset:1808
	ds_read_b128 v[34:37], v1 offset:1824
	;; [unrolled: 1-line block ×9, first 2 shown]
	v_cmp_lt_u32_e32 vcc, 48, v254
	s_waitcnt vmcnt(52) lgkmcnt(8)
	v_mul_f64 v[62:63], v[30:31], v[6:7]
	v_fmac_f64_e32 v[62:63], v[32:33], v[2:3]
	v_mul_f64 v[6:7], v[32:33], v[6:7]
	v_add_f64 v[62:63], v[62:63], 0
	s_waitcnt vmcnt(48) lgkmcnt(7)
	v_mul_f64 v[64:65], v[34:35], v[8:9]
	v_fmac_f64_e32 v[64:65], v[36:37], v[4:5]
	s_waitcnt vmcnt(46) lgkmcnt(6)
	v_mul_f64 v[66:67], v[38:39], v[10:11]
	v_fma_f64 v[2:3], v[30:31], v[2:3], -v[6:7]
	v_mul_f64 v[6:7], v[36:37], v[8:9]
	s_waitcnt vmcnt(44) lgkmcnt(5)
	v_mul_f64 v[68:69], v[42:43], v[12:13]
	v_add_f64 v[62:63], v[62:63], v[64:65]
	v_add_f64 v[2:3], v[2:3], 0
	v_fma_f64 v[4:5], v[34:35], v[4:5], -v[6:7]
	v_add_f64 v[2:3], v[2:3], v[4:5]
	v_mul_f64 v[4:5], v[40:41], v[10:11]
	s_waitcnt vmcnt(37) lgkmcnt(4)
	v_mul_f64 v[70:71], v[46:47], v[20:21]
	s_waitcnt lgkmcnt(3)
	v_mul_f64 v[72:73], v[50:51], v[18:19]
	s_waitcnt vmcnt(35)
	v_fmac_f64_e32 v[70:71], v[48:49], v[22:23]
	s_waitcnt lgkmcnt(2)
	v_mul_f64 v[74:75], v[54:55], v[14:15]
	s_waitcnt vmcnt(33)
	v_fmac_f64_e32 v[66:67], v[40:41], v[28:29]
	v_add_f64 v[62:63], v[62:63], v[66:67]
	s_waitcnt vmcnt(31)
	v_fmac_f64_e32 v[68:69], v[44:45], v[26:27]
	v_add_f64 v[62:63], v[62:63], v[68:69]
	v_fma_f64 v[4:5], v[38:39], v[28:29], -v[4:5]
	s_waitcnt vmcnt(29)
	v_fmac_f64_e32 v[72:73], v[52:53], v[24:25]
	v_add_f64 v[62:63], v[62:63], v[70:71]
	v_add_f64 v[2:3], v[2:3], v[4:5]
	v_mul_f64 v[4:5], v[44:45], v[12:13]
	s_waitcnt vmcnt(28)
	v_fmac_f64_e32 v[74:75], v[56:57], v[16:17]
	v_add_f64 v[62:63], v[62:63], v[72:73]
	v_fma_f64 v[4:5], v[42:43], v[26:27], -v[4:5]
	v_add_f64 v[66:67], v[62:63], v[74:75]
	ds_read_b128 v[62:65], v1 offset:1936
	s_waitcnt vmcnt(24) lgkmcnt(2)
	v_mul_f64 v[68:69], v[58:59], v[86:87]
	v_add_f64 v[2:3], v[2:3], v[4:5]
	v_mul_f64 v[4:5], v[48:49], v[20:21]
	s_waitcnt vmcnt(22)
	v_fmac_f64_e32 v[68:69], v[60:61], v[88:89]
	v_fma_f64 v[4:5], v[46:47], v[22:23], -v[4:5]
	v_add_f64 v[70:71], v[66:67], v[68:69]
	ds_read_b128 v[66:69], v1 offset:1952
	v_add_f64 v[2:3], v[2:3], v[4:5]
	v_mul_f64 v[4:5], v[52:53], v[18:19]
	v_fma_f64 v[4:5], v[50:51], v[24:25], -v[4:5]
	v_add_f64 v[2:3], v[2:3], v[4:5]
	v_mul_f64 v[4:5], v[56:57], v[14:15]
	s_waitcnt vmcnt(21) lgkmcnt(1)
	v_mul_f64 v[72:73], v[62:63], v[82:83]
	v_fma_f64 v[4:5], v[54:55], v[16:17], -v[4:5]
	s_waitcnt vmcnt(20)
	v_fmac_f64_e32 v[72:73], v[64:65], v[84:85]
	v_add_f64 v[2:3], v[2:3], v[4:5]
	v_mul_f64 v[4:5], v[60:61], v[86:87]
	v_add_f64 v[74:75], v[70:71], v[72:73]
	ds_read_b128 v[70:73], v1 offset:1968
	s_waitcnt vmcnt(16) lgkmcnt(1)
	v_mul_f64 v[76:77], v[66:67], v[94:95]
	v_fma_f64 v[4:5], v[58:59], v[88:89], -v[4:5]
	s_waitcnt vmcnt(14)
	v_fmac_f64_e32 v[76:77], v[68:69], v[96:97]
	v_add_f64 v[2:3], v[2:3], v[4:5]
	v_mul_f64 v[4:5], v[64:65], v[82:83]
	v_add_f64 v[110:111], v[74:75], v[76:77]
	ds_read_b128 v[74:77], v1 offset:1984
	v_fma_f64 v[4:5], v[62:63], v[84:85], -v[4:5]
	v_add_f64 v[2:3], v[2:3], v[4:5]
	v_mul_f64 v[4:5], v[68:69], v[94:95]
	v_fma_f64 v[4:5], v[66:67], v[96:97], -v[4:5]
	v_add_f64 v[2:3], v[2:3], v[4:5]
	s_waitcnt vmcnt(13) lgkmcnt(1)
	v_mul_f64 v[4:5], v[72:73], v[90:91]
	v_mul_f64 v[112:113], v[70:71], v[90:91]
	s_waitcnt vmcnt(12)
	v_fma_f64 v[4:5], v[70:71], v[92:93], -v[4:5]
	v_fmac_f64_e32 v[112:113], v[72:73], v[92:93]
	v_add_f64 v[2:3], v[2:3], v[4:5]
	s_waitcnt vmcnt(8) lgkmcnt(0)
	v_mul_f64 v[4:5], v[76:77], v[102:103]
	v_add_f64 v[110:111], v[110:111], v[112:113]
	v_mul_f64 v[112:113], v[74:75], v[102:103]
	s_waitcnt vmcnt(6)
	v_fma_f64 v[4:5], v[74:75], v[104:105], -v[4:5]
	v_fmac_f64_e32 v[112:113], v[76:77], v[104:105]
	v_add_f64 v[2:3], v[2:3], v[4:5]
	s_waitcnt vmcnt(5)
	v_mul_f64 v[4:5], v[80:81], v[98:99]
	v_add_f64 v[110:111], v[110:111], v[112:113]
	v_mul_f64 v[112:113], v[78:79], v[98:99]
	s_waitcnt vmcnt(4)
	v_fma_f64 v[4:5], v[78:79], v[100:101], -v[4:5]
	v_fmac_f64_e32 v[112:113], v[80:81], v[100:101]
	v_add_f64 v[2:3], v[2:3], v[4:5]
	v_add_f64 v[110:111], v[110:111], v[112:113]
	s_waitcnt vmcnt(2)
	v_add_f64 v[2:3], v[106:107], -v[2:3]
	s_waitcnt vmcnt(0)
	v_add_f64 v[4:5], v[108:109], -v[110:111]
	buffer_store_dword v3, off, s[0:3], 0 offset:804
	buffer_store_dword v2, off, s[0:3], 0 offset:800
	;; [unrolled: 1-line block ×4, first 2 shown]
	s_and_saveexec_b64 s[4:5], vcc
	s_cbranch_execz .LBB126_307
; %bb.306:
	v_accvgpr_read_b32 v0, a140
	buffer_load_dword v2, v0, s[0:3], 0 offen
	buffer_load_dword v3, v0, s[0:3], 0 offen offset:4
	buffer_load_dword v4, v0, s[0:3], 0 offen offset:8
	;; [unrolled: 1-line block ×3, first 2 shown]
	v_accvgpr_read_b32 v0, a189
	buffer_store_dword v1, off, s[0:3], 0 offset:784
	buffer_store_dword v1, off, s[0:3], 0 offset:788
	buffer_store_dword v1, off, s[0:3], 0 offset:792
	buffer_store_dword v1, off, s[0:3], 0 offset:796
	s_waitcnt vmcnt(4)
	ds_write_b128 v0, v[2:5]
.LBB126_307:
	s_or_b64 exec, exec, s[4:5]
	s_waitcnt lgkmcnt(0)
	; wave barrier
	s_waitcnt lgkmcnt(0)
	buffer_load_dword v2, off, s[0:3], 0 offset:800
	buffer_load_dword v3, off, s[0:3], 0 offset:804
	;; [unrolled: 1-line block ×60, first 2 shown]
	ds_read_b128 v[30:33], v1 offset:1792
	ds_read_b128 v[34:37], v1 offset:1808
	;; [unrolled: 1-line block ×8, first 2 shown]
	v_cmp_lt_u32_e32 vcc, 47, v254
	ds_read_b128 v[82:85], v1 offset:2000
	s_waitcnt vmcnt(56) lgkmcnt(8)
	v_mul_f64 v[62:63], v[30:31], v[6:7]
	v_fmac_f64_e32 v[62:63], v[32:33], v[2:3]
	v_add_f64 v[62:63], v[62:63], 0
	v_mul_f64 v[6:7], v[32:33], v[6:7]
	s_waitcnt vmcnt(52) lgkmcnt(7)
	v_mul_f64 v[64:65], v[34:35], v[8:9]
	v_fmac_f64_e32 v[64:65], v[36:37], v[4:5]
	s_waitcnt vmcnt(50) lgkmcnt(6)
	v_mul_f64 v[66:67], v[38:39], v[10:11]
	v_add_f64 v[62:63], v[62:63], v[64:65]
	s_waitcnt vmcnt(48) lgkmcnt(4)
	v_mul_f64 v[70:71], v[46:47], v[12:13]
	v_fma_f64 v[2:3], v[30:31], v[2:3], -v[6:7]
	s_waitcnt vmcnt(46)
	v_fmac_f64_e32 v[70:71], v[48:49], v[14:15]
	v_mul_f64 v[6:7], v[36:37], v[8:9]
	s_waitcnt vmcnt(44)
	v_mul_f64 v[68:69], v[42:43], v[16:17]
	v_add_f64 v[2:3], v[2:3], 0
	v_fma_f64 v[4:5], v[34:35], v[4:5], -v[6:7]
	v_add_f64 v[2:3], v[2:3], v[4:5]
	s_waitcnt vmcnt(40) lgkmcnt(3)
	v_mul_f64 v[72:73], v[50:51], v[22:23]
	v_mul_f64 v[4:5], v[40:41], v[10:11]
	s_waitcnt vmcnt(38)
	v_fmac_f64_e32 v[66:67], v[40:41], v[28:29]
	v_add_f64 v[62:63], v[62:63], v[66:67]
	s_waitcnt vmcnt(36)
	v_fmac_f64_e32 v[68:69], v[44:45], v[26:27]
	v_add_f64 v[62:63], v[62:63], v[68:69]
	;; [unrolled: 3-line block ×3, first 2 shown]
	s_waitcnt vmcnt(33) lgkmcnt(2)
	v_mul_f64 v[64:65], v[54:55], v[18:19]
	v_add_f64 v[62:63], v[62:63], v[72:73]
	s_waitcnt vmcnt(32)
	v_fmac_f64_e32 v[64:65], v[56:57], v[20:21]
	v_add_f64 v[66:67], v[62:63], v[64:65]
	ds_read_b128 v[62:65], v1 offset:1920
	v_fma_f64 v[4:5], v[38:39], v[28:29], -v[4:5]
	v_add_f64 v[2:3], v[2:3], v[4:5]
	v_mul_f64 v[4:5], v[44:45], v[16:17]
	v_fma_f64 v[4:5], v[42:43], v[26:27], -v[4:5]
	s_waitcnt vmcnt(28) lgkmcnt(2)
	v_mul_f64 v[68:69], v[58:59], v[90:91]
	v_add_f64 v[2:3], v[2:3], v[4:5]
	v_mul_f64 v[4:5], v[48:49], v[12:13]
	s_waitcnt vmcnt(26)
	v_fmac_f64_e32 v[68:69], v[60:61], v[92:93]
	v_fma_f64 v[4:5], v[46:47], v[14:15], -v[4:5]
	v_add_f64 v[70:71], v[66:67], v[68:69]
	ds_read_b128 v[66:69], v1 offset:1936
	s_waitcnt vmcnt(25) lgkmcnt(1)
	v_mul_f64 v[72:73], v[62:63], v[86:87]
	v_add_f64 v[2:3], v[2:3], v[4:5]
	v_mul_f64 v[4:5], v[52:53], v[22:23]
	s_waitcnt vmcnt(24)
	v_fmac_f64_e32 v[72:73], v[64:65], v[88:89]
	v_fma_f64 v[4:5], v[50:51], v[24:25], -v[4:5]
	v_add_f64 v[74:75], v[70:71], v[72:73]
	ds_read_b128 v[70:73], v1 offset:1952
	v_add_f64 v[2:3], v[2:3], v[4:5]
	v_mul_f64 v[4:5], v[56:57], v[18:19]
	v_fma_f64 v[4:5], v[54:55], v[20:21], -v[4:5]
	v_add_f64 v[2:3], v[2:3], v[4:5]
	v_mul_f64 v[4:5], v[60:61], v[90:91]
	s_waitcnt vmcnt(20) lgkmcnt(1)
	v_mul_f64 v[76:77], v[66:67], v[98:99]
	v_fma_f64 v[4:5], v[58:59], v[92:93], -v[4:5]
	s_waitcnt vmcnt(18)
	v_fmac_f64_e32 v[76:77], v[68:69], v[100:101]
	v_add_f64 v[2:3], v[2:3], v[4:5]
	v_mul_f64 v[4:5], v[64:65], v[86:87]
	v_add_f64 v[78:79], v[74:75], v[76:77]
	ds_read_b128 v[74:77], v1 offset:1968
	s_waitcnt vmcnt(17) lgkmcnt(1)
	v_mul_f64 v[80:81], v[70:71], v[94:95]
	v_fma_f64 v[4:5], v[62:63], v[88:89], -v[4:5]
	s_waitcnt vmcnt(16)
	v_fmac_f64_e32 v[80:81], v[72:73], v[96:97]
	v_add_f64 v[2:3], v[2:3], v[4:5]
	v_mul_f64 v[4:5], v[68:69], v[98:99]
	v_add_f64 v[118:119], v[78:79], v[80:81]
	ds_read_b128 v[78:81], v1 offset:1984
	v_fma_f64 v[4:5], v[66:67], v[100:101], -v[4:5]
	v_add_f64 v[2:3], v[2:3], v[4:5]
	v_mul_f64 v[4:5], v[72:73], v[94:95]
	v_fma_f64 v[4:5], v[70:71], v[96:97], -v[4:5]
	v_add_f64 v[2:3], v[2:3], v[4:5]
	s_waitcnt vmcnt(12) lgkmcnt(1)
	v_mul_f64 v[4:5], v[76:77], v[106:107]
	v_mul_f64 v[120:121], v[74:75], v[106:107]
	s_waitcnt vmcnt(10)
	v_fma_f64 v[4:5], v[74:75], v[108:109], -v[4:5]
	v_fmac_f64_e32 v[120:121], v[76:77], v[108:109]
	v_add_f64 v[2:3], v[2:3], v[4:5]
	s_waitcnt vmcnt(9) lgkmcnt(0)
	v_mul_f64 v[4:5], v[80:81], v[102:103]
	v_add_f64 v[0:1], v[118:119], v[120:121]
	v_mul_f64 v[118:119], v[78:79], v[102:103]
	s_waitcnt vmcnt(8)
	v_fma_f64 v[4:5], v[78:79], v[104:105], -v[4:5]
	v_fmac_f64_e32 v[118:119], v[80:81], v[104:105]
	v_add_f64 v[2:3], v[2:3], v[4:5]
	s_waitcnt vmcnt(6)
	v_mul_f64 v[4:5], v[84:85], v[110:111]
	v_add_f64 v[0:1], v[0:1], v[118:119]
	v_mul_f64 v[118:119], v[82:83], v[110:111]
	s_waitcnt vmcnt(4)
	v_fma_f64 v[4:5], v[82:83], v[112:113], -v[4:5]
	v_fmac_f64_e32 v[118:119], v[84:85], v[112:113]
	v_add_f64 v[2:3], v[2:3], v[4:5]
	v_add_f64 v[0:1], v[0:1], v[118:119]
	s_waitcnt vmcnt(2)
	v_add_f64 v[2:3], v[114:115], -v[2:3]
	s_waitcnt vmcnt(0)
	v_add_f64 v[0:1], v[116:117], -v[0:1]
	buffer_store_dword v3, off, s[0:3], 0 offset:788
	buffer_store_dword v2, off, s[0:3], 0 offset:784
	;; [unrolled: 1-line block ×4, first 2 shown]
	s_and_saveexec_b64 s[4:5], vcc
	s_cbranch_execz .LBB126_309
; %bb.308:
	v_accvgpr_read_b32 v0, a141
	buffer_load_dword v2, v0, s[0:3], 0 offen
	buffer_load_dword v3, v0, s[0:3], 0 offen offset:4
	buffer_load_dword v4, v0, s[0:3], 0 offen offset:8
	;; [unrolled: 1-line block ×3, first 2 shown]
	v_mov_b32_e32 v0, 0
	v_accvgpr_read_b32 v1, a189
	buffer_store_dword v0, off, s[0:3], 0 offset:768
	buffer_store_dword v0, off, s[0:3], 0 offset:772
	;; [unrolled: 1-line block ×4, first 2 shown]
	s_waitcnt vmcnt(4)
	ds_write_b128 v1, v[2:5]
.LBB126_309:
	s_or_b64 exec, exec, s[4:5]
	s_waitcnt lgkmcnt(0)
	; wave barrier
	s_waitcnt lgkmcnt(0)
	buffer_load_dword v2, off, s[0:3], 0 offset:784
	buffer_load_dword v3, off, s[0:3], 0 offset:788
	;; [unrolled: 1-line block ×64, first 2 shown]
	v_mov_b32_e32 v1, 0
	ds_read_b128 v[38:41], v1 offset:1776
	ds_read_b128 v[42:45], v1 offset:1792
	;; [unrolled: 1-line block ×7, first 2 shown]
	v_cmp_lt_u32_e32 vcc, 46, v254
	s_waitcnt vmcnt(60) lgkmcnt(6)
	v_mul_f64 v[62:63], v[38:39], v[4:5]
	v_fmac_f64_e32 v[62:63], v[40:41], v[2:3]
	s_waitcnt vmcnt(58) lgkmcnt(5)
	v_mul_f64 v[64:65], v[42:43], v[6:7]
	v_add_f64 v[62:63], v[62:63], 0
	s_waitcnt vmcnt(56) lgkmcnt(4)
	v_mul_f64 v[66:67], v[46:47], v[8:9]
	v_mul_f64 v[4:5], v[40:41], v[4:5]
	s_waitcnt vmcnt(54) lgkmcnt(2)
	v_mul_f64 v[70:71], v[54:55], v[10:11]
	v_fma_f64 v[2:3], v[38:39], v[2:3], -v[4:5]
	v_mul_f64 v[4:5], v[44:45], v[6:7]
	s_waitcnt vmcnt(51)
	v_mul_f64 v[68:69], v[50:51], v[14:15]
	v_add_f64 v[2:3], v[2:3], 0
	s_waitcnt vmcnt(49)
	v_fmac_f64_e32 v[64:65], v[44:45], v[20:21]
	v_add_f64 v[62:63], v[62:63], v[64:65]
	s_waitcnt vmcnt(47)
	v_fmac_f64_e32 v[66:67], v[48:49], v[18:19]
	;; [unrolled: 3-line block ×4, first 2 shown]
	v_add_f64 v[66:67], v[62:63], v[70:71]
	ds_read_b128 v[62:65], v1 offset:1872
	s_waitcnt vmcnt(40) lgkmcnt(2)
	v_mul_f64 v[68:69], v[58:59], v[26:27]
	v_fma_f64 v[4:5], v[42:43], v[20:21], -v[4:5]
	s_waitcnt vmcnt(38)
	v_fmac_f64_e32 v[68:69], v[60:61], v[28:29]
	v_add_f64 v[70:71], v[66:67], v[68:69]
	ds_read_b128 v[66:69], v1 offset:1888
	s_waitcnt vmcnt(37) lgkmcnt(1)
	v_mul_f64 v[72:73], v[62:63], v[22:23]
	s_waitcnt vmcnt(36)
	v_fmac_f64_e32 v[72:73], v[64:65], v[24:25]
	v_add_f64 v[2:3], v[2:3], v[4:5]
	v_mul_f64 v[4:5], v[48:49], v[8:9]
	v_add_f64 v[74:75], v[70:71], v[72:73]
	ds_read_b128 v[70:73], v1 offset:1904
	s_waitcnt vmcnt(32) lgkmcnt(1)
	v_mul_f64 v[76:77], v[66:67], v[34:35]
	v_fma_f64 v[4:5], v[46:47], v[18:19], -v[4:5]
	s_waitcnt vmcnt(30)
	v_fmac_f64_e32 v[76:77], v[68:69], v[36:37]
	v_add_f64 v[2:3], v[2:3], v[4:5]
	v_mul_f64 v[4:5], v[52:53], v[14:15]
	v_add_f64 v[78:79], v[74:75], v[76:77]
	ds_read_b128 v[74:77], v1 offset:1920
	v_fma_f64 v[4:5], v[50:51], v[16:17], -v[4:5]
	v_add_f64 v[2:3], v[2:3], v[4:5]
	v_mul_f64 v[4:5], v[56:57], v[10:11]
	v_fma_f64 v[4:5], v[54:55], v[12:13], -v[4:5]
	s_waitcnt vmcnt(29) lgkmcnt(1)
	v_mul_f64 v[80:81], v[70:71], v[30:31]
	v_add_f64 v[2:3], v[2:3], v[4:5]
	v_mul_f64 v[4:5], v[60:61], v[26:27]
	s_waitcnt vmcnt(28)
	v_fmac_f64_e32 v[80:81], v[72:73], v[32:33]
	v_fma_f64 v[4:5], v[58:59], v[28:29], -v[4:5]
	v_add_f64 v[82:83], v[78:79], v[80:81]
	ds_read_b128 v[78:81], v1 offset:1936
	s_waitcnt vmcnt(24) lgkmcnt(1)
	v_mul_f64 v[84:85], v[74:75], v[102:103]
	v_add_f64 v[2:3], v[2:3], v[4:5]
	v_mul_f64 v[4:5], v[64:65], v[22:23]
	s_waitcnt vmcnt(22)
	v_fmac_f64_e32 v[84:85], v[76:77], v[104:105]
	v_fma_f64 v[4:5], v[62:63], v[24:25], -v[4:5]
	v_add_f64 v[86:87], v[82:83], v[84:85]
	ds_read_b128 v[82:85], v1 offset:1952
	v_add_f64 v[2:3], v[2:3], v[4:5]
	v_mul_f64 v[4:5], v[68:69], v[34:35]
	v_fma_f64 v[4:5], v[66:67], v[36:37], -v[4:5]
	v_add_f64 v[2:3], v[2:3], v[4:5]
	v_mul_f64 v[4:5], v[72:73], v[30:31]
	s_waitcnt vmcnt(21) lgkmcnt(1)
	v_mul_f64 v[88:89], v[78:79], v[98:99]
	v_fma_f64 v[4:5], v[70:71], v[32:33], -v[4:5]
	s_waitcnt vmcnt(20)
	v_fmac_f64_e32 v[88:89], v[80:81], v[100:101]
	v_add_f64 v[2:3], v[2:3], v[4:5]
	v_mul_f64 v[4:5], v[76:77], v[102:103]
	v_add_f64 v[90:91], v[86:87], v[88:89]
	ds_read_b128 v[86:89], v1 offset:1968
	s_waitcnt vmcnt(16) lgkmcnt(1)
	v_mul_f64 v[92:93], v[82:83], v[110:111]
	v_fma_f64 v[4:5], v[74:75], v[104:105], -v[4:5]
	s_waitcnt vmcnt(14)
	v_fmac_f64_e32 v[92:93], v[84:85], v[112:113]
	v_add_f64 v[2:3], v[2:3], v[4:5]
	v_mul_f64 v[4:5], v[80:81], v[98:99]
	v_add_f64 v[126:127], v[90:91], v[92:93]
	ds_read_b128 v[90:93], v1 offset:1984
	v_fma_f64 v[4:5], v[78:79], v[100:101], -v[4:5]
	v_add_f64 v[2:3], v[2:3], v[4:5]
	v_mul_f64 v[4:5], v[84:85], v[110:111]
	v_fma_f64 v[4:5], v[82:83], v[112:113], -v[4:5]
	v_add_f64 v[2:3], v[2:3], v[4:5]
	s_waitcnt vmcnt(13) lgkmcnt(1)
	v_mul_f64 v[4:5], v[88:89], v[106:107]
	v_mul_f64 v[128:129], v[86:87], v[106:107]
	s_waitcnt vmcnt(12)
	v_fma_f64 v[4:5], v[86:87], v[108:109], -v[4:5]
	v_fmac_f64_e32 v[128:129], v[88:89], v[108:109]
	v_add_f64 v[2:3], v[2:3], v[4:5]
	s_waitcnt vmcnt(8) lgkmcnt(0)
	v_mul_f64 v[4:5], v[92:93], v[118:119]
	v_add_f64 v[126:127], v[126:127], v[128:129]
	v_mul_f64 v[128:129], v[90:91], v[118:119]
	s_waitcnt vmcnt(6)
	v_fma_f64 v[4:5], v[90:91], v[120:121], -v[4:5]
	v_fmac_f64_e32 v[128:129], v[92:93], v[120:121]
	v_add_f64 v[2:3], v[2:3], v[4:5]
	s_waitcnt vmcnt(5)
	v_mul_f64 v[4:5], v[96:97], v[114:115]
	v_add_f64 v[126:127], v[126:127], v[128:129]
	v_mul_f64 v[128:129], v[94:95], v[114:115]
	s_waitcnt vmcnt(4)
	v_fma_f64 v[4:5], v[94:95], v[116:117], -v[4:5]
	v_fmac_f64_e32 v[128:129], v[96:97], v[116:117]
	v_add_f64 v[2:3], v[2:3], v[4:5]
	v_add_f64 v[126:127], v[126:127], v[128:129]
	s_waitcnt vmcnt(2)
	v_add_f64 v[2:3], v[122:123], -v[2:3]
	s_waitcnt vmcnt(0)
	v_add_f64 v[4:5], v[124:125], -v[126:127]
	buffer_store_dword v3, off, s[0:3], 0 offset:772
	buffer_store_dword v2, off, s[0:3], 0 offset:768
	;; [unrolled: 1-line block ×4, first 2 shown]
	s_and_saveexec_b64 s[4:5], vcc
	s_cbranch_execz .LBB126_311
; %bb.310:
	v_accvgpr_read_b32 v0, a142
	buffer_load_dword v2, v0, s[0:3], 0 offen
	buffer_load_dword v3, v0, s[0:3], 0 offen offset:4
	buffer_load_dword v4, v0, s[0:3], 0 offen offset:8
	;; [unrolled: 1-line block ×3, first 2 shown]
	v_accvgpr_read_b32 v0, a189
	buffer_store_dword v1, off, s[0:3], 0 offset:752
	buffer_store_dword v1, off, s[0:3], 0 offset:756
	;; [unrolled: 1-line block ×4, first 2 shown]
	s_waitcnt vmcnt(4)
	ds_write_b128 v0, v[2:5]
.LBB126_311:
	s_or_b64 exec, exec, s[4:5]
	s_waitcnt lgkmcnt(0)
	; wave barrier
	s_waitcnt lgkmcnt(0)
	buffer_load_dword v2, off, s[0:3], 0 offset:768
	buffer_load_dword v3, off, s[0:3], 0 offset:772
	;; [unrolled: 1-line block ×64, first 2 shown]
	ds_read_b128 v[46:49], v1 offset:1760
	ds_read_b128 v[50:53], v1 offset:1776
	;; [unrolled: 1-line block ×4, first 2 shown]
	buffer_load_dword v130, off, s[0:3], 0 offset:752
	buffer_load_dword v131, off, s[0:3], 0 offset:756
	;; [unrolled: 1-line block ×4, first 2 shown]
	v_cmp_lt_u32_e32 vcc, 45, v254
	ds_read_b128 v[106:109], v1 offset:2000
	s_waitcnt vmcnt(62) lgkmcnt(4)
	v_mul_f64 v[62:63], v[46:47], v[4:5]
	v_fmac_f64_e32 v[62:63], v[48:49], v[2:3]
	v_add_f64 v[62:63], v[62:63], 0
	s_waitcnt lgkmcnt(2)
	v_mul_f64 v[66:67], v[54:55], v[6:7]
	v_mul_f64 v[4:5], v[48:49], v[4:5]
	v_fma_f64 v[2:3], v[46:47], v[2:3], -v[4:5]
	s_waitcnt vmcnt(58) lgkmcnt(1)
	v_mul_f64 v[68:69], v[58:59], v[12:13]
	v_add_f64 v[2:3], v[2:3], 0
	s_waitcnt vmcnt(56)
	v_mul_f64 v[64:65], v[50:51], v[18:19]
	v_mul_f64 v[4:5], v[52:53], v[18:19]
	s_waitcnt vmcnt(53)
	v_fmac_f64_e32 v[66:67], v[56:57], v[16:17]
	s_waitcnt vmcnt(52)
	v_fmac_f64_e32 v[64:65], v[52:53], v[20:21]
	v_add_f64 v[70:71], v[62:63], v[64:65]
	ds_read_b128 v[62:65], v1 offset:1824
	v_add_f64 v[66:67], v[70:71], v[66:67]
	s_waitcnt vmcnt(50)
	v_fmac_f64_e32 v[68:69], v[60:61], v[14:15]
	v_add_f64 v[70:71], v[66:67], v[68:69]
	ds_read_b128 v[66:69], v1 offset:1840
	s_waitcnt vmcnt(49) lgkmcnt(1)
	v_mul_f64 v[72:73], v[62:63], v[8:9]
	s_waitcnt vmcnt(48)
	v_fmac_f64_e32 v[72:73], v[64:65], v[10:11]
	v_add_f64 v[74:75], v[70:71], v[72:73]
	ds_read_b128 v[70:73], v1 offset:1856
	s_waitcnt vmcnt(44) lgkmcnt(1)
	v_mul_f64 v[76:77], v[66:67], v[26:27]
	;; [unrolled: 6-line block ×3, first 2 shown]
	s_waitcnt vmcnt(40)
	v_fmac_f64_e32 v[80:81], v[72:73], v[24:25]
	v_add_f64 v[82:83], v[78:79], v[80:81]
	ds_read_b128 v[78:81], v1 offset:1888
	v_fma_f64 v[4:5], v[50:51], v[20:21], -v[4:5]
	v_add_f64 v[2:3], v[2:3], v[4:5]
	v_mul_f64 v[4:5], v[56:57], v[6:7]
	s_waitcnt vmcnt(36) lgkmcnt(1)
	v_mul_f64 v[84:85], v[74:75], v[34:35]
	v_fma_f64 v[4:5], v[54:55], v[16:17], -v[4:5]
	s_waitcnt vmcnt(34)
	v_fmac_f64_e32 v[84:85], v[76:77], v[36:37]
	v_add_f64 v[2:3], v[2:3], v[4:5]
	v_mul_f64 v[4:5], v[60:61], v[12:13]
	v_add_f64 v[86:87], v[82:83], v[84:85]
	ds_read_b128 v[82:85], v1 offset:1904
	s_waitcnt vmcnt(33) lgkmcnt(1)
	v_mul_f64 v[88:89], v[78:79], v[30:31]
	v_fma_f64 v[4:5], v[58:59], v[14:15], -v[4:5]
	s_waitcnt vmcnt(32)
	v_fmac_f64_e32 v[88:89], v[80:81], v[32:33]
	v_add_f64 v[2:3], v[2:3], v[4:5]
	v_mul_f64 v[4:5], v[64:65], v[8:9]
	v_add_f64 v[90:91], v[86:87], v[88:89]
	ds_read_b128 v[86:89], v1 offset:1920
	v_fma_f64 v[4:5], v[62:63], v[10:11], -v[4:5]
	v_add_f64 v[2:3], v[2:3], v[4:5]
	v_mul_f64 v[4:5], v[68:69], v[26:27]
	v_fma_f64 v[4:5], v[66:67], v[28:29], -v[4:5]
	s_waitcnt vmcnt(28) lgkmcnt(1)
	v_mul_f64 v[92:93], v[82:83], v[42:43]
	v_add_f64 v[2:3], v[2:3], v[4:5]
	v_mul_f64 v[4:5], v[72:73], v[22:23]
	s_waitcnt vmcnt(26)
	v_fmac_f64_e32 v[92:93], v[84:85], v[44:45]
	v_fma_f64 v[4:5], v[70:71], v[24:25], -v[4:5]
	v_add_f64 v[94:95], v[90:91], v[92:93]
	ds_read_b128 v[90:93], v1 offset:1936
	s_waitcnt vmcnt(25) lgkmcnt(1)
	v_mul_f64 v[96:97], v[86:87], v[38:39]
	v_add_f64 v[2:3], v[2:3], v[4:5]
	v_mul_f64 v[4:5], v[76:77], v[34:35]
	s_waitcnt vmcnt(24)
	v_fmac_f64_e32 v[96:97], v[88:89], v[40:41]
	v_fma_f64 v[4:5], v[74:75], v[36:37], -v[4:5]
	v_add_f64 v[98:99], v[94:95], v[96:97]
	ds_read_b128 v[94:97], v1 offset:1952
	v_add_f64 v[2:3], v[2:3], v[4:5]
	v_mul_f64 v[4:5], v[80:81], v[30:31]
	v_fma_f64 v[4:5], v[78:79], v[32:33], -v[4:5]
	v_add_f64 v[2:3], v[2:3], v[4:5]
	v_mul_f64 v[4:5], v[84:85], v[42:43]
	s_waitcnt vmcnt(20) lgkmcnt(1)
	v_mul_f64 v[100:101], v[90:91], v[114:115]
	v_fma_f64 v[4:5], v[82:83], v[44:45], -v[4:5]
	s_waitcnt vmcnt(18)
	v_fmac_f64_e32 v[100:101], v[92:93], v[116:117]
	v_add_f64 v[2:3], v[2:3], v[4:5]
	v_mul_f64 v[4:5], v[88:89], v[38:39]
	v_add_f64 v[102:103], v[98:99], v[100:101]
	ds_read_b128 v[98:101], v1 offset:1968
	s_waitcnt vmcnt(17) lgkmcnt(1)
	v_mul_f64 v[104:105], v[94:95], v[110:111]
	v_fma_f64 v[4:5], v[86:87], v[40:41], -v[4:5]
	s_waitcnt vmcnt(16)
	v_fmac_f64_e32 v[104:105], v[96:97], v[112:113]
	v_add_f64 v[2:3], v[2:3], v[4:5]
	v_mul_f64 v[4:5], v[92:93], v[114:115]
	v_add_f64 v[134:135], v[102:103], v[104:105]
	ds_read_b128 v[102:105], v1 offset:1984
	v_fma_f64 v[4:5], v[90:91], v[116:117], -v[4:5]
	v_add_f64 v[2:3], v[2:3], v[4:5]
	v_mul_f64 v[4:5], v[96:97], v[110:111]
	v_fma_f64 v[4:5], v[94:95], v[112:113], -v[4:5]
	v_add_f64 v[2:3], v[2:3], v[4:5]
	s_waitcnt vmcnt(12) lgkmcnt(1)
	v_mul_f64 v[4:5], v[100:101], v[122:123]
	v_mul_f64 v[136:137], v[98:99], v[122:123]
	s_waitcnt vmcnt(10)
	v_fma_f64 v[4:5], v[98:99], v[124:125], -v[4:5]
	v_fmac_f64_e32 v[136:137], v[100:101], v[124:125]
	v_add_f64 v[2:3], v[2:3], v[4:5]
	s_waitcnt vmcnt(9) lgkmcnt(0)
	v_mul_f64 v[4:5], v[104:105], v[118:119]
	v_add_f64 v[0:1], v[134:135], v[136:137]
	v_mul_f64 v[134:135], v[102:103], v[118:119]
	s_waitcnt vmcnt(8)
	v_fma_f64 v[4:5], v[102:103], v[120:121], -v[4:5]
	v_fmac_f64_e32 v[134:135], v[104:105], v[120:121]
	v_add_f64 v[2:3], v[2:3], v[4:5]
	s_waitcnt vmcnt(6)
	v_mul_f64 v[4:5], v[108:109], v[126:127]
	v_add_f64 v[0:1], v[0:1], v[134:135]
	v_mul_f64 v[134:135], v[106:107], v[126:127]
	s_waitcnt vmcnt(4)
	v_fma_f64 v[4:5], v[106:107], v[128:129], -v[4:5]
	v_fmac_f64_e32 v[134:135], v[108:109], v[128:129]
	v_add_f64 v[2:3], v[2:3], v[4:5]
	v_add_f64 v[0:1], v[0:1], v[134:135]
	s_waitcnt vmcnt(2)
	v_add_f64 v[2:3], v[130:131], -v[2:3]
	s_waitcnt vmcnt(0)
	v_add_f64 v[0:1], v[132:133], -v[0:1]
	buffer_store_dword v3, off, s[0:3], 0 offset:756
	buffer_store_dword v2, off, s[0:3], 0 offset:752
	buffer_store_dword v1, off, s[0:3], 0 offset:764
	buffer_store_dword v0, off, s[0:3], 0 offset:760
	s_and_saveexec_b64 s[4:5], vcc
	s_cbranch_execz .LBB126_313
; %bb.312:
	v_accvgpr_read_b32 v0, a143
	buffer_load_dword v2, v0, s[0:3], 0 offen
	buffer_load_dword v3, v0, s[0:3], 0 offen offset:4
	buffer_load_dword v4, v0, s[0:3], 0 offen offset:8
	;; [unrolled: 1-line block ×3, first 2 shown]
	v_mov_b32_e32 v0, 0
	v_accvgpr_read_b32 v1, a189
	buffer_store_dword v0, off, s[0:3], 0 offset:736
	buffer_store_dword v0, off, s[0:3], 0 offset:740
	;; [unrolled: 1-line block ×4, first 2 shown]
	s_waitcnt vmcnt(4)
	ds_write_b128 v1, v[2:5]
.LBB126_313:
	s_or_b64 exec, exec, s[4:5]
	s_waitcnt lgkmcnt(0)
	; wave barrier
	s_waitcnt lgkmcnt(0)
	buffer_load_dword v2, off, s[0:3], 0 offset:752
	buffer_load_dword v3, off, s[0:3], 0 offset:756
	;; [unrolled: 1-line block ×68, first 2 shown]
	v_mov_b32_e32 v1, 0
	buffer_load_dword v138, off, s[0:3], 0 offset:736
	buffer_load_dword v139, off, s[0:3], 0 offset:740
	;; [unrolled: 1-line block ×3, first 2 shown]
	ds_read_b128 v[46:49], v1 offset:1744
	ds_read_b128 v[50:53], v1 offset:1760
	buffer_load_dword v141, off, s[0:3], 0 offset:748
	ds_read_b128 v[54:57], v1 offset:1776
	ds_read_b128 v[58:61], v1 offset:1792
	;; [unrolled: 1-line block ×3, first 2 shown]
	v_cmp_lt_u32_e32 vcc, 44, v254
	s_waitcnt vmcnt(62) lgkmcnt(4)
	v_mul_f64 v[62:63], v[46:47], v[6:7]
	v_fmac_f64_e32 v[62:63], v[48:49], v[2:3]
	v_add_f64 v[62:63], v[62:63], 0
	v_mul_f64 v[6:7], v[48:49], v[6:7]
	s_waitcnt lgkmcnt(3)
	v_mul_f64 v[64:65], v[50:51], v[10:11]
	v_fmac_f64_e32 v[64:65], v[52:53], v[4:5]
	v_add_f64 v[62:63], v[62:63], v[64:65]
	v_fma_f64 v[2:3], v[46:47], v[2:3], -v[6:7]
	s_waitcnt vmcnt(60) lgkmcnt(2)
	v_mul_f64 v[64:65], v[54:55], v[12:13]
	v_fmac_f64_e32 v[64:65], v[56:57], v[8:9]
	v_add_f64 v[66:67], v[62:63], v[64:65]
	ds_read_b128 v[62:65], v1 offset:1808
	s_waitcnt vmcnt(56) lgkmcnt(2)
	v_mul_f64 v[68:69], v[58:59], v[18:19]
	v_mul_f64 v[6:7], v[52:53], v[10:11]
	s_waitcnt vmcnt(54)
	v_fmac_f64_e32 v[68:69], v[60:61], v[20:21]
	v_add_f64 v[70:71], v[66:67], v[68:69]
	ds_read_b128 v[66:69], v1 offset:1824
	s_waitcnt vmcnt(53) lgkmcnt(1)
	v_mul_f64 v[72:73], v[62:63], v[14:15]
	s_waitcnt vmcnt(52)
	v_fmac_f64_e32 v[72:73], v[64:65], v[16:17]
	v_add_f64 v[74:75], v[70:71], v[72:73]
	ds_read_b128 v[70:73], v1 offset:1840
	s_waitcnt vmcnt(48) lgkmcnt(1)
	;; [unrolled: 6-line block ×4, first 2 shown]
	v_mul_f64 v[84:85], v[74:75], v[34:35]
	s_waitcnt vmcnt(38)
	v_fmac_f64_e32 v[84:85], v[76:77], v[36:37]
	v_add_f64 v[2:3], v[2:3], 0
	v_fma_f64 v[4:5], v[50:51], v[4:5], -v[6:7]
	v_add_f64 v[86:87], v[82:83], v[84:85]
	ds_read_b128 v[82:85], v1 offset:1888
	v_add_f64 v[2:3], v[2:3], v[4:5]
	v_mul_f64 v[4:5], v[56:57], v[12:13]
	v_fma_f64 v[4:5], v[54:55], v[8:9], -v[4:5]
	v_add_f64 v[2:3], v[2:3], v[4:5]
	v_mul_f64 v[4:5], v[60:61], v[18:19]
	s_waitcnt vmcnt(37) lgkmcnt(1)
	v_mul_f64 v[88:89], v[78:79], v[30:31]
	v_fma_f64 v[4:5], v[58:59], v[20:21], -v[4:5]
	s_waitcnt vmcnt(36)
	v_fmac_f64_e32 v[88:89], v[80:81], v[32:33]
	v_add_f64 v[2:3], v[2:3], v[4:5]
	v_mul_f64 v[4:5], v[64:65], v[14:15]
	v_add_f64 v[90:91], v[86:87], v[88:89]
	ds_read_b128 v[86:89], v1 offset:1904
	s_waitcnt vmcnt(32) lgkmcnt(1)
	v_mul_f64 v[92:93], v[82:83], v[42:43]
	v_fma_f64 v[4:5], v[62:63], v[16:17], -v[4:5]
	s_waitcnt vmcnt(30)
	v_fmac_f64_e32 v[92:93], v[84:85], v[44:45]
	v_add_f64 v[2:3], v[2:3], v[4:5]
	v_mul_f64 v[4:5], v[68:69], v[26:27]
	v_add_f64 v[94:95], v[90:91], v[92:93]
	ds_read_b128 v[90:93], v1 offset:1920
	v_fma_f64 v[4:5], v[66:67], v[28:29], -v[4:5]
	v_add_f64 v[2:3], v[2:3], v[4:5]
	v_mul_f64 v[4:5], v[72:73], v[22:23]
	v_fma_f64 v[4:5], v[70:71], v[24:25], -v[4:5]
	s_waitcnt vmcnt(29) lgkmcnt(1)
	v_mul_f64 v[96:97], v[86:87], v[38:39]
	v_add_f64 v[2:3], v[2:3], v[4:5]
	v_mul_f64 v[4:5], v[76:77], v[34:35]
	s_waitcnt vmcnt(28)
	v_fmac_f64_e32 v[96:97], v[88:89], v[40:41]
	v_fma_f64 v[4:5], v[74:75], v[36:37], -v[4:5]
	v_add_f64 v[98:99], v[94:95], v[96:97]
	ds_read_b128 v[94:97], v1 offset:1936
	s_waitcnt vmcnt(24) lgkmcnt(1)
	v_mul_f64 v[100:101], v[90:91], v[118:119]
	v_add_f64 v[2:3], v[2:3], v[4:5]
	v_mul_f64 v[4:5], v[80:81], v[30:31]
	s_waitcnt vmcnt(22)
	v_fmac_f64_e32 v[100:101], v[92:93], v[120:121]
	v_fma_f64 v[4:5], v[78:79], v[32:33], -v[4:5]
	v_add_f64 v[102:103], v[98:99], v[100:101]
	ds_read_b128 v[98:101], v1 offset:1952
	v_add_f64 v[2:3], v[2:3], v[4:5]
	v_mul_f64 v[4:5], v[84:85], v[42:43]
	v_fma_f64 v[4:5], v[82:83], v[44:45], -v[4:5]
	v_add_f64 v[2:3], v[2:3], v[4:5]
	v_mul_f64 v[4:5], v[88:89], v[38:39]
	s_waitcnt vmcnt(21) lgkmcnt(1)
	v_mul_f64 v[104:105], v[94:95], v[114:115]
	v_fma_f64 v[4:5], v[86:87], v[40:41], -v[4:5]
	s_waitcnt vmcnt(20)
	v_fmac_f64_e32 v[104:105], v[96:97], v[116:117]
	v_add_f64 v[2:3], v[2:3], v[4:5]
	v_mul_f64 v[4:5], v[92:93], v[118:119]
	v_add_f64 v[106:107], v[102:103], v[104:105]
	ds_read_b128 v[102:105], v1 offset:1968
	s_waitcnt vmcnt(16) lgkmcnt(1)
	v_mul_f64 v[108:109], v[98:99], v[126:127]
	v_fma_f64 v[4:5], v[90:91], v[120:121], -v[4:5]
	s_waitcnt vmcnt(14)
	v_fmac_f64_e32 v[108:109], v[100:101], v[128:129]
	v_add_f64 v[2:3], v[2:3], v[4:5]
	v_mul_f64 v[4:5], v[96:97], v[114:115]
	v_add_f64 v[142:143], v[106:107], v[108:109]
	ds_read_b128 v[106:109], v1 offset:1984
	v_fma_f64 v[4:5], v[94:95], v[116:117], -v[4:5]
	v_add_f64 v[2:3], v[2:3], v[4:5]
	v_mul_f64 v[4:5], v[100:101], v[126:127]
	v_fma_f64 v[4:5], v[98:99], v[128:129], -v[4:5]
	v_add_f64 v[2:3], v[2:3], v[4:5]
	s_waitcnt vmcnt(13) lgkmcnt(1)
	v_mul_f64 v[4:5], v[104:105], v[122:123]
	v_mul_f64 v[144:145], v[102:103], v[122:123]
	s_waitcnt vmcnt(12)
	v_fma_f64 v[4:5], v[102:103], v[124:125], -v[4:5]
	v_fmac_f64_e32 v[144:145], v[104:105], v[124:125]
	v_add_f64 v[2:3], v[2:3], v[4:5]
	s_waitcnt vmcnt(8) lgkmcnt(0)
	v_mul_f64 v[4:5], v[108:109], v[134:135]
	v_add_f64 v[142:143], v[142:143], v[144:145]
	v_mul_f64 v[144:145], v[106:107], v[134:135]
	s_waitcnt vmcnt(6)
	v_fma_f64 v[4:5], v[106:107], v[136:137], -v[4:5]
	v_fmac_f64_e32 v[144:145], v[108:109], v[136:137]
	v_add_f64 v[2:3], v[2:3], v[4:5]
	s_waitcnt vmcnt(5)
	v_mul_f64 v[4:5], v[112:113], v[130:131]
	v_add_f64 v[142:143], v[142:143], v[144:145]
	v_mul_f64 v[144:145], v[110:111], v[130:131]
	s_waitcnt vmcnt(4)
	v_fma_f64 v[4:5], v[110:111], v[132:133], -v[4:5]
	v_fmac_f64_e32 v[144:145], v[112:113], v[132:133]
	v_add_f64 v[2:3], v[2:3], v[4:5]
	v_add_f64 v[142:143], v[142:143], v[144:145]
	s_waitcnt vmcnt(2)
	v_add_f64 v[2:3], v[138:139], -v[2:3]
	s_waitcnt vmcnt(0)
	v_add_f64 v[4:5], v[140:141], -v[142:143]
	buffer_store_dword v3, off, s[0:3], 0 offset:740
	buffer_store_dword v2, off, s[0:3], 0 offset:736
	;; [unrolled: 1-line block ×4, first 2 shown]
	s_and_saveexec_b64 s[4:5], vcc
	s_cbranch_execz .LBB126_315
; %bb.314:
	v_accvgpr_read_b32 v0, a144
	buffer_load_dword v2, v0, s[0:3], 0 offen
	buffer_load_dword v3, v0, s[0:3], 0 offen offset:4
	buffer_load_dword v4, v0, s[0:3], 0 offen offset:8
	;; [unrolled: 1-line block ×3, first 2 shown]
	v_accvgpr_read_b32 v0, a189
	buffer_store_dword v1, off, s[0:3], 0 offset:720
	buffer_store_dword v1, off, s[0:3], 0 offset:724
	;; [unrolled: 1-line block ×4, first 2 shown]
	s_waitcnt vmcnt(4)
	ds_write_b128 v0, v[2:5]
.LBB126_315:
	s_or_b64 exec, exec, s[4:5]
	s_waitcnt lgkmcnt(0)
	; wave barrier
	s_waitcnt lgkmcnt(0)
	buffer_load_dword v2, off, s[0:3], 0 offset:736
	buffer_load_dword v3, off, s[0:3], 0 offset:740
	;; [unrolled: 1-line block ×72, first 2 shown]
	ds_read_b128 v[52:55], v1 offset:1728
	buffer_load_dword v146, off, s[0:3], 0 offset:720
	buffer_load_dword v147, off, s[0:3], 0 offset:724
	;; [unrolled: 1-line block ×4, first 2 shown]
	ds_read_b128 v[56:59], v1 offset:1744
	ds_read_b128 v[60:63], v1 offset:1760
	;; [unrolled: 1-line block ×3, first 2 shown]
	v_cmp_lt_u32_e32 vcc, 43, v254
	ds_read_b128 v[120:123], v1 offset:2000
	s_waitcnt vmcnt(62) lgkmcnt(4)
	v_mul_f64 v[68:69], v[52:53], v[8:9]
	v_fmac_f64_e32 v[68:69], v[54:55], v[2:3]
	v_add_f64 v[68:69], v[68:69], 0
	v_mul_f64 v[8:9], v[54:55], v[8:9]
	s_waitcnt lgkmcnt(3)
	v_mul_f64 v[70:71], v[56:57], v[10:11]
	v_fmac_f64_e32 v[70:71], v[58:59], v[4:5]
	v_add_f64 v[68:69], v[68:69], v[70:71]
	v_fma_f64 v[2:3], v[52:53], v[2:3], -v[8:9]
	s_waitcnt lgkmcnt(2)
	v_mul_f64 v[70:71], v[60:61], v[12:13]
	v_fmac_f64_e32 v[70:71], v[62:63], v[6:7]
	v_add_f64 v[72:73], v[68:69], v[70:71]
	ds_read_b128 v[68:71], v1 offset:1792
	s_waitcnt vmcnt(60) lgkmcnt(2)
	v_mul_f64 v[74:75], v[64:65], v[18:19]
	v_mul_f64 v[8:9], v[58:59], v[10:11]
	s_waitcnt vmcnt(58)
	v_fmac_f64_e32 v[74:75], v[66:67], v[20:21]
	v_add_f64 v[76:77], v[72:73], v[74:75]
	ds_read_b128 v[72:75], v1 offset:1808
	s_waitcnt vmcnt(57) lgkmcnt(1)
	v_mul_f64 v[78:79], v[68:69], v[14:15]
	s_waitcnt vmcnt(56)
	v_fmac_f64_e32 v[78:79], v[70:71], v[16:17]
	v_add_f64 v[80:81], v[76:77], v[78:79]
	ds_read_b128 v[76:79], v1 offset:1824
	s_waitcnt vmcnt(52) lgkmcnt(1)
	;; [unrolled: 6-line block ×4, first 2 shown]
	v_mul_f64 v[90:91], v[80:81], v[34:35]
	s_waitcnt vmcnt(42)
	v_fmac_f64_e32 v[90:91], v[82:83], v[36:37]
	v_add_f64 v[2:3], v[2:3], 0
	v_fma_f64 v[4:5], v[56:57], v[4:5], -v[8:9]
	v_add_f64 v[92:93], v[88:89], v[90:91]
	ds_read_b128 v[88:91], v1 offset:1872
	s_waitcnt vmcnt(41) lgkmcnt(1)
	v_mul_f64 v[94:95], v[84:85], v[30:31]
	v_add_f64 v[2:3], v[2:3], v[4:5]
	v_mul_f64 v[4:5], v[62:63], v[12:13]
	s_waitcnt vmcnt(40)
	v_fmac_f64_e32 v[94:95], v[86:87], v[32:33]
	v_fma_f64 v[4:5], v[60:61], v[6:7], -v[4:5]
	v_add_f64 v[96:97], v[92:93], v[94:95]
	ds_read_b128 v[92:95], v1 offset:1888
	v_add_f64 v[2:3], v[2:3], v[4:5]
	v_mul_f64 v[4:5], v[66:67], v[18:19]
	v_fma_f64 v[4:5], v[64:65], v[20:21], -v[4:5]
	v_add_f64 v[2:3], v[2:3], v[4:5]
	v_mul_f64 v[4:5], v[70:71], v[14:15]
	s_waitcnt vmcnt(36) lgkmcnt(1)
	v_mul_f64 v[98:99], v[88:89], v[42:43]
	v_fma_f64 v[4:5], v[68:69], v[16:17], -v[4:5]
	s_waitcnt vmcnt(34)
	v_fmac_f64_e32 v[98:99], v[90:91], v[44:45]
	v_add_f64 v[2:3], v[2:3], v[4:5]
	v_mul_f64 v[4:5], v[74:75], v[26:27]
	v_add_f64 v[100:101], v[96:97], v[98:99]
	ds_read_b128 v[96:99], v1 offset:1904
	s_waitcnt vmcnt(33) lgkmcnt(1)
	v_mul_f64 v[102:103], v[92:93], v[38:39]
	v_fma_f64 v[4:5], v[72:73], v[28:29], -v[4:5]
	s_waitcnt vmcnt(32)
	v_fmac_f64_e32 v[102:103], v[94:95], v[40:41]
	v_add_f64 v[2:3], v[2:3], v[4:5]
	v_mul_f64 v[4:5], v[78:79], v[22:23]
	v_add_f64 v[104:105], v[100:101], v[102:103]
	ds_read_b128 v[100:103], v1 offset:1920
	v_fma_f64 v[4:5], v[76:77], v[24:25], -v[4:5]
	v_add_f64 v[2:3], v[2:3], v[4:5]
	v_mul_f64 v[4:5], v[82:83], v[34:35]
	v_fma_f64 v[4:5], v[80:81], v[36:37], -v[4:5]
	s_waitcnt vmcnt(28) lgkmcnt(1)
	v_mul_f64 v[106:107], v[96:97], v[50:51]
	v_add_f64 v[2:3], v[2:3], v[4:5]
	v_mul_f64 v[4:5], v[86:87], v[30:31]
	s_waitcnt vmcnt(26)
	v_fmac_f64_e32 v[106:107], v[98:99], v[124:125]
	v_fma_f64 v[4:5], v[84:85], v[32:33], -v[4:5]
	v_add_f64 v[108:109], v[104:105], v[106:107]
	ds_read_b128 v[104:107], v1 offset:1936
	s_waitcnt vmcnt(25) lgkmcnt(1)
	v_mul_f64 v[110:111], v[100:101], v[46:47]
	v_add_f64 v[2:3], v[2:3], v[4:5]
	v_mul_f64 v[4:5], v[90:91], v[42:43]
	s_waitcnt vmcnt(24)
	v_fmac_f64_e32 v[110:111], v[102:103], v[48:49]
	v_fma_f64 v[4:5], v[88:89], v[44:45], -v[4:5]
	v_add_f64 v[112:113], v[108:109], v[110:111]
	ds_read_b128 v[108:111], v1 offset:1952
	v_add_f64 v[2:3], v[2:3], v[4:5]
	v_mul_f64 v[4:5], v[94:95], v[38:39]
	v_fma_f64 v[4:5], v[92:93], v[40:41], -v[4:5]
	v_add_f64 v[2:3], v[2:3], v[4:5]
	v_mul_f64 v[4:5], v[98:99], v[50:51]
	s_waitcnt vmcnt(20) lgkmcnt(1)
	v_mul_f64 v[114:115], v[104:105], v[130:131]
	v_fma_f64 v[4:5], v[96:97], v[124:125], -v[4:5]
	s_waitcnt vmcnt(18)
	v_fmac_f64_e32 v[114:115], v[106:107], v[132:133]
	v_add_f64 v[2:3], v[2:3], v[4:5]
	v_mul_f64 v[4:5], v[102:103], v[46:47]
	v_add_f64 v[116:117], v[112:113], v[114:115]
	ds_read_b128 v[112:115], v1 offset:1968
	s_waitcnt vmcnt(17) lgkmcnt(1)
	v_mul_f64 v[118:119], v[108:109], v[126:127]
	v_fma_f64 v[4:5], v[100:101], v[48:49], -v[4:5]
	s_waitcnt vmcnt(16)
	v_fmac_f64_e32 v[118:119], v[110:111], v[128:129]
	v_add_f64 v[2:3], v[2:3], v[4:5]
	v_mul_f64 v[4:5], v[106:107], v[130:131]
	v_add_f64 v[150:151], v[116:117], v[118:119]
	ds_read_b128 v[116:119], v1 offset:1984
	v_fma_f64 v[4:5], v[104:105], v[132:133], -v[4:5]
	v_add_f64 v[2:3], v[2:3], v[4:5]
	v_mul_f64 v[4:5], v[110:111], v[126:127]
	v_fma_f64 v[4:5], v[108:109], v[128:129], -v[4:5]
	v_add_f64 v[2:3], v[2:3], v[4:5]
	s_waitcnt vmcnt(12) lgkmcnt(1)
	v_mul_f64 v[4:5], v[114:115], v[138:139]
	v_mul_f64 v[152:153], v[112:113], v[138:139]
	s_waitcnt vmcnt(10)
	v_fma_f64 v[4:5], v[112:113], v[140:141], -v[4:5]
	v_fmac_f64_e32 v[152:153], v[114:115], v[140:141]
	v_add_f64 v[2:3], v[2:3], v[4:5]
	s_waitcnt vmcnt(9) lgkmcnt(0)
	v_mul_f64 v[4:5], v[118:119], v[134:135]
	v_add_f64 v[0:1], v[150:151], v[152:153]
	v_mul_f64 v[150:151], v[116:117], v[134:135]
	s_waitcnt vmcnt(8)
	v_fma_f64 v[4:5], v[116:117], v[136:137], -v[4:5]
	v_fmac_f64_e32 v[150:151], v[118:119], v[136:137]
	v_add_f64 v[2:3], v[2:3], v[4:5]
	s_waitcnt vmcnt(6)
	v_mul_f64 v[4:5], v[122:123], v[142:143]
	v_add_f64 v[0:1], v[0:1], v[150:151]
	v_mul_f64 v[150:151], v[120:121], v[142:143]
	s_waitcnt vmcnt(4)
	v_fma_f64 v[4:5], v[120:121], v[144:145], -v[4:5]
	v_fmac_f64_e32 v[150:151], v[122:123], v[144:145]
	v_add_f64 v[2:3], v[2:3], v[4:5]
	v_add_f64 v[0:1], v[0:1], v[150:151]
	s_waitcnt vmcnt(2)
	v_add_f64 v[2:3], v[146:147], -v[2:3]
	s_waitcnt vmcnt(0)
	v_add_f64 v[0:1], v[148:149], -v[0:1]
	buffer_store_dword v3, off, s[0:3], 0 offset:724
	buffer_store_dword v2, off, s[0:3], 0 offset:720
	;; [unrolled: 1-line block ×4, first 2 shown]
	s_and_saveexec_b64 s[4:5], vcc
	s_cbranch_execz .LBB126_317
; %bb.316:
	v_accvgpr_read_b32 v0, a145
	buffer_load_dword v2, v0, s[0:3], 0 offen
	buffer_load_dword v3, v0, s[0:3], 0 offen offset:4
	buffer_load_dword v4, v0, s[0:3], 0 offen offset:8
	buffer_load_dword v5, v0, s[0:3], 0 offen offset:12
	v_mov_b32_e32 v0, 0
	v_accvgpr_read_b32 v1, a189
	buffer_store_dword v0, off, s[0:3], 0 offset:704
	buffer_store_dword v0, off, s[0:3], 0 offset:708
	;; [unrolled: 1-line block ×4, first 2 shown]
	s_waitcnt vmcnt(4)
	ds_write_b128 v1, v[2:5]
.LBB126_317:
	s_or_b64 exec, exec, s[4:5]
	s_waitcnt lgkmcnt(0)
	; wave barrier
	s_waitcnt lgkmcnt(0)
	buffer_load_dword v2, off, s[0:3], 0 offset:720
	buffer_load_dword v3, off, s[0:3], 0 offset:724
	;; [unrolled: 1-line block ×76, first 2 shown]
	v_mov_b32_e32 v1, 0
	ds_read_b128 v[54:57], v1 offset:1712
	buffer_load_dword v154, off, s[0:3], 0 offset:704
	buffer_load_dword v155, off, s[0:3], 0 offset:708
	;; [unrolled: 1-line block ×4, first 2 shown]
	ds_read_b128 v[58:61], v1 offset:1728
	ds_read_b128 v[62:65], v1 offset:1744
	;; [unrolled: 1-line block ×4, first 2 shown]
	v_cmp_lt_u32_e32 vcc, 42, v254
	s_waitcnt vmcnt(62) lgkmcnt(4)
	v_mul_f64 v[70:71], v[54:55], v[8:9]
	v_fmac_f64_e32 v[70:71], v[56:57], v[2:3]
	v_add_f64 v[70:71], v[70:71], 0
	v_mul_f64 v[8:9], v[56:57], v[8:9]
	s_waitcnt lgkmcnt(3)
	v_mul_f64 v[72:73], v[58:59], v[10:11]
	v_fmac_f64_e32 v[72:73], v[60:61], v[4:5]
	v_add_f64 v[70:71], v[70:71], v[72:73]
	v_fma_f64 v[2:3], v[54:55], v[2:3], -v[8:9]
	s_waitcnt lgkmcnt(2)
	v_mul_f64 v[72:73], v[62:63], v[12:13]
	v_fmac_f64_e32 v[72:73], v[64:65], v[6:7]
	v_add_f64 v[74:75], v[70:71], v[72:73]
	ds_read_b128 v[70:73], v1 offset:1776
	s_waitcnt lgkmcnt(2)
	v_mul_f64 v[76:77], v[66:67], v[18:19]
	v_mul_f64 v[8:9], v[60:61], v[10:11]
	v_fmac_f64_e32 v[76:77], v[68:69], v[20:21]
	v_add_f64 v[78:79], v[74:75], v[76:77]
	ds_read_b128 v[74:77], v1 offset:1792
	s_waitcnt vmcnt(61) lgkmcnt(1)
	v_mul_f64 v[80:81], v[70:71], v[14:15]
	s_waitcnt vmcnt(60)
	v_fmac_f64_e32 v[80:81], v[72:73], v[16:17]
	v_add_f64 v[82:83], v[78:79], v[80:81]
	ds_read_b128 v[78:81], v1 offset:1808
	s_waitcnt vmcnt(56) lgkmcnt(1)
	v_mul_f64 v[84:85], v[74:75], v[26:27]
	s_waitcnt vmcnt(54)
	;; [unrolled: 6-line block ×4, first 2 shown]
	v_fmac_f64_e32 v[92:93], v[84:85], v[36:37]
	v_add_f64 v[94:95], v[90:91], v[92:93]
	ds_read_b128 v[90:93], v1 offset:1856
	v_add_f64 v[2:3], v[2:3], 0
	v_fma_f64 v[4:5], v[58:59], v[4:5], -v[8:9]
	s_waitcnt vmcnt(45) lgkmcnt(1)
	v_mul_f64 v[96:97], v[86:87], v[30:31]
	v_add_f64 v[2:3], v[2:3], v[4:5]
	v_mul_f64 v[4:5], v[64:65], v[12:13]
	s_waitcnt vmcnt(44)
	v_fmac_f64_e32 v[96:97], v[88:89], v[32:33]
	v_fma_f64 v[4:5], v[62:63], v[6:7], -v[4:5]
	v_add_f64 v[98:99], v[94:95], v[96:97]
	ds_read_b128 v[94:97], v1 offset:1872
	s_waitcnt vmcnt(40) lgkmcnt(1)
	v_mul_f64 v[100:101], v[90:91], v[42:43]
	v_add_f64 v[2:3], v[2:3], v[4:5]
	v_mul_f64 v[4:5], v[68:69], v[18:19]
	s_waitcnt vmcnt(38)
	v_fmac_f64_e32 v[100:101], v[92:93], v[44:45]
	v_fma_f64 v[4:5], v[66:67], v[20:21], -v[4:5]
	v_add_f64 v[102:103], v[98:99], v[100:101]
	ds_read_b128 v[98:101], v1 offset:1888
	v_add_f64 v[2:3], v[2:3], v[4:5]
	v_mul_f64 v[4:5], v[72:73], v[14:15]
	v_fma_f64 v[4:5], v[70:71], v[16:17], -v[4:5]
	v_add_f64 v[2:3], v[2:3], v[4:5]
	v_mul_f64 v[4:5], v[76:77], v[26:27]
	s_waitcnt vmcnt(37) lgkmcnt(1)
	v_mul_f64 v[104:105], v[94:95], v[38:39]
	v_fma_f64 v[4:5], v[74:75], v[28:29], -v[4:5]
	s_waitcnt vmcnt(36)
	v_fmac_f64_e32 v[104:105], v[96:97], v[40:41]
	v_add_f64 v[2:3], v[2:3], v[4:5]
	v_mul_f64 v[4:5], v[80:81], v[22:23]
	v_add_f64 v[106:107], v[102:103], v[104:105]
	ds_read_b128 v[102:105], v1 offset:1904
	s_waitcnt vmcnt(32) lgkmcnt(1)
	v_mul_f64 v[108:109], v[98:99], v[50:51]
	v_fma_f64 v[4:5], v[78:79], v[24:25], -v[4:5]
	s_waitcnt vmcnt(30)
	v_fmac_f64_e32 v[108:109], v[100:101], v[52:53]
	v_add_f64 v[2:3], v[2:3], v[4:5]
	v_mul_f64 v[4:5], v[84:85], v[34:35]
	v_add_f64 v[110:111], v[106:107], v[108:109]
	ds_read_b128 v[106:109], v1 offset:1920
	v_fma_f64 v[4:5], v[82:83], v[36:37], -v[4:5]
	v_add_f64 v[2:3], v[2:3], v[4:5]
	v_mul_f64 v[4:5], v[88:89], v[30:31]
	v_fma_f64 v[4:5], v[86:87], v[32:33], -v[4:5]
	s_waitcnt vmcnt(29) lgkmcnt(1)
	v_mul_f64 v[112:113], v[102:103], v[46:47]
	v_add_f64 v[2:3], v[2:3], v[4:5]
	v_mul_f64 v[4:5], v[92:93], v[42:43]
	s_waitcnt vmcnt(28)
	v_fmac_f64_e32 v[112:113], v[104:105], v[48:49]
	v_fma_f64 v[4:5], v[90:91], v[44:45], -v[4:5]
	v_add_f64 v[114:115], v[110:111], v[112:113]
	ds_read_b128 v[110:113], v1 offset:1936
	s_waitcnt vmcnt(24) lgkmcnt(1)
	v_mul_f64 v[116:117], v[106:107], v[134:135]
	v_add_f64 v[2:3], v[2:3], v[4:5]
	v_mul_f64 v[4:5], v[96:97], v[38:39]
	s_waitcnt vmcnt(22)
	v_fmac_f64_e32 v[116:117], v[108:109], v[136:137]
	v_fma_f64 v[4:5], v[94:95], v[40:41], -v[4:5]
	v_add_f64 v[118:119], v[114:115], v[116:117]
	ds_read_b128 v[114:117], v1 offset:1952
	v_add_f64 v[2:3], v[2:3], v[4:5]
	v_mul_f64 v[4:5], v[100:101], v[50:51]
	v_fma_f64 v[4:5], v[98:99], v[52:53], -v[4:5]
	v_add_f64 v[2:3], v[2:3], v[4:5]
	v_mul_f64 v[4:5], v[104:105], v[46:47]
	s_waitcnt vmcnt(21) lgkmcnt(1)
	v_mul_f64 v[120:121], v[110:111], v[130:131]
	v_fma_f64 v[4:5], v[102:103], v[48:49], -v[4:5]
	s_waitcnt vmcnt(20)
	v_fmac_f64_e32 v[120:121], v[112:113], v[132:133]
	v_add_f64 v[2:3], v[2:3], v[4:5]
	v_mul_f64 v[4:5], v[108:109], v[134:135]
	v_add_f64 v[122:123], v[118:119], v[120:121]
	ds_read_b128 v[118:121], v1 offset:1968
	s_waitcnt vmcnt(16) lgkmcnt(1)
	v_mul_f64 v[124:125], v[114:115], v[142:143]
	v_fma_f64 v[4:5], v[106:107], v[136:137], -v[4:5]
	s_waitcnt vmcnt(14)
	v_fmac_f64_e32 v[124:125], v[116:117], v[144:145]
	v_add_f64 v[2:3], v[2:3], v[4:5]
	v_mul_f64 v[4:5], v[112:113], v[130:131]
	v_add_f64 v[158:159], v[122:123], v[124:125]
	ds_read_b128 v[122:125], v1 offset:1984
	v_fma_f64 v[4:5], v[110:111], v[132:133], -v[4:5]
	v_add_f64 v[2:3], v[2:3], v[4:5]
	v_mul_f64 v[4:5], v[116:117], v[142:143]
	v_fma_f64 v[4:5], v[114:115], v[144:145], -v[4:5]
	v_add_f64 v[2:3], v[2:3], v[4:5]
	s_waitcnt vmcnt(13) lgkmcnt(1)
	v_mul_f64 v[4:5], v[120:121], v[138:139]
	v_mul_f64 v[160:161], v[118:119], v[138:139]
	s_waitcnt vmcnt(12)
	v_fma_f64 v[4:5], v[118:119], v[140:141], -v[4:5]
	v_fmac_f64_e32 v[160:161], v[120:121], v[140:141]
	v_add_f64 v[2:3], v[2:3], v[4:5]
	s_waitcnt vmcnt(8) lgkmcnt(0)
	v_mul_f64 v[4:5], v[124:125], v[150:151]
	v_add_f64 v[158:159], v[158:159], v[160:161]
	v_mul_f64 v[160:161], v[122:123], v[150:151]
	s_waitcnt vmcnt(6)
	v_fma_f64 v[4:5], v[122:123], v[152:153], -v[4:5]
	v_fmac_f64_e32 v[160:161], v[124:125], v[152:153]
	v_add_f64 v[2:3], v[2:3], v[4:5]
	s_waitcnt vmcnt(5)
	v_mul_f64 v[4:5], v[128:129], v[146:147]
	v_add_f64 v[158:159], v[158:159], v[160:161]
	v_mul_f64 v[160:161], v[126:127], v[146:147]
	s_waitcnt vmcnt(4)
	v_fma_f64 v[4:5], v[126:127], v[148:149], -v[4:5]
	v_fmac_f64_e32 v[160:161], v[128:129], v[148:149]
	v_add_f64 v[2:3], v[2:3], v[4:5]
	v_add_f64 v[158:159], v[158:159], v[160:161]
	s_waitcnt vmcnt(2)
	v_add_f64 v[2:3], v[154:155], -v[2:3]
	s_waitcnt vmcnt(0)
	v_add_f64 v[4:5], v[156:157], -v[158:159]
	buffer_store_dword v3, off, s[0:3], 0 offset:708
	buffer_store_dword v2, off, s[0:3], 0 offset:704
	;; [unrolled: 1-line block ×4, first 2 shown]
	s_and_saveexec_b64 s[4:5], vcc
	s_cbranch_execz .LBB126_319
; %bb.318:
	v_accvgpr_read_b32 v0, a146
	buffer_load_dword v2, v0, s[0:3], 0 offen
	buffer_load_dword v3, v0, s[0:3], 0 offen offset:4
	buffer_load_dword v4, v0, s[0:3], 0 offen offset:8
	;; [unrolled: 1-line block ×3, first 2 shown]
	v_accvgpr_read_b32 v0, a189
	buffer_store_dword v1, off, s[0:3], 0 offset:688
	buffer_store_dword v1, off, s[0:3], 0 offset:692
	;; [unrolled: 1-line block ×4, first 2 shown]
	s_waitcnt vmcnt(4)
	ds_write_b128 v0, v[2:5]
.LBB126_319:
	s_or_b64 exec, exec, s[4:5]
	s_waitcnt lgkmcnt(0)
	; wave barrier
	s_waitcnt lgkmcnt(0)
	buffer_load_dword v2, off, s[0:3], 0 offset:704
	buffer_load_dword v3, off, s[0:3], 0 offset:708
	;; [unrolled: 1-line block ×76, first 2 shown]
	ds_read_b128 v[54:57], v1 offset:1696
	buffer_load_dword v159, off, s[0:3], 0 offset:1020
	buffer_load_dword v158, off, s[0:3], 0 offset:1016
	;; [unrolled: 1-line block ×8, first 2 shown]
	ds_read_b128 v[58:61], v1 offset:1712
	ds_read_b128 v[62:65], v1 offset:1728
	;; [unrolled: 1-line block ×3, first 2 shown]
	v_cmp_lt_u32_e32 vcc, 41, v254
	ds_read_b128 v[130:133], v1 offset:2000
	s_waitcnt vmcnt(62) lgkmcnt(4)
	v_mul_f64 v[70:71], v[54:55], v[8:9]
	v_fmac_f64_e32 v[70:71], v[56:57], v[2:3]
	v_add_f64 v[70:71], v[70:71], 0
	v_mul_f64 v[8:9], v[56:57], v[8:9]
	s_waitcnt lgkmcnt(3)
	v_mul_f64 v[72:73], v[58:59], v[10:11]
	v_fmac_f64_e32 v[72:73], v[60:61], v[4:5]
	v_add_f64 v[70:71], v[70:71], v[72:73]
	v_fma_f64 v[2:3], v[54:55], v[2:3], -v[8:9]
	s_waitcnt lgkmcnt(2)
	v_mul_f64 v[72:73], v[62:63], v[12:13]
	v_fmac_f64_e32 v[72:73], v[64:65], v[6:7]
	v_add_f64 v[74:75], v[70:71], v[72:73]
	ds_read_b128 v[70:73], v1 offset:1760
	v_mul_f64 v[8:9], v[60:61], v[10:11]
	v_add_f64 v[2:3], v[2:3], 0
	s_waitcnt lgkmcnt(2)
	v_mul_f64 v[76:77], v[66:67], v[18:19]
	v_fma_f64 v[4:5], v[58:59], v[4:5], -v[8:9]
	v_fmac_f64_e32 v[76:77], v[68:69], v[20:21]
	v_add_f64 v[78:79], v[74:75], v[76:77]
	ds_read_b128 v[74:77], v1 offset:1776
	s_waitcnt lgkmcnt(1)
	v_mul_f64 v[80:81], v[70:71], v[14:15]
	v_fmac_f64_e32 v[80:81], v[72:73], v[16:17]
	v_add_f64 v[82:83], v[78:79], v[80:81]
	ds_read_b128 v[78:81], v1 offset:1792
	s_waitcnt vmcnt(58) lgkmcnt(1)
	v_mul_f64 v[84:85], v[74:75], v[26:27]
	s_waitcnt vmcnt(56)
	v_fmac_f64_e32 v[84:85], v[76:77], v[28:29]
	v_add_f64 v[86:87], v[82:83], v[84:85]
	ds_read_b128 v[82:85], v1 offset:1808
	s_waitcnt lgkmcnt(1)
	v_mul_f64 v[88:89], v[78:79], v[22:23]
	v_fmac_f64_e32 v[88:89], v[80:81], v[24:25]
	v_add_f64 v[90:91], v[86:87], v[88:89]
	ds_read_b128 v[86:89], v1 offset:1824
	s_waitcnt vmcnt(50) lgkmcnt(1)
	v_mul_f64 v[92:93], v[82:83], v[34:35]
	s_waitcnt vmcnt(48)
	v_fmac_f64_e32 v[92:93], v[84:85], v[36:37]
	v_add_f64 v[94:95], v[90:91], v[92:93]
	ds_read_b128 v[90:93], v1 offset:1840
	s_waitcnt lgkmcnt(1)
	v_mul_f64 v[96:97], v[86:87], v[30:31]
	v_fmac_f64_e32 v[96:97], v[88:89], v[32:33]
	v_add_f64 v[98:99], v[94:95], v[96:97]
	ds_read_b128 v[94:97], v1 offset:1856
	v_add_f64 v[2:3], v[2:3], v[4:5]
	v_mul_f64 v[4:5], v[64:65], v[12:13]
	v_fma_f64 v[4:5], v[62:63], v[6:7], -v[4:5]
	s_waitcnt vmcnt(42) lgkmcnt(1)
	v_mul_f64 v[100:101], v[90:91], v[42:43]
	v_add_f64 v[2:3], v[2:3], v[4:5]
	v_mul_f64 v[4:5], v[68:69], v[18:19]
	s_waitcnt vmcnt(40)
	v_fmac_f64_e32 v[100:101], v[92:93], v[44:45]
	v_fma_f64 v[4:5], v[66:67], v[20:21], -v[4:5]
	v_add_f64 v[102:103], v[98:99], v[100:101]
	ds_read_b128 v[98:101], v1 offset:1872
	s_waitcnt lgkmcnt(1)
	v_mul_f64 v[104:105], v[94:95], v[38:39]
	v_add_f64 v[2:3], v[2:3], v[4:5]
	v_mul_f64 v[4:5], v[72:73], v[14:15]
	v_fmac_f64_e32 v[104:105], v[96:97], v[40:41]
	v_fma_f64 v[4:5], v[70:71], v[16:17], -v[4:5]
	v_add_f64 v[106:107], v[102:103], v[104:105]
	ds_read_b128 v[102:105], v1 offset:1888
	v_add_f64 v[2:3], v[2:3], v[4:5]
	v_mul_f64 v[4:5], v[76:77], v[26:27]
	v_fma_f64 v[4:5], v[74:75], v[28:29], -v[4:5]
	v_add_f64 v[2:3], v[2:3], v[4:5]
	v_mul_f64 v[4:5], v[80:81], v[22:23]
	s_waitcnt vmcnt(34) lgkmcnt(1)
	v_mul_f64 v[108:109], v[98:99], v[50:51]
	v_fma_f64 v[4:5], v[78:79], v[24:25], -v[4:5]
	s_waitcnt vmcnt(32)
	v_fmac_f64_e32 v[108:109], v[100:101], v[52:53]
	v_add_f64 v[2:3], v[2:3], v[4:5]
	v_mul_f64 v[4:5], v[84:85], v[34:35]
	v_add_f64 v[110:111], v[106:107], v[108:109]
	ds_read_b128 v[106:109], v1 offset:1904
	s_waitcnt lgkmcnt(1)
	v_mul_f64 v[112:113], v[102:103], v[46:47]
	v_fma_f64 v[4:5], v[82:83], v[36:37], -v[4:5]
	v_fmac_f64_e32 v[112:113], v[104:105], v[48:49]
	v_add_f64 v[2:3], v[2:3], v[4:5]
	v_mul_f64 v[4:5], v[88:89], v[30:31]
	v_add_f64 v[114:115], v[110:111], v[112:113]
	ds_read_b128 v[110:113], v1 offset:1920
	v_fma_f64 v[4:5], v[86:87], v[32:33], -v[4:5]
	v_add_f64 v[2:3], v[2:3], v[4:5]
	v_mul_f64 v[4:5], v[92:93], v[42:43]
	v_fma_f64 v[4:5], v[90:91], v[44:45], -v[4:5]
	s_waitcnt vmcnt(26) lgkmcnt(1)
	v_mul_f64 v[116:117], v[106:107], v[138:139]
	v_add_f64 v[2:3], v[2:3], v[4:5]
	v_mul_f64 v[4:5], v[96:97], v[38:39]
	s_waitcnt vmcnt(24)
	v_fmac_f64_e32 v[116:117], v[108:109], v[140:141]
	v_fma_f64 v[4:5], v[94:95], v[40:41], -v[4:5]
	v_add_f64 v[118:119], v[114:115], v[116:117]
	ds_read_b128 v[114:117], v1 offset:1936
	s_waitcnt lgkmcnt(1)
	v_mul_f64 v[120:121], v[110:111], v[134:135]
	v_add_f64 v[2:3], v[2:3], v[4:5]
	v_mul_f64 v[4:5], v[100:101], v[50:51]
	v_fmac_f64_e32 v[120:121], v[112:113], v[136:137]
	v_fma_f64 v[4:5], v[98:99], v[52:53], -v[4:5]
	v_add_f64 v[122:123], v[118:119], v[120:121]
	ds_read_b128 v[118:121], v1 offset:1952
	v_add_f64 v[2:3], v[2:3], v[4:5]
	v_mul_f64 v[4:5], v[104:105], v[46:47]
	v_fma_f64 v[4:5], v[102:103], v[48:49], -v[4:5]
	v_add_f64 v[2:3], v[2:3], v[4:5]
	v_mul_f64 v[4:5], v[108:109], v[138:139]
	s_waitcnt vmcnt(18) lgkmcnt(1)
	v_mul_f64 v[124:125], v[114:115], v[146:147]
	v_fma_f64 v[4:5], v[106:107], v[140:141], -v[4:5]
	s_waitcnt vmcnt(16)
	v_fmac_f64_e32 v[124:125], v[116:117], v[148:149]
	v_add_f64 v[2:3], v[2:3], v[4:5]
	v_mul_f64 v[4:5], v[112:113], v[134:135]
	v_add_f64 v[126:127], v[122:123], v[124:125]
	ds_read_b128 v[122:125], v1 offset:1968
	s_waitcnt lgkmcnt(1)
	v_mul_f64 v[128:129], v[118:119], v[142:143]
	v_fma_f64 v[4:5], v[110:111], v[136:137], -v[4:5]
	v_fmac_f64_e32 v[128:129], v[120:121], v[144:145]
	v_add_f64 v[2:3], v[2:3], v[4:5]
	v_mul_f64 v[4:5], v[116:117], v[146:147]
	v_add_f64 v[166:167], v[126:127], v[128:129]
	ds_read_b128 v[126:129], v1 offset:1984
	v_fma_f64 v[4:5], v[114:115], v[148:149], -v[4:5]
	v_add_f64 v[2:3], v[2:3], v[4:5]
	v_mul_f64 v[4:5], v[120:121], v[142:143]
	v_fma_f64 v[4:5], v[118:119], v[144:145], -v[4:5]
	v_add_f64 v[2:3], v[2:3], v[4:5]
	s_waitcnt vmcnt(10) lgkmcnt(1)
	v_mul_f64 v[4:5], v[124:125], v[154:155]
	v_mul_f64 v[168:169], v[122:123], v[154:155]
	s_waitcnt vmcnt(8)
	v_fma_f64 v[4:5], v[122:123], v[156:157], -v[4:5]
	v_fmac_f64_e32 v[168:169], v[124:125], v[156:157]
	v_add_f64 v[2:3], v[2:3], v[4:5]
	s_waitcnt lgkmcnt(0)
	v_mul_f64 v[4:5], v[128:129], v[150:151]
	v_add_f64 v[0:1], v[166:167], v[168:169]
	v_mul_f64 v[166:167], v[126:127], v[150:151]
	v_fma_f64 v[4:5], v[126:127], v[152:153], -v[4:5]
	v_fmac_f64_e32 v[166:167], v[128:129], v[152:153]
	v_add_f64 v[2:3], v[2:3], v[4:5]
	s_waitcnt vmcnt(6)
	v_mul_f64 v[4:5], v[132:133], v[158:159]
	v_add_f64 v[0:1], v[0:1], v[166:167]
	v_mul_f64 v[166:167], v[130:131], v[158:159]
	s_waitcnt vmcnt(4)
	v_fma_f64 v[4:5], v[130:131], v[160:161], -v[4:5]
	v_fmac_f64_e32 v[166:167], v[132:133], v[160:161]
	v_add_f64 v[2:3], v[2:3], v[4:5]
	v_add_f64 v[0:1], v[0:1], v[166:167]
	s_waitcnt vmcnt(2)
	v_add_f64 v[2:3], v[162:163], -v[2:3]
	s_waitcnt vmcnt(0)
	v_add_f64 v[0:1], v[164:165], -v[0:1]
	buffer_store_dword v3, off, s[0:3], 0 offset:692
	buffer_store_dword v2, off, s[0:3], 0 offset:688
	;; [unrolled: 1-line block ×4, first 2 shown]
	s_and_saveexec_b64 s[4:5], vcc
	s_cbranch_execz .LBB126_321
; %bb.320:
	v_accvgpr_read_b32 v0, a147
	buffer_load_dword v2, v0, s[0:3], 0 offen
	buffer_load_dword v3, v0, s[0:3], 0 offen offset:4
	buffer_load_dword v4, v0, s[0:3], 0 offen offset:8
	;; [unrolled: 1-line block ×3, first 2 shown]
	v_mov_b32_e32 v0, 0
	v_accvgpr_read_b32 v1, a189
	buffer_store_dword v0, off, s[0:3], 0 offset:672
	buffer_store_dword v0, off, s[0:3], 0 offset:676
	;; [unrolled: 1-line block ×4, first 2 shown]
	s_waitcnt vmcnt(4)
	ds_write_b128 v1, v[2:5]
.LBB126_321:
	s_or_b64 exec, exec, s[4:5]
	s_waitcnt lgkmcnt(0)
	; wave barrier
	s_waitcnt lgkmcnt(0)
	buffer_load_dword v4, off, s[0:3], 0 offset:672
	buffer_load_dword v5, off, s[0:3], 0 offset:676
	;; [unrolled: 1-line block ×84, first 2 shown]
	v_mov_b32_e32 v1, 0
	ds_read_b128 v[66:69], v1 offset:1680
	buffer_load_dword v171, off, s[0:3], 0 offset:1020
	buffer_load_dword v170, off, s[0:3], 0 offset:1016
	;; [unrolled: 1-line block ×4, first 2 shown]
	ds_read_b128 v[70:73], v1 offset:1696
	ds_read_b128 v[74:77], v1 offset:1712
	;; [unrolled: 1-line block ×4, first 2 shown]
	v_cmp_lt_u32_e32 vcc, 40, v254
	s_waitcnt vmcnt(62) lgkmcnt(4)
	v_mul_f64 v[82:83], v[66:67], v[12:13]
	v_fmac_f64_e32 v[82:83], v[68:69], v[6:7]
	s_waitcnt lgkmcnt(3)
	v_mul_f64 v[84:85], v[70:71], v[14:15]
	v_add_f64 v[82:83], v[82:83], 0
	v_fmac_f64_e32 v[84:85], v[72:73], v[8:9]
	v_add_f64 v[82:83], v[82:83], v[84:85]
	s_waitcnt lgkmcnt(2)
	v_mul_f64 v[84:85], v[74:75], v[16:17]
	v_fmac_f64_e32 v[84:85], v[76:77], v[10:11]
	v_add_f64 v[86:87], v[82:83], v[84:85]
	ds_read_b128 v[82:85], v1 offset:1744
	v_mul_f64 v[12:13], v[68:69], v[12:13]
	s_waitcnt lgkmcnt(2)
	v_mul_f64 v[88:89], v[78:79], v[22:23]
	v_fma_f64 v[6:7], v[66:67], v[6:7], -v[12:13]
	v_fmac_f64_e32 v[88:89], v[80:81], v[24:25]
	v_add_f64 v[90:91], v[86:87], v[88:89]
	ds_read_b128 v[86:89], v1 offset:1760
	s_waitcnt lgkmcnt(1)
	v_mul_f64 v[92:93], v[82:83], v[18:19]
	v_fmac_f64_e32 v[92:93], v[84:85], v[20:21]
	v_add_f64 v[94:95], v[90:91], v[92:93]
	ds_read_b128 v[90:93], v1 offset:1776
	s_waitcnt vmcnt(58) lgkmcnt(1)
	v_mul_f64 v[96:97], v[86:87], v[30:31]
	s_waitcnt vmcnt(56)
	v_fmac_f64_e32 v[96:97], v[88:89], v[32:33]
	v_add_f64 v[98:99], v[94:95], v[96:97]
	ds_read_b128 v[94:97], v1 offset:1792
	s_waitcnt lgkmcnt(1)
	v_mul_f64 v[100:101], v[90:91], v[26:27]
	v_fmac_f64_e32 v[100:101], v[92:93], v[28:29]
	v_add_f64 v[102:103], v[98:99], v[100:101]
	ds_read_b128 v[98:101], v1 offset:1808
	s_waitcnt vmcnt(50) lgkmcnt(1)
	v_mul_f64 v[104:105], v[94:95], v[38:39]
	s_waitcnt vmcnt(48)
	v_fmac_f64_e32 v[104:105], v[96:97], v[40:41]
	v_add_f64 v[106:107], v[102:103], v[104:105]
	ds_read_b128 v[102:105], v1 offset:1824
	s_waitcnt lgkmcnt(1)
	v_mul_f64 v[108:109], v[98:99], v[34:35]
	v_fmac_f64_e32 v[108:109], v[100:101], v[36:37]
	v_mul_f64 v[12:13], v[72:73], v[14:15]
	v_add_f64 v[110:111], v[106:107], v[108:109]
	ds_read_b128 v[106:109], v1 offset:1840
	s_waitcnt vmcnt(42) lgkmcnt(1)
	v_mul_f64 v[112:113], v[102:103], v[46:47]
	v_add_f64 v[6:7], v[6:7], 0
	v_fma_f64 v[8:9], v[70:71], v[8:9], -v[12:13]
	s_waitcnt vmcnt(40)
	v_fmac_f64_e32 v[112:113], v[104:105], v[48:49]
	v_add_f64 v[6:7], v[6:7], v[8:9]
	v_mul_f64 v[8:9], v[76:77], v[16:17]
	v_add_f64 v[114:115], v[110:111], v[112:113]
	ds_read_b128 v[110:113], v1 offset:1856
	v_fma_f64 v[8:9], v[74:75], v[10:11], -v[8:9]
	v_add_f64 v[6:7], v[6:7], v[8:9]
	v_mul_f64 v[8:9], v[80:81], v[22:23]
	v_fma_f64 v[8:9], v[78:79], v[24:25], -v[8:9]
	s_waitcnt lgkmcnt(1)
	v_mul_f64 v[116:117], v[106:107], v[42:43]
	v_add_f64 v[6:7], v[6:7], v[8:9]
	v_mul_f64 v[8:9], v[84:85], v[18:19]
	v_fmac_f64_e32 v[116:117], v[108:109], v[44:45]
	v_fma_f64 v[8:9], v[82:83], v[20:21], -v[8:9]
	v_add_f64 v[118:119], v[114:115], v[116:117]
	ds_read_b128 v[114:117], v1 offset:1872
	s_waitcnt vmcnt(34) lgkmcnt(1)
	v_mul_f64 v[120:121], v[110:111], v[54:55]
	v_add_f64 v[6:7], v[6:7], v[8:9]
	v_mul_f64 v[8:9], v[88:89], v[30:31]
	s_waitcnt vmcnt(32)
	v_fmac_f64_e32 v[120:121], v[112:113], v[56:57]
	v_fma_f64 v[8:9], v[86:87], v[32:33], -v[8:9]
	v_add_f64 v[122:123], v[118:119], v[120:121]
	ds_read_b128 v[118:121], v1 offset:1888
	v_add_f64 v[6:7], v[6:7], v[8:9]
	v_mul_f64 v[8:9], v[92:93], v[26:27]
	v_fma_f64 v[8:9], v[90:91], v[28:29], -v[8:9]
	v_add_f64 v[6:7], v[6:7], v[8:9]
	v_mul_f64 v[8:9], v[96:97], v[38:39]
	s_waitcnt lgkmcnt(1)
	v_mul_f64 v[124:125], v[114:115], v[50:51]
	v_fma_f64 v[8:9], v[94:95], v[40:41], -v[8:9]
	v_fmac_f64_e32 v[124:125], v[116:117], v[52:53]
	v_add_f64 v[6:7], v[6:7], v[8:9]
	v_mul_f64 v[8:9], v[100:101], v[34:35]
	v_add_f64 v[126:127], v[122:123], v[124:125]
	ds_read_b128 v[122:125], v1 offset:1904
	s_waitcnt vmcnt(26) lgkmcnt(1)
	v_mul_f64 v[128:129], v[118:119], v[62:63]
	v_fma_f64 v[8:9], v[98:99], v[36:37], -v[8:9]
	s_waitcnt vmcnt(24)
	v_fmac_f64_e32 v[128:129], v[120:121], v[64:65]
	v_add_f64 v[6:7], v[6:7], v[8:9]
	v_mul_f64 v[8:9], v[104:105], v[46:47]
	v_add_f64 v[130:131], v[126:127], v[128:129]
	ds_read_b128 v[126:129], v1 offset:1920
	v_fma_f64 v[8:9], v[102:103], v[48:49], -v[8:9]
	v_add_f64 v[6:7], v[6:7], v[8:9]
	v_mul_f64 v[8:9], v[108:109], v[42:43]
	v_fma_f64 v[8:9], v[106:107], v[44:45], -v[8:9]
	s_waitcnt lgkmcnt(1)
	v_mul_f64 v[132:133], v[122:123], v[58:59]
	v_add_f64 v[6:7], v[6:7], v[8:9]
	v_mul_f64 v[8:9], v[112:113], v[54:55]
	v_fmac_f64_e32 v[132:133], v[124:125], v[60:61]
	v_fma_f64 v[8:9], v[110:111], v[56:57], -v[8:9]
	v_add_f64 v[134:135], v[130:131], v[132:133]
	ds_read_b128 v[130:133], v1 offset:1936
	s_waitcnt vmcnt(18) lgkmcnt(1)
	v_mul_f64 v[136:137], v[126:127], v[154:155]
	v_add_f64 v[6:7], v[6:7], v[8:9]
	v_mul_f64 v[8:9], v[116:117], v[50:51]
	s_waitcnt vmcnt(16)
	v_fmac_f64_e32 v[136:137], v[128:129], v[156:157]
	v_fma_f64 v[8:9], v[114:115], v[52:53], -v[8:9]
	v_add_f64 v[138:139], v[134:135], v[136:137]
	ds_read_b128 v[134:137], v1 offset:1952
	v_add_f64 v[6:7], v[6:7], v[8:9]
	v_mul_f64 v[8:9], v[120:121], v[62:63]
	v_fma_f64 v[8:9], v[118:119], v[64:65], -v[8:9]
	v_add_f64 v[6:7], v[6:7], v[8:9]
	v_mul_f64 v[8:9], v[124:125], v[58:59]
	s_waitcnt lgkmcnt(1)
	v_mul_f64 v[140:141], v[130:131], v[150:151]
	v_fma_f64 v[8:9], v[122:123], v[60:61], -v[8:9]
	v_fmac_f64_e32 v[140:141], v[132:133], v[152:153]
	v_add_f64 v[6:7], v[6:7], v[8:9]
	v_mul_f64 v[8:9], v[128:129], v[154:155]
	v_add_f64 v[142:143], v[138:139], v[140:141]
	ds_read_b128 v[138:141], v1 offset:1968
	s_waitcnt vmcnt(10) lgkmcnt(1)
	v_mul_f64 v[144:145], v[134:135], v[162:163]
	v_fma_f64 v[8:9], v[126:127], v[156:157], -v[8:9]
	s_waitcnt vmcnt(8)
	v_fmac_f64_e32 v[144:145], v[136:137], v[164:165]
	v_add_f64 v[6:7], v[6:7], v[8:9]
	v_mul_f64 v[8:9], v[132:133], v[150:151]
	v_add_f64 v[174:175], v[142:143], v[144:145]
	ds_read_b128 v[142:145], v1 offset:1984
	v_fma_f64 v[8:9], v[130:131], v[152:153], -v[8:9]
	v_add_f64 v[6:7], v[6:7], v[8:9]
	v_mul_f64 v[8:9], v[136:137], v[162:163]
	v_fma_f64 v[8:9], v[134:135], v[164:165], -v[8:9]
	v_add_f64 v[6:7], v[6:7], v[8:9]
	s_waitcnt lgkmcnt(1)
	v_mul_f64 v[8:9], v[140:141], v[158:159]
	v_mul_f64 v[176:177], v[138:139], v[158:159]
	v_fma_f64 v[8:9], v[138:139], v[160:161], -v[8:9]
	v_fmac_f64_e32 v[176:177], v[140:141], v[160:161]
	v_add_f64 v[6:7], v[6:7], v[8:9]
	s_waitcnt vmcnt(6) lgkmcnt(0)
	v_mul_f64 v[8:9], v[144:145], v[166:167]
	v_add_f64 v[174:175], v[174:175], v[176:177]
	v_mul_f64 v[176:177], v[142:143], v[166:167]
	s_waitcnt vmcnt(4)
	v_fma_f64 v[8:9], v[142:143], v[168:169], -v[8:9]
	v_fmac_f64_e32 v[176:177], v[144:145], v[168:169]
	v_add_f64 v[6:7], v[6:7], v[8:9]
	s_waitcnt vmcnt(2)
	v_mul_f64 v[8:9], v[148:149], v[170:171]
	v_add_f64 v[174:175], v[174:175], v[176:177]
	v_mul_f64 v[176:177], v[146:147], v[170:171]
	s_waitcnt vmcnt(0)
	v_fma_f64 v[8:9], v[146:147], v[172:173], -v[8:9]
	v_fmac_f64_e32 v[176:177], v[148:149], v[172:173]
	v_add_f64 v[6:7], v[6:7], v[8:9]
	v_add_f64 v[174:175], v[174:175], v[176:177]
	v_add_f64 v[4:5], v[4:5], -v[6:7]
	v_add_f64 v[2:3], v[2:3], -v[174:175]
	buffer_store_dword v5, off, s[0:3], 0 offset:676
	buffer_store_dword v4, off, s[0:3], 0 offset:672
	;; [unrolled: 1-line block ×4, first 2 shown]
	s_and_saveexec_b64 s[4:5], vcc
	s_cbranch_execz .LBB126_323
; %bb.322:
	v_accvgpr_read_b32 v0, a148
	buffer_load_dword v2, v0, s[0:3], 0 offen
	buffer_load_dword v3, v0, s[0:3], 0 offen offset:4
	buffer_load_dword v4, v0, s[0:3], 0 offen offset:8
	;; [unrolled: 1-line block ×3, first 2 shown]
	v_accvgpr_read_b32 v0, a189
	buffer_store_dword v1, off, s[0:3], 0 offset:656
	buffer_store_dword v1, off, s[0:3], 0 offset:660
	;; [unrolled: 1-line block ×4, first 2 shown]
	s_waitcnt vmcnt(4)
	ds_write_b128 v0, v[2:5]
.LBB126_323:
	s_or_b64 exec, exec, s[4:5]
	s_waitcnt lgkmcnt(0)
	; wave barrier
	s_waitcnt lgkmcnt(0)
	ds_read_b128 v[14:17], v1 offset:1664
	ds_read_b128 v[10:13], v1 offset:1680
	ds_read_b128 v[6:9], v1 offset:1696
	ds_read_b128 v[2:5], v1 offset:1712
	buffer_load_dword v20, off, s[0:3], 0 offset:656
	buffer_load_dword v21, off, s[0:3], 0 offset:660
	;; [unrolled: 1-line block ×92, first 2 shown]
	s_waitcnt vmcnt(62) lgkmcnt(3)
	v_mul_f64 v[86:87], v[14:15], v[28:29]
	v_fmac_f64_e32 v[86:87], v[16:17], v[22:23]
	s_waitcnt lgkmcnt(2)
	v_mul_f64 v[88:89], v[10:11], v[30:31]
	v_add_f64 v[86:87], v[86:87], 0
	v_fmac_f64_e32 v[88:89], v[12:13], v[24:25]
	v_add_f64 v[86:87], v[86:87], v[88:89]
	s_waitcnt lgkmcnt(1)
	v_mul_f64 v[88:89], v[6:7], v[32:33]
	v_fmac_f64_e32 v[88:89], v[8:9], v[26:27]
	v_add_f64 v[90:91], v[86:87], v[88:89]
	ds_read_b128 v[86:89], v1 offset:1728
	v_mul_f64 v[16:17], v[16:17], v[28:29]
	v_fma_f64 v[14:15], v[14:15], v[22:23], -v[16:17]
	s_waitcnt lgkmcnt(1)
	v_mul_f64 v[92:93], v[2:3], v[38:39]
	v_mul_f64 v[12:13], v[12:13], v[30:31]
	v_fmac_f64_e32 v[92:93], v[4:5], v[40:41]
	v_add_f64 v[94:95], v[90:91], v[92:93]
	ds_read_b128 v[90:93], v1 offset:1744
	s_waitcnt lgkmcnt(1)
	v_mul_f64 v[96:97], v[86:87], v[34:35]
	v_fmac_f64_e32 v[96:97], v[88:89], v[36:37]
	v_add_f64 v[98:99], v[94:95], v[96:97]
	ds_read_b128 v[94:97], v1 offset:1760
	s_waitcnt lgkmcnt(1)
	v_mul_f64 v[100:101], v[90:91], v[46:47]
	s_waitcnt vmcnt(60)
	v_fmac_f64_e32 v[100:101], v[92:93], v[48:49]
	v_add_f64 v[102:103], v[98:99], v[100:101]
	ds_read_b128 v[98:101], v1 offset:1776
	s_waitcnt lgkmcnt(1)
	v_mul_f64 v[104:105], v[94:95], v[42:43]
	v_fmac_f64_e32 v[104:105], v[96:97], v[44:45]
	v_add_f64 v[106:107], v[102:103], v[104:105]
	ds_read_b128 v[102:105], v1 offset:1792
	s_waitcnt vmcnt(54) lgkmcnt(1)
	v_mul_f64 v[108:109], v[98:99], v[54:55]
	s_waitcnt vmcnt(52)
	v_fmac_f64_e32 v[108:109], v[100:101], v[56:57]
	v_add_f64 v[110:111], v[106:107], v[108:109]
	ds_read_b128 v[106:109], v1 offset:1808
	s_waitcnt lgkmcnt(1)
	v_mul_f64 v[112:113], v[102:103], v[50:51]
	v_fmac_f64_e32 v[112:113], v[104:105], v[52:53]
	v_add_f64 v[114:115], v[110:111], v[112:113]
	ds_read_b128 v[110:113], v1 offset:1824
	s_waitcnt vmcnt(46) lgkmcnt(1)
	v_mul_f64 v[116:117], v[106:107], v[62:63]
	s_waitcnt vmcnt(44)
	v_fmac_f64_e32 v[116:117], v[108:109], v[64:65]
	v_add_f64 v[118:119], v[114:115], v[116:117]
	ds_read_b128 v[114:117], v1 offset:1840
	s_waitcnt lgkmcnt(1)
	v_mul_f64 v[120:121], v[110:111], v[58:59]
	v_fmac_f64_e32 v[120:121], v[112:113], v[60:61]
	v_add_f64 v[14:15], v[14:15], 0
	v_fma_f64 v[10:11], v[10:11], v[24:25], -v[12:13]
	v_mul_f64 v[8:9], v[8:9], v[32:33]
	v_add_f64 v[122:123], v[118:119], v[120:121]
	ds_read_b128 v[118:121], v1 offset:1856
	v_add_f64 v[10:11], v[14:15], v[10:11]
	v_fma_f64 v[6:7], v[6:7], v[26:27], -v[8:9]
	v_mul_f64 v[4:5], v[4:5], v[38:39]
	v_add_f64 v[6:7], v[10:11], v[6:7]
	v_fma_f64 v[2:3], v[2:3], v[40:41], -v[4:5]
	v_mul_f64 v[4:5], v[88:89], v[34:35]
	v_add_f64 v[2:3], v[6:7], v[2:3]
	v_fma_f64 v[4:5], v[86:87], v[36:37], -v[4:5]
	s_waitcnt vmcnt(38) lgkmcnt(1)
	v_mul_f64 v[124:125], v[114:115], v[70:71]
	v_add_f64 v[2:3], v[2:3], v[4:5]
	v_mul_f64 v[4:5], v[92:93], v[46:47]
	s_waitcnt vmcnt(36)
	v_fmac_f64_e32 v[124:125], v[116:117], v[72:73]
	v_fma_f64 v[4:5], v[90:91], v[48:49], -v[4:5]
	v_add_f64 v[126:127], v[122:123], v[124:125]
	ds_read_b128 v[122:125], v1 offset:1872
	s_waitcnt lgkmcnt(1)
	v_mul_f64 v[128:129], v[118:119], v[66:67]
	v_add_f64 v[2:3], v[2:3], v[4:5]
	v_mul_f64 v[4:5], v[96:97], v[42:43]
	v_fmac_f64_e32 v[128:129], v[120:121], v[68:69]
	v_fma_f64 v[4:5], v[94:95], v[44:45], -v[4:5]
	v_add_f64 v[130:131], v[126:127], v[128:129]
	ds_read_b128 v[126:129], v1 offset:1888
	v_add_f64 v[2:3], v[2:3], v[4:5]
	v_mul_f64 v[4:5], v[100:101], v[54:55]
	v_fma_f64 v[4:5], v[98:99], v[56:57], -v[4:5]
	v_add_f64 v[2:3], v[2:3], v[4:5]
	v_mul_f64 v[4:5], v[104:105], v[50:51]
	s_waitcnt vmcnt(30) lgkmcnt(1)
	v_mul_f64 v[132:133], v[122:123], v[78:79]
	v_fma_f64 v[4:5], v[102:103], v[52:53], -v[4:5]
	s_waitcnt vmcnt(28)
	v_fmac_f64_e32 v[132:133], v[124:125], v[80:81]
	v_add_f64 v[2:3], v[2:3], v[4:5]
	v_mul_f64 v[4:5], v[108:109], v[62:63]
	v_add_f64 v[134:135], v[130:131], v[132:133]
	ds_read_b128 v[130:133], v1 offset:1904
	s_waitcnt lgkmcnt(1)
	v_mul_f64 v[136:137], v[126:127], v[74:75]
	v_fma_f64 v[4:5], v[106:107], v[64:65], -v[4:5]
	v_fmac_f64_e32 v[136:137], v[128:129], v[76:77]
	v_add_f64 v[2:3], v[2:3], v[4:5]
	v_mul_f64 v[4:5], v[112:113], v[58:59]
	v_add_f64 v[138:139], v[134:135], v[136:137]
	ds_read_b128 v[134:137], v1 offset:1920
	v_fma_f64 v[4:5], v[110:111], v[60:61], -v[4:5]
	v_add_f64 v[2:3], v[2:3], v[4:5]
	v_mul_f64 v[4:5], v[116:117], v[70:71]
	v_fma_f64 v[4:5], v[114:115], v[72:73], -v[4:5]
	s_waitcnt vmcnt(22) lgkmcnt(1)
	v_mul_f64 v[140:141], v[130:131], v[158:159]
	v_add_f64 v[2:3], v[2:3], v[4:5]
	v_mul_f64 v[4:5], v[120:121], v[66:67]
	s_waitcnt vmcnt(20)
	v_fmac_f64_e32 v[140:141], v[132:133], v[160:161]
	v_fma_f64 v[4:5], v[118:119], v[68:69], -v[4:5]
	v_add_f64 v[142:143], v[138:139], v[140:141]
	ds_read_b128 v[138:141], v1 offset:1936
	s_waitcnt lgkmcnt(1)
	v_mul_f64 v[144:145], v[134:135], v[82:83]
	v_add_f64 v[2:3], v[2:3], v[4:5]
	v_mul_f64 v[4:5], v[124:125], v[78:79]
	v_fmac_f64_e32 v[144:145], v[136:137], v[84:85]
	v_fma_f64 v[4:5], v[122:123], v[80:81], -v[4:5]
	v_add_f64 v[146:147], v[142:143], v[144:145]
	ds_read_b128 v[142:145], v1 offset:1952
	v_add_f64 v[2:3], v[2:3], v[4:5]
	v_mul_f64 v[4:5], v[128:129], v[74:75]
	v_fma_f64 v[4:5], v[126:127], v[76:77], -v[4:5]
	v_add_f64 v[2:3], v[2:3], v[4:5]
	v_mul_f64 v[4:5], v[132:133], v[158:159]
	s_waitcnt vmcnt(14) lgkmcnt(1)
	v_mul_f64 v[148:149], v[138:139], v[166:167]
	v_fma_f64 v[4:5], v[130:131], v[160:161], -v[4:5]
	s_waitcnt vmcnt(12)
	v_fmac_f64_e32 v[148:149], v[140:141], v[168:169]
	v_add_f64 v[2:3], v[2:3], v[4:5]
	v_mul_f64 v[4:5], v[136:137], v[82:83]
	v_add_f64 v[150:151], v[146:147], v[148:149]
	ds_read_b128 v[146:149], v1 offset:1968
	s_waitcnt lgkmcnt(1)
	v_mul_f64 v[152:153], v[142:143], v[162:163]
	v_fma_f64 v[4:5], v[134:135], v[84:85], -v[4:5]
	v_fmac_f64_e32 v[152:153], v[144:145], v[164:165]
	v_add_f64 v[2:3], v[2:3], v[4:5]
	v_mul_f64 v[4:5], v[140:141], v[166:167]
	v_add_f64 v[182:183], v[150:151], v[152:153]
	ds_read_b128 v[150:153], v1 offset:1984
	ds_read_b128 v[154:157], v1 offset:2000
	v_fma_f64 v[4:5], v[138:139], v[168:169], -v[4:5]
	v_add_f64 v[2:3], v[2:3], v[4:5]
	v_mul_f64 v[4:5], v[144:145], v[162:163]
	v_fma_f64 v[4:5], v[142:143], v[164:165], -v[4:5]
	v_add_f64 v[2:3], v[2:3], v[4:5]
	s_waitcnt vmcnt(6) lgkmcnt(2)
	v_mul_f64 v[4:5], v[148:149], v[174:175]
	v_mul_f64 v[184:185], v[146:147], v[174:175]
	s_waitcnt vmcnt(4)
	v_fma_f64 v[4:5], v[146:147], v[176:177], -v[4:5]
	v_fmac_f64_e32 v[184:185], v[148:149], v[176:177]
	v_add_f64 v[2:3], v[2:3], v[4:5]
	s_waitcnt lgkmcnt(1)
	v_mul_f64 v[4:5], v[152:153], v[170:171]
	v_add_f64 v[0:1], v[182:183], v[184:185]
	v_mul_f64 v[182:183], v[150:151], v[170:171]
	v_fma_f64 v[4:5], v[150:151], v[172:173], -v[4:5]
	v_fmac_f64_e32 v[182:183], v[152:153], v[172:173]
	v_add_f64 v[2:3], v[2:3], v[4:5]
	s_waitcnt vmcnt(2) lgkmcnt(0)
	v_mul_f64 v[4:5], v[156:157], v[178:179]
	v_add_f64 v[0:1], v[0:1], v[182:183]
	v_mul_f64 v[182:183], v[154:155], v[178:179]
	s_waitcnt vmcnt(0)
	v_fma_f64 v[4:5], v[154:155], v[180:181], -v[4:5]
	v_fmac_f64_e32 v[182:183], v[156:157], v[180:181]
	v_add_f64 v[2:3], v[2:3], v[4:5]
	v_add_f64 v[0:1], v[0:1], v[182:183]
	v_add_f64 v[2:3], v[20:21], -v[2:3]
	v_cmp_lt_u32_e32 vcc, 39, v254
	v_add_f64 v[0:1], v[18:19], -v[0:1]
	buffer_store_dword v3, off, s[0:3], 0 offset:660
	buffer_store_dword v2, off, s[0:3], 0 offset:656
	;; [unrolled: 1-line block ×4, first 2 shown]
	s_and_saveexec_b64 s[4:5], vcc
	s_cbranch_execz .LBB126_325
; %bb.324:
	v_accvgpr_read_b32 v0, a149
	buffer_load_dword v2, v0, s[0:3], 0 offen
	buffer_load_dword v3, v0, s[0:3], 0 offen offset:4
	buffer_load_dword v4, v0, s[0:3], 0 offen offset:8
	buffer_load_dword v5, v0, s[0:3], 0 offen offset:12
	v_mov_b32_e32 v0, 0
	v_accvgpr_read_b32 v1, a189
	buffer_store_dword v0, off, s[0:3], 0 offset:640
	buffer_store_dword v0, off, s[0:3], 0 offset:644
	;; [unrolled: 1-line block ×4, first 2 shown]
	s_waitcnt vmcnt(4)
	ds_write_b128 v1, v[2:5]
.LBB126_325:
	s_or_b64 exec, exec, s[4:5]
	s_waitcnt lgkmcnt(0)
	; wave barrier
	s_waitcnt lgkmcnt(0)
	buffer_load_dword v9, off, s[0:3], 0 offset:668
	buffer_load_dword v6, off, s[0:3], 0 offset:680
	;; [unrolled: 1-line block ×64, first 2 shown]
	v_mov_b32_e32 v1, 0
	ds_read_b128 v[74:77], v1 offset:1648
	ds_read_b128 v[78:81], v1 offset:1664
	buffer_load_dword v67, off, s[0:3], 0 offset:924
	buffer_load_dword v66, off, s[0:3], 0 offset:920
	;; [unrolled: 1-line block ×8, first 2 shown]
	ds_read_b128 v[82:85], v1 offset:1680
	ds_read_b128 v[86:89], v1 offset:1696
	buffer_load_dword v167, off, s[0:3], 0 offset:956
	buffer_load_dword v166, off, s[0:3], 0 offset:952
	;; [unrolled: 1-line block ×24, first 2 shown]
	ds_read_b128 v[162:165], v1 offset:2000
	v_cmp_lt_u32_e32 vcc, 38, v254
	s_waitcnt vmcnt(62) lgkmcnt(1)
	v_mul_f64 v[96:97], v[86:87], v[22:23]
	v_fmac_f64_e32 v[96:97], v[88:89], v[24:25]
	v_mul_f64 v[92:93], v[78:79], v[6:7]
	v_mul_f64 v[90:91], v[74:75], v[8:9]
	;; [unrolled: 1-line block ×3, first 2 shown]
	v_fmac_f64_e32 v[90:91], v[76:77], v[10:11]
	v_add_f64 v[90:91], v[90:91], 0
	v_fma_f64 v[8:9], v[74:75], v[10:11], -v[8:9]
	v_mul_f64 v[6:7], v[80:81], v[6:7]
	v_add_f64 v[8:9], v[8:9], 0
	v_fmac_f64_e32 v[92:93], v[80:81], v[14:15]
	v_add_f64 v[90:91], v[90:91], v[92:93]
	v_mul_f64 v[92:93], v[82:83], v[16:17]
	v_fmac_f64_e32 v[92:93], v[84:85], v[12:13]
	v_add_f64 v[94:95], v[90:91], v[92:93]
	ds_read_b128 v[90:93], v1 offset:1712
	v_add_f64 v[98:99], v[94:95], v[96:97]
	ds_read_b128 v[94:97], v1 offset:1728
	v_fma_f64 v[6:7], v[78:79], v[14:15], -v[6:7]
	v_add_f64 v[6:7], v[8:9], v[6:7]
	s_waitcnt lgkmcnt(1)
	v_mul_f64 v[100:101], v[90:91], v[18:19]
	v_fmac_f64_e32 v[100:101], v[92:93], v[20:21]
	v_add_f64 v[102:103], v[98:99], v[100:101]
	ds_read_b128 v[98:101], v1 offset:1744
	s_waitcnt lgkmcnt(1)
	v_mul_f64 v[104:105], v[94:95], v[30:31]
	v_fmac_f64_e32 v[104:105], v[96:97], v[32:33]
	v_add_f64 v[106:107], v[102:103], v[104:105]
	ds_read_b128 v[102:105], v1 offset:1760
	;; [unrolled: 5-line block ×3, first 2 shown]
	s_waitcnt vmcnt(58) lgkmcnt(1)
	v_mul_f64 v[112:113], v[102:103], v[38:39]
	s_waitcnt vmcnt(56)
	v_fmac_f64_e32 v[112:113], v[104:105], v[40:41]
	v_add_f64 v[114:115], v[110:111], v[112:113]
	ds_read_b128 v[110:113], v1 offset:1792
	s_waitcnt lgkmcnt(1)
	v_mul_f64 v[116:117], v[106:107], v[34:35]
	v_fmac_f64_e32 v[116:117], v[108:109], v[36:37]
	v_add_f64 v[118:119], v[114:115], v[116:117]
	ds_read_b128 v[114:117], v1 offset:1808
	s_waitcnt vmcnt(50) lgkmcnt(1)
	v_mul_f64 v[120:121], v[110:111], v[46:47]
	s_waitcnt vmcnt(48)
	v_fmac_f64_e32 v[120:121], v[112:113], v[48:49]
	v_add_f64 v[122:123], v[118:119], v[120:121]
	ds_read_b128 v[118:121], v1 offset:1824
	v_mul_f64 v[8:9], v[84:85], v[16:17]
	s_waitcnt lgkmcnt(1)
	v_mul_f64 v[124:125], v[114:115], v[42:43]
	v_fma_f64 v[8:9], v[82:83], v[12:13], -v[8:9]
	v_fmac_f64_e32 v[124:125], v[116:117], v[44:45]
	v_add_f64 v[6:7], v[6:7], v[8:9]
	v_mul_f64 v[8:9], v[88:89], v[22:23]
	v_add_f64 v[126:127], v[122:123], v[124:125]
	ds_read_b128 v[122:125], v1 offset:1840
	s_waitcnt vmcnt(42) lgkmcnt(1)
	v_mul_f64 v[128:129], v[118:119], v[54:55]
	v_fma_f64 v[8:9], v[86:87], v[24:25], -v[8:9]
	s_waitcnt vmcnt(40)
	v_fmac_f64_e32 v[128:129], v[120:121], v[56:57]
	v_add_f64 v[6:7], v[6:7], v[8:9]
	v_mul_f64 v[8:9], v[92:93], v[18:19]
	v_add_f64 v[130:131], v[126:127], v[128:129]
	ds_read_b128 v[126:129], v1 offset:1856
	v_fma_f64 v[8:9], v[90:91], v[20:21], -v[8:9]
	v_add_f64 v[6:7], v[6:7], v[8:9]
	v_mul_f64 v[8:9], v[96:97], v[30:31]
	v_fma_f64 v[8:9], v[94:95], v[32:33], -v[8:9]
	s_waitcnt lgkmcnt(1)
	v_mul_f64 v[132:133], v[122:123], v[50:51]
	v_add_f64 v[6:7], v[6:7], v[8:9]
	v_mul_f64 v[8:9], v[100:101], v[26:27]
	v_fmac_f64_e32 v[132:133], v[124:125], v[52:53]
	v_fma_f64 v[8:9], v[98:99], v[28:29], -v[8:9]
	v_add_f64 v[134:135], v[130:131], v[132:133]
	ds_read_b128 v[130:133], v1 offset:1872
	s_waitcnt vmcnt(34) lgkmcnt(1)
	v_mul_f64 v[136:137], v[126:127], v[62:63]
	v_add_f64 v[6:7], v[6:7], v[8:9]
	v_mul_f64 v[8:9], v[104:105], v[38:39]
	s_waitcnt vmcnt(32)
	v_fmac_f64_e32 v[136:137], v[128:129], v[64:65]
	v_fma_f64 v[8:9], v[102:103], v[40:41], -v[8:9]
	v_add_f64 v[138:139], v[134:135], v[136:137]
	ds_read_b128 v[134:137], v1 offset:1888
	v_add_f64 v[6:7], v[6:7], v[8:9]
	v_mul_f64 v[8:9], v[108:109], v[34:35]
	v_fma_f64 v[8:9], v[106:107], v[36:37], -v[8:9]
	v_add_f64 v[6:7], v[6:7], v[8:9]
	v_mul_f64 v[8:9], v[112:113], v[46:47]
	s_waitcnt lgkmcnt(1)
	v_mul_f64 v[140:141], v[130:131], v[58:59]
	v_fma_f64 v[8:9], v[110:111], v[48:49], -v[8:9]
	v_fmac_f64_e32 v[140:141], v[132:133], v[60:61]
	v_add_f64 v[6:7], v[6:7], v[8:9]
	v_mul_f64 v[8:9], v[116:117], v[42:43]
	v_add_f64 v[142:143], v[138:139], v[140:141]
	ds_read_b128 v[138:141], v1 offset:1904
	s_waitcnt vmcnt(26) lgkmcnt(1)
	v_mul_f64 v[144:145], v[134:135], v[70:71]
	v_fma_f64 v[8:9], v[114:115], v[44:45], -v[8:9]
	s_waitcnt vmcnt(24)
	v_fmac_f64_e32 v[144:145], v[136:137], v[72:73]
	v_add_f64 v[6:7], v[6:7], v[8:9]
	v_mul_f64 v[8:9], v[120:121], v[54:55]
	v_add_f64 v[146:147], v[142:143], v[144:145]
	ds_read_b128 v[142:145], v1 offset:1920
	v_fma_f64 v[8:9], v[118:119], v[56:57], -v[8:9]
	v_add_f64 v[6:7], v[6:7], v[8:9]
	v_mul_f64 v[8:9], v[124:125], v[50:51]
	v_fma_f64 v[8:9], v[122:123], v[52:53], -v[8:9]
	s_waitcnt lgkmcnt(1)
	v_mul_f64 v[148:149], v[138:139], v[66:67]
	v_add_f64 v[6:7], v[6:7], v[8:9]
	v_mul_f64 v[8:9], v[128:129], v[62:63]
	v_fmac_f64_e32 v[148:149], v[140:141], v[68:69]
	v_fma_f64 v[8:9], v[126:127], v[64:65], -v[8:9]
	v_add_f64 v[150:151], v[146:147], v[148:149]
	ds_read_b128 v[146:149], v1 offset:1936
	s_waitcnt vmcnt(18) lgkmcnt(1)
	v_mul_f64 v[152:153], v[142:143], v[170:171]
	v_add_f64 v[6:7], v[6:7], v[8:9]
	v_mul_f64 v[8:9], v[132:133], v[58:59]
	s_waitcnt vmcnt(16)
	v_fmac_f64_e32 v[152:153], v[144:145], v[172:173]
	v_fma_f64 v[8:9], v[130:131], v[60:61], -v[8:9]
	v_add_f64 v[154:155], v[150:151], v[152:153]
	ds_read_b128 v[150:153], v1 offset:1952
	v_add_f64 v[6:7], v[6:7], v[8:9]
	v_mul_f64 v[8:9], v[136:137], v[70:71]
	v_fma_f64 v[8:9], v[134:135], v[72:73], -v[8:9]
	v_add_f64 v[6:7], v[6:7], v[8:9]
	v_mul_f64 v[8:9], v[140:141], v[66:67]
	s_waitcnt lgkmcnt(1)
	v_mul_f64 v[156:157], v[146:147], v[166:167]
	v_fma_f64 v[8:9], v[138:139], v[68:69], -v[8:9]
	v_fmac_f64_e32 v[156:157], v[148:149], v[168:169]
	v_add_f64 v[6:7], v[6:7], v[8:9]
	v_mul_f64 v[8:9], v[144:145], v[170:171]
	v_add_f64 v[158:159], v[154:155], v[156:157]
	ds_read_b128 v[154:157], v1 offset:1968
	s_waitcnt vmcnt(10) lgkmcnt(1)
	v_mul_f64 v[160:161], v[150:151], v[178:179]
	v_fma_f64 v[8:9], v[142:143], v[172:173], -v[8:9]
	s_waitcnt vmcnt(8)
	v_fmac_f64_e32 v[160:161], v[152:153], v[180:181]
	v_add_f64 v[6:7], v[6:7], v[8:9]
	v_mul_f64 v[8:9], v[148:149], v[166:167]
	v_add_f64 v[190:191], v[158:159], v[160:161]
	ds_read_b128 v[158:161], v1 offset:1984
	v_fma_f64 v[8:9], v[146:147], v[168:169], -v[8:9]
	v_add_f64 v[6:7], v[6:7], v[8:9]
	v_mul_f64 v[8:9], v[152:153], v[178:179]
	v_fma_f64 v[8:9], v[150:151], v[180:181], -v[8:9]
	v_add_f64 v[6:7], v[6:7], v[8:9]
	s_waitcnt lgkmcnt(1)
	v_mul_f64 v[8:9], v[156:157], v[174:175]
	v_mul_f64 v[192:193], v[154:155], v[174:175]
	v_fma_f64 v[8:9], v[154:155], v[176:177], -v[8:9]
	v_fmac_f64_e32 v[192:193], v[156:157], v[176:177]
	v_add_f64 v[6:7], v[6:7], v[8:9]
	s_waitcnt vmcnt(2) lgkmcnt(0)
	v_mul_f64 v[8:9], v[160:161], v[186:187]
	v_add_f64 v[190:191], v[190:191], v[192:193]
	v_mul_f64 v[192:193], v[158:159], v[186:187]
	s_waitcnt vmcnt(0)
	v_fma_f64 v[8:9], v[158:159], v[188:189], -v[8:9]
	v_fmac_f64_e32 v[192:193], v[160:161], v[188:189]
	v_add_f64 v[6:7], v[6:7], v[8:9]
	v_mul_f64 v[8:9], v[164:165], v[182:183]
	v_add_f64 v[190:191], v[190:191], v[192:193]
	v_mul_f64 v[192:193], v[162:163], v[182:183]
	v_fma_f64 v[8:9], v[162:163], v[184:185], -v[8:9]
	v_fmac_f64_e32 v[192:193], v[164:165], v[184:185]
	v_add_f64 v[6:7], v[6:7], v[8:9]
	v_add_f64 v[190:191], v[190:191], v[192:193]
	v_add_f64 v[4:5], v[4:5], -v[6:7]
	v_add_f64 v[2:3], v[2:3], -v[190:191]
	buffer_store_dword v5, off, s[0:3], 0 offset:644
	buffer_store_dword v4, off, s[0:3], 0 offset:640
	;; [unrolled: 1-line block ×4, first 2 shown]
	s_and_saveexec_b64 s[4:5], vcc
	s_cbranch_execz .LBB126_327
; %bb.326:
	v_accvgpr_read_b32 v0, a150
	buffer_load_dword v2, v0, s[0:3], 0 offen
	buffer_load_dword v3, v0, s[0:3], 0 offen offset:4
	buffer_load_dword v4, v0, s[0:3], 0 offen offset:8
	;; [unrolled: 1-line block ×3, first 2 shown]
	v_accvgpr_read_b32 v0, a189
	buffer_store_dword v1, off, s[0:3], 0 offset:624
	buffer_store_dword v1, off, s[0:3], 0 offset:628
	;; [unrolled: 1-line block ×4, first 2 shown]
	s_waitcnt vmcnt(4)
	ds_write_b128 v0, v[2:5]
.LBB126_327:
	s_or_b64 exec, exec, s[4:5]
	s_waitcnt lgkmcnt(0)
	; wave barrier
	s_waitcnt lgkmcnt(0)
	buffer_load_dword v22, off, s[0:3], 0 offset:640
	buffer_load_dword v23, off, s[0:3], 0 offset:644
	;; [unrolled: 1-line block ×16, first 2 shown]
	ds_read_b128 v[2:5], v1 offset:1632
	ds_read_b128 v[6:9], v1 offset:1648
	;; [unrolled: 1-line block ×4, first 2 shown]
	buffer_load_dword v35, off, s[0:3], 0 offset:716
	buffer_load_dword v34, off, s[0:3], 0 offset:712
	;; [unrolled: 1-line block ×48, first 2 shown]
	v_cmp_lt_u32_e32 vcc, 37, v254
	s_waitcnt vmcnt(42) lgkmcnt(0)
	v_mul_f64 v[104:105], v[14:15], v[38:39]
	s_waitcnt vmcnt(40)
	v_fmac_f64_e32 v[104:105], v[16:17], v[40:41]
	v_mul_f64 v[82:83], v[2:3], v[24:25]
	v_fmac_f64_e32 v[82:83], v[4:5], v[22:23]
	v_add_f64 v[82:83], v[82:83], 0
	v_mul_f64 v[4:5], v[4:5], v[24:25]
	v_mul_f64 v[84:85], v[6:7], v[32:33]
	v_fma_f64 v[2:3], v[2:3], v[22:23], -v[4:5]
	v_mul_f64 v[98:99], v[10:11], v[26:27]
	v_fmac_f64_e32 v[98:99], v[12:13], v[30:31]
	v_fmac_f64_e32 v[84:85], v[8:9], v[28:29]
	v_add_f64 v[100:101], v[82:83], v[84:85]
	buffer_load_dword v83, off, s[0:3], 0 offset:908
	buffer_load_dword v82, off, s[0:3], 0 offset:904
	;; [unrolled: 1-line block ×32, first 2 shown]
	v_add_f64 v[102:103], v[100:101], v[98:99]
	ds_read_b128 v[98:101], v1 offset:1696
	buffer_load_dword v195, off, s[0:3], 0 offset:1020
	buffer_load_dword v194, off, s[0:3], 0 offset:1016
	;; [unrolled: 1-line block ×4, first 2 shown]
	v_add_f64 v[106:107], v[102:103], v[104:105]
	ds_read_b128 v[102:105], v1 offset:1712
	v_mul_f64 v[4:5], v[8:9], v[32:33]
	s_waitcnt lgkmcnt(1)
	v_mul_f64 v[108:109], v[98:99], v[34:35]
	v_fmac_f64_e32 v[108:109], v[100:101], v[36:37]
	v_add_f64 v[110:111], v[106:107], v[108:109]
	ds_read_b128 v[106:109], v1 offset:1728
	s_waitcnt vmcnt(62) lgkmcnt(1)
	v_mul_f64 v[112:113], v[102:103], v[46:47]
	v_fmac_f64_e32 v[112:113], v[104:105], v[48:49]
	v_add_f64 v[114:115], v[110:111], v[112:113]
	ds_read_b128 v[110:113], v1 offset:1744
	s_waitcnt lgkmcnt(1)
	v_mul_f64 v[116:117], v[106:107], v[42:43]
	v_fmac_f64_e32 v[116:117], v[108:109], v[44:45]
	v_add_f64 v[118:119], v[114:115], v[116:117]
	ds_read_b128 v[114:117], v1 offset:1760
	s_waitcnt lgkmcnt(1)
	v_mul_f64 v[120:121], v[110:111], v[54:55]
	s_waitcnt vmcnt(60)
	v_fmac_f64_e32 v[120:121], v[112:113], v[56:57]
	v_add_f64 v[122:123], v[118:119], v[120:121]
	ds_read_b128 v[118:121], v1 offset:1776
	s_waitcnt lgkmcnt(1)
	v_mul_f64 v[124:125], v[114:115], v[50:51]
	v_fmac_f64_e32 v[124:125], v[116:117], v[52:53]
	v_add_f64 v[126:127], v[122:123], v[124:125]
	ds_read_b128 v[122:125], v1 offset:1792
	s_waitcnt vmcnt(54) lgkmcnt(1)
	v_mul_f64 v[128:129], v[118:119], v[62:63]
	s_waitcnt vmcnt(52)
	v_fmac_f64_e32 v[128:129], v[120:121], v[64:65]
	v_add_f64 v[130:131], v[126:127], v[128:129]
	ds_read_b128 v[126:129], v1 offset:1808
	s_waitcnt lgkmcnt(1)
	v_mul_f64 v[132:133], v[122:123], v[58:59]
	v_fmac_f64_e32 v[132:133], v[124:125], v[60:61]
	v_add_f64 v[2:3], v[2:3], 0
	v_fma_f64 v[4:5], v[6:7], v[28:29], -v[4:5]
	v_add_f64 v[134:135], v[130:131], v[132:133]
	ds_read_b128 v[130:133], v1 offset:1824
	v_add_f64 v[2:3], v[2:3], v[4:5]
	v_mul_f64 v[4:5], v[12:13], v[26:27]
	v_fma_f64 v[4:5], v[10:11], v[30:31], -v[4:5]
	v_add_f64 v[2:3], v[2:3], v[4:5]
	v_mul_f64 v[4:5], v[16:17], v[38:39]
	s_waitcnt vmcnt(46) lgkmcnt(1)
	v_mul_f64 v[136:137], v[126:127], v[70:71]
	v_fma_f64 v[4:5], v[14:15], v[40:41], -v[4:5]
	s_waitcnt vmcnt(44)
	v_fmac_f64_e32 v[136:137], v[128:129], v[72:73]
	v_add_f64 v[2:3], v[2:3], v[4:5]
	v_mul_f64 v[4:5], v[100:101], v[34:35]
	v_add_f64 v[138:139], v[134:135], v[136:137]
	ds_read_b128 v[134:137], v1 offset:1840
	s_waitcnt lgkmcnt(1)
	v_mul_f64 v[140:141], v[130:131], v[66:67]
	v_fma_f64 v[4:5], v[98:99], v[36:37], -v[4:5]
	v_fmac_f64_e32 v[140:141], v[132:133], v[68:69]
	v_add_f64 v[2:3], v[2:3], v[4:5]
	v_mul_f64 v[4:5], v[104:105], v[46:47]
	v_add_f64 v[142:143], v[138:139], v[140:141]
	ds_read_b128 v[138:141], v1 offset:1856
	v_fma_f64 v[4:5], v[102:103], v[48:49], -v[4:5]
	v_add_f64 v[2:3], v[2:3], v[4:5]
	v_mul_f64 v[4:5], v[108:109], v[42:43]
	v_fma_f64 v[4:5], v[106:107], v[44:45], -v[4:5]
	s_waitcnt vmcnt(38) lgkmcnt(1)
	v_mul_f64 v[144:145], v[134:135], v[78:79]
	v_add_f64 v[2:3], v[2:3], v[4:5]
	v_mul_f64 v[4:5], v[112:113], v[54:55]
	s_waitcnt vmcnt(36)
	v_fmac_f64_e32 v[144:145], v[136:137], v[80:81]
	v_fma_f64 v[4:5], v[110:111], v[56:57], -v[4:5]
	v_add_f64 v[146:147], v[142:143], v[144:145]
	ds_read_b128 v[142:145], v1 offset:1872
	s_waitcnt lgkmcnt(1)
	v_mul_f64 v[148:149], v[138:139], v[74:75]
	v_add_f64 v[2:3], v[2:3], v[4:5]
	v_mul_f64 v[4:5], v[116:117], v[50:51]
	v_fmac_f64_e32 v[148:149], v[140:141], v[76:77]
	v_fma_f64 v[4:5], v[114:115], v[52:53], -v[4:5]
	v_add_f64 v[150:151], v[146:147], v[148:149]
	ds_read_b128 v[146:149], v1 offset:1888
	v_add_f64 v[2:3], v[2:3], v[4:5]
	v_mul_f64 v[4:5], v[120:121], v[62:63]
	v_fma_f64 v[4:5], v[118:119], v[64:65], -v[4:5]
	v_add_f64 v[2:3], v[2:3], v[4:5]
	v_mul_f64 v[4:5], v[124:125], v[58:59]
	s_waitcnt vmcnt(30) lgkmcnt(1)
	v_mul_f64 v[152:153], v[142:143], v[86:87]
	v_fma_f64 v[4:5], v[122:123], v[60:61], -v[4:5]
	s_waitcnt vmcnt(28)
	v_fmac_f64_e32 v[152:153], v[144:145], v[88:89]
	v_add_f64 v[2:3], v[2:3], v[4:5]
	v_mul_f64 v[4:5], v[128:129], v[70:71]
	v_add_f64 v[154:155], v[150:151], v[152:153]
	ds_read_b128 v[150:153], v1 offset:1904
	s_waitcnt lgkmcnt(1)
	v_mul_f64 v[156:157], v[146:147], v[82:83]
	v_fma_f64 v[4:5], v[126:127], v[72:73], -v[4:5]
	v_fmac_f64_e32 v[156:157], v[148:149], v[84:85]
	v_add_f64 v[2:3], v[2:3], v[4:5]
	v_mul_f64 v[4:5], v[132:133], v[66:67]
	v_add_f64 v[158:159], v[154:155], v[156:157]
	ds_read_b128 v[154:157], v1 offset:1920
	v_fma_f64 v[4:5], v[130:131], v[68:69], -v[4:5]
	v_add_f64 v[2:3], v[2:3], v[4:5]
	v_mul_f64 v[4:5], v[136:137], v[78:79]
	v_fma_f64 v[4:5], v[134:135], v[80:81], -v[4:5]
	s_waitcnt vmcnt(22) lgkmcnt(1)
	v_mul_f64 v[160:161], v[150:151], v[94:95]
	v_add_f64 v[2:3], v[2:3], v[4:5]
	v_mul_f64 v[4:5], v[140:141], v[74:75]
	s_waitcnt vmcnt(20)
	v_fmac_f64_e32 v[160:161], v[152:153], v[96:97]
	v_fma_f64 v[4:5], v[138:139], v[76:77], -v[4:5]
	v_add_f64 v[162:163], v[158:159], v[160:161]
	ds_read_b128 v[158:161], v1 offset:1936
	s_waitcnt lgkmcnt(1)
	v_mul_f64 v[164:165], v[154:155], v[90:91]
	v_add_f64 v[2:3], v[2:3], v[4:5]
	v_mul_f64 v[4:5], v[144:145], v[86:87]
	v_fmac_f64_e32 v[164:165], v[156:157], v[92:93]
	v_fma_f64 v[4:5], v[142:143], v[88:89], -v[4:5]
	v_add_f64 v[166:167], v[162:163], v[164:165]
	ds_read_b128 v[162:165], v1 offset:1952
	v_add_f64 v[2:3], v[2:3], v[4:5]
	v_mul_f64 v[4:5], v[148:149], v[82:83]
	v_fma_f64 v[4:5], v[146:147], v[84:85], -v[4:5]
	v_add_f64 v[2:3], v[2:3], v[4:5]
	v_mul_f64 v[4:5], v[152:153], v[94:95]
	s_waitcnt vmcnt(14) lgkmcnt(1)
	v_mul_f64 v[168:169], v[158:159], v[182:183]
	v_fma_f64 v[4:5], v[150:151], v[96:97], -v[4:5]
	s_waitcnt vmcnt(12)
	v_fmac_f64_e32 v[168:169], v[160:161], v[184:185]
	v_add_f64 v[2:3], v[2:3], v[4:5]
	v_mul_f64 v[4:5], v[156:157], v[90:91]
	v_add_f64 v[170:171], v[166:167], v[168:169]
	ds_read_b128 v[166:169], v1 offset:1968
	s_waitcnt lgkmcnt(1)
	v_mul_f64 v[172:173], v[162:163], v[178:179]
	v_fma_f64 v[4:5], v[154:155], v[92:93], -v[4:5]
	v_fmac_f64_e32 v[172:173], v[164:165], v[180:181]
	v_add_f64 v[2:3], v[2:3], v[4:5]
	v_mul_f64 v[4:5], v[160:161], v[182:183]
	v_add_f64 v[198:199], v[170:171], v[172:173]
	ds_read_b128 v[170:173], v1 offset:1984
	v_fma_f64 v[4:5], v[158:159], v[184:185], -v[4:5]
	v_add_f64 v[2:3], v[2:3], v[4:5]
	v_mul_f64 v[4:5], v[164:165], v[178:179]
	ds_read_b128 v[174:177], v1 offset:2000
	v_fma_f64 v[4:5], v[162:163], v[180:181], -v[4:5]
	v_add_f64 v[2:3], v[2:3], v[4:5]
	s_waitcnt vmcnt(6) lgkmcnt(2)
	v_mul_f64 v[4:5], v[168:169], v[190:191]
	v_mul_f64 v[200:201], v[166:167], v[190:191]
	s_waitcnt vmcnt(4)
	v_fma_f64 v[4:5], v[166:167], v[192:193], -v[4:5]
	v_fmac_f64_e32 v[200:201], v[168:169], v[192:193]
	v_add_f64 v[2:3], v[2:3], v[4:5]
	s_waitcnt lgkmcnt(1)
	v_mul_f64 v[4:5], v[172:173], v[186:187]
	v_add_f64 v[0:1], v[198:199], v[200:201]
	v_mul_f64 v[198:199], v[170:171], v[186:187]
	v_fma_f64 v[4:5], v[170:171], v[188:189], -v[4:5]
	v_fmac_f64_e32 v[198:199], v[172:173], v[188:189]
	v_add_f64 v[2:3], v[2:3], v[4:5]
	s_waitcnt vmcnt(2) lgkmcnt(0)
	v_mul_f64 v[4:5], v[176:177], v[194:195]
	v_add_f64 v[0:1], v[0:1], v[198:199]
	v_mul_f64 v[198:199], v[174:175], v[194:195]
	s_waitcnt vmcnt(0)
	v_fma_f64 v[4:5], v[174:175], v[196:197], -v[4:5]
	v_fmac_f64_e32 v[198:199], v[176:177], v[196:197]
	v_add_f64 v[2:3], v[2:3], v[4:5]
	v_add_f64 v[0:1], v[0:1], v[198:199]
	v_add_f64 v[2:3], v[20:21], -v[2:3]
	v_add_f64 v[0:1], v[18:19], -v[0:1]
	buffer_store_dword v3, off, s[0:3], 0 offset:628
	buffer_store_dword v2, off, s[0:3], 0 offset:624
	buffer_store_dword v1, off, s[0:3], 0 offset:636
	buffer_store_dword v0, off, s[0:3], 0 offset:632
	s_and_saveexec_b64 s[4:5], vcc
	s_cbranch_execz .LBB126_329
; %bb.328:
	v_accvgpr_read_b32 v0, a151
	buffer_load_dword v2, v0, s[0:3], 0 offen
	buffer_load_dword v3, v0, s[0:3], 0 offen offset:4
	buffer_load_dword v4, v0, s[0:3], 0 offen offset:8
	;; [unrolled: 1-line block ×3, first 2 shown]
	v_mov_b32_e32 v0, 0
	v_accvgpr_read_b32 v1, a189
	buffer_store_dword v0, off, s[0:3], 0 offset:608
	buffer_store_dword v0, off, s[0:3], 0 offset:612
	buffer_store_dword v0, off, s[0:3], 0 offset:616
	buffer_store_dword v0, off, s[0:3], 0 offset:620
	s_waitcnt vmcnt(4)
	ds_write_b128 v1, v[2:5]
.LBB126_329:
	s_or_b64 exec, exec, s[4:5]
	s_waitcnt lgkmcnt(0)
	; wave barrier
	s_waitcnt lgkmcnt(0)
	buffer_load_dword v22, off, s[0:3], 0 offset:624
	buffer_load_dword v23, off, s[0:3], 0 offset:628
	;; [unrolled: 1-line block ×64, first 2 shown]
	v_mov_b32_e32 v1, 0
	ds_read_b128 v[18:21], v1 offset:1616
	ds_read_b128 v[14:17], v1 offset:1632
	;; [unrolled: 1-line block ×5, first 2 shown]
	v_cmp_lt_u32_e32 vcc, 36, v254
	s_waitcnt vmcnt(60) lgkmcnt(4)
	v_mul_f64 v[86:87], v[18:19], v[26:27]
	v_fmac_f64_e32 v[86:87], v[20:21], v[22:23]
	v_add_f64 v[86:87], v[86:87], 0
	v_mul_f64 v[20:21], v[20:21], v[26:27]
	s_waitcnt vmcnt(56) lgkmcnt(3)
	v_mul_f64 v[88:89], v[14:15], v[28:29]
	v_fmac_f64_e32 v[88:89], v[16:17], v[24:25]
	s_waitcnt vmcnt(54) lgkmcnt(2)
	v_mul_f64 v[90:91], v[10:11], v[30:31]
	v_add_f64 v[86:87], v[86:87], v[88:89]
	v_fma_f64 v[18:19], v[18:19], v[22:23], -v[20:21]
	v_mul_f64 v[16:17], v[16:17], v[28:29]
	s_waitcnt vmcnt(50) lgkmcnt(1)
	v_mul_f64 v[102:103], v[6:7], v[40:41]
	v_add_f64 v[18:19], v[18:19], 0
	s_waitcnt vmcnt(48)
	v_fmac_f64_e32 v[90:91], v[12:13], v[44:45]
	v_add_f64 v[104:105], v[86:87], v[90:91]
	buffer_load_dword v87, off, s[0:3], 0 offset:892
	buffer_load_dword v86, off, s[0:3], 0 offset:888
	buffer_load_dword v89, off, s[0:3], 0 offset:884
	buffer_load_dword v88, off, s[0:3], 0 offset:880
	buffer_load_dword v91, off, s[0:3], 0 offset:876
	buffer_load_dword v90, off, s[0:3], 0 offset:872
	buffer_load_dword v93, off, s[0:3], 0 offset:868
	buffer_load_dword v92, off, s[0:3], 0 offset:864
	buffer_load_dword v95, off, s[0:3], 0 offset:924
	buffer_load_dword v94, off, s[0:3], 0 offset:920
	buffer_load_dword v97, off, s[0:3], 0 offset:916
	buffer_load_dword v96, off, s[0:3], 0 offset:912
	buffer_load_dword v99, off, s[0:3], 0 offset:908
	buffer_load_dword v98, off, s[0:3], 0 offset:904
	buffer_load_dword v101, off, s[0:3], 0 offset:900
	buffer_load_dword v100, off, s[0:3], 0 offset:896
	buffer_load_dword v183, off, s[0:3], 0 offset:956
	buffer_load_dword v182, off, s[0:3], 0 offset:952
	buffer_load_dword v185, off, s[0:3], 0 offset:948
	buffer_load_dword v184, off, s[0:3], 0 offset:944
	buffer_load_dword v187, off, s[0:3], 0 offset:940
	buffer_load_dword v186, off, s[0:3], 0 offset:936
	buffer_load_dword v189, off, s[0:3], 0 offset:932
	buffer_load_dword v188, off, s[0:3], 0 offset:928
	buffer_load_dword v191, off, s[0:3], 0 offset:988
	buffer_load_dword v190, off, s[0:3], 0 offset:984
	buffer_load_dword v193, off, s[0:3], 0 offset:980
	buffer_load_dword v192, off, s[0:3], 0 offset:976
	buffer_load_dword v195, off, s[0:3], 0 offset:972
	buffer_load_dword v194, off, s[0:3], 0 offset:968
	buffer_load_dword v197, off, s[0:3], 0 offset:964
	buffer_load_dword v196, off, s[0:3], 0 offset:960
	buffer_load_dword v199, off, s[0:3], 0 offset:1020
	buffer_load_dword v198, off, s[0:3], 0 offset:1016
	buffer_load_dword v201, off, s[0:3], 0 offset:1012
	buffer_load_dword v200, off, s[0:3], 0 offset:1008
	buffer_load_dword v203, off, s[0:3], 0 offset:1004
	buffer_load_dword v202, off, s[0:3], 0 offset:1000
	buffer_load_dword v205, off, s[0:3], 0 offset:996
	buffer_load_dword v204, off, s[0:3], 0 offset:992
	s_waitcnt vmcnt(62)
	v_fmac_f64_e32 v[102:103], v[8:9], v[42:43]
	v_add_f64 v[106:107], v[104:105], v[102:103]
	ds_read_b128 v[102:105], v1 offset:1696
	s_waitcnt lgkmcnt(1)
	v_mul_f64 v[108:109], v[2:3], v[36:37]
	v_fmac_f64_e32 v[108:109], v[4:5], v[38:39]
	v_add_f64 v[110:111], v[106:107], v[108:109]
	ds_read_b128 v[106:109], v1 offset:1712
	s_waitcnt lgkmcnt(1)
	v_mul_f64 v[112:113], v[102:103], v[50:51]
	;; [unrolled: 5-line block ×5, first 2 shown]
	v_fmac_f64_e32 v[124:125], v[116:117], v[56:57]
	v_add_f64 v[126:127], v[122:123], v[124:125]
	ds_read_b128 v[122:125], v1 offset:1776
	s_waitcnt vmcnt(58) lgkmcnt(1)
	v_mul_f64 v[128:129], v[118:119], v[66:67]
	s_waitcnt vmcnt(56)
	v_fmac_f64_e32 v[128:129], v[120:121], v[68:69]
	v_add_f64 v[130:131], v[126:127], v[128:129]
	ds_read_b128 v[126:129], v1 offset:1792
	s_waitcnt lgkmcnt(1)
	v_mul_f64 v[132:133], v[122:123], v[62:63]
	v_fmac_f64_e32 v[132:133], v[124:125], v[64:65]
	v_add_f64 v[134:135], v[130:131], v[132:133]
	ds_read_b128 v[130:133], v1 offset:1808
	s_waitcnt vmcnt(50) lgkmcnt(1)
	v_mul_f64 v[136:137], v[126:127], v[74:75]
	s_waitcnt vmcnt(48)
	v_fmac_f64_e32 v[136:137], v[128:129], v[76:77]
	v_add_f64 v[138:139], v[134:135], v[136:137]
	ds_read_b128 v[134:137], v1 offset:1824
	v_fma_f64 v[14:15], v[14:15], v[24:25], -v[16:17]
	v_mul_f64 v[12:13], v[12:13], v[30:31]
	v_add_f64 v[14:15], v[18:19], v[14:15]
	v_fma_f64 v[10:11], v[10:11], v[44:45], -v[12:13]
	v_mul_f64 v[8:9], v[8:9], v[40:41]
	s_waitcnt lgkmcnt(1)
	v_mul_f64 v[140:141], v[130:131], v[70:71]
	v_add_f64 v[10:11], v[14:15], v[10:11]
	v_fma_f64 v[6:7], v[6:7], v[42:43], -v[8:9]
	v_mul_f64 v[4:5], v[4:5], v[36:37]
	v_fmac_f64_e32 v[140:141], v[132:133], v[72:73]
	v_add_f64 v[6:7], v[10:11], v[6:7]
	v_fma_f64 v[2:3], v[2:3], v[38:39], -v[4:5]
	v_mul_f64 v[4:5], v[104:105], v[50:51]
	v_add_f64 v[142:143], v[138:139], v[140:141]
	ds_read_b128 v[138:141], v1 offset:1840
	s_waitcnt vmcnt(42) lgkmcnt(1)
	v_mul_f64 v[144:145], v[134:135], v[82:83]
	v_add_f64 v[2:3], v[6:7], v[2:3]
	v_fma_f64 v[4:5], v[102:103], v[52:53], -v[4:5]
	s_waitcnt vmcnt(40)
	v_fmac_f64_e32 v[144:145], v[136:137], v[84:85]
	v_add_f64 v[2:3], v[2:3], v[4:5]
	v_mul_f64 v[4:5], v[108:109], v[46:47]
	v_add_f64 v[146:147], v[142:143], v[144:145]
	ds_read_b128 v[142:145], v1 offset:1856
	v_fma_f64 v[4:5], v[106:107], v[48:49], -v[4:5]
	v_add_f64 v[2:3], v[2:3], v[4:5]
	v_mul_f64 v[4:5], v[112:113], v[58:59]
	v_fma_f64 v[4:5], v[110:111], v[60:61], -v[4:5]
	s_waitcnt lgkmcnt(1)
	v_mul_f64 v[148:149], v[138:139], v[78:79]
	v_add_f64 v[2:3], v[2:3], v[4:5]
	v_mul_f64 v[4:5], v[116:117], v[54:55]
	v_fmac_f64_e32 v[148:149], v[140:141], v[80:81]
	v_fma_f64 v[4:5], v[114:115], v[56:57], -v[4:5]
	v_add_f64 v[150:151], v[146:147], v[148:149]
	ds_read_b128 v[146:149], v1 offset:1872
	s_waitcnt vmcnt(34) lgkmcnt(1)
	v_mul_f64 v[152:153], v[142:143], v[90:91]
	v_add_f64 v[2:3], v[2:3], v[4:5]
	v_mul_f64 v[4:5], v[120:121], v[66:67]
	s_waitcnt vmcnt(32)
	v_fmac_f64_e32 v[152:153], v[144:145], v[92:93]
	v_fma_f64 v[4:5], v[118:119], v[68:69], -v[4:5]
	v_add_f64 v[154:155], v[150:151], v[152:153]
	ds_read_b128 v[150:153], v1 offset:1888
	v_add_f64 v[2:3], v[2:3], v[4:5]
	v_mul_f64 v[4:5], v[124:125], v[62:63]
	v_fma_f64 v[4:5], v[122:123], v[64:65], -v[4:5]
	v_add_f64 v[2:3], v[2:3], v[4:5]
	v_mul_f64 v[4:5], v[128:129], v[74:75]
	s_waitcnt lgkmcnt(1)
	v_mul_f64 v[156:157], v[146:147], v[86:87]
	v_fma_f64 v[4:5], v[126:127], v[76:77], -v[4:5]
	v_fmac_f64_e32 v[156:157], v[148:149], v[88:89]
	v_add_f64 v[2:3], v[2:3], v[4:5]
	v_mul_f64 v[4:5], v[132:133], v[70:71]
	v_add_f64 v[158:159], v[154:155], v[156:157]
	ds_read_b128 v[154:157], v1 offset:1904
	s_waitcnt vmcnt(26) lgkmcnt(1)
	v_mul_f64 v[160:161], v[150:151], v[98:99]
	v_fma_f64 v[4:5], v[130:131], v[72:73], -v[4:5]
	s_waitcnt vmcnt(24)
	v_fmac_f64_e32 v[160:161], v[152:153], v[100:101]
	v_add_f64 v[2:3], v[2:3], v[4:5]
	v_mul_f64 v[4:5], v[136:137], v[82:83]
	v_add_f64 v[162:163], v[158:159], v[160:161]
	ds_read_b128 v[158:161], v1 offset:1920
	v_fma_f64 v[4:5], v[134:135], v[84:85], -v[4:5]
	v_add_f64 v[2:3], v[2:3], v[4:5]
	v_mul_f64 v[4:5], v[140:141], v[78:79]
	v_fma_f64 v[4:5], v[138:139], v[80:81], -v[4:5]
	s_waitcnt lgkmcnt(1)
	v_mul_f64 v[164:165], v[154:155], v[94:95]
	v_add_f64 v[2:3], v[2:3], v[4:5]
	v_mul_f64 v[4:5], v[144:145], v[90:91]
	v_fmac_f64_e32 v[164:165], v[156:157], v[96:97]
	v_fma_f64 v[4:5], v[142:143], v[92:93], -v[4:5]
	v_add_f64 v[166:167], v[162:163], v[164:165]
	ds_read_b128 v[162:165], v1 offset:1936
	s_waitcnt vmcnt(18) lgkmcnt(1)
	v_mul_f64 v[168:169], v[158:159], v[186:187]
	v_add_f64 v[2:3], v[2:3], v[4:5]
	v_mul_f64 v[4:5], v[148:149], v[86:87]
	s_waitcnt vmcnt(16)
	v_fmac_f64_e32 v[168:169], v[160:161], v[188:189]
	v_fma_f64 v[4:5], v[146:147], v[88:89], -v[4:5]
	v_add_f64 v[170:171], v[166:167], v[168:169]
	ds_read_b128 v[166:169], v1 offset:1952
	v_add_f64 v[2:3], v[2:3], v[4:5]
	v_mul_f64 v[4:5], v[152:153], v[98:99]
	v_fma_f64 v[4:5], v[150:151], v[100:101], -v[4:5]
	v_add_f64 v[2:3], v[2:3], v[4:5]
	v_mul_f64 v[4:5], v[156:157], v[94:95]
	s_waitcnt lgkmcnt(1)
	v_mul_f64 v[172:173], v[162:163], v[182:183]
	v_fma_f64 v[4:5], v[154:155], v[96:97], -v[4:5]
	v_fmac_f64_e32 v[172:173], v[164:165], v[184:185]
	v_add_f64 v[2:3], v[2:3], v[4:5]
	v_mul_f64 v[4:5], v[160:161], v[186:187]
	v_add_f64 v[174:175], v[170:171], v[172:173]
	ds_read_b128 v[170:173], v1 offset:1968
	s_waitcnt vmcnt(10) lgkmcnt(1)
	v_mul_f64 v[176:177], v[166:167], v[194:195]
	v_fma_f64 v[4:5], v[158:159], v[188:189], -v[4:5]
	s_waitcnt vmcnt(8)
	v_fmac_f64_e32 v[176:177], v[168:169], v[196:197]
	v_add_f64 v[2:3], v[2:3], v[4:5]
	v_mul_f64 v[4:5], v[164:165], v[182:183]
	v_add_f64 v[206:207], v[174:175], v[176:177]
	ds_read_b128 v[174:177], v1 offset:1984
	ds_read_b128 v[178:181], v1 offset:2000
	v_fma_f64 v[4:5], v[162:163], v[184:185], -v[4:5]
	v_add_f64 v[2:3], v[2:3], v[4:5]
	v_mul_f64 v[4:5], v[168:169], v[194:195]
	v_fma_f64 v[4:5], v[166:167], v[196:197], -v[4:5]
	v_add_f64 v[2:3], v[2:3], v[4:5]
	s_waitcnt lgkmcnt(2)
	v_mul_f64 v[4:5], v[172:173], v[190:191]
	v_mul_f64 v[208:209], v[170:171], v[190:191]
	v_fma_f64 v[4:5], v[170:171], v[192:193], -v[4:5]
	v_fmac_f64_e32 v[208:209], v[172:173], v[192:193]
	v_add_f64 v[2:3], v[2:3], v[4:5]
	s_waitcnt vmcnt(2) lgkmcnt(1)
	v_mul_f64 v[4:5], v[176:177], v[202:203]
	v_add_f64 v[206:207], v[206:207], v[208:209]
	v_mul_f64 v[208:209], v[174:175], v[202:203]
	s_waitcnt vmcnt(0)
	v_fma_f64 v[4:5], v[174:175], v[204:205], -v[4:5]
	v_fmac_f64_e32 v[208:209], v[176:177], v[204:205]
	v_add_f64 v[2:3], v[2:3], v[4:5]
	s_waitcnt lgkmcnt(0)
	v_mul_f64 v[4:5], v[180:181], v[198:199]
	v_add_f64 v[206:207], v[206:207], v[208:209]
	v_mul_f64 v[208:209], v[178:179], v[198:199]
	v_fma_f64 v[4:5], v[178:179], v[200:201], -v[4:5]
	v_fmac_f64_e32 v[208:209], v[180:181], v[200:201]
	v_add_f64 v[2:3], v[2:3], v[4:5]
	v_add_f64 v[206:207], v[206:207], v[208:209]
	v_add_f64 v[2:3], v[34:35], -v[2:3]
	v_add_f64 v[4:5], v[32:33], -v[206:207]
	buffer_store_dword v3, off, s[0:3], 0 offset:612
	buffer_store_dword v2, off, s[0:3], 0 offset:608
	buffer_store_dword v5, off, s[0:3], 0 offset:620
	buffer_store_dword v4, off, s[0:3], 0 offset:616
	s_and_saveexec_b64 s[4:5], vcc
	s_cbranch_execz .LBB126_331
; %bb.330:
	v_accvgpr_read_b32 v0, a152
	buffer_load_dword v2, v0, s[0:3], 0 offen
	buffer_load_dword v3, v0, s[0:3], 0 offen offset:4
	buffer_load_dword v4, v0, s[0:3], 0 offen offset:8
	;; [unrolled: 1-line block ×3, first 2 shown]
	v_accvgpr_read_b32 v0, a189
	buffer_store_dword v1, off, s[0:3], 0 offset:592
	buffer_store_dword v1, off, s[0:3], 0 offset:596
	;; [unrolled: 1-line block ×4, first 2 shown]
	s_waitcnt vmcnt(4)
	ds_write_b128 v0, v[2:5]
.LBB126_331:
	s_or_b64 exec, exec, s[4:5]
	s_waitcnt lgkmcnt(0)
	; wave barrier
	s_waitcnt lgkmcnt(0)
	buffer_load_dword v26, off, s[0:3], 0 offset:608
	buffer_load_dword v27, off, s[0:3], 0 offset:612
	;; [unrolled: 1-line block ×24, first 2 shown]
	ds_read_b128 v[22:25], v1 offset:1600
	ds_read_b128 v[18:21], v1 offset:1616
	;; [unrolled: 1-line block ×6, first 2 shown]
	buffer_load_dword v51, off, s[0:3], 0 offset:716
	buffer_load_dword v50, off, s[0:3], 0 offset:712
	;; [unrolled: 1-line block ×40, first 2 shown]
	v_cmp_lt_u32_e32 vcc, 35, v254
	s_waitcnt vmcnt(34) lgkmcnt(0)
	v_mul_f64 v[120:121], v[14:15], v[54:55]
	s_waitcnt vmcnt(32)
	v_fmac_f64_e32 v[120:121], v[16:17], v[56:57]
	v_mul_f64 v[90:91], v[22:23], v[28:29]
	v_fmac_f64_e32 v[90:91], v[24:25], v[26:27]
	v_mul_f64 v[92:93], v[18:19], v[30:31]
	v_add_f64 v[90:91], v[90:91], 0
	v_mul_f64 v[94:95], v[10:11], v[32:33]
	v_mul_f64 v[24:25], v[24:25], v[28:29]
	;; [unrolled: 1-line block ×3, first 2 shown]
	v_fma_f64 v[22:23], v[22:23], v[26:27], -v[24:25]
	v_add_f64 v[22:23], v[22:23], 0
	v_mul_f64 v[96:97], v[6:7], v[42:43]
	v_fmac_f64_e32 v[92:93], v[20:21], v[48:49]
	v_add_f64 v[90:91], v[90:91], v[92:93]
	v_fmac_f64_e32 v[94:95], v[12:13], v[46:47]
	v_add_f64 v[90:91], v[90:91], v[94:95]
	;; [unrolled: 2-line block ×3, first 2 shown]
	buffer_load_dword v91, off, s[0:3], 0 offset:876
	buffer_load_dword v90, off, s[0:3], 0 offset:872
	buffer_load_dword v93, off, s[0:3], 0 offset:868
	buffer_load_dword v92, off, s[0:3], 0 offset:864
	buffer_load_dword v95, off, s[0:3], 0 offset:860
	buffer_load_dword v94, off, s[0:3], 0 offset:856
	buffer_load_dword v97, off, s[0:3], 0 offset:852
	buffer_load_dword v96, off, s[0:3], 0 offset:848
	buffer_load_dword v99, off, s[0:3], 0 offset:908
	buffer_load_dword v98, off, s[0:3], 0 offset:904
	buffer_load_dword v101, off, s[0:3], 0 offset:900
	buffer_load_dword v100, off, s[0:3], 0 offset:896
	buffer_load_dword v103, off, s[0:3], 0 offset:892
	buffer_load_dword v102, off, s[0:3], 0 offset:888
	buffer_load_dword v105, off, s[0:3], 0 offset:884
	buffer_load_dword v104, off, s[0:3], 0 offset:880
	buffer_load_dword v107, off, s[0:3], 0 offset:940
	buffer_load_dword v106, off, s[0:3], 0 offset:936
	buffer_load_dword v109, off, s[0:3], 0 offset:932
	buffer_load_dword v108, off, s[0:3], 0 offset:928
	buffer_load_dword v111, off, s[0:3], 0 offset:924
	buffer_load_dword v110, off, s[0:3], 0 offset:920
	buffer_load_dword v113, off, s[0:3], 0 offset:916
	buffer_load_dword v112, off, s[0:3], 0 offset:912
	buffer_load_dword v195, off, s[0:3], 0 offset:972
	buffer_load_dword v194, off, s[0:3], 0 offset:968
	buffer_load_dword v197, off, s[0:3], 0 offset:964
	buffer_load_dword v196, off, s[0:3], 0 offset:960
	buffer_load_dword v199, off, s[0:3], 0 offset:956
	buffer_load_dword v198, off, s[0:3], 0 offset:952
	buffer_load_dword v201, off, s[0:3], 0 offset:948
	buffer_load_dword v200, off, s[0:3], 0 offset:944
	buffer_load_dword v203, off, s[0:3], 0 offset:1004
	buffer_load_dword v202, off, s[0:3], 0 offset:1000
	buffer_load_dword v205, off, s[0:3], 0 offset:996
	buffer_load_dword v204, off, s[0:3], 0 offset:992
	buffer_load_dword v207, off, s[0:3], 0 offset:988
	buffer_load_dword v206, off, s[0:3], 0 offset:984
	buffer_load_dword v209, off, s[0:3], 0 offset:980
	buffer_load_dword v208, off, s[0:3], 0 offset:976
	v_fmac_f64_e32 v[114:115], v[4:5], v[40:41]
	v_add_f64 v[118:119], v[116:117], v[114:115]
	ds_read_b128 v[114:117], v1 offset:1696
	buffer_load_dword v211, off, s[0:3], 0 offset:1020
	buffer_load_dword v210, off, s[0:3], 0 offset:1016
	buffer_load_dword v213, off, s[0:3], 0 offset:1012
	buffer_load_dword v212, off, s[0:3], 0 offset:1008
	v_add_f64 v[122:123], v[118:119], v[120:121]
	ds_read_b128 v[118:121], v1 offset:1712
	v_mul_f64 v[20:21], v[20:21], v[30:31]
	s_waitcnt lgkmcnt(1)
	v_mul_f64 v[124:125], v[114:115], v[50:51]
	v_fmac_f64_e32 v[124:125], v[116:117], v[52:53]
	v_add_f64 v[126:127], v[122:123], v[124:125]
	ds_read_b128 v[122:125], v1 offset:1728
	s_waitcnt vmcnt(62) lgkmcnt(1)
	v_mul_f64 v[128:129], v[118:119], v[62:63]
	v_fmac_f64_e32 v[128:129], v[120:121], v[64:65]
	v_add_f64 v[130:131], v[126:127], v[128:129]
	ds_read_b128 v[126:129], v1 offset:1744
	s_waitcnt lgkmcnt(1)
	v_mul_f64 v[132:133], v[122:123], v[58:59]
	v_fmac_f64_e32 v[132:133], v[124:125], v[60:61]
	v_add_f64 v[134:135], v[130:131], v[132:133]
	ds_read_b128 v[130:133], v1 offset:1760
	s_waitcnt lgkmcnt(1)
	v_mul_f64 v[136:137], v[126:127], v[70:71]
	s_waitcnt vmcnt(60)
	v_fmac_f64_e32 v[136:137], v[128:129], v[72:73]
	v_add_f64 v[138:139], v[134:135], v[136:137]
	ds_read_b128 v[134:137], v1 offset:1776
	s_waitcnt lgkmcnt(1)
	v_mul_f64 v[140:141], v[130:131], v[66:67]
	v_fmac_f64_e32 v[140:141], v[132:133], v[68:69]
	v_add_f64 v[142:143], v[138:139], v[140:141]
	ds_read_b128 v[138:141], v1 offset:1792
	s_waitcnt vmcnt(54) lgkmcnt(1)
	v_mul_f64 v[144:145], v[134:135], v[78:79]
	s_waitcnt vmcnt(52)
	v_fmac_f64_e32 v[144:145], v[136:137], v[80:81]
	v_add_f64 v[146:147], v[142:143], v[144:145]
	ds_read_b128 v[142:145], v1 offset:1808
	s_waitcnt lgkmcnt(1)
	v_mul_f64 v[148:149], v[138:139], v[74:75]
	v_fmac_f64_e32 v[148:149], v[140:141], v[76:77]
	v_fma_f64 v[18:19], v[18:19], v[48:49], -v[20:21]
	v_mul_f64 v[12:13], v[12:13], v[32:33]
	v_add_f64 v[150:151], v[146:147], v[148:149]
	ds_read_b128 v[146:149], v1 offset:1824
	v_add_f64 v[18:19], v[22:23], v[18:19]
	v_fma_f64 v[10:11], v[10:11], v[46:47], -v[12:13]
	v_mul_f64 v[8:9], v[8:9], v[42:43]
	v_add_f64 v[10:11], v[18:19], v[10:11]
	v_fma_f64 v[6:7], v[6:7], v[44:45], -v[8:9]
	v_mul_f64 v[4:5], v[4:5], v[38:39]
	;; [unrolled: 3-line block ×3, first 2 shown]
	s_waitcnt vmcnt(46) lgkmcnt(1)
	v_mul_f64 v[152:153], v[142:143], v[86:87]
	v_add_f64 v[2:3], v[6:7], v[2:3]
	v_fma_f64 v[4:5], v[14:15], v[56:57], -v[4:5]
	s_waitcnt vmcnt(44)
	v_fmac_f64_e32 v[152:153], v[144:145], v[88:89]
	v_add_f64 v[2:3], v[2:3], v[4:5]
	v_mul_f64 v[4:5], v[116:117], v[50:51]
	v_add_f64 v[154:155], v[150:151], v[152:153]
	ds_read_b128 v[150:153], v1 offset:1840
	s_waitcnt lgkmcnt(1)
	v_mul_f64 v[156:157], v[146:147], v[82:83]
	v_fma_f64 v[4:5], v[114:115], v[52:53], -v[4:5]
	v_fmac_f64_e32 v[156:157], v[148:149], v[84:85]
	v_add_f64 v[2:3], v[2:3], v[4:5]
	v_mul_f64 v[4:5], v[120:121], v[62:63]
	v_add_f64 v[158:159], v[154:155], v[156:157]
	ds_read_b128 v[154:157], v1 offset:1856
	v_fma_f64 v[4:5], v[118:119], v[64:65], -v[4:5]
	v_add_f64 v[2:3], v[2:3], v[4:5]
	v_mul_f64 v[4:5], v[124:125], v[58:59]
	v_fma_f64 v[4:5], v[122:123], v[60:61], -v[4:5]
	s_waitcnt vmcnt(38) lgkmcnt(1)
	v_mul_f64 v[160:161], v[150:151], v[94:95]
	v_add_f64 v[2:3], v[2:3], v[4:5]
	v_mul_f64 v[4:5], v[128:129], v[70:71]
	s_waitcnt vmcnt(36)
	v_fmac_f64_e32 v[160:161], v[152:153], v[96:97]
	v_fma_f64 v[4:5], v[126:127], v[72:73], -v[4:5]
	v_add_f64 v[162:163], v[158:159], v[160:161]
	ds_read_b128 v[158:161], v1 offset:1872
	s_waitcnt lgkmcnt(1)
	v_mul_f64 v[164:165], v[154:155], v[90:91]
	v_add_f64 v[2:3], v[2:3], v[4:5]
	v_mul_f64 v[4:5], v[132:133], v[66:67]
	v_fmac_f64_e32 v[164:165], v[156:157], v[92:93]
	v_fma_f64 v[4:5], v[130:131], v[68:69], -v[4:5]
	v_add_f64 v[166:167], v[162:163], v[164:165]
	ds_read_b128 v[162:165], v1 offset:1888
	v_add_f64 v[2:3], v[2:3], v[4:5]
	v_mul_f64 v[4:5], v[136:137], v[78:79]
	v_fma_f64 v[4:5], v[134:135], v[80:81], -v[4:5]
	v_add_f64 v[2:3], v[2:3], v[4:5]
	v_mul_f64 v[4:5], v[140:141], v[74:75]
	s_waitcnt vmcnt(30) lgkmcnt(1)
	v_mul_f64 v[168:169], v[158:159], v[102:103]
	v_fma_f64 v[4:5], v[138:139], v[76:77], -v[4:5]
	s_waitcnt vmcnt(28)
	v_fmac_f64_e32 v[168:169], v[160:161], v[104:105]
	v_add_f64 v[2:3], v[2:3], v[4:5]
	v_mul_f64 v[4:5], v[144:145], v[86:87]
	v_add_f64 v[170:171], v[166:167], v[168:169]
	ds_read_b128 v[166:169], v1 offset:1904
	s_waitcnt lgkmcnt(1)
	v_mul_f64 v[172:173], v[162:163], v[98:99]
	v_fma_f64 v[4:5], v[142:143], v[88:89], -v[4:5]
	v_fmac_f64_e32 v[172:173], v[164:165], v[100:101]
	v_add_f64 v[2:3], v[2:3], v[4:5]
	v_mul_f64 v[4:5], v[148:149], v[82:83]
	v_add_f64 v[174:175], v[170:171], v[172:173]
	ds_read_b128 v[170:173], v1 offset:1920
	v_fma_f64 v[4:5], v[146:147], v[84:85], -v[4:5]
	v_add_f64 v[2:3], v[2:3], v[4:5]
	v_mul_f64 v[4:5], v[152:153], v[94:95]
	v_fma_f64 v[4:5], v[150:151], v[96:97], -v[4:5]
	s_waitcnt vmcnt(22) lgkmcnt(1)
	v_mul_f64 v[176:177], v[166:167], v[110:111]
	v_add_f64 v[2:3], v[2:3], v[4:5]
	v_mul_f64 v[4:5], v[156:157], v[90:91]
	s_waitcnt vmcnt(20)
	v_fmac_f64_e32 v[176:177], v[168:169], v[112:113]
	v_fma_f64 v[4:5], v[154:155], v[92:93], -v[4:5]
	v_add_f64 v[178:179], v[174:175], v[176:177]
	ds_read_b128 v[174:177], v1 offset:1936
	s_waitcnt lgkmcnt(1)
	v_mul_f64 v[180:181], v[170:171], v[106:107]
	v_add_f64 v[2:3], v[2:3], v[4:5]
	v_mul_f64 v[4:5], v[160:161], v[102:103]
	v_fmac_f64_e32 v[180:181], v[172:173], v[108:109]
	v_fma_f64 v[4:5], v[158:159], v[104:105], -v[4:5]
	v_add_f64 v[182:183], v[178:179], v[180:181]
	ds_read_b128 v[178:181], v1 offset:1952
	v_add_f64 v[2:3], v[2:3], v[4:5]
	v_mul_f64 v[4:5], v[164:165], v[98:99]
	v_fma_f64 v[4:5], v[162:163], v[100:101], -v[4:5]
	v_add_f64 v[2:3], v[2:3], v[4:5]
	v_mul_f64 v[4:5], v[168:169], v[110:111]
	s_waitcnt vmcnt(14) lgkmcnt(1)
	v_mul_f64 v[184:185], v[174:175], v[198:199]
	v_fma_f64 v[4:5], v[166:167], v[112:113], -v[4:5]
	s_waitcnt vmcnt(12)
	v_fmac_f64_e32 v[184:185], v[176:177], v[200:201]
	v_add_f64 v[2:3], v[2:3], v[4:5]
	v_mul_f64 v[4:5], v[172:173], v[106:107]
	v_add_f64 v[186:187], v[182:183], v[184:185]
	ds_read_b128 v[182:185], v1 offset:1968
	s_waitcnt lgkmcnt(1)
	v_mul_f64 v[188:189], v[178:179], v[194:195]
	v_fma_f64 v[4:5], v[170:171], v[108:109], -v[4:5]
	v_fmac_f64_e32 v[188:189], v[180:181], v[196:197]
	v_add_f64 v[2:3], v[2:3], v[4:5]
	v_mul_f64 v[4:5], v[176:177], v[198:199]
	v_add_f64 v[214:215], v[186:187], v[188:189]
	ds_read_b128 v[186:189], v1 offset:1984
	v_fma_f64 v[4:5], v[174:175], v[200:201], -v[4:5]
	v_add_f64 v[2:3], v[2:3], v[4:5]
	v_mul_f64 v[4:5], v[180:181], v[194:195]
	ds_read_b128 v[190:193], v1 offset:2000
	v_fma_f64 v[4:5], v[178:179], v[196:197], -v[4:5]
	v_add_f64 v[2:3], v[2:3], v[4:5]
	s_waitcnt vmcnt(6) lgkmcnt(2)
	v_mul_f64 v[4:5], v[184:185], v[206:207]
	v_mul_f64 v[216:217], v[182:183], v[206:207]
	s_waitcnt vmcnt(4)
	v_fma_f64 v[4:5], v[182:183], v[208:209], -v[4:5]
	v_fmac_f64_e32 v[216:217], v[184:185], v[208:209]
	v_add_f64 v[2:3], v[2:3], v[4:5]
	s_waitcnt lgkmcnt(1)
	v_mul_f64 v[4:5], v[188:189], v[202:203]
	v_add_f64 v[0:1], v[214:215], v[216:217]
	v_mul_f64 v[214:215], v[186:187], v[202:203]
	v_fma_f64 v[4:5], v[186:187], v[204:205], -v[4:5]
	v_fmac_f64_e32 v[214:215], v[188:189], v[204:205]
	v_add_f64 v[2:3], v[2:3], v[4:5]
	s_waitcnt vmcnt(2) lgkmcnt(0)
	v_mul_f64 v[4:5], v[192:193], v[210:211]
	v_add_f64 v[0:1], v[0:1], v[214:215]
	v_mul_f64 v[214:215], v[190:191], v[210:211]
	s_waitcnt vmcnt(0)
	v_fma_f64 v[4:5], v[190:191], v[212:213], -v[4:5]
	v_fmac_f64_e32 v[214:215], v[192:193], v[212:213]
	v_add_f64 v[2:3], v[2:3], v[4:5]
	v_add_f64 v[0:1], v[0:1], v[214:215]
	v_add_f64 v[2:3], v[36:37], -v[2:3]
	v_add_f64 v[0:1], v[34:35], -v[0:1]
	buffer_store_dword v3, off, s[0:3], 0 offset:596
	buffer_store_dword v2, off, s[0:3], 0 offset:592
	;; [unrolled: 1-line block ×4, first 2 shown]
	s_and_saveexec_b64 s[4:5], vcc
	s_cbranch_execz .LBB126_333
; %bb.332:
	v_accvgpr_read_b32 v0, a153
	buffer_load_dword v2, v0, s[0:3], 0 offen
	buffer_load_dword v3, v0, s[0:3], 0 offen offset:4
	buffer_load_dword v4, v0, s[0:3], 0 offen offset:8
	;; [unrolled: 1-line block ×3, first 2 shown]
	v_mov_b32_e32 v0, 0
	v_accvgpr_read_b32 v1, a189
	buffer_store_dword v0, off, s[0:3], 0 offset:576
	buffer_store_dword v0, off, s[0:3], 0 offset:580
	;; [unrolled: 1-line block ×4, first 2 shown]
	s_waitcnt vmcnt(4)
	ds_write_b128 v1, v[2:5]
.LBB126_333:
	s_or_b64 exec, exec, s[4:5]
	s_waitcnt lgkmcnt(0)
	; wave barrier
	s_waitcnt lgkmcnt(0)
	buffer_load_dword v30, off, s[0:3], 0 offset:592
	buffer_load_dword v31, off, s[0:3], 0 offset:596
	;; [unrolled: 1-line block ×56, first 2 shown]
	v_mov_b32_e32 v1, 0
	ds_read_b128 v[26:29], v1 offset:1584
	ds_read_b128 v[22:25], v1 offset:1600
	;; [unrolled: 1-line block ×7, first 2 shown]
	v_cmp_lt_u32_e32 vcc, 34, v254
	s_waitcnt vmcnt(52) lgkmcnt(6)
	v_mul_f64 v[86:87], v[26:27], v[34:35]
	v_fmac_f64_e32 v[86:87], v[28:29], v[30:31]
	v_add_f64 v[86:87], v[86:87], 0
	v_mul_f64 v[28:29], v[28:29], v[34:35]
	s_waitcnt vmcnt(48) lgkmcnt(5)
	v_mul_f64 v[88:89], v[22:23], v[36:37]
	v_fmac_f64_e32 v[88:89], v[24:25], v[32:33]
	s_waitcnt vmcnt(46) lgkmcnt(4)
	v_mul_f64 v[90:91], v[18:19], v[38:39]
	v_add_f64 v[86:87], v[86:87], v[88:89]
	s_waitcnt vmcnt(44) lgkmcnt(2)
	v_mul_f64 v[94:95], v[10:11], v[40:41]
	v_fma_f64 v[26:27], v[26:27], v[30:31], -v[28:29]
	s_waitcnt vmcnt(42)
	v_fmac_f64_e32 v[94:95], v[12:13], v[42:43]
	v_mul_f64 v[24:25], v[24:25], v[36:37]
	s_waitcnt vmcnt(40)
	v_mul_f64 v[92:93], v[14:15], v[48:49]
	v_add_f64 v[26:27], v[26:27], 0
	v_fma_f64 v[22:23], v[22:23], v[32:33], -v[24:25]
	v_add_f64 v[22:23], v[26:27], v[22:23]
	s_waitcnt vmcnt(36) lgkmcnt(1)
	v_mul_f64 v[110:111], v[6:7], v[54:55]
	v_mul_f64 v[12:13], v[12:13], v[40:41]
	s_waitcnt vmcnt(34)
	v_fmac_f64_e32 v[90:91], v[20:21], v[60:61]
	v_add_f64 v[86:87], v[86:87], v[90:91]
	s_waitcnt vmcnt(32)
	v_fmac_f64_e32 v[92:93], v[16:17], v[58:59]
	v_add_f64 v[86:87], v[86:87], v[92:93]
	v_add_f64 v[116:117], v[86:87], v[94:95]
	buffer_load_dword v87, off, s[0:3], 0 offset:828
	buffer_load_dword v86, off, s[0:3], 0 offset:824
	buffer_load_dword v89, off, s[0:3], 0 offset:820
	buffer_load_dword v88, off, s[0:3], 0 offset:816
	buffer_load_dword v91, off, s[0:3], 0 offset:812
	buffer_load_dword v90, off, s[0:3], 0 offset:808
	buffer_load_dword v93, off, s[0:3], 0 offset:804
	buffer_load_dword v92, off, s[0:3], 0 offset:800
	buffer_load_dword v95, off, s[0:3], 0 offset:860
	buffer_load_dword v94, off, s[0:3], 0 offset:856
	buffer_load_dword v97, off, s[0:3], 0 offset:852
	buffer_load_dword v96, off, s[0:3], 0 offset:848
	buffer_load_dword v99, off, s[0:3], 0 offset:844
	buffer_load_dword v98, off, s[0:3], 0 offset:840
	buffer_load_dword v101, off, s[0:3], 0 offset:836
	buffer_load_dword v100, off, s[0:3], 0 offset:832
	buffer_load_dword v103, off, s[0:3], 0 offset:892
	buffer_load_dword v102, off, s[0:3], 0 offset:888
	buffer_load_dword v105, off, s[0:3], 0 offset:884
	buffer_load_dword v104, off, s[0:3], 0 offset:880
	buffer_load_dword v107, off, s[0:3], 0 offset:876
	buffer_load_dword v106, off, s[0:3], 0 offset:872
	buffer_load_dword v109, off, s[0:3], 0 offset:868
	buffer_load_dword v108, off, s[0:3], 0 offset:864
	buffer_load_dword v113, off, s[0:3], 0 offset:924
	buffer_load_dword v112, off, s[0:3], 0 offset:920
	buffer_load_dword v115, off, s[0:3], 0 offset:916
	buffer_load_dword v114, off, s[0:3], 0 offset:912
	buffer_load_dword v121, off, s[0:3], 0 offset:908
	buffer_load_dword v120, off, s[0:3], 0 offset:904
	buffer_load_dword v123, off, s[0:3], 0 offset:900
	buffer_load_dword v122, off, s[0:3], 0 offset:896
	buffer_load_dword v119, off, s[0:3], 0 offset:956
	buffer_load_dword v118, off, s[0:3], 0 offset:952
	buffer_load_dword v205, off, s[0:3], 0 offset:948
	buffer_load_dword v204, off, s[0:3], 0 offset:944
	buffer_load_dword v207, off, s[0:3], 0 offset:940
	buffer_load_dword v206, off, s[0:3], 0 offset:936
	buffer_load_dword v209, off, s[0:3], 0 offset:932
	buffer_load_dword v208, off, s[0:3], 0 offset:928
	buffer_load_dword v211, off, s[0:3], 0 offset:988
	buffer_load_dword v210, off, s[0:3], 0 offset:984
	buffer_load_dword v213, off, s[0:3], 0 offset:980
	buffer_load_dword v212, off, s[0:3], 0 offset:976
	buffer_load_dword v215, off, s[0:3], 0 offset:972
	buffer_load_dword v214, off, s[0:3], 0 offset:968
	buffer_load_dword v217, off, s[0:3], 0 offset:964
	buffer_load_dword v216, off, s[0:3], 0 offset:960
	buffer_load_dword v219, off, s[0:3], 0 offset:1020
	buffer_load_dword v218, off, s[0:3], 0 offset:1016
	buffer_load_dword v221, off, s[0:3], 0 offset:1012
	buffer_load_dword v220, off, s[0:3], 0 offset:1008
	buffer_load_dword v223, off, s[0:3], 0 offset:1004
	buffer_load_dword v222, off, s[0:3], 0 offset:1000
	buffer_load_dword v225, off, s[0:3], 0 offset:996
	buffer_load_dword v224, off, s[0:3], 0 offset:992
	ds_read_b128 v[124:127], v1 offset:1696
	ds_read_b128 v[128:131], v1 offset:1712
	v_mul_f64 v[20:21], v[20:21], v[38:39]
	v_fma_f64 v[18:19], v[18:19], v[60:61], -v[20:21]
	v_mul_f64 v[16:17], v[16:17], v[48:49]
	s_waitcnt vmcnt(62)
	v_fmac_f64_e32 v[110:111], v[8:9], v[56:57]
	v_add_f64 v[18:19], v[22:23], v[18:19]
	v_fma_f64 v[14:15], v[14:15], v[58:59], -v[16:17]
	v_add_f64 v[110:111], v[116:117], v[110:111]
	s_waitcnt lgkmcnt(2)
	v_mul_f64 v[116:117], v[2:3], v[50:51]
	v_add_f64 v[14:15], v[18:19], v[14:15]
	v_fma_f64 v[10:11], v[10:11], v[42:43], -v[12:13]
	v_mul_f64 v[8:9], v[8:9], v[54:55]
	v_fmac_f64_e32 v[116:117], v[4:5], v[52:53]
	ds_read_b128 v[132:135], v1 offset:1728
	ds_read_b128 v[136:139], v1 offset:1744
	v_add_f64 v[10:11], v[14:15], v[10:11]
	v_fma_f64 v[6:7], v[6:7], v[56:57], -v[8:9]
	v_mul_f64 v[4:5], v[4:5], v[50:51]
	v_add_f64 v[6:7], v[10:11], v[6:7]
	v_fma_f64 v[2:3], v[2:3], v[52:53], -v[4:5]
	s_waitcnt lgkmcnt(3)
	v_mul_f64 v[4:5], v[126:127], v[66:67]
	v_add_f64 v[110:111], v[110:111], v[116:117]
	v_mul_f64 v[116:117], v[124:125], v[66:67]
	v_add_f64 v[2:3], v[6:7], v[2:3]
	v_fma_f64 v[4:5], v[124:125], v[68:69], -v[4:5]
	v_fmac_f64_e32 v[116:117], v[126:127], v[68:69]
	v_add_f64 v[2:3], v[2:3], v[4:5]
	s_waitcnt lgkmcnt(2)
	v_mul_f64 v[4:5], v[130:131], v[62:63]
	v_add_f64 v[110:111], v[110:111], v[116:117]
	v_mul_f64 v[116:117], v[128:129], v[62:63]
	ds_read_b128 v[140:143], v1 offset:1760
	ds_read_b128 v[144:147], v1 offset:1776
	v_fma_f64 v[4:5], v[128:129], v[64:65], -v[4:5]
	v_fmac_f64_e32 v[116:117], v[130:131], v[64:65]
	v_add_f64 v[2:3], v[2:3], v[4:5]
	s_waitcnt lgkmcnt(3)
	v_mul_f64 v[4:5], v[134:135], v[74:75]
	v_add_f64 v[110:111], v[110:111], v[116:117]
	v_mul_f64 v[116:117], v[132:133], v[74:75]
	v_fma_f64 v[4:5], v[132:133], v[76:77], -v[4:5]
	v_fmac_f64_e32 v[116:117], v[134:135], v[76:77]
	v_add_f64 v[2:3], v[2:3], v[4:5]
	s_waitcnt lgkmcnt(2)
	v_mul_f64 v[4:5], v[138:139], v[70:71]
	v_add_f64 v[110:111], v[110:111], v[116:117]
	v_mul_f64 v[116:117], v[136:137], v[70:71]
	ds_read_b128 v[148:151], v1 offset:1792
	ds_read_b128 v[152:155], v1 offset:1808
	v_fma_f64 v[4:5], v[136:137], v[72:73], -v[4:5]
	v_fmac_f64_e32 v[116:117], v[138:139], v[72:73]
	v_add_f64 v[2:3], v[2:3], v[4:5]
	s_waitcnt vmcnt(58) lgkmcnt(3)
	v_mul_f64 v[4:5], v[142:143], v[82:83]
	v_add_f64 v[110:111], v[110:111], v[116:117]
	v_mul_f64 v[116:117], v[140:141], v[82:83]
	s_waitcnt vmcnt(56)
	v_fma_f64 v[4:5], v[140:141], v[84:85], -v[4:5]
	v_fmac_f64_e32 v[116:117], v[142:143], v[84:85]
	v_add_f64 v[2:3], v[2:3], v[4:5]
	s_waitcnt lgkmcnt(2)
	v_mul_f64 v[4:5], v[146:147], v[78:79]
	v_add_f64 v[110:111], v[110:111], v[116:117]
	v_mul_f64 v[116:117], v[144:145], v[78:79]
	ds_read_b128 v[156:159], v1 offset:1824
	ds_read_b128 v[160:163], v1 offset:1840
	v_fma_f64 v[4:5], v[144:145], v[80:81], -v[4:5]
	v_fmac_f64_e32 v[116:117], v[146:147], v[80:81]
	v_add_f64 v[2:3], v[2:3], v[4:5]
	s_waitcnt vmcnt(50) lgkmcnt(3)
	v_mul_f64 v[4:5], v[150:151], v[90:91]
	v_add_f64 v[110:111], v[110:111], v[116:117]
	v_mul_f64 v[116:117], v[148:149], v[90:91]
	s_waitcnt vmcnt(48)
	;; [unrolled: 17-line block ×7, first 2 shown]
	v_fma_f64 v[4:5], v[188:189], v[216:217], -v[4:5]
	v_fmac_f64_e32 v[116:117], v[190:191], v[216:217]
	v_add_f64 v[2:3], v[2:3], v[4:5]
	s_waitcnt lgkmcnt(2)
	v_mul_f64 v[4:5], v[194:195], v[210:211]
	v_add_f64 v[110:111], v[110:111], v[116:117]
	v_mul_f64 v[116:117], v[192:193], v[210:211]
	v_fma_f64 v[4:5], v[192:193], v[212:213], -v[4:5]
	v_fmac_f64_e32 v[116:117], v[194:195], v[212:213]
	v_add_f64 v[2:3], v[2:3], v[4:5]
	s_waitcnt vmcnt(2) lgkmcnt(1)
	v_mul_f64 v[4:5], v[198:199], v[222:223]
	v_add_f64 v[110:111], v[110:111], v[116:117]
	v_mul_f64 v[116:117], v[196:197], v[222:223]
	s_waitcnt vmcnt(0)
	v_fma_f64 v[4:5], v[196:197], v[224:225], -v[4:5]
	v_fmac_f64_e32 v[116:117], v[198:199], v[224:225]
	v_add_f64 v[2:3], v[2:3], v[4:5]
	s_waitcnt lgkmcnt(0)
	v_mul_f64 v[4:5], v[202:203], v[218:219]
	v_add_f64 v[110:111], v[110:111], v[116:117]
	v_mul_f64 v[116:117], v[200:201], v[218:219]
	v_fma_f64 v[4:5], v[200:201], v[220:221], -v[4:5]
	v_fmac_f64_e32 v[116:117], v[202:203], v[220:221]
	v_add_f64 v[2:3], v[2:3], v[4:5]
	v_add_f64 v[110:111], v[110:111], v[116:117]
	v_add_f64 v[2:3], v[46:47], -v[2:3]
	v_add_f64 v[4:5], v[44:45], -v[110:111]
	buffer_store_dword v3, off, s[0:3], 0 offset:580
	buffer_store_dword v2, off, s[0:3], 0 offset:576
	;; [unrolled: 1-line block ×4, first 2 shown]
	s_and_saveexec_b64 s[4:5], vcc
	s_cbranch_execz .LBB126_335
; %bb.334:
	v_accvgpr_read_b32 v0, a154
	buffer_load_dword v2, v0, s[0:3], 0 offen
	buffer_load_dword v3, v0, s[0:3], 0 offen offset:4
	buffer_load_dword v4, v0, s[0:3], 0 offen offset:8
	;; [unrolled: 1-line block ×3, first 2 shown]
	v_accvgpr_read_b32 v0, a189
	buffer_store_dword v1, off, s[0:3], 0 offset:560
	buffer_store_dword v1, off, s[0:3], 0 offset:564
	;; [unrolled: 1-line block ×4, first 2 shown]
	s_waitcnt vmcnt(4)
	ds_write_b128 v0, v[2:5]
.LBB126_335:
	s_or_b64 exec, exec, s[4:5]
	s_waitcnt lgkmcnt(0)
	; wave barrier
	s_waitcnt lgkmcnt(0)
	buffer_load_dword v34, off, s[0:3], 0 offset:576
	buffer_load_dword v35, off, s[0:3], 0 offset:580
	;; [unrolled: 1-line block ×32, first 2 shown]
	ds_read_b128 v[30:33], v1 offset:1568
	ds_read_b128 v[26:29], v1 offset:1584
	;; [unrolled: 1-line block ×8, first 2 shown]
	buffer_load_dword v67, off, s[0:3], 0 offset:716
	buffer_load_dword v66, off, s[0:3], 0 offset:712
	;; [unrolled: 1-line block ×24, first 2 shown]
	v_cmp_lt_u32_e32 vcc, 33, v254
	s_waitcnt vmcnt(52) lgkmcnt(7)
	v_mul_f64 v[90:91], v[30:31], v[38:39]
	v_fmac_f64_e32 v[90:91], v[32:33], v[34:35]
	v_add_f64 v[90:91], v[90:91], 0
	v_mul_f64 v[32:33], v[32:33], v[38:39]
	s_waitcnt vmcnt(48) lgkmcnt(6)
	v_mul_f64 v[92:93], v[26:27], v[40:41]
	v_fmac_f64_e32 v[92:93], v[28:29], v[36:37]
	s_waitcnt vmcnt(46) lgkmcnt(5)
	v_mul_f64 v[94:95], v[22:23], v[42:43]
	v_add_f64 v[90:91], v[90:91], v[92:93]
	s_waitcnt vmcnt(44) lgkmcnt(4)
	v_mul_f64 v[96:97], v[18:19], v[48:49]
	v_fma_f64 v[30:31], v[30:31], v[34:35], -v[32:33]
	s_waitcnt vmcnt(42) lgkmcnt(1)
	v_mul_f64 v[124:125], v[2:3], v[50:51]
	v_mul_f64 v[28:29], v[28:29], v[40:41]
	s_waitcnt vmcnt(18) lgkmcnt(0)
	v_mul_f64 v[138:139], v[14:15], v[70:71]
	v_mul_f64 v[100:101], v[6:7], v[54:55]
	s_waitcnt vmcnt(16)
	v_fmac_f64_e32 v[138:139], v[16:17], v[72:73]
	v_mul_f64 v[98:99], v[10:11], v[56:57]
	v_add_f64 v[30:31], v[30:31], 0
	v_fmac_f64_e32 v[98:99], v[12:13], v[58:59]
	v_fma_f64 v[26:27], v[26:27], v[36:37], -v[28:29]
	v_fmac_f64_e32 v[94:95], v[24:25], v[64:65]
	v_add_f64 v[90:91], v[90:91], v[94:95]
	v_fmac_f64_e32 v[96:97], v[20:21], v[62:63]
	v_add_f64 v[90:91], v[90:91], v[96:97]
	;; [unrolled: 2-line block ×3, first 2 shown]
	v_add_f64 v[126:127], v[90:91], v[100:101]
	buffer_load_dword v91, off, s[0:3], 0 offset:812
	buffer_load_dword v90, off, s[0:3], 0 offset:808
	;; [unrolled: 1-line block ×56, first 2 shown]
	v_fmac_f64_e32 v[124:125], v[4:5], v[52:53]
	v_add_f64 v[136:137], v[126:127], v[124:125]
	ds_read_b128 v[124:127], v1 offset:1696
	buffer_load_dword v227, off, s[0:3], 0 offset:1020
	buffer_load_dword v226, off, s[0:3], 0 offset:1016
	;; [unrolled: 1-line block ×4, first 2 shown]
	v_add_f64 v[140:141], v[136:137], v[138:139]
	ds_read_b128 v[136:139], v1 offset:1712
	v_mul_f64 v[24:25], v[24:25], v[42:43]
	s_waitcnt lgkmcnt(1)
	v_mul_f64 v[142:143], v[124:125], v[66:67]
	v_fmac_f64_e32 v[142:143], v[126:127], v[68:69]
	v_add_f64 v[144:145], v[140:141], v[142:143]
	ds_read_b128 v[140:143], v1 offset:1728
	s_waitcnt vmcnt(62) lgkmcnt(1)
	v_mul_f64 v[146:147], v[136:137], v[78:79]
	v_fmac_f64_e32 v[146:147], v[138:139], v[80:81]
	v_add_f64 v[148:149], v[144:145], v[146:147]
	ds_read_b128 v[144:147], v1 offset:1744
	s_waitcnt lgkmcnt(1)
	v_mul_f64 v[150:151], v[140:141], v[74:75]
	v_fmac_f64_e32 v[150:151], v[142:143], v[76:77]
	v_add_f64 v[152:153], v[148:149], v[150:151]
	ds_read_b128 v[148:151], v1 offset:1760
	s_waitcnt lgkmcnt(1)
	v_mul_f64 v[154:155], v[144:145], v[86:87]
	s_waitcnt vmcnt(60)
	v_fmac_f64_e32 v[154:155], v[146:147], v[88:89]
	v_add_f64 v[156:157], v[152:153], v[154:155]
	ds_read_b128 v[152:155], v1 offset:1776
	s_waitcnt lgkmcnt(1)
	v_mul_f64 v[158:159], v[148:149], v[82:83]
	v_fmac_f64_e32 v[158:159], v[150:151], v[84:85]
	v_add_f64 v[160:161], v[156:157], v[158:159]
	ds_read_b128 v[156:159], v1 offset:1792
	v_add_f64 v[26:27], v[30:31], v[26:27]
	v_fma_f64 v[22:23], v[22:23], v[64:65], -v[24:25]
	s_waitcnt vmcnt(54) lgkmcnt(1)
	v_mul_f64 v[162:163], v[152:153], v[94:95]
	v_mul_f64 v[20:21], v[20:21], v[48:49]
	s_waitcnt vmcnt(52)
	v_fmac_f64_e32 v[162:163], v[154:155], v[96:97]
	v_add_f64 v[164:165], v[160:161], v[162:163]
	ds_read_b128 v[160:163], v1 offset:1808
	s_waitcnt lgkmcnt(1)
	v_mul_f64 v[166:167], v[156:157], v[90:91]
	v_fmac_f64_e32 v[166:167], v[158:159], v[92:93]
	v_add_f64 v[22:23], v[26:27], v[22:23]
	v_fma_f64 v[18:19], v[18:19], v[62:63], -v[20:21]
	v_mul_f64 v[12:13], v[12:13], v[56:57]
	v_add_f64 v[168:169], v[164:165], v[166:167]
	ds_read_b128 v[164:167], v1 offset:1824
	v_add_f64 v[18:19], v[22:23], v[18:19]
	v_fma_f64 v[10:11], v[10:11], v[58:59], -v[12:13]
	v_mul_f64 v[8:9], v[8:9], v[54:55]
	v_add_f64 v[10:11], v[18:19], v[10:11]
	v_fma_f64 v[6:7], v[6:7], v[60:61], -v[8:9]
	v_mul_f64 v[4:5], v[4:5], v[50:51]
	;; [unrolled: 3-line block ×3, first 2 shown]
	s_waitcnt vmcnt(46) lgkmcnt(1)
	v_mul_f64 v[170:171], v[160:161], v[102:103]
	v_add_f64 v[2:3], v[6:7], v[2:3]
	v_fma_f64 v[4:5], v[14:15], v[72:73], -v[4:5]
	s_waitcnt vmcnt(44)
	v_fmac_f64_e32 v[170:171], v[162:163], v[104:105]
	v_add_f64 v[2:3], v[2:3], v[4:5]
	v_mul_f64 v[4:5], v[126:127], v[66:67]
	v_add_f64 v[172:173], v[168:169], v[170:171]
	ds_read_b128 v[168:171], v1 offset:1840
	s_waitcnt lgkmcnt(1)
	v_mul_f64 v[174:175], v[164:165], v[98:99]
	v_fma_f64 v[4:5], v[124:125], v[68:69], -v[4:5]
	v_fmac_f64_e32 v[174:175], v[166:167], v[100:101]
	v_add_f64 v[2:3], v[2:3], v[4:5]
	v_mul_f64 v[4:5], v[138:139], v[78:79]
	v_add_f64 v[176:177], v[172:173], v[174:175]
	ds_read_b128 v[172:175], v1 offset:1856
	v_fma_f64 v[4:5], v[136:137], v[80:81], -v[4:5]
	v_add_f64 v[2:3], v[2:3], v[4:5]
	v_mul_f64 v[4:5], v[142:143], v[74:75]
	v_fma_f64 v[4:5], v[140:141], v[76:77], -v[4:5]
	s_waitcnt vmcnt(38) lgkmcnt(1)
	v_mul_f64 v[178:179], v[168:169], v[110:111]
	v_add_f64 v[2:3], v[2:3], v[4:5]
	v_mul_f64 v[4:5], v[146:147], v[86:87]
	s_waitcnt vmcnt(36)
	v_fmac_f64_e32 v[178:179], v[170:171], v[112:113]
	v_fma_f64 v[4:5], v[144:145], v[88:89], -v[4:5]
	v_add_f64 v[180:181], v[176:177], v[178:179]
	ds_read_b128 v[176:179], v1 offset:1872
	s_waitcnt lgkmcnt(1)
	v_mul_f64 v[182:183], v[172:173], v[106:107]
	v_add_f64 v[2:3], v[2:3], v[4:5]
	v_mul_f64 v[4:5], v[150:151], v[82:83]
	v_fmac_f64_e32 v[182:183], v[174:175], v[108:109]
	v_fma_f64 v[4:5], v[148:149], v[84:85], -v[4:5]
	v_add_f64 v[184:185], v[180:181], v[182:183]
	ds_read_b128 v[180:183], v1 offset:1888
	v_add_f64 v[2:3], v[2:3], v[4:5]
	v_mul_f64 v[4:5], v[154:155], v[94:95]
	v_fma_f64 v[4:5], v[152:153], v[96:97], -v[4:5]
	v_add_f64 v[2:3], v[2:3], v[4:5]
	v_mul_f64 v[4:5], v[158:159], v[90:91]
	s_waitcnt vmcnt(30) lgkmcnt(1)
	v_mul_f64 v[186:187], v[176:177], v[120:121]
	v_fma_f64 v[4:5], v[156:157], v[92:93], -v[4:5]
	s_waitcnt vmcnt(28)
	v_fmac_f64_e32 v[186:187], v[178:179], v[122:123]
	v_add_f64 v[2:3], v[2:3], v[4:5]
	v_mul_f64 v[4:5], v[162:163], v[102:103]
	v_add_f64 v[188:189], v[184:185], v[186:187]
	ds_read_b128 v[184:187], v1 offset:1904
	s_waitcnt lgkmcnt(1)
	v_mul_f64 v[190:191], v[180:181], v[114:115]
	v_fma_f64 v[4:5], v[160:161], v[104:105], -v[4:5]
	v_fmac_f64_e32 v[190:191], v[182:183], v[116:117]
	v_add_f64 v[2:3], v[2:3], v[4:5]
	v_mul_f64 v[4:5], v[166:167], v[98:99]
	v_add_f64 v[192:193], v[188:189], v[190:191]
	ds_read_b128 v[188:191], v1 offset:1920
	v_fma_f64 v[4:5], v[164:165], v[100:101], -v[4:5]
	v_add_f64 v[2:3], v[2:3], v[4:5]
	v_mul_f64 v[4:5], v[170:171], v[110:111]
	v_fma_f64 v[4:5], v[168:169], v[112:113], -v[4:5]
	s_waitcnt vmcnt(22) lgkmcnt(1)
	v_mul_f64 v[194:195], v[184:185], v[132:133]
	v_add_f64 v[2:3], v[2:3], v[4:5]
	v_mul_f64 v[4:5], v[174:175], v[106:107]
	s_waitcnt vmcnt(20)
	v_fmac_f64_e32 v[194:195], v[186:187], v[134:135]
	v_fma_f64 v[4:5], v[172:173], v[108:109], -v[4:5]
	v_add_f64 v[196:197], v[192:193], v[194:195]
	ds_read_b128 v[192:195], v1 offset:1936
	s_waitcnt lgkmcnt(1)
	v_mul_f64 v[198:199], v[188:189], v[128:129]
	v_add_f64 v[2:3], v[2:3], v[4:5]
	v_mul_f64 v[4:5], v[178:179], v[120:121]
	v_fmac_f64_e32 v[198:199], v[190:191], v[130:131]
	v_fma_f64 v[4:5], v[176:177], v[122:123], -v[4:5]
	v_add_f64 v[200:201], v[196:197], v[198:199]
	ds_read_b128 v[196:199], v1 offset:1952
	v_add_f64 v[2:3], v[2:3], v[4:5]
	v_mul_f64 v[4:5], v[182:183], v[114:115]
	v_fma_f64 v[4:5], v[180:181], v[116:117], -v[4:5]
	v_add_f64 v[2:3], v[2:3], v[4:5]
	v_mul_f64 v[4:5], v[186:187], v[132:133]
	s_waitcnt vmcnt(14) lgkmcnt(1)
	v_mul_f64 v[202:203], v[192:193], v[214:215]
	v_fma_f64 v[4:5], v[184:185], v[134:135], -v[4:5]
	s_waitcnt vmcnt(12)
	v_fmac_f64_e32 v[202:203], v[194:195], v[216:217]
	v_add_f64 v[2:3], v[2:3], v[4:5]
	v_mul_f64 v[4:5], v[190:191], v[128:129]
	v_add_f64 v[204:205], v[200:201], v[202:203]
	ds_read_b128 v[200:203], v1 offset:1968
	s_waitcnt lgkmcnt(1)
	v_mul_f64 v[206:207], v[196:197], v[118:119]
	v_fma_f64 v[4:5], v[188:189], v[130:131], -v[4:5]
	v_fmac_f64_e32 v[206:207], v[198:199], v[212:213]
	v_add_f64 v[2:3], v[2:3], v[4:5]
	v_mul_f64 v[4:5], v[194:195], v[214:215]
	v_add_f64 v[230:231], v[204:205], v[206:207]
	ds_read_b128 v[204:207], v1 offset:1984
	v_fma_f64 v[4:5], v[192:193], v[216:217], -v[4:5]
	v_add_f64 v[2:3], v[2:3], v[4:5]
	v_mul_f64 v[4:5], v[198:199], v[118:119]
	ds_read_b128 v[208:211], v1 offset:2000
	v_fma_f64 v[4:5], v[196:197], v[212:213], -v[4:5]
	v_add_f64 v[2:3], v[2:3], v[4:5]
	s_waitcnt vmcnt(6) lgkmcnt(2)
	v_mul_f64 v[4:5], v[202:203], v[222:223]
	v_mul_f64 v[232:233], v[200:201], v[222:223]
	s_waitcnt vmcnt(4)
	v_fma_f64 v[4:5], v[200:201], v[224:225], -v[4:5]
	v_fmac_f64_e32 v[232:233], v[202:203], v[224:225]
	v_add_f64 v[2:3], v[2:3], v[4:5]
	s_waitcnt lgkmcnt(1)
	v_mul_f64 v[4:5], v[206:207], v[218:219]
	v_add_f64 v[0:1], v[230:231], v[232:233]
	v_mul_f64 v[230:231], v[204:205], v[218:219]
	v_fma_f64 v[4:5], v[204:205], v[220:221], -v[4:5]
	v_fmac_f64_e32 v[230:231], v[206:207], v[220:221]
	v_add_f64 v[2:3], v[2:3], v[4:5]
	s_waitcnt vmcnt(2) lgkmcnt(0)
	v_mul_f64 v[4:5], v[210:211], v[226:227]
	v_add_f64 v[0:1], v[0:1], v[230:231]
	v_mul_f64 v[230:231], v[208:209], v[226:227]
	s_waitcnt vmcnt(0)
	v_fma_f64 v[4:5], v[208:209], v[228:229], -v[4:5]
	v_fmac_f64_e32 v[230:231], v[210:211], v[228:229]
	v_add_f64 v[2:3], v[2:3], v[4:5]
	v_add_f64 v[0:1], v[0:1], v[230:231]
	v_add_f64 v[2:3], v[46:47], -v[2:3]
	v_add_f64 v[0:1], v[44:45], -v[0:1]
	buffer_store_dword v3, off, s[0:3], 0 offset:564
	buffer_store_dword v2, off, s[0:3], 0 offset:560
	;; [unrolled: 1-line block ×4, first 2 shown]
	s_and_saveexec_b64 s[4:5], vcc
	s_cbranch_execz .LBB126_337
; %bb.336:
	v_accvgpr_read_b32 v0, a155
	buffer_load_dword v2, v0, s[0:3], 0 offen
	buffer_load_dword v3, v0, s[0:3], 0 offen offset:4
	buffer_load_dword v4, v0, s[0:3], 0 offen offset:8
	;; [unrolled: 1-line block ×3, first 2 shown]
	v_mov_b32_e32 v0, 0
	v_accvgpr_read_b32 v1, a189
	buffer_store_dword v0, off, s[0:3], 0 offset:544
	buffer_store_dword v0, off, s[0:3], 0 offset:548
	;; [unrolled: 1-line block ×4, first 2 shown]
	s_waitcnt vmcnt(4)
	ds_write_b128 v1, v[2:5]
.LBB126_337:
	s_or_b64 exec, exec, s[4:5]
	s_waitcnt lgkmcnt(0)
	; wave barrier
	s_waitcnt lgkmcnt(0)
	buffer_load_dword v38, off, s[0:3], 0 offset:560
	buffer_load_dword v39, off, s[0:3], 0 offset:564
	;; [unrolled: 1-line block ×48, first 2 shown]
	v_mov_b32_e32 v1, 0
	ds_read_b128 v[34:37], v1 offset:1552
	ds_read_b128 v[30:33], v1 offset:1568
	ds_read_b128 v[26:29], v1 offset:1584
	ds_read_b128 v[22:25], v1 offset:1600
	ds_read_b128 v[18:21], v1 offset:1616
	ds_read_b128 v[14:17], v1 offset:1632
	ds_read_b128 v[10:13], v1 offset:1648
	ds_read_b128 v[6:9], v1 offset:1664
	ds_read_b128 v[2:5], v1 offset:1680
	v_cmp_lt_u32_e32 vcc, 32, v254
	s_waitcnt vmcnt(44) lgkmcnt(8)
	v_mul_f64 v[86:87], v[34:35], v[42:43]
	v_fmac_f64_e32 v[86:87], v[36:37], v[38:39]
	v_add_f64 v[86:87], v[86:87], 0
	v_mul_f64 v[36:37], v[36:37], v[42:43]
	s_waitcnt vmcnt(40) lgkmcnt(7)
	v_mul_f64 v[88:89], v[30:31], v[44:45]
	v_fmac_f64_e32 v[88:89], v[32:33], v[40:41]
	s_waitcnt vmcnt(38) lgkmcnt(6)
	v_mul_f64 v[90:91], v[26:27], v[46:47]
	v_add_f64 v[86:87], v[86:87], v[88:89]
	s_waitcnt vmcnt(36) lgkmcnt(4)
	v_mul_f64 v[94:95], v[18:19], v[48:49]
	v_fma_f64 v[34:35], v[34:35], v[38:39], -v[36:37]
	s_waitcnt vmcnt(34)
	v_fmac_f64_e32 v[94:95], v[20:21], v[50:51]
	v_mul_f64 v[32:33], v[32:33], v[44:45]
	s_waitcnt vmcnt(32)
	v_mul_f64 v[92:93], v[22:23], v[52:53]
	v_add_f64 v[34:35], v[34:35], 0
	s_waitcnt vmcnt(30) lgkmcnt(2)
	v_mul_f64 v[98:99], v[10:11], v[54:55]
	v_fma_f64 v[30:31], v[30:31], v[40:41], -v[32:33]
	s_waitcnt vmcnt(28)
	v_fmac_f64_e32 v[98:99], v[12:13], v[56:57]
	v_add_f64 v[30:31], v[34:35], v[30:31]
	s_waitcnt vmcnt(26)
	v_mul_f64 v[96:97], v[14:15], v[58:59]
	v_mul_f64 v[20:21], v[20:21], v[48:49]
	v_fma_f64 v[18:19], v[18:19], v[50:51], -v[20:21]
	v_mul_f64 v[12:13], v[12:13], v[54:55]
	s_waitcnt vmcnt(22) lgkmcnt(1)
	v_mul_f64 v[110:111], v[6:7], v[68:69]
	v_fma_f64 v[10:11], v[10:11], v[56:57], -v[12:13]
	s_waitcnt vmcnt(20)
	v_fmac_f64_e32 v[90:91], v[28:29], v[76:77]
	v_add_f64 v[86:87], v[86:87], v[90:91]
	s_waitcnt vmcnt(18)
	v_fmac_f64_e32 v[92:93], v[24:25], v[74:75]
	v_add_f64 v[86:87], v[86:87], v[92:93]
	;; [unrolled: 3-line block ×3, first 2 shown]
	v_add_f64 v[86:87], v[86:87], v[96:97]
	v_add_f64 v[112:113], v[86:87], v[98:99]
	buffer_load_dword v87, off, s[0:3], 0 offset:764
	buffer_load_dword v86, off, s[0:3], 0 offset:760
	;; [unrolled: 1-line block ×72, first 2 shown]
	s_waitcnt vmcnt(62)
	v_fmac_f64_e32 v[110:111], v[8:9], v[70:71]
	v_add_f64 v[142:143], v[112:113], v[110:111]
	ds_read_b128 v[110:113], v1 offset:1696
	s_waitcnt lgkmcnt(1)
	v_mul_f64 v[144:145], v[2:3], v[64:65]
	v_fmac_f64_e32 v[144:145], v[4:5], v[66:67]
	v_add_f64 v[146:147], v[142:143], v[144:145]
	ds_read_b128 v[142:145], v1 offset:1712
	s_waitcnt lgkmcnt(1)
	v_mul_f64 v[148:149], v[110:111], v[82:83]
	;; [unrolled: 5-line block ×5, first 2 shown]
	v_fmac_f64_e32 v[160:161], v[152:153], v[88:89]
	v_add_f64 v[162:163], v[158:159], v[160:161]
	ds_read_b128 v[158:161], v1 offset:1776
	s_waitcnt vmcnt(58) lgkmcnt(1)
	v_mul_f64 v[164:165], v[154:155], v[98:99]
	s_waitcnt vmcnt(56)
	v_fmac_f64_e32 v[164:165], v[156:157], v[100:101]
	v_add_f64 v[166:167], v[162:163], v[164:165]
	ds_read_b128 v[162:165], v1 offset:1792
	s_waitcnt lgkmcnt(1)
	v_mul_f64 v[168:169], v[158:159], v[94:95]
	v_fmac_f64_e32 v[168:169], v[160:161], v[96:97]
	v_mul_f64 v[28:29], v[28:29], v[46:47]
	v_add_f64 v[170:171], v[166:167], v[168:169]
	ds_read_b128 v[166:169], v1 offset:1808
	s_waitcnt vmcnt(50) lgkmcnt(1)
	v_mul_f64 v[172:173], v[162:163], v[106:107]
	v_fma_f64 v[26:27], v[26:27], v[76:77], -v[28:29]
	v_mul_f64 v[24:25], v[24:25], v[52:53]
	s_waitcnt vmcnt(48)
	v_fmac_f64_e32 v[172:173], v[164:165], v[108:109]
	v_add_f64 v[26:27], v[30:31], v[26:27]
	v_fma_f64 v[22:23], v[22:23], v[74:75], -v[24:25]
	v_add_f64 v[174:175], v[170:171], v[172:173]
	ds_read_b128 v[170:173], v1 offset:1824
	v_add_f64 v[22:23], v[26:27], v[22:23]
	v_mul_f64 v[16:17], v[16:17], v[58:59]
	v_add_f64 v[18:19], v[22:23], v[18:19]
	v_fma_f64 v[14:15], v[14:15], v[72:73], -v[16:17]
	v_add_f64 v[14:15], v[18:19], v[14:15]
	v_mul_f64 v[8:9], v[8:9], v[68:69]
	s_waitcnt lgkmcnt(1)
	v_mul_f64 v[176:177], v[166:167], v[102:103]
	v_add_f64 v[10:11], v[14:15], v[10:11]
	v_fma_f64 v[6:7], v[6:7], v[70:71], -v[8:9]
	v_mul_f64 v[4:5], v[4:5], v[64:65]
	v_fmac_f64_e32 v[176:177], v[168:169], v[104:105]
	v_add_f64 v[6:7], v[10:11], v[6:7]
	v_fma_f64 v[2:3], v[2:3], v[66:67], -v[4:5]
	v_mul_f64 v[4:5], v[112:113], v[82:83]
	v_add_f64 v[178:179], v[174:175], v[176:177]
	ds_read_b128 v[174:177], v1 offset:1840
	s_waitcnt vmcnt(42) lgkmcnt(1)
	v_mul_f64 v[180:181], v[170:171], v[120:121]
	v_add_f64 v[2:3], v[6:7], v[2:3]
	v_fma_f64 v[4:5], v[110:111], v[84:85], -v[4:5]
	s_waitcnt vmcnt(40)
	v_fmac_f64_e32 v[180:181], v[172:173], v[122:123]
	v_add_f64 v[2:3], v[2:3], v[4:5]
	v_mul_f64 v[4:5], v[144:145], v[78:79]
	v_add_f64 v[182:183], v[178:179], v[180:181]
	ds_read_b128 v[178:181], v1 offset:1856
	v_fma_f64 v[4:5], v[142:143], v[80:81], -v[4:5]
	v_add_f64 v[2:3], v[2:3], v[4:5]
	v_mul_f64 v[4:5], v[148:149], v[90:91]
	v_fma_f64 v[4:5], v[146:147], v[92:93], -v[4:5]
	s_waitcnt lgkmcnt(1)
	v_mul_f64 v[184:185], v[174:175], v[114:115]
	v_add_f64 v[2:3], v[2:3], v[4:5]
	v_mul_f64 v[4:5], v[152:153], v[86:87]
	v_fmac_f64_e32 v[184:185], v[176:177], v[116:117]
	v_fma_f64 v[4:5], v[150:151], v[88:89], -v[4:5]
	v_add_f64 v[186:187], v[182:183], v[184:185]
	ds_read_b128 v[182:185], v1 offset:1872
	s_waitcnt vmcnt(34) lgkmcnt(1)
	v_mul_f64 v[188:189], v[178:179], v[128:129]
	v_add_f64 v[2:3], v[2:3], v[4:5]
	v_mul_f64 v[4:5], v[156:157], v[98:99]
	s_waitcnt vmcnt(32)
	v_fmac_f64_e32 v[188:189], v[180:181], v[130:131]
	v_fma_f64 v[4:5], v[154:155], v[100:101], -v[4:5]
	v_add_f64 v[190:191], v[186:187], v[188:189]
	ds_read_b128 v[186:189], v1 offset:1888
	v_add_f64 v[2:3], v[2:3], v[4:5]
	v_mul_f64 v[4:5], v[160:161], v[94:95]
	v_fma_f64 v[4:5], v[158:159], v[96:97], -v[4:5]
	v_add_f64 v[2:3], v[2:3], v[4:5]
	v_mul_f64 v[4:5], v[164:165], v[106:107]
	s_waitcnt lgkmcnt(1)
	v_mul_f64 v[192:193], v[182:183], v[124:125]
	v_fma_f64 v[4:5], v[162:163], v[108:109], -v[4:5]
	v_fmac_f64_e32 v[192:193], v[184:185], v[126:127]
	v_add_f64 v[2:3], v[2:3], v[4:5]
	v_mul_f64 v[4:5], v[168:169], v[102:103]
	v_add_f64 v[194:195], v[190:191], v[192:193]
	ds_read_b128 v[190:193], v1 offset:1904
	s_waitcnt vmcnt(26) lgkmcnt(1)
	v_mul_f64 v[196:197], v[186:187], v[136:137]
	v_fma_f64 v[4:5], v[166:167], v[104:105], -v[4:5]
	s_waitcnt vmcnt(24)
	v_fmac_f64_e32 v[196:197], v[188:189], v[138:139]
	v_add_f64 v[2:3], v[2:3], v[4:5]
	v_mul_f64 v[4:5], v[172:173], v[120:121]
	v_add_f64 v[198:199], v[194:195], v[196:197]
	ds_read_b128 v[194:197], v1 offset:1920
	v_fma_f64 v[4:5], v[170:171], v[122:123], -v[4:5]
	v_add_f64 v[2:3], v[2:3], v[4:5]
	v_mul_f64 v[4:5], v[176:177], v[114:115]
	v_fma_f64 v[4:5], v[174:175], v[116:117], -v[4:5]
	s_waitcnt lgkmcnt(1)
	v_mul_f64 v[200:201], v[190:191], v[132:133]
	v_add_f64 v[2:3], v[2:3], v[4:5]
	v_mul_f64 v[4:5], v[180:181], v[128:129]
	v_fmac_f64_e32 v[200:201], v[192:193], v[134:135]
	v_fma_f64 v[4:5], v[178:179], v[130:131], -v[4:5]
	v_add_f64 v[202:203], v[198:199], v[200:201]
	ds_read_b128 v[198:201], v1 offset:1936
	s_waitcnt vmcnt(18) lgkmcnt(1)
	v_mul_f64 v[204:205], v[194:195], v[218:219]
	v_add_f64 v[2:3], v[2:3], v[4:5]
	v_mul_f64 v[4:5], v[184:185], v[124:125]
	s_waitcnt vmcnt(16)
	v_fmac_f64_e32 v[204:205], v[196:197], v[220:221]
	v_fma_f64 v[4:5], v[182:183], v[126:127], -v[4:5]
	v_add_f64 v[206:207], v[202:203], v[204:205]
	ds_read_b128 v[202:205], v1 offset:1952
	v_add_f64 v[2:3], v[2:3], v[4:5]
	v_mul_f64 v[4:5], v[188:189], v[136:137]
	v_fma_f64 v[4:5], v[186:187], v[138:139], -v[4:5]
	v_add_f64 v[2:3], v[2:3], v[4:5]
	v_mul_f64 v[4:5], v[192:193], v[132:133]
	s_waitcnt lgkmcnt(1)
	v_mul_f64 v[208:209], v[198:199], v[118:119]
	v_fma_f64 v[4:5], v[190:191], v[134:135], -v[4:5]
	v_fmac_f64_e32 v[208:209], v[200:201], v[140:141]
	v_add_f64 v[2:3], v[2:3], v[4:5]
	v_mul_f64 v[4:5], v[196:197], v[218:219]
	v_add_f64 v[210:211], v[206:207], v[208:209]
	ds_read_b128 v[206:209], v1 offset:1968
	s_waitcnt vmcnt(10) lgkmcnt(1)
	v_mul_f64 v[212:213], v[202:203], v[226:227]
	v_fma_f64 v[4:5], v[194:195], v[220:221], -v[4:5]
	s_waitcnt vmcnt(8)
	v_fmac_f64_e32 v[212:213], v[204:205], v[228:229]
	v_add_f64 v[2:3], v[2:3], v[4:5]
	v_mul_f64 v[4:5], v[200:201], v[118:119]
	v_add_f64 v[238:239], v[210:211], v[212:213]
	ds_read_b128 v[210:213], v1 offset:1984
	ds_read_b128 v[214:217], v1 offset:2000
	v_fma_f64 v[4:5], v[198:199], v[140:141], -v[4:5]
	v_add_f64 v[2:3], v[2:3], v[4:5]
	v_mul_f64 v[4:5], v[204:205], v[226:227]
	v_fma_f64 v[4:5], v[202:203], v[228:229], -v[4:5]
	v_add_f64 v[2:3], v[2:3], v[4:5]
	s_waitcnt lgkmcnt(2)
	v_mul_f64 v[4:5], v[208:209], v[222:223]
	v_mul_f64 v[240:241], v[206:207], v[222:223]
	v_fma_f64 v[4:5], v[206:207], v[224:225], -v[4:5]
	v_fmac_f64_e32 v[240:241], v[208:209], v[224:225]
	v_add_f64 v[2:3], v[2:3], v[4:5]
	s_waitcnt vmcnt(2) lgkmcnt(1)
	v_mul_f64 v[4:5], v[212:213], v[234:235]
	v_add_f64 v[238:239], v[238:239], v[240:241]
	v_mul_f64 v[240:241], v[210:211], v[234:235]
	s_waitcnt vmcnt(0)
	v_fma_f64 v[4:5], v[210:211], v[236:237], -v[4:5]
	v_fmac_f64_e32 v[240:241], v[212:213], v[236:237]
	v_add_f64 v[2:3], v[2:3], v[4:5]
	s_waitcnt lgkmcnt(0)
	v_mul_f64 v[4:5], v[216:217], v[230:231]
	v_add_f64 v[238:239], v[238:239], v[240:241]
	v_mul_f64 v[240:241], v[214:215], v[230:231]
	v_fma_f64 v[4:5], v[214:215], v[232:233], -v[4:5]
	v_fmac_f64_e32 v[240:241], v[216:217], v[232:233]
	v_add_f64 v[2:3], v[2:3], v[4:5]
	v_add_f64 v[238:239], v[238:239], v[240:241]
	v_add_f64 v[2:3], v[62:63], -v[2:3]
	v_add_f64 v[4:5], v[60:61], -v[238:239]
	buffer_store_dword v3, off, s[0:3], 0 offset:548
	buffer_store_dword v2, off, s[0:3], 0 offset:544
	;; [unrolled: 1-line block ×4, first 2 shown]
	s_and_saveexec_b64 s[4:5], vcc
	s_cbranch_execz .LBB126_339
; %bb.338:
	v_accvgpr_read_b32 v0, a156
	buffer_load_dword v2, v0, s[0:3], 0 offen
	buffer_load_dword v3, v0, s[0:3], 0 offen offset:4
	buffer_load_dword v4, v0, s[0:3], 0 offen offset:8
	;; [unrolled: 1-line block ×3, first 2 shown]
	v_accvgpr_read_b32 v0, a189
	buffer_store_dword v1, off, s[0:3], 0 offset:528
	buffer_store_dword v1, off, s[0:3], 0 offset:532
	;; [unrolled: 1-line block ×4, first 2 shown]
	s_waitcnt vmcnt(4)
	ds_write_b128 v0, v[2:5]
.LBB126_339:
	s_or_b64 exec, exec, s[4:5]
	s_waitcnt lgkmcnt(0)
	; wave barrier
	s_waitcnt lgkmcnt(0)
	buffer_load_dword v48, off, s[0:3], 0 offset:544
	buffer_load_dword v49, off, s[0:3], 0 offset:548
	;; [unrolled: 1-line block ×40, first 2 shown]
	ds_read_b128 v[38:41], v1 offset:1536
	ds_read_b128 v[34:37], v1 offset:1552
	;; [unrolled: 1-line block ×10, first 2 shown]
	buffer_load_dword v83, off, s[0:3], 0 offset:716
	buffer_load_dword v82, off, s[0:3], 0 offset:712
	;; [unrolled: 1-line block ×8, first 2 shown]
	v_cmp_lt_u32_e32 vcc, 31, v254
	s_waitcnt vmcnt(44) lgkmcnt(9)
	v_mul_f64 v[90:91], v[38:39], v[50:51]
	v_fmac_f64_e32 v[90:91], v[40:41], v[48:49]
	v_add_f64 v[90:91], v[90:91], 0
	v_mul_f64 v[40:41], v[40:41], v[50:51]
	s_waitcnt vmcnt(40) lgkmcnt(8)
	v_mul_f64 v[92:93], v[34:35], v[44:45]
	v_fmac_f64_e32 v[92:93], v[36:37], v[42:43]
	s_waitcnt vmcnt(38) lgkmcnt(7)
	v_mul_f64 v[94:95], v[30:31], v[46:47]
	v_add_f64 v[90:91], v[90:91], v[92:93]
	s_waitcnt vmcnt(36) lgkmcnt(5)
	v_mul_f64 v[98:99], v[22:23], v[52:53]
	v_mul_f64 v[36:37], v[36:37], v[44:45]
	s_waitcnt vmcnt(34)
	v_fmac_f64_e32 v[98:99], v[24:25], v[54:55]
	v_fma_f64 v[34:35], v[34:35], v[42:43], -v[36:37]
	s_waitcnt vmcnt(32)
	v_mul_f64 v[96:97], v[26:27], v[56:57]
	v_mul_f64 v[24:25], v[24:25], v[52:53]
	s_waitcnt vmcnt(30) lgkmcnt(4)
	v_mul_f64 v[100:101], v[18:19], v[62:63]
	v_fma_f64 v[22:23], v[22:23], v[54:55], -v[24:25]
	s_waitcnt vmcnt(28) lgkmcnt(1)
	v_mul_f64 v[124:125], v[2:3], v[64:65]
	s_waitcnt vmcnt(25)
	v_mul_f64 v[104:105], v[6:7], v[68:69]
	s_waitcnt vmcnt(23)
	;; [unrolled: 2-line block ×3, first 2 shown]
	v_fmac_f64_e32 v[102:103], v[12:13], v[72:73]
	v_mul_f64 v[12:13], v[12:13], v[70:71]
	s_waitcnt vmcnt(19)
	v_fmac_f64_e32 v[94:95], v[32:33], v[80:81]
	v_add_f64 v[90:91], v[90:91], v[94:95]
	s_waitcnt vmcnt(17)
	v_fmac_f64_e32 v[96:97], v[28:29], v[78:79]
	v_add_f64 v[90:91], v[90:91], v[96:97]
	;; [unrolled: 3-line block ×3, first 2 shown]
	v_add_f64 v[90:91], v[90:91], v[100:101]
	s_waitcnt vmcnt(13)
	v_fmac_f64_e32 v[104:105], v[8:9], v[74:75]
	v_add_f64 v[90:91], v[90:91], v[102:103]
	v_add_f64 v[126:127], v[90:91], v[104:105]
	buffer_load_dword v91, off, s[0:3], 0 offset:748
	buffer_load_dword v90, off, s[0:3], 0 offset:744
	buffer_load_dword v93, off, s[0:3], 0 offset:740
	buffer_load_dword v92, off, s[0:3], 0 offset:736
	buffer_load_dword v95, off, s[0:3], 0 offset:732
	buffer_load_dword v94, off, s[0:3], 0 offset:728
	buffer_load_dword v97, off, s[0:3], 0 offset:724
	buffer_load_dword v96, off, s[0:3], 0 offset:720
	buffer_load_dword v99, off, s[0:3], 0 offset:780
	buffer_load_dword v98, off, s[0:3], 0 offset:776
	buffer_load_dword v101, off, s[0:3], 0 offset:772
	buffer_load_dword v100, off, s[0:3], 0 offset:768
	buffer_load_dword v103, off, s[0:3], 0 offset:764
	buffer_load_dword v102, off, s[0:3], 0 offset:760
	buffer_load_dword v105, off, s[0:3], 0 offset:756
	buffer_load_dword v104, off, s[0:3], 0 offset:752
	buffer_load_dword v107, off, s[0:3], 0 offset:812
	buffer_load_dword v106, off, s[0:3], 0 offset:808
	buffer_load_dword v109, off, s[0:3], 0 offset:804
	buffer_load_dword v108, off, s[0:3], 0 offset:800
	buffer_load_dword v111, off, s[0:3], 0 offset:796
	buffer_load_dword v110, off, s[0:3], 0 offset:792
	buffer_load_dword v113, off, s[0:3], 0 offset:788
	buffer_load_dword v112, off, s[0:3], 0 offset:784
	buffer_load_dword v115, off, s[0:3], 0 offset:844
	buffer_load_dword v114, off, s[0:3], 0 offset:840
	buffer_load_dword v117, off, s[0:3], 0 offset:836
	buffer_load_dword v116, off, s[0:3], 0 offset:832
	buffer_load_dword v121, off, s[0:3], 0 offset:828
	buffer_load_dword v120, off, s[0:3], 0 offset:824
	buffer_load_dword v123, off, s[0:3], 0 offset:820
	buffer_load_dword v122, off, s[0:3], 0 offset:816
	buffer_load_dword v129, off, s[0:3], 0 offset:876
	buffer_load_dword v128, off, s[0:3], 0 offset:872
	buffer_load_dword v131, off, s[0:3], 0 offset:868
	buffer_load_dword v130, off, s[0:3], 0 offset:864
	buffer_load_dword v133, off, s[0:3], 0 offset:860
	buffer_load_dword v132, off, s[0:3], 0 offset:856
	buffer_load_dword v135, off, s[0:3], 0 offset:852
	buffer_load_dword v134, off, s[0:3], 0 offset:848
	buffer_load_dword v137, off, s[0:3], 0 offset:908
	buffer_load_dword v136, off, s[0:3], 0 offset:904
	buffer_load_dword v139, off, s[0:3], 0 offset:900
	buffer_load_dword v138, off, s[0:3], 0 offset:896
	buffer_load_dword v141, off, s[0:3], 0 offset:892
	buffer_load_dword v140, off, s[0:3], 0 offset:888
	buffer_load_dword v143, off, s[0:3], 0 offset:884
	buffer_load_dword v142, off, s[0:3], 0 offset:880
	buffer_load_dword v145, off, s[0:3], 0 offset:940
	buffer_load_dword v144, off, s[0:3], 0 offset:936
	buffer_load_dword v147, off, s[0:3], 0 offset:932
	buffer_load_dword v146, off, s[0:3], 0 offset:928
	buffer_load_dword v149, off, s[0:3], 0 offset:924
	buffer_load_dword v148, off, s[0:3], 0 offset:920
	buffer_load_dword v151, off, s[0:3], 0 offset:916
	buffer_load_dword v150, off, s[0:3], 0 offset:912
	buffer_load_dword v119, off, s[0:3], 0 offset:972
	buffer_load_dword v118, off, s[0:3], 0 offset:968
	buffer_load_dword v221, off, s[0:3], 0 offset:964
	buffer_load_dword v220, off, s[0:3], 0 offset:960
	buffer_load_dword v223, off, s[0:3], 0 offset:956
	buffer_load_dword v222, off, s[0:3], 0 offset:952
	buffer_load_dword v225, off, s[0:3], 0 offset:948
	buffer_load_dword v224, off, s[0:3], 0 offset:944
	buffer_load_dword v227, off, s[0:3], 0 offset:1004
	buffer_load_dword v226, off, s[0:3], 0 offset:1000
	buffer_load_dword v229, off, s[0:3], 0 offset:996
	buffer_load_dword v228, off, s[0:3], 0 offset:992
	buffer_load_dword v231, off, s[0:3], 0 offset:988
	buffer_load_dword v230, off, s[0:3], 0 offset:984
	buffer_load_dword v233, off, s[0:3], 0 offset:980
	buffer_load_dword v232, off, s[0:3], 0 offset:976
	s_waitcnt vmcnt(62)
	v_fmac_f64_e32 v[124:125], v[4:5], v[66:67]
	v_add_f64 v[152:153], v[126:127], v[124:125]
	ds_read_b128 v[124:127], v1 offset:1696
	buffer_load_dword v235, off, s[0:3], 0 offset:1020
	buffer_load_dword v234, off, s[0:3], 0 offset:1016
	;; [unrolled: 1-line block ×4, first 2 shown]
	s_waitcnt lgkmcnt(1)
	v_mul_f64 v[154:155], v[14:15], v[86:87]
	v_fmac_f64_e32 v[154:155], v[16:17], v[88:89]
	v_add_f64 v[156:157], v[152:153], v[154:155]
	ds_read_b128 v[152:155], v1 offset:1712
	s_waitcnt lgkmcnt(1)
	v_mul_f64 v[158:159], v[124:125], v[82:83]
	v_fmac_f64_e32 v[158:159], v[126:127], v[84:85]
	v_add_f64 v[160:161], v[156:157], v[158:159]
	ds_read_b128 v[156:159], v1 offset:1728
	v_mul_f64 v[32:33], v[32:33], v[46:47]
	s_waitcnt lgkmcnt(1)
	v_mul_f64 v[162:163], v[152:153], v[94:95]
	v_fma_f64 v[30:31], v[30:31], v[80:81], -v[32:33]
	v_fmac_f64_e32 v[162:163], v[154:155], v[96:97]
	v_add_f64 v[164:165], v[160:161], v[162:163]
	ds_read_b128 v[160:163], v1 offset:1744
	s_waitcnt lgkmcnt(1)
	v_mul_f64 v[166:167], v[156:157], v[90:91]
	v_fmac_f64_e32 v[166:167], v[158:159], v[92:93]
	v_add_f64 v[168:169], v[164:165], v[166:167]
	ds_read_b128 v[164:167], v1 offset:1760
	s_waitcnt vmcnt(62) lgkmcnt(1)
	v_mul_f64 v[170:171], v[160:161], v[102:103]
	s_waitcnt vmcnt(60)
	v_fmac_f64_e32 v[170:171], v[162:163], v[104:105]
	v_add_f64 v[172:173], v[168:169], v[170:171]
	ds_read_b128 v[168:171], v1 offset:1776
	s_waitcnt lgkmcnt(1)
	v_mul_f64 v[174:175], v[164:165], v[98:99]
	v_fmac_f64_e32 v[174:175], v[166:167], v[100:101]
	v_add_f64 v[176:177], v[172:173], v[174:175]
	ds_read_b128 v[172:175], v1 offset:1792
	s_waitcnt vmcnt(54) lgkmcnt(1)
	v_mul_f64 v[178:179], v[168:169], v[110:111]
	s_waitcnt vmcnt(52)
	;; [unrolled: 11-line block ×7, first 2 shown]
	v_fmac_f64_e32 v[218:219], v[210:211], v[224:225]
	v_add_f64 v[238:239], v[216:217], v[218:219]
	ds_read_b128 v[216:219], v1 offset:1968
	s_waitcnt lgkmcnt(1)
	v_mul_f64 v[240:241], v[212:213], v[118:119]
	v_fmac_f64_e32 v[240:241], v[214:215], v[220:221]
	v_add_f64 v[238:239], v[238:239], v[240:241]
	v_fma_f64 v[240:241], v[38:39], v[48:49], -v[40:41]
	ds_read_b128 v[38:41], v1 offset:1984
	ds_read_b128 v[48:51], v1 offset:2000
	s_waitcnt vmcnt(6) lgkmcnt(2)
	v_mul_f64 v[242:243], v[216:217], v[230:231]
	s_waitcnt vmcnt(4)
	v_fmac_f64_e32 v[242:243], v[218:219], v[232:233]
	v_add_f64 v[0:1], v[238:239], v[242:243]
	s_waitcnt lgkmcnt(1)
	v_mul_f64 v[238:239], v[38:39], v[226:227]
	v_fmac_f64_e32 v[238:239], v[40:41], v[228:229]
	v_add_f64 v[0:1], v[0:1], v[238:239]
	s_waitcnt vmcnt(2) lgkmcnt(0)
	v_mul_f64 v[238:239], v[48:49], v[234:235]
	s_waitcnt vmcnt(0)
	v_fmac_f64_e32 v[238:239], v[50:51], v[236:237]
	v_add_f64 v[0:1], v[0:1], v[238:239]
	v_add_f64 v[238:239], v[240:241], 0
	;; [unrolled: 1-line block ×3, first 2 shown]
	v_mul_f64 v[28:29], v[28:29], v[56:57]
	v_add_f64 v[30:31], v[34:35], v[30:31]
	v_fma_f64 v[26:27], v[26:27], v[78:79], -v[28:29]
	v_add_f64 v[26:27], v[30:31], v[26:27]
	v_mul_f64 v[20:21], v[20:21], v[62:63]
	v_add_f64 v[22:23], v[26:27], v[22:23]
	v_fma_f64 v[18:19], v[18:19], v[76:77], -v[20:21]
	v_add_f64 v[18:19], v[22:23], v[18:19]
	v_fma_f64 v[10:11], v[10:11], v[72:73], -v[12:13]
	v_mul_f64 v[8:9], v[8:9], v[68:69]
	v_add_f64 v[10:11], v[18:19], v[10:11]
	v_fma_f64 v[6:7], v[6:7], v[74:75], -v[8:9]
	v_mul_f64 v[4:5], v[4:5], v[64:65]
	;; [unrolled: 3-line block ×3, first 2 shown]
	v_add_f64 v[2:3], v[6:7], v[2:3]
	v_fma_f64 v[4:5], v[14:15], v[88:89], -v[4:5]
	v_add_f64 v[2:3], v[2:3], v[4:5]
	v_mul_f64 v[4:5], v[126:127], v[82:83]
	v_fma_f64 v[4:5], v[124:125], v[84:85], -v[4:5]
	v_add_f64 v[2:3], v[2:3], v[4:5]
	v_mul_f64 v[4:5], v[154:155], v[94:95]
	;; [unrolled: 3-line block ×20, first 2 shown]
	v_fma_f64 v[4:5], v[48:49], v[236:237], -v[4:5]
	v_add_f64 v[2:3], v[2:3], v[4:5]
	v_add_f64 v[2:3], v[60:61], -v[2:3]
	v_add_f64 v[0:1], v[58:59], -v[0:1]
	buffer_store_dword v3, off, s[0:3], 0 offset:532
	buffer_store_dword v2, off, s[0:3], 0 offset:528
	;; [unrolled: 1-line block ×4, first 2 shown]
	s_and_saveexec_b64 s[4:5], vcc
	s_cbranch_execz .LBB126_341
; %bb.340:
	v_accvgpr_read_b32 v0, a157
	buffer_load_dword v2, v0, s[0:3], 0 offen
	buffer_load_dword v3, v0, s[0:3], 0 offen offset:4
	buffer_load_dword v4, v0, s[0:3], 0 offen offset:8
	;; [unrolled: 1-line block ×3, first 2 shown]
	v_mov_b32_e32 v0, 0
	v_accvgpr_read_b32 v1, a189
	buffer_store_dword v0, off, s[0:3], 0 offset:512
	buffer_store_dword v0, off, s[0:3], 0 offset:516
	;; [unrolled: 1-line block ×4, first 2 shown]
	s_waitcnt vmcnt(4)
	ds_write_b128 v1, v[2:5]
.LBB126_341:
	s_or_b64 exec, exec, s[4:5]
	s_waitcnt lgkmcnt(0)
	; wave barrier
	s_waitcnt lgkmcnt(0)
	buffer_load_dword v106, off, s[0:3], 0 offset:528
	buffer_load_dword v107, off, s[0:3], 0 offset:532
	;; [unrolled: 1-line block ×49, first 2 shown]
	v_mov_b32_e32 v1, 0
	ds_read_b128 v[110:113], v1 offset:1520
	ds_read_b128 v[236:239], v1 offset:1536
	;; [unrolled: 1-line block ×10, first 2 shown]
	buffer_load_dword v160, off, s[0:3], 0 offset:720
	buffer_load_dword v175, off, s[0:3], 0 offset:716
	;; [unrolled: 1-line block ×69, first 2 shown]
	v_accvgpr_write_b32 a188, v254
	v_cmp_lt_u32_e32 vcc, 30, v254
	s_waitcnt vmcnt(62) lgkmcnt(9)
	v_mul_f64 v[34:35], v[110:111], v[108:109]
	v_fmac_f64_e32 v[34:35], v[112:113], v[106:107]
	v_add_f64 v[34:35], v[34:35], 0
	v_mul_f64 v[108:109], v[112:113], v[108:109]
	s_waitcnt lgkmcnt(8)
	v_mul_f64 v[36:37], v[236:237], v[116:117]
	v_fmac_f64_e32 v[36:37], v[238:239], v[114:115]
	s_waitcnt lgkmcnt(7)
	v_mul_f64 v[38:39], v[30:31], v[120:121]
	v_add_f64 v[34:35], v[34:35], v[36:37]
	s_waitcnt lgkmcnt(5)
	v_mul_f64 v[42:43], v[22:23], v[122:123]
	v_mul_f64 v[116:117], v[238:239], v[116:117]
	v_fmac_f64_e32 v[42:43], v[24:25], v[124:125]
	v_fma_f64 v[248:249], v[110:111], v[106:107], -v[108:109]
	v_mul_f64 v[40:41], v[26:27], v[126:127]
	v_fma_f64 v[250:251], v[236:237], v[114:115], -v[116:117]
	s_waitcnt lgkmcnt(3)
	v_mul_f64 v[46:47], v[14:15], v[128:129]
	v_mul_f64 v[24:25], v[24:25], v[122:123]
	v_fmac_f64_e32 v[46:47], v[16:17], v[130:131]
	v_fma_f64 v[22:23], v[22:23], v[124:125], -v[24:25]
	v_mul_f64 v[44:45], v[18:19], v[132:133]
	v_mul_f64 v[16:17], v[16:17], v[128:129]
	s_waitcnt lgkmcnt(1)
	v_mul_f64 v[50:51], v[6:7], v[134:135]
	v_fma_f64 v[14:15], v[14:15], v[130:131], -v[16:17]
	v_fmac_f64_e32 v[50:51], v[8:9], v[136:137]
	v_mul_f64 v[8:9], v[8:9], v[134:135]
	v_mul_f64 v[48:49], v[10:11], v[142:143]
	v_fma_f64 v[6:7], v[6:7], v[136:137], -v[8:9]
	s_waitcnt lgkmcnt(0)
	v_mul_f64 v[52:53], v[2:3], v[138:139]
	v_fmac_f64_e32 v[38:39], v[32:33], v[154:155]
	v_add_f64 v[34:35], v[34:35], v[38:39]
	v_fmac_f64_e32 v[40:41], v[28:29], v[152:153]
	v_add_f64 v[34:35], v[34:35], v[40:41]
	;; [unrolled: 2-line block ×3, first 2 shown]
	v_add_f64 v[34:35], v[34:35], v[44:45]
	v_fmac_f64_e32 v[48:49], v[12:13], v[148:149]
	v_add_f64 v[34:35], v[34:35], v[46:47]
	v_add_f64 v[34:35], v[34:35], v[48:49]
	v_fmac_f64_e32 v[52:53], v[4:5], v[146:147]
	v_add_f64 v[34:35], v[34:35], v[50:51]
	v_add_f64 v[42:43], v[34:35], v[52:53]
	ds_read_b128 v[38:41], v1 offset:1680
	ds_read_b128 v[34:37], v1 offset:1696
	buffer_load_dword v223, off, s[0:3], 0 offset:1020
	buffer_load_dword v222, off, s[0:3], 0 offset:1016
	;; [unrolled: 1-line block ×8, first 2 shown]
	ds_read_b128 v[110:113], v1 offset:1968
	ds_read_b128 v[106:109], v1 offset:1984
	s_waitcnt lgkmcnt(3)
	v_mul_f64 v[44:45], v[38:39], v[144:145]
	v_fmac_f64_e32 v[44:45], v[40:41], v[156:157]
	v_add_f64 v[46:47], v[42:43], v[44:45]
	ds_read_b128 v[42:45], v1 offset:1712
	s_waitcnt lgkmcnt(3)
	v_mul_f64 v[48:49], v[34:35], v[174:175]
	v_fmac_f64_e32 v[48:49], v[36:37], v[178:179]
	v_add_f64 v[50:51], v[46:47], v[48:49]
	ds_read_b128 v[46:49], v1 offset:1728
	s_waitcnt lgkmcnt(1)
	v_mul_f64 v[52:53], v[42:43], v[158:159]
	v_fmac_f64_e32 v[52:53], v[44:45], v[160:161]
	v_add_f64 v[54:55], v[50:51], v[52:53]
	ds_read_b128 v[50:53], v1 offset:1744
	s_waitcnt vmcnt(62) lgkmcnt(1)
	v_mul_f64 v[56:57], v[46:47], v[182:183]
	v_fmac_f64_e32 v[56:57], v[48:49], v[186:187]
	v_add_f64 v[58:59], v[54:55], v[56:57]
	ds_read_b128 v[54:57], v1 offset:1760
	s_waitcnt lgkmcnt(1)
	v_mul_f64 v[60:61], v[50:51], v[162:163]
	v_fmac_f64_e32 v[60:61], v[52:53], v[164:165]
	v_add_f64 v[62:63], v[58:59], v[60:61]
	ds_read_b128 v[58:61], v1 offset:1776
	s_waitcnt vmcnt(58) lgkmcnt(1)
	v_mul_f64 v[64:65], v[54:55], v[190:191]
	s_waitcnt vmcnt(56)
	v_fmac_f64_e32 v[64:65], v[56:57], v[194:195]
	v_add_f64 v[66:67], v[62:63], v[64:65]
	ds_read_b128 v[62:65], v1 offset:1792
	s_waitcnt lgkmcnt(1)
	v_mul_f64 v[68:69], v[58:59], v[166:167]
	v_fmac_f64_e32 v[68:69], v[60:61], v[168:169]
	v_add_f64 v[70:71], v[66:67], v[68:69]
	ds_read_b128 v[66:69], v1 offset:1808
	s_waitcnt vmcnt(50) lgkmcnt(1)
	v_mul_f64 v[72:73], v[62:63], v[198:199]
	s_waitcnt vmcnt(48)
	;; [unrolled: 11-line block ×5, first 2 shown]
	v_fmac_f64_e32 v[96:97], v[88:89], v[220:221]
	v_add_f64 v[98:99], v[94:95], v[96:97]
	ds_read_b128 v[94:97], v1 offset:1920
	s_waitcnt lgkmcnt(1)
	v_mul_f64 v[100:101], v[90:91], v[192:193]
	v_fmac_f64_e32 v[100:101], v[92:93], v[196:197]
	v_add_f64 v[118:119], v[98:99], v[100:101]
	ds_read_b128 v[98:101], v1 offset:1936
	ds_read_b128 v[102:105], v1 offset:1952
	;; [unrolled: 1-line block ×3, first 2 shown]
	buffer_load_dword v252, off, s[0:3], 0 offset:520
	buffer_load_dword v253, off, s[0:3], 0 offset:524
	s_waitcnt vmcnt(20) lgkmcnt(3)
	v_mul_f64 v[240:241], v[94:95], v[224:225]
	s_waitcnt vmcnt(18)
	v_fmac_f64_e32 v[240:241], v[96:97], v[228:229]
	v_add_f64 v[118:119], v[118:119], v[240:241]
	s_waitcnt lgkmcnt(2)
	v_mul_f64 v[240:241], v[98:99], v[200:201]
	v_fmac_f64_e32 v[240:241], v[100:101], v[204:205]
	v_add_f64 v[118:119], v[118:119], v[240:241]
	s_waitcnt vmcnt(12) lgkmcnt(1)
	v_mul_f64 v[240:241], v[102:103], v[230:231]
	s_waitcnt vmcnt(10)
	v_fmac_f64_e32 v[240:241], v[104:105], v[232:233]
	v_mul_f64 v[236:237], v[110:111], v[208:209]
	v_add_f64 v[118:119], v[118:119], v[240:241]
	v_fmac_f64_e32 v[236:237], v[112:113], v[212:213]
	v_add_f64 v[118:119], v[118:119], v[236:237]
	s_waitcnt vmcnt(4)
	v_mul_f64 v[236:237], v[106:107], v[234:235]
	v_mul_f64 v[32:33], v[32:33], v[120:121]
	s_waitcnt vmcnt(2)
	v_fmac_f64_e32 v[236:237], v[108:109], v[244:245]
	v_add_f64 v[118:119], v[118:119], v[236:237]
	s_waitcnt lgkmcnt(0)
	v_mul_f64 v[236:237], v[114:115], v[222:223]
	v_fmac_f64_e32 v[236:237], v[116:117], v[226:227]
	v_add_f64 v[246:247], v[118:119], v[236:237]
	v_add_f64 v[118:119], v[248:249], 0
	v_add_f64 v[118:119], v[118:119], v[250:251]
	v_fma_f64 v[30:31], v[30:31], v[154:155], -v[32:33]
	v_mul_f64 v[28:29], v[28:29], v[126:127]
	v_add_f64 v[30:31], v[118:119], v[30:31]
	v_fma_f64 v[26:27], v[26:27], v[152:153], -v[28:29]
	v_add_f64 v[26:27], v[30:31], v[26:27]
	v_mul_f64 v[20:21], v[20:21], v[132:133]
	v_add_f64 v[22:23], v[26:27], v[22:23]
	v_fma_f64 v[18:19], v[18:19], v[150:151], -v[20:21]
	v_add_f64 v[18:19], v[22:23], v[18:19]
	;; [unrolled: 4-line block ×3, first 2 shown]
	v_mul_f64 v[4:5], v[4:5], v[138:139]
	v_add_f64 v[6:7], v[10:11], v[6:7]
	v_fma_f64 v[2:3], v[2:3], v[146:147], -v[4:5]
	v_mul_f64 v[4:5], v[40:41], v[144:145]
	v_add_f64 v[2:3], v[6:7], v[2:3]
	v_fma_f64 v[4:5], v[38:39], v[156:157], -v[4:5]
	v_add_f64 v[2:3], v[2:3], v[4:5]
	v_mul_f64 v[4:5], v[36:37], v[174:175]
	v_fma_f64 v[4:5], v[34:35], v[178:179], -v[4:5]
	v_add_f64 v[2:3], v[2:3], v[4:5]
	v_mul_f64 v[4:5], v[44:45], v[158:159]
	;; [unrolled: 3-line block ×20, first 2 shown]
	v_fma_f64 v[4:5], v[114:115], v[226:227], -v[4:5]
	v_add_f64 v[2:3], v[2:3], v[4:5]
	v_add_f64 v[2:3], v[140:141], -v[2:3]
	s_waitcnt vmcnt(0)
	v_add_f64 v[4:5], v[252:253], -v[246:247]
	buffer_store_dword v3, off, s[0:3], 0 offset:516
	buffer_store_dword v2, off, s[0:3], 0 offset:512
	buffer_store_dword v5, off, s[0:3], 0 offset:524
	buffer_store_dword v4, off, s[0:3], 0 offset:520
	s_and_saveexec_b64 s[4:5], vcc
	s_cbranch_execz .LBB126_343
; %bb.342:
	v_accvgpr_read_b32 v0, a158
	buffer_load_dword v2, v0, s[0:3], 0 offen
	buffer_load_dword v3, v0, s[0:3], 0 offen offset:4
	buffer_load_dword v4, v0, s[0:3], 0 offen offset:8
	;; [unrolled: 1-line block ×3, first 2 shown]
	v_accvgpr_read_b32 v0, a189
	buffer_store_dword v1, off, s[0:3], 0 offset:496
	buffer_store_dword v1, off, s[0:3], 0 offset:500
	;; [unrolled: 1-line block ×4, first 2 shown]
	s_waitcnt vmcnt(4)
	ds_write_b128 v0, v[2:5]
.LBB126_343:
	s_or_b64 exec, exec, s[4:5]
	s_waitcnt lgkmcnt(0)
	; wave barrier
	s_waitcnt lgkmcnt(0)
	buffer_load_dword v112, off, s[0:3], 0 offset:512
	buffer_load_dword v113, off, s[0:3], 0 offset:516
	;; [unrolled: 1-line block ×36, first 2 shown]
	ds_read_b128 v[102:105], v1 offset:1504
	ds_read_b128 v[106:109], v1 offset:1520
	;; [unrolled: 1-line block ×9, first 2 shown]
	buffer_load_dword v145, off, s[0:3], 0 offset:684
	buffer_load_dword v144, off, s[0:3], 0 offset:680
	buffer_load_dword v147, off, s[0:3], 0 offset:676
	buffer_load_dword v146, off, s[0:3], 0 offset:672
	buffer_load_dword v149, off, s[0:3], 0 offset:668
	buffer_load_dword v148, off, s[0:3], 0 offset:664
	buffer_load_dword v151, off, s[0:3], 0 offset:660
	buffer_load_dword v150, off, s[0:3], 0 offset:656
	buffer_load_dword v153, off, s[0:3], 0 offset:716
	buffer_load_dword v152, off, s[0:3], 0 offset:712
	buffer_load_dword v155, off, s[0:3], 0 offset:708
	buffer_load_dword v154, off, s[0:3], 0 offset:704
	buffer_load_dword v161, off, s[0:3], 0 offset:700
	buffer_load_dword v160, off, s[0:3], 0 offset:696
	buffer_load_dword v163, off, s[0:3], 0 offset:692
	buffer_load_dword v162, off, s[0:3], 0 offset:688
	buffer_load_dword v157, off, s[0:3], 0 offset:748
	buffer_load_dword v156, off, s[0:3], 0 offset:744
	buffer_load_dword v159, off, s[0:3], 0 offset:740
	buffer_load_dword v158, off, s[0:3], 0 offset:736
	buffer_load_dword v177, off, s[0:3], 0 offset:732
	buffer_load_dword v176, off, s[0:3], 0 offset:728
	buffer_load_dword v181, off, s[0:3], 0 offset:724
	buffer_load_dword v180, off, s[0:3], 0 offset:720
	buffer_load_dword v165, off, s[0:3], 0 offset:780
	buffer_load_dword v164, off, s[0:3], 0 offset:776
	buffer_load_dword v167, off, s[0:3], 0 offset:772
	buffer_load_dword v166, off, s[0:3], 0 offset:768
	buffer_load_dword v185, off, s[0:3], 0 offset:764
	buffer_load_dword v184, off, s[0:3], 0 offset:760
	buffer_load_dword v189, off, s[0:3], 0 offset:756
	buffer_load_dword v188, off, s[0:3], 0 offset:752
	buffer_load_dword v169, off, s[0:3], 0 offset:812
	buffer_load_dword v168, off, s[0:3], 0 offset:808
	buffer_load_dword v171, off, s[0:3], 0 offset:804
	buffer_load_dword v170, off, s[0:3], 0 offset:800
	buffer_load_dword v193, off, s[0:3], 0 offset:796
	buffer_load_dword v192, off, s[0:3], 0 offset:792
	buffer_load_dword v197, off, s[0:3], 0 offset:788
	buffer_load_dword v196, off, s[0:3], 0 offset:784
	buffer_load_dword v173, off, s[0:3], 0 offset:844
	buffer_load_dword v172, off, s[0:3], 0 offset:840
	buffer_load_dword v175, off, s[0:3], 0 offset:836
	buffer_load_dword v174, off, s[0:3], 0 offset:832
	buffer_load_dword v201, off, s[0:3], 0 offset:828
	buffer_load_dword v200, off, s[0:3], 0 offset:824
	buffer_load_dword v205, off, s[0:3], 0 offset:820
	buffer_load_dword v204, off, s[0:3], 0 offset:816
	buffer_load_dword v179, off, s[0:3], 0 offset:876
	buffer_load_dword v178, off, s[0:3], 0 offset:872
	buffer_load_dword v183, off, s[0:3], 0 offset:868
	buffer_load_dword v182, off, s[0:3], 0 offset:864
	buffer_load_dword v209, off, s[0:3], 0 offset:860
	buffer_load_dword v208, off, s[0:3], 0 offset:856
	buffer_load_dword v211, off, s[0:3], 0 offset:852
	buffer_load_dword v210, off, s[0:3], 0 offset:848
	buffer_load_dword v187, off, s[0:3], 0 offset:908
	buffer_load_dword v186, off, s[0:3], 0 offset:904
	buffer_load_dword v191, off, s[0:3], 0 offset:900
	buffer_load_dword v190, off, s[0:3], 0 offset:896
	buffer_load_dword v213, off, s[0:3], 0 offset:892
	buffer_load_dword v212, off, s[0:3], 0 offset:888
	buffer_load_dword v215, off, s[0:3], 0 offset:884
	buffer_load_dword v214, off, s[0:3], 0 offset:880
	buffer_load_dword v195, off, s[0:3], 0 offset:940
	buffer_load_dword v194, off, s[0:3], 0 offset:936
	buffer_load_dword v199, off, s[0:3], 0 offset:932
	buffer_load_dword v198, off, s[0:3], 0 offset:928
	buffer_load_dword v217, off, s[0:3], 0 offset:924
	buffer_load_dword v216, off, s[0:3], 0 offset:920
	buffer_load_dword v219, off, s[0:3], 0 offset:916
	buffer_load_dword v218, off, s[0:3], 0 offset:912
	buffer_load_dword v203, off, s[0:3], 0 offset:972
	buffer_load_dword v202, off, s[0:3], 0 offset:968
	buffer_load_dword v207, off, s[0:3], 0 offset:964
	buffer_load_dword v206, off, s[0:3], 0 offset:960
	buffer_load_dword v221, off, s[0:3], 0 offset:956
	buffer_load_dword v220, off, s[0:3], 0 offset:952
	s_waitcnt vmcnt(62) lgkmcnt(8)
	v_mul_f64 v[26:27], v[102:103], v[246:247]
	v_fmac_f64_e32 v[26:27], v[104:105], v[112:113]
	v_add_f64 v[26:27], v[26:27], 0
	v_mul_f64 v[104:105], v[104:105], v[246:247]
	s_waitcnt lgkmcnt(7)
	v_mul_f64 v[28:29], v[106:107], v[248:249]
	v_fmac_f64_e32 v[28:29], v[108:109], v[110:111]
	s_waitcnt lgkmcnt(6)
	v_mul_f64 v[30:31], v[114:115], v[244:245]
	v_add_f64 v[26:27], v[26:27], v[28:29]
	s_waitcnt lgkmcnt(4)
	v_mul_f64 v[34:35], v[18:19], v[120:121]
	v_fma_f64 v[246:247], v[102:103], v[112:113], -v[104:105]
	v_fmac_f64_e32 v[34:35], v[20:21], v[122:123]
	v_mul_f64 v[108:109], v[108:109], v[248:249]
	v_mul_f64 v[32:33], v[22:23], v[124:125]
	v_fma_f64 v[248:249], v[106:107], v[110:111], -v[108:109]
	s_waitcnt lgkmcnt(2)
	v_mul_f64 v[38:39], v[10:11], v[126:127]
	v_mul_f64 v[20:21], v[20:21], v[120:121]
	v_fmac_f64_e32 v[38:39], v[12:13], v[128:129]
	v_fma_f64 v[18:19], v[18:19], v[122:123], -v[20:21]
	v_mul_f64 v[36:37], v[14:15], v[132:133]
	v_mul_f64 v[12:13], v[12:13], v[126:127]
	s_waitcnt lgkmcnt(1)
	v_mul_f64 v[40:41], v[6:7], v[130:131]
	v_fma_f64 v[10:11], v[10:11], v[128:129], -v[12:13]
	v_fmac_f64_e32 v[30:31], v[116:117], v[250:251]
	v_add_f64 v[26:27], v[26:27], v[30:31]
	v_fmac_f64_e32 v[32:33], v[24:25], v[140:141]
	v_add_f64 v[26:27], v[26:27], v[32:33]
	;; [unrolled: 2-line block ×3, first 2 shown]
	v_add_f64 v[26:27], v[26:27], v[36:37]
	v_fmac_f64_e32 v[40:41], v[8:9], v[136:137]
	v_add_f64 v[30:31], v[26:27], v[38:39]
	v_add_f64 v[30:31], v[30:31], v[40:41]
	s_waitcnt lgkmcnt(0)
	v_mul_f64 v[32:33], v[2:3], v[134:135]
	v_fmac_f64_e32 v[32:33], v[4:5], v[142:143]
	ds_read_b128 v[26:29], v1 offset:1648
	v_add_f64 v[34:35], v[30:31], v[32:33]
	ds_read_b128 v[30:33], v1 offset:1664
	buffer_load_dword v223, off, s[0:3], 0 offset:948
	buffer_load_dword v222, off, s[0:3], 0 offset:944
	v_mul_f64 v[116:117], v[116:117], v[244:245]
	s_waitcnt lgkmcnt(1)
	v_mul_f64 v[36:37], v[26:27], v[148:149]
	v_fmac_f64_e32 v[36:37], v[28:29], v[150:151]
	s_waitcnt lgkmcnt(0)
	v_mul_f64 v[40:41], v[30:31], v[144:145]
	v_add_f64 v[38:39], v[34:35], v[36:37]
	ds_read_b128 v[34:37], v1 offset:1680
	v_fmac_f64_e32 v[40:41], v[32:33], v[146:147]
	v_add_f64 v[42:43], v[38:39], v[40:41]
	ds_read_b128 v[38:41], v1 offset:1696
	v_fma_f64 v[250:251], v[114:115], v[250:251], -v[116:117]
	s_waitcnt lgkmcnt(1)
	v_mul_f64 v[44:45], v[34:35], v[160:161]
	v_fmac_f64_e32 v[44:45], v[36:37], v[162:163]
	v_add_f64 v[46:47], v[42:43], v[44:45]
	s_waitcnt lgkmcnt(0)
	v_mul_f64 v[48:49], v[38:39], v[152:153]
	ds_read_b128 v[42:45], v1 offset:1712
	v_fmac_f64_e32 v[48:49], v[40:41], v[154:155]
	v_add_f64 v[50:51], v[46:47], v[48:49]
	ds_read_b128 v[46:49], v1 offset:1728
	buffer_load_dword v225, off, s[0:3], 0 offset:1004
	buffer_load_dword v227, off, s[0:3], 0 offset:988
	buffer_load_dword v226, off, s[0:3], 0 offset:984
	buffer_load_dword v233, off, s[0:3], 0 offset:980
	buffer_load_dword v232, off, s[0:3], 0 offset:976
	buffer_load_dword v224, off, s[0:3], 0 offset:1000
	buffer_load_dword v231, off, s[0:3], 0 offset:996
	buffer_load_dword v230, off, s[0:3], 0 offset:992
	buffer_load_dword v229, off, s[0:3], 0 offset:1020
	buffer_load_dword v228, off, s[0:3], 0 offset:1016
	buffer_load_dword v235, off, s[0:3], 0 offset:1012
	buffer_load_dword v234, off, s[0:3], 0 offset:1008
	s_waitcnt vmcnt(62) lgkmcnt(1)
	v_mul_f64 v[52:53], v[42:43], v[176:177]
	v_fmac_f64_e32 v[52:53], v[44:45], v[180:181]
	v_add_f64 v[54:55], v[50:51], v[52:53]
	ds_read_b128 v[50:53], v1 offset:1744
	s_waitcnt lgkmcnt(1)
	v_mul_f64 v[56:57], v[46:47], v[156:157]
	v_fmac_f64_e32 v[56:57], v[48:49], v[158:159]
	v_add_f64 v[58:59], v[54:55], v[56:57]
	ds_read_b128 v[54:57], v1 offset:1760
	s_waitcnt lgkmcnt(1)
	v_mul_f64 v[60:61], v[50:51], v[184:185]
	s_waitcnt vmcnt(60)
	v_fmac_f64_e32 v[60:61], v[52:53], v[188:189]
	v_add_f64 v[62:63], v[58:59], v[60:61]
	ds_read_b128 v[58:61], v1 offset:1776
	s_waitcnt lgkmcnt(1)
	v_mul_f64 v[64:65], v[54:55], v[164:165]
	v_fmac_f64_e32 v[64:65], v[56:57], v[166:167]
	v_add_f64 v[66:67], v[62:63], v[64:65]
	ds_read_b128 v[62:65], v1 offset:1792
	s_waitcnt vmcnt(54) lgkmcnt(1)
	v_mul_f64 v[68:69], v[58:59], v[192:193]
	s_waitcnt vmcnt(52)
	v_fmac_f64_e32 v[68:69], v[60:61], v[196:197]
	v_add_f64 v[70:71], v[66:67], v[68:69]
	ds_read_b128 v[66:69], v1 offset:1808
	s_waitcnt lgkmcnt(1)
	v_mul_f64 v[72:73], v[62:63], v[168:169]
	v_fmac_f64_e32 v[72:73], v[64:65], v[170:171]
	v_add_f64 v[74:75], v[70:71], v[72:73]
	ds_read_b128 v[70:73], v1 offset:1824
	s_waitcnt vmcnt(46) lgkmcnt(1)
	;; [unrolled: 11-line block ×4, first 2 shown]
	v_mul_f64 v[92:93], v[82:83], v[212:213]
	s_waitcnt vmcnt(28)
	v_fmac_f64_e32 v[92:93], v[84:85], v[214:215]
	v_add_f64 v[98:99], v[90:91], v[92:93]
	ds_read_b128 v[90:93], v1 offset:1904
	ds_read_b128 v[94:97], v1 offset:1920
	s_waitcnt lgkmcnt(2)
	v_mul_f64 v[100:101], v[86:87], v[186:187]
	v_fmac_f64_e32 v[100:101], v[88:89], v[190:191]
	v_add_f64 v[98:99], v[98:99], v[100:101]
	s_waitcnt vmcnt(22) lgkmcnt(1)
	v_mul_f64 v[100:101], v[90:91], v[216:217]
	s_waitcnt vmcnt(20)
	v_fmac_f64_e32 v[100:101], v[92:93], v[218:219]
	v_add_f64 v[98:99], v[98:99], v[100:101]
	s_waitcnt lgkmcnt(0)
	v_mul_f64 v[100:101], v[94:95], v[194:195]
	v_fmac_f64_e32 v[100:101], v[96:97], v[198:199]
	v_add_f64 v[118:119], v[98:99], v[100:101]
	ds_read_b128 v[98:101], v1 offset:1936
	ds_read_b128 v[102:105], v1 offset:1952
	;; [unrolled: 1-line block ×4, first 2 shown]
	v_mul_f64 v[24:25], v[24:25], v[124:125]
	s_waitcnt vmcnt(14) lgkmcnt(3)
	v_mul_f64 v[112:113], v[98:99], v[220:221]
	s_waitcnt vmcnt(12)
	v_fmac_f64_e32 v[112:113], v[100:101], v[222:223]
	s_waitcnt lgkmcnt(2)
	v_mul_f64 v[110:111], v[102:103], v[202:203]
	v_add_f64 v[112:113], v[118:119], v[112:113]
	v_fmac_f64_e32 v[110:111], v[104:105], v[206:207]
	v_add_f64 v[118:119], v[112:113], v[110:111]
	ds_read_b128 v[110:113], v1 offset:1984
	buffer_load_dword v254, off, s[0:3], 0 offset:496
	buffer_load_dword v255, off, s[0:3], 0 offset:500
	;; [unrolled: 1-line block ×4, first 2 shown]
	v_fma_f64 v[22:23], v[22:23], v[140:141], -v[24:25]
	v_mul_f64 v[16:17], v[16:17], v[132:133]
	v_fma_f64 v[14:15], v[14:15], v[138:139], -v[16:17]
	s_waitcnt vmcnt(13) lgkmcnt(2)
	v_mul_f64 v[236:237], v[106:107], v[226:227]
	v_mul_f64 v[8:9], v[8:9], v[130:131]
	s_waitcnt vmcnt(11)
	v_fmac_f64_e32 v[236:237], v[108:109], v[232:233]
	v_add_f64 v[0:1], v[118:119], v[236:237]
	s_waitcnt vmcnt(10) lgkmcnt(0)
	v_mul_f64 v[118:119], v[110:111], v[224:225]
	s_waitcnt vmcnt(8)
	v_fmac_f64_e32 v[118:119], v[112:113], v[230:231]
	v_add_f64 v[0:1], v[0:1], v[118:119]
	s_waitcnt vmcnt(6)
	v_mul_f64 v[118:119], v[114:115], v[228:229]
	v_fma_f64 v[6:7], v[6:7], v[136:137], -v[8:9]
	s_waitcnt vmcnt(4)
	v_fmac_f64_e32 v[118:119], v[116:117], v[234:235]
	v_add_f64 v[244:245], v[0:1], v[118:119]
	v_add_f64 v[0:1], v[246:247], 0
	;; [unrolled: 1-line block ×8, first 2 shown]
	v_mul_f64 v[4:5], v[4:5], v[134:135]
	v_add_f64 v[0:1], v[0:1], v[6:7]
	v_fma_f64 v[2:3], v[2:3], v[142:143], -v[4:5]
	v_add_f64 v[0:1], v[0:1], v[2:3]
	v_mul_f64 v[2:3], v[28:29], v[148:149]
	v_fma_f64 v[2:3], v[26:27], v[150:151], -v[2:3]
	v_add_f64 v[0:1], v[0:1], v[2:3]
	v_mul_f64 v[2:3], v[32:33], v[144:145]
	;; [unrolled: 3-line block ×23, first 2 shown]
	v_fma_f64 v[2:3], v[114:115], v[234:235], -v[2:3]
	v_add_f64 v[0:1], v[0:1], v[2:3]
	s_waitcnt vmcnt(2)
	v_add_f64 v[0:1], v[254:255], -v[0:1]
	v_accvgpr_read_b32 v254, a188
	v_cmp_lt_u32_e32 vcc, 29, v254
	s_waitcnt vmcnt(0)
	v_add_f64 v[2:3], v[252:253], -v[244:245]
	buffer_store_dword v1, off, s[0:3], 0 offset:500
	buffer_store_dword v0, off, s[0:3], 0 offset:496
	;; [unrolled: 1-line block ×4, first 2 shown]
	s_and_saveexec_b64 s[4:5], vcc
	s_cbranch_execz .LBB126_345
; %bb.344:
	v_accvgpr_read_b32 v0, a159
	buffer_load_dword v2, v0, s[0:3], 0 offen
	buffer_load_dword v3, v0, s[0:3], 0 offen offset:4
	buffer_load_dword v4, v0, s[0:3], 0 offen offset:8
	;; [unrolled: 1-line block ×3, first 2 shown]
	v_mov_b32_e32 v0, 0
	v_accvgpr_read_b32 v1, a189
	buffer_store_dword v0, off, s[0:3], 0 offset:480
	buffer_store_dword v0, off, s[0:3], 0 offset:484
	;; [unrolled: 1-line block ×4, first 2 shown]
	s_waitcnt vmcnt(4)
	ds_write_b128 v1, v[2:5]
.LBB126_345:
	s_or_b64 exec, exec, s[4:5]
	s_waitcnt lgkmcnt(0)
	; wave barrier
	s_waitcnt lgkmcnt(0)
	buffer_load_dword v94, off, s[0:3], 0 offset:496
	buffer_load_dword v95, off, s[0:3], 0 offset:500
	;; [unrolled: 1-line block ×52, first 2 shown]
	v_mov_b32_e32 v1, 0
	ds_read_b128 v[102:105], v1 offset:1488
	ds_read_b128 v[114:117], v1 offset:1504
	ds_read_b128 v[236:239], v1 offset:1520
	ds_read_b128 v[240:243], v1 offset:1536
	ds_read_b128 v[22:25], v1 offset:1552
	ds_read_b128 v[18:21], v1 offset:1568
	ds_read_b128 v[14:17], v1 offset:1584
	ds_read_b128 v[10:13], v1 offset:1600
	ds_read_b128 v[6:9], v1 offset:1616
	ds_read_b128 v[2:5], v1 offset:1632
	v_cmp_lt_u32_e32 vcc, 28, v254
	s_waitcnt vmcnt(48) lgkmcnt(9)
	v_mul_f64 v[26:27], v[102:103], v[96:97]
	v_fmac_f64_e32 v[26:27], v[104:105], v[94:95]
	v_add_f64 v[26:27], v[26:27], 0
	v_mul_f64 v[96:97], v[104:105], v[96:97]
	s_waitcnt vmcnt(44) lgkmcnt(8)
	v_mul_f64 v[28:29], v[114:115], v[100:101]
	v_fmac_f64_e32 v[28:29], v[116:117], v[98:99]
	s_waitcnt vmcnt(42) lgkmcnt(7)
	v_mul_f64 v[30:31], v[236:237], v[106:107]
	v_add_f64 v[26:27], v[26:27], v[28:29]
	s_waitcnt vmcnt(40) lgkmcnt(5)
	v_mul_f64 v[34:35], v[22:23], v[122:123]
	v_fma_f64 v[250:251], v[102:103], v[94:95], -v[96:97]
	s_waitcnt vmcnt(38)
	v_fmac_f64_e32 v[34:35], v[24:25], v[126:127]
	v_mul_f64 v[100:101], v[116:117], v[100:101]
	s_waitcnt vmcnt(36)
	v_mul_f64 v[32:33], v[240:241], v[110:111]
	v_fma_f64 v[252:253], v[114:115], v[98:99], -v[100:101]
	s_waitcnt vmcnt(34) lgkmcnt(3)
	v_mul_f64 v[38:39], v[14:15], v[120:121]
	v_mul_f64 v[106:107], v[238:239], v[106:107]
	s_waitcnt vmcnt(32)
	v_fmac_f64_e32 v[38:39], v[16:17], v[124:125]
	v_mul_f64 v[110:111], v[242:243], v[110:111]
	s_waitcnt vmcnt(30)
	v_mul_f64 v[36:37], v[18:19], v[132:133]
	v_mul_f64 v[24:25], v[24:25], v[122:123]
	v_fma_f64 v[22:23], v[22:23], v[126:127], -v[24:25]
	s_waitcnt vmcnt(27) lgkmcnt(2)
	v_mul_f64 v[40:41], v[10:11], v[130:131]
	s_waitcnt vmcnt(26) lgkmcnt(1)
	v_mul_f64 v[42:43], v[6:7], v[128:129]
	v_mul_f64 v[16:17], v[16:17], v[120:121]
	s_waitcnt vmcnt(24)
	v_fmac_f64_e32 v[30:31], v[238:239], v[108:109]
	v_add_f64 v[26:27], v[26:27], v[30:31]
	s_waitcnt vmcnt(22)
	v_fmac_f64_e32 v[32:33], v[242:243], v[112:113]
	v_add_f64 v[26:27], v[26:27], v[32:33]
	;; [unrolled: 3-line block ×3, first 2 shown]
	v_add_f64 v[26:27], v[26:27], v[36:37]
	s_waitcnt vmcnt(18)
	v_fmac_f64_e32 v[40:41], v[12:13], v[134:135]
	v_add_f64 v[26:27], v[26:27], v[38:39]
	v_add_f64 v[26:27], v[26:27], v[40:41]
	s_waitcnt vmcnt(16)
	v_fmac_f64_e32 v[42:43], v[8:9], v[140:141]
	v_add_f64 v[34:35], v[26:27], v[42:43]
	ds_read_b128 v[26:29], v1 offset:1648
	ds_read_b128 v[30:33], v1 offset:1664
	buffer_load_dword v157, off, s[0:3], 0 offset:732
	buffer_load_dword v156, off, s[0:3], 0 offset:728
	;; [unrolled: 1-line block ×56, first 2 shown]
	s_waitcnt vmcnt(62) lgkmcnt(2)
	v_mul_f64 v[36:37], v[2:3], v[144:145]
	v_fmac_f64_e32 v[36:37], v[4:5], v[146:147]
	v_add_f64 v[34:35], v[34:35], v[36:37]
	s_waitcnt lgkmcnt(1)
	v_mul_f64 v[36:37], v[26:27], v[138:139]
	v_fmac_f64_e32 v[36:37], v[28:29], v[142:143]
	v_add_f64 v[34:35], v[34:35], v[36:37]
	s_waitcnt lgkmcnt(0)
	v_mul_f64 v[36:37], v[30:31], v[148:149]
	s_waitcnt vmcnt(60)
	v_fmac_f64_e32 v[36:37], v[32:33], v[152:153]
	v_add_f64 v[42:43], v[34:35], v[36:37]
	ds_read_b128 v[34:37], v1 offset:1680
	buffer_load_dword v201, off, s[0:3], 0 offset:956
	buffer_load_dword v200, off, s[0:3], 0 offset:952
	buffer_load_dword v205, off, s[0:3], 0 offset:948
	buffer_load_dword v204, off, s[0:3], 0 offset:944
	buffer_load_dword v221, off, s[0:3], 0 offset:940
	buffer_load_dword v220, off, s[0:3], 0 offset:936
	buffer_load_dword v225, off, s[0:3], 0 offset:932
	buffer_load_dword v224, off, s[0:3], 0 offset:928
	buffer_load_dword v209, off, s[0:3], 0 offset:988
	buffer_load_dword v208, off, s[0:3], 0 offset:984
	buffer_load_dword v213, off, s[0:3], 0 offset:980
	buffer_load_dword v212, off, s[0:3], 0 offset:976
	buffer_load_dword v229, off, s[0:3], 0 offset:972
	buffer_load_dword v228, off, s[0:3], 0 offset:968
	buffer_load_dword v231, off, s[0:3], 0 offset:964
	buffer_load_dword v230, off, s[0:3], 0 offset:960
	ds_read_b128 v[38:41], v1 offset:1696
	buffer_load_dword v223, off, s[0:3], 0 offset:1020
	buffer_load_dword v222, off, s[0:3], 0 offset:1016
	;; [unrolled: 1-line block ×8, first 2 shown]
	ds_read_b128 v[98:101], v1 offset:1936
	s_waitcnt vmcnt(62) lgkmcnt(2)
	v_mul_f64 v[44:45], v[34:35], v[150:151]
	v_fmac_f64_e32 v[44:45], v[36:37], v[154:155]
	v_add_f64 v[46:47], v[42:43], v[44:45]
	ds_read_b128 v[42:45], v1 offset:1712
	v_fma_f64 v[248:249], v[236:237], v[108:109], -v[106:107]
	ds_read_b128 v[106:109], v1 offset:1968
	v_fma_f64 v[246:247], v[240:241], v[112:113], -v[110:111]
	v_mul_f64 v[20:21], v[20:21], v[132:133]
	v_fma_f64 v[18:19], v[18:19], v[136:137], -v[20:21]
	v_fma_f64 v[14:15], v[14:15], v[124:125], -v[16:17]
	v_mul_f64 v[12:13], v[12:13], v[130:131]
	v_fma_f64 v[10:11], v[10:11], v[134:135], -v[12:13]
	v_mul_f64 v[8:9], v[8:9], v[128:129]
	;; [unrolled: 2-line block ×3, first 2 shown]
	s_waitcnt lgkmcnt(3)
	v_mul_f64 v[48:49], v[38:39], v[172:173]
	v_fma_f64 v[2:3], v[2:3], v[146:147], -v[4:5]
	v_fmac_f64_e32 v[48:49], v[40:41], v[176:177]
	v_add_f64 v[50:51], v[46:47], v[48:49]
	ds_read_b128 v[46:49], v1 offset:1728
	s_waitcnt lgkmcnt(2)
	v_mul_f64 v[52:53], v[42:43], v[156:157]
	v_fmac_f64_e32 v[52:53], v[44:45], v[158:159]
	v_add_f64 v[54:55], v[50:51], v[52:53]
	ds_read_b128 v[50:53], v1 offset:1744
	s_waitcnt lgkmcnt(1)
	v_mul_f64 v[56:57], v[46:47], v[180:181]
	v_fmac_f64_e32 v[56:57], v[48:49], v[184:185]
	v_add_f64 v[58:59], v[54:55], v[56:57]
	ds_read_b128 v[54:57], v1 offset:1760
	s_waitcnt lgkmcnt(1)
	v_mul_f64 v[60:61], v[50:51], v[160:161]
	v_fmac_f64_e32 v[60:61], v[52:53], v[162:163]
	v_add_f64 v[62:63], v[58:59], v[60:61]
	ds_read_b128 v[58:61], v1 offset:1776
	s_waitcnt vmcnt(58) lgkmcnt(1)
	v_mul_f64 v[64:65], v[54:55], v[188:189]
	s_waitcnt vmcnt(56)
	v_fmac_f64_e32 v[64:65], v[56:57], v[192:193]
	v_add_f64 v[66:67], v[62:63], v[64:65]
	ds_read_b128 v[62:65], v1 offset:1792
	s_waitcnt lgkmcnt(1)
	v_mul_f64 v[68:69], v[58:59], v[164:165]
	v_fmac_f64_e32 v[68:69], v[60:61], v[166:167]
	v_add_f64 v[70:71], v[66:67], v[68:69]
	ds_read_b128 v[66:69], v1 offset:1808
	s_waitcnt vmcnt(50) lgkmcnt(1)
	v_mul_f64 v[72:73], v[62:63], v[196:197]
	s_waitcnt vmcnt(48)
	v_fmac_f64_e32 v[72:73], v[64:65], v[198:199]
	v_add_f64 v[74:75], v[70:71], v[72:73]
	ds_read_b128 v[70:73], v1 offset:1824
	s_waitcnt lgkmcnt(1)
	v_mul_f64 v[76:77], v[66:67], v[168:169]
	;; [unrolled: 11-line block ×3, first 2 shown]
	v_fmac_f64_e32 v[84:85], v[76:77], v[178:179]
	v_add_f64 v[90:91], v[82:83], v[84:85]
	ds_read_b128 v[82:85], v1 offset:1872
	ds_read_b128 v[86:89], v1 offset:1888
	s_waitcnt vmcnt(34) lgkmcnt(2)
	v_mul_f64 v[92:93], v[78:79], v[210:211]
	s_waitcnt vmcnt(32)
	v_fmac_f64_e32 v[92:93], v[80:81], v[216:217]
	v_add_f64 v[90:91], v[90:91], v[92:93]
	s_waitcnt lgkmcnt(1)
	v_mul_f64 v[92:93], v[82:83], v[182:183]
	v_fmac_f64_e32 v[92:93], v[84:85], v[186:187]
	v_add_f64 v[90:91], v[90:91], v[92:93]
	s_waitcnt vmcnt(27) lgkmcnt(0)
	v_mul_f64 v[92:93], v[86:87], v[214:215]
	s_waitcnt vmcnt(25)
	v_fmac_f64_e32 v[92:93], v[88:89], v[218:219]
	v_add_f64 v[118:119], v[90:91], v[92:93]
	ds_read_b128 v[90:93], v1 offset:1904
	ds_read_b128 v[94:97], v1 offset:1920
	ds_read_b128 v[110:113], v1 offset:1984
	v_mul_f64 v[4:5], v[28:29], v[138:139]
	v_fma_f64 v[4:5], v[26:27], v[142:143], -v[4:5]
	s_waitcnt lgkmcnt(2)
	v_mul_f64 v[102:103], v[90:91], v[190:191]
	s_waitcnt vmcnt(24)
	v_fmac_f64_e32 v[102:103], v[92:93], v[194:195]
	s_waitcnt vmcnt(18) lgkmcnt(1)
	v_mul_f64 v[104:105], v[94:95], v[220:221]
	v_add_f64 v[102:103], v[118:119], v[102:103]
	s_waitcnt vmcnt(16)
	v_fmac_f64_e32 v[104:105], v[96:97], v[224:225]
	v_add_f64 v[102:103], v[102:103], v[104:105]
	v_mul_f64 v[104:105], v[98:99], v[200:201]
	v_fmac_f64_e32 v[104:105], v[100:101], v[204:205]
	v_add_f64 v[114:115], v[102:103], v[104:105]
	ds_read_b128 v[102:105], v1 offset:1952
	s_waitcnt vmcnt(10) lgkmcnt(0)
	v_mul_f64 v[116:117], v[102:103], v[228:229]
	s_waitcnt vmcnt(8)
	v_fmac_f64_e32 v[116:117], v[104:105], v[230:231]
	v_add_f64 v[114:115], v[114:115], v[116:117]
	v_mul_f64 v[116:117], v[106:107], v[208:209]
	v_fmac_f64_e32 v[116:117], v[108:109], v[212:213]
	v_add_f64 v[114:115], v[114:115], v[116:117]
	s_waitcnt vmcnt(2)
	v_mul_f64 v[116:117], v[110:111], v[232:233]
	s_waitcnt vmcnt(0)
	v_fmac_f64_e32 v[116:117], v[112:113], v[234:235]
	v_add_f64 v[118:119], v[114:115], v[116:117]
	ds_read_b128 v[114:117], v1 offset:2000
	s_waitcnt lgkmcnt(0)
	v_mul_f64 v[236:237], v[114:115], v[222:223]
	v_fmac_f64_e32 v[236:237], v[116:117], v[226:227]
	v_add_f64 v[244:245], v[118:119], v[236:237]
	v_add_f64 v[118:119], v[250:251], 0
	;; [unrolled: 1-line block ×3, first 2 shown]
	buffer_load_dword v252, off, s[0:3], 0 offset:480
	buffer_load_dword v253, off, s[0:3], 0 offset:484
	v_add_f64 v[118:119], v[250:251], v[248:249]
	buffer_load_dword v248, off, s[0:3], 0 offset:488
	buffer_load_dword v249, off, s[0:3], 0 offset:492
	v_add_f64 v[118:119], v[118:119], v[246:247]
	v_add_f64 v[22:23], v[118:119], v[22:23]
	;; [unrolled: 1-line block ×8, first 2 shown]
	v_mul_f64 v[4:5], v[32:33], v[148:149]
	v_fma_f64 v[4:5], v[30:31], v[152:153], -v[4:5]
	v_add_f64 v[2:3], v[2:3], v[4:5]
	v_mul_f64 v[4:5], v[36:37], v[150:151]
	v_fma_f64 v[4:5], v[34:35], v[154:155], -v[4:5]
	v_add_f64 v[2:3], v[2:3], v[4:5]
	;; [unrolled: 3-line block ×22, first 2 shown]
	s_waitcnt vmcnt(2)
	v_add_f64 v[2:3], v[252:253], -v[2:3]
	s_waitcnt vmcnt(0)
	v_add_f64 v[4:5], v[248:249], -v[244:245]
	buffer_store_dword v3, off, s[0:3], 0 offset:484
	buffer_store_dword v2, off, s[0:3], 0 offset:480
	buffer_store_dword v5, off, s[0:3], 0 offset:492
	buffer_store_dword v4, off, s[0:3], 0 offset:488
	s_and_saveexec_b64 s[4:5], vcc
	s_cbranch_execz .LBB126_347
; %bb.346:
	v_accvgpr_read_b32 v0, a160
	buffer_load_dword v2, v0, s[0:3], 0 offen
	buffer_load_dword v3, v0, s[0:3], 0 offen offset:4
	buffer_load_dword v4, v0, s[0:3], 0 offen offset:8
	;; [unrolled: 1-line block ×3, first 2 shown]
	v_accvgpr_read_b32 v0, a189
	buffer_store_dword v1, off, s[0:3], 0 offset:464
	buffer_store_dword v1, off, s[0:3], 0 offset:468
	;; [unrolled: 1-line block ×4, first 2 shown]
	s_waitcnt vmcnt(4)
	ds_write_b128 v0, v[2:5]
.LBB126_347:
	s_or_b64 exec, exec, s[4:5]
	s_waitcnt lgkmcnt(0)
	; wave barrier
	s_waitcnt lgkmcnt(0)
	buffer_load_dword v86, off, s[0:3], 0 offset:480
	buffer_load_dword v87, off, s[0:3], 0 offset:484
	;; [unrolled: 1-line block ×42, first 2 shown]
	ds_read_b128 v[94:97], v1 offset:1472
	ds_read_b128 v[106:109], v1 offset:1488
	ds_read_b128 v[114:117], v1 offset:1504
	ds_read_b128 v[236:239], v1 offset:1520
	ds_read_b128 v[240:243], v1 offset:1536
	ds_read_b128 v[22:25], v1 offset:1552
	ds_read_b128 v[18:21], v1 offset:1568
	ds_read_b128 v[14:17], v1 offset:1584
	ds_read_b128 v[10:13], v1 offset:1600
	ds_read_b128 v[2:5], v1 offset:1616
	buffer_load_dword v147, off, s[0:3], 0 offset:628
	buffer_load_dword v146, off, s[0:3], 0 offset:624
	ds_read_b128 v[6:9], v1 offset:1632
	buffer_load_dword v143, off, s[0:3], 0 offset:684
	buffer_load_dword v142, off, s[0:3], 0 offset:680
	;; [unrolled: 1-line block ×80, first 2 shown]
	s_waitcnt vmcnt(62) lgkmcnt(10)
	v_mul_f64 v[26:27], v[94:95], v[88:89]
	v_fmac_f64_e32 v[26:27], v[96:97], v[86:87]
	v_add_f64 v[26:27], v[26:27], 0
	v_mul_f64 v[88:89], v[96:97], v[88:89]
	s_waitcnt lgkmcnt(9)
	v_mul_f64 v[28:29], v[106:107], v[92:93]
	v_fmac_f64_e32 v[28:29], v[108:109], v[90:91]
	s_waitcnt lgkmcnt(8)
	v_mul_f64 v[30:31], v[114:115], v[98:99]
	v_add_f64 v[26:27], v[26:27], v[28:29]
	s_waitcnt lgkmcnt(6)
	v_mul_f64 v[34:35], v[240:241], v[110:111]
	v_fma_f64 v[250:251], v[94:95], v[86:87], -v[88:89]
	v_fmac_f64_e32 v[34:35], v[242:243], v[112:113]
	v_mul_f64 v[92:93], v[108:109], v[92:93]
	v_mul_f64 v[32:33], v[236:237], v[102:103]
	;; [unrolled: 1-line block ×3, first 2 shown]
	s_waitcnt lgkmcnt(4)
	v_mul_f64 v[38:39], v[18:19], v[120:121]
	v_mul_f64 v[102:103], v[238:239], v[102:103]
	v_fmac_f64_e32 v[38:39], v[20:21], v[122:123]
	v_mul_f64 v[110:111], v[242:243], v[110:111]
	v_mul_f64 v[36:37], v[22:23], v[124:125]
	v_fma_f64 v[248:249], v[240:241], v[112:113], -v[110:111]
	s_waitcnt lgkmcnt(2)
	v_mul_f64 v[42:43], v[10:11], v[126:127]
	v_mul_f64 v[20:21], v[20:21], v[120:121]
	v_fma_f64 v[18:19], v[18:19], v[122:123], -v[20:21]
	v_mul_f64 v[40:41], v[14:15], v[132:133]
	s_waitcnt lgkmcnt(1)
	v_mul_f64 v[44:45], v[2:3], v[130:131]
	v_fmac_f64_e32 v[30:31], v[116:117], v[100:101]
	v_add_f64 v[26:27], v[26:27], v[30:31]
	v_fmac_f64_e32 v[32:33], v[238:239], v[104:105]
	v_add_f64 v[26:27], v[26:27], v[32:33]
	;; [unrolled: 2-line block ×3, first 2 shown]
	v_add_f64 v[26:27], v[26:27], v[36:37]
	v_fmac_f64_e32 v[40:41], v[16:17], v[134:135]
	v_add_f64 v[26:27], v[26:27], v[38:39]
	v_fmac_f64_e32 v[42:43], v[12:13], v[128:129]
	v_add_f64 v[26:27], v[26:27], v[40:41]
	v_add_f64 v[26:27], v[26:27], v[42:43]
	s_waitcnt lgkmcnt(0)
	v_mul_f64 v[32:33], v[6:7], v[138:139]
	v_fmac_f64_e32 v[44:45], v[4:5], v[146:147]
	v_add_f64 v[30:31], v[26:27], v[44:45]
	ds_read_b128 v[26:29], v1 offset:1648
	v_fmac_f64_e32 v[32:33], v[8:9], v[140:141]
	v_add_f64 v[34:35], v[30:31], v[32:33]
	ds_read_b128 v[30:33], v1 offset:1664
	v_fma_f64 v[252:253], v[114:115], v[100:101], -v[98:99]
	s_waitcnt lgkmcnt(1)
	v_mul_f64 v[36:37], v[26:27], v[148:149]
	v_fmac_f64_e32 v[36:37], v[28:29], v[164:165]
	v_add_f64 v[38:39], v[34:35], v[36:37]
	ds_read_b128 v[34:37], v1 offset:1680
	s_waitcnt lgkmcnt(1)
	v_mul_f64 v[40:41], v[30:31], v[142:143]
	v_fmac_f64_e32 v[40:41], v[32:33], v[144:145]
	v_add_f64 v[42:43], v[38:39], v[40:41]
	ds_read_b128 v[38:41], v1 offset:1696
	;; [unrolled: 5-line block ×4, first 2 shown]
	s_waitcnt vmcnt(58) lgkmcnt(1)
	v_mul_f64 v[52:53], v[42:43], v[176:177]
	s_waitcnt vmcnt(56)
	v_fmac_f64_e32 v[52:53], v[44:45], v[180:181]
	v_add_f64 v[54:55], v[50:51], v[52:53]
	ds_read_b128 v[50:53], v1 offset:1744
	buffer_load_dword v224, off, s[0:3], 0 offset:1000
	buffer_load_dword v229, off, s[0:3], 0 offset:988
	;; [unrolled: 1-line block ×8, first 2 shown]
	s_waitcnt lgkmcnt(1)
	v_mul_f64 v[56:57], v[46:47], v[154:155]
	v_fmac_f64_e32 v[56:57], v[48:49], v[156:157]
	v_add_f64 v[58:59], v[54:55], v[56:57]
	ds_read_b128 v[54:57], v1 offset:1760
	buffer_load_dword v233, off, s[0:3], 0 offset:1020
	buffer_load_dword v232, off, s[0:3], 0 offset:1016
	;; [unrolled: 1-line block ×4, first 2 shown]
	s_waitcnt vmcnt(62) lgkmcnt(1)
	v_mul_f64 v[60:61], v[50:51], v[184:185]
	s_waitcnt vmcnt(60)
	v_fmac_f64_e32 v[60:61], v[52:53], v[188:189]
	v_add_f64 v[62:63], v[58:59], v[60:61]
	ds_read_b128 v[58:61], v1 offset:1776
	s_waitcnt lgkmcnt(1)
	v_mul_f64 v[64:65], v[54:55], v[158:159]
	v_fmac_f64_e32 v[64:65], v[56:57], v[160:161]
	v_add_f64 v[66:67], v[62:63], v[64:65]
	ds_read_b128 v[62:65], v1 offset:1792
	s_waitcnt vmcnt(54) lgkmcnt(1)
	v_mul_f64 v[68:69], v[58:59], v[192:193]
	s_waitcnt vmcnt(52)
	v_fmac_f64_e32 v[68:69], v[60:61], v[196:197]
	v_add_f64 v[70:71], v[66:67], v[68:69]
	ds_read_b128 v[66:69], v1 offset:1808
	s_waitcnt lgkmcnt(1)
	v_mul_f64 v[72:73], v[62:63], v[162:163]
	v_fmac_f64_e32 v[72:73], v[64:65], v[166:167]
	v_add_f64 v[74:75], v[70:71], v[72:73]
	ds_read_b128 v[70:73], v1 offset:1824
	s_waitcnt vmcnt(46) lgkmcnt(1)
	v_mul_f64 v[76:77], v[66:67], v[200:201]
	s_waitcnt vmcnt(44)
	v_fmac_f64_e32 v[76:77], v[68:69], v[204:205]
	v_add_f64 v[82:83], v[74:75], v[76:77]
	ds_read_b128 v[74:77], v1 offset:1840
	ds_read_b128 v[78:81], v1 offset:1856
	s_waitcnt lgkmcnt(2)
	v_mul_f64 v[84:85], v[70:71], v[170:171]
	v_fmac_f64_e32 v[84:85], v[72:73], v[174:175]
	v_add_f64 v[82:83], v[82:83], v[84:85]
	s_waitcnt vmcnt(38) lgkmcnt(1)
	v_mul_f64 v[84:85], v[74:75], v[208:209]
	s_waitcnt vmcnt(36)
	v_fmac_f64_e32 v[84:85], v[76:77], v[210:211]
	v_add_f64 v[82:83], v[82:83], v[84:85]
	s_waitcnt lgkmcnt(0)
	v_mul_f64 v[84:85], v[78:79], v[178:179]
	v_fmac_f64_e32 v[84:85], v[80:81], v[182:183]
	v_add_f64 v[118:119], v[82:83], v[84:85]
	ds_read_b128 v[82:85], v1 offset:1872
	ds_read_b128 v[86:89], v1 offset:1888
	;; [unrolled: 1-line block ×3, first 2 shown]
	v_fma_f64 v[246:247], v[236:237], v[104:105], -v[102:103]
	ds_read_b128 v[102:105], v1 offset:1968
	ds_read_b128 v[110:113], v1 offset:1984
	s_waitcnt vmcnt(30) lgkmcnt(4)
	v_mul_f64 v[94:95], v[82:83], v[212:213]
	s_waitcnt vmcnt(28)
	v_fmac_f64_e32 v[94:95], v[84:85], v[214:215]
	v_add_f64 v[94:95], v[118:119], v[94:95]
	v_fma_f64 v[118:119], v[106:107], v[90:91], -v[92:93]
	ds_read_b128 v[90:93], v1 offset:1904
	s_waitcnt lgkmcnt(4)
	v_mul_f64 v[96:97], v[86:87], v[186:187]
	v_fmac_f64_e32 v[96:97], v[88:89], v[190:191]
	v_add_f64 v[106:107], v[94:95], v[96:97]
	ds_read_b128 v[94:97], v1 offset:1920
	s_waitcnt vmcnt(22) lgkmcnt(1)
	v_mul_f64 v[108:109], v[90:91], v[216:217]
	s_waitcnt vmcnt(20)
	v_fmac_f64_e32 v[108:109], v[92:93], v[218:219]
	v_add_f64 v[106:107], v[106:107], v[108:109]
	v_mul_f64 v[24:25], v[24:25], v[124:125]
	s_waitcnt lgkmcnt(0)
	v_mul_f64 v[108:109], v[94:95], v[194:195]
	v_fmac_f64_e32 v[108:109], v[96:97], v[198:199]
	v_add_f64 v[114:115], v[106:107], v[108:109]
	ds_read_b128 v[106:109], v1 offset:1952
	s_waitcnt vmcnt(14)
	v_mul_f64 v[116:117], v[98:99], v[220:221]
	s_waitcnt vmcnt(12)
	v_fmac_f64_e32 v[116:117], v[100:101], v[222:223]
	v_add_f64 v[114:115], v[114:115], v[116:117]
	v_fma_f64 v[22:23], v[22:23], v[136:137], -v[24:25]
	s_waitcnt lgkmcnt(0)
	v_mul_f64 v[116:117], v[106:107], v[202:203]
	v_fmac_f64_e32 v[116:117], v[108:109], v[206:207]
	v_add_f64 v[114:115], v[114:115], v[116:117]
	v_mul_f64 v[16:17], v[16:17], v[132:133]
	v_fma_f64 v[14:15], v[14:15], v[134:135], -v[16:17]
	v_mul_f64 v[12:13], v[12:13], v[126:127]
	v_fma_f64 v[10:11], v[10:11], v[128:129], -v[12:13]
	;; [unrolled: 2-line block ×3, first 2 shown]
	s_waitcnt vmcnt(9)
	v_mul_f64 v[116:117], v[102:103], v[228:229]
	s_waitcnt vmcnt(7)
	v_fmac_f64_e32 v[116:117], v[104:105], v[230:231]
	v_add_f64 v[114:115], v[114:115], v[116:117]
	s_waitcnt vmcnt(5)
	v_mul_f64 v[116:117], v[110:111], v[224:225]
	s_waitcnt vmcnt(4)
	v_fmac_f64_e32 v[116:117], v[112:113], v[226:227]
	v_add_f64 v[236:237], v[114:115], v[116:117]
	ds_read_b128 v[114:117], v1 offset:2000
	s_waitcnt vmcnt(2) lgkmcnt(0)
	v_mul_f64 v[0:1], v[114:115], v[232:233]
	s_waitcnt vmcnt(0)
	v_fmac_f64_e32 v[0:1], v[116:117], v[234:235]
	v_add_f64 v[244:245], v[236:237], v[0:1]
	v_add_f64 v[0:1], v[250:251], 0
	;; [unrolled: 1-line block ×4, first 2 shown]
	buffer_load_dword v254, off, s[0:3], 0 offset:464
	buffer_load_dword v255, off, s[0:3], 0 offset:468
	;; [unrolled: 1-line block ×4, first 2 shown]
	v_add_f64 v[0:1], v[250:251], v[246:247]
	v_add_f64 v[0:1], v[0:1], v[248:249]
	;; [unrolled: 1-line block ×7, first 2 shown]
	v_mul_f64 v[2:3], v[8:9], v[138:139]
	v_fma_f64 v[2:3], v[6:7], v[140:141], -v[2:3]
	v_add_f64 v[0:1], v[0:1], v[2:3]
	v_mul_f64 v[2:3], v[28:29], v[148:149]
	v_fma_f64 v[2:3], v[26:27], v[164:165], -v[2:3]
	v_add_f64 v[0:1], v[0:1], v[2:3]
	v_mul_f64 v[2:3], v[32:33], v[142:143]
	v_fma_f64 v[2:3], v[30:31], v[144:145], -v[2:3]
	v_add_f64 v[0:1], v[0:1], v[2:3]
	v_mul_f64 v[2:3], v[36:37], v[168:169]
	v_fma_f64 v[2:3], v[34:35], v[172:173], -v[2:3]
	v_add_f64 v[0:1], v[0:1], v[2:3]
	v_mul_f64 v[2:3], v[40:41], v[150:151]
	v_fma_f64 v[2:3], v[38:39], v[152:153], -v[2:3]
	v_add_f64 v[0:1], v[0:1], v[2:3]
	v_mul_f64 v[2:3], v[44:45], v[176:177]
	v_fma_f64 v[2:3], v[42:43], v[180:181], -v[2:3]
	v_add_f64 v[0:1], v[0:1], v[2:3]
	v_mul_f64 v[2:3], v[48:49], v[154:155]
	v_fma_f64 v[2:3], v[46:47], v[156:157], -v[2:3]
	v_add_f64 v[0:1], v[0:1], v[2:3]
	v_mul_f64 v[2:3], v[52:53], v[184:185]
	v_fma_f64 v[2:3], v[50:51], v[188:189], -v[2:3]
	v_add_f64 v[0:1], v[0:1], v[2:3]
	v_mul_f64 v[2:3], v[56:57], v[158:159]
	v_fma_f64 v[2:3], v[54:55], v[160:161], -v[2:3]
	v_add_f64 v[0:1], v[0:1], v[2:3]
	v_mul_f64 v[2:3], v[60:61], v[192:193]
	v_fma_f64 v[2:3], v[58:59], v[196:197], -v[2:3]
	v_add_f64 v[0:1], v[0:1], v[2:3]
	v_mul_f64 v[2:3], v[64:65], v[162:163]
	v_fma_f64 v[2:3], v[62:63], v[166:167], -v[2:3]
	v_add_f64 v[0:1], v[0:1], v[2:3]
	v_mul_f64 v[2:3], v[68:69], v[200:201]
	v_fma_f64 v[2:3], v[66:67], v[204:205], -v[2:3]
	v_add_f64 v[0:1], v[0:1], v[2:3]
	v_mul_f64 v[2:3], v[72:73], v[170:171]
	v_fma_f64 v[2:3], v[70:71], v[174:175], -v[2:3]
	v_add_f64 v[0:1], v[0:1], v[2:3]
	v_mul_f64 v[2:3], v[76:77], v[208:209]
	v_fma_f64 v[2:3], v[74:75], v[210:211], -v[2:3]
	v_add_f64 v[0:1], v[0:1], v[2:3]
	v_mul_f64 v[2:3], v[80:81], v[178:179]
	v_fma_f64 v[2:3], v[78:79], v[182:183], -v[2:3]
	v_add_f64 v[0:1], v[0:1], v[2:3]
	v_mul_f64 v[2:3], v[84:85], v[212:213]
	v_fma_f64 v[2:3], v[82:83], v[214:215], -v[2:3]
	v_add_f64 v[0:1], v[0:1], v[2:3]
	v_mul_f64 v[2:3], v[88:89], v[186:187]
	v_fma_f64 v[2:3], v[86:87], v[190:191], -v[2:3]
	v_add_f64 v[0:1], v[0:1], v[2:3]
	v_mul_f64 v[2:3], v[92:93], v[216:217]
	v_fma_f64 v[2:3], v[90:91], v[218:219], -v[2:3]
	v_add_f64 v[0:1], v[0:1], v[2:3]
	v_mul_f64 v[2:3], v[96:97], v[194:195]
	v_fma_f64 v[2:3], v[94:95], v[198:199], -v[2:3]
	v_add_f64 v[0:1], v[0:1], v[2:3]
	v_mul_f64 v[2:3], v[100:101], v[220:221]
	v_fma_f64 v[2:3], v[98:99], v[222:223], -v[2:3]
	v_add_f64 v[0:1], v[0:1], v[2:3]
	v_mul_f64 v[2:3], v[108:109], v[202:203]
	v_fma_f64 v[2:3], v[106:107], v[206:207], -v[2:3]
	v_add_f64 v[0:1], v[0:1], v[2:3]
	v_mul_f64 v[2:3], v[104:105], v[228:229]
	v_fma_f64 v[2:3], v[102:103], v[230:231], -v[2:3]
	v_add_f64 v[0:1], v[0:1], v[2:3]
	v_mul_f64 v[2:3], v[112:113], v[224:225]
	v_fma_f64 v[2:3], v[110:111], v[226:227], -v[2:3]
	v_add_f64 v[0:1], v[0:1], v[2:3]
	v_mul_f64 v[2:3], v[116:117], v[232:233]
	v_fma_f64 v[2:3], v[114:115], v[234:235], -v[2:3]
	v_add_f64 v[0:1], v[0:1], v[2:3]
	s_waitcnt vmcnt(2)
	v_add_f64 v[0:1], v[254:255], -v[0:1]
	v_accvgpr_read_b32 v254, a188
	v_cmp_lt_u32_e32 vcc, 27, v254
	s_waitcnt vmcnt(0)
	v_add_f64 v[2:3], v[252:253], -v[244:245]
	buffer_store_dword v1, off, s[0:3], 0 offset:468
	buffer_store_dword v0, off, s[0:3], 0 offset:464
	;; [unrolled: 1-line block ×4, first 2 shown]
	s_and_saveexec_b64 s[4:5], vcc
	s_cbranch_execz .LBB126_349
; %bb.348:
	v_accvgpr_read_b32 v0, a161
	buffer_load_dword v2, v0, s[0:3], 0 offen
	buffer_load_dword v3, v0, s[0:3], 0 offen offset:4
	buffer_load_dword v4, v0, s[0:3], 0 offen offset:8
	;; [unrolled: 1-line block ×3, first 2 shown]
	v_mov_b32_e32 v0, 0
	v_accvgpr_read_b32 v1, a189
	buffer_store_dword v0, off, s[0:3], 0 offset:448
	buffer_store_dword v0, off, s[0:3], 0 offset:452
	;; [unrolled: 1-line block ×4, first 2 shown]
	s_waitcnt vmcnt(4)
	ds_write_b128 v1, v[2:5]
.LBB126_349:
	s_or_b64 exec, exec, s[4:5]
	s_waitcnt lgkmcnt(0)
	; wave barrier
	s_waitcnt lgkmcnt(0)
	buffer_load_dword v82, off, s[0:3], 0 offset:464
	buffer_load_dword v83, off, s[0:3], 0 offset:468
	;; [unrolled: 1-line block ×54, first 2 shown]
	v_mov_b32_e32 v1, 0
	ds_read_b128 v[90:93], v1 offset:1456
	ds_read_b128 v[106:109], v1 offset:1472
	ds_read_b128 v[114:117], v1 offset:1488
	ds_read_b128 v[234:237], v1 offset:1504
	ds_read_b128 v[238:241], v1 offset:1520
	ds_read_b128 v[242:245], v1 offset:1536
	ds_read_b128 v[10:13], v1 offset:1552
	ds_read_b128 v[6:9], v1 offset:1568
	ds_read_b128 v[2:5], v1 offset:1584
	buffer_load_dword v151, off, s[0:3], 0 offset:692
	buffer_load_dword v150, off, s[0:3], 0 offset:688
	;; [unrolled: 1-line block ×62, first 2 shown]
	v_cmp_lt_u32_e32 vcc, 26, v254
	s_waitcnt vmcnt(62) lgkmcnt(8)
	v_mul_f64 v[14:15], v[90:91], v[84:85]
	v_fmac_f64_e32 v[14:15], v[92:93], v[82:83]
	v_add_f64 v[14:15], v[14:15], 0
	v_mul_f64 v[84:85], v[92:93], v[84:85]
	s_waitcnt lgkmcnt(7)
	v_mul_f64 v[16:17], v[106:107], v[88:89]
	v_fmac_f64_e32 v[16:17], v[108:109], v[86:87]
	s_waitcnt lgkmcnt(6)
	v_mul_f64 v[18:19], v[114:115], v[94:95]
	v_add_f64 v[14:15], v[14:15], v[16:17]
	s_waitcnt lgkmcnt(4)
	v_mul_f64 v[22:23], v[238:239], v[102:103]
	v_fma_f64 v[246:247], v[90:91], v[82:83], -v[84:85]
	v_fmac_f64_e32 v[22:23], v[240:241], v[104:105]
	v_mul_f64 v[88:89], v[108:109], v[88:89]
	v_mul_f64 v[20:21], v[234:235], v[98:99]
	v_fma_f64 v[248:249], v[106:107], v[86:87], -v[88:89]
	s_waitcnt lgkmcnt(2)
	v_mul_f64 v[26:27], v[10:11], v[120:121]
	v_mul_f64 v[94:95], v[116:117], v[94:95]
	v_fmac_f64_e32 v[26:27], v[12:13], v[122:123]
	v_mul_f64 v[98:99], v[236:237], v[98:99]
	v_mul_f64 v[24:25], v[242:243], v[110:111]
	v_mul_f64 v[102:103], v[240:241], v[102:103]
	s_waitcnt lgkmcnt(1)
	v_mul_f64 v[28:29], v[6:7], v[124:125]
	v_mul_f64 v[110:111], v[244:245], v[110:111]
	v_fmac_f64_e32 v[18:19], v[116:117], v[96:97]
	v_add_f64 v[14:15], v[14:15], v[18:19]
	v_fmac_f64_e32 v[20:21], v[236:237], v[100:101]
	v_add_f64 v[14:15], v[14:15], v[20:21]
	;; [unrolled: 2-line block ×3, first 2 shown]
	v_add_f64 v[14:15], v[14:15], v[24:25]
	v_fmac_f64_e32 v[28:29], v[8:9], v[128:129]
	v_add_f64 v[14:15], v[14:15], v[26:27]
	v_add_f64 v[18:19], v[14:15], v[28:29]
	ds_read_b128 v[14:17], v1 offset:1600
	s_waitcnt lgkmcnt(1)
	v_mul_f64 v[20:21], v[2:3], v[126:127]
	v_fmac_f64_e32 v[20:21], v[4:5], v[130:131]
	v_add_f64 v[22:23], v[18:19], v[20:21]
	ds_read_b128 v[18:21], v1 offset:1616
	s_waitcnt lgkmcnt(1)
	v_mul_f64 v[24:25], v[14:15], v[136:137]
	v_fmac_f64_e32 v[24:25], v[16:17], v[138:139]
	;; [unrolled: 5-line block ×5, first 2 shown]
	v_add_f64 v[38:39], v[34:35], v[36:37]
	ds_read_b128 v[34:37], v1 offset:1680
	s_waitcnt vmcnt(58) lgkmcnt(1)
	v_mul_f64 v[40:41], v[30:31], v[164:165]
	s_waitcnt vmcnt(56)
	v_fmac_f64_e32 v[40:41], v[32:33], v[168:169]
	v_add_f64 v[42:43], v[38:39], v[40:41]
	ds_read_b128 v[38:41], v1 offset:1696
	s_waitcnt lgkmcnt(1)
	v_mul_f64 v[44:45], v[34:35], v[144:145]
	v_fmac_f64_e32 v[44:45], v[36:37], v[150:151]
	v_add_f64 v[46:47], v[42:43], v[44:45]
	ds_read_b128 v[42:45], v1 offset:1712
	s_waitcnt vmcnt(50) lgkmcnt(1)
	v_mul_f64 v[48:49], v[38:39], v[172:173]
	s_waitcnt vmcnt(48)
	v_fmac_f64_e32 v[48:49], v[40:41], v[176:177]
	v_add_f64 v[50:51], v[46:47], v[48:49]
	ds_read_b128 v[46:49], v1 offset:1728
	buffer_load_dword v213, off, s[0:3], 0 offset:940
	buffer_load_dword v212, off, s[0:3], 0 offset:936
	;; [unrolled: 1-line block ×8, first 2 shown]
	s_waitcnt lgkmcnt(1)
	v_mul_f64 v[52:53], v[42:43], v[152:153]
	v_fmac_f64_e32 v[52:53], v[44:45], v[154:155]
	v_add_f64 v[54:55], v[50:51], v[52:53]
	ds_read_b128 v[50:53], v1 offset:1744
	s_waitcnt vmcnt(50) lgkmcnt(1)
	v_mul_f64 v[56:57], v[46:47], v[180:181]
	s_waitcnt vmcnt(48)
	v_fmac_f64_e32 v[56:57], v[48:49], v[184:185]
	buffer_load_dword v217, off, s[0:3], 0 offset:988
	buffer_load_dword v223, off, s[0:3], 0 offset:972
	;; [unrolled: 1-line block ×12, first 2 shown]
	v_add_f64 v[58:59], v[54:55], v[56:57]
	ds_read_b128 v[54:57], v1 offset:1760
	s_waitcnt lgkmcnt(1)
	v_mul_f64 v[60:61], v[50:51], v[156:157]
	v_fmac_f64_e32 v[60:61], v[52:53], v[158:159]
	v_add_f64 v[62:63], v[58:59], v[60:61]
	ds_read_b128 v[58:61], v1 offset:1776
	s_waitcnt vmcnt(54) lgkmcnt(1)
	v_mul_f64 v[64:65], v[54:55], v[188:189]
	s_waitcnt vmcnt(52)
	v_fmac_f64_e32 v[64:65], v[56:57], v[192:193]
	v_add_f64 v[66:67], v[62:63], v[64:65]
	ds_read_b128 v[62:65], v1 offset:1792
	s_waitcnt lgkmcnt(1)
	v_mul_f64 v[68:69], v[58:59], v[160:161]
	v_fmac_f64_e32 v[68:69], v[60:61], v[162:163]
	v_add_f64 v[70:71], v[66:67], v[68:69]
	ds_read_b128 v[66:69], v1 offset:1808
	s_waitcnt vmcnt(46) lgkmcnt(1)
	v_mul_f64 v[72:73], v[62:63], v[196:197]
	s_waitcnt vmcnt(44)
	v_fmac_f64_e32 v[72:73], v[64:65], v[198:199]
	v_add_f64 v[78:79], v[70:71], v[72:73]
	ds_read_b128 v[70:73], v1 offset:1824
	ds_read_b128 v[74:77], v1 offset:1840
	s_waitcnt lgkmcnt(2)
	v_mul_f64 v[80:81], v[66:67], v[166:167]
	v_fmac_f64_e32 v[80:81], v[68:69], v[170:171]
	v_add_f64 v[78:79], v[78:79], v[80:81]
	s_waitcnt vmcnt(38) lgkmcnt(1)
	v_mul_f64 v[80:81], v[70:71], v[200:201]
	s_waitcnt vmcnt(36)
	v_fmac_f64_e32 v[80:81], v[72:73], v[202:203]
	v_add_f64 v[78:79], v[78:79], v[80:81]
	s_waitcnt lgkmcnt(0)
	v_mul_f64 v[80:81], v[74:75], v[174:175]
	v_fmac_f64_e32 v[80:81], v[76:77], v[178:179]
	v_add_f64 v[118:119], v[78:79], v[80:81]
	ds_read_b128 v[78:81], v1 offset:1856
	ds_read_b128 v[82:85], v1 offset:1872
	;; [unrolled: 1-line block ×3, first 2 shown]
	v_fma_f64 v[236:237], v[234:235], v[100:101], -v[98:99]
	ds_read_b128 v[98:101], v1 offset:1936
	s_waitcnt vmcnt(30) lgkmcnt(3)
	v_mul_f64 v[90:91], v[78:79], v[204:205]
	s_waitcnt vmcnt(28)
	v_fmac_f64_e32 v[90:91], v[80:81], v[206:207]
	s_waitcnt lgkmcnt(2)
	v_mul_f64 v[92:93], v[82:83], v[182:183]
	v_add_f64 v[90:91], v[118:119], v[90:91]
	v_fmac_f64_e32 v[92:93], v[84:85], v[186:187]
	v_add_f64 v[90:91], v[90:91], v[92:93]
	v_fma_f64 v[118:119], v[114:115], v[96:97], -v[94:95]
	ds_read_b128 v[94:97], v1 offset:1920
	s_waitcnt vmcnt(22) lgkmcnt(2)
	v_mul_f64 v[92:93], v[86:87], v[208:209]
	s_waitcnt vmcnt(20)
	v_fmac_f64_e32 v[92:93], v[88:89], v[210:211]
	v_add_f64 v[106:107], v[90:91], v[92:93]
	ds_read_b128 v[90:93], v1 offset:1904
	buffer_load_dword v232, off, s[0:3], 0 offset:1016
	v_fma_f64 v[238:239], v[238:239], v[104:105], -v[102:103]
	ds_read_b128 v[102:105], v1 offset:1952
	v_fma_f64 v[250:251], v[242:243], v[112:113], -v[110:111]
	s_waitcnt lgkmcnt(1)
	v_mul_f64 v[108:109], v[90:91], v[190:191]
	v_fmac_f64_e32 v[108:109], v[92:93], v[194:195]
	v_add_f64 v[106:107], v[106:107], v[108:109]
	ds_read_b128 v[110:113], v1 offset:1984
	v_mul_f64 v[12:13], v[12:13], v[120:121]
	v_fma_f64 v[10:11], v[10:11], v[122:123], -v[12:13]
	v_mul_f64 v[8:9], v[8:9], v[124:125]
	v_fma_f64 v[6:7], v[6:7], v[128:129], -v[8:9]
	;; [unrolled: 2-line block ×4, first 2 shown]
	s_waitcnt vmcnt(19)
	v_mul_f64 v[108:109], v[94:95], v[212:213]
	s_waitcnt vmcnt(17)
	v_fmac_f64_e32 v[108:109], v[96:97], v[214:215]
	v_add_f64 v[106:107], v[106:107], v[108:109]
	s_waitcnt vmcnt(15)
	v_mul_f64 v[108:109], v[98:99], v[218:219]
	s_waitcnt vmcnt(13)
	v_fmac_f64_e32 v[108:109], v[100:101], v[220:221]
	v_add_f64 v[114:115], v[106:107], v[108:109]
	ds_read_b128 v[106:109], v1 offset:1968
	buffer_load_dword v244, off, s[0:3], 0 offset:1008
	buffer_load_dword v233, off, s[0:3], 0 offset:1020
	buffer_load_dword v245, off, s[0:3], 0 offset:1012
	s_waitcnt vmcnt(13) lgkmcnt(2)
	v_mul_f64 v[116:117], v[102:103], v[222:223]
	s_waitcnt vmcnt(11)
	v_fmac_f64_e32 v[116:117], v[104:105], v[228:229]
	v_add_f64 v[114:115], v[114:115], v[116:117]
	s_waitcnt vmcnt(10) lgkmcnt(0)
	v_mul_f64 v[116:117], v[106:107], v[216:217]
	s_waitcnt vmcnt(8)
	v_fmac_f64_e32 v[116:117], v[108:109], v[226:227]
	v_add_f64 v[114:115], v[114:115], v[116:117]
	s_waitcnt vmcnt(6)
	v_mul_f64 v[116:117], v[110:111], v[224:225]
	s_waitcnt vmcnt(4)
	v_fmac_f64_e32 v[116:117], v[112:113], v[230:231]
	v_add_f64 v[234:235], v[114:115], v[116:117]
	ds_read_b128 v[114:117], v1 offset:2000
	s_waitcnt vmcnt(1) lgkmcnt(0)
	v_mul_f64 v[240:241], v[114:115], v[232:233]
	s_waitcnt vmcnt(0)
	v_fmac_f64_e32 v[240:241], v[116:117], v[244:245]
	v_add_f64 v[234:235], v[234:235], v[240:241]
	v_add_f64 v[240:241], v[246:247], 0
	;; [unrolled: 1-line block ×3, first 2 shown]
	buffer_load_dword v248, off, s[0:3], 0 offset:448
	buffer_load_dword v249, off, s[0:3], 0 offset:452
	;; [unrolled: 1-line block ×4, first 2 shown]
	v_add_f64 v[118:119], v[240:241], v[118:119]
	v_add_f64 v[118:119], v[118:119], v[236:237]
	;; [unrolled: 1-line block ×8, first 2 shown]
	v_mul_f64 v[4:5], v[20:21], v[132:133]
	v_fma_f64 v[4:5], v[18:19], v[134:135], -v[4:5]
	v_add_f64 v[2:3], v[2:3], v[4:5]
	v_mul_f64 v[4:5], v[24:25], v[146:147]
	v_fma_f64 v[4:5], v[22:23], v[148:149], -v[4:5]
	v_add_f64 v[2:3], v[2:3], v[4:5]
	;; [unrolled: 3-line block ×25, first 2 shown]
	s_waitcnt vmcnt(2)
	v_add_f64 v[2:3], v[248:249], -v[2:3]
	s_waitcnt vmcnt(0)
	v_add_f64 v[4:5], v[246:247], -v[234:235]
	buffer_store_dword v3, off, s[0:3], 0 offset:452
	buffer_store_dword v2, off, s[0:3], 0 offset:448
	;; [unrolled: 1-line block ×4, first 2 shown]
	s_and_saveexec_b64 s[4:5], vcc
	s_cbranch_execz .LBB126_351
; %bb.350:
	v_accvgpr_read_b32 v0, a162
	buffer_load_dword v2, v0, s[0:3], 0 offen
	buffer_load_dword v3, v0, s[0:3], 0 offen offset:4
	buffer_load_dword v4, v0, s[0:3], 0 offen offset:8
	;; [unrolled: 1-line block ×3, first 2 shown]
	v_accvgpr_read_b32 v0, a189
	buffer_store_dword v1, off, s[0:3], 0 offset:432
	buffer_store_dword v1, off, s[0:3], 0 offset:436
	buffer_store_dword v1, off, s[0:3], 0 offset:440
	buffer_store_dword v1, off, s[0:3], 0 offset:444
	s_waitcnt vmcnt(4)
	ds_write_b128 v0, v[2:5]
.LBB126_351:
	s_or_b64 exec, exec, s[4:5]
	s_waitcnt lgkmcnt(0)
	; wave barrier
	s_waitcnt lgkmcnt(0)
	buffer_load_dword v84, off, s[0:3], 0 offset:448
	buffer_load_dword v85, off, s[0:3], 0 offset:452
	;; [unrolled: 1-line block ×34, first 2 shown]
	ds_read_b128 v[74:77], v1 offset:1440
	ds_read_b128 v[78:81], v1 offset:1456
	;; [unrolled: 1-line block ×8, first 2 shown]
	buffer_load_dword v127, off, s[0:3], 0 offset:564
	buffer_load_dword v126, off, s[0:3], 0 offset:560
	ds_read_b128 v[6:9], v1 offset:1568
	buffer_load_dword v129, off, s[0:3], 0 offset:620
	buffer_load_dword v128, off, s[0:3], 0 offset:616
	;; [unrolled: 1-line block ×80, first 2 shown]
	s_waitcnt vmcnt(62) lgkmcnt(8)
	v_mul_f64 v[10:11], v[74:75], v[106:107]
	v_fmac_f64_e32 v[10:11], v[76:77], v[84:85]
	v_add_f64 v[10:11], v[10:11], 0
	v_mul_f64 v[76:77], v[76:77], v[106:107]
	s_waitcnt lgkmcnt(7)
	v_mul_f64 v[12:13], v[78:79], v[96:97]
	v_fmac_f64_e32 v[12:13], v[80:81], v[82:83]
	s_waitcnt lgkmcnt(6)
	v_mul_f64 v[14:15], v[86:87], v[94:95]
	v_add_f64 v[10:11], v[10:11], v[12:13]
	s_waitcnt lgkmcnt(4)
	v_mul_f64 v[18:19], v[98:99], v[108:109]
	v_fma_f64 v[236:237], v[74:75], v[84:85], -v[76:77]
	v_fmac_f64_e32 v[18:19], v[100:101], v[114:115]
	v_mul_f64 v[80:81], v[80:81], v[96:97]
	v_mul_f64 v[16:17], v[90:91], v[116:117]
	v_fma_f64 v[238:239], v[78:79], v[82:83], -v[80:81]
	s_waitcnt lgkmcnt(2)
	v_mul_f64 v[22:23], v[110:111], v[232:233]
	v_mul_f64 v[100:101], v[100:101], v[108:109]
	v_fma_f64 v[242:243], v[98:99], v[114:115], -v[100:101]
	v_mul_f64 v[20:21], v[102:103], v[244:245]
	s_waitcnt lgkmcnt(1)
	v_mul_f64 v[24:25], v[2:3], v[120:121]
	v_fmac_f64_e32 v[14:15], v[88:89], v[250:251]
	v_add_f64 v[10:11], v[10:11], v[14:15]
	v_fmac_f64_e32 v[16:17], v[92:93], v[248:249]
	v_add_f64 v[10:11], v[10:11], v[16:17]
	v_fmac_f64_e32 v[20:21], v[104:105], v[246:247]
	v_add_f64 v[10:11], v[10:11], v[18:19]
	v_fmac_f64_e32 v[22:23], v[112:113], v[234:235]
	v_add_f64 v[10:11], v[10:11], v[20:21]
	v_add_f64 v[10:11], v[10:11], v[22:23]
	s_waitcnt lgkmcnt(0)
	v_mul_f64 v[16:17], v[6:7], v[122:123]
	v_fmac_f64_e32 v[16:17], v[8:9], v[124:125]
	v_fmac_f64_e32 v[24:25], v[4:5], v[126:127]
	v_add_f64 v[14:15], v[10:11], v[24:25]
	ds_read_b128 v[10:13], v1 offset:1584
	v_add_f64 v[18:19], v[14:15], v[16:17]
	ds_read_b128 v[14:17], v1 offset:1600
	v_mul_f64 v[88:89], v[88:89], v[94:95]
	v_mul_f64 v[92:93], v[92:93], v[116:117]
	s_waitcnt lgkmcnt(1)
	v_mul_f64 v[20:21], v[10:11], v[132:133]
	v_fmac_f64_e32 v[20:21], v[12:13], v[134:135]
	s_waitcnt lgkmcnt(0)
	v_mul_f64 v[24:25], v[14:15], v[128:129]
	v_add_f64 v[22:23], v[18:19], v[20:21]
	ds_read_b128 v[18:21], v1 offset:1616
	v_fmac_f64_e32 v[24:25], v[16:17], v[130:131]
	v_add_f64 v[26:27], v[22:23], v[24:25]
	ds_read_b128 v[22:25], v1 offset:1632
	v_fma_f64 v[240:241], v[90:91], v[248:249], -v[92:93]
	s_waitcnt lgkmcnt(1)
	v_mul_f64 v[28:29], v[18:19], v[144:145]
	v_fmac_f64_e32 v[28:29], v[20:21], v[146:147]
	v_add_f64 v[30:31], v[26:27], v[28:29]
	s_waitcnt lgkmcnt(0)
	v_mul_f64 v[32:33], v[22:23], v[136:137]
	ds_read_b128 v[26:29], v1 offset:1648
	v_fmac_f64_e32 v[32:33], v[24:25], v[138:139]
	v_add_f64 v[34:35], v[30:31], v[32:33]
	ds_read_b128 v[30:33], v1 offset:1664
	v_mul_f64 v[104:105], v[104:105], v[244:245]
	s_waitcnt vmcnt(58) lgkmcnt(1)
	v_mul_f64 v[36:37], v[26:27], v[160:161]
	s_waitcnt vmcnt(56)
	v_fmac_f64_e32 v[36:37], v[28:29], v[164:165]
	v_add_f64 v[38:39], v[34:35], v[36:37]
	s_waitcnt lgkmcnt(0)
	v_mul_f64 v[40:41], v[30:31], v[140:141]
	ds_read_b128 v[34:37], v1 offset:1680
	v_fmac_f64_e32 v[40:41], v[32:33], v[142:143]
	v_add_f64 v[42:43], v[38:39], v[40:41]
	ds_read_b128 v[38:41], v1 offset:1696
	v_mul_f64 v[112:113], v[112:113], v[232:233]
	s_waitcnt vmcnt(50) lgkmcnt(1)
	v_mul_f64 v[44:45], v[34:35], v[168:169]
	s_waitcnt vmcnt(48)
	v_fmac_f64_e32 v[44:45], v[36:37], v[172:173]
	v_add_f64 v[46:47], v[42:43], v[44:45]
	s_waitcnt lgkmcnt(0)
	v_mul_f64 v[48:49], v[38:39], v[148:149]
	v_fmac_f64_e32 v[48:49], v[40:41], v[150:151]
	ds_read_b128 v[42:45], v1 offset:1712
	v_add_f64 v[50:51], v[46:47], v[48:49]
	ds_read_b128 v[46:49], v1 offset:1728
	buffer_load_dword v209, off, s[0:3], 0 offset:940
	buffer_load_dword v211, off, s[0:3], 0 offset:924
	;; [unrolled: 1-line block ×12, first 2 shown]
	v_fma_f64 v[252:253], v[110:111], v[234:235], -v[112:113]
	s_waitcnt vmcnt(54) lgkmcnt(1)
	v_mul_f64 v[52:53], v[42:43], v[176:177]
	s_waitcnt vmcnt(52)
	v_fmac_f64_e32 v[52:53], v[44:45], v[180:181]
	v_add_f64 v[54:55], v[50:51], v[52:53]
	ds_read_b128 v[50:53], v1 offset:1744
	s_waitcnt lgkmcnt(1)
	v_mul_f64 v[56:57], v[46:47], v[152:153]
	v_fmac_f64_e32 v[56:57], v[48:49], v[154:155]
	buffer_load_dword v223, off, s[0:3], 0 offset:972
	buffer_load_dword v222, off, s[0:3], 0 offset:968
	;; [unrolled: 1-line block ×12, first 2 shown]
	v_add_f64 v[58:59], v[54:55], v[56:57]
	ds_read_b128 v[54:57], v1 offset:1760
	s_waitcnt vmcnt(58) lgkmcnt(1)
	v_mul_f64 v[60:61], v[50:51], v[184:185]
	s_waitcnt vmcnt(56)
	v_fmac_f64_e32 v[60:61], v[52:53], v[188:189]
	v_add_f64 v[62:63], v[58:59], v[60:61]
	ds_read_b128 v[58:61], v1 offset:1776
	s_waitcnt lgkmcnt(1)
	v_mul_f64 v[64:65], v[54:55], v[156:157]
	v_fmac_f64_e32 v[64:65], v[56:57], v[158:159]
	v_add_f64 v[70:71], v[62:63], v[64:65]
	ds_read_b128 v[62:65], v1 offset:1792
	ds_read_b128 v[66:69], v1 offset:1808
	s_waitcnt vmcnt(50) lgkmcnt(2)
	v_mul_f64 v[72:73], v[58:59], v[192:193]
	s_waitcnt vmcnt(48)
	v_fmac_f64_e32 v[72:73], v[60:61], v[194:195]
	v_add_f64 v[70:71], v[70:71], v[72:73]
	s_waitcnt lgkmcnt(1)
	v_mul_f64 v[72:73], v[62:63], v[162:163]
	v_fmac_f64_e32 v[72:73], v[64:65], v[166:167]
	v_add_f64 v[70:71], v[70:71], v[72:73]
	s_waitcnt vmcnt(42) lgkmcnt(0)
	v_mul_f64 v[72:73], v[66:67], v[196:197]
	s_waitcnt vmcnt(40)
	v_fmac_f64_e32 v[72:73], v[68:69], v[198:199]
	v_add_f64 v[118:119], v[70:71], v[72:73]
	ds_read_b128 v[70:73], v1 offset:1824
	ds_read_b128 v[74:77], v1 offset:1840
	;; [unrolled: 1-line block ×5, first 2 shown]
	s_waitcnt lgkmcnt(4)
	v_mul_f64 v[84:85], v[70:71], v[170:171]
	v_fmac_f64_e32 v[84:85], v[72:73], v[174:175]
	v_add_f64 v[82:83], v[118:119], v[84:85]
	s_waitcnt vmcnt(34) lgkmcnt(3)
	v_mul_f64 v[84:85], v[74:75], v[200:201]
	s_waitcnt vmcnt(32)
	v_fmac_f64_e32 v[84:85], v[76:77], v[202:203]
	v_add_f64 v[82:83], v[82:83], v[84:85]
	v_fma_f64 v[118:119], v[86:87], v[250:251], -v[88:89]
	ds_read_b128 v[86:89], v1 offset:1888
	s_waitcnt lgkmcnt(3)
	v_mul_f64 v[84:85], v[78:79], v[178:179]
	v_fmac_f64_e32 v[84:85], v[80:81], v[182:183]
	v_add_f64 v[96:97], v[82:83], v[84:85]
	ds_read_b128 v[82:85], v1 offset:1872
	v_fma_f64 v[250:251], v[102:103], v[246:247], -v[104:105]
	ds_read_b128 v[110:113], v1 offset:1984
	v_mul_f64 v[4:5], v[4:5], v[120:121]
	v_fma_f64 v[2:3], v[2:3], v[126:127], -v[4:5]
	s_waitcnt vmcnt(26) lgkmcnt(1)
	v_mul_f64 v[94:95], v[82:83], v[204:205]
	s_waitcnt vmcnt(24)
	v_fmac_f64_e32 v[94:95], v[84:85], v[206:207]
	v_add_f64 v[94:95], v[96:97], v[94:95]
	v_mul_f64 v[96:97], v[86:87], v[186:187]
	v_fmac_f64_e32 v[96:97], v[88:89], v[190:191]
	v_add_f64 v[106:107], v[94:95], v[96:97]
	ds_read_b128 v[94:97], v1 offset:1920
	ds_read_b128 v[102:105], v1 offset:1968
	s_waitcnt vmcnt(21)
	v_mul_f64 v[108:109], v[90:91], v[210:211]
	s_waitcnt vmcnt(19)
	v_fmac_f64_e32 v[108:109], v[92:93], v[216:217]
	v_add_f64 v[106:107], v[106:107], v[108:109]
	s_waitcnt vmcnt(18) lgkmcnt(1)
	v_mul_f64 v[108:109], v[94:95], v[208:209]
	s_waitcnt vmcnt(16)
	v_fmac_f64_e32 v[108:109], v[96:97], v[214:215]
	v_add_f64 v[114:115], v[106:107], v[108:109]
	ds_read_b128 v[106:109], v1 offset:1952
	buffer_load_dword v235, off, s[0:3], 0 offset:1020
	buffer_load_dword v234, off, s[0:3], 0 offset:1016
	;; [unrolled: 1-line block ×4, first 2 shown]
	s_waitcnt vmcnt(18)
	v_mul_f64 v[116:117], v[98:99], v[212:213]
	s_waitcnt vmcnt(16)
	v_fmac_f64_e32 v[116:117], v[100:101], v[218:219]
	v_add_f64 v[114:115], v[114:115], v[116:117]
	s_waitcnt vmcnt(14) lgkmcnt(0)
	v_mul_f64 v[116:117], v[106:107], v[222:223]
	s_waitcnt vmcnt(12)
	v_fmac_f64_e32 v[116:117], v[108:109], v[224:225]
	v_add_f64 v[114:115], v[114:115], v[116:117]
	s_waitcnt vmcnt(9)
	v_mul_f64 v[116:117], v[102:103], v[228:229]
	s_waitcnt vmcnt(7)
	v_fmac_f64_e32 v[116:117], v[104:105], v[230:231]
	v_add_f64 v[114:115], v[114:115], v[116:117]
	s_waitcnt vmcnt(5)
	v_mul_f64 v[116:117], v[110:111], v[220:221]
	s_waitcnt vmcnt(4)
	v_fmac_f64_e32 v[116:117], v[112:113], v[226:227]
	v_add_f64 v[232:233], v[114:115], v[116:117]
	ds_read_b128 v[114:117], v1 offset:2000
	buffer_load_dword v248, off, s[0:3], 0 offset:432
	buffer_load_dword v249, off, s[0:3], 0 offset:436
	;; [unrolled: 1-line block ×4, first 2 shown]
	s_waitcnt vmcnt(6) lgkmcnt(0)
	v_mul_f64 v[0:1], v[114:115], v[234:235]
	s_waitcnt vmcnt(4)
	v_fmac_f64_e32 v[0:1], v[116:117], v[244:245]
	v_add_f64 v[232:233], v[232:233], v[0:1]
	v_add_f64 v[0:1], v[236:237], 0
	v_add_f64 v[0:1], v[0:1], v[238:239]
	v_add_f64 v[0:1], v[0:1], v[118:119]
	v_add_f64 v[0:1], v[0:1], v[240:241]
	v_add_f64 v[254:255], v[0:1], v[242:243]
	v_add_f64 v[0:1], v[254:255], v[250:251]
	v_add_f64 v[0:1], v[0:1], v[252:253]
	v_add_f64 v[0:1], v[0:1], v[2:3]
	v_mul_f64 v[2:3], v[8:9], v[122:123]
	v_fma_f64 v[2:3], v[6:7], v[124:125], -v[2:3]
	v_add_f64 v[0:1], v[0:1], v[2:3]
	v_mul_f64 v[2:3], v[12:13], v[132:133]
	v_fma_f64 v[2:3], v[10:11], v[134:135], -v[2:3]
	v_add_f64 v[0:1], v[0:1], v[2:3]
	;; [unrolled: 3-line block ×28, first 2 shown]
	s_waitcnt vmcnt(2)
	v_add_f64 v[0:1], v[248:249], -v[0:1]
	s_waitcnt vmcnt(0)
	v_add_f64 v[2:3], v[246:247], -v[232:233]
	buffer_store_dword v1, off, s[0:3], 0 offset:436
	buffer_store_dword v0, off, s[0:3], 0 offset:432
	;; [unrolled: 1-line block ×4, first 2 shown]
	v_accvgpr_read_b32 v0, a188
	v_cmp_lt_u32_e32 vcc, 25, v0
	s_and_saveexec_b64 s[4:5], vcc
	s_cbranch_execz .LBB126_353
; %bb.352:
	v_accvgpr_read_b32 v0, a163
	buffer_load_dword v2, v0, s[0:3], 0 offen
	buffer_load_dword v3, v0, s[0:3], 0 offen offset:4
	buffer_load_dword v4, v0, s[0:3], 0 offen offset:8
	;; [unrolled: 1-line block ×3, first 2 shown]
	v_mov_b32_e32 v0, 0
	v_accvgpr_read_b32 v1, a189
	buffer_store_dword v0, off, s[0:3], 0 offset:416
	buffer_store_dword v0, off, s[0:3], 0 offset:420
	;; [unrolled: 1-line block ×4, first 2 shown]
	s_waitcnt vmcnt(4)
	ds_write_b128 v1, v[2:5]
.LBB126_353:
	s_or_b64 exec, exec, s[4:5]
	s_waitcnt lgkmcnt(0)
	; wave barrier
	s_waitcnt lgkmcnt(0)
	buffer_load_dword v66, off, s[0:3], 0 offset:432
	buffer_load_dword v67, off, s[0:3], 0 offset:436
	;; [unrolled: 1-line block ×55, first 2 shown]
	v_mov_b32_e32 v1, 0
	ds_read_b128 v[74:77], v1 offset:1424
	ds_read_b128 v[86:89], v1 offset:1440
	;; [unrolled: 1-line block ×9, first 2 shown]
	buffer_load_dword v138, off, s[0:3], 0 offset:656
	buffer_load_dword v157, off, s[0:3], 0 offset:652
	;; [unrolled: 1-line block ×61, first 2 shown]
	v_accvgpr_read_b32 v0, a188
	v_cmp_lt_u32_e32 vcc, 24, v0
	s_waitcnt vmcnt(62) lgkmcnt(8)
	v_mul_f64 v[6:7], v[74:75], v[68:69]
	v_fmac_f64_e32 v[6:7], v[76:77], v[66:67]
	v_add_f64 v[6:7], v[6:7], 0
	v_mul_f64 v[68:69], v[76:77], v[68:69]
	s_waitcnt lgkmcnt(7)
	v_mul_f64 v[8:9], v[86:87], v[72:73]
	v_fmac_f64_e32 v[8:9], v[88:89], v[70:71]
	s_waitcnt lgkmcnt(6)
	v_mul_f64 v[10:11], v[98:99], v[78:79]
	v_add_f64 v[6:7], v[6:7], v[8:9]
	s_waitcnt lgkmcnt(4)
	v_mul_f64 v[14:15], v[114:115], v[90:91]
	v_fma_f64 v[246:247], v[74:75], v[66:67], -v[68:69]
	v_fmac_f64_e32 v[14:15], v[116:117], v[92:93]
	v_mul_f64 v[72:73], v[88:89], v[72:73]
	v_mul_f64 v[12:13], v[110:111], v[82:83]
	;; [unrolled: 1-line block ×3, first 2 shown]
	s_waitcnt lgkmcnt(2)
	v_mul_f64 v[18:19], v[236:237], v[102:103]
	v_mul_f64 v[82:83], v[112:113], v[82:83]
	;; [unrolled: 1-line block ×4, first 2 shown]
	v_fma_f64 v[254:255], v[114:115], v[92:93], -v[90:91]
	s_waitcnt lgkmcnt(1)
	v_mul_f64 v[20:21], v[240:241], v[106:107]
	v_fmac_f64_e32 v[20:21], v[242:243], v[108:109]
	v_fmac_f64_e32 v[10:11], v[100:101], v[80:81]
	v_add_f64 v[6:7], v[6:7], v[10:11]
	v_fmac_f64_e32 v[12:13], v[112:113], v[84:85]
	v_add_f64 v[6:7], v[6:7], v[12:13]
	;; [unrolled: 2-line block ×4, first 2 shown]
	v_add_f64 v[6:7], v[6:7], v[18:19]
	v_add_f64 v[10:11], v[6:7], v[20:21]
	ds_read_b128 v[6:9], v1 offset:1568
	s_waitcnt lgkmcnt(1)
	v_mul_f64 v[12:13], v[2:3], v[120:121]
	v_fmac_f64_e32 v[12:13], v[4:5], v[122:123]
	v_add_f64 v[14:15], v[10:11], v[12:13]
	ds_read_b128 v[10:13], v1 offset:1584
	s_waitcnt lgkmcnt(1)
	v_mul_f64 v[16:17], v[6:7], v[128:129]
	v_fmac_f64_e32 v[16:17], v[8:9], v[130:131]
	;; [unrolled: 5-line block ×5, first 2 shown]
	v_add_f64 v[30:31], v[26:27], v[28:29]
	ds_read_b128 v[26:29], v1 offset:1648
	s_waitcnt vmcnt(58) lgkmcnt(1)
	v_mul_f64 v[32:33], v[22:23], v[156:157]
	s_waitcnt vmcnt(56)
	v_fmac_f64_e32 v[32:33], v[24:25], v[160:161]
	v_add_f64 v[34:35], v[30:31], v[32:33]
	ds_read_b128 v[30:33], v1 offset:1664
	s_waitcnt lgkmcnt(1)
	v_mul_f64 v[36:37], v[26:27], v[136:137]
	v_fmac_f64_e32 v[36:37], v[28:29], v[138:139]
	v_add_f64 v[38:39], v[34:35], v[36:37]
	ds_read_b128 v[34:37], v1 offset:1680
	s_waitcnt vmcnt(50) lgkmcnt(1)
	v_mul_f64 v[40:41], v[30:31], v[164:165]
	s_waitcnt vmcnt(48)
	v_fmac_f64_e32 v[40:41], v[32:33], v[168:169]
	v_add_f64 v[42:43], v[38:39], v[40:41]
	ds_read_b128 v[38:41], v1 offset:1696
	s_waitcnt lgkmcnt(1)
	v_mul_f64 v[44:45], v[34:35], v[144:145]
	v_fmac_f64_e32 v[44:45], v[36:37], v[146:147]
	v_add_f64 v[46:47], v[42:43], v[44:45]
	ds_read_b128 v[42:45], v1 offset:1712
	s_waitcnt vmcnt(42) lgkmcnt(1)
	v_mul_f64 v[48:49], v[38:39], v[172:173]
	s_waitcnt vmcnt(40)
	v_fmac_f64_e32 v[48:49], v[40:41], v[176:177]
	v_add_f64 v[50:51], v[46:47], v[48:49]
	ds_read_b128 v[46:49], v1 offset:1728
	buffer_load_dword v205, off, s[0:3], 0 offset:908
	buffer_load_dword v204, off, s[0:3], 0 offset:904
	;; [unrolled: 1-line block ×4, first 2 shown]
	s_waitcnt lgkmcnt(1)
	v_mul_f64 v[52:53], v[42:43], v[148:149]
	v_fmac_f64_e32 v[52:53], v[44:45], v[150:151]
	v_add_f64 v[54:55], v[50:51], v[52:53]
	ds_read_b128 v[50:53], v1 offset:1744
	buffer_load_dword v209, off, s[0:3], 0 offset:924
	buffer_load_dword v208, off, s[0:3], 0 offset:920
	;; [unrolled: 1-line block ×8, first 2 shown]
	s_waitcnt vmcnt(46) lgkmcnt(1)
	v_mul_f64 v[56:57], v[46:47], v[180:181]
	s_waitcnt vmcnt(44)
	v_fmac_f64_e32 v[56:57], v[48:49], v[184:185]
	v_add_f64 v[58:59], v[54:55], v[56:57]
	ds_read_b128 v[54:57], v1 offset:1760
	buffer_load_dword v219, off, s[0:3], 0 offset:956
	buffer_load_dword v218, off, s[0:3], 0 offset:952
	buffer_load_dword v221, off, s[0:3], 0 offset:948
	buffer_load_dword v220, off, s[0:3], 0 offset:944
	buffer_load_dword v216, off, s[0:3], 0 offset:984
	buffer_load_dword v225, off, s[0:3], 0 offset:972
	buffer_load_dword v224, off, s[0:3], 0 offset:968
	buffer_load_dword v227, off, s[0:3], 0 offset:964
	buffer_load_dword v226, off, s[0:3], 0 offset:960
	buffer_load_dword v222, off, s[0:3], 0 offset:976
	buffer_load_dword v217, off, s[0:3], 0 offset:988
	buffer_load_dword v223, off, s[0:3], 0 offset:980
	s_waitcnt lgkmcnt(1)
	v_mul_f64 v[60:61], v[50:51], v[152:153]
	v_fmac_f64_e32 v[60:61], v[52:53], v[154:155]
	v_add_f64 v[62:63], v[58:59], v[60:61]
	ds_read_b128 v[58:61], v1 offset:1776
	s_waitcnt vmcnt(50) lgkmcnt(1)
	v_mul_f64 v[64:65], v[54:55], v[188:189]
	s_waitcnt vmcnt(48)
	v_fmac_f64_e32 v[64:65], v[56:57], v[190:191]
	v_add_f64 v[62:63], v[62:63], v[64:65]
	buffer_load_dword v229, off, s[0:3], 0 offset:1004
	buffer_load_dword v228, off, s[0:3], 0 offset:1000
	;; [unrolled: 1-line block ×4, first 2 shown]
	s_waitcnt lgkmcnt(0)
	v_mul_f64 v[64:65], v[58:59], v[158:159]
	v_fmac_f64_e32 v[64:65], v[60:61], v[162:163]
	v_add_f64 v[118:119], v[62:63], v[64:65]
	ds_read_b128 v[62:65], v1 offset:1792
	ds_read_b128 v[66:69], v1 offset:1808
	v_fma_f64 v[248:249], v[98:99], v[80:81], -v[78:79]
	ds_read_b128 v[78:81], v1 offset:1856
	v_fma_f64 v[252:253], v[110:111], v[84:85], -v[82:83]
	ds_read_b128 v[82:85], v1 offset:1872
	s_waitcnt vmcnt(46) lgkmcnt(3)
	v_mul_f64 v[74:75], v[62:63], v[192:193]
	s_waitcnt vmcnt(44)
	v_fmac_f64_e32 v[74:75], v[64:65], v[194:195]
	v_add_f64 v[74:75], v[118:119], v[74:75]
	v_fma_f64 v[118:119], v[86:87], v[70:71], -v[72:73]
	ds_read_b128 v[70:73], v1 offset:1824
	s_waitcnt lgkmcnt(3)
	v_mul_f64 v[76:77], v[66:67], v[166:167]
	v_fmac_f64_e32 v[76:77], v[68:69], v[170:171]
	v_add_f64 v[86:87], v[74:75], v[76:77]
	ds_read_b128 v[74:77], v1 offset:1840
	s_waitcnt vmcnt(38) lgkmcnt(1)
	v_mul_f64 v[88:89], v[70:71], v[196:197]
	s_waitcnt vmcnt(36)
	v_fmac_f64_e32 v[88:89], v[72:73], v[198:199]
	v_add_f64 v[86:87], v[86:87], v[88:89]
	ds_read_b128 v[90:93], v1 offset:1904
	s_waitcnt lgkmcnt(1)
	v_mul_f64 v[88:89], v[74:75], v[174:175]
	v_fmac_f64_e32 v[88:89], v[76:77], v[178:179]
	v_add_f64 v[86:87], v[86:87], v[88:89]
	s_waitcnt vmcnt(30)
	v_mul_f64 v[88:89], v[78:79], v[200:201]
	s_waitcnt vmcnt(28)
	v_fmac_f64_e32 v[88:89], v[80:81], v[202:203]
	v_add_f64 v[86:87], v[86:87], v[88:89]
	v_mul_f64 v[88:89], v[82:83], v[182:183]
	v_fmac_f64_e32 v[88:89], v[84:85], v[186:187]
	v_add_f64 v[98:99], v[86:87], v[88:89]
	ds_read_b128 v[86:89], v1 offset:1888
	v_mul_f64 v[94:95], v[234:235], v[94:95]
	v_fma_f64 v[232:233], v[232:233], v[96:97], -v[94:95]
	ds_read_b128 v[94:97], v1 offset:1920
	v_mul_f64 v[102:103], v[238:239], v[102:103]
	v_fma_f64 v[238:239], v[236:237], v[104:105], -v[102:103]
	;; [unrolled: 3-line block ×3, first 2 shown]
	v_mul_f64 v[4:5], v[4:5], v[120:121]
	v_fma_f64 v[2:3], v[2:3], v[122:123], -v[4:5]
	v_mul_f64 v[4:5], v[8:9], v[128:129]
	v_fma_f64 v[4:5], v[6:7], v[130:131], -v[4:5]
	ds_read_b128 v[106:109], v1 offset:1968
	s_waitcnt vmcnt(26) lgkmcnt(3)
	v_mul_f64 v[100:101], v[86:87], v[204:205]
	s_waitcnt vmcnt(24)
	v_fmac_f64_e32 v[100:101], v[88:89], v[206:207]
	v_add_f64 v[98:99], v[98:99], v[100:101]
	s_waitcnt vmcnt(22)
	v_mul_f64 v[100:101], v[90:91], v[208:209]
	s_waitcnt vmcnt(20)
	v_fmac_f64_e32 v[100:101], v[92:93], v[212:213]
	v_add_f64 v[98:99], v[98:99], v[100:101]
	s_waitcnt vmcnt(18) lgkmcnt(2)
	v_mul_f64 v[100:101], v[94:95], v[210:211]
	s_waitcnt vmcnt(16)
	v_fmac_f64_e32 v[100:101], v[96:97], v[214:215]
	v_add_f64 v[110:111], v[98:99], v[100:101]
	ds_read_b128 v[98:101], v1 offset:1936
	s_waitcnt vmcnt(14) lgkmcnt(0)
	v_mul_f64 v[112:113], v[98:99], v[218:219]
	s_waitcnt vmcnt(12)
	v_fmac_f64_e32 v[112:113], v[100:101], v[220:221]
	v_add_f64 v[110:111], v[110:111], v[112:113]
	s_waitcnt vmcnt(9)
	v_mul_f64 v[112:113], v[102:103], v[224:225]
	s_waitcnt vmcnt(7)
	v_fmac_f64_e32 v[112:113], v[104:105], v[226:227]
	v_add_f64 v[110:111], v[110:111], v[112:113]
	s_waitcnt vmcnt(5)
	v_mul_f64 v[112:113], v[106:107], v[216:217]
	s_waitcnt vmcnt(4)
	v_fmac_f64_e32 v[112:113], v[108:109], v[222:223]
	v_add_f64 v[114:115], v[110:111], v[112:113]
	ds_read_b128 v[110:113], v1 offset:1984
	buffer_load_dword v234, off, s[0:3], 0 offset:1016
	buffer_load_dword v235, off, s[0:3], 0 offset:1020
	;; [unrolled: 1-line block ×4, first 2 shown]
	s_waitcnt vmcnt(6) lgkmcnt(0)
	v_mul_f64 v[116:117], v[110:111], v[228:229]
	s_waitcnt vmcnt(4)
	v_fmac_f64_e32 v[116:117], v[112:113], v[230:231]
	v_add_f64 v[236:237], v[114:115], v[116:117]
	ds_read_b128 v[114:117], v1 offset:2000
	s_waitcnt vmcnt(2) lgkmcnt(0)
	v_mul_f64 v[240:241], v[114:115], v[234:235]
	s_waitcnt vmcnt(0)
	v_fmac_f64_e32 v[240:241], v[116:117], v[244:245]
	v_add_f64 v[236:237], v[236:237], v[240:241]
	v_add_f64 v[240:241], v[246:247], 0
	;; [unrolled: 1-line block ×4, first 2 shown]
	buffer_load_dword v248, off, s[0:3], 0 offset:416
	buffer_load_dword v249, off, s[0:3], 0 offset:420
	;; [unrolled: 1-line block ×4, first 2 shown]
	v_add_f64 v[118:119], v[118:119], v[252:253]
	v_add_f64 v[118:119], v[118:119], v[254:255]
	;; [unrolled: 1-line block ×7, first 2 shown]
	v_mul_f64 v[4:5], v[12:13], v[124:125]
	v_fma_f64 v[4:5], v[10:11], v[126:127], -v[4:5]
	v_add_f64 v[2:3], v[2:3], v[4:5]
	v_mul_f64 v[4:5], v[16:17], v[140:141]
	v_fma_f64 v[4:5], v[14:15], v[142:143], -v[4:5]
	v_add_f64 v[2:3], v[2:3], v[4:5]
	;; [unrolled: 3-line block ×27, first 2 shown]
	s_waitcnt vmcnt(2)
	v_add_f64 v[2:3], v[248:249], -v[2:3]
	s_waitcnt vmcnt(0)
	v_add_f64 v[4:5], v[246:247], -v[236:237]
	buffer_store_dword v3, off, s[0:3], 0 offset:420
	buffer_store_dword v2, off, s[0:3], 0 offset:416
	;; [unrolled: 1-line block ×4, first 2 shown]
	s_and_saveexec_b64 s[4:5], vcc
	s_cbranch_execz .LBB126_355
; %bb.354:
	v_accvgpr_read_b32 v0, a164
	buffer_load_dword v2, v0, s[0:3], 0 offen
	buffer_load_dword v3, v0, s[0:3], 0 offen offset:4
	buffer_load_dword v4, v0, s[0:3], 0 offen offset:8
	;; [unrolled: 1-line block ×3, first 2 shown]
	v_accvgpr_read_b32 v0, a189
	buffer_store_dword v1, off, s[0:3], 0 offset:400
	buffer_store_dword v1, off, s[0:3], 0 offset:404
	;; [unrolled: 1-line block ×4, first 2 shown]
	s_waitcnt vmcnt(4)
	ds_write_b128 v0, v[2:5]
.LBB126_355:
	s_or_b64 exec, exec, s[4:5]
	s_waitcnt lgkmcnt(0)
	; wave barrier
	s_waitcnt lgkmcnt(0)
	buffer_load_dword v66, off, s[0:3], 0 offset:416
	buffer_load_dword v67, off, s[0:3], 0 offset:420
	buffer_load_dword v68, off, s[0:3], 0 offset:424
	buffer_load_dword v69, off, s[0:3], 0 offset:428
	buffer_load_dword v62, off, s[0:3], 0 offset:432
	buffer_load_dword v63, off, s[0:3], 0 offset:436
	buffer_load_dword v64, off, s[0:3], 0 offset:440
	buffer_load_dword v65, off, s[0:3], 0 offset:444
	buffer_load_dword v70, off, s[0:3], 0 offset:456
	buffer_load_dword v71, off, s[0:3], 0 offset:460
	buffer_load_dword v83, off, s[0:3], 0 offset:492
	buffer_load_dword v82, off, s[0:3], 0 offset:488
	buffer_load_dword v85, off, s[0:3], 0 offset:484
	buffer_load_dword v84, off, s[0:3], 0 offset:480
	buffer_load_dword v75, off, s[0:3], 0 offset:476
	buffer_load_dword v74, off, s[0:3], 0 offset:472
	buffer_load_dword v95, off, s[0:3], 0 offset:524
	buffer_load_dword v94, off, s[0:3], 0 offset:520
	buffer_load_dword v97, off, s[0:3], 0 offset:516
	buffer_load_dword v96, off, s[0:3], 0 offset:512
	buffer_load_dword v87, off, s[0:3], 0 offset:508
	buffer_load_dword v86, off, s[0:3], 0 offset:504
	buffer_load_dword v107, off, s[0:3], 0 offset:556
	buffer_load_dword v106, off, s[0:3], 0 offset:552
	buffer_load_dword v108, off, s[0:3], 0 offset:544
	buffer_load_dword v99, off, s[0:3], 0 offset:540
	buffer_load_dword v98, off, s[0:3], 0 offset:536
	buffer_load_dword v121, off, s[0:3], 0 offset:572
	buffer_load_dword v120, off, s[0:3], 0 offset:568
	buffer_load_dword v72, off, s[0:3], 0 offset:448
	buffer_load_dword v73, off, s[0:3], 0 offset:452
	buffer_load_dword v77, off, s[0:3], 0 offset:468
	buffer_load_dword v76, off, s[0:3], 0 offset:464
	buffer_load_dword v89, off, s[0:3], 0 offset:500
	buffer_load_dword v88, off, s[0:3], 0 offset:496
	buffer_load_dword v101, off, s[0:3], 0 offset:532
	buffer_load_dword v100, off, s[0:3], 0 offset:528
	buffer_load_dword v109, off, s[0:3], 0 offset:548
	buffer_load_dword v122, off, s[0:3], 0 offset:584
	buffer_load_dword v124, off, s[0:3], 0 offset:576
	buffer_load_dword v125, off, s[0:3], 0 offset:580
	buffer_load_dword v123, off, s[0:3], 0 offset:588
	ds_read_b128 v[78:81], v1 offset:1408
	ds_read_b128 v[90:93], v1 offset:1424
	;; [unrolled: 1-line block ×10, first 2 shown]
	buffer_load_dword v131, off, s[0:3], 0 offset:564
	buffer_load_dword v130, off, s[0:3], 0 offset:560
	ds_read_b128 v[6:9], v1 offset:1568
	buffer_load_dword v127, off, s[0:3], 0 offset:620
	buffer_load_dword v126, off, s[0:3], 0 offset:616
	buffer_load_dword v129, off, s[0:3], 0 offset:612
	buffer_load_dword v128, off, s[0:3], 0 offset:608
	buffer_load_dword v133, off, s[0:3], 0 offset:604
	buffer_load_dword v132, off, s[0:3], 0 offset:600
	buffer_load_dword v149, off, s[0:3], 0 offset:596
	buffer_load_dword v148, off, s[0:3], 0 offset:592
	buffer_load_dword v135, off, s[0:3], 0 offset:652
	buffer_load_dword v134, off, s[0:3], 0 offset:648
	buffer_load_dword v137, off, s[0:3], 0 offset:644
	buffer_load_dword v136, off, s[0:3], 0 offset:640
	buffer_load_dword v153, off, s[0:3], 0 offset:636
	buffer_load_dword v152, off, s[0:3], 0 offset:632
	buffer_load_dword v157, off, s[0:3], 0 offset:628
	buffer_load_dword v156, off, s[0:3], 0 offset:624
	buffer_load_dword v139, off, s[0:3], 0 offset:684
	buffer_load_dword v138, off, s[0:3], 0 offset:680
	buffer_load_dword v141, off, s[0:3], 0 offset:676
	buffer_load_dword v140, off, s[0:3], 0 offset:672
	buffer_load_dword v161, off, s[0:3], 0 offset:668
	buffer_load_dword v160, off, s[0:3], 0 offset:664
	buffer_load_dword v165, off, s[0:3], 0 offset:660
	buffer_load_dword v164, off, s[0:3], 0 offset:656
	buffer_load_dword v143, off, s[0:3], 0 offset:716
	buffer_load_dword v142, off, s[0:3], 0 offset:712
	buffer_load_dword v145, off, s[0:3], 0 offset:708
	buffer_load_dword v144, off, s[0:3], 0 offset:704
	buffer_load_dword v169, off, s[0:3], 0 offset:700
	buffer_load_dword v168, off, s[0:3], 0 offset:696
	buffer_load_dword v173, off, s[0:3], 0 offset:692
	buffer_load_dword v172, off, s[0:3], 0 offset:688
	buffer_load_dword v147, off, s[0:3], 0 offset:748
	buffer_load_dword v146, off, s[0:3], 0 offset:744
	buffer_load_dword v151, off, s[0:3], 0 offset:740
	buffer_load_dword v150, off, s[0:3], 0 offset:736
	buffer_load_dword v177, off, s[0:3], 0 offset:732
	buffer_load_dword v176, off, s[0:3], 0 offset:728
	buffer_load_dword v181, off, s[0:3], 0 offset:724
	buffer_load_dword v180, off, s[0:3], 0 offset:720
	buffer_load_dword v155, off, s[0:3], 0 offset:780
	buffer_load_dword v154, off, s[0:3], 0 offset:776
	buffer_load_dword v159, off, s[0:3], 0 offset:772
	buffer_load_dword v158, off, s[0:3], 0 offset:768
	buffer_load_dword v185, off, s[0:3], 0 offset:764
	buffer_load_dword v184, off, s[0:3], 0 offset:760
	buffer_load_dword v189, off, s[0:3], 0 offset:756
	buffer_load_dword v188, off, s[0:3], 0 offset:752
	buffer_load_dword v163, off, s[0:3], 0 offset:812
	buffer_load_dword v162, off, s[0:3], 0 offset:808
	buffer_load_dword v167, off, s[0:3], 0 offset:804
	buffer_load_dword v166, off, s[0:3], 0 offset:800
	buffer_load_dword v193, off, s[0:3], 0 offset:796
	buffer_load_dword v192, off, s[0:3], 0 offset:792
	buffer_load_dword v195, off, s[0:3], 0 offset:788
	buffer_load_dword v194, off, s[0:3], 0 offset:784
	buffer_load_dword v171, off, s[0:3], 0 offset:844
	buffer_load_dword v170, off, s[0:3], 0 offset:840
	buffer_load_dword v175, off, s[0:3], 0 offset:836
	buffer_load_dword v174, off, s[0:3], 0 offset:832
	buffer_load_dword v197, off, s[0:3], 0 offset:828
	buffer_load_dword v196, off, s[0:3], 0 offset:824
	buffer_load_dword v199, off, s[0:3], 0 offset:820
	buffer_load_dword v198, off, s[0:3], 0 offset:816
	buffer_load_dword v179, off, s[0:3], 0 offset:876
	buffer_load_dword v178, off, s[0:3], 0 offset:872
	buffer_load_dword v183, off, s[0:3], 0 offset:868
	buffer_load_dword v182, off, s[0:3], 0 offset:864
	buffer_load_dword v201, off, s[0:3], 0 offset:860
	buffer_load_dword v200, off, s[0:3], 0 offset:856
	buffer_load_dword v203, off, s[0:3], 0 offset:852
	buffer_load_dword v202, off, s[0:3], 0 offset:848
	buffer_load_dword v187, off, s[0:3], 0 offset:908
	buffer_load_dword v186, off, s[0:3], 0 offset:904
	buffer_load_dword v191, off, s[0:3], 0 offset:900
	buffer_load_dword v190, off, s[0:3], 0 offset:896
	buffer_load_dword v205, off, s[0:3], 0 offset:892
	buffer_load_dword v204, off, s[0:3], 0 offset:888
	buffer_load_dword v207, off, s[0:3], 0 offset:884
	buffer_load_dword v206, off, s[0:3], 0 offset:880
	s_waitcnt vmcnt(62) lgkmcnt(10)
	v_mul_f64 v[10:11], v[78:79], v[68:69]
	v_fmac_f64_e32 v[10:11], v[80:81], v[66:67]
	v_add_f64 v[10:11], v[10:11], 0
	v_mul_f64 v[68:69], v[80:81], v[68:69]
	s_waitcnt lgkmcnt(9)
	v_mul_f64 v[12:13], v[90:91], v[64:65]
	v_fmac_f64_e32 v[12:13], v[92:93], v[62:63]
	s_waitcnt lgkmcnt(8)
	v_mul_f64 v[14:15], v[102:103], v[70:71]
	v_add_f64 v[10:11], v[10:11], v[12:13]
	s_waitcnt lgkmcnt(6)
	v_mul_f64 v[18:19], v[114:115], v[82:83]
	v_mul_f64 v[64:65], v[92:93], v[64:65]
	v_fmac_f64_e32 v[18:19], v[116:117], v[84:85]
	v_fma_f64 v[254:255], v[90:91], v[62:63], -v[64:65]
	v_mul_f64 v[16:17], v[110:111], v[74:75]
	v_fma_f64 v[248:249], v[78:79], v[66:67], -v[68:69]
	s_waitcnt lgkmcnt(4)
	v_mul_f64 v[22:23], v[236:237], v[94:95]
	v_mul_f64 v[70:71], v[104:105], v[70:71]
	v_fmac_f64_e32 v[22:23], v[238:239], v[96:97]
	v_mul_f64 v[74:75], v[112:113], v[74:75]
	v_mul_f64 v[20:21], v[232:233], v[86:87]
	;; [unrolled: 1-line block ×3, first 2 shown]
	s_waitcnt lgkmcnt(2)
	v_mul_f64 v[26:27], v[244:245], v[106:107]
	v_fma_f64 v[252:253], v[114:115], v[84:85], -v[82:83]
	v_mul_f64 v[86:87], v[234:235], v[86:87]
	v_mul_f64 v[24:25], v[240:241], v[98:99]
	;; [unrolled: 1-line block ×3, first 2 shown]
	s_waitcnt lgkmcnt(1)
	v_mul_f64 v[28:29], v[2:3], v[120:121]
	v_fma_f64 v[236:237], v[236:237], v[96:97], -v[94:95]
	v_fmac_f64_e32 v[14:15], v[104:105], v[72:73]
	v_add_f64 v[10:11], v[10:11], v[14:15]
	v_fmac_f64_e32 v[16:17], v[112:113], v[76:77]
	v_add_f64 v[10:11], v[10:11], v[16:17]
	;; [unrolled: 2-line block ×3, first 2 shown]
	v_add_f64 v[10:11], v[10:11], v[20:21]
	v_fmac_f64_e32 v[24:25], v[242:243], v[100:101]
	v_add_f64 v[10:11], v[10:11], v[22:23]
	v_fmac_f64_e32 v[26:27], v[246:247], v[108:109]
	v_add_f64 v[10:11], v[10:11], v[24:25]
	v_add_f64 v[10:11], v[10:11], v[26:27]
	s_waitcnt lgkmcnt(0)
	v_mul_f64 v[16:17], v[6:7], v[122:123]
	v_fmac_f64_e32 v[28:29], v[4:5], v[130:131]
	v_add_f64 v[14:15], v[10:11], v[28:29]
	ds_read_b128 v[10:13], v1 offset:1584
	v_fmac_f64_e32 v[16:17], v[8:9], v[124:125]
	v_add_f64 v[18:19], v[14:15], v[16:17]
	ds_read_b128 v[14:17], v1 offset:1600
	v_fma_f64 v[250:251], v[110:111], v[76:77], -v[74:75]
	s_waitcnt lgkmcnt(1)
	v_mul_f64 v[20:21], v[10:11], v[132:133]
	v_fmac_f64_e32 v[20:21], v[12:13], v[148:149]
	v_add_f64 v[22:23], v[18:19], v[20:21]
	ds_read_b128 v[18:21], v1 offset:1616
	s_waitcnt lgkmcnt(1)
	v_mul_f64 v[24:25], v[14:15], v[126:127]
	v_fmac_f64_e32 v[24:25], v[16:17], v[128:129]
	v_add_f64 v[26:27], v[22:23], v[24:25]
	ds_read_b128 v[22:25], v1 offset:1632
	;; [unrolled: 5-line block ×4, first 2 shown]
	s_waitcnt vmcnt(58) lgkmcnt(1)
	v_mul_f64 v[36:37], v[26:27], v[160:161]
	s_waitcnt vmcnt(56)
	v_fmac_f64_e32 v[36:37], v[28:29], v[164:165]
	v_add_f64 v[38:39], v[34:35], v[36:37]
	ds_read_b128 v[34:37], v1 offset:1680
	s_waitcnt lgkmcnt(1)
	v_mul_f64 v[40:41], v[30:31], v[138:139]
	v_fmac_f64_e32 v[40:41], v[32:33], v[140:141]
	v_add_f64 v[42:43], v[38:39], v[40:41]
	ds_read_b128 v[38:41], v1 offset:1696
	s_waitcnt vmcnt(50) lgkmcnt(1)
	v_mul_f64 v[44:45], v[34:35], v[168:169]
	s_waitcnt vmcnt(48)
	v_fmac_f64_e32 v[44:45], v[36:37], v[172:173]
	v_add_f64 v[46:47], v[42:43], v[44:45]
	ds_read_b128 v[42:45], v1 offset:1712
	s_waitcnt lgkmcnt(1)
	v_mul_f64 v[48:49], v[38:39], v[142:143]
	v_fmac_f64_e32 v[48:49], v[40:41], v[144:145]
	v_add_f64 v[50:51], v[46:47], v[48:49]
	ds_read_b128 v[46:49], v1 offset:1728
	s_waitcnt vmcnt(42) lgkmcnt(1)
	v_mul_f64 v[52:53], v[42:43], v[176:177]
	s_waitcnt vmcnt(40)
	v_fmac_f64_e32 v[52:53], v[44:45], v[180:181]
	v_add_f64 v[54:55], v[50:51], v[52:53]
	ds_read_b128 v[50:53], v1 offset:1744
	s_waitcnt lgkmcnt(1)
	v_mul_f64 v[56:57], v[46:47], v[146:147]
	buffer_load_dword v209, off, s[0:3], 0 offset:924
	buffer_load_dword v208, off, s[0:3], 0 offset:920
	;; [unrolled: 1-line block ×4, first 2 shown]
	v_fmac_f64_e32 v[56:57], v[48:49], v[150:151]
	v_add_f64 v[58:59], v[54:55], v[56:57]
	ds_read_b128 v[54:57], v1 offset:1760
	buffer_load_dword v214, off, s[0:3], 0 offset:936
	buffer_load_dword v216, off, s[0:3], 0 offset:928
	buffer_load_dword v215, off, s[0:3], 0 offset:940
	buffer_load_dword v217, off, s[0:3], 0 offset:932
	buffer_load_dword v213, off, s[0:3], 0 offset:972
	buffer_load_dword v219, off, s[0:3], 0 offset:956
	buffer_load_dword v218, off, s[0:3], 0 offset:952
	buffer_load_dword v225, off, s[0:3], 0 offset:948
	buffer_load_dword v224, off, s[0:3], 0 offset:944
	buffer_load_dword v212, off, s[0:3], 0 offset:968
	buffer_load_dword v223, off, s[0:3], 0 offset:964
	buffer_load_dword v222, off, s[0:3], 0 offset:960
	buffer_load_dword v221, off, s[0:3], 0 offset:988
	buffer_load_dword v220, off, s[0:3], 0 offset:984
	buffer_load_dword v227, off, s[0:3], 0 offset:980
	buffer_load_dword v226, off, s[0:3], 0 offset:976
	s_waitcnt vmcnt(54) lgkmcnt(1)
	v_mul_f64 v[60:61], v[50:51], v[184:185]
	s_waitcnt vmcnt(52)
	v_fmac_f64_e32 v[60:61], v[52:53], v[188:189]
	v_add_f64 v[118:119], v[58:59], v[60:61]
	ds_read_b128 v[58:61], v1 offset:1776
	buffer_load_dword v228, off, s[0:3], 0 offset:1000
	buffer_load_dword v230, off, s[0:3], 0 offset:992
	;; [unrolled: 1-line block ×4, first 2 shown]
	ds_read_b128 v[62:65], v1 offset:1792
	s_waitcnt lgkmcnt(2)
	v_mul_f64 v[66:67], v[54:55], v[154:155]
	v_fmac_f64_e32 v[66:67], v[56:57], v[158:159]
	s_waitcnt vmcnt(50) lgkmcnt(1)
	v_mul_f64 v[68:69], v[58:59], v[192:193]
	v_add_f64 v[66:67], v[118:119], v[66:67]
	s_waitcnt vmcnt(48)
	v_fmac_f64_e32 v[68:69], v[60:61], v[194:195]
	v_add_f64 v[66:67], v[66:67], v[68:69]
	v_fma_f64 v[118:119], v[102:103], v[72:73], -v[70:71]
	ds_read_b128 v[70:73], v1 offset:1824
	s_waitcnt lgkmcnt(1)
	v_mul_f64 v[68:69], v[62:63], v[162:163]
	v_fmac_f64_e32 v[68:69], v[64:65], v[166:167]
	v_add_f64 v[78:79], v[66:67], v[68:69]
	ds_read_b128 v[66:69], v1 offset:1808
	ds_read_b128 v[74:77], v1 offset:1840
	;; [unrolled: 1-line block ×3, first 2 shown]
	v_fma_f64 v[232:233], v[232:233], v[88:89], -v[86:87]
	ds_read_b128 v[86:89], v1 offset:1888
	ds_read_b128 v[94:97], v1 offset:1920
	s_waitcnt vmcnt(42) lgkmcnt(4)
	v_mul_f64 v[80:81], v[66:67], v[196:197]
	s_waitcnt vmcnt(40)
	v_fmac_f64_e32 v[80:81], v[68:69], v[198:199]
	v_add_f64 v[78:79], v[78:79], v[80:81]
	v_mul_f64 v[80:81], v[70:71], v[170:171]
	v_fmac_f64_e32 v[80:81], v[72:73], v[174:175]
	v_add_f64 v[90:91], v[78:79], v[80:81]
	ds_read_b128 v[78:81], v1 offset:1856
	s_waitcnt vmcnt(34) lgkmcnt(4)
	v_mul_f64 v[92:93], v[74:75], v[200:201]
	s_waitcnt vmcnt(32)
	v_fmac_f64_e32 v[92:93], v[76:77], v[202:203]
	v_add_f64 v[90:91], v[90:91], v[92:93]
	v_mul_f64 v[98:99], v[242:243], v[98:99]
	s_waitcnt lgkmcnt(0)
	v_mul_f64 v[92:93], v[78:79], v[178:179]
	v_fmac_f64_e32 v[92:93], v[80:81], v[182:183]
	v_add_f64 v[90:91], v[90:91], v[92:93]
	s_waitcnt vmcnt(26)
	v_mul_f64 v[92:93], v[82:83], v[204:205]
	s_waitcnt vmcnt(24)
	v_fmac_f64_e32 v[92:93], v[84:85], v[206:207]
	v_add_f64 v[90:91], v[90:91], v[92:93]
	v_mul_f64 v[92:93], v[86:87], v[186:187]
	v_fmac_f64_e32 v[92:93], v[88:89], v[190:191]
	v_add_f64 v[102:103], v[90:91], v[92:93]
	ds_read_b128 v[90:93], v1 offset:1904
	v_fma_f64 v[240:241], v[240:241], v[100:101], -v[98:99]
	ds_read_b128 v[98:101], v1 offset:1936
	v_mul_f64 v[106:107], v[246:247], v[106:107]
	v_fma_f64 v[238:239], v[244:245], v[108:109], -v[106:107]
	v_mul_f64 v[4:5], v[4:5], v[120:121]
	v_fma_f64 v[2:3], v[2:3], v[130:131], -v[4:5]
	;; [unrolled: 2-line block ×3, first 2 shown]
	ds_read_b128 v[106:109], v1 offset:1968
	s_waitcnt vmcnt(13) lgkmcnt(1)
	v_mul_f64 v[112:113], v[98:99], v[218:219]
	v_mul_f64 v[104:105], v[90:91], v[208:209]
	s_waitcnt vmcnt(11)
	v_fmac_f64_e32 v[112:113], v[100:101], v[224:225]
	v_fmac_f64_e32 v[104:105], v[92:93], v[210:211]
	v_add_f64 v[102:103], v[102:103], v[104:105]
	v_mul_f64 v[104:105], v[94:95], v[214:215]
	v_fmac_f64_e32 v[104:105], v[96:97], v[216:217]
	v_add_f64 v[110:111], v[102:103], v[104:105]
	ds_read_b128 v[102:105], v1 offset:1952
	v_add_f64 v[110:111], v[110:111], v[112:113]
	s_waitcnt vmcnt(10) lgkmcnt(0)
	v_mul_f64 v[112:113], v[102:103], v[212:213]
	s_waitcnt vmcnt(8)
	v_fmac_f64_e32 v[112:113], v[104:105], v[222:223]
	v_add_f64 v[110:111], v[110:111], v[112:113]
	s_waitcnt vmcnt(6)
	v_mul_f64 v[112:113], v[106:107], v[220:221]
	s_waitcnt vmcnt(4)
	v_fmac_f64_e32 v[112:113], v[108:109], v[226:227]
	v_add_f64 v[114:115], v[110:111], v[112:113]
	ds_read_b128 v[110:113], v1 offset:1984
	buffer_load_dword v235, off, s[0:3], 0 offset:1020
	buffer_load_dword v234, off, s[0:3], 0 offset:1016
	;; [unrolled: 1-line block ×4, first 2 shown]
	s_waitcnt vmcnt(5) lgkmcnt(0)
	v_mul_f64 v[116:117], v[110:111], v[228:229]
	s_waitcnt vmcnt(4)
	v_fmac_f64_e32 v[116:117], v[112:113], v[230:231]
	v_add_f64 v[242:243], v[114:115], v[116:117]
	ds_read_b128 v[114:117], v1 offset:2000
	s_waitcnt vmcnt(2) lgkmcnt(0)
	v_mul_f64 v[0:1], v[114:115], v[234:235]
	s_waitcnt vmcnt(0)
	v_fmac_f64_e32 v[0:1], v[116:117], v[244:245]
	v_add_f64 v[0:1], v[242:243], v[0:1]
	v_add_f64 v[242:243], v[248:249], 0
	buffer_load_dword v248, off, s[0:3], 0 offset:400
	buffer_load_dword v249, off, s[0:3], 0 offset:404
	;; [unrolled: 1-line block ×4, first 2 shown]
	v_add_f64 v[242:243], v[242:243], v[254:255]
	v_add_f64 v[118:119], v[242:243], v[118:119]
	;; [unrolled: 1-line block ×10, first 2 shown]
	v_mul_f64 v[4:5], v[12:13], v[132:133]
	v_fma_f64 v[4:5], v[10:11], v[148:149], -v[4:5]
	v_add_f64 v[2:3], v[2:3], v[4:5]
	v_mul_f64 v[4:5], v[16:17], v[126:127]
	v_fma_f64 v[4:5], v[14:15], v[128:129], -v[4:5]
	v_add_f64 v[2:3], v[2:3], v[4:5]
	;; [unrolled: 3-line block ×27, first 2 shown]
	s_waitcnt vmcnt(2)
	v_add_f64 v[2:3], v[248:249], -v[2:3]
	s_waitcnt vmcnt(0)
	v_add_f64 v[0:1], v[246:247], -v[0:1]
	buffer_store_dword v3, off, s[0:3], 0 offset:404
	buffer_store_dword v2, off, s[0:3], 0 offset:400
	buffer_store_dword v1, off, s[0:3], 0 offset:412
	buffer_store_dword v0, off, s[0:3], 0 offset:408
	v_accvgpr_read_b32 v0, a188
	v_cmp_lt_u32_e32 vcc, 23, v0
	s_and_saveexec_b64 s[4:5], vcc
	s_cbranch_execz .LBB126_357
; %bb.356:
	v_accvgpr_read_b32 v0, a165
	buffer_load_dword v2, v0, s[0:3], 0 offen
	buffer_load_dword v3, v0, s[0:3], 0 offen offset:4
	buffer_load_dword v4, v0, s[0:3], 0 offen offset:8
	buffer_load_dword v5, v0, s[0:3], 0 offen offset:12
	v_mov_b32_e32 v0, 0
	v_accvgpr_read_b32 v1, a189
	buffer_store_dword v0, off, s[0:3], 0 offset:384
	buffer_store_dword v0, off, s[0:3], 0 offset:388
	;; [unrolled: 1-line block ×4, first 2 shown]
	s_waitcnt vmcnt(4)
	ds_write_b128 v1, v[2:5]
.LBB126_357:
	s_or_b64 exec, exec, s[4:5]
	s_waitcnt lgkmcnt(0)
	; wave barrier
	s_waitcnt lgkmcnt(0)
	buffer_load_dword v54, off, s[0:3], 0 offset:400
	buffer_load_dword v55, off, s[0:3], 0 offset:404
	;; [unrolled: 1-line block ×49, first 2 shown]
	s_waitcnt vmcnt(8)
	v_pk_mov_b32 v[2:3], v[0:1], v[0:1] op_sel:[0,1]
	v_mov_b32_e32 v1, 0
	ds_read_b128 v[62:65], v1 offset:1392
	ds_read_b128 v[74:77], v1 offset:1408
	;; [unrolled: 1-line block ×11, first 2 shown]
	s_waitcnt lgkmcnt(10)
	v_mul_f64 v[6:7], v[62:63], v[56:57]
	s_waitcnt lgkmcnt(9)
	v_mul_f64 v[8:9], v[74:75], v[60:61]
	v_fmac_f64_e32 v[6:7], v[64:65], v[54:55]
	s_waitcnt lgkmcnt(8)
	v_mul_f64 v[10:11], v[86:87], v[66:67]
	v_fmac_f64_e32 v[8:9], v[76:77], v[58:59]
	v_add_f64 v[6:7], v[6:7], 0
	s_waitcnt lgkmcnt(7)
	v_mul_f64 v[12:13], v[98:99], v[70:71]
	v_fmac_f64_e32 v[10:11], v[88:89], v[68:69]
	v_add_f64 v[6:7], v[6:7], v[8:9]
	;; [unrolled: 4-line block ×4, first 2 shown]
	buffer_load_dword v128, off, s[0:3], 0 offset:584
	buffer_load_dword v145, off, s[0:3], 0 offset:580
	;; [unrolled: 1-line block ×75, first 2 shown]
	s_waitcnt lgkmcnt(4)
	v_mul_f64 v[18:19], v[228:229], v[90:91]
	v_fmac_f64_e32 v[16:17], v[116:117], v[84:85]
	v_add_f64 v[6:7], v[6:7], v[14:15]
	s_waitcnt lgkmcnt(3)
	v_mul_f64 v[20:21], v[232:233], v[94:95]
	v_fmac_f64_e32 v[18:19], v[230:231], v[92:93]
	v_add_f64 v[6:7], v[6:7], v[16:17]
	;; [unrolled: 4-line block ×4, first 2 shown]
	v_add_f64 v[6:7], v[6:7], v[22:23]
	s_waitcnt vmcnt(62)
	v_fmac_f64_e32 v[24:25], v[242:243], v[108:109]
	v_add_f64 v[10:11], v[6:7], v[24:25]
	ds_read_b128 v[6:9], v1 offset:1568
	s_waitcnt lgkmcnt(1)
	v_mul_f64 v[12:13], v[120:121], v[4:5]
	v_fmac_f64_e32 v[12:13], v[122:123], v[2:3]
	v_add_f64 v[14:15], v[10:11], v[12:13]
	ds_read_b128 v[10:13], v1 offset:1584
	s_waitcnt lgkmcnt(1)
	v_mul_f64 v[16:17], v[6:7], v[128:129]
	;; [unrolled: 5-line block ×5, first 2 shown]
	v_fmac_f64_e32 v[28:29], v[20:21], v[132:133]
	v_add_f64 v[30:31], v[26:27], v[28:29]
	ds_read_b128 v[26:29], v1 offset:1648
	s_waitcnt vmcnt(58) lgkmcnt(1)
	v_mul_f64 v[32:33], v[22:23], v[156:157]
	s_waitcnt vmcnt(56)
	v_fmac_f64_e32 v[32:33], v[24:25], v[160:161]
	v_add_f64 v[34:35], v[30:31], v[32:33]
	ds_read_b128 v[30:33], v1 offset:1664
	s_waitcnt lgkmcnt(1)
	v_mul_f64 v[36:37], v[26:27], v[134:135]
	v_fmac_f64_e32 v[36:37], v[28:29], v[136:137]
	v_add_f64 v[38:39], v[34:35], v[36:37]
	ds_read_b128 v[34:37], v1 offset:1680
	s_waitcnt vmcnt(50) lgkmcnt(1)
	v_mul_f64 v[40:41], v[30:31], v[164:165]
	s_waitcnt vmcnt(48)
	v_fmac_f64_e32 v[40:41], v[32:33], v[168:169]
	v_add_f64 v[42:43], v[38:39], v[40:41]
	ds_read_b128 v[38:41], v1 offset:1696
	s_waitcnt lgkmcnt(1)
	v_mul_f64 v[44:45], v[34:35], v[138:139]
	;; [unrolled: 11-line block ×3, first 2 shown]
	buffer_load_dword v205, off, s[0:3], 0 offset:908
	buffer_load_dword v204, off, s[0:3], 0 offset:904
	;; [unrolled: 1-line block ×4, first 2 shown]
	v_fmac_f64_e32 v[52:53], v[44:45], v[146:147]
	v_add_f64 v[118:119], v[50:51], v[52:53]
	ds_read_b128 v[50:53], v1 offset:1744
	buffer_load_dword v208, off, s[0:3], 0 offset:920
	buffer_load_dword v210, off, s[0:3], 0 offset:912
	;; [unrolled: 1-line block ×12, first 2 shown]
	s_waitcnt vmcnt(50) lgkmcnt(1)
	v_mul_f64 v[212:213], v[46:47], v[180:181]
	s_waitcnt vmcnt(48)
	v_fmac_f64_e32 v[212:213], v[48:49], v[184:185]
	v_add_f64 v[118:119], v[118:119], v[212:213]
	buffer_load_dword v212, off, s[0:3], 0 offset:984
	buffer_load_dword v225, off, s[0:3], 0 offset:972
	;; [unrolled: 1-line block ×8, first 2 shown]
	v_mul_f64 v[56:57], v[64:65], v[56:57]
	v_fma_f64 v[246:247], v[62:63], v[54:55], -v[56:57]
	ds_read_b128 v[54:57], v1 offset:1760
	v_mul_f64 v[60:61], v[76:77], v[60:61]
	v_fma_f64 v[248:249], v[74:75], v[58:59], -v[60:61]
	ds_read_b128 v[58:61], v1 offset:1776
	s_waitcnt lgkmcnt(2)
	v_mul_f64 v[62:63], v[50:51], v[150:151]
	v_fmac_f64_e32 v[62:63], v[52:53], v[154:155]
	s_waitcnt vmcnt(50) lgkmcnt(1)
	v_mul_f64 v[64:65], v[54:55], v[188:189]
	v_add_f64 v[62:63], v[118:119], v[62:63]
	s_waitcnt vmcnt(48)
	v_fmac_f64_e32 v[64:65], v[56:57], v[190:191]
	v_add_f64 v[62:63], v[62:63], v[64:65]
	s_waitcnt lgkmcnt(0)
	v_mul_f64 v[64:65], v[58:59], v[158:159]
	v_fmac_f64_e32 v[64:65], v[60:61], v[162:163]
	v_add_f64 v[74:75], v[62:63], v[64:65]
	ds_read_b128 v[62:65], v1 offset:1792
	v_mul_f64 v[66:67], v[88:89], v[66:67]
	v_fma_f64 v[118:119], v[86:87], v[68:69], -v[66:67]
	ds_read_b128 v[66:69], v1 offset:1808
	v_mul_f64 v[70:71], v[100:101], v[70:71]
	s_waitcnt vmcnt(42) lgkmcnt(1)
	v_mul_f64 v[76:77], v[62:63], v[192:193]
	s_waitcnt vmcnt(40)
	v_fmac_f64_e32 v[76:77], v[64:65], v[194:195]
	v_add_f64 v[74:75], v[74:75], v[76:77]
	v_fma_f64 v[252:253], v[98:99], v[72:73], -v[70:71]
	ds_read_b128 v[70:73], v1 offset:1824
	s_waitcnt lgkmcnt(1)
	v_mul_f64 v[76:77], v[66:67], v[166:167]
	v_fmac_f64_e32 v[76:77], v[68:69], v[170:171]
	v_add_f64 v[86:87], v[74:75], v[76:77]
	ds_read_b128 v[74:77], v1 offset:1840
	v_mul_f64 v[78:79], v[112:113], v[78:79]
	v_fma_f64 v[254:255], v[110:111], v[80:81], -v[78:79]
	ds_read_b128 v[78:81], v1 offset:1856
	s_waitcnt vmcnt(34) lgkmcnt(2)
	v_mul_f64 v[88:89], v[70:71], v[196:197]
	v_mul_f64 v[82:83], v[116:117], v[82:83]
	s_waitcnt vmcnt(32)
	v_fmac_f64_e32 v[88:89], v[72:73], v[198:199]
	v_fma_f64 v[250:251], v[114:115], v[84:85], -v[82:83]
	ds_read_b128 v[82:85], v1 offset:1872
	v_add_f64 v[86:87], v[86:87], v[88:89]
	s_waitcnt lgkmcnt(2)
	v_mul_f64 v[88:89], v[74:75], v[174:175]
	v_fmac_f64_e32 v[88:89], v[76:77], v[178:179]
	v_add_f64 v[86:87], v[86:87], v[88:89]
	s_waitcnt vmcnt(26) lgkmcnt(1)
	v_mul_f64 v[88:89], v[78:79], v[200:201]
	s_waitcnt vmcnt(24)
	v_fmac_f64_e32 v[88:89], v[80:81], v[202:203]
	v_add_f64 v[86:87], v[86:87], v[88:89]
	s_waitcnt lgkmcnt(0)
	v_mul_f64 v[88:89], v[82:83], v[182:183]
	v_fmac_f64_e32 v[88:89], v[84:85], v[186:187]
	v_add_f64 v[98:99], v[86:87], v[88:89]
	ds_read_b128 v[86:89], v1 offset:1888
	v_accvgpr_write_b32 a191, v3
	v_mul_f64 v[90:91], v[230:231], v[90:91]
	v_accvgpr_write_b32 a190, v2
	v_fma_f64 v[2:3], v[228:229], v[92:93], -v[90:91]
	ds_read_b128 v[90:93], v1 offset:1904
	v_mul_f64 v[94:95], v[234:235], v[94:95]
	v_fma_f64 v[232:233], v[232:233], v[96:97], -v[94:95]
	ds_read_b128 v[94:97], v1 offset:1920
	v_mul_f64 v[102:103], v[238:239], v[102:103]
	;; [unrolled: 3-line block ×4, first 2 shown]
	v_accvgpr_read_b32 v0, a188
	v_cmp_lt_u32_e32 vcc, 22, v0
	s_waitcnt vmcnt(22) lgkmcnt(4)
	v_mul_f64 v[100:101], v[86:87], v[204:205]
	s_waitcnt vmcnt(20)
	v_fmac_f64_e32 v[100:101], v[88:89], v[206:207]
	v_add_f64 v[98:99], v[98:99], v[100:101]
	s_waitcnt vmcnt(17) lgkmcnt(3)
	v_mul_f64 v[100:101], v[90:91], v[208:209]
	s_waitcnt vmcnt(16)
	v_fmac_f64_e32 v[100:101], v[92:93], v[210:211]
	v_add_f64 v[110:111], v[98:99], v[100:101]
	ds_read_b128 v[98:101], v1 offset:1936
	s_waitcnt vmcnt(14) lgkmcnt(3)
	v_mul_f64 v[112:113], v[94:95], v[214:215]
	s_waitcnt vmcnt(12)
	v_fmac_f64_e32 v[112:113], v[96:97], v[218:219]
	buffer_load_dword v229, off, s[0:3], 0 offset:1004
	buffer_load_dword v228, off, s[0:3], 0 offset:1000
	buffer_load_dword v231, off, s[0:3], 0 offset:996
	buffer_load_dword v230, off, s[0:3], 0 offset:992
	v_add_f64 v[110:111], v[110:111], v[112:113]
	s_waitcnt vmcnt(14) lgkmcnt(0)
	v_mul_f64 v[112:113], v[98:99], v[216:217]
	s_waitcnt vmcnt(12)
	v_fmac_f64_e32 v[112:113], v[100:101], v[220:221]
	v_add_f64 v[110:111], v[110:111], v[112:113]
	s_waitcnt vmcnt(9)
	v_mul_f64 v[112:113], v[102:103], v[224:225]
	s_waitcnt vmcnt(7)
	v_fmac_f64_e32 v[112:113], v[104:105], v[226:227]
	v_add_f64 v[110:111], v[110:111], v[112:113]
	s_waitcnt vmcnt(5)
	v_mul_f64 v[112:113], v[106:107], v[212:213]
	s_waitcnt vmcnt(4)
	v_fmac_f64_e32 v[112:113], v[108:109], v[222:223]
	v_add_f64 v[114:115], v[110:111], v[112:113]
	ds_read_b128 v[110:113], v1 offset:1984
	buffer_load_dword v234, off, s[0:3], 0 offset:1016
	buffer_load_dword v235, off, s[0:3], 0 offset:1020
	;; [unrolled: 1-line block ×4, first 2 shown]
	s_waitcnt vmcnt(6) lgkmcnt(0)
	v_mul_f64 v[116:117], v[110:111], v[228:229]
	s_waitcnt vmcnt(4)
	v_fmac_f64_e32 v[116:117], v[112:113], v[230:231]
	v_add_f64 v[240:241], v[114:115], v[116:117]
	ds_read_b128 v[114:117], v1 offset:2000
	s_waitcnt vmcnt(2) lgkmcnt(0)
	v_mul_f64 v[242:243], v[114:115], v[234:235]
	s_waitcnt vmcnt(0)
	v_fmac_f64_e32 v[242:243], v[116:117], v[244:245]
	v_add_f64 v[240:241], v[240:241], v[242:243]
	v_add_f64 v[242:243], v[246:247], 0
	;; [unrolled: 1-line block ×3, first 2 shown]
	buffer_load_dword v248, off, s[0:3], 0 offset:384
	buffer_load_dword v249, off, s[0:3], 0 offset:388
	;; [unrolled: 1-line block ×4, first 2 shown]
	v_add_f64 v[118:119], v[242:243], v[118:119]
	v_add_f64 v[118:119], v[118:119], v[252:253]
	;; [unrolled: 1-line block ×6, first 2 shown]
	v_accvgpr_read_b32 v118, a190
	v_add_f64 v[252:253], v[2:3], v[238:239]
	v_accvgpr_read_b32 v119, a191
	v_add_f64 v[2:3], v[252:253], v[236:237]
	v_fma_f64 v[4:5], v[120:121], v[118:119], -v[4:5]
	v_add_f64 v[2:3], v[2:3], v[4:5]
	v_mul_f64 v[4:5], v[8:9], v[128:129]
	v_fma_f64 v[4:5], v[6:7], v[144:145], -v[4:5]
	v_add_f64 v[2:3], v[2:3], v[4:5]
	v_mul_f64 v[4:5], v[12:13], v[124:125]
	;; [unrolled: 3-line block ×28, first 2 shown]
	v_fma_f64 v[4:5], v[114:115], v[244:245], -v[4:5]
	v_add_f64 v[2:3], v[2:3], v[4:5]
	s_waitcnt vmcnt(2)
	v_add_f64 v[2:3], v[248:249], -v[2:3]
	s_waitcnt vmcnt(0)
	v_add_f64 v[4:5], v[246:247], -v[240:241]
	buffer_store_dword v3, off, s[0:3], 0 offset:388
	buffer_store_dword v2, off, s[0:3], 0 offset:384
	;; [unrolled: 1-line block ×4, first 2 shown]
	s_and_saveexec_b64 s[4:5], vcc
	s_cbranch_execz .LBB126_359
; %bb.358:
	v_accvgpr_read_b32 v0, a166
	buffer_load_dword v2, v0, s[0:3], 0 offen
	buffer_load_dword v3, v0, s[0:3], 0 offen offset:4
	buffer_load_dword v4, v0, s[0:3], 0 offen offset:8
	;; [unrolled: 1-line block ×3, first 2 shown]
	v_accvgpr_read_b32 v0, a189
	buffer_store_dword v1, off, s[0:3], 0 offset:368
	buffer_store_dword v1, off, s[0:3], 0 offset:372
	;; [unrolled: 1-line block ×4, first 2 shown]
	s_waitcnt vmcnt(4)
	ds_write_b128 v0, v[2:5]
.LBB126_359:
	s_or_b64 exec, exec, s[4:5]
	s_waitcnt lgkmcnt(0)
	; wave barrier
	s_waitcnt lgkmcnt(0)
	buffer_load_dword v56, off, s[0:3], 0 offset:384
	buffer_load_dword v57, off, s[0:3], 0 offset:388
	;; [unrolled: 1-line block ×42, first 2 shown]
	ds_read_b128 v[78:81], v1 offset:1376
	ds_read_b128 v[90:93], v1 offset:1392
	;; [unrolled: 1-line block ×10, first 2 shown]
	buffer_load_dword v105, off, s[0:3], 0 offset:532
	buffer_load_dword v104, off, s[0:3], 0 offset:528
	ds_read_b128 v[106:109], v1 offset:1536
	buffer_load_dword v3, off, s[0:3], 0 offset:588
	buffer_load_dword v2, off, s[0:3], 0 offset:584
	s_waitcnt vmcnt(38) lgkmcnt(9)
	v_mul_f64 v[4:5], v[90:91], v[62:63]
	v_fmac_f64_e32 v[4:5], v[92:93], v[54:55]
	s_waitcnt vmcnt(36) lgkmcnt(8)
	v_mul_f64 v[6:7], v[114:115], v[58:59]
	v_mul_f64 v[58:59], v[116:117], v[58:59]
	s_waitcnt vmcnt(34) lgkmcnt(6)
	v_mul_f64 v[10:11], v[232:233], v[70:71]
	v_mul_f64 v[70:71], v[234:235], v[70:71]
	s_waitcnt vmcnt(32)
	v_fmac_f64_e32 v[10:11], v[234:235], v[72:73]
	v_fma_f64 v[232:233], v[232:233], v[72:73], -v[70:71]
	s_waitcnt vmcnt(30)
	v_mul_f64 v[8:9], v[228:229], v[64:65]
	s_waitcnt vmcnt(28) lgkmcnt(4)
	v_mul_f64 v[14:15], v[240:241], v[82:83]
	v_mul_f64 v[82:83], v[242:243], v[82:83]
	s_waitcnt vmcnt(26)
	v_fmac_f64_e32 v[14:15], v[242:243], v[84:85]
	s_waitcnt vmcnt(24)
	v_mul_f64 v[12:13], v[236:237], v[74:75]
	v_mul_f64 v[74:75], v[238:239], v[74:75]
	s_waitcnt vmcnt(22) lgkmcnt(2)
	v_mul_f64 v[18:19], v[248:249], v[94:95]
	v_mul_f64 v[94:95], v[250:251], v[94:95]
	s_waitcnt vmcnt(19)
	v_mul_f64 v[16:17], v[244:245], v[86:87]
	v_mul_f64 v[86:87], v[246:247], v[86:87]
	s_waitcnt vmcnt(17) lgkmcnt(1)
	v_mul_f64 v[20:21], v[98:99], v[102:103]
	s_waitcnt vmcnt(15)
	v_fmac_f64_e32 v[6:7], v[116:117], v[68:69]
	s_waitcnt vmcnt(13)
	v_fmac_f64_e32 v[8:9], v[230:231], v[66:67]
	;; [unrolled: 2-line block ×3, first 2 shown]
	v_fma_f64 v[236:237], v[236:237], v[76:77], -v[74:75]
	s_waitcnt vmcnt(9)
	v_fmac_f64_e32 v[16:17], v[246:247], v[88:89]
	s_waitcnt vmcnt(8)
	v_fmac_f64_e32 v[18:19], v[250:251], v[96:97]
	v_fma_f64 v[238:239], v[240:241], v[84:85], -v[82:83]
	v_fma_f64 v[240:241], v[244:245], v[88:89], -v[86:87]
	;; [unrolled: 1-line block ×3, first 2 shown]
	s_waitcnt vmcnt(2)
	v_fmac_f64_e32 v[20:21], v[100:101], v[104:105]
	v_mul_f64 v[100:101], v[100:101], v[102:103]
	s_waitcnt vmcnt(0)
	v_pk_mov_b32 v[22:23], v[2:3], v[2:3] op_sel:[0,1]
	buffer_load_dword v3, off, s[0:3], 0 offset:580
	buffer_load_dword v2, off, s[0:3], 0 offset:576
	buffer_load_dword v125, off, s[0:3], 0 offset:572
	buffer_load_dword v124, off, s[0:3], 0 offset:568
	buffer_load_dword v141, off, s[0:3], 0 offset:564
	buffer_load_dword v140, off, s[0:3], 0 offset:560
	buffer_load_dword v127, off, s[0:3], 0 offset:620
	buffer_load_dword v126, off, s[0:3], 0 offset:616
	buffer_load_dword v129, off, s[0:3], 0 offset:612
	buffer_load_dword v128, off, s[0:3], 0 offset:608
	buffer_load_dword v145, off, s[0:3], 0 offset:604
	buffer_load_dword v144, off, s[0:3], 0 offset:600
	buffer_load_dword v149, off, s[0:3], 0 offset:596
	buffer_load_dword v148, off, s[0:3], 0 offset:592
	buffer_load_dword v131, off, s[0:3], 0 offset:652
	buffer_load_dword v130, off, s[0:3], 0 offset:648
	buffer_load_dword v133, off, s[0:3], 0 offset:644
	buffer_load_dword v132, off, s[0:3], 0 offset:640
	buffer_load_dword v153, off, s[0:3], 0 offset:636
	buffer_load_dword v152, off, s[0:3], 0 offset:632
	buffer_load_dword v157, off, s[0:3], 0 offset:628
	buffer_load_dword v156, off, s[0:3], 0 offset:624
	buffer_load_dword v135, off, s[0:3], 0 offset:684
	buffer_load_dword v134, off, s[0:3], 0 offset:680
	buffer_load_dword v137, off, s[0:3], 0 offset:676
	buffer_load_dword v136, off, s[0:3], 0 offset:672
	buffer_load_dword v161, off, s[0:3], 0 offset:668
	buffer_load_dword v160, off, s[0:3], 0 offset:664
	buffer_load_dword v165, off, s[0:3], 0 offset:660
	buffer_load_dword v164, off, s[0:3], 0 offset:656
	buffer_load_dword v139, off, s[0:3], 0 offset:716
	buffer_load_dword v138, off, s[0:3], 0 offset:712
	buffer_load_dword v143, off, s[0:3], 0 offset:708
	buffer_load_dword v142, off, s[0:3], 0 offset:704
	buffer_load_dword v169, off, s[0:3], 0 offset:700
	buffer_load_dword v168, off, s[0:3], 0 offset:696
	buffer_load_dword v173, off, s[0:3], 0 offset:692
	buffer_load_dword v172, off, s[0:3], 0 offset:688
	buffer_load_dword v147, off, s[0:3], 0 offset:748
	buffer_load_dword v146, off, s[0:3], 0 offset:744
	buffer_load_dword v151, off, s[0:3], 0 offset:740
	buffer_load_dword v150, off, s[0:3], 0 offset:736
	buffer_load_dword v177, off, s[0:3], 0 offset:732
	buffer_load_dword v176, off, s[0:3], 0 offset:728
	buffer_load_dword v181, off, s[0:3], 0 offset:724
	buffer_load_dword v180, off, s[0:3], 0 offset:720
	buffer_load_dword v155, off, s[0:3], 0 offset:780
	buffer_load_dword v154, off, s[0:3], 0 offset:776
	buffer_load_dword v159, off, s[0:3], 0 offset:772
	buffer_load_dword v158, off, s[0:3], 0 offset:768
	buffer_load_dword v185, off, s[0:3], 0 offset:764
	buffer_load_dword v184, off, s[0:3], 0 offset:760
	buffer_load_dword v187, off, s[0:3], 0 offset:756
	buffer_load_dword v186, off, s[0:3], 0 offset:752
	buffer_load_dword v163, off, s[0:3], 0 offset:812
	buffer_load_dword v162, off, s[0:3], 0 offset:808
	buffer_load_dword v167, off, s[0:3], 0 offset:804
	buffer_load_dword v166, off, s[0:3], 0 offset:800
	buffer_load_dword v189, off, s[0:3], 0 offset:796
	buffer_load_dword v188, off, s[0:3], 0 offset:792
	buffer_load_dword v191, off, s[0:3], 0 offset:788
	buffer_load_dword v190, off, s[0:3], 0 offset:784
	buffer_load_dword v171, off, s[0:3], 0 offset:844
	buffer_load_dword v170, off, s[0:3], 0 offset:840
	buffer_load_dword v175, off, s[0:3], 0 offset:836
	buffer_load_dword v174, off, s[0:3], 0 offset:832
	buffer_load_dword v193, off, s[0:3], 0 offset:828
	buffer_load_dword v192, off, s[0:3], 0 offset:824
	buffer_load_dword v195, off, s[0:3], 0 offset:820
	buffer_load_dword v194, off, s[0:3], 0 offset:816
	buffer_load_dword v179, off, s[0:3], 0 offset:876
	buffer_load_dword v178, off, s[0:3], 0 offset:872
	buffer_load_dword v183, off, s[0:3], 0 offset:868
	buffer_load_dword v182, off, s[0:3], 0 offset:864
	buffer_load_dword v197, off, s[0:3], 0 offset:860
	buffer_load_dword v196, off, s[0:3], 0 offset:856
	buffer_load_dword v199, off, s[0:3], 0 offset:852
	buffer_load_dword v198, off, s[0:3], 0 offset:848
	ds_read_b128 v[120:123], v1 offset:1552
	v_accvgpr_write_b32 a191, v23
	v_accvgpr_write_b32 a190, v22
	v_fma_f64 v[250:251], v[98:99], v[104:105], -v[100:101]
	s_waitcnt vmcnt(62)
	v_pk_mov_b32 v[24:25], v[2:3], v[2:3] op_sel:[0,1]
	v_mul_f64 v[2:3], v[78:79], v[60:61]
	v_fmac_f64_e32 v[2:3], v[80:81], v[56:57]
	v_add_f64 v[2:3], v[2:3], 0
	v_add_f64 v[2:3], v[2:3], v[4:5]
	;; [unrolled: 1-line block ×9, first 2 shown]
	s_waitcnt lgkmcnt(1)
	v_mul_f64 v[8:9], v[106:107], v[110:111]
	v_add_f64 v[6:7], v[2:3], v[20:21]
	v_fmac_f64_e32 v[8:9], v[108:109], v[112:113]
	v_add_f64 v[10:11], v[6:7], v[8:9]
	ds_read_b128 v[6:9], v1 offset:1568
	s_waitcnt lgkmcnt(1)
	v_mul_f64 v[12:13], v[120:121], v[124:125]
	v_fmac_f64_e32 v[12:13], v[122:123], v[140:141]
	v_add_f64 v[14:15], v[10:11], v[12:13]
	ds_read_b128 v[10:13], v1 offset:1584
	s_waitcnt lgkmcnt(1)
	v_mul_f64 v[16:17], v[6:7], v[22:23]
	;; [unrolled: 5-line block ×3, first 2 shown]
	v_fmac_f64_e32 v[20:21], v[12:13], v[148:149]
	v_add_f64 v[22:23], v[18:19], v[20:21]
	ds_read_b128 v[18:21], v1 offset:1616
	v_accvgpr_write_b32 a193, v25
	v_accvgpr_write_b32 a192, v24
	s_waitcnt lgkmcnt(1)
	v_mul_f64 v[24:25], v[14:15], v[126:127]
	v_fmac_f64_e32 v[24:25], v[16:17], v[128:129]
	v_add_f64 v[26:27], v[22:23], v[24:25]
	ds_read_b128 v[22:25], v1 offset:1632
	s_waitcnt vmcnt(58) lgkmcnt(1)
	v_mul_f64 v[28:29], v[18:19], v[152:153]
	s_waitcnt vmcnt(56)
	v_fmac_f64_e32 v[28:29], v[20:21], v[156:157]
	v_add_f64 v[30:31], v[26:27], v[28:29]
	ds_read_b128 v[26:29], v1 offset:1648
	s_waitcnt lgkmcnt(1)
	v_mul_f64 v[32:33], v[22:23], v[130:131]
	v_fmac_f64_e32 v[32:33], v[24:25], v[132:133]
	v_add_f64 v[34:35], v[30:31], v[32:33]
	ds_read_b128 v[30:33], v1 offset:1664
	s_waitcnt vmcnt(50) lgkmcnt(1)
	v_mul_f64 v[36:37], v[26:27], v[160:161]
	s_waitcnt vmcnt(48)
	v_fmac_f64_e32 v[36:37], v[28:29], v[164:165]
	v_add_f64 v[38:39], v[34:35], v[36:37]
	ds_read_b128 v[34:37], v1 offset:1680
	;; [unrolled: 11-line block ×4, first 2 shown]
	buffer_load_dword v200, off, s[0:3], 0 offset:904
	buffer_load_dword v205, off, s[0:3], 0 offset:892
	;; [unrolled: 1-line block ×8, first 2 shown]
	s_waitcnt lgkmcnt(1)
	v_mul_f64 v[208:209], v[46:47], v[146:147]
	v_fmac_f64_e32 v[208:209], v[48:49], v[150:151]
	v_add_f64 v[118:119], v[118:119], v[208:209]
	buffer_load_dword v209, off, s[0:3], 0 offset:924
	buffer_load_dword v208, off, s[0:3], 0 offset:920
	;; [unrolled: 1-line block ×20, first 2 shown]
	v_mul_f64 v[60:61], v[80:81], v[60:61]
	s_waitcnt vmcnt(54) lgkmcnt(0)
	v_mul_f64 v[252:253], v[50:51], v[184:185]
	v_fma_f64 v[254:255], v[78:79], v[56:57], -v[60:61]
	v_mul_f64 v[56:57], v[92:93], v[62:63]
	v_fma_f64 v[2:3], v[90:91], v[54:55], -v[56:57]
	s_waitcnt vmcnt(52)
	v_fmac_f64_e32 v[252:253], v[52:53], v[186:187]
	ds_read_b128 v[54:57], v1 offset:1760
	v_add_f64 v[4:5], v[118:119], v[252:253]
	v_fma_f64 v[118:119], v[114:115], v[68:69], -v[58:59]
	ds_read_b128 v[58:61], v1 offset:1776
	v_mul_f64 v[62:63], v[230:231], v[64:65]
	v_fma_f64 v[252:253], v[228:229], v[66:67], -v[62:63]
	ds_read_b128 v[62:65], v1 offset:1792
	ds_read_b128 v[70:73], v1 offset:1824
	s_waitcnt lgkmcnt(3)
	v_mul_f64 v[68:69], v[54:55], v[154:155]
	v_fmac_f64_e32 v[68:69], v[56:57], v[158:159]
	s_waitcnt vmcnt(46) lgkmcnt(2)
	v_mul_f64 v[66:67], v[58:59], v[188:189]
	v_add_f64 v[4:5], v[4:5], v[68:69]
	s_waitcnt vmcnt(44)
	v_fmac_f64_e32 v[66:67], v[60:61], v[190:191]
	v_add_f64 v[4:5], v[4:5], v[66:67]
	s_waitcnt lgkmcnt(1)
	v_mul_f64 v[66:67], v[62:63], v[162:163]
	v_fmac_f64_e32 v[66:67], v[64:65], v[166:167]
	v_add_f64 v[4:5], v[4:5], v[66:67]
	ds_read_b128 v[66:69], v1 offset:1808
	ds_read_b128 v[74:77], v1 offset:1840
	;; [unrolled: 1-line block ×5, first 2 shown]
	s_waitcnt vmcnt(38) lgkmcnt(4)
	v_mul_f64 v[78:79], v[66:67], v[192:193]
	s_waitcnt vmcnt(36)
	v_fmac_f64_e32 v[78:79], v[68:69], v[194:195]
	v_add_f64 v[4:5], v[4:5], v[78:79]
	v_mul_f64 v[78:79], v[70:71], v[170:171]
	v_fmac_f64_e32 v[78:79], v[72:73], v[174:175]
	v_add_f64 v[4:5], v[4:5], v[78:79]
	s_waitcnt vmcnt(30) lgkmcnt(3)
	v_mul_f64 v[78:79], v[74:75], v[196:197]
	s_waitcnt vmcnt(28)
	v_fmac_f64_e32 v[78:79], v[76:77], v[198:199]
	v_add_f64 v[4:5], v[4:5], v[78:79]
	ds_read_b128 v[78:81], v1 offset:1856
	ds_read_b128 v[98:101], v1 offset:1936
	s_waitcnt lgkmcnt(1)
	v_mul_f64 v[90:91], v[78:79], v[178:179]
	v_fmac_f64_e32 v[90:91], v[80:81], v[182:183]
	v_add_f64 v[4:5], v[4:5], v[90:91]
	s_waitcnt vmcnt(25)
	v_mul_f64 v[90:91], v[82:83], v[204:205]
	s_waitcnt vmcnt(23)
	v_fmac_f64_e32 v[90:91], v[84:85], v[206:207]
	v_add_f64 v[4:5], v[4:5], v[90:91]
	s_waitcnt vmcnt(21)
	v_mul_f64 v[90:91], v[86:87], v[200:201]
	s_waitcnt vmcnt(20)
	v_fmac_f64_e32 v[90:91], v[88:89], v[202:203]
	v_add_f64 v[4:5], v[4:5], v[90:91]
	ds_read_b128 v[90:93], v1 offset:1904
	s_waitcnt vmcnt(14)
	v_mul_f64 v[102:103], v[94:95], v[214:215]
	s_waitcnt vmcnt(12)
	v_fmac_f64_e32 v[102:103], v[96:97], v[216:217]
	s_waitcnt lgkmcnt(0)
	v_mul_f64 v[114:115], v[90:91], v[208:209]
	v_fmac_f64_e32 v[114:115], v[92:93], v[210:211]
	v_add_f64 v[4:5], v[4:5], v[114:115]
	v_add_f64 v[114:115], v[4:5], v[102:103]
	ds_read_b128 v[102:105], v1 offset:1952
	v_mul_f64 v[4:5], v[108:109], v[110:111]
	v_fma_f64 v[4:5], v[106:107], v[112:113], -v[4:5]
	ds_read_b128 v[106:109], v1 offset:1968
	buffer_load_dword v228, off, s[0:3], 0 offset:1000
	buffer_load_dword v229, off, s[0:3], 0 offset:1004
	;; [unrolled: 1-line block ×4, first 2 shown]
	s_waitcnt vmcnt(13)
	v_mul_f64 v[110:111], v[98:99], v[220:221]
	s_waitcnt vmcnt(11)
	v_fmac_f64_e32 v[110:111], v[100:101], v[224:225]
	s_waitcnt vmcnt(9) lgkmcnt(1)
	v_mul_f64 v[112:113], v[102:103], v[212:213]
	v_add_f64 v[110:111], v[114:115], v[110:111]
	s_waitcnt vmcnt(8)
	v_fmac_f64_e32 v[112:113], v[104:105], v[218:219]
	v_add_f64 v[110:111], v[110:111], v[112:113]
	s_waitcnt vmcnt(6) lgkmcnt(0)
	v_mul_f64 v[112:113], v[106:107], v[222:223]
	s_waitcnt vmcnt(4)
	v_fmac_f64_e32 v[112:113], v[108:109], v[226:227]
	v_add_f64 v[114:115], v[110:111], v[112:113]
	ds_read_b128 v[110:113], v1 offset:1984
	buffer_load_dword v235, off, s[0:3], 0 offset:1020
	buffer_load_dword v234, off, s[0:3], 0 offset:1016
	buffer_load_dword v245, off, s[0:3], 0 offset:1012
	buffer_load_dword v244, off, s[0:3], 0 offset:1008
	s_waitcnt vmcnt(6) lgkmcnt(0)
	v_mul_f64 v[116:117], v[110:111], v[228:229]
	s_waitcnt vmcnt(4)
	v_fmac_f64_e32 v[116:117], v[112:113], v[230:231]
	v_add_f64 v[246:247], v[114:115], v[116:117]
	ds_read_b128 v[114:117], v1 offset:2000
	s_waitcnt vmcnt(2) lgkmcnt(0)
	v_mul_f64 v[0:1], v[114:115], v[234:235]
	s_waitcnt vmcnt(0)
	v_fmac_f64_e32 v[0:1], v[116:117], v[244:245]
	v_add_f64 v[0:1], v[246:247], v[0:1]
	v_add_f64 v[246:247], v[254:255], 0
	;; [unrolled: 1-line block ×3, first 2 shown]
	buffer_load_dword v248, off, s[0:3], 0 offset:368
	buffer_load_dword v249, off, s[0:3], 0 offset:372
	buffer_load_dword v246, off, s[0:3], 0 offset:376
	buffer_load_dword v247, off, s[0:3], 0 offset:380
	v_add_f64 v[2:3], v[2:3], v[118:119]
	v_add_f64 v[2:3], v[2:3], v[252:253]
	;; [unrolled: 1-line block ×9, first 2 shown]
	v_mul_f64 v[4:5], v[122:123], v[124:125]
	v_fma_f64 v[4:5], v[120:121], v[140:141], -v[4:5]
	v_add_f64 v[2:3], v[2:3], v[4:5]
	v_accvgpr_read_b32 v4, a190
	v_accvgpr_read_b32 v5, a191
	v_mul_f64 v[4:5], v[8:9], v[4:5]
	v_accvgpr_read_b32 v8, a192
	v_accvgpr_read_b32 v9, a193
	v_fma_f64 v[4:5], v[6:7], v[8:9], -v[4:5]
	v_add_f64 v[2:3], v[2:3], v[4:5]
	v_mul_f64 v[4:5], v[12:13], v[144:145]
	v_fma_f64 v[4:5], v[10:11], v[148:149], -v[4:5]
	v_add_f64 v[2:3], v[2:3], v[4:5]
	v_mul_f64 v[4:5], v[16:17], v[126:127]
	;; [unrolled: 3-line block ×27, first 2 shown]
	v_fma_f64 v[4:5], v[114:115], v[244:245], -v[4:5]
	v_add_f64 v[2:3], v[2:3], v[4:5]
	s_waitcnt vmcnt(2)
	v_add_f64 v[2:3], v[248:249], -v[2:3]
	s_waitcnt vmcnt(0)
	v_add_f64 v[0:1], v[246:247], -v[0:1]
	buffer_store_dword v3, off, s[0:3], 0 offset:372
	buffer_store_dword v2, off, s[0:3], 0 offset:368
	;; [unrolled: 1-line block ×4, first 2 shown]
	v_accvgpr_read_b32 v0, a188
	v_cmp_lt_u32_e32 vcc, 21, v0
	s_and_saveexec_b64 s[4:5], vcc
	s_cbranch_execz .LBB126_361
; %bb.360:
	v_accvgpr_read_b32 v0, a167
	buffer_load_dword v2, v0, s[0:3], 0 offen
	buffer_load_dword v3, v0, s[0:3], 0 offen offset:4
	buffer_load_dword v4, v0, s[0:3], 0 offen offset:8
	;; [unrolled: 1-line block ×3, first 2 shown]
	v_mov_b32_e32 v0, 0
	v_accvgpr_read_b32 v1, a189
	buffer_store_dword v0, off, s[0:3], 0 offset:352
	buffer_store_dword v0, off, s[0:3], 0 offset:356
	;; [unrolled: 1-line block ×4, first 2 shown]
	s_waitcnt vmcnt(4)
	ds_write_b128 v1, v[2:5]
.LBB126_361:
	s_or_b64 exec, exec, s[4:5]
	s_waitcnt lgkmcnt(0)
	; wave barrier
	s_waitcnt lgkmcnt(0)
	buffer_load_dword v54, off, s[0:3], 0 offset:368
	buffer_load_dword v55, off, s[0:3], 0 offset:372
	;; [unrolled: 1-line block ×46, first 2 shown]
	v_mov_b32_e32 v1, 0
	v_accvgpr_read_b32 v0, a188
	v_cmp_lt_u32_e32 vcc, 20, v0
	s_waitcnt vmcnt(0)
	v_pk_mov_b32 v[22:23], v[2:3], v[2:3] op_sel:[0,1]
	buffer_load_dword v3, off, s[0:3], 0 offset:564
	buffer_load_dword v2, off, s[0:3], 0 offset:560
	;; [unrolled: 1-line block ×3, first 2 shown]
	ds_read_b128 v[94:97], v1 offset:1360
	ds_read_b128 v[108:111], v1 offset:1376
	;; [unrolled: 1-line block ×11, first 2 shown]
	s_waitcnt lgkmcnt(9)
	v_mul_f64 v[4:5], v[108:109], v[62:63]
	v_fmac_f64_e32 v[4:5], v[110:111], v[58:59]
	s_waitcnt lgkmcnt(8)
	v_mul_f64 v[6:7], v[112:113], v[60:61]
	s_waitcnt lgkmcnt(7)
	v_mul_f64 v[8:9], v[116:117], v[68:69]
	v_fmac_f64_e32 v[6:7], v[114:115], v[84:85]
	s_waitcnt lgkmcnt(6)
	v_mul_f64 v[10:11], v[228:229], v[64:65]
	v_fmac_f64_e32 v[8:9], v[118:119], v[82:83]
	;; [unrolled: 3-line block ×7, first 2 shown]
	v_fmac_f64_e32 v[20:21], v[250:251], v[92:93]
	v_accvgpr_write_b32 a191, v23
	v_accvgpr_write_b32 a190, v22
	v_mul_f64 v[62:63], v[110:111], v[62:63]
	v_mul_f64 v[74:75], v[238:239], v[74:75]
	;; [unrolled: 1-line block ×4, first 2 shown]
	v_fma_f64 v[246:247], v[244:245], v[88:89], -v[86:87]
	v_mul_f64 v[90:91], v[250:251], v[90:91]
	v_fma_f64 v[248:249], v[248:249], v[92:93], -v[90:91]
	s_waitcnt vmcnt(1)
	v_pk_mov_b32 v[24:25], v[2:3], v[2:3] op_sel:[0,1]
	v_mul_f64 v[2:3], v[94:95], v[56:57]
	v_fmac_f64_e32 v[2:3], v[96:97], v[54:55]
	v_add_f64 v[2:3], v[2:3], 0
	v_add_f64 v[2:3], v[2:3], v[4:5]
	buffer_load_dword v106, off, s[0:3], 0 offset:552
	buffer_load_dword v225, off, s[0:3], 0 offset:548
	;; [unrolled: 1-line block ×75, first 2 shown]
	v_add_f64 v[2:3], v[2:3], v[6:7]
	v_add_f64 v[2:3], v[2:3], v[8:9]
	;; [unrolled: 1-line block ×3, first 2 shown]
	ds_read_b128 v[252:255], v1 offset:1536
	ds_read_b128 v[120:123], v1 offset:1552
	v_add_f64 v[2:3], v[2:3], v[12:13]
	v_add_f64 v[2:3], v[2:3], v[14:15]
	;; [unrolled: 1-line block ×3, first 2 shown]
	ds_read_b128 v[196:199], v1 offset:1568
	v_add_f64 v[2:3], v[2:3], v[18:19]
	v_add_f64 v[2:3], v[2:3], v[20:21]
	s_waitcnt lgkmcnt(1)
	v_mul_f64 v[12:13], v[120:121], v[22:23]
	v_fmac_f64_e32 v[12:13], v[122:123], v[24:25]
	v_accvgpr_write_b32 a193, v25
	v_accvgpr_write_b32 a192, v24
	v_mul_f64 v[56:57], v[96:97], v[56:57]
	s_waitcnt vmcnt(62)
	v_mul_f64 v[8:9], v[252:253], v[106:107]
	v_fmac_f64_e32 v[8:9], v[254:255], v[224:225]
	v_pk_mov_b32 v[26:27], v[4:5], v[4:5] op_sel:[0,1]
	v_mul_f64 v[4:5], v[98:99], v[102:103]
	v_fmac_f64_e32 v[4:5], v[100:101], v[104:105]
	v_add_f64 v[6:7], v[2:3], v[4:5]
	v_add_f64 v[10:11], v[6:7], v[8:9]
	;; [unrolled: 1-line block ×3, first 2 shown]
	ds_read_b128 v[10:13], v1 offset:1584
	s_waitcnt lgkmcnt(1)
	v_mul_f64 v[16:17], v[196:197], v[140:141]
	v_fmac_f64_e32 v[16:17], v[198:199], v[144:145]
	v_add_f64 v[18:19], v[14:15], v[16:17]
	ds_read_b128 v[14:17], v1 offset:1600
	s_waitcnt lgkmcnt(1)
	v_mul_f64 v[20:21], v[10:11], v[26:27]
	v_fmac_f64_e32 v[20:21], v[12:13], v[126:127]
	v_add_f64 v[22:23], v[18:19], v[20:21]
	ds_read_b128 v[18:21], v1 offset:1616
	s_waitcnt vmcnt(58) lgkmcnt(1)
	v_mul_f64 v[24:25], v[14:15], v[148:149]
	v_accvgpr_write_b32 a195, v27
	s_waitcnt vmcnt(56)
	v_fmac_f64_e32 v[24:25], v[16:17], v[152:153]
	v_accvgpr_write_b32 a194, v26
	v_add_f64 v[26:27], v[22:23], v[24:25]
	ds_read_b128 v[22:25], v1 offset:1632
	s_waitcnt lgkmcnt(1)
	v_mul_f64 v[28:29], v[18:19], v[128:129]
	v_fmac_f64_e32 v[28:29], v[20:21], v[130:131]
	v_add_f64 v[30:31], v[26:27], v[28:29]
	ds_read_b128 v[26:29], v1 offset:1648
	s_waitcnt vmcnt(50) lgkmcnt(1)
	v_mul_f64 v[32:33], v[22:23], v[156:157]
	s_waitcnt vmcnt(48)
	v_fmac_f64_e32 v[32:33], v[24:25], v[160:161]
	v_add_f64 v[34:35], v[30:31], v[32:33]
	ds_read_b128 v[30:33], v1 offset:1664
	s_waitcnt lgkmcnt(1)
	v_mul_f64 v[36:37], v[26:27], v[132:133]
	v_fmac_f64_e32 v[36:37], v[28:29], v[134:135]
	v_add_f64 v[38:39], v[34:35], v[36:37]
	ds_read_b128 v[34:37], v1 offset:1680
	s_waitcnt vmcnt(42) lgkmcnt(1)
	v_mul_f64 v[40:41], v[30:31], v[164:165]
	s_waitcnt vmcnt(40)
	v_fmac_f64_e32 v[40:41], v[32:33], v[168:169]
	;; [unrolled: 11-line block ×3, first 2 shown]
	v_add_f64 v[50:51], v[46:47], v[48:49]
	ds_read_b128 v[46:49], v1 offset:1728
	s_waitcnt lgkmcnt(1)
	v_mul_f64 v[52:53], v[42:43], v[142:143]
	v_fmac_f64_e32 v[52:53], v[44:45], v[146:147]
	v_add_f64 v[200:201], v[50:51], v[52:53]
	ds_read_b128 v[50:53], v1 offset:1744
	buffer_load_dword v9, off, s[0:3], 0 offset:876
	buffer_load_dword v8, off, s[0:3], 0 offset:872
	buffer_load_dword v125, off, s[0:3], 0 offset:868
	buffer_load_dword v124, off, s[0:3], 0 offset:864
	s_waitcnt vmcnt(30) lgkmcnt(1)
	v_mul_f64 v[202:203], v[46:47], v[180:181]
	s_waitcnt vmcnt(28)
	v_fmac_f64_e32 v[202:203], v[48:49], v[182:183]
	v_add_f64 v[226:227], v[200:201], v[202:203]
	buffer_load_dword v202, off, s[0:3], 0 offset:888
	buffer_load_dword v204, off, s[0:3], 0 offset:880
	buffer_load_dword v203, off, s[0:3], 0 offset:892
	buffer_load_dword v205, off, s[0:3], 0 offset:884
	buffer_load_dword v201, off, s[0:3], 0 offset:924
	buffer_load_dword v207, off, s[0:3], 0 offset:908
	buffer_load_dword v206, off, s[0:3], 0 offset:904
	buffer_load_dword v211, off, s[0:3], 0 offset:900
	buffer_load_dword v210, off, s[0:3], 0 offset:896
	buffer_load_dword v200, off, s[0:3], 0 offset:920
	buffer_load_dword v209, off, s[0:3], 0 offset:916
	buffer_load_dword v208, off, s[0:3], 0 offset:912
	v_fma_f64 v[6:7], v[94:95], v[54:55], -v[56:57]
	ds_read_b128 v[54:57], v1 offset:1760
	buffer_load_dword v213, off, s[0:3], 0 offset:940
	buffer_load_dword v212, off, s[0:3], 0 offset:936
	buffer_load_dword v215, off, s[0:3], 0 offset:932
	buffer_load_dword v214, off, s[0:3], 0 offset:928
	buffer_load_dword v216, off, s[0:3], 0 offset:952
	buffer_load_dword v218, off, s[0:3], 0 offset:944
	buffer_load_dword v217, off, s[0:3], 0 offset:956
	buffer_load_dword v219, off, s[0:3], 0 offset:948
	buffer_load_dword v221, off, s[0:3], 0 offset:972
	buffer_load_dword v220, off, s[0:3], 0 offset:968
	buffer_load_dword v223, off, s[0:3], 0 offset:964
	buffer_load_dword v222, off, s[0:3], 0 offset:960
	s_waitcnt lgkmcnt(1)
	v_mul_f64 v[4:5], v[50:51], v[150:151]
	v_fma_f64 v[94:95], v[108:109], v[58:59], -v[62:63]
	v_mul_f64 v[58:59], v[114:115], v[60:61]
	v_fmac_f64_e32 v[4:5], v[52:53], v[154:155]
	v_fma_f64 v[96:97], v[112:113], v[84:85], -v[58:59]
	v_add_f64 v[4:5], v[226:227], v[4:5]
	v_mul_f64 v[58:59], v[118:119], v[68:69]
	buffer_load_dword v118, off, s[0:3], 0 offset:984
	buffer_load_dword v226, off, s[0:3], 0 offset:976
	;; [unrolled: 1-line block ×4, first 2 shown]
	v_fma_f64 v[82:83], v[116:117], v[82:83], -v[58:59]
	s_waitcnt vmcnt(50) lgkmcnt(0)
	v_mul_f64 v[58:59], v[54:55], v[184:185]
	s_waitcnt vmcnt(48)
	v_fmac_f64_e32 v[58:59], v[56:57], v[186:187]
	v_add_f64 v[4:5], v[4:5], v[58:59]
	ds_read_b128 v[58:61], v1 offset:1776
	v_mul_f64 v[62:63], v[230:231], v[64:65]
	v_fma_f64 v[84:85], v[228:229], v[66:67], -v[62:63]
	ds_read_b128 v[62:65], v1 offset:1792
	v_mul_f64 v[66:67], v[234:235], v[70:71]
	v_fma_f64 v[232:233], v[232:233], v[72:73], -v[66:67]
	ds_read_b128 v[66:69], v1 offset:1808
	s_waitcnt lgkmcnt(2)
	v_mul_f64 v[108:109], v[58:59], v[158:159]
	v_fmac_f64_e32 v[108:109], v[60:61], v[162:163]
	s_waitcnt vmcnt(42) lgkmcnt(1)
	v_mul_f64 v[70:71], v[62:63], v[188:189]
	v_add_f64 v[4:5], v[4:5], v[108:109]
	s_waitcnt vmcnt(40)
	v_fmac_f64_e32 v[70:71], v[64:65], v[190:191]
	v_add_f64 v[4:5], v[4:5], v[70:71]
	v_fma_f64 v[228:229], v[236:237], v[76:77], -v[74:75]
	ds_read_b128 v[74:77], v1 offset:1840
	s_waitcnt lgkmcnt(1)
	v_mul_f64 v[70:71], v[66:67], v[166:167]
	v_fmac_f64_e32 v[70:71], v[68:69], v[170:171]
	v_add_f64 v[4:5], v[4:5], v[70:71]
	ds_read_b128 v[70:73], v1 offset:1824
	v_fma_f64 v[230:231], v[240:241], v[80:81], -v[78:79]
	ds_read_b128 v[78:81], v1 offset:1856
	ds_read_b128 v[240:243], v1 offset:1872
	;; [unrolled: 1-line block ×3, first 2 shown]
	s_waitcnt vmcnt(34) lgkmcnt(3)
	v_mul_f64 v[108:109], v[70:71], v[192:193]
	s_waitcnt vmcnt(32)
	v_fmac_f64_e32 v[108:109], v[72:73], v[194:195]
	v_add_f64 v[4:5], v[4:5], v[108:109]
	v_mul_f64 v[108:109], v[74:75], v[174:175]
	v_fmac_f64_e32 v[108:109], v[76:77], v[178:179]
	v_add_f64 v[4:5], v[4:5], v[108:109]
	ds_read_b128 v[90:93], v1 offset:1904
	ds_read_b128 v[236:239], v1 offset:1920
	v_mul_f64 v[100:101], v[100:101], v[102:103]
	v_fma_f64 v[2:3], v[98:99], v[104:105], -v[100:101]
	ds_read_b128 v[98:101], v1 offset:1936
	v_mul_f64 v[102:103], v[254:255], v[106:107]
	v_fma_f64 v[250:251], v[252:253], v[224:225], -v[102:103]
	ds_read_b128 v[102:105], v1 offset:1952
	v_add_f64 v[6:7], v[6:7], 0
	v_add_f64 v[6:7], v[6:7], v[94:95]
	;; [unrolled: 1-line block ×10, first 2 shown]
	v_accvgpr_read_b32 v82, a192
	v_accvgpr_read_b32 v83, a193
	s_waitcnt vmcnt(30) lgkmcnt(6)
	v_mul_f64 v[108:109], v[78:79], v[8:9]
	s_waitcnt vmcnt(28)
	v_fmac_f64_e32 v[108:109], v[80:81], v[124:125]
	v_add_f64 v[4:5], v[4:5], v[108:109]
	s_waitcnt vmcnt(25) lgkmcnt(5)
	v_mul_f64 v[108:109], v[240:241], v[202:203]
	s_waitcnt vmcnt(24)
	v_fmac_f64_e32 v[108:109], v[242:243], v[204:205]
	v_add_f64 v[4:5], v[4:5], v[108:109]
	;; [unrolled: 5-line block ×4, first 2 shown]
	s_waitcnt vmcnt(14) lgkmcnt(2)
	v_mul_f64 v[108:109], v[236:237], v[212:213]
	s_waitcnt vmcnt(12)
	v_fmac_f64_e32 v[108:109], v[238:239], v[214:215]
	s_waitcnt vmcnt(9) lgkmcnt(1)
	v_mul_f64 v[106:107], v[98:99], v[216:217]
	v_add_f64 v[4:5], v[4:5], v[108:109]
	s_waitcnt vmcnt(8)
	v_fmac_f64_e32 v[106:107], v[100:101], v[218:219]
	v_add_f64 v[4:5], v[4:5], v[106:107]
	s_waitcnt vmcnt(6) lgkmcnt(0)
	v_mul_f64 v[106:107], v[102:103], v[220:221]
	s_waitcnt vmcnt(4)
	v_fmac_f64_e32 v[106:107], v[104:105], v[222:223]
	v_add_f64 v[4:5], v[4:5], v[106:107]
	ds_read_b128 v[106:109], v1 offset:1968
	buffer_load_dword v225, off, s[0:3], 0 offset:1004
	buffer_load_dword v224, off, s[0:3], 0 offset:1000
	buffer_load_dword v255, off, s[0:3], 0 offset:996
	buffer_load_dword v254, off, s[0:3], 0 offset:992
	s_waitcnt vmcnt(5) lgkmcnt(0)
	v_mul_f64 v[110:111], v[106:107], v[118:119]
	s_waitcnt vmcnt(4)
	v_fmac_f64_e32 v[110:111], v[108:109], v[226:227]
	v_add_f64 v[4:5], v[4:5], v[110:111]
	ds_read_b128 v[110:113], v1 offset:1984
	buffer_load_dword v234, off, s[0:3], 0 offset:1016
	buffer_load_dword v235, off, s[0:3], 0 offset:1020
	buffer_load_dword v244, off, s[0:3], 0 offset:1008
	buffer_load_dword v245, off, s[0:3], 0 offset:1012
	;; [unrolled: 10-line block ×3, first 2 shown]
	s_waitcnt vmcnt(6) lgkmcnt(0)
	v_mul_f64 v[252:253], v[114:115], v[234:235]
	s_waitcnt vmcnt(4)
	v_fmac_f64_e32 v[252:253], v[116:117], v[244:245]
	v_add_f64 v[4:5], v[4:5], v[252:253]
	v_add_f64 v[252:253], v[6:7], v[2:3]
	v_accvgpr_read_b32 v6, a190
	v_accvgpr_read_b32 v7, a191
	v_mul_f64 v[6:7], v[122:123], v[6:7]
	v_add_f64 v[2:3], v[252:253], v[250:251]
	v_fma_f64 v[6:7], v[120:121], v[82:83], -v[6:7]
	v_add_f64 v[2:3], v[2:3], v[6:7]
	v_mul_f64 v[6:7], v[198:199], v[140:141]
	v_fma_f64 v[6:7], v[196:197], v[144:145], -v[6:7]
	v_add_f64 v[2:3], v[2:3], v[6:7]
	v_accvgpr_read_b32 v6, a194
	v_accvgpr_read_b32 v7, a195
	v_mul_f64 v[6:7], v[12:13], v[6:7]
	v_fma_f64 v[6:7], v[10:11], v[126:127], -v[6:7]
	v_add_f64 v[2:3], v[2:3], v[6:7]
	v_mul_f64 v[6:7], v[16:17], v[148:149]
	v_fma_f64 v[6:7], v[14:15], v[152:153], -v[6:7]
	v_add_f64 v[2:3], v[2:3], v[6:7]
	;; [unrolled: 3-line block ×27, first 2 shown]
	s_waitcnt vmcnt(2)
	v_add_f64 v[2:3], v[248:249], -v[2:3]
	s_waitcnt vmcnt(0)
	v_add_f64 v[4:5], v[246:247], -v[4:5]
	buffer_store_dword v3, off, s[0:3], 0 offset:356
	buffer_store_dword v2, off, s[0:3], 0 offset:352
	;; [unrolled: 1-line block ×4, first 2 shown]
	s_and_saveexec_b64 s[4:5], vcc
	s_cbranch_execz .LBB126_363
; %bb.362:
	v_accvgpr_read_b32 v0, a168
	buffer_load_dword v2, v0, s[0:3], 0 offen
	buffer_load_dword v3, v0, s[0:3], 0 offen offset:4
	buffer_load_dword v4, v0, s[0:3], 0 offen offset:8
	;; [unrolled: 1-line block ×3, first 2 shown]
	v_accvgpr_read_b32 v0, a189
	buffer_store_dword v1, off, s[0:3], 0 offset:336
	buffer_store_dword v1, off, s[0:3], 0 offset:340
	;; [unrolled: 1-line block ×4, first 2 shown]
	s_waitcnt vmcnt(4)
	ds_write_b128 v0, v[2:5]
.LBB126_363:
	s_or_b64 exec, exec, s[4:5]
	s_waitcnt lgkmcnt(0)
	; wave barrier
	s_waitcnt lgkmcnt(0)
	buffer_load_dword v58, off, s[0:3], 0 offset:352
	buffer_load_dword v59, off, s[0:3], 0 offset:356
	;; [unrolled: 1-line block ×42, first 2 shown]
	ds_read_b128 v[110:113], v1 offset:1344
	ds_read_b128 v[114:117], v1 offset:1360
	;; [unrolled: 1-line block ×10, first 2 shown]
	buffer_load_dword v119, off, s[0:3], 0 offset:500
	buffer_load_dword v118, off, s[0:3], 0 offset:496
	ds_read_b128 v[90:93], v1 offset:1504
	buffer_load_dword v105, off, s[0:3], 0 offset:556
	buffer_load_dword v104, off, s[0:3], 0 offset:552
	;; [unrolled: 1-line block ×6, first 2 shown]
	s_waitcnt vmcnt(46) lgkmcnt(10)
	v_mul_f64 v[2:3], v[110:111], v[60:61]
	v_fmac_f64_e32 v[2:3], v[112:113], v[58:59]
	v_add_f64 v[2:3], v[2:3], 0
	v_mul_f64 v[60:61], v[112:113], v[60:61]
	s_waitcnt vmcnt(42) lgkmcnt(9)
	v_mul_f64 v[4:5], v[114:115], v[62:63]
	v_fmac_f64_e32 v[4:5], v[116:117], v[56:57]
	v_add_f64 v[2:3], v[2:3], v[4:5]
	buffer_load_dword v249, off, s[0:3], 0 offset:532
	buffer_load_dword v248, off, s[0:3], 0 offset:528
	;; [unrolled: 1-line block ×4, first 2 shown]
	s_waitcnt vmcnt(44) lgkmcnt(8)
	v_mul_f64 v[6:7], v[212:213], v[220:221]
	s_waitcnt vmcnt(42) lgkmcnt(6)
	v_mul_f64 v[10:11], v[224:225], v[64:65]
	s_waitcnt vmcnt(40)
	v_fmac_f64_e32 v[10:11], v[226:227], v[66:67]
	s_waitcnt vmcnt(38)
	v_mul_f64 v[8:9], v[216:217], v[68:69]
	s_waitcnt vmcnt(36) lgkmcnt(4)
	v_mul_f64 v[14:15], v[232:233], v[70:71]
	s_waitcnt vmcnt(34)
	v_fmac_f64_e32 v[14:15], v[234:235], v[72:73]
	s_waitcnt vmcnt(32)
	v_mul_f64 v[12:13], v[228:229], v[74:75]
	s_waitcnt vmcnt(30) lgkmcnt(2)
	v_mul_f64 v[18:19], v[240:241], v[78:79]
	v_mul_f64 v[78:79], v[242:243], v[78:79]
	s_waitcnt vmcnt(27)
	v_mul_f64 v[16:17], v[236:237], v[76:77]
	s_waitcnt vmcnt(25) lgkmcnt(1)
	v_mul_f64 v[20:21], v[82:83], v[86:87]
	s_waitcnt vmcnt(23)
	v_fmac_f64_e32 v[6:7], v[214:215], v[100:101]
	v_add_f64 v[2:3], v[2:3], v[6:7]
	s_waitcnt vmcnt(21)
	v_fmac_f64_e32 v[8:9], v[218:219], v[98:99]
	v_add_f64 v[2:3], v[2:3], v[8:9]
	;; [unrolled: 3-line block ×3, first 2 shown]
	v_add_f64 v[2:3], v[2:3], v[12:13]
	s_waitcnt vmcnt(17)
	v_fmac_f64_e32 v[16:17], v[238:239], v[88:89]
	v_add_f64 v[2:3], v[2:3], v[14:15]
	s_waitcnt vmcnt(16)
	v_fmac_f64_e32 v[18:19], v[242:243], v[80:81]
	v_add_f64 v[2:3], v[2:3], v[16:17]
	v_add_f64 v[2:3], v[2:3], v[18:19]
	s_waitcnt vmcnt(10)
	v_fmac_f64_e32 v[20:21], v[84:85], v[118:119]
	v_add_f64 v[2:3], v[2:3], v[20:21]
	v_mul_f64 v[84:85], v[84:85], v[86:87]
	s_waitcnt vmcnt(0)
	v_pk_mov_b32 v[18:19], v[4:5], v[4:5] op_sel:[0,1]
	buffer_load_dword v5, off, s[0:3], 0 offset:580
	buffer_load_dword v4, off, s[0:3], 0 offset:576
	v_accvgpr_write_b32 a191, v19
	v_accvgpr_write_b32 a190, v18
	s_waitcnt vmcnt(0)
	v_pk_mov_b32 v[22:23], v[4:5], v[4:5] op_sel:[0,1]
	buffer_load_dword v137, off, s[0:3], 0 offset:572
	buffer_load_dword v136, off, s[0:3], 0 offset:568
	;; [unrolled: 1-line block ×6, first 2 shown]
	v_accvgpr_write_b32 a193, v23
	v_accvgpr_write_b32 a192, v22
	s_waitcnt vmcnt(0)
	v_pk_mov_b32 v[26:27], v[4:5], v[4:5] op_sel:[0,1]
	buffer_load_dword v5, off, s[0:3], 0 offset:612
	buffer_load_dword v4, off, s[0:3], 0 offset:608
	v_accvgpr_write_b32 a195, v27
	v_accvgpr_write_b32 a194, v26
	s_waitcnt vmcnt(0)
	v_pk_mov_b32 v[28:29], v[4:5], v[4:5] op_sel:[0,1]
	buffer_load_dword v145, off, s[0:3], 0 offset:604
	buffer_load_dword v144, off, s[0:3], 0 offset:600
	;; [unrolled: 1-line block ×60, first 2 shown]
	ds_read_b128 v[244:247], v1 offset:1520
	ds_read_b128 v[252:255], v1 offset:1536
	;; [unrolled: 1-line block ×5, first 2 shown]
	v_accvgpr_write_b32 a197, v29
	s_waitcnt lgkmcnt(3)
	v_mul_f64 v[8:9], v[252:253], v[104:105]
	v_fmac_f64_e32 v[8:9], v[254:255], v[106:107]
	s_waitcnt lgkmcnt(2)
	v_mul_f64 v[12:13], v[120:121], v[136:137]
	v_fmac_f64_e32 v[12:13], v[122:123], v[140:141]
	;; [unrolled: 3-line block ×3, first 2 shown]
	v_accvgpr_write_b32 a196, v28
	s_waitcnt vmcnt(54)
	v_pk_mov_b32 v[34:35], v[4:5], v[4:5] op_sel:[0,1]
	v_mul_f64 v[4:5], v[90:91], v[96:97]
	v_fmac_f64_e32 v[4:5], v[92:93], v[102:103]
	v_add_f64 v[2:3], v[2:3], v[4:5]
	v_mul_f64 v[4:5], v[244:245], v[108:109]
	v_fmac_f64_e32 v[4:5], v[246:247], v[248:249]
	v_add_f64 v[6:7], v[2:3], v[4:5]
	v_add_f64 v[10:11], v[6:7], v[8:9]
	;; [unrolled: 1-line block ×4, first 2 shown]
	ds_read_b128 v[14:17], v1 offset:1600
	s_waitcnt lgkmcnt(1)
	v_mul_f64 v[20:21], v[124:125], v[144:145]
	v_fmac_f64_e32 v[20:21], v[126:127], v[148:149]
	v_add_f64 v[22:23], v[18:19], v[20:21]
	ds_read_b128 v[18:21], v1 offset:1616
	s_waitcnt lgkmcnt(1)
	v_mul_f64 v[24:25], v[14:15], v[26:27]
	v_fmac_f64_e32 v[24:25], v[16:17], v[28:29]
	v_add_f64 v[26:27], v[22:23], v[24:25]
	ds_read_b128 v[22:25], v1 offset:1632
	s_waitcnt vmcnt(50) lgkmcnt(1)
	v_mul_f64 v[28:29], v[18:19], v[152:153]
	s_waitcnt vmcnt(48)
	v_fmac_f64_e32 v[28:29], v[20:21], v[156:157]
	v_add_f64 v[30:31], v[26:27], v[28:29]
	ds_read_b128 v[26:29], v1 offset:1648
	s_waitcnt lgkmcnt(1)
	v_mul_f64 v[32:33], v[22:23], v[34:35]
	v_accvgpr_write_b32 a199, v35
	v_fmac_f64_e32 v[32:33], v[24:25], v[130:131]
	v_accvgpr_write_b32 a198, v34
	v_add_f64 v[34:35], v[30:31], v[32:33]
	ds_read_b128 v[30:33], v1 offset:1664
	s_waitcnt vmcnt(42) lgkmcnt(1)
	v_mul_f64 v[36:37], v[26:27], v[160:161]
	s_waitcnt vmcnt(40)
	v_fmac_f64_e32 v[36:37], v[28:29], v[164:165]
	v_add_f64 v[38:39], v[34:35], v[36:37]
	ds_read_b128 v[34:37], v1 offset:1680
	s_waitcnt lgkmcnt(1)
	v_mul_f64 v[40:41], v[30:31], v[132:133]
	v_fmac_f64_e32 v[40:41], v[32:33], v[134:135]
	v_add_f64 v[42:43], v[38:39], v[40:41]
	ds_read_b128 v[38:41], v1 offset:1696
	s_waitcnt vmcnt(34) lgkmcnt(1)
	v_mul_f64 v[44:45], v[34:35], v[168:169]
	s_waitcnt vmcnt(32)
	v_fmac_f64_e32 v[44:45], v[36:37], v[172:173]
	v_add_f64 v[46:47], v[42:43], v[44:45]
	ds_read_b128 v[42:45], v1 offset:1712
	s_waitcnt lgkmcnt(1)
	v_mul_f64 v[48:49], v[38:39], v[138:139]
	v_fmac_f64_e32 v[48:49], v[40:41], v[142:143]
	v_add_f64 v[50:51], v[46:47], v[48:49]
	ds_read_b128 v[46:49], v1 offset:1728
	s_waitcnt vmcnt(26) lgkmcnt(1)
	v_mul_f64 v[52:53], v[42:43], v[176:177]
	s_waitcnt vmcnt(24)
	v_fmac_f64_e32 v[52:53], v[44:45], v[178:179]
	v_add_f64 v[250:251], v[50:51], v[52:53]
	ds_read_b128 v[50:53], v1 offset:1744
	buffer_load_dword v13, off, s[0:3], 0 offset:860
	buffer_load_dword v12, off, s[0:3], 0 offset:856
	;; [unrolled: 1-line block ×20, first 2 shown]
	v_mul_f64 v[4:5], v[116:117], v[62:63]
	v_fma_f64 v[8:9], v[114:115], v[56:57], -v[4:5]
	v_mul_f64 v[56:57], v[214:215], v[220:221]
	v_fma_f64 v[100:101], v[212:213], v[100:101], -v[56:57]
	;; [unrolled: 2-line block ×3, first 2 shown]
	buffer_load_dword v214, off, s[0:3], 0 offset:936
	buffer_load_dword v216, off, s[0:3], 0 offset:928
	;; [unrolled: 1-line block ×12, first 2 shown]
	s_waitcnt lgkmcnt(1)
	v_mul_f64 v[54:55], v[46:47], v[146:147]
	v_fmac_f64_e32 v[54:55], v[48:49], v[150:151]
	v_fma_f64 v[10:11], v[110:111], v[58:59], -v[60:61]
	v_add_f64 v[58:59], v[250:251], v[54:55]
	v_mul_f64 v[54:55], v[226:227], v[64:65]
	v_fma_f64 v[250:251], v[224:225], v[66:67], -v[54:55]
	buffer_load_dword v225, off, s[0:3], 0 offset:988
	buffer_load_dword v224, off, s[0:3], 0 offset:984
	;; [unrolled: 1-line block ×4, first 2 shown]
	s_waitcnt vmcnt(54) lgkmcnt(0)
	v_mul_f64 v[60:61], v[50:51], v[180:181]
	ds_read_b128 v[54:57], v1 offset:1760
	s_waitcnt vmcnt(52)
	v_fmac_f64_e32 v[60:61], v[52:53], v[182:183]
	v_add_f64 v[62:63], v[58:59], v[60:61]
	v_mul_f64 v[58:59], v[230:231], v[74:75]
	v_fma_f64 v[94:95], v[228:229], v[94:95], -v[58:59]
	ds_read_b128 v[58:61], v1 offset:1776
	s_waitcnt lgkmcnt(1)
	v_mul_f64 v[64:65], v[54:55], v[154:155]
	v_fmac_f64_e32 v[64:65], v[56:57], v[158:159]
	v_add_f64 v[74:75], v[62:63], v[64:65]
	ds_read_b128 v[62:65], v1 offset:1792
	v_mul_f64 v[66:67], v[234:235], v[70:71]
	s_waitcnt vmcnt(46) lgkmcnt(1)
	v_mul_f64 v[70:71], v[58:59], v[184:185]
	v_fma_f64 v[232:233], v[232:233], v[72:73], -v[66:67]
	ds_read_b128 v[66:69], v1 offset:1808
	s_waitcnt vmcnt(44)
	v_fmac_f64_e32 v[70:71], v[60:61], v[186:187]
	v_add_f64 v[74:75], v[74:75], v[70:71]
	v_mul_f64 v[70:71], v[238:239], v[76:77]
	v_fma_f64 v[228:229], v[236:237], v[88:89], -v[70:71]
	ds_read_b128 v[70:73], v1 offset:1824
	s_waitcnt lgkmcnt(2)
	v_mul_f64 v[110:111], v[62:63], v[162:163]
	v_fmac_f64_e32 v[110:111], v[64:65], v[166:167]
	s_waitcnt vmcnt(38) lgkmcnt(1)
	v_mul_f64 v[76:77], v[66:67], v[188:189]
	v_add_f64 v[74:75], v[74:75], v[110:111]
	s_waitcnt vmcnt(36)
	v_fmac_f64_e32 v[76:77], v[68:69], v[190:191]
	v_add_f64 v[74:75], v[74:75], v[76:77]
	v_fma_f64 v[6:7], v[240:241], v[80:81], -v[78:79]
	ds_read_b128 v[78:81], v1 offset:1856
	s_waitcnt lgkmcnt(1)
	v_mul_f64 v[76:77], v[70:71], v[170:171]
	v_fmac_f64_e32 v[76:77], v[72:73], v[174:175]
	v_add_f64 v[88:89], v[74:75], v[76:77]
	ds_read_b128 v[74:77], v1 offset:1840
	v_fma_f64 v[4:5], v[82:83], v[118:119], -v[84:85]
	ds_read_b128 v[82:85], v1 offset:1872
	v_mul_f64 v[92:93], v[92:93], v[96:97]
	v_fma_f64 v[2:3], v[90:91], v[102:103], -v[92:93]
	ds_read_b128 v[236:239], v1 offset:1920
	ds_read_b128 v[240:243], v1 offset:1936
	v_mul_f64 v[108:109], v[246:247], v[108:109]
	v_fma_f64 v[118:119], v[244:245], v[248:249], -v[108:109]
	v_add_f64 v[10:11], v[10:11], 0
	v_add_f64 v[8:9], v[10:11], v[8:9]
	;; [unrolled: 1-line block ×5, first 2 shown]
	ds_read_b128 v[90:93], v1 offset:1904
	v_add_f64 v[8:9], v[8:9], v[94:95]
	v_add_f64 v[8:9], v[8:9], v[232:233]
	;; [unrolled: 1-line block ×5, first 2 shown]
	v_accvgpr_read_b32 v6, a192
	v_accvgpr_read_b32 v7, a193
	s_waitcnt vmcnt(25) lgkmcnt(3)
	v_mul_f64 v[96:97], v[82:83], v[202:203]
	s_waitcnt vmcnt(23)
	v_fmac_f64_e32 v[96:97], v[84:85], v[208:209]
	v_mul_f64 v[110:111], v[74:75], v[12:13]
	v_fmac_f64_e32 v[110:111], v[76:77], v[128:129]
	v_mul_f64 v[86:87], v[78:79], v[198:199]
	v_add_f64 v[88:89], v[88:89], v[110:111]
	v_fmac_f64_e32 v[86:87], v[80:81], v[200:201]
	v_add_f64 v[110:111], v[88:89], v[86:87]
	ds_read_b128 v[86:89], v1 offset:1888
	v_add_f64 v[96:97], v[110:111], v[96:97]
	s_waitcnt vmcnt(22) lgkmcnt(0)
	v_mul_f64 v[102:103], v[86:87], v[196:197]
	s_waitcnt vmcnt(20)
	v_fmac_f64_e32 v[102:103], v[88:89], v[206:207]
	v_add_f64 v[96:97], v[96:97], v[102:103]
	s_waitcnt vmcnt(18)
	v_mul_f64 v[102:103], v[90:91], v[204:205]
	s_waitcnt vmcnt(16)
	v_fmac_f64_e32 v[102:103], v[92:93], v[210:211]
	v_add_f64 v[96:97], v[96:97], v[102:103]
	v_mul_f64 v[102:103], v[254:255], v[104:105]
	v_fma_f64 v[252:253], v[252:253], v[106:107], -v[102:103]
	ds_read_b128 v[102:105], v1 offset:1952
	s_waitcnt vmcnt(13)
	v_mul_f64 v[106:107], v[236:237], v[214:215]
	s_waitcnt vmcnt(12)
	v_fmac_f64_e32 v[106:107], v[238:239], v[216:217]
	v_add_f64 v[96:97], v[96:97], v[106:107]
	s_waitcnt vmcnt(9)
	v_mul_f64 v[106:107], v[240:241], v[220:221]
	s_waitcnt vmcnt(7)
	v_fmac_f64_e32 v[106:107], v[242:243], v[222:223]
	v_add_f64 v[96:97], v[96:97], v[106:107]
	s_waitcnt vmcnt(5) lgkmcnt(0)
	v_mul_f64 v[106:107], v[102:103], v[212:213]
	s_waitcnt vmcnt(4)
	v_fmac_f64_e32 v[106:107], v[104:105], v[218:219]
	v_add_f64 v[96:97], v[96:97], v[106:107]
	ds_read_b128 v[106:109], v1 offset:1968
	v_add_f64 v[254:255], v[4:5], v[2:3]
	v_add_f64 v[2:3], v[254:255], v[118:119]
	v_mul_f64 v[4:5], v[122:123], v[136:137]
	v_add_f64 v[2:3], v[2:3], v[252:253]
	s_waitcnt vmcnt(2) lgkmcnt(0)
	v_mul_f64 v[110:111], v[106:107], v[224:225]
	s_waitcnt vmcnt(0)
	v_fmac_f64_e32 v[110:111], v[108:109], v[226:227]
	v_add_f64 v[114:115], v[96:97], v[110:111]
	buffer_load_dword v96, off, s[0:3], 0 offset:1000
	buffer_load_dword v97, off, s[0:3], 0 offset:1004
	;; [unrolled: 1-line block ×4, first 2 shown]
	ds_read_b128 v[110:113], v1 offset:1984
	buffer_load_dword v235, off, s[0:3], 0 offset:1020
	buffer_load_dword v234, off, s[0:3], 0 offset:1016
	buffer_load_dword v245, off, s[0:3], 0 offset:1012
	buffer_load_dword v244, off, s[0:3], 0 offset:1008
	v_fma_f64 v[4:5], v[120:121], v[140:141], -v[4:5]
	v_add_f64 v[2:3], v[2:3], v[4:5]
	v_accvgpr_read_b32 v4, a190
	v_accvgpr_read_b32 v5, a191
	v_mul_f64 v[4:5], v[194:195], v[4:5]
	v_fma_f64 v[4:5], v[192:193], v[6:7], -v[4:5]
	v_add_f64 v[2:3], v[2:3], v[4:5]
	v_mul_f64 v[4:5], v[126:127], v[144:145]
	v_fma_f64 v[4:5], v[124:125], v[148:149], -v[4:5]
	v_add_f64 v[2:3], v[2:3], v[4:5]
	v_accvgpr_read_b32 v4, a194
	v_accvgpr_read_b32 v5, a195
	;; [unrolled: 1-line block ×3, first 2 shown]
	v_mul_f64 v[4:5], v[16:17], v[4:5]
	v_accvgpr_read_b32 v7, a197
	v_fma_f64 v[4:5], v[14:15], v[6:7], -v[4:5]
	v_add_f64 v[2:3], v[2:3], v[4:5]
	v_mul_f64 v[4:5], v[20:21], v[152:153]
	v_fma_f64 v[4:5], v[18:19], v[156:157], -v[4:5]
	v_add_f64 v[2:3], v[2:3], v[4:5]
	v_accvgpr_read_b32 v4, a198
	v_accvgpr_read_b32 v5, a199
	v_mul_f64 v[4:5], v[24:25], v[4:5]
	v_fma_f64 v[4:5], v[22:23], v[130:131], -v[4:5]
	v_add_f64 v[2:3], v[2:3], v[4:5]
	v_mul_f64 v[4:5], v[28:29], v[160:161]
	v_fma_f64 v[4:5], v[26:27], v[164:165], -v[4:5]
	v_add_f64 v[2:3], v[2:3], v[4:5]
	;; [unrolled: 3-line block ×17, first 2 shown]
	v_mul_f64 v[4:5], v[92:93], v[204:205]
	v_fma_f64 v[4:5], v[90:91], v[210:211], -v[4:5]
	s_waitcnt vmcnt(6) lgkmcnt(0)
	v_mul_f64 v[116:117], v[110:111], v[96:97]
	v_add_f64 v[2:3], v[2:3], v[4:5]
	s_waitcnt vmcnt(4)
	v_fmac_f64_e32 v[116:117], v[112:113], v[230:231]
	v_add_f64 v[246:247], v[114:115], v[116:117]
	ds_read_b128 v[114:117], v1 offset:2000
	v_mul_f64 v[4:5], v[238:239], v[214:215]
	v_fma_f64 v[4:5], v[236:237], v[216:217], -v[4:5]
	v_add_f64 v[2:3], v[2:3], v[4:5]
	v_mul_f64 v[4:5], v[242:243], v[220:221]
	s_waitcnt vmcnt(2) lgkmcnt(0)
	v_mul_f64 v[0:1], v[114:115], v[234:235]
	s_waitcnt vmcnt(0)
	v_fmac_f64_e32 v[0:1], v[116:117], v[244:245]
	v_add_f64 v[0:1], v[246:247], v[0:1]
	buffer_load_dword v248, off, s[0:3], 0 offset:336
	buffer_load_dword v249, off, s[0:3], 0 offset:340
	;; [unrolled: 1-line block ×4, first 2 shown]
	v_fma_f64 v[4:5], v[240:241], v[222:223], -v[4:5]
	v_add_f64 v[2:3], v[2:3], v[4:5]
	v_mul_f64 v[4:5], v[104:105], v[212:213]
	v_fma_f64 v[4:5], v[102:103], v[218:219], -v[4:5]
	v_add_f64 v[2:3], v[2:3], v[4:5]
	v_mul_f64 v[4:5], v[108:109], v[224:225]
	;; [unrolled: 3-line block ×4, first 2 shown]
	v_fma_f64 v[4:5], v[114:115], v[244:245], -v[4:5]
	v_add_f64 v[2:3], v[2:3], v[4:5]
	s_waitcnt vmcnt(2)
	v_add_f64 v[2:3], v[248:249], -v[2:3]
	s_waitcnt vmcnt(0)
	v_add_f64 v[0:1], v[246:247], -v[0:1]
	buffer_store_dword v3, off, s[0:3], 0 offset:340
	buffer_store_dword v2, off, s[0:3], 0 offset:336
	;; [unrolled: 1-line block ×4, first 2 shown]
	v_accvgpr_read_b32 v0, a188
	v_cmp_lt_u32_e32 vcc, 19, v0
	s_and_saveexec_b64 s[4:5], vcc
	s_cbranch_execz .LBB126_365
; %bb.364:
	v_accvgpr_read_b32 v0, a169
	buffer_load_dword v2, v0, s[0:3], 0 offen
	buffer_load_dword v3, v0, s[0:3], 0 offen offset:4
	buffer_load_dword v4, v0, s[0:3], 0 offen offset:8
	;; [unrolled: 1-line block ×3, first 2 shown]
	v_mov_b32_e32 v0, 0
	v_accvgpr_read_b32 v1, a189
	buffer_store_dword v0, off, s[0:3], 0 offset:320
	buffer_store_dword v0, off, s[0:3], 0 offset:324
	;; [unrolled: 1-line block ×4, first 2 shown]
	s_waitcnt vmcnt(4)
	ds_write_b128 v1, v[2:5]
.LBB126_365:
	s_or_b64 exec, exec, s[4:5]
	s_waitcnt lgkmcnt(0)
	; wave barrier
	s_waitcnt lgkmcnt(0)
	buffer_load_dword v50, off, s[0:3], 0 offset:336
	buffer_load_dword v51, off, s[0:3], 0 offset:340
	buffer_load_dword v56, off, s[0:3], 0 offset:344
	buffer_load_dword v57, off, s[0:3], 0 offset:348
	buffer_load_dword v52, off, s[0:3], 0 offset:352
	buffer_load_dword v53, off, s[0:3], 0 offset:356
	buffer_load_dword v58, off, s[0:3], 0 offset:360
	buffer_load_dword v59, off, s[0:3], 0 offset:364
	buffer_load_dword v54, off, s[0:3], 0 offset:376
	buffer_load_dword v55, off, s[0:3], 0 offset:380
	buffer_load_dword v63, off, s[0:3], 0 offset:412
	buffer_load_dword v62, off, s[0:3], 0 offset:408
	buffer_load_dword v61, off, s[0:3], 0 offset:404
	buffer_load_dword v60, off, s[0:3], 0 offset:400
	buffer_load_dword v65, off, s[0:3], 0 offset:396
	buffer_load_dword v64, off, s[0:3], 0 offset:392
	buffer_load_dword v67, off, s[0:3], 0 offset:444
	buffer_load_dword v66, off, s[0:3], 0 offset:440
	buffer_load_dword v71, off, s[0:3], 0 offset:436
	buffer_load_dword v70, off, s[0:3], 0 offset:432
	buffer_load_dword v77, off, s[0:3], 0 offset:428
	buffer_load_dword v76, off, s[0:3], 0 offset:424
	buffer_load_dword v69, off, s[0:3], 0 offset:460
	buffer_load_dword v68, off, s[0:3], 0 offset:456
	buffer_load_dword v204, off, s[0:3], 0 offset:368
	buffer_load_dword v205, off, s[0:3], 0 offset:372
	buffer_load_dword v213, off, s[0:3], 0 offset:388
	buffer_load_dword v212, off, s[0:3], 0 offset:384
	buffer_load_dword v79, off, s[0:3], 0 offset:420
	buffer_load_dword v78, off, s[0:3], 0 offset:416
	buffer_load_dword v73, off, s[0:3], 0 offset:452
	buffer_load_dword v72, off, s[0:3], 0 offset:448
	buffer_load_dword v74, off, s[0:3], 0 offset:472
	buffer_load_dword v84, off, s[0:3], 0 offset:464
	buffer_load_dword v85, off, s[0:3], 0 offset:468
	buffer_load_dword v75, off, s[0:3], 0 offset:476
	buffer_load_dword v87, off, s[0:3], 0 offset:508
	buffer_load_dword v86, off, s[0:3], 0 offset:504
	buffer_load_dword v89, off, s[0:3], 0 offset:500
	buffer_load_dword v88, off, s[0:3], 0 offset:496
	buffer_load_dword v91, off, s[0:3], 0 offset:492
	buffer_load_dword v90, off, s[0:3], 0 offset:488
	buffer_load_dword v93, off, s[0:3], 0 offset:484
	buffer_load_dword v92, off, s[0:3], 0 offset:480
	buffer_load_dword v95, off, s[0:3], 0 offset:540
	buffer_load_dword v94, off, s[0:3], 0 offset:536
	buffer_load_dword v97, off, s[0:3], 0 offset:532
	buffer_load_dword v96, off, s[0:3], 0 offset:528
	buffer_load_dword v99, off, s[0:3], 0 offset:524
	buffer_load_dword v98, off, s[0:3], 0 offset:520
	buffer_load_dword v101, off, s[0:3], 0 offset:516
	buffer_load_dword v100, off, s[0:3], 0 offset:512
	buffer_load_dword v3, off, s[0:3], 0 offset:572
	buffer_load_dword v2, off, s[0:3], 0 offset:568
	v_mov_b32_e32 v1, 0
	ds_read_b128 v[102:105], v1 offset:1328
	ds_read_b128 v[106:109], v1 offset:1344
	;; [unrolled: 1-line block ×9, first 2 shown]
	v_accvgpr_read_b32 v0, a188
	v_cmp_lt_u32_e32 vcc, 18, v0
	s_waitcnt vmcnt(46) lgkmcnt(7)
	v_mul_f64 v[4:5], v[106:107], v[58:59]
	v_fmac_f64_e32 v[4:5], v[108:109], v[52:53]
	s_waitcnt vmcnt(44) lgkmcnt(6)
	v_mul_f64 v[6:7], v[110:111], v[54:55]
	s_waitcnt vmcnt(42) lgkmcnt(4)
	v_mul_f64 v[10:11], v[208:209], v[62:63]
	s_waitcnt vmcnt(40)
	v_fmac_f64_e32 v[10:11], v[210:211], v[60:61]
	s_waitcnt vmcnt(38)
	v_mul_f64 v[8:9], v[114:115], v[64:65]
	s_waitcnt vmcnt(36) lgkmcnt(2)
	v_mul_f64 v[14:15], v[228:229], v[66:67]
	s_waitcnt vmcnt(34)
	v_fmac_f64_e32 v[14:15], v[230:231], v[70:71]
	s_waitcnt vmcnt(32)
	;; [unrolled: 6-line block ×3, first 2 shown]
	v_fmac_f64_e32 v[8:9], v[116:117], v[212:213]
	s_waitcnt vmcnt(24)
	v_fmac_f64_e32 v[12:13], v[226:227], v[78:79]
	s_waitcnt vmcnt(22)
	v_fmac_f64_e32 v[16:17], v[234:235], v[72:73]
	s_waitcnt vmcnt(0)
	v_pk_mov_b32 v[18:19], v[2:3], v[2:3] op_sel:[0,1]
	v_mul_f64 v[2:3], v[102:103], v[56:57]
	v_fmac_f64_e32 v[2:3], v[104:105], v[50:51]
	v_add_f64 v[2:3], v[2:3], 0
	v_add_f64 v[2:3], v[2:3], v[4:5]
	buffer_load_dword v5, off, s[0:3], 0 offset:564
	buffer_load_dword v4, off, s[0:3], 0 offset:560
	v_add_f64 v[2:3], v[2:3], v[6:7]
	v_add_f64 v[2:3], v[2:3], v[8:9]
	;; [unrolled: 1-line block ×6, first 2 shown]
	v_accvgpr_write_b32 a191, v19
	v_accvgpr_write_b32 a190, v18
	s_waitcnt vmcnt(0)
	v_pk_mov_b32 v[14:15], v[4:5], v[4:5] op_sel:[0,1]
	buffer_load_dword v81, off, s[0:3], 0 offset:556
	buffer_load_dword v80, off, s[0:3], 0 offset:552
	;; [unrolled: 1-line block ×6, first 2 shown]
	v_accvgpr_write_b32 a193, v15
	v_accvgpr_write_b32 a192, v14
	s_waitcnt vmcnt(0)
	v_pk_mov_b32 v[22:23], v[4:5], v[4:5] op_sel:[0,1]
	buffer_load_dword v5, off, s[0:3], 0 offset:596
	buffer_load_dword v4, off, s[0:3], 0 offset:592
	v_accvgpr_write_b32 a195, v23
	v_accvgpr_write_b32 a194, v22
	s_waitcnt vmcnt(0)
	v_pk_mov_b32 v[24:25], v[4:5], v[4:5] op_sel:[0,1]
	buffer_load_dword v141, off, s[0:3], 0 offset:588
	buffer_load_dword v140, off, s[0:3], 0 offset:584
	;; [unrolled: 1-line block ×52, first 2 shown]
	ds_read_b128 v[240:243], v1 offset:1472
	ds_read_b128 v[244:247], v1 offset:1488
	;; [unrolled: 1-line block ×7, first 2 shown]
	v_accvgpr_write_b32 a197, v25
	v_accvgpr_write_b32 a196, v24
	s_waitcnt lgkmcnt(2)
	v_mul_f64 v[8:9], v[118:119], v[80:81]
	v_fmac_f64_e32 v[8:9], v[120:121], v[82:83]
	s_waitcnt lgkmcnt(1)
	v_mul_f64 v[12:13], v[126:127], v[18:19]
	v_fmac_f64_e32 v[12:13], v[128:129], v[14:15]
	v_mul_f64 v[80:81], v[120:121], v[80:81]
	s_waitcnt vmcnt(46)
	v_pk_mov_b32 v[30:31], v[4:5], v[4:5] op_sel:[0,1]
	v_mul_f64 v[4:5], v[236:237], v[74:75]
	v_fmac_f64_e32 v[4:5], v[238:239], v[84:85]
	v_add_f64 v[2:3], v[2:3], v[4:5]
	v_mul_f64 v[4:5], v[240:241], v[90:91]
	v_fmac_f64_e32 v[4:5], v[242:243], v[92:93]
	v_add_f64 v[2:3], v[2:3], v[4:5]
	;; [unrolled: 3-line block ×5, first 2 shown]
	v_add_f64 v[10:11], v[6:7], v[8:9]
	v_add_f64 v[14:15], v[10:11], v[12:13]
	ds_read_b128 v[10:13], v1 offset:1584
	s_waitcnt lgkmcnt(1)
	v_mul_f64 v[16:17], v[122:123], v[140:141]
	v_fmac_f64_e32 v[16:17], v[124:125], v[144:145]
	v_add_f64 v[18:19], v[14:15], v[16:17]
	ds_read_b128 v[14:17], v1 offset:1600
	s_waitcnt lgkmcnt(1)
	v_mul_f64 v[20:21], v[10:11], v[22:23]
	v_fmac_f64_e32 v[20:21], v[12:13], v[24:25]
	v_add_f64 v[22:23], v[18:19], v[20:21]
	ds_read_b128 v[18:21], v1 offset:1616
	s_waitcnt vmcnt(42) lgkmcnt(1)
	v_mul_f64 v[24:25], v[14:15], v[148:149]
	s_waitcnt vmcnt(40)
	v_fmac_f64_e32 v[24:25], v[16:17], v[152:153]
	v_add_f64 v[26:27], v[22:23], v[24:25]
	ds_read_b128 v[22:25], v1 offset:1632
	s_waitcnt lgkmcnt(1)
	v_mul_f64 v[28:29], v[18:19], v[30:31]
	v_accvgpr_write_b32 a199, v31
	v_fmac_f64_e32 v[28:29], v[20:21], v[130:131]
	v_accvgpr_write_b32 a198, v30
	v_add_f64 v[30:31], v[26:27], v[28:29]
	ds_read_b128 v[26:29], v1 offset:1648
	s_waitcnt vmcnt(34) lgkmcnt(1)
	v_mul_f64 v[32:33], v[22:23], v[156:157]
	s_waitcnt vmcnt(32)
	v_fmac_f64_e32 v[32:33], v[24:25], v[160:161]
	v_add_f64 v[34:35], v[30:31], v[32:33]
	ds_read_b128 v[30:33], v1 offset:1664
	s_waitcnt lgkmcnt(1)
	v_mul_f64 v[36:37], v[26:27], v[132:133]
	v_fmac_f64_e32 v[36:37], v[28:29], v[134:135]
	v_add_f64 v[38:39], v[34:35], v[36:37]
	ds_read_b128 v[34:37], v1 offset:1680
	s_waitcnt vmcnt(26) lgkmcnt(1)
	v_mul_f64 v[40:41], v[30:31], v[164:165]
	s_waitcnt vmcnt(24)
	v_fmac_f64_e32 v[40:41], v[32:33], v[166:167]
	v_add_f64 v[42:43], v[38:39], v[40:41]
	ds_read_b128 v[38:41], v1 offset:1696
	s_waitcnt lgkmcnt(1)
	v_mul_f64 v[44:45], v[34:35], v[136:137]
	v_fmac_f64_e32 v[44:45], v[36:37], v[138:139]
	v_add_f64 v[46:47], v[42:43], v[44:45]
	ds_read_b128 v[42:45], v1 offset:1712
	buffer_load_dword v181, off, s[0:3], 0 offset:828
	buffer_load_dword v183, off, s[0:3], 0 offset:812
	buffer_load_dword v182, off, s[0:3], 0 offset:808
	buffer_load_dword v187, off, s[0:3], 0 offset:804
	buffer_load_dword v186, off, s[0:3], 0 offset:800
	buffer_load_dword v180, off, s[0:3], 0 offset:824
	buffer_load_dword v185, off, s[0:3], 0 offset:820
	buffer_load_dword v184, off, s[0:3], 0 offset:816
	s_waitcnt vmcnt(26) lgkmcnt(1)
	v_mul_f64 v[48:49], v[38:39], v[168:169]
	s_waitcnt vmcnt(24)
	v_fmac_f64_e32 v[48:49], v[40:41], v[170:171]
	v_add_f64 v[192:193], v[46:47], v[48:49]
	ds_read_b128 v[46:49], v1 offset:1728
	buffer_load_dword v189, off, s[0:3], 0 offset:844
	buffer_load_dword v188, off, s[0:3], 0 offset:840
	buffer_load_dword v191, off, s[0:3], 0 offset:836
	buffer_load_dword v190, off, s[0:3], 0 offset:832
	s_waitcnt lgkmcnt(1)
	v_mul_f64 v[194:195], v[42:43], v[142:143]
	v_fmac_f64_e32 v[194:195], v[44:45], v[146:147]
	v_add_f64 v[2:3], v[192:193], v[194:195]
	buffer_load_dword v193, off, s[0:3], 0 offset:860
	buffer_load_dword v192, off, s[0:3], 0 offset:856
	;; [unrolled: 1-line block ×8, first 2 shown]
	v_mul_f64 v[4:5], v[104:105], v[56:57]
	v_fma_f64 v[6:7], v[102:103], v[50:51], -v[4:5]
	buffer_load_dword v200, off, s[0:3], 0 offset:888
	v_mul_f64 v[50:51], v[108:109], v[58:59]
	v_fma_f64 v[102:103], v[106:107], v[52:53], -v[50:51]
	buffer_load_dword v202, off, s[0:3], 0 offset:880
	buffer_load_dword v201, off, s[0:3], 0 offset:892
	;; [unrolled: 1-line block ×3, first 2 shown]
	v_mul_f64 v[50:51], v[112:113], v[54:55]
	v_fma_f64 v[104:105], v[110:111], v[204:205], -v[50:51]
	buffer_load_dword v205, off, s[0:3], 0 offset:908
	buffer_load_dword v204, off, s[0:3], 0 offset:904
	;; [unrolled: 1-line block ×4, first 2 shown]
	v_mul_f64 v[50:51], v[116:117], v[64:65]
	v_fma_f64 v[106:107], v[114:115], v[212:213], -v[50:51]
	v_mul_f64 v[50:51], v[210:211], v[62:63]
	buffer_load_dword v211, off, s[0:3], 0 offset:924
	buffer_load_dword v210, off, s[0:3], 0 offset:920
	;; [unrolled: 1-line block ×4, first 2 shown]
	v_fma_f64 v[108:109], v[208:209], v[60:61], -v[50:51]
	buffer_load_dword v209, off, s[0:3], 0 offset:956
	buffer_load_dword v215, off, s[0:3], 0 offset:940
	;; [unrolled: 1-line block ×12, first 2 shown]
	ds_read_b128 v[50:53], v1 offset:1744
	v_mul_f64 v[54:55], v[226:227], v[76:77]
	v_fma_f64 v[224:225], v[224:225], v[78:79], -v[54:55]
	ds_read_b128 v[54:57], v1 offset:1760
	s_waitcnt vmcnt(54) lgkmcnt(2)
	v_mul_f64 v[58:59], v[46:47], v[172:173]
	s_waitcnt vmcnt(52)
	v_fmac_f64_e32 v[58:59], v[48:49], v[174:175]
	v_add_f64 v[2:3], v[2:3], v[58:59]
	s_waitcnt lgkmcnt(1)
	v_mul_f64 v[58:59], v[50:51], v[150:151]
	v_fmac_f64_e32 v[58:59], v[52:53], v[154:155]
	v_add_f64 v[2:3], v[2:3], v[58:59]
	s_waitcnt vmcnt(46) lgkmcnt(0)
	v_mul_f64 v[58:59], v[54:55], v[176:177]
	s_waitcnt vmcnt(44)
	v_fmac_f64_e32 v[58:59], v[56:57], v[178:179]
	v_add_f64 v[2:3], v[2:3], v[58:59]
	ds_read_b128 v[58:61], v1 offset:1776
	v_mul_f64 v[62:63], v[230:231], v[66:67]
	v_fma_f64 v[78:79], v[228:229], v[70:71], -v[62:63]
	ds_read_b128 v[62:65], v1 offset:1792
	v_mul_f64 v[66:67], v[234:235], v[68:69]
	v_fma_f64 v[232:233], v[232:233], v[72:73], -v[66:67]
	ds_read_b128 v[66:69], v1 offset:1808
	s_waitcnt lgkmcnt(2)
	v_mul_f64 v[70:71], v[58:59], v[158:159]
	v_fmac_f64_e32 v[70:71], v[60:61], v[162:163]
	v_add_f64 v[2:3], v[2:3], v[70:71]
	v_mul_f64 v[74:75], v[238:239], v[74:75]
	v_fma_f64 v[226:227], v[236:237], v[84:85], -v[74:75]
	ds_read_b128 v[74:77], v1 offset:1840
	v_mul_f64 v[90:91], v[242:243], v[90:91]
	v_fma_f64 v[4:5], v[240:241], v[92:93], -v[90:91]
	ds_read_b128 v[240:243], v1 offset:1872
	v_mul_f64 v[90:91], v[250:251], v[98:99]
	v_mul_f64 v[94:95], v[254:255], v[94:95]
	v_fma_f64 v[252:253], v[252:253], v[96:97], -v[94:95]
	v_fma_f64 v[250:251], v[118:119], v[82:83], -v[80:81]
	v_add_f64 v[6:7], v[6:7], 0
	v_add_f64 v[6:7], v[6:7], v[102:103]
	ds_read_b128 v[236:239], v1 offset:1856
	v_add_f64 v[6:7], v[6:7], v[104:105]
	v_add_f64 v[6:7], v[6:7], v[106:107]
	;; [unrolled: 1-line block ×8, first 2 shown]
	v_accvgpr_read_b32 v6, a190
	ds_read_b128 v[94:97], v1 offset:1920
	v_accvgpr_read_b32 v7, a191
	v_mul_f64 v[6:7], v[128:129], v[6:7]
	ds_read_b128 v[118:121], v1 offset:1952
	s_waitcnt vmcnt(41) lgkmcnt(6)
	v_mul_f64 v[70:71], v[62:63], v[182:183]
	s_waitcnt vmcnt(39)
	v_fmac_f64_e32 v[70:71], v[64:65], v[186:187]
	v_add_f64 v[2:3], v[2:3], v[70:71]
	s_waitcnt vmcnt(38) lgkmcnt(5)
	v_mul_f64 v[70:71], v[66:67], v[180:181]
	s_waitcnt vmcnt(36)
	v_fmac_f64_e32 v[70:71], v[68:69], v[184:185]
	v_add_f64 v[2:3], v[2:3], v[70:71]
	ds_read_b128 v[70:73], v1 offset:1824
	s_waitcnt vmcnt(30) lgkmcnt(5)
	v_mul_f64 v[8:9], v[74:75], v[192:193]
	s_waitcnt vmcnt(28)
	v_fmac_f64_e32 v[8:9], v[76:77], v[196:197]
	s_waitcnt lgkmcnt(0)
	v_mul_f64 v[84:85], v[70:71], v[188:189]
	v_fmac_f64_e32 v[84:85], v[72:73], v[190:191]
	v_add_f64 v[2:3], v[2:3], v[84:85]
	v_add_f64 v[2:3], v[2:3], v[8:9]
	s_waitcnt vmcnt(26)
	v_mul_f64 v[8:9], v[236:237], v[194:195]
	s_waitcnt vmcnt(24)
	v_fmac_f64_e32 v[8:9], v[238:239], v[198:199]
	v_add_f64 v[2:3], v[2:3], v[8:9]
	v_mul_f64 v[8:9], v[246:247], v[86:87]
	v_fma_f64 v[8:9], v[244:245], v[88:89], -v[8:9]
	ds_read_b128 v[86:89], v1 offset:1888
	v_fma_f64 v[246:247], v[248:249], v[100:101], -v[90:91]
	ds_read_b128 v[90:93], v1 offset:1904
	s_waitcnt vmcnt(21)
	v_mul_f64 v[84:85], v[240:241], v[200:201]
	s_waitcnt vmcnt(20)
	v_fmac_f64_e32 v[84:85], v[242:243], v[202:203]
	s_waitcnt vmcnt(18) lgkmcnt(1)
	v_mul_f64 v[98:99], v[86:87], v[204:205]
	v_add_f64 v[84:85], v[2:3], v[84:85]
	s_waitcnt vmcnt(16)
	v_fmac_f64_e32 v[98:99], v[88:89], v[206:207]
	v_add_f64 v[84:85], v[84:85], v[98:99]
	s_waitcnt vmcnt(14) lgkmcnt(0)
	v_mul_f64 v[98:99], v[90:91], v[210:211]
	buffer_load_dword v2, off, s[0:3], 0 offset:984
	s_waitcnt vmcnt(13)
	v_fmac_f64_e32 v[98:99], v[92:93], v[212:213]
	v_add_f64 v[84:85], v[84:85], v[98:99]
	ds_read_b128 v[98:101], v1 offset:1936
	buffer_load_dword v254, off, s[0:3], 0 offset:976
	buffer_load_dword v3, off, s[0:3], 0 offset:988
	;; [unrolled: 1-line block ×3, first 2 shown]
	s_waitcnt vmcnt(13)
	v_mul_f64 v[80:81], v[94:95], v[214:215]
	s_waitcnt vmcnt(11)
	v_fmac_f64_e32 v[80:81], v[96:97], v[220:221]
	v_add_f64 v[80:81], v[84:85], v[80:81]
	s_waitcnt vmcnt(10) lgkmcnt(0)
	v_mul_f64 v[82:83], v[98:99], v[208:209]
	s_waitcnt vmcnt(8)
	v_fmac_f64_e32 v[82:83], v[100:101], v[218:219]
	v_add_f64 v[80:81], v[80:81], v[82:83]
	s_waitcnt vmcnt(6)
	v_mul_f64 v[82:83], v[118:119], v[216:217]
	s_waitcnt vmcnt(4)
	v_fmac_f64_e32 v[82:83], v[120:121], v[222:223]
	v_add_f64 v[80:81], v[80:81], v[82:83]
	ds_read_b128 v[82:85], v1 offset:1968
	buffer_load_dword v229, off, s[0:3], 0 offset:1004
	buffer_load_dword v228, off, s[0:3], 0 offset:1000
	;; [unrolled: 1-line block ×4, first 2 shown]
	v_add_f64 v[4:5], v[4:5], v[8:9]
	v_add_f64 v[4:5], v[4:5], v[246:247]
	v_accvgpr_read_b32 v8, a192
	v_add_f64 v[252:253], v[4:5], v[252:253]
	v_accvgpr_read_b32 v9, a193
	v_add_f64 v[4:5], v[252:253], v[250:251]
	v_fma_f64 v[6:7], v[126:127], v[8:9], -v[6:7]
	v_add_f64 v[4:5], v[4:5], v[6:7]
	v_mul_f64 v[6:7], v[124:125], v[140:141]
	v_fma_f64 v[6:7], v[122:123], v[144:145], -v[6:7]
	v_add_f64 v[4:5], v[4:5], v[6:7]
	v_accvgpr_read_b32 v6, a194
	v_accvgpr_read_b32 v7, a195
	;; [unrolled: 1-line block ×3, first 2 shown]
	v_mul_f64 v[6:7], v[12:13], v[6:7]
	v_accvgpr_read_b32 v9, a197
	v_fma_f64 v[6:7], v[10:11], v[8:9], -v[6:7]
	v_add_f64 v[4:5], v[4:5], v[6:7]
	v_mul_f64 v[6:7], v[16:17], v[148:149]
	v_fma_f64 v[6:7], v[14:15], v[152:153], -v[6:7]
	v_add_f64 v[4:5], v[4:5], v[6:7]
	v_accvgpr_read_b32 v6, a198
	v_accvgpr_read_b32 v7, a199
	v_mul_f64 v[6:7], v[20:21], v[6:7]
	v_fma_f64 v[6:7], v[18:19], v[130:131], -v[6:7]
	v_add_f64 v[4:5], v[4:5], v[6:7]
	v_mul_f64 v[6:7], v[24:25], v[156:157]
	v_fma_f64 v[6:7], v[22:23], v[160:161], -v[6:7]
	v_add_f64 v[4:5], v[4:5], v[6:7]
	;; [unrolled: 3-line block ×14, first 2 shown]
	v_mul_f64 v[6:7], v[76:77], v[192:193]
	v_fma_f64 v[6:7], v[74:75], v[196:197], -v[6:7]
	s_waitcnt vmcnt(5) lgkmcnt(0)
	v_mul_f64 v[110:111], v[82:83], v[2:3]
	s_waitcnt vmcnt(4)
	v_fmac_f64_e32 v[110:111], v[84:85], v[254:255]
	v_add_f64 v[80:81], v[80:81], v[110:111]
	ds_read_b128 v[110:113], v1 offset:1984
	buffer_load_dword v234, off, s[0:3], 0 offset:1016
	buffer_load_dword v235, off, s[0:3], 0 offset:1020
	;; [unrolled: 1-line block ×4, first 2 shown]
	v_add_f64 v[4:5], v[4:5], v[6:7]
	v_mul_f64 v[6:7], v[238:239], v[194:195]
	v_fma_f64 v[6:7], v[236:237], v[198:199], -v[6:7]
	v_add_f64 v[4:5], v[4:5], v[6:7]
	v_mul_f64 v[6:7], v[242:243], v[200:201]
	s_waitcnt vmcnt(6) lgkmcnt(0)
	v_mul_f64 v[114:115], v[110:111], v[228:229]
	v_fma_f64 v[6:7], v[240:241], v[202:203], -v[6:7]
	s_waitcnt vmcnt(4)
	v_fmac_f64_e32 v[114:115], v[112:113], v[230:231]
	v_add_f64 v[80:81], v[80:81], v[114:115]
	ds_read_b128 v[114:117], v1 offset:2000
	v_add_f64 v[4:5], v[4:5], v[6:7]
	v_mul_f64 v[6:7], v[88:89], v[204:205]
	v_fma_f64 v[6:7], v[86:87], v[206:207], -v[6:7]
	v_add_f64 v[4:5], v[4:5], v[6:7]
	v_mul_f64 v[6:7], v[92:93], v[210:211]
	v_fma_f64 v[6:7], v[90:91], v[212:213], -v[6:7]
	;; [unrolled: 3-line block ×5, first 2 shown]
	v_mul_f64 v[2:3], v[84:85], v[2:3]
	v_add_f64 v[4:5], v[4:5], v[6:7]
	v_fma_f64 v[2:3], v[82:83], v[254:255], -v[2:3]
	v_add_f64 v[2:3], v[4:5], v[2:3]
	v_mul_f64 v[4:5], v[112:113], v[228:229]
	v_fma_f64 v[4:5], v[110:111], v[230:231], -v[4:5]
	v_add_f64 v[2:3], v[2:3], v[4:5]
	s_waitcnt vmcnt(2) lgkmcnt(0)
	v_mul_f64 v[248:249], v[114:115], v[234:235]
	v_mul_f64 v[4:5], v[116:117], v[234:235]
	s_waitcnt vmcnt(0)
	v_fmac_f64_e32 v[248:249], v[116:117], v[244:245]
	v_add_f64 v[80:81], v[80:81], v[248:249]
	buffer_load_dword v248, off, s[0:3], 0 offset:320
	buffer_load_dword v249, off, s[0:3], 0 offset:324
	;; [unrolled: 1-line block ×4, first 2 shown]
	v_fma_f64 v[4:5], v[114:115], v[244:245], -v[4:5]
	v_add_f64 v[2:3], v[2:3], v[4:5]
	s_waitcnt vmcnt(2)
	v_add_f64 v[2:3], v[248:249], -v[2:3]
	s_waitcnt vmcnt(0)
	v_add_f64 v[4:5], v[246:247], -v[80:81]
	buffer_store_dword v3, off, s[0:3], 0 offset:324
	buffer_store_dword v2, off, s[0:3], 0 offset:320
	;; [unrolled: 1-line block ×4, first 2 shown]
	s_and_saveexec_b64 s[4:5], vcc
	s_cbranch_execz .LBB126_367
; %bb.366:
	v_accvgpr_read_b32 v0, a170
	buffer_load_dword v2, v0, s[0:3], 0 offen
	buffer_load_dword v3, v0, s[0:3], 0 offen offset:4
	buffer_load_dword v4, v0, s[0:3], 0 offen offset:8
	;; [unrolled: 1-line block ×3, first 2 shown]
	v_accvgpr_read_b32 v0, a189
	buffer_store_dword v1, off, s[0:3], 0 offset:304
	buffer_store_dword v1, off, s[0:3], 0 offset:308
	;; [unrolled: 1-line block ×4, first 2 shown]
	s_waitcnt vmcnt(4)
	ds_write_b128 v0, v[2:5]
.LBB126_367:
	s_or_b64 exec, exec, s[4:5]
	s_waitcnt lgkmcnt(0)
	; wave barrier
	s_waitcnt lgkmcnt(0)
	buffer_load_dword v186, off, s[0:3], 0 offset:320
	buffer_load_dword v187, off, s[0:3], 0 offset:324
	buffer_load_dword v194, off, s[0:3], 0 offset:328
	buffer_load_dword v195, off, s[0:3], 0 offset:332
	buffer_load_dword v86, off, s[0:3], 0 offset:336
	buffer_load_dword v87, off, s[0:3], 0 offset:340
	buffer_load_dword v196, off, s[0:3], 0 offset:344
	buffer_load_dword v197, off, s[0:3], 0 offset:348
	buffer_load_dword v88, off, s[0:3], 0 offset:360
	buffer_load_dword v89, off, s[0:3], 0 offset:364
	buffer_load_dword v213, off, s[0:3], 0 offset:396
	buffer_load_dword v212, off, s[0:3], 0 offset:392
	buffer_load_dword v215, off, s[0:3], 0 offset:388
	buffer_load_dword v214, off, s[0:3], 0 offset:384
	buffer_load_dword v203, off, s[0:3], 0 offset:380
	buffer_load_dword v202, off, s[0:3], 0 offset:376
	buffer_load_dword v105, off, s[0:3], 0 offset:428
	buffer_load_dword v104, off, s[0:3], 0 offset:424
	buffer_load_dword v109, off, s[0:3], 0 offset:420
	buffer_load_dword v108, off, s[0:3], 0 offset:416
	buffer_load_dword v217, off, s[0:3], 0 offset:412
	buffer_load_dword v216, off, s[0:3], 0 offset:408
	buffer_load_dword v107, off, s[0:3], 0 offset:444
	buffer_load_dword v106, off, s[0:3], 0 offset:440
	buffer_load_dword v200, off, s[0:3], 0 offset:352
	buffer_load_dword v201, off, s[0:3], 0 offset:356
	buffer_load_dword v117, off, s[0:3], 0 offset:372
	buffer_load_dword v116, off, s[0:3], 0 offset:368
	buffer_load_dword v219, off, s[0:3], 0 offset:404
	buffer_load_dword v218, off, s[0:3], 0 offset:400
	buffer_load_dword v111, off, s[0:3], 0 offset:436
	buffer_load_dword v110, off, s[0:3], 0 offset:432
	buffer_load_dword v102, off, s[0:3], 0 offset:456
	buffer_load_dword v224, off, s[0:3], 0 offset:448
	buffer_load_dword v225, off, s[0:3], 0 offset:452
	buffer_load_dword v103, off, s[0:3], 0 offset:460
	ds_read_b128 v[82:85], v1 offset:1312
	ds_read_b128 v[78:81], v1 offset:1328
	;; [unrolled: 1-line block ×9, first 2 shown]
	buffer_load_dword v227, off, s[0:3], 0 offset:492
	buffer_load_dword v226, off, s[0:3], 0 offset:488
	buffer_load_dword v229, off, s[0:3], 0 offset:484
	buffer_load_dword v228, off, s[0:3], 0 offset:480
	buffer_load_dword v231, off, s[0:3], 0 offset:476
	buffer_load_dword v230, off, s[0:3], 0 offset:472
	buffer_load_dword v233, off, s[0:3], 0 offset:468
	buffer_load_dword v232, off, s[0:3], 0 offset:464
	buffer_load_dword v239, off, s[0:3], 0 offset:524
	buffer_load_dword v238, off, s[0:3], 0 offset:520
	buffer_load_dword v241, off, s[0:3], 0 offset:516
	buffer_load_dword v240, off, s[0:3], 0 offset:512
	buffer_load_dword v119, off, s[0:3], 0 offset:508
	buffer_load_dword v118, off, s[0:3], 0 offset:504
	buffer_load_dword v243, off, s[0:3], 0 offset:500
	buffer_load_dword v242, off, s[0:3], 0 offset:496
	buffer_load_dword v235, off, s[0:3], 0 offset:556
	buffer_load_dword v234, off, s[0:3], 0 offset:552
	buffer_load_dword v237, off, s[0:3], 0 offset:548
	s_waitcnt vmcnt(51) lgkmcnt(8)
	v_mul_f64 v[2:3], v[82:83], v[194:195]
	v_fmac_f64_e32 v[2:3], v[84:85], v[186:187]
	v_add_f64 v[2:3], v[2:3], 0
	s_waitcnt vmcnt(47) lgkmcnt(7)
	v_mul_f64 v[4:5], v[78:79], v[196:197]
	v_fmac_f64_e32 v[4:5], v[80:81], v[86:87]
	v_add_f64 v[2:3], v[2:3], v[4:5]
	buffer_load_dword v236, off, s[0:3], 0 offset:544
	buffer_load_dword v113, off, s[0:3], 0 offset:540
	;; [unrolled: 1-line block ×7, first 2 shown]
	s_waitcnt vmcnt(52) lgkmcnt(6)
	v_mul_f64 v[6:7], v[74:75], v[88:89]
	s_waitcnt vmcnt(50) lgkmcnt(4)
	v_mul_f64 v[10:11], v[62:63], v[212:213]
	s_waitcnt vmcnt(48)
	v_fmac_f64_e32 v[10:11], v[64:65], v[214:215]
	v_mul_f64 v[80:81], v[80:81], v[196:197]
	s_waitcnt vmcnt(46)
	v_mul_f64 v[8:9], v[70:71], v[202:203]
	v_mul_f64 v[64:65], v[64:65], v[212:213]
	s_waitcnt vmcnt(44) lgkmcnt(2)
	v_mul_f64 v[14:15], v[54:55], v[104:105]
	s_waitcnt vmcnt(42)
	v_fmac_f64_e32 v[14:15], v[56:57], v[108:109]
	v_mul_f64 v[56:57], v[56:57], v[104:105]
	s_waitcnt vmcnt(40)
	v_mul_f64 v[12:13], v[50:51], v[216:217]
	v_fma_f64 v[104:105], v[54:55], v[108:109], -v[56:57]
	s_waitcnt vmcnt(38) lgkmcnt(1)
	v_mul_f64 v[16:17], v[58:59], v[106:107]
	s_waitcnt vmcnt(36)
	v_fmac_f64_e32 v[6:7], v[76:77], v[200:201]
	v_add_f64 v[2:3], v[2:3], v[6:7]
	s_waitcnt vmcnt(34)
	v_fmac_f64_e32 v[8:9], v[72:73], v[116:117]
	v_add_f64 v[2:3], v[2:3], v[8:9]
	;; [unrolled: 3-line block ×3, first 2 shown]
	v_add_f64 v[2:3], v[2:3], v[12:13]
	s_waitcnt vmcnt(30)
	v_fmac_f64_e32 v[16:17], v[60:61], v[110:111]
	v_add_f64 v[2:3], v[2:3], v[14:15]
	v_add_f64 v[2:3], v[2:3], v[16:17]
	v_mul_f64 v[72:73], v[72:73], v[202:203]
	v_mul_f64 v[60:61], v[60:61], v[106:107]
	v_fma_f64 v[116:117], v[70:71], v[116:117], -v[72:73]
	s_waitcnt vmcnt(0)
	v_pk_mov_b32 v[18:19], v[4:5], v[4:5] op_sel:[0,1]
	buffer_load_dword v5, off, s[0:3], 0 offset:580
	buffer_load_dword v4, off, s[0:3], 0 offset:576
	v_accvgpr_write_b32 a191, v19
	v_accvgpr_write_b32 a190, v18
	s_waitcnt vmcnt(0)
	v_pk_mov_b32 v[20:21], v[4:5], v[4:5] op_sel:[0,1]
	buffer_load_dword v137, off, s[0:3], 0 offset:572
	buffer_load_dword v136, off, s[0:3], 0 offset:568
	buffer_load_dword v141, off, s[0:3], 0 offset:564
	buffer_load_dword v140, off, s[0:3], 0 offset:560
	buffer_load_dword v5, off, s[0:3], 0 offset:620
	buffer_load_dword v4, off, s[0:3], 0 offset:616
	v_accvgpr_write_b32 a193, v21
	v_accvgpr_write_b32 a192, v20
	s_waitcnt vmcnt(0)
	v_pk_mov_b32 v[26:27], v[4:5], v[4:5] op_sel:[0,1]
	buffer_load_dword v5, off, s[0:3], 0 offset:612
	buffer_load_dword v4, off, s[0:3], 0 offset:608
	v_accvgpr_write_b32 a195, v27
	v_accvgpr_write_b32 a194, v26
	s_waitcnt vmcnt(0)
	v_pk_mov_b32 v[28:29], v[4:5], v[4:5] op_sel:[0,1]
	buffer_load_dword v145, off, s[0:3], 0 offset:604
	buffer_load_dword v144, off, s[0:3], 0 offset:600
	buffer_load_dword v149, off, s[0:3], 0 offset:596
	buffer_load_dword v148, off, s[0:3], 0 offset:592
	buffer_load_dword v5, off, s[0:3], 0 offset:652
	buffer_load_dword v4, off, s[0:3], 0 offset:648
	v_accvgpr_write_b32 a197, v29
	v_accvgpr_write_b32 a196, v28
	;; [unrolled: 16-line block ×3, first 2 shown]
	s_waitcnt vmcnt(0)
	v_pk_mov_b32 v[42:43], v[4:5], v[4:5] op_sel:[0,1]
	buffer_load_dword v5, off, s[0:3], 0 offset:676
	buffer_load_dword v4, off, s[0:3], 0 offset:672
	;; [unrolled: 1-line block ×30, first 2 shown]
	ds_read_b128 v[244:247], v1 offset:1456
	ds_read_b128 v[248:251], v1 offset:1472
	;; [unrolled: 1-line block ×10, first 2 shown]
	s_waitcnt lgkmcnt(4)
	v_mul_f64 v[8:9], v[98:99], v[234:235]
	v_fmac_f64_e32 v[8:9], v[100:101], v[236:237]
	s_waitcnt lgkmcnt(3)
	v_mul_f64 v[12:13], v[132:133], v[136:137]
	v_fmac_f64_e32 v[12:13], v[134:135], v[140:141]
	;; [unrolled: 3-line block ×5, first 2 shown]
	v_accvgpr_write_b32 a203, v43
	v_accvgpr_write_b32 a202, v42
	v_mul_f64 v[70:71], v[246:247], v[230:231]
	v_mul_f64 v[100:101], v[100:101], v[234:235]
	s_waitcnt vmcnt(28)
	v_pk_mov_b32 v[44:45], v[4:5], v[4:5] op_sel:[0,1]
	v_mul_f64 v[4:5], v[66:67], v[102:103]
	v_fmac_f64_e32 v[4:5], v[68:69], v[224:225]
	v_add_f64 v[2:3], v[2:3], v[4:5]
	v_mul_f64 v[4:5], v[244:245], v[230:231]
	v_fmac_f64_e32 v[4:5], v[246:247], v[232:233]
	v_add_f64 v[2:3], v[2:3], v[4:5]
	;; [unrolled: 3-line block ×6, first 2 shown]
	v_add_f64 v[10:11], v[6:7], v[8:9]
	v_add_f64 v[14:15], v[10:11], v[12:13]
	;; [unrolled: 1-line block ×4, first 2 shown]
	ds_read_b128 v[18:21], v1 offset:1616
	v_add_f64 v[26:27], v[22:23], v[24:25]
	ds_read_b128 v[22:25], v1 offset:1632
	v_accvgpr_write_b32 a205, v45
	v_accvgpr_write_b32 a204, v44
	s_waitcnt lgkmcnt(1)
	v_mul_f64 v[28:29], v[18:19], v[152:153]
	v_fmac_f64_e32 v[28:29], v[20:21], v[156:157]
	v_add_f64 v[30:31], v[26:27], v[28:29]
	ds_read_b128 v[26:29], v1 offset:1648
	s_waitcnt lgkmcnt(1)
	v_mul_f64 v[32:33], v[22:23], v[34:35]
	v_fmac_f64_e32 v[32:33], v[24:25], v[36:37]
	v_add_f64 v[34:35], v[30:31], v[32:33]
	ds_read_b128 v[30:33], v1 offset:1664
	s_waitcnt vmcnt(26) lgkmcnt(1)
	v_mul_f64 v[36:37], v[26:27], v[160:161]
	s_waitcnt vmcnt(24)
	v_fmac_f64_e32 v[36:37], v[28:29], v[162:163]
	v_add_f64 v[38:39], v[34:35], v[36:37]
	ds_read_b128 v[34:37], v1 offset:1680
	s_waitcnt lgkmcnt(1)
	v_mul_f64 v[40:41], v[30:31], v[42:43]
	v_fmac_f64_e32 v[40:41], v[32:33], v[44:45]
	v_add_f64 v[42:43], v[38:39], v[40:41]
	ds_read_b128 v[38:41], v1 offset:1696
	s_waitcnt vmcnt(18) lgkmcnt(1)
	v_mul_f64 v[44:45], v[34:35], v[164:165]
	s_waitcnt vmcnt(16)
	v_fmac_f64_e32 v[44:45], v[36:37], v[166:167]
	v_add_f64 v[46:47], v[42:43], v[44:45]
	ds_read_b128 v[42:45], v1 offset:1712
	buffer_load_dword v177, off, s[0:3], 0 offset:796
	buffer_load_dword v176, off, s[0:3], 0 offset:792
	;; [unrolled: 1-line block ×4, first 2 shown]
	s_waitcnt lgkmcnt(1)
	v_mul_f64 v[48:49], v[38:39], v[138:139]
	v_fmac_f64_e32 v[48:49], v[40:41], v[142:143]
	v_add_f64 v[180:181], v[46:47], v[48:49]
	ds_read_b128 v[46:49], v1 offset:1728
	buffer_load_dword v183, off, s[0:3], 0 offset:812
	buffer_load_dword v182, off, s[0:3], 0 offset:808
	;; [unrolled: 1-line block ×4, first 2 shown]
	s_waitcnt vmcnt(18) lgkmcnt(1)
	v_mul_f64 v[188:189], v[42:43], v[168:169]
	s_waitcnt vmcnt(16)
	v_fmac_f64_e32 v[188:189], v[44:45], v[170:171]
	v_add_f64 v[2:3], v[180:181], v[188:189]
	buffer_load_dword v181, off, s[0:3], 0 offset:844
	buffer_load_dword v189, off, s[0:3], 0 offset:828
	;; [unrolled: 1-line block ×8, first 2 shown]
	v_mul_f64 v[4:5], v[84:85], v[194:195]
	v_fma_f64 v[14:15], v[82:83], v[186:187], -v[4:5]
	buffer_load_dword v186, off, s[0:3], 0 offset:872
	buffer_load_dword v195, off, s[0:3], 0 offset:860
	;; [unrolled: 1-line block ×8, first 2 shown]
	v_mul_f64 v[8:9], v[76:77], v[88:89]
	v_fma_f64 v[8:9], v[74:75], v[200:201], -v[8:9]
	buffer_load_dword v201, off, s[0:3], 0 offset:908
	buffer_load_dword v203, off, s[0:3], 0 offset:892
	;; [unrolled: 1-line block ×12, first 2 shown]
	v_mul_f64 v[12:13], v[52:53], v[216:217]
	v_fma_f64 v[6:7], v[62:63], v[214:215], -v[64:65]
	v_fma_f64 v[12:13], v[50:51], v[218:219], -v[12:13]
	buffer_load_dword v215, off, s[0:3], 0 offset:940
	buffer_load_dword v214, off, s[0:3], 0 offset:936
	;; [unrolled: 1-line block ×12, first 2 shown]
	s_waitcnt lgkmcnt(0)
	v_mul_f64 v[50:51], v[46:47], v[146:147]
	v_fmac_f64_e32 v[50:51], v[48:49], v[150:151]
	v_add_f64 v[2:3], v[2:3], v[50:51]
	ds_read_b128 v[50:53], v1 offset:1744
	ds_read_b128 v[54:57], v1 offset:1760
	v_fma_f64 v[4:5], v[58:59], v[110:111], -v[60:61]
	ds_read_b128 v[58:61], v1 offset:1776
	v_fma_f64 v[10:11], v[78:79], v[86:87], -v[80:81]
	s_waitcnt vmcnt(50) lgkmcnt(2)
	v_mul_f64 v[62:63], v[50:51], v[172:173]
	s_waitcnt vmcnt(48)
	v_fmac_f64_e32 v[62:63], v[52:53], v[174:175]
	s_waitcnt lgkmcnt(1)
	v_mul_f64 v[16:17], v[54:55], v[154:155]
	v_add_f64 v[2:3], v[2:3], v[62:63]
	ds_read_b128 v[62:65], v1 offset:1792
	v_fmac_f64_e32 v[16:17], v[56:57], v[158:159]
	v_add_f64 v[2:3], v[2:3], v[16:17]
	v_mul_f64 v[78:79], v[250:251], v[226:227]
	v_fma_f64 v[246:247], v[248:249], v[228:229], -v[78:79]
	v_mul_f64 v[92:93], v[92:93], v[238:239]
	v_mul_f64 v[96:97], v[96:97], v[112:113]
	v_fma_f64 v[250:251], v[94:95], v[114:115], -v[96:97]
	ds_read_b128 v[94:97], v1 offset:1936
	v_add_f64 v[14:15], v[14:15], 0
	v_add_f64 v[10:11], v[14:15], v[10:11]
	;; [unrolled: 1-line block ×8, first 2 shown]
	v_mul_f64 v[6:7], v[134:135], v[136:137]
	v_fma_f64 v[6:7], v[132:133], v[140:141], -v[6:7]
	v_accvgpr_read_b32 v8, a192
	v_accvgpr_read_b32 v9, a193
	ds_read_b128 v[78:81], v1 offset:1856
	s_waitcnt vmcnt(46) lgkmcnt(3)
	v_mul_f64 v[16:17], v[58:59], v[176:177]
	s_waitcnt vmcnt(44)
	v_fmac_f64_e32 v[16:17], v[60:61], v[178:179]
	v_add_f64 v[2:3], v[2:3], v[16:17]
	v_mul_f64 v[16:17], v[68:69], v[102:103]
	v_fma_f64 v[16:17], v[66:67], v[224:225], -v[16:17]
	ds_read_b128 v[66:69], v1 offset:1808
	v_fma_f64 v[102:103], v[244:245], v[232:233], -v[70:71]
	ds_read_b128 v[70:73], v1 offset:1824
	s_waitcnt vmcnt(42) lgkmcnt(4)
	v_mul_f64 v[74:75], v[62:63], v[182:183]
	s_waitcnt vmcnt(40)
	v_fmac_f64_e32 v[74:75], v[64:65], v[184:185]
	v_add_f64 v[2:3], v[2:3], v[74:75]
	s_waitcnt vmcnt(37) lgkmcnt(1)
	v_mul_f64 v[74:75], v[66:67], v[188:189]
	s_waitcnt vmcnt(35)
	v_fmac_f64_e32 v[74:75], v[68:69], v[192:193]
	v_add_f64 v[2:3], v[2:3], v[74:75]
	;; [unrolled: 5-line block ×3, first 2 shown]
	ds_read_b128 v[74:77], v1 offset:1840
	s_waitcnt vmcnt(25)
	v_mul_f64 v[86:87], v[78:79], v[186:187]
	s_waitcnt vmcnt(24)
	v_fmac_f64_e32 v[86:87], v[80:81], v[196:197]
	v_add_f64 v[4:5], v[4:5], v[16:17]
	v_add_f64 v[4:5], v[4:5], v[102:103]
	s_waitcnt lgkmcnt(0)
	v_mul_f64 v[82:83], v[74:75], v[194:195]
	v_fmac_f64_e32 v[82:83], v[76:77], v[198:199]
	v_add_f64 v[2:3], v[2:3], v[82:83]
	v_mul_f64 v[82:83], v[254:255], v[118:119]
	v_fma_f64 v[118:119], v[252:253], v[242:243], -v[82:83]
	ds_read_b128 v[82:85], v1 offset:1872
	v_add_f64 v[2:3], v[2:3], v[86:87]
	ds_read_b128 v[86:89], v1 offset:1888
	v_fma_f64 v[242:243], v[90:91], v[240:241], -v[92:93]
	ds_read_b128 v[90:93], v1 offset:1904
	ds_read_b128 v[238:241], v1 offset:1920
	s_waitcnt vmcnt(21) lgkmcnt(3)
	v_mul_f64 v[106:107], v[82:83], v[202:203]
	s_waitcnt vmcnt(19)
	v_fmac_f64_e32 v[106:107], v[84:85], v[208:209]
	v_add_f64 v[2:3], v[2:3], v[106:107]
	s_waitcnt vmcnt(18) lgkmcnt(2)
	v_mul_f64 v[106:107], v[86:87], v[200:201]
	s_waitcnt vmcnt(16)
	v_fmac_f64_e32 v[106:107], v[88:89], v[206:207]
	v_add_f64 v[2:3], v[2:3], v[106:107]
	s_waitcnt vmcnt(14) lgkmcnt(1)
	v_mul_f64 v[106:107], v[90:91], v[204:205]
	s_waitcnt vmcnt(12)
	v_fmac_f64_e32 v[106:107], v[92:93], v[210:211]
	v_fma_f64 v[252:253], v[98:99], v[236:237], -v[100:101]
	ds_read_b128 v[98:101], v1 offset:1952
	buffer_load_dword v225, off, s[0:3], 0 offset:988
	buffer_load_dword v224, off, s[0:3], 0 offset:984
	;; [unrolled: 1-line block ×4, first 2 shown]
	v_add_f64 v[2:3], v[2:3], v[106:107]
	s_waitcnt vmcnt(14) lgkmcnt(1)
	v_mul_f64 v[106:107], v[238:239], v[214:215]
	s_waitcnt vmcnt(12)
	v_fmac_f64_e32 v[106:107], v[240:241], v[216:217]
	v_add_f64 v[2:3], v[2:3], v[106:107]
	s_waitcnt vmcnt(9)
	v_mul_f64 v[106:107], v[94:95], v[220:221]
	s_waitcnt vmcnt(7)
	v_fmac_f64_e32 v[106:107], v[96:97], v[222:223]
	v_add_f64 v[2:3], v[2:3], v[106:107]
	s_waitcnt vmcnt(5) lgkmcnt(0)
	v_mul_f64 v[106:107], v[98:99], v[212:213]
	s_waitcnt vmcnt(4)
	v_fmac_f64_e32 v[106:107], v[100:101], v[218:219]
	v_add_f64 v[2:3], v[2:3], v[106:107]
	ds_read_b128 v[106:109], v1 offset:1968
	buffer_load_dword v228, off, s[0:3], 0 offset:1000
	buffer_load_dword v229, off, s[0:3], 0 offset:1004
	;; [unrolled: 1-line block ×4, first 2 shown]
	v_add_f64 v[4:5], v[4:5], v[246:247]
	v_add_f64 v[4:5], v[4:5], v[118:119]
	v_add_f64 v[254:255], v[4:5], v[242:243]
	v_add_f64 v[4:5], v[254:255], v[250:251]
	v_add_f64 v[4:5], v[4:5], v[252:253]
	v_add_f64 v[4:5], v[4:5], v[6:7]
	v_accvgpr_read_b32 v6, a190
	v_accvgpr_read_b32 v7, a191
	v_mul_f64 v[6:7], v[130:131], v[6:7]
	v_fma_f64 v[6:7], v[128:129], v[8:9], -v[6:7]
	v_add_f64 v[4:5], v[4:5], v[6:7]
	v_mul_f64 v[6:7], v[126:127], v[144:145]
	v_fma_f64 v[6:7], v[124:125], v[148:149], -v[6:7]
	v_add_f64 v[4:5], v[4:5], v[6:7]
	v_accvgpr_read_b32 v6, a194
	v_accvgpr_read_b32 v7, a195
	v_accvgpr_read_b32 v8, a196
	v_mul_f64 v[6:7], v[122:123], v[6:7]
	v_accvgpr_read_b32 v9, a197
	v_fma_f64 v[6:7], v[120:121], v[8:9], -v[6:7]
	v_add_f64 v[4:5], v[4:5], v[6:7]
	v_mul_f64 v[6:7], v[20:21], v[152:153]
	v_fma_f64 v[6:7], v[18:19], v[156:157], -v[6:7]
	v_add_f64 v[4:5], v[4:5], v[6:7]
	v_accvgpr_read_b32 v6, a198
	v_accvgpr_read_b32 v7, a199
	v_accvgpr_read_b32 v8, a200
	v_mul_f64 v[6:7], v[24:25], v[6:7]
	v_accvgpr_read_b32 v9, a201
	;; [unrolled: 10-line block ×3, first 2 shown]
	v_fma_f64 v[6:7], v[30:31], v[8:9], -v[6:7]
	v_add_f64 v[4:5], v[4:5], v[6:7]
	v_mul_f64 v[6:7], v[36:37], v[164:165]
	v_fma_f64 v[6:7], v[34:35], v[166:167], -v[6:7]
	v_add_f64 v[4:5], v[4:5], v[6:7]
	v_mul_f64 v[6:7], v[40:41], v[138:139]
	;; [unrolled: 3-line block ×8, first 2 shown]
	v_fma_f64 v[6:7], v[62:63], v[184:185], -v[6:7]
	v_add_f64 v[4:5], v[4:5], v[6:7]
	s_waitcnt vmcnt(6) lgkmcnt(0)
	v_mul_f64 v[110:111], v[106:107], v[224:225]
	v_mul_f64 v[6:7], v[68:69], v[188:189]
	s_waitcnt vmcnt(4)
	v_fmac_f64_e32 v[110:111], v[108:109], v[226:227]
	v_add_f64 v[2:3], v[2:3], v[110:111]
	ds_read_b128 v[110:113], v1 offset:1984
	buffer_load_dword v235, off, s[0:3], 0 offset:1020
	buffer_load_dword v234, off, s[0:3], 0 offset:1016
	;; [unrolled: 1-line block ×4, first 2 shown]
	v_fma_f64 v[6:7], v[66:67], v[192:193], -v[6:7]
	v_add_f64 v[4:5], v[4:5], v[6:7]
	v_mul_f64 v[6:7], v[72:73], v[180:181]
	v_fma_f64 v[6:7], v[70:71], v[190:191], -v[6:7]
	v_add_f64 v[4:5], v[4:5], v[6:7]
	v_mul_f64 v[6:7], v[76:77], v[194:195]
	s_waitcnt vmcnt(6) lgkmcnt(0)
	v_mul_f64 v[114:115], v[110:111], v[228:229]
	v_fma_f64 v[6:7], v[74:75], v[198:199], -v[6:7]
	s_waitcnt vmcnt(4)
	v_fmac_f64_e32 v[114:115], v[112:113], v[230:231]
	v_add_f64 v[114:115], v[2:3], v[114:115]
	ds_read_b128 v[0:3], v1 offset:2000
	buffer_load_dword v248, off, s[0:3], 0 offset:304
	buffer_load_dword v249, off, s[0:3], 0 offset:308
	;; [unrolled: 1-line block ×4, first 2 shown]
	v_add_f64 v[4:5], v[4:5], v[6:7]
	v_mul_f64 v[6:7], v[80:81], v[186:187]
	v_fma_f64 v[6:7], v[78:79], v[196:197], -v[6:7]
	v_add_f64 v[4:5], v[4:5], v[6:7]
	v_mul_f64 v[6:7], v[84:85], v[202:203]
	v_fma_f64 v[6:7], v[82:83], v[208:209], -v[6:7]
	;; [unrolled: 3-line block ×9, first 2 shown]
	v_add_f64 v[4:5], v[4:5], v[6:7]
	s_waitcnt vmcnt(6) lgkmcnt(0)
	v_mul_f64 v[232:233], v[0:1], v[234:235]
	s_waitcnt vmcnt(4)
	v_fmac_f64_e32 v[232:233], v[2:3], v[244:245]
	v_mul_f64 v[2:3], v[2:3], v[234:235]
	v_fma_f64 v[0:1], v[0:1], v[244:245], -v[2:3]
	v_add_f64 v[0:1], v[4:5], v[0:1]
	v_add_f64 v[232:233], v[114:115], v[232:233]
	s_waitcnt vmcnt(2)
	v_add_f64 v[0:1], v[248:249], -v[0:1]
	s_waitcnt vmcnt(0)
	v_add_f64 v[2:3], v[246:247], -v[232:233]
	buffer_store_dword v1, off, s[0:3], 0 offset:308
	buffer_store_dword v0, off, s[0:3], 0 offset:304
	buffer_store_dword v3, off, s[0:3], 0 offset:316
	buffer_store_dword v2, off, s[0:3], 0 offset:312
	v_accvgpr_read_b32 v0, a188
	v_cmp_lt_u32_e32 vcc, 17, v0
	s_and_saveexec_b64 s[4:5], vcc
	s_cbranch_execz .LBB126_369
; %bb.368:
	v_accvgpr_read_b32 v0, a171
	buffer_load_dword v2, v0, s[0:3], 0 offen
	buffer_load_dword v3, v0, s[0:3], 0 offen offset:4
	buffer_load_dword v4, v0, s[0:3], 0 offen offset:8
	;; [unrolled: 1-line block ×3, first 2 shown]
	v_mov_b32_e32 v0, 0
	v_accvgpr_read_b32 v1, a189
	buffer_store_dword v0, off, s[0:3], 0 offset:288
	buffer_store_dword v0, off, s[0:3], 0 offset:292
	;; [unrolled: 1-line block ×4, first 2 shown]
	s_waitcnt vmcnt(4)
	ds_write_b128 v1, v[2:5]
.LBB126_369:
	s_or_b64 exec, exec, s[4:5]
	s_waitcnt lgkmcnt(0)
	; wave barrier
	s_waitcnt lgkmcnt(0)
	buffer_load_dword v56, off, s[0:3], 0 offset:304
	buffer_load_dword v57, off, s[0:3], 0 offset:308
	;; [unrolled: 1-line block ×36, first 2 shown]
	v_mov_b32_e32 v1, 0
	buffer_load_dword v87, off, s[0:3], 0 offset:476
	buffer_load_dword v86, off, s[0:3], 0 offset:472
	;; [unrolled: 1-line block ×18, first 2 shown]
	ds_read_b128 v[110:113], v1 offset:1296
	ds_read_b128 v[114:117], v1 offset:1312
	;; [unrolled: 1-line block ×9, first 2 shown]
	v_accvgpr_read_b32 v0, a188
	v_cmp_lt_u32_e32 vcc, 16, v0
	s_waitcnt vmcnt(50) lgkmcnt(8)
	v_mul_f64 v[2:3], v[110:111], v[58:59]
	v_fmac_f64_e32 v[2:3], v[112:113], v[56:57]
	v_add_f64 v[2:3], v[2:3], 0
	s_waitcnt vmcnt(46) lgkmcnt(7)
	v_mul_f64 v[4:5], v[114:115], v[54:55]
	v_fmac_f64_e32 v[4:5], v[116:117], v[52:53]
	v_add_f64 v[2:3], v[2:3], v[4:5]
	buffer_load_dword v105, off, s[0:3], 0 offset:532
	buffer_load_dword v104, off, s[0:3], 0 offset:528
	;; [unrolled: 1-line block ×8, first 2 shown]
	s_waitcnt vmcnt(52) lgkmcnt(6)
	v_mul_f64 v[6:7], v[196:197], v[50:51]
	s_waitcnt vmcnt(50) lgkmcnt(4)
	v_mul_f64 v[10:11], v[204:205], v[60:61]
	s_waitcnt vmcnt(48)
	v_fmac_f64_e32 v[10:11], v[206:207], v[62:63]
	v_mul_f64 v[50:51], v[198:199], v[50:51]
	s_waitcnt vmcnt(46)
	v_mul_f64 v[8:9], v[200:201], v[64:65]
	v_mul_f64 v[54:55], v[116:117], v[54:55]
	s_waitcnt vmcnt(44) lgkmcnt(2)
	v_mul_f64 v[14:15], v[214:215], v[212:213]
	v_fma_f64 v[218:219], v[114:115], v[52:53], -v[54:55]
	s_waitcnt vmcnt(42)
	v_fmac_f64_e32 v[14:15], v[216:217], v[72:73]
	s_waitcnt vmcnt(40)
	v_mul_f64 v[12:13], v[208:209], v[76:77]
	v_mul_f64 v[54:55], v[210:211], v[76:77]
	s_waitcnt vmcnt(38) lgkmcnt(1)
	v_mul_f64 v[16:17], v[220:221], v[68:69]
	s_waitcnt vmcnt(36)
	v_fmac_f64_e32 v[6:7], v[198:199], v[82:83]
	v_add_f64 v[2:3], v[2:3], v[6:7]
	s_waitcnt vmcnt(34)
	v_fmac_f64_e32 v[8:9], v[202:203], v[80:81]
	v_add_f64 v[2:3], v[2:3], v[8:9]
	;; [unrolled: 3-line block ×3, first 2 shown]
	v_add_f64 v[2:3], v[2:3], v[12:13]
	v_add_f64 v[2:3], v[2:3], v[14:15]
	s_waitcnt vmcnt(30)
	v_fmac_f64_e32 v[16:17], v[222:223], v[70:71]
	v_add_f64 v[2:3], v[2:3], v[16:17]
	v_fma_f64 v[82:83], v[196:197], v[82:83], -v[50:51]
	v_mul_f64 v[50:51], v[202:203], v[64:65]
	s_waitcnt vmcnt(0)
	v_pk_mov_b32 v[14:15], v[4:5], v[4:5] op_sel:[0,1]
	buffer_load_dword v5, off, s[0:3], 0 offset:564
	buffer_load_dword v4, off, s[0:3], 0 offset:560
	v_accvgpr_write_b32 a191, v15
	v_accvgpr_write_b32 a190, v14
	s_waitcnt vmcnt(0)
	v_pk_mov_b32 v[18:19], v[4:5], v[4:5] op_sel:[0,1]
	buffer_load_dword v107, off, s[0:3], 0 offset:556
	buffer_load_dword v106, off, s[0:3], 0 offset:552
	buffer_load_dword v109, off, s[0:3], 0 offset:548
	buffer_load_dword v108, off, s[0:3], 0 offset:544
	buffer_load_dword v5, off, s[0:3], 0 offset:604
	buffer_load_dword v4, off, s[0:3], 0 offset:600
	v_accvgpr_write_b32 a193, v19
	v_accvgpr_write_b32 a192, v18
	s_waitcnt vmcnt(0)
	v_pk_mov_b32 v[22:23], v[4:5], v[4:5] op_sel:[0,1]
	buffer_load_dword v5, off, s[0:3], 0 offset:596
	buffer_load_dword v4, off, s[0:3], 0 offset:592
	v_accvgpr_write_b32 a195, v23
	v_accvgpr_write_b32 a194, v22
	s_waitcnt vmcnt(0)
	v_pk_mov_b32 v[24:25], v[4:5], v[4:5] op_sel:[0,1]
	buffer_load_dword v141, off, s[0:3], 0 offset:588
	buffer_load_dword v140, off, s[0:3], 0 offset:584
	buffer_load_dword v145, off, s[0:3], 0 offset:580
	buffer_load_dword v144, off, s[0:3], 0 offset:576
	buffer_load_dword v5, off, s[0:3], 0 offset:636
	buffer_load_dword v4, off, s[0:3], 0 offset:632
	v_accvgpr_write_b32 a197, v25
	v_accvgpr_write_b32 a196, v24
	;; [unrolled: 16-line block ×3, first 2 shown]
	s_waitcnt vmcnt(0)
	v_pk_mov_b32 v[38:39], v[4:5], v[4:5] op_sel:[0,1]
	buffer_load_dword v5, off, s[0:3], 0 offset:660
	buffer_load_dword v4, off, s[0:3], 0 offset:656
	;; [unrolled: 1-line block ×30, first 2 shown]
	ds_read_b128 v[228:231], v1 offset:1440
	ds_read_b128 v[232:235], v1 offset:1456
	;; [unrolled: 1-line block ×11, first 2 shown]
	s_waitcnt lgkmcnt(4)
	v_mul_f64 v[8:9], v[252:253], v[106:107]
	v_fmac_f64_e32 v[8:9], v[254:255], v[108:109]
	s_waitcnt lgkmcnt(3)
	v_mul_f64 v[12:13], v[132:133], v[14:15]
	v_fmac_f64_e32 v[12:13], v[134:135], v[18:19]
	;; [unrolled: 3-line block ×4, first 2 shown]
	v_accvgpr_write_b32 a203, v39
	v_accvgpr_write_b32 a202, v38
	s_waitcnt vmcnt(28)
	v_pk_mov_b32 v[40:41], v[4:5], v[4:5] op_sel:[0,1]
	v_mul_f64 v[4:5], v[224:225], v[66:67]
	v_fmac_f64_e32 v[4:5], v[226:227], v[84:85]
	v_add_f64 v[2:3], v[2:3], v[4:5]
	v_mul_f64 v[4:5], v[228:229], v[90:91]
	v_fmac_f64_e32 v[4:5], v[230:231], v[92:93]
	v_add_f64 v[2:3], v[2:3], v[4:5]
	;; [unrolled: 3-line block ×7, first 2 shown]
	v_add_f64 v[10:11], v[6:7], v[8:9]
	v_add_f64 v[14:15], v[10:11], v[12:13]
	;; [unrolled: 1-line block ×4, first 2 shown]
	ds_read_b128 v[18:21], v1 offset:1616
	s_waitcnt lgkmcnt(1)
	v_mul_f64 v[24:25], v[120:121], v[148:149]
	v_fmac_f64_e32 v[24:25], v[122:123], v[152:153]
	v_add_f64 v[26:27], v[22:23], v[24:25]
	ds_read_b128 v[22:25], v1 offset:1632
	s_waitcnt lgkmcnt(1)
	v_mul_f64 v[28:29], v[18:19], v[30:31]
	v_fmac_f64_e32 v[28:29], v[20:21], v[32:33]
	v_add_f64 v[30:31], v[26:27], v[28:29]
	ds_read_b128 v[26:29], v1 offset:1648
	s_waitcnt vmcnt(26) lgkmcnt(1)
	v_mul_f64 v[32:33], v[22:23], v[156:157]
	s_waitcnt vmcnt(24)
	v_fmac_f64_e32 v[32:33], v[24:25], v[158:159]
	v_add_f64 v[34:35], v[30:31], v[32:33]
	ds_read_b128 v[30:33], v1 offset:1664
	s_waitcnt lgkmcnt(1)
	v_mul_f64 v[36:37], v[26:27], v[38:39]
	v_fmac_f64_e32 v[36:37], v[28:29], v[40:41]
	v_accvgpr_write_b32 a205, v41
	v_add_f64 v[38:39], v[34:35], v[36:37]
	ds_read_b128 v[34:37], v1 offset:1680
	v_accvgpr_write_b32 a204, v40
	s_waitcnt vmcnt(18) lgkmcnt(1)
	v_mul_f64 v[40:41], v[30:31], v[160:161]
	s_waitcnt vmcnt(16)
	v_fmac_f64_e32 v[40:41], v[32:33], v[162:163]
	v_add_f64 v[42:43], v[38:39], v[40:41]
	ds_read_b128 v[38:41], v1 offset:1696
	s_waitcnt lgkmcnt(1)
	v_mul_f64 v[44:45], v[34:35], v[136:137]
	v_fmac_f64_e32 v[44:45], v[36:37], v[138:139]
	v_add_f64 v[46:47], v[42:43], v[44:45]
	ds_read_b128 v[42:45], v1 offset:1712
	s_waitcnt vmcnt(10) lgkmcnt(1)
	v_mul_f64 v[48:49], v[38:39], v[164:165]
	s_waitcnt vmcnt(8)
	v_fmac_f64_e32 v[48:49], v[40:41], v[166:167]
	v_add_f64 v[174:175], v[46:47], v[48:49]
	ds_read_b128 v[46:49], v1 offset:1728
	buffer_load_dword v173, off, s[0:3], 0 offset:780
	buffer_load_dword v172, off, s[0:3], 0 offset:776
	;; [unrolled: 1-line block ×4, first 2 shown]
	s_waitcnt lgkmcnt(1)
	v_mul_f64 v[178:179], v[42:43], v[142:143]
	v_fmac_f64_e32 v[178:179], v[44:45], v[146:147]
	v_add_f64 v[2:3], v[174:175], v[178:179]
	buffer_load_dword v179, off, s[0:3], 0 offset:796
	buffer_load_dword v178, off, s[0:3], 0 offset:792
	;; [unrolled: 1-line block ×24, first 2 shown]
	v_mul_f64 v[8:9], v[206:207], v[60:61]
	v_fma_f64 v[10:11], v[200:201], v[80:81], -v[50:51]
	v_fma_f64 v[8:9], v[204:205], v[62:63], -v[8:9]
	buffer_load_dword v201, off, s[0:3], 0 offset:892
	buffer_load_dword v200, off, s[0:3], 0 offset:888
	;; [unrolled: 1-line block ×8, first 2 shown]
	ds_read_b128 v[50:53], v1 offset:1744
	v_mul_f64 v[12:13], v[216:217], v[212:213]
	buffer_load_dword v211, off, s[0:3], 0 offset:924
	buffer_load_dword v210, off, s[0:3], 0 offset:920
	;; [unrolled: 1-line block ×4, first 2 shown]
	v_mul_f64 v[4:5], v[112:113], v[58:59]
	v_fma_f64 v[6:7], v[208:209], v[78:79], -v[54:55]
	v_fma_f64 v[12:13], v[214:215], v[72:73], -v[12:13]
	buffer_load_dword v208, off, s[0:3], 0 offset:952
	buffer_load_dword v217, off, s[0:3], 0 offset:940
	;; [unrolled: 1-line block ×8, first 2 shown]
	v_fma_f64 v[14:15], v[110:111], v[56:57], -v[4:5]
	v_mul_f64 v[56:57], v[222:223], v[68:69]
	v_fma_f64 v[4:5], v[220:221], v[70:71], -v[56:57]
	buffer_load_dword v221, off, s[0:3], 0 offset:972
	buffer_load_dword v220, off, s[0:3], 0 offset:968
	;; [unrolled: 1-line block ×4, first 2 shown]
	s_waitcnt vmcnt(54) lgkmcnt(1)
	v_mul_f64 v[54:55], v[46:47], v[168:169]
	s_waitcnt vmcnt(52)
	v_fmac_f64_e32 v[54:55], v[48:49], v[170:171]
	v_add_f64 v[2:3], v[2:3], v[54:55]
	ds_read_b128 v[54:57], v1 offset:1760
	ds_read_b128 v[58:61], v1 offset:1776
	s_waitcnt lgkmcnt(2)
	v_mul_f64 v[16:17], v[50:51], v[150:151]
	v_fmac_f64_e32 v[16:17], v[52:53], v[154:155]
	v_add_f64 v[2:3], v[2:3], v[16:17]
	v_mul_f64 v[16:17], v[226:227], v[66:67]
	v_fma_f64 v[16:17], v[224:225], v[84:85], -v[16:17]
	v_mul_f64 v[70:71], v[234:235], v[86:87]
	v_fma_f64 v[232:233], v[232:233], v[88:89], -v[70:71]
	ds_read_b128 v[70:73], v1 offset:1824
	v_mul_f64 v[80:81], v[238:239], v[100:101]
	v_fma_f64 v[224:225], v[236:237], v[102:103], -v[80:81]
	ds_read_b128 v[236:239], v1 offset:1840
	v_mul_f64 v[86:87], v[242:243], v[96:97]
	v_fma_f64 v[226:227], v[240:241], v[98:99], -v[86:87]
	v_mul_f64 v[86:87], v[246:247], v[118:119]
	v_fma_f64 v[246:247], v[244:245], v[74:75], -v[86:87]
	ds_read_b128 v[86:89], v1 offset:1888
	v_mul_f64 v[98:99], v[254:255], v[106:107]
	v_fma_f64 v[254:255], v[252:253], v[108:109], -v[98:99]
	v_add_f64 v[14:15], v[14:15], 0
	v_add_f64 v[14:15], v[14:15], v[218:219]
	v_add_f64 v[14:15], v[14:15], v[82:83]
	v_add_f64 v[10:11], v[14:15], v[10:11]
	v_add_f64 v[8:9], v[10:11], v[8:9]
	v_add_f64 v[6:7], v[8:9], v[6:7]
	v_add_f64 v[6:7], v[6:7], v[12:13]
	v_add_f64 v[4:5], v[6:7], v[4:5]
	v_add_f64 v[4:5], v[4:5], v[16:17]
	v_accvgpr_read_b32 v6, a190
	v_accvgpr_read_b32 v7, a191
	;; [unrolled: 1-line block ×3, first 2 shown]
	v_mul_f64 v[6:7], v[134:135], v[6:7]
	v_accvgpr_read_b32 v9, a193
	v_fma_f64 v[6:7], v[132:133], v[8:9], -v[6:7]
	v_accvgpr_read_b32 v8, a196
	v_accvgpr_read_b32 v9, a197
	ds_read_b128 v[240:243], v1 offset:1872
	ds_read_b128 v[98:101], v1 offset:1936
	s_waitcnt vmcnt(50) lgkmcnt(6)
	v_mul_f64 v[62:63], v[54:55], v[172:173]
	s_waitcnt vmcnt(48)
	v_fmac_f64_e32 v[62:63], v[56:57], v[176:177]
	v_add_f64 v[2:3], v[2:3], v[62:63]
	v_mul_f64 v[62:63], v[230:231], v[90:91]
	v_fma_f64 v[84:85], v[228:229], v[92:93], -v[62:63]
	ds_read_b128 v[62:65], v1 offset:1792
	s_waitcnt vmcnt(46) lgkmcnt(6)
	v_mul_f64 v[66:67], v[58:59], v[178:179]
	s_waitcnt vmcnt(44)
	v_fmac_f64_e32 v[66:67], v[60:61], v[180:181]
	v_add_f64 v[2:3], v[2:3], v[66:67]
	ds_read_b128 v[66:69], v1 offset:1808
	s_waitcnt vmcnt(41) lgkmcnt(1)
	v_mul_f64 v[78:79], v[62:63], v[184:185]
	s_waitcnt vmcnt(39)
	v_fmac_f64_e32 v[78:79], v[64:65], v[188:189]
	v_add_f64 v[2:3], v[2:3], v[78:79]
	s_waitcnt vmcnt(22)
	v_mul_f64 v[74:75], v[240:241], v[200:201]
	s_waitcnt lgkmcnt(0)
	v_mul_f64 v[78:79], v[66:67], v[174:175]
	v_fmac_f64_e32 v[78:79], v[68:69], v[186:187]
	v_add_f64 v[2:3], v[2:3], v[78:79]
	v_mul_f64 v[78:79], v[70:71], v[192:193]
	v_fmac_f64_e32 v[78:79], v[72:73], v[194:195]
	v_add_f64 v[2:3], v[2:3], v[78:79]
	;; [unrolled: 3-line block ×3, first 2 shown]
	ds_read_b128 v[78:81], v1 offset:1856
	s_waitcnt vmcnt(20)
	v_fmac_f64_e32 v[74:75], v[242:243], v[204:205]
	v_add_f64 v[4:5], v[4:5], v[84:85]
	v_add_f64 v[4:5], v[4:5], v[232:233]
	;; [unrolled: 1-line block ×3, first 2 shown]
	s_waitcnt lgkmcnt(0)
	v_mul_f64 v[90:91], v[78:79], v[196:197]
	v_fmac_f64_e32 v[90:91], v[80:81], v[198:199]
	v_add_f64 v[2:3], v[2:3], v[90:91]
	v_add_f64 v[2:3], v[2:3], v[74:75]
	ds_read_b128 v[90:93], v1 offset:1904
	s_waitcnt vmcnt(18)
	v_mul_f64 v[74:75], v[86:87], v[202:203]
	s_waitcnt vmcnt(16)
	v_fmac_f64_e32 v[74:75], v[88:89], v[206:207]
	v_add_f64 v[2:3], v[2:3], v[74:75]
	v_mul_f64 v[74:75], v[250:251], v[94:95]
	ds_read_b128 v[94:97], v1 offset:1920
	v_fma_f64 v[250:251], v[248:249], v[104:105], -v[74:75]
	s_waitcnt vmcnt(14) lgkmcnt(1)
	v_mul_f64 v[74:75], v[90:91], v[210:211]
	s_waitcnt vmcnt(12)
	v_fmac_f64_e32 v[74:75], v[92:93], v[212:213]
	ds_read_b128 v[102:105], v1 offset:1952
	v_add_f64 v[2:3], v[2:3], v[74:75]
	s_waitcnt vmcnt(9) lgkmcnt(1)
	v_mul_f64 v[74:75], v[94:95], v[216:217]
	s_waitcnt vmcnt(7)
	v_fmac_f64_e32 v[74:75], v[96:97], v[76:77]
	v_add_f64 v[2:3], v[2:3], v[74:75]
	s_waitcnt vmcnt(5)
	v_mul_f64 v[74:75], v[98:99], v[208:209]
	s_waitcnt vmcnt(4)
	v_fmac_f64_e32 v[74:75], v[100:101], v[214:215]
	v_add_f64 v[2:3], v[2:3], v[74:75]
	s_waitcnt vmcnt(2) lgkmcnt(0)
	v_mul_f64 v[74:75], v[102:103], v[220:221]
	s_waitcnt vmcnt(0)
	v_fmac_f64_e32 v[74:75], v[104:105], v[222:223]
	v_add_f64 v[2:3], v[2:3], v[74:75]
	buffer_load_dword v74, off, s[0:3], 0 offset:984
	buffer_load_dword v75, off, s[0:3], 0 offset:988
	;; [unrolled: 1-line block ×4, first 2 shown]
	ds_read_b128 v[106:109], v1 offset:1968
	buffer_load_dword v229, off, s[0:3], 0 offset:1004
	buffer_load_dword v228, off, s[0:3], 0 offset:1000
	buffer_load_dword v231, off, s[0:3], 0 offset:996
	buffer_load_dword v230, off, s[0:3], 0 offset:992
	v_add_f64 v[4:5], v[4:5], v[226:227]
	v_add_f64 v[4:5], v[4:5], v[246:247]
	;; [unrolled: 1-line block ×5, first 2 shown]
	v_mul_f64 v[6:7], v[130:131], v[140:141]
	v_fma_f64 v[6:7], v[128:129], v[144:145], -v[6:7]
	v_add_f64 v[4:5], v[4:5], v[6:7]
	v_accvgpr_read_b32 v6, a194
	v_accvgpr_read_b32 v7, a195
	v_mul_f64 v[6:7], v[126:127], v[6:7]
	v_fma_f64 v[6:7], v[124:125], v[8:9], -v[6:7]
	v_add_f64 v[4:5], v[4:5], v[6:7]
	v_mul_f64 v[6:7], v[122:123], v[148:149]
	v_fma_f64 v[6:7], v[120:121], v[152:153], -v[6:7]
	v_add_f64 v[4:5], v[4:5], v[6:7]
	v_accvgpr_read_b32 v6, a198
	v_accvgpr_read_b32 v7, a199
	v_accvgpr_read_b32 v8, a200
	v_mul_f64 v[6:7], v[20:21], v[6:7]
	v_accvgpr_read_b32 v9, a201
	v_fma_f64 v[6:7], v[18:19], v[8:9], -v[6:7]
	v_add_f64 v[4:5], v[4:5], v[6:7]
	v_mul_f64 v[6:7], v[24:25], v[156:157]
	v_fma_f64 v[6:7], v[22:23], v[158:159], -v[6:7]
	v_add_f64 v[4:5], v[4:5], v[6:7]
	v_accvgpr_read_b32 v6, a202
	v_accvgpr_read_b32 v7, a203
	;; [unrolled: 1-line block ×3, first 2 shown]
	v_mul_f64 v[6:7], v[28:29], v[6:7]
	v_accvgpr_read_b32 v9, a205
	v_fma_f64 v[6:7], v[26:27], v[8:9], -v[6:7]
	v_add_f64 v[4:5], v[4:5], v[6:7]
	v_mul_f64 v[6:7], v[32:33], v[160:161]
	v_fma_f64 v[6:7], v[30:31], v[162:163], -v[6:7]
	v_add_f64 v[4:5], v[4:5], v[6:7]
	v_mul_f64 v[6:7], v[36:37], v[136:137]
	;; [unrolled: 3-line block ×14, first 2 shown]
	v_fma_f64 v[6:7], v[240:241], v[204:205], -v[6:7]
	v_add_f64 v[4:5], v[4:5], v[6:7]
	s_waitcnt vmcnt(6) lgkmcnt(0)
	v_mul_f64 v[110:111], v[106:107], v[74:75]
	v_mul_f64 v[6:7], v[88:89], v[202:203]
	s_waitcnt vmcnt(4)
	v_fmac_f64_e32 v[110:111], v[108:109], v[118:119]
	v_add_f64 v[2:3], v[2:3], v[110:111]
	ds_read_b128 v[110:113], v1 offset:1984
	buffer_load_dword v234, off, s[0:3], 0 offset:1016
	buffer_load_dword v235, off, s[0:3], 0 offset:1020
	;; [unrolled: 1-line block ×4, first 2 shown]
	v_fma_f64 v[6:7], v[86:87], v[206:207], -v[6:7]
	v_add_f64 v[4:5], v[4:5], v[6:7]
	v_mul_f64 v[6:7], v[92:93], v[210:211]
	s_waitcnt vmcnt(6) lgkmcnt(0)
	v_mul_f64 v[114:115], v[110:111], v[228:229]
	s_waitcnt vmcnt(4)
	v_fmac_f64_e32 v[114:115], v[112:113], v[230:231]
	v_add_f64 v[2:3], v[2:3], v[114:115]
	ds_read_b128 v[114:117], v1 offset:2000
	v_fma_f64 v[6:7], v[90:91], v[212:213], -v[6:7]
	v_add_f64 v[4:5], v[4:5], v[6:7]
	v_mul_f64 v[6:7], v[96:97], v[216:217]
	v_fma_f64 v[6:7], v[94:95], v[76:77], -v[6:7]
	v_add_f64 v[4:5], v[4:5], v[6:7]
	v_mul_f64 v[6:7], v[100:101], v[208:209]
	;; [unrolled: 3-line block ×5, first 2 shown]
	v_fma_f64 v[6:7], v[110:111], v[230:231], -v[6:7]
	v_add_f64 v[4:5], v[4:5], v[6:7]
	s_waitcnt vmcnt(2) lgkmcnt(0)
	v_mul_f64 v[248:249], v[114:115], v[234:235]
	v_mul_f64 v[6:7], v[116:117], v[234:235]
	s_waitcnt vmcnt(0)
	v_fmac_f64_e32 v[248:249], v[116:117], v[244:245]
	v_add_f64 v[2:3], v[2:3], v[248:249]
	buffer_load_dword v248, off, s[0:3], 0 offset:288
	buffer_load_dword v249, off, s[0:3], 0 offset:292
	;; [unrolled: 1-line block ×4, first 2 shown]
	v_fma_f64 v[6:7], v[114:115], v[244:245], -v[6:7]
	v_add_f64 v[4:5], v[4:5], v[6:7]
	s_waitcnt vmcnt(2)
	v_add_f64 v[4:5], v[248:249], -v[4:5]
	s_waitcnt vmcnt(0)
	v_add_f64 v[2:3], v[246:247], -v[2:3]
	buffer_store_dword v5, off, s[0:3], 0 offset:292
	buffer_store_dword v4, off, s[0:3], 0 offset:288
	;; [unrolled: 1-line block ×4, first 2 shown]
	s_and_saveexec_b64 s[4:5], vcc
	s_cbranch_execz .LBB126_371
; %bb.370:
	v_accvgpr_read_b32 v0, a172
	buffer_load_dword v2, v0, s[0:3], 0 offen
	buffer_load_dword v3, v0, s[0:3], 0 offen offset:4
	buffer_load_dword v4, v0, s[0:3], 0 offen offset:8
	;; [unrolled: 1-line block ×3, first 2 shown]
	v_accvgpr_read_b32 v0, a189
	buffer_store_dword v1, off, s[0:3], 0 offset:272
	buffer_store_dword v1, off, s[0:3], 0 offset:276
	;; [unrolled: 1-line block ×4, first 2 shown]
	s_waitcnt vmcnt(4)
	ds_write_b128 v0, v[2:5]
.LBB126_371:
	s_or_b64 exec, exec, s[4:5]
	s_waitcnt lgkmcnt(0)
	; wave barrier
	s_waitcnt lgkmcnt(0)
	buffer_load_dword v60, off, s[0:3], 0 offset:288
	buffer_load_dword v61, off, s[0:3], 0 offset:292
	;; [unrolled: 1-line block ×42, first 2 shown]
	ds_read_b128 v[114:117], v1 offset:1280
	ds_read_b128 v[182:185], v1 offset:1296
	;; [unrolled: 1-line block ×10, first 2 shown]
	buffer_load_dword v119, off, s[0:3], 0 offset:436
	buffer_load_dword v118, off, s[0:3], 0 offset:432
	ds_read_b128 v[62:65], v1 offset:1440
	buffer_load_dword v101, off, s[0:3], 0 offset:492
	buffer_load_dword v100, off, s[0:3], 0 offset:488
	;; [unrolled: 1-line block ×6, first 2 shown]
	s_waitcnt vmcnt(46) lgkmcnt(10)
	v_mul_f64 v[2:3], v[114:115], v[66:67]
	v_fmac_f64_e32 v[2:3], v[116:117], v[60:61]
	v_add_f64 v[2:3], v[2:3], 0
	s_waitcnt vmcnt(42) lgkmcnt(9)
	v_mul_f64 v[4:5], v[182:183], v[58:59]
	v_fmac_f64_e32 v[4:5], v[184:185], v[50:51]
	v_add_f64 v[2:3], v[2:3], v[4:5]
	buffer_load_dword v249, off, s[0:3], 0 offset:468
	buffer_load_dword v248, off, s[0:3], 0 offset:464
	;; [unrolled: 1-line block ×20, first 2 shown]
	s_waitcnt vmcnt(60) lgkmcnt(8)
	v_mul_f64 v[6:7], v[186:187], v[52:53]
	s_waitcnt vmcnt(58) lgkmcnt(6)
	v_mul_f64 v[10:11], v[200:201], v[68:69]
	s_waitcnt vmcnt(56)
	v_fmac_f64_e32 v[10:11], v[202:203], v[70:71]
	v_mul_f64 v[58:59], v[184:185], v[58:59]
	s_waitcnt vmcnt(54)
	v_mul_f64 v[8:9], v[194:195], v[72:73]
	v_fma_f64 v[218:219], v[182:183], v[50:51], -v[58:59]
	s_waitcnt vmcnt(52) lgkmcnt(4)
	v_mul_f64 v[14:15], v[208:209], v[74:75]
	v_mul_f64 v[50:51], v[188:189], v[52:53]
	s_waitcnt vmcnt(50)
	v_fmac_f64_e32 v[14:15], v[210:211], v[76:77]
	s_waitcnt vmcnt(48)
	v_mul_f64 v[12:13], v[204:205], v[78:79]
	s_waitcnt vmcnt(46) lgkmcnt(2)
	v_mul_f64 v[18:19], v[220:221], v[82:83]
	s_waitcnt vmcnt(43)
	v_mul_f64 v[16:17], v[212:213], v[216:217]
	s_waitcnt vmcnt(41) lgkmcnt(1)
	v_mul_f64 v[20:21], v[54:55], v[80:81]
	s_waitcnt vmcnt(39)
	v_fmac_f64_e32 v[6:7], v[188:189], v[96:97]
	v_add_f64 v[2:3], v[2:3], v[6:7]
	s_waitcnt vmcnt(37)
	v_fmac_f64_e32 v[8:9], v[196:197], v[92:93]
	v_add_f64 v[2:3], v[2:3], v[8:9]
	;; [unrolled: 3-line block ×3, first 2 shown]
	v_add_f64 v[2:3], v[2:3], v[12:13]
	s_waitcnt vmcnt(33)
	v_fmac_f64_e32 v[16:17], v[214:215], v[88:89]
	v_add_f64 v[2:3], v[2:3], v[14:15]
	s_waitcnt vmcnt(32)
	v_fmac_f64_e32 v[18:19], v[222:223], v[84:85]
	v_add_f64 v[2:3], v[2:3], v[16:17]
	v_add_f64 v[2:3], v[2:3], v[18:19]
	v_fma_f64 v[96:97], v[186:187], v[96:97], -v[50:51]
	s_waitcnt vmcnt(26)
	v_fmac_f64_e32 v[20:21], v[56:57], v[118:119]
	v_add_f64 v[2:3], v[2:3], v[20:21]
	v_mul_f64 v[50:51], v[196:197], v[72:73]
	v_mul_f64 v[56:57], v[56:57], v[80:81]
	v_fma_f64 v[118:119], v[54:55], v[118:119], -v[56:57]
	s_waitcnt vmcnt(0)
	v_pk_mov_b32 v[18:19], v[4:5], v[4:5] op_sel:[0,1]
	buffer_load_dword v5, off, s[0:3], 0 offset:580
	buffer_load_dword v4, off, s[0:3], 0 offset:576
	v_accvgpr_write_b32 a191, v19
	v_accvgpr_write_b32 a190, v18
	s_waitcnt vmcnt(0)
	v_pk_mov_b32 v[22:23], v[4:5], v[4:5] op_sel:[0,1]
	buffer_load_dword v137, off, s[0:3], 0 offset:572
	buffer_load_dword v136, off, s[0:3], 0 offset:568
	buffer_load_dword v141, off, s[0:3], 0 offset:564
	buffer_load_dword v140, off, s[0:3], 0 offset:560
	buffer_load_dword v5, off, s[0:3], 0 offset:620
	buffer_load_dword v4, off, s[0:3], 0 offset:616
	v_accvgpr_write_b32 a193, v23
	v_accvgpr_write_b32 a192, v22
	s_waitcnt vmcnt(0)
	v_pk_mov_b32 v[26:27], v[4:5], v[4:5] op_sel:[0,1]
	buffer_load_dword v5, off, s[0:3], 0 offset:612
	buffer_load_dword v4, off, s[0:3], 0 offset:608
	v_accvgpr_write_b32 a195, v27
	v_accvgpr_write_b32 a194, v26
	s_waitcnt vmcnt(0)
	v_pk_mov_b32 v[28:29], v[4:5], v[4:5] op_sel:[0,1]
	buffer_load_dword v145, off, s[0:3], 0 offset:604
	buffer_load_dword v144, off, s[0:3], 0 offset:600
	buffer_load_dword v149, off, s[0:3], 0 offset:596
	buffer_load_dword v148, off, s[0:3], 0 offset:592
	buffer_load_dword v5, off, s[0:3], 0 offset:652
	buffer_load_dword v4, off, s[0:3], 0 offset:648
	v_accvgpr_write_b32 a197, v29
	v_accvgpr_write_b32 a196, v28
	;; [unrolled: 16-line block ×3, first 2 shown]
	s_waitcnt vmcnt(0)
	v_pk_mov_b32 v[42:43], v[4:5], v[4:5] op_sel:[0,1]
	buffer_load_dword v5, off, s[0:3], 0 offset:676
	buffer_load_dword v4, off, s[0:3], 0 offset:672
	;; [unrolled: 1-line block ×30, first 2 shown]
	ds_read_b128 v[224:227], v1 offset:1456
	ds_read_b128 v[228:231], v1 offset:1472
	;; [unrolled: 1-line block ×10, first 2 shown]
	s_waitcnt lgkmcnt(4)
	v_mul_f64 v[8:9], v[244:245], v[106:107]
	v_fmac_f64_e32 v[8:9], v[246:247], v[108:109]
	s_waitcnt lgkmcnt(3)
	v_mul_f64 v[12:13], v[132:133], v[136:137]
	v_fmac_f64_e32 v[12:13], v[134:135], v[140:141]
	;; [unrolled: 3-line block ×5, first 2 shown]
	v_accvgpr_write_b32 a203, v43
	v_accvgpr_write_b32 a202, v42
	s_waitcnt vmcnt(28)
	v_pk_mov_b32 v[44:45], v[4:5], v[4:5] op_sel:[0,1]
	v_mul_f64 v[4:5], v[62:63], v[94:95]
	v_fmac_f64_e32 v[4:5], v[64:65], v[98:99]
	v_add_f64 v[2:3], v[2:3], v[4:5]
	v_mul_f64 v[4:5], v[224:225], v[104:105]
	v_fmac_f64_e32 v[4:5], v[226:227], v[248:249]
	v_add_f64 v[2:3], v[2:3], v[4:5]
	;; [unrolled: 3-line block ×6, first 2 shown]
	v_add_f64 v[10:11], v[6:7], v[8:9]
	v_add_f64 v[14:15], v[10:11], v[12:13]
	;; [unrolled: 1-line block ×4, first 2 shown]
	ds_read_b128 v[18:21], v1 offset:1616
	v_add_f64 v[26:27], v[22:23], v[24:25]
	ds_read_b128 v[22:25], v1 offset:1632
	v_accvgpr_write_b32 a205, v45
	v_accvgpr_write_b32 a204, v44
	s_waitcnt lgkmcnt(1)
	v_mul_f64 v[28:29], v[18:19], v[152:153]
	v_fmac_f64_e32 v[28:29], v[20:21], v[156:157]
	v_add_f64 v[30:31], v[26:27], v[28:29]
	ds_read_b128 v[26:29], v1 offset:1648
	s_waitcnt lgkmcnt(1)
	v_mul_f64 v[32:33], v[22:23], v[34:35]
	v_fmac_f64_e32 v[32:33], v[24:25], v[36:37]
	v_add_f64 v[34:35], v[30:31], v[32:33]
	ds_read_b128 v[30:33], v1 offset:1664
	s_waitcnt vmcnt(26) lgkmcnt(1)
	v_mul_f64 v[36:37], v[26:27], v[160:161]
	s_waitcnt vmcnt(24)
	v_fmac_f64_e32 v[36:37], v[28:29], v[162:163]
	v_add_f64 v[38:39], v[34:35], v[36:37]
	ds_read_b128 v[34:37], v1 offset:1680
	s_waitcnt lgkmcnt(1)
	v_mul_f64 v[40:41], v[30:31], v[42:43]
	v_fmac_f64_e32 v[40:41], v[32:33], v[44:45]
	v_add_f64 v[46:47], v[38:39], v[40:41]
	ds_read_b128 v[38:41], v1 offset:1696
	ds_read_b128 v[42:45], v1 offset:1712
	s_waitcnt vmcnt(18) lgkmcnt(2)
	v_mul_f64 v[48:49], v[34:35], v[164:165]
	s_waitcnt vmcnt(16)
	v_fmac_f64_e32 v[48:49], v[36:37], v[166:167]
	v_add_f64 v[46:47], v[46:47], v[48:49]
	s_waitcnt lgkmcnt(1)
	v_mul_f64 v[48:49], v[38:39], v[138:139]
	v_fmac_f64_e32 v[48:49], v[40:41], v[142:143]
	v_add_f64 v[46:47], v[46:47], v[48:49]
	s_waitcnt vmcnt(10) lgkmcnt(0)
	v_mul_f64 v[48:49], v[42:43], v[168:169]
	s_waitcnt vmcnt(8)
	v_fmac_f64_e32 v[48:49], v[44:45], v[170:171]
	v_add_f64 v[2:3], v[46:47], v[48:49]
	ds_read_b128 v[46:49], v1 offset:1728
	buffer_load_dword v177, off, s[0:3], 0 offset:796
	buffer_load_dword v176, off, s[0:3], 0 offset:792
	;; [unrolled: 1-line block ×16, first 2 shown]
	v_mul_f64 v[4:5], v[116:117], v[66:67]
	v_fma_f64 v[14:15], v[114:115], v[60:61], -v[4:5]
	v_fma_f64 v[114:115], v[194:195], v[92:93], -v[50:51]
	buffer_load_dword v184, off, s[0:3], 0 offset:872
	buffer_load_dword v197, off, s[0:3], 0 offset:860
	;; [unrolled: 1-line block ×8, first 2 shown]
	v_mul_f64 v[50:51], v[202:203], v[68:69]
	v_fma_f64 v[116:117], v[200:201], v[70:71], -v[50:51]
	buffer_load_dword v201, off, s[0:3], 0 offset:892
	buffer_load_dword v200, off, s[0:3], 0 offset:888
	;; [unrolled: 1-line block ×4, first 2 shown]
	v_mul_f64 v[8:9], v[210:211], v[74:75]
	v_mul_f64 v[50:51], v[206:207], v[78:79]
	v_fma_f64 v[8:9], v[208:209], v[76:77], -v[8:9]
	buffer_load_dword v206, off, s[0:3], 0 offset:904
	buffer_load_dword v208, off, s[0:3], 0 offset:896
	;; [unrolled: 1-line block ×4, first 2 shown]
	v_fma_f64 v[10:11], v[204:205], v[90:91], -v[50:51]
	v_mul_f64 v[50:51], v[214:215], v[216:217]
	v_fma_f64 v[6:7], v[212:213], v[88:89], -v[50:51]
	buffer_load_dword v205, off, s[0:3], 0 offset:940
	buffer_load_dword v211, off, s[0:3], 0 offset:924
	;; [unrolled: 1-line block ×12, first 2 shown]
	v_mul_f64 v[12:13], v[222:223], v[82:83]
	ds_read_b128 v[50:53], v1 offset:1744
	v_fma_f64 v[12:13], v[220:221], v[84:85], -v[12:13]
	buffer_load_dword v220, off, s[0:3], 0 offset:968
	buffer_load_dword v222, off, s[0:3], 0 offset:960
	;; [unrolled: 1-line block ×4, first 2 shown]
	ds_read_b128 v[54:57], v1 offset:1760
	s_waitcnt lgkmcnt(2)
	v_mul_f64 v[58:59], v[46:47], v[146:147]
	v_fmac_f64_e32 v[58:59], v[48:49], v[150:151]
	v_add_f64 v[2:3], v[2:3], v[58:59]
	s_waitcnt vmcnt(50) lgkmcnt(1)
	v_mul_f64 v[58:59], v[50:51], v[172:173]
	s_waitcnt vmcnt(48)
	v_fmac_f64_e32 v[58:59], v[52:53], v[174:175]
	v_mul_f64 v[64:65], v[64:65], v[94:95]
	v_add_f64 v[2:3], v[2:3], v[58:59]
	v_fma_f64 v[94:95], v[62:63], v[98:99], -v[64:65]
	ds_read_b128 v[62:65], v1 offset:1792
	s_waitcnt lgkmcnt(1)
	v_mul_f64 v[58:59], v[54:55], v[154:155]
	v_fmac_f64_e32 v[58:59], v[56:57], v[158:159]
	v_add_f64 v[2:3], v[2:3], v[58:59]
	ds_read_b128 v[58:61], v1 offset:1776
	v_mul_f64 v[74:75], v[230:231], v[100:101]
	ds_read_b128 v[98:101], v1 offset:1936
	v_add_f64 v[14:15], v[14:15], 0
	v_add_f64 v[14:15], v[14:15], v[218:219]
	;; [unrolled: 1-line block ×11, first 2 shown]
	v_accvgpr_read_b32 v8, a192
	v_accvgpr_read_b32 v9, a193
	s_waitcnt vmcnt(46) lgkmcnt(1)
	v_mul_f64 v[66:67], v[58:59], v[176:177]
	s_waitcnt vmcnt(44)
	v_fmac_f64_e32 v[66:67], v[60:61], v[180:181]
	v_add_f64 v[2:3], v[2:3], v[66:67]
	v_mul_f64 v[66:67], v[226:227], v[104:105]
	v_fma_f64 v[248:249], v[224:225], v[248:249], -v[66:67]
	ds_read_b128 v[66:69], v1 offset:1808
	s_waitcnt vmcnt(41)
	v_mul_f64 v[70:71], v[62:63], v[178:179]
	s_waitcnt vmcnt(40)
	v_fmac_f64_e32 v[70:71], v[64:65], v[182:183]
	v_add_f64 v[2:3], v[2:3], v[70:71]
	ds_read_b128 v[70:73], v1 offset:1824
	s_waitcnt vmcnt(38) lgkmcnt(1)
	v_mul_f64 v[78:79], v[66:67], v[186:187]
	v_fma_f64 v[224:225], v[228:229], v[102:103], -v[74:75]
	s_waitcnt vmcnt(36)
	v_fmac_f64_e32 v[78:79], v[68:69], v[190:191]
	ds_read_b128 v[74:77], v1 offset:1840
	v_add_f64 v[2:3], v[2:3], v[78:79]
	v_mul_f64 v[78:79], v[234:235], v[250:251]
	v_fma_f64 v[4:5], v[232:233], v[252:253], -v[78:79]
	ds_read_b128 v[78:81], v1 offset:1856
	s_waitcnt vmcnt(34) lgkmcnt(2)
	v_mul_f64 v[82:83], v[70:71], v[188:189]
	s_waitcnt vmcnt(32)
	v_fmac_f64_e32 v[82:83], v[72:73], v[192:193]
	v_add_f64 v[2:3], v[2:3], v[82:83]
	s_waitcnt vmcnt(29) lgkmcnt(1)
	v_mul_f64 v[16:17], v[74:75], v[196:197]
	ds_read_b128 v[82:85], v1 offset:1872
	s_waitcnt vmcnt(27)
	v_fmac_f64_e32 v[16:17], v[76:77], v[198:199]
	v_add_f64 v[2:3], v[2:3], v[16:17]
	s_waitcnt vmcnt(25) lgkmcnt(1)
	v_mul_f64 v[16:17], v[78:79], v[184:185]
	s_waitcnt vmcnt(24)
	v_fmac_f64_e32 v[16:17], v[80:81], v[194:195]
	v_add_f64 v[2:3], v[2:3], v[16:17]
	v_mul_f64 v[16:17], v[238:239], v[110:111]
	v_fma_f64 v[16:17], v[236:237], v[112:113], -v[16:17]
	ds_read_b128 v[236:239], v1 offset:1888
	s_waitcnt vmcnt(22) lgkmcnt(1)
	v_mul_f64 v[90:91], v[82:83], v[200:201]
	s_waitcnt vmcnt(20)
	v_fmac_f64_e32 v[90:91], v[84:85], v[202:203]
	v_add_f64 v[2:3], v[2:3], v[90:91]
	v_mul_f64 v[90:91], v[242:243], v[254:255]
	v_fma_f64 v[250:251], v[240:241], v[86:87], -v[90:91]
	ds_read_b128 v[90:93], v1 offset:1904
	ds_read_b128 v[240:243], v1 offset:1920
	s_waitcnt vmcnt(17) lgkmcnt(2)
	v_mul_f64 v[86:87], v[236:237], v[206:207]
	s_waitcnt vmcnt(16)
	v_fmac_f64_e32 v[86:87], v[238:239], v[208:209]
	v_add_f64 v[2:3], v[2:3], v[86:87]
	v_mul_f64 v[86:87], v[246:247], v[106:107]
	v_fma_f64 v[252:253], v[244:245], v[108:109], -v[86:87]
	s_waitcnt vmcnt(13) lgkmcnt(1)
	v_mul_f64 v[86:87], v[90:91], v[210:211]
	s_waitcnt vmcnt(11)
	v_fmac_f64_e32 v[86:87], v[92:93], v[216:217]
	ds_read_b128 v[102:105], v1 offset:1952
	v_add_f64 v[2:3], v[2:3], v[86:87]
	s_waitcnt vmcnt(10) lgkmcnt(1)
	v_mul_f64 v[86:87], v[240:241], v[204:205]
	s_waitcnt vmcnt(8)
	v_fmac_f64_e32 v[86:87], v[242:243], v[214:215]
	v_add_f64 v[2:3], v[2:3], v[86:87]
	s_waitcnt vmcnt(6)
	v_mul_f64 v[86:87], v[98:99], v[212:213]
	s_waitcnt vmcnt(4)
	v_fmac_f64_e32 v[86:87], v[100:101], v[88:89]
	v_add_f64 v[2:3], v[2:3], v[86:87]
	s_waitcnt vmcnt(1) lgkmcnt(0)
	v_mul_f64 v[86:87], v[102:103], v[220:221]
	s_waitcnt vmcnt(0)
	v_fmac_f64_e32 v[86:87], v[104:105], v[222:223]
	v_add_f64 v[2:3], v[2:3], v[86:87]
	buffer_load_dword v87, off, s[0:3], 0 offset:988
	buffer_load_dword v86, off, s[0:3], 0 offset:984
	;; [unrolled: 1-line block ×4, first 2 shown]
	ds_read_b128 v[106:109], v1 offset:1968
	buffer_load_dword v228, off, s[0:3], 0 offset:1000
	buffer_load_dword v229, off, s[0:3], 0 offset:1004
	;; [unrolled: 1-line block ×4, first 2 shown]
	v_add_f64 v[6:7], v[6:7], v[248:249]
	v_add_f64 v[6:7], v[6:7], v[224:225]
	;; [unrolled: 1-line block ×5, first 2 shown]
	v_mul_f64 v[6:7], v[134:135], v[136:137]
	v_add_f64 v[4:5], v[4:5], v[252:253]
	v_fma_f64 v[6:7], v[132:133], v[140:141], -v[6:7]
	v_add_f64 v[4:5], v[4:5], v[6:7]
	v_accvgpr_read_b32 v6, a190
	v_accvgpr_read_b32 v7, a191
	v_mul_f64 v[6:7], v[130:131], v[6:7]
	v_fma_f64 v[6:7], v[128:129], v[8:9], -v[6:7]
	v_add_f64 v[4:5], v[4:5], v[6:7]
	v_mul_f64 v[6:7], v[126:127], v[144:145]
	v_fma_f64 v[6:7], v[124:125], v[148:149], -v[6:7]
	v_add_f64 v[4:5], v[4:5], v[6:7]
	v_accvgpr_read_b32 v6, a194
	v_accvgpr_read_b32 v7, a195
	v_accvgpr_read_b32 v8, a196
	v_mul_f64 v[6:7], v[122:123], v[6:7]
	v_accvgpr_read_b32 v9, a197
	v_fma_f64 v[6:7], v[120:121], v[8:9], -v[6:7]
	v_add_f64 v[4:5], v[4:5], v[6:7]
	v_mul_f64 v[6:7], v[20:21], v[152:153]
	v_fma_f64 v[6:7], v[18:19], v[156:157], -v[6:7]
	v_add_f64 v[4:5], v[4:5], v[6:7]
	v_accvgpr_read_b32 v6, a198
	v_accvgpr_read_b32 v7, a199
	v_accvgpr_read_b32 v8, a200
	v_mul_f64 v[6:7], v[24:25], v[6:7]
	v_accvgpr_read_b32 v9, a201
	;; [unrolled: 10-line block ×3, first 2 shown]
	v_fma_f64 v[6:7], v[30:31], v[8:9], -v[6:7]
	v_add_f64 v[4:5], v[4:5], v[6:7]
	v_mul_f64 v[6:7], v[36:37], v[164:165]
	v_fma_f64 v[6:7], v[34:35], v[166:167], -v[6:7]
	v_add_f64 v[4:5], v[4:5], v[6:7]
	v_mul_f64 v[6:7], v[40:41], v[138:139]
	;; [unrolled: 3-line block ×11, first 2 shown]
	s_waitcnt vmcnt(6) lgkmcnt(0)
	v_mul_f64 v[110:111], v[106:107], v[86:87]
	v_fma_f64 v[6:7], v[74:75], v[198:199], -v[6:7]
	s_waitcnt vmcnt(4)
	v_fmac_f64_e32 v[110:111], v[108:109], v[226:227]
	v_add_f64 v[2:3], v[2:3], v[110:111]
	ds_read_b128 v[110:113], v1 offset:1984
	buffer_load_dword v235, off, s[0:3], 0 offset:1020
	buffer_load_dword v234, off, s[0:3], 0 offset:1016
	;; [unrolled: 1-line block ×4, first 2 shown]
	v_add_f64 v[4:5], v[4:5], v[6:7]
	v_mul_f64 v[6:7], v[80:81], v[184:185]
	v_fma_f64 v[6:7], v[78:79], v[194:195], -v[6:7]
	s_waitcnt vmcnt(6) lgkmcnt(0)
	v_mul_f64 v[232:233], v[110:111], v[228:229]
	s_waitcnt vmcnt(4)
	v_fmac_f64_e32 v[232:233], v[112:113], v[230:231]
	v_add_f64 v[232:233], v[2:3], v[232:233]
	ds_read_b128 v[0:3], v1 offset:2000
	v_add_f64 v[4:5], v[4:5], v[6:7]
	v_mul_f64 v[6:7], v[84:85], v[200:201]
	v_fma_f64 v[6:7], v[82:83], v[202:203], -v[6:7]
	v_add_f64 v[4:5], v[4:5], v[6:7]
	v_mul_f64 v[6:7], v[238:239], v[206:207]
	v_fma_f64 v[6:7], v[236:237], v[208:209], -v[6:7]
	;; [unrolled: 3-line block ×8, first 2 shown]
	v_add_f64 v[4:5], v[4:5], v[6:7]
	s_waitcnt vmcnt(2) lgkmcnt(0)
	v_mul_f64 v[246:247], v[0:1], v[234:235]
	s_waitcnt vmcnt(0)
	v_fmac_f64_e32 v[246:247], v[2:3], v[244:245]
	v_add_f64 v[232:233], v[232:233], v[246:247]
	buffer_load_dword v248, off, s[0:3], 0 offset:272
	buffer_load_dword v249, off, s[0:3], 0 offset:276
	;; [unrolled: 1-line block ×4, first 2 shown]
	v_mul_f64 v[2:3], v[2:3], v[234:235]
	v_fma_f64 v[0:1], v[0:1], v[244:245], -v[2:3]
	v_add_f64 v[0:1], v[4:5], v[0:1]
	s_waitcnt vmcnt(2)
	v_add_f64 v[0:1], v[248:249], -v[0:1]
	s_waitcnt vmcnt(0)
	v_add_f64 v[2:3], v[246:247], -v[232:233]
	buffer_store_dword v1, off, s[0:3], 0 offset:276
	buffer_store_dword v0, off, s[0:3], 0 offset:272
	;; [unrolled: 1-line block ×4, first 2 shown]
	v_accvgpr_read_b32 v0, a188
	v_cmp_lt_u32_e32 vcc, 15, v0
	s_and_saveexec_b64 s[4:5], vcc
	s_cbranch_execz .LBB126_373
; %bb.372:
	v_accvgpr_read_b32 v0, a173
	buffer_load_dword v2, v0, s[0:3], 0 offen
	buffer_load_dword v3, v0, s[0:3], 0 offen offset:4
	buffer_load_dword v4, v0, s[0:3], 0 offen offset:8
	;; [unrolled: 1-line block ×3, first 2 shown]
	v_mov_b32_e32 v0, 0
	v_accvgpr_read_b32 v1, a189
	buffer_store_dword v0, off, s[0:3], 0 offset:256
	buffer_store_dword v0, off, s[0:3], 0 offset:260
	;; [unrolled: 1-line block ×4, first 2 shown]
	s_waitcnt vmcnt(4)
	ds_write_b128 v1, v[2:5]
.LBB126_373:
	s_or_b64 exec, exec, s[4:5]
	s_waitcnt lgkmcnt(0)
	; wave barrier
	s_waitcnt lgkmcnt(0)
	buffer_load_dword v48, off, s[0:3], 0 offset:272
	buffer_load_dword v49, off, s[0:3], 0 offset:276
	;; [unrolled: 1-line block ×42, first 2 shown]
	v_mov_b32_e32 v1, 0
	buffer_load_dword v99, off, s[0:3], 0 offset:420
	buffer_load_dword v98, off, s[0:3], 0 offset:416
	;; [unrolled: 1-line block ×7, first 2 shown]
	ds_read_b128 v[112:115], v1 offset:1264
	ds_read_b128 v[116:119], v1 offset:1280
	ds_read_b128 v[180:183], v1 offset:1296
	ds_read_b128 v[184:187], v1 offset:1312
	ds_read_b128 v[190:193], v1 offset:1328
	ds_read_b128 v[196:199], v1 offset:1344
	ds_read_b128 v[200:203], v1 offset:1360
	ds_read_b128 v[204:207], v1 offset:1376
	ds_read_b128 v[214:217], v1 offset:1392
	ds_read_b128 v[220:223], v1 offset:1408
	ds_read_b128 v[58:61], v1 offset:1424
	v_accvgpr_read_b32 v0, a188
	v_cmp_lt_u32_e32 vcc, 14, v0
	s_waitcnt vmcnt(45) lgkmcnt(10)
	v_mul_f64 v[2:3], v[112:113], v[52:53]
	v_fmac_f64_e32 v[2:3], v[114:115], v[48:49]
	v_add_f64 v[2:3], v[2:3], 0
	s_waitcnt vmcnt(41) lgkmcnt(9)
	v_mul_f64 v[4:5], v[116:117], v[54:55]
	v_fmac_f64_e32 v[4:5], v[118:119], v[50:51]
	v_add_f64 v[2:3], v[2:3], v[4:5]
	buffer_load_dword v96, off, s[0:3], 0 offset:456
	buffer_load_dword v253, off, s[0:3], 0 offset:452
	;; [unrolled: 1-line block ×21, first 2 shown]
	s_waitcnt vmcnt(60) lgkmcnt(8)
	v_mul_f64 v[6:7], v[180:181], v[46:47]
	s_waitcnt vmcnt(58) lgkmcnt(6)
	v_mul_f64 v[10:11], v[190:191], v[62:63]
	s_waitcnt vmcnt(56)
	v_fmac_f64_e32 v[10:11], v[192:193], v[56:57]
	v_mul_f64 v[46:47], v[182:183], v[46:47]
	s_waitcnt vmcnt(54)
	v_mul_f64 v[8:9], v[184:185], v[64:65]
	s_waitcnt vmcnt(52) lgkmcnt(4)
	v_mul_f64 v[14:15], v[200:201], v[66:67]
	s_waitcnt vmcnt(50)
	v_fmac_f64_e32 v[14:15], v[202:203], v[68:69]
	s_waitcnt vmcnt(48)
	v_mul_f64 v[12:13], v[196:197], v[70:71]
	s_waitcnt vmcnt(46) lgkmcnt(2)
	v_mul_f64 v[18:19], v[214:215], v[76:77]
	s_waitcnt vmcnt(43)
	v_mul_f64 v[16:17], v[204:205], v[78:79]
	s_waitcnt vmcnt(41) lgkmcnt(1)
	v_mul_f64 v[20:21], v[220:221], v[72:73]
	s_waitcnt vmcnt(39)
	v_fmac_f64_e32 v[6:7], v[182:183], v[90:91]
	v_add_f64 v[2:3], v[2:3], v[6:7]
	s_waitcnt vmcnt(37)
	v_fmac_f64_e32 v[8:9], v[186:187], v[188:189]
	v_add_f64 v[2:3], v[2:3], v[8:9]
	;; [unrolled: 3-line block ×3, first 2 shown]
	v_add_f64 v[2:3], v[2:3], v[12:13]
	v_add_f64 v[2:3], v[2:3], v[14:15]
	s_waitcnt vmcnt(33)
	v_fmac_f64_e32 v[16:17], v[206:207], v[80:81]
	v_add_f64 v[2:3], v[2:3], v[16:17]
	s_waitcnt vmcnt(32)
	v_fmac_f64_e32 v[18:19], v[216:217], v[74:75]
	v_add_f64 v[2:3], v[2:3], v[18:19]
	s_waitcnt vmcnt(26)
	v_fmac_f64_e32 v[20:21], v[222:223], v[98:99]
	v_add_f64 v[2:3], v[2:3], v[20:21]
	v_fma_f64 v[90:91], v[180:181], v[90:91], -v[46:47]
	v_mul_f64 v[46:47], v[186:187], v[64:65]
	s_waitcnt vmcnt(0)
	v_pk_mov_b32 v[14:15], v[4:5], v[4:5] op_sel:[0,1]
	buffer_load_dword v5, off, s[0:3], 0 offset:564
	buffer_load_dword v4, off, s[0:3], 0 offset:560
	v_accvgpr_write_b32 a191, v15
	v_accvgpr_write_b32 a190, v14
	s_waitcnt vmcnt(0)
	v_pk_mov_b32 v[16:17], v[4:5], v[4:5] op_sel:[0,1]
	buffer_load_dword v105, off, s[0:3], 0 offset:556
	buffer_load_dword v104, off, s[0:3], 0 offset:552
	buffer_load_dword v107, off, s[0:3], 0 offset:548
	buffer_load_dword v106, off, s[0:3], 0 offset:544
	buffer_load_dword v5, off, s[0:3], 0 offset:604
	buffer_load_dword v4, off, s[0:3], 0 offset:600
	v_accvgpr_write_b32 a193, v17
	v_accvgpr_write_b32 a192, v16
	s_waitcnt vmcnt(0)
	v_pk_mov_b32 v[22:23], v[4:5], v[4:5] op_sel:[0,1]
	buffer_load_dword v5, off, s[0:3], 0 offset:596
	buffer_load_dword v4, off, s[0:3], 0 offset:592
	v_accvgpr_write_b32 a195, v23
	v_accvgpr_write_b32 a194, v22
	s_waitcnt vmcnt(0)
	v_pk_mov_b32 v[24:25], v[4:5], v[4:5] op_sel:[0,1]
	buffer_load_dword v141, off, s[0:3], 0 offset:588
	buffer_load_dword v140, off, s[0:3], 0 offset:584
	buffer_load_dword v145, off, s[0:3], 0 offset:580
	buffer_load_dword v144, off, s[0:3], 0 offset:576
	buffer_load_dword v5, off, s[0:3], 0 offset:636
	buffer_load_dword v4, off, s[0:3], 0 offset:632
	v_accvgpr_write_b32 a197, v25
	v_accvgpr_write_b32 a196, v24
	;; [unrolled: 16-line block ×4, first 2 shown]
	s_waitcnt vmcnt(0)
	v_pk_mov_b32 v[174:175], v[4:5], v[4:5] op_sel:[0,1]
	buffer_load_dword v5, off, s[0:3], 0 offset:692
	buffer_load_dword v4, off, s[0:3], 0 offset:688
	;; [unrolled: 1-line block ×22, first 2 shown]
	ds_read_b128 v[224:227], v1 offset:1440
	ds_read_b128 v[228:231], v1 offset:1456
	;; [unrolled: 1-line block ×12, first 2 shown]
	s_waitcnt lgkmcnt(5)
	v_mul_f64 v[8:9], v[248:249], v[104:105]
	v_fmac_f64_e32 v[8:9], v[250:251], v[106:107]
	s_waitcnt lgkmcnt(4)
	v_mul_f64 v[12:13], v[136:137], v[14:15]
	v_fmac_f64_e32 v[12:13], v[138:139], v[16:17]
	s_waitcnt lgkmcnt(3)
	v_mul_f64 v[16:17], v[132:133], v[140:141]
	v_fmac_f64_e32 v[16:17], v[134:135], v[144:145]
	s_waitcnt lgkmcnt(2)
	v_mul_f64 v[20:21], v[128:129], v[22:23]
	v_fmac_f64_e32 v[20:21], v[130:131], v[24:25]
	s_waitcnt lgkmcnt(1)
	v_mul_f64 v[24:25], v[124:125], v[148:149]
	v_fmac_f64_e32 v[24:25], v[126:127], v[152:153]
	s_waitcnt lgkmcnt(0)
	v_mul_f64 v[28:29], v[120:121], v[30:31]
	v_fmac_f64_e32 v[28:29], v[122:123], v[32:33]
	v_accvgpr_write_b32 a207, v175
	v_accvgpr_write_b32 a206, v174
	s_waitcnt vmcnt(20)
	v_pk_mov_b32 v[176:177], v[4:5], v[4:5] op_sel:[0,1]
	v_mul_f64 v[4:5], v[58:59], v[84:85]
	v_fmac_f64_e32 v[4:5], v[60:61], v[86:87]
	v_add_f64 v[2:3], v[2:3], v[4:5]
	v_mul_f64 v[4:5], v[224:225], v[96:97]
	v_fmac_f64_e32 v[4:5], v[226:227], v[252:253]
	v_add_f64 v[2:3], v[2:3], v[4:5]
	;; [unrolled: 3-line block ×7, first 2 shown]
	v_add_f64 v[10:11], v[6:7], v[8:9]
	v_add_f64 v[14:15], v[10:11], v[12:13]
	;; [unrolled: 1-line block ×5, first 2 shown]
	ds_read_b128 v[22:25], v1 offset:1632
	v_add_f64 v[30:31], v[26:27], v[28:29]
	ds_read_b128 v[26:29], v1 offset:1648
	v_accvgpr_write_b32 a209, v177
	v_mul_f64 v[4:5], v[114:115], v[52:53]
	s_waitcnt lgkmcnt(1)
	v_mul_f64 v[32:33], v[22:23], v[156:157]
	v_fmac_f64_e32 v[32:33], v[24:25], v[158:159]
	s_waitcnt lgkmcnt(0)
	v_mul_f64 v[36:37], v[26:27], v[38:39]
	v_add_f64 v[34:35], v[30:31], v[32:33]
	ds_read_b128 v[30:33], v1 offset:1664
	v_fmac_f64_e32 v[36:37], v[28:29], v[40:41]
	v_add_f64 v[38:39], v[34:35], v[36:37]
	ds_read_b128 v[34:37], v1 offset:1680
	v_accvgpr_write_b32 a208, v176
	s_waitcnt vmcnt(18) lgkmcnt(1)
	v_mul_f64 v[40:41], v[30:31], v[160:161]
	s_waitcnt vmcnt(16)
	v_fmac_f64_e32 v[40:41], v[32:33], v[162:163]
	v_add_f64 v[42:43], v[38:39], v[40:41]
	s_waitcnt lgkmcnt(0)
	v_mul_f64 v[44:45], v[34:35], v[174:175]
	v_fmac_f64_e32 v[44:45], v[36:37], v[176:177]
	ds_read_b128 v[38:41], v1 offset:1696
	v_add_f64 v[2:3], v[42:43], v[44:45]
	ds_read_b128 v[42:45], v1 offset:1712
	v_fma_f64 v[18:19], v[112:113], v[48:49], -v[4:5]
	v_mul_f64 v[48:49], v[118:119], v[54:55]
	buffer_load_dword v119, off, s[0:3], 0 offset:780
	buffer_load_dword v118, off, s[0:3], 0 offset:776
	;; [unrolled: 1-line block ×8, first 2 shown]
	v_fma_f64 v[14:15], v[184:185], v[188:189], -v[46:47]
	buffer_load_dword v181, off, s[0:3], 0 offset:828
	buffer_load_dword v185, off, s[0:3], 0 offset:812
	;; [unrolled: 1-line block ×8, first 2 shown]
	v_mul_f64 v[8:9], v[192:193], v[62:63]
	v_fma_f64 v[10:11], v[190:191], v[56:57], -v[8:9]
	buffer_load_dword v182, off, s[0:3], 0 offset:856
	buffer_load_dword v193, off, s[0:3], 0 offset:844
	;; [unrolled: 1-line block ×8, first 2 shown]
	v_fma_f64 v[112:113], v[116:117], v[50:51], -v[48:49]
	v_mul_f64 v[50:51], v[198:199], v[70:71]
	ds_read_b128 v[46:49], v1 offset:1728
	v_fma_f64 v[8:9], v[196:197], v[208:209], -v[50:51]
	buffer_load_dword v197, off, s[0:3], 0 offset:876
	buffer_load_dword v196, off, s[0:3], 0 offset:872
	;; [unrolled: 1-line block ×4, first 2 shown]
	v_mul_f64 v[12:13], v[202:203], v[66:67]
	v_fma_f64 v[12:13], v[200:201], v[68:69], -v[12:13]
	buffer_load_dword v200, off, s[0:3], 0 offset:888
	buffer_load_dword v202, off, s[0:3], 0 offset:880
	;; [unrolled: 1-line block ×4, first 2 shown]
	v_mul_f64 v[50:51], v[206:207], v[78:79]
	buffer_load_dword v207, off, s[0:3], 0 offset:908
	buffer_load_dword v206, off, s[0:3], 0 offset:904
	;; [unrolled: 1-line block ×8, first 2 shown]
	v_mul_f64 v[16:17], v[216:217], v[76:77]
	v_fma_f64 v[6:7], v[204:205], v[80:81], -v[50:51]
	v_fma_f64 v[16:17], v[214:215], v[74:75], -v[16:17]
	buffer_load_dword v204, off, s[0:3], 0 offset:952
	buffer_load_dword v217, off, s[0:3], 0 offset:940
	;; [unrolled: 1-line block ×8, first 2 shown]
	s_waitcnt vmcnt(58) lgkmcnt(2)
	v_mul_f64 v[52:53], v[38:39], v[164:165]
	s_waitcnt vmcnt(56)
	v_fmac_f64_e32 v[52:53], v[40:41], v[166:167]
	v_mul_f64 v[50:51], v[222:223], v[72:73]
	v_add_f64 v[2:3], v[2:3], v[52:53]
	v_fma_f64 v[220:221], v[220:221], v[98:99], -v[50:51]
	ds_read_b128 v[50:53], v1 offset:1744
	s_waitcnt lgkmcnt(2)
	v_mul_f64 v[54:55], v[42:43], v[142:143]
	v_fmac_f64_e32 v[54:55], v[44:45], v[146:147]
	v_add_f64 v[2:3], v[2:3], v[54:55]
	s_waitcnt vmcnt(50) lgkmcnt(1)
	v_mul_f64 v[54:55], v[46:47], v[168:169]
	s_waitcnt vmcnt(48)
	v_fmac_f64_e32 v[54:55], v[48:49], v[170:171]
	v_mul_f64 v[60:61], v[60:61], v[84:85]
	v_add_f64 v[2:3], v[2:3], v[54:55]
	v_fma_f64 v[222:223], v[58:59], v[86:87], -v[60:61]
	ds_read_b128 v[58:61], v1 offset:1776
	s_waitcnt lgkmcnt(1)
	v_mul_f64 v[54:55], v[50:51], v[150:151]
	v_fmac_f64_e32 v[54:55], v[52:53], v[154:155]
	v_add_f64 v[2:3], v[2:3], v[54:55]
	ds_read_b128 v[54:57], v1 offset:1760
	v_mul_f64 v[70:71], v[230:231], v[92:93]
	v_fma_f64 v[92:93], v[228:229], v[94:95], -v[70:71]
	ds_read_b128 v[70:73], v1 offset:1824
	v_mul_f64 v[84:85], v[238:239], v[108:109]
	v_mul_f64 v[82:83], v[242:243], v[82:83]
	v_fma_f64 v[4:5], v[240:241], v[88:89], -v[82:83]
	ds_read_b128 v[240:243], v1 offset:1904
	v_add_f64 v[18:19], v[18:19], 0
	v_add_f64 v[18:19], v[18:19], v[112:113]
	;; [unrolled: 1-line block ×11, first 2 shown]
	v_accvgpr_read_b32 v8, a192
	v_accvgpr_read_b32 v9, a193
	ds_read_b128 v[86:89], v1 offset:1888
	s_waitcnt vmcnt(46) lgkmcnt(3)
	v_mul_f64 v[62:63], v[54:55], v[118:119]
	s_waitcnt vmcnt(44)
	v_fmac_f64_e32 v[62:63], v[56:57], v[178:179]
	v_add_f64 v[2:3], v[2:3], v[62:63]
	v_mul_f64 v[62:63], v[226:227], v[96:97]
	ds_read_b128 v[94:97], v1 offset:1920
	v_fma_f64 v[252:253], v[224:225], v[252:253], -v[62:63]
	ds_read_b128 v[62:65], v1 offset:1792
	s_waitcnt vmcnt(41)
	v_mul_f64 v[66:67], v[58:59], v[174:175]
	s_waitcnt vmcnt(40)
	v_fmac_f64_e32 v[66:67], v[60:61], v[176:177]
	v_add_f64 v[2:3], v[2:3], v[66:67]
	ds_read_b128 v[66:69], v1 offset:1808
	s_waitcnt vmcnt(37) lgkmcnt(1)
	v_mul_f64 v[74:75], v[62:63], v[184:185]
	s_waitcnt vmcnt(35)
	v_fmac_f64_e32 v[74:75], v[64:65], v[186:187]
	v_add_f64 v[2:3], v[2:3], v[74:75]
	v_mul_f64 v[74:75], v[234:235], v[254:255]
	v_fma_f64 v[172:173], v[232:233], v[172:173], -v[74:75]
	ds_read_b128 v[74:77], v1 offset:1840
	s_waitcnt vmcnt(34) lgkmcnt(1)
	v_mul_f64 v[78:79], v[66:67], v[180:181]
	s_waitcnt vmcnt(32)
	v_fmac_f64_e32 v[78:79], v[68:69], v[188:189]
	v_add_f64 v[2:3], v[2:3], v[78:79]
	s_waitcnt vmcnt(29)
	v_mul_f64 v[78:79], v[70:71], v[192:193]
	s_waitcnt vmcnt(27)
	v_fmac_f64_e32 v[78:79], v[72:73], v[194:195]
	v_add_f64 v[2:3], v[2:3], v[78:79]
	v_fma_f64 v[254:255], v[236:237], v[110:111], -v[84:85]
	ds_read_b128 v[236:239], v1 offset:1872
	s_waitcnt vmcnt(25) lgkmcnt(1)
	v_mul_f64 v[78:79], v[74:75], v[182:183]
	s_waitcnt vmcnt(24)
	v_fmac_f64_e32 v[78:79], v[76:77], v[190:191]
	v_add_f64 v[2:3], v[2:3], v[78:79]
	ds_read_b128 v[78:81], v1 offset:1856
	s_waitcnt vmcnt(17) lgkmcnt(1)
	v_mul_f64 v[20:21], v[236:237], v[200:201]
	s_waitcnt vmcnt(16)
	v_fmac_f64_e32 v[20:21], v[238:239], v[202:203]
	s_waitcnt vmcnt(14)
	v_mul_f64 v[82:83], v[86:87], v[206:207]
	s_waitcnt vmcnt(12)
	v_fmac_f64_e32 v[82:83], v[88:89], v[210:211]
	s_waitcnt lgkmcnt(0)
	v_mul_f64 v[84:85], v[78:79], v[196:197]
	v_fmac_f64_e32 v[84:85], v[80:81], v[198:199]
	v_add_f64 v[2:3], v[2:3], v[84:85]
	v_add_f64 v[2:3], v[2:3], v[20:21]
	v_mul_f64 v[20:21], v[246:247], v[100:101]
	ds_read_b128 v[98:101], v1 offset:1936
	v_add_f64 v[2:3], v[2:3], v[82:83]
	s_waitcnt vmcnt(10)
	v_mul_f64 v[82:83], v[240:241], v[208:209]
	s_waitcnt vmcnt(8)
	v_fmac_f64_e32 v[82:83], v[242:243], v[212:213]
	v_add_f64 v[2:3], v[2:3], v[82:83]
	s_waitcnt vmcnt(5)
	v_mul_f64 v[82:83], v[94:95], v[216:217]
	s_waitcnt vmcnt(3)
	v_fmac_f64_e32 v[82:83], v[96:97], v[218:219]
	v_add_f64 v[2:3], v[2:3], v[82:83]
	s_waitcnt vmcnt(1) lgkmcnt(0)
	v_mul_f64 v[82:83], v[98:99], v[204:205]
	s_waitcnt vmcnt(0)
	v_fmac_f64_e32 v[82:83], v[100:101], v[214:215]
	v_add_f64 v[82:83], v[2:3], v[82:83]
	buffer_load_dword v3, off, s[0:3], 0 offset:972
	buffer_load_dword v2, off, s[0:3], 0 offset:968
	;; [unrolled: 1-line block ×4, first 2 shown]
	v_fma_f64 v[20:21], v[244:245], v[102:103], -v[20:21]
	v_mul_f64 v[84:85], v[250:251], v[104:105]
	ds_read_b128 v[102:105], v1 offset:1952
	buffer_load_dword v224, off, s[0:3], 0 offset:984
	buffer_load_dword v225, off, s[0:3], 0 offset:988
	;; [unrolled: 1-line block ×4, first 2 shown]
	v_fma_f64 v[250:251], v[248:249], v[106:107], -v[84:85]
	ds_read_b128 v[106:109], v1 offset:1968
	buffer_load_dword v229, off, s[0:3], 0 offset:1004
	buffer_load_dword v228, off, s[0:3], 0 offset:1000
	;; [unrolled: 1-line block ×4, first 2 shown]
	v_add_f64 v[6:7], v[6:7], v[252:253]
	v_add_f64 v[6:7], v[6:7], v[92:93]
	;; [unrolled: 1-line block ×5, first 2 shown]
	v_accvgpr_read_b32 v6, a190
	v_accvgpr_read_b32 v7, a191
	v_add_f64 v[252:253], v[4:5], v[20:21]
	v_mul_f64 v[6:7], v[138:139], v[6:7]
	v_add_f64 v[4:5], v[252:253], v[250:251]
	v_fma_f64 v[6:7], v[136:137], v[8:9], -v[6:7]
	v_add_f64 v[4:5], v[4:5], v[6:7]
	v_mul_f64 v[6:7], v[134:135], v[140:141]
	v_fma_f64 v[6:7], v[132:133], v[144:145], -v[6:7]
	v_add_f64 v[4:5], v[4:5], v[6:7]
	v_accvgpr_read_b32 v6, a194
	v_accvgpr_read_b32 v7, a195
	v_accvgpr_read_b32 v8, a196
	v_mul_f64 v[6:7], v[130:131], v[6:7]
	v_accvgpr_read_b32 v9, a197
	v_fma_f64 v[6:7], v[128:129], v[8:9], -v[6:7]
	v_add_f64 v[4:5], v[4:5], v[6:7]
	v_mul_f64 v[6:7], v[126:127], v[148:149]
	v_fma_f64 v[6:7], v[124:125], v[152:153], -v[6:7]
	v_add_f64 v[4:5], v[4:5], v[6:7]
	v_accvgpr_read_b32 v6, a198
	v_accvgpr_read_b32 v7, a199
	v_accvgpr_read_b32 v8, a200
	v_mul_f64 v[6:7], v[122:123], v[6:7]
	v_accvgpr_read_b32 v9, a201
	;; [unrolled: 10-line block ×4, first 2 shown]
	v_fma_f64 v[6:7], v[34:35], v[8:9], -v[6:7]
	v_add_f64 v[4:5], v[4:5], v[6:7]
	v_mul_f64 v[6:7], v[40:41], v[164:165]
	v_fma_f64 v[6:7], v[38:39], v[166:167], -v[6:7]
	v_add_f64 v[4:5], v[4:5], v[6:7]
	v_mul_f64 v[6:7], v[44:45], v[142:143]
	;; [unrolled: 3-line block ×6, first 2 shown]
	v_fma_f64 v[6:7], v[58:59], v[176:177], -v[6:7]
	v_add_f64 v[4:5], v[4:5], v[6:7]
	s_waitcnt vmcnt(10) lgkmcnt(1)
	v_mul_f64 v[84:85], v[102:103], v[2:3]
	v_mul_f64 v[6:7], v[64:65], v[184:185]
	s_waitcnt vmcnt(8)
	v_fmac_f64_e32 v[84:85], v[104:105], v[110:111]
	v_add_f64 v[82:83], v[82:83], v[84:85]
	s_waitcnt vmcnt(6) lgkmcnt(0)
	v_mul_f64 v[84:85], v[106:107], v[224:225]
	v_fma_f64 v[6:7], v[62:63], v[186:187], -v[6:7]
	s_waitcnt vmcnt(4)
	v_fmac_f64_e32 v[84:85], v[108:109], v[226:227]
	v_add_f64 v[114:115], v[82:83], v[84:85]
	ds_read_b128 v[82:85], v1 offset:1984
	buffer_load_dword v234, off, s[0:3], 0 offset:1016
	buffer_load_dword v235, off, s[0:3], 0 offset:1020
	;; [unrolled: 1-line block ×4, first 2 shown]
	v_add_f64 v[4:5], v[4:5], v[6:7]
	v_mul_f64 v[6:7], v[68:69], v[180:181]
	v_fma_f64 v[6:7], v[66:67], v[188:189], -v[6:7]
	s_waitcnt vmcnt(6) lgkmcnt(0)
	v_mul_f64 v[116:117], v[82:83], v[228:229]
	s_waitcnt vmcnt(4)
	v_fmac_f64_e32 v[116:117], v[84:85], v[230:231]
	v_add_f64 v[232:233], v[114:115], v[116:117]
	ds_read_b128 v[114:117], v1 offset:2000
	buffer_load_dword v248, off, s[0:3], 0 offset:256
	buffer_load_dword v249, off, s[0:3], 0 offset:260
	v_add_f64 v[4:5], v[4:5], v[6:7]
	v_mul_f64 v[6:7], v[72:73], v[192:193]
	v_fma_f64 v[6:7], v[70:71], v[194:195], -v[6:7]
	v_add_f64 v[4:5], v[4:5], v[6:7]
	v_mul_f64 v[6:7], v[76:77], v[182:183]
	v_fma_f64 v[6:7], v[74:75], v[190:191], -v[6:7]
	v_add_f64 v[4:5], v[4:5], v[6:7]
	v_mul_f64 v[6:7], v[80:81], v[196:197]
	v_fma_f64 v[6:7], v[78:79], v[198:199], -v[6:7]
	v_add_f64 v[4:5], v[4:5], v[6:7]
	v_mul_f64 v[6:7], v[238:239], v[200:201]
	v_fma_f64 v[6:7], v[236:237], v[202:203], -v[6:7]
	v_add_f64 v[4:5], v[4:5], v[6:7]
	v_mul_f64 v[6:7], v[88:89], v[206:207]
	v_fma_f64 v[6:7], v[86:87], v[210:211], -v[6:7]
	v_add_f64 v[4:5], v[4:5], v[6:7]
	v_mul_f64 v[6:7], v[242:243], v[208:209]
	v_fma_f64 v[6:7], v[240:241], v[212:213], -v[6:7]
	v_add_f64 v[4:5], v[4:5], v[6:7]
	v_mul_f64 v[6:7], v[96:97], v[216:217]
	v_fma_f64 v[6:7], v[94:95], v[218:219], -v[6:7]
	v_add_f64 v[4:5], v[4:5], v[6:7]
	v_mul_f64 v[6:7], v[100:101], v[204:205]
	v_fma_f64 v[6:7], v[98:99], v[214:215], -v[6:7]
	v_mul_f64 v[2:3], v[104:105], v[2:3]
	v_add_f64 v[4:5], v[4:5], v[6:7]
	v_fma_f64 v[2:3], v[102:103], v[110:111], -v[2:3]
	v_add_f64 v[2:3], v[4:5], v[2:3]
	v_mul_f64 v[4:5], v[108:109], v[224:225]
	v_fma_f64 v[4:5], v[106:107], v[226:227], -v[4:5]
	v_add_f64 v[2:3], v[2:3], v[4:5]
	v_mul_f64 v[4:5], v[84:85], v[228:229]
	v_fma_f64 v[4:5], v[82:83], v[230:231], -v[4:5]
	v_add_f64 v[2:3], v[2:3], v[4:5]
	s_waitcnt vmcnt(4) lgkmcnt(0)
	v_mul_f64 v[246:247], v[114:115], v[234:235]
	v_mul_f64 v[4:5], v[116:117], v[234:235]
	s_waitcnt vmcnt(2)
	v_fmac_f64_e32 v[246:247], v[116:117], v[244:245]
	v_add_f64 v[232:233], v[232:233], v[246:247]
	buffer_load_dword v246, off, s[0:3], 0 offset:264
	buffer_load_dword v247, off, s[0:3], 0 offset:268
	v_fma_f64 v[4:5], v[114:115], v[244:245], -v[4:5]
	v_add_f64 v[2:3], v[2:3], v[4:5]
	s_waitcnt vmcnt(2)
	v_add_f64 v[2:3], v[248:249], -v[2:3]
	s_waitcnt vmcnt(0)
	v_add_f64 v[4:5], v[246:247], -v[232:233]
	buffer_store_dword v3, off, s[0:3], 0 offset:260
	buffer_store_dword v2, off, s[0:3], 0 offset:256
	;; [unrolled: 1-line block ×4, first 2 shown]
	s_and_saveexec_b64 s[4:5], vcc
	s_cbranch_execz .LBB126_375
; %bb.374:
	v_accvgpr_read_b32 v0, a174
	buffer_load_dword v2, v0, s[0:3], 0 offen
	buffer_load_dword v3, v0, s[0:3], 0 offen offset:4
	buffer_load_dword v4, v0, s[0:3], 0 offen offset:8
	;; [unrolled: 1-line block ×3, first 2 shown]
	v_accvgpr_read_b32 v0, a189
	buffer_store_dword v1, off, s[0:3], 0 offset:240
	buffer_store_dword v1, off, s[0:3], 0 offset:244
	;; [unrolled: 1-line block ×4, first 2 shown]
	s_waitcnt vmcnt(4)
	ds_write_b128 v0, v[2:5]
.LBB126_375:
	s_or_b64 exec, exec, s[4:5]
	s_waitcnt lgkmcnt(0)
	; wave barrier
	s_waitcnt lgkmcnt(0)
	buffer_load_dword v42, off, s[0:3], 0 offset:256
	buffer_load_dword v43, off, s[0:3], 0 offset:260
	;; [unrolled: 1-line block ×42, first 2 shown]
	ds_read_b128 v[110:113], v1 offset:1248
	ds_read_b128 v[114:117], v1 offset:1264
	;; [unrolled: 1-line block ×10, first 2 shown]
	buffer_load_dword v119, off, s[0:3], 0 offset:404
	buffer_load_dword v118, off, s[0:3], 0 offset:400
	ds_read_b128 v[50:53], v1 offset:1408
	buffer_load_dword v89, off, s[0:3], 0 offset:460
	buffer_load_dword v88, off, s[0:3], 0 offset:456
	;; [unrolled: 1-line block ×8, first 2 shown]
	s_waitcnt vmcnt(48) lgkmcnt(10)
	v_mul_f64 v[2:3], v[110:111], v[48:49]
	v_fmac_f64_e32 v[2:3], v[112:113], v[42:43]
	v_add_f64 v[2:3], v[2:3], 0
	s_waitcnt vmcnt(44) lgkmcnt(9)
	v_mul_f64 v[4:5], v[114:115], v[54:55]
	v_fmac_f64_e32 v[4:5], v[116:117], v[44:45]
	v_add_f64 v[2:3], v[2:3], v[4:5]
	buffer_load_dword v107, off, s[0:3], 0 offset:492
	buffer_load_dword v106, off, s[0:3], 0 offset:488
	;; [unrolled: 1-line block ×26, first 2 shown]
	s_waitcnt vmcnt(62) lgkmcnt(8)
	v_mul_f64 v[6:7], v[176:177], v[46:47]
	s_waitcnt lgkmcnt(6)
	v_mul_f64 v[10:11], v[188:189], v[58:59]
	v_fmac_f64_e32 v[10:11], v[190:191], v[56:57]
	v_mul_f64 v[46:47], v[178:179], v[46:47]
	v_mul_f64 v[8:9], v[180:181], v[60:61]
	s_waitcnt vmcnt(60) lgkmcnt(4)
	v_mul_f64 v[14:15], v[196:197], v[62:63]
	s_waitcnt vmcnt(58)
	v_fmac_f64_e32 v[14:15], v[198:199], v[64:65]
	s_waitcnt vmcnt(56)
	v_mul_f64 v[12:13], v[192:193], v[66:67]
	s_waitcnt vmcnt(54) lgkmcnt(2)
	v_mul_f64 v[18:19], v[204:205], v[68:69]
	s_waitcnt vmcnt(51)
	v_mul_f64 v[16:17], v[200:201], v[74:75]
	s_waitcnt vmcnt(49) lgkmcnt(1)
	v_mul_f64 v[20:21], v[210:211], v[72:73]
	s_waitcnt vmcnt(47)
	v_fmac_f64_e32 v[6:7], v[178:179], v[82:83]
	v_add_f64 v[2:3], v[2:3], v[6:7]
	s_waitcnt vmcnt(45)
	v_fmac_f64_e32 v[8:9], v[182:183], v[184:185]
	v_add_f64 v[2:3], v[2:3], v[8:9]
	;; [unrolled: 3-line block ×3, first 2 shown]
	v_add_f64 v[2:3], v[2:3], v[12:13]
	s_waitcnt vmcnt(41)
	v_fmac_f64_e32 v[16:17], v[202:203], v[76:77]
	v_add_f64 v[2:3], v[2:3], v[14:15]
	s_waitcnt vmcnt(40)
	v_fmac_f64_e32 v[18:19], v[206:207], v[70:71]
	v_add_f64 v[2:3], v[2:3], v[16:17]
	v_add_f64 v[2:3], v[2:3], v[18:19]
	s_waitcnt vmcnt(34)
	v_fmac_f64_e32 v[20:21], v[212:213], v[118:119]
	v_add_f64 v[2:3], v[2:3], v[20:21]
	s_waitcnt vmcnt(0)
	v_pk_mov_b32 v[18:19], v[4:5], v[4:5] op_sel:[0,1]
	buffer_load_dword v5, off, s[0:3], 0 offset:580
	buffer_load_dword v7, off, s[0:3], 0 offset:572
	;; [unrolled: 1-line block ×3, first 2 shown]
	v_accvgpr_write_b32 a195, v19
	v_accvgpr_write_b32 a194, v18
	s_waitcnt vmcnt(0)
	v_pk_mov_b32 v[14:15], v[6:7], v[6:7] op_sel:[0,1]
	buffer_load_dword v7, off, s[0:3], 0 offset:564
	buffer_load_dword v6, off, s[0:3], 0 offset:560
	;; [unrolled: 1-line block ×3, first 2 shown]
	v_accvgpr_write_b32 a191, v15
	v_accvgpr_write_b32 a190, v14
	s_waitcnt vmcnt(1)
	v_pk_mov_b32 v[16:17], v[6:7], v[6:7] op_sel:[0,1]
	s_waitcnt vmcnt(0)
	v_pk_mov_b32 v[22:23], v[4:5], v[4:5] op_sel:[0,1]
	buffer_load_dword v5, off, s[0:3], 0 offset:620
	buffer_load_dword v4, off, s[0:3], 0 offset:616
	v_accvgpr_write_b32 a193, v17
	v_accvgpr_write_b32 a192, v16
	;; [unrolled: 1-line block ×4, first 2 shown]
	s_waitcnt vmcnt(0)
	v_pk_mov_b32 v[26:27], v[4:5], v[4:5] op_sel:[0,1]
	buffer_load_dword v5, off, s[0:3], 0 offset:612
	buffer_load_dword v143, off, s[0:3], 0 offset:604
	;; [unrolled: 1-line block ×6, first 2 shown]
	v_accvgpr_write_b32 a199, v27
	v_accvgpr_write_b32 a198, v26
	s_waitcnt vmcnt(0)
	v_pk_mov_b32 v[28:29], v[4:5], v[4:5] op_sel:[0,1]
	buffer_load_dword v5, off, s[0:3], 0 offset:652
	buffer_load_dword v4, off, s[0:3], 0 offset:648
	v_accvgpr_write_b32 a201, v29
	v_accvgpr_write_b32 a200, v28
	s_waitcnt vmcnt(0)
	v_pk_mov_b32 v[34:35], v[4:5], v[4:5] op_sel:[0,1]
	buffer_load_dword v5, off, s[0:3], 0 offset:644
	buffer_load_dword v151, off, s[0:3], 0 offset:636
	buffer_load_dword v150, off, s[0:3], 0 offset:632
	buffer_load_dword v153, off, s[0:3], 0 offset:628
	buffer_load_dword v152, off, s[0:3], 0 offset:624
	buffer_load_dword v4, off, s[0:3], 0 offset:640
	v_accvgpr_write_b32 a203, v35
	v_accvgpr_write_b32 a202, v34
	s_waitcnt vmcnt(0)
	v_pk_mov_b32 v[36:37], v[4:5], v[4:5] op_sel:[0,1]
	buffer_load_dword v5, off, s[0:3], 0 offset:684
	buffer_load_dword v4, off, s[0:3], 0 offset:680
	v_accvgpr_write_b32 a205, v37
	v_accvgpr_write_b32 a204, v36
	s_waitcnt vmcnt(0)
	v_pk_mov_b32 v[38:39], v[4:5], v[4:5] op_sel:[0,1]
	buffer_load_dword v5, off, s[0:3], 0 offset:676
	buffer_load_dword v155, off, s[0:3], 0 offset:668
	;; [unrolled: 1-line block ×20, first 2 shown]
	ds_read_b128 v[220:223], v1 offset:1424
	ds_read_b128 v[224:227], v1 offset:1440
	;; [unrolled: 1-line block ×12, first 2 shown]
	s_waitcnt lgkmcnt(4)
	v_mul_f64 v[8:9], v[252:253], v[98:99]
	v_fmac_f64_e32 v[8:9], v[254:255], v[100:101]
	s_waitcnt lgkmcnt(3)
	v_mul_f64 v[12:13], v[136:137], v[14:15]
	v_fmac_f64_e32 v[12:13], v[138:139], v[16:17]
	;; [unrolled: 3-line block ×3, first 2 shown]
	s_waitcnt lgkmcnt(1)
	v_mul_f64 v[20:21], v[128:129], v[142:143]
	ds_read_b128 v[120:123], v1 offset:1616
	v_fmac_f64_e32 v[20:21], v[130:131], v[146:147]
	s_waitcnt lgkmcnt(1)
	v_mul_f64 v[24:25], v[124:125], v[26:27]
	v_fmac_f64_e32 v[24:25], v[126:127], v[28:29]
	v_accvgpr_write_b32 a207, v39
	v_accvgpr_write_b32 a206, v38
	v_mul_f64 v[98:99], v[254:255], v[98:99]
	v_fma_f64 v[252:253], v[252:253], v[100:101], -v[98:99]
	s_waitcnt vmcnt(14)
	v_pk_mov_b32 v[40:41], v[4:5], v[4:5] op_sel:[0,1]
	v_mul_f64 v[4:5], v[50:51], v[84:85]
	v_fmac_f64_e32 v[4:5], v[52:53], v[86:87]
	v_add_f64 v[2:3], v[2:3], v[4:5]
	v_mul_f64 v[4:5], v[220:221], v[96:97]
	v_fmac_f64_e32 v[4:5], v[222:223], v[248:249]
	v_add_f64 v[2:3], v[2:3], v[4:5]
	;; [unrolled: 3-line block ×8, first 2 shown]
	v_add_f64 v[10:11], v[6:7], v[8:9]
	v_add_f64 v[14:15], v[10:11], v[12:13]
	;; [unrolled: 1-line block ×5, first 2 shown]
	ds_read_b128 v[22:25], v1 offset:1632
	s_waitcnt lgkmcnt(1)
	v_mul_f64 v[28:29], v[120:121], v[150:151]
	v_fmac_f64_e32 v[28:29], v[122:123], v[152:153]
	v_add_f64 v[30:31], v[26:27], v[28:29]
	ds_read_b128 v[26:29], v1 offset:1648
	s_waitcnt lgkmcnt(1)
	v_mul_f64 v[32:33], v[22:23], v[34:35]
	v_fmac_f64_e32 v[32:33], v[24:25], v[36:37]
	v_add_f64 v[34:35], v[30:31], v[32:33]
	ds_read_b128 v[30:33], v1 offset:1664
	s_waitcnt lgkmcnt(1)
	v_mul_f64 v[36:37], v[26:27], v[154:155]
	v_fmac_f64_e32 v[36:37], v[28:29], v[156:157]
	v_add_f64 v[166:167], v[34:35], v[36:37]
	ds_read_b128 v[34:37], v1 offset:1680
	s_waitcnt lgkmcnt(1)
	v_mul_f64 v[168:169], v[30:31], v[38:39]
	v_accvgpr_write_b32 a209, v41
	v_fmac_f64_e32 v[168:169], v[32:33], v[40:41]
	v_accvgpr_write_b32 a208, v40
	ds_read_b128 v[38:41], v1 offset:1696
	v_add_f64 v[166:167], v[166:167], v[168:169]
	s_waitcnt vmcnt(9) lgkmcnt(1)
	v_mul_f64 v[168:169], v[34:35], v[158:159]
	s_waitcnt vmcnt(7)
	v_fmac_f64_e32 v[168:169], v[36:37], v[162:163]
	v_add_f64 v[166:167], v[166:167], v[168:169]
	s_waitcnt lgkmcnt(0)
	v_mul_f64 v[168:169], v[38:39], v[140:141]
	s_waitcnt vmcnt(6)
	v_fmac_f64_e32 v[168:169], v[40:41], v[144:145]
	v_add_f64 v[2:3], v[166:167], v[168:169]
	buffer_load_dword v169, off, s[0:3], 0 offset:740
	buffer_load_dword v168, off, s[0:3], 0 offset:736
	;; [unrolled: 1-line block ×10, first 2 shown]
	v_mul_f64 v[4:5], v[112:113], v[48:49]
	v_fma_f64 v[18:19], v[110:111], v[42:43], -v[4:5]
	v_mul_f64 v[42:43], v[116:117], v[54:55]
	v_fma_f64 v[110:111], v[114:115], v[44:45], -v[42:43]
	ds_read_b128 v[42:45], v1 offset:1712
	v_fma_f64 v[112:113], v[176:177], v[82:83], -v[46:47]
	v_mul_f64 v[46:47], v[182:183], v[60:61]
	buffer_load_dword v177, off, s[0:3], 0 offset:796
	buffer_load_dword v176, off, s[0:3], 0 offset:792
	;; [unrolled: 1-line block ×4, first 2 shown]
	v_fma_f64 v[114:115], v[180:181], v[184:185], -v[46:47]
	buffer_load_dword v181, off, s[0:3], 0 offset:812
	buffer_load_dword v180, off, s[0:3], 0 offset:808
	;; [unrolled: 1-line block ×8, first 2 shown]
	v_mul_f64 v[46:47], v[190:191], v[58:59]
	v_fma_f64 v[116:117], v[188:189], v[56:57], -v[46:47]
	buffer_load_dword v188, off, s[0:3], 0 offset:840
	v_mul_f64 v[46:47], v[194:195], v[66:67]
	v_fma_f64 v[14:15], v[192:193], v[208:209], -v[46:47]
	buffer_load_dword v192, off, s[0:3], 0 offset:832
	buffer_load_dword v189, off, s[0:3], 0 offset:844
	;; [unrolled: 1-line block ×3, first 2 shown]
	v_mul_f64 v[8:9], v[198:199], v[62:63]
	v_fma_f64 v[10:11], v[196:197], v[64:65], -v[8:9]
	buffer_load_dword v190, off, s[0:3], 0 offset:872
	buffer_load_dword v197, off, s[0:3], 0 offset:860
	;; [unrolled: 1-line block ×8, first 2 shown]
	v_mul_f64 v[48:49], v[202:203], v[74:75]
	v_fma_f64 v[8:9], v[200:201], v[76:77], -v[48:49]
	buffer_load_dword v201, off, s[0:3], 0 offset:892
	buffer_load_dword v200, off, s[0:3], 0 offset:888
	;; [unrolled: 1-line block ×4, first 2 shown]
	v_mul_f64 v[12:13], v[206:207], v[68:69]
	buffer_load_dword v207, off, s[0:3], 0 offset:908
	buffer_load_dword v206, off, s[0:3], 0 offset:904
	;; [unrolled: 1-line block ×4, first 2 shown]
	v_mul_f64 v[48:49], v[212:213], v[72:73]
	v_fma_f64 v[12:13], v[204:205], v[70:71], -v[12:13]
	v_fma_f64 v[6:7], v[210:211], v[118:119], -v[48:49]
	buffer_load_dword v204, off, s[0:3], 0 offset:936
	buffer_load_dword v213, off, s[0:3], 0 offset:924
	;; [unrolled: 1-line block ×12, first 2 shown]
	s_waitcnt vmcnt(56) lgkmcnt(0)
	v_mul_f64 v[46:47], v[42:43], v[160:161]
	s_waitcnt vmcnt(54)
	v_fmac_f64_e32 v[46:47], v[44:45], v[164:165]
	v_add_f64 v[2:3], v[2:3], v[46:47]
	ds_read_b128 v[46:49], v1 offset:1728
	v_mul_f64 v[16:17], v[52:53], v[84:85]
	v_fma_f64 v[16:17], v[50:51], v[86:87], -v[16:17]
	ds_read_b128 v[50:53], v1 offset:1744
	v_mul_f64 v[54:55], v[222:223], v[96:97]
	v_fma_f64 v[248:249], v[220:221], v[248:249], -v[54:55]
	ds_read_b128 v[54:57], v1 offset:1760
	s_waitcnt lgkmcnt(2)
	v_mul_f64 v[58:59], v[46:47], v[148:149]
	v_mul_f64 v[62:63], v[226:227], v[88:89]
	v_fma_f64 v[86:87], v[224:225], v[90:91], -v[62:63]
	ds_read_b128 v[62:65], v1 offset:1792
	v_mul_f64 v[66:67], v[230:231], v[250:251]
	v_fma_f64 v[88:89], v[228:229], v[214:215], -v[66:67]
	v_mul_f64 v[74:75], v[234:235], v[106:107]
	v_fma_f64 v[214:215], v[232:233], v[108:109], -v[74:75]
	;; [unrolled: 2-line block ×3, first 2 shown]
	ds_read_b128 v[78:81], v1 offset:1856
	v_mul_f64 v[90:91], v[246:247], v[102:103]
	v_fma_f64 v[250:251], v[244:245], v[104:105], -v[90:91]
	v_add_f64 v[18:19], v[18:19], 0
	v_add_f64 v[18:19], v[18:19], v[110:111]
	;; [unrolled: 1-line block ×4, first 2 shown]
	ds_read_b128 v[66:69], v1 offset:1808
	v_add_f64 v[18:19], v[18:19], v[116:117]
	v_add_f64 v[14:15], v[18:19], v[14:15]
	;; [unrolled: 1-line block ×10, first 2 shown]
	ds_read_b128 v[74:77], v1 offset:1840
	v_add_f64 v[6:7], v[6:7], v[214:215]
	v_add_f64 v[4:5], v[6:7], v[4:5]
	v_accvgpr_read_b32 v6, a190
	v_accvgpr_read_b32 v7, a191
	;; [unrolled: 1-line block ×3, first 2 shown]
	v_mul_f64 v[6:7], v[138:139], v[6:7]
	v_accvgpr_read_b32 v9, a193
	v_fma_f64 v[6:7], v[136:137], v[8:9], -v[6:7]
	v_accvgpr_read_b32 v8, a196
	s_waitcnt vmcnt(52)
	v_fmac_f64_e32 v[58:59], v[48:49], v[168:169]
	v_add_f64 v[2:3], v[2:3], v[58:59]
	s_waitcnt vmcnt(49) lgkmcnt(5)
	v_mul_f64 v[58:59], v[50:51], v[172:173]
	s_waitcnt vmcnt(47)
	v_fmac_f64_e32 v[58:59], v[52:53], v[174:175]
	v_add_f64 v[2:3], v[2:3], v[58:59]
	s_waitcnt vmcnt(45) lgkmcnt(4)
	v_mul_f64 v[58:59], v[54:55], v[166:167]
	s_waitcnt vmcnt(44)
	v_fmac_f64_e32 v[58:59], v[56:57], v[170:171]
	v_add_f64 v[2:3], v[2:3], v[58:59]
	ds_read_b128 v[58:61], v1 offset:1776
	ds_read_b128 v[98:101], v1 offset:1936
	v_accvgpr_read_b32 v9, a197
	s_waitcnt vmcnt(42) lgkmcnt(1)
	v_mul_f64 v[70:71], v[58:59], v[176:177]
	s_waitcnt vmcnt(40)
	v_fmac_f64_e32 v[70:71], v[60:61], v[178:179]
	v_add_f64 v[2:3], v[2:3], v[70:71]
	s_waitcnt vmcnt(38)
	v_mul_f64 v[70:71], v[62:63], v[180:181]
	s_waitcnt vmcnt(36)
	v_fmac_f64_e32 v[70:71], v[64:65], v[184:185]
	v_add_f64 v[2:3], v[2:3], v[70:71]
	s_waitcnt vmcnt(34)
	v_mul_f64 v[70:71], v[66:67], v[182:183]
	s_waitcnt vmcnt(32)
	v_fmac_f64_e32 v[70:71], v[68:69], v[186:187]
	v_add_f64 v[2:3], v[2:3], v[70:71]
	ds_read_b128 v[70:73], v1 offset:1824
	s_waitcnt vmcnt(25)
	v_mul_f64 v[20:21], v[74:75], v[196:197]
	s_waitcnt vmcnt(23)
	v_fmac_f64_e32 v[20:21], v[76:77], v[198:199]
	s_waitcnt lgkmcnt(0)
	v_mul_f64 v[82:83], v[70:71], v[188:189]
	v_fmac_f64_e32 v[82:83], v[72:73], v[192:193]
	v_add_f64 v[2:3], v[2:3], v[82:83]
	v_add_f64 v[2:3], v[2:3], v[20:21]
	ds_read_b128 v[82:85], v1 offset:1872
	s_waitcnt vmcnt(21)
	v_mul_f64 v[20:21], v[78:79], v[190:191]
	s_waitcnt vmcnt(20)
	v_fmac_f64_e32 v[20:21], v[80:81], v[194:195]
	v_add_f64 v[2:3], v[2:3], v[20:21]
	v_mul_f64 v[20:21], v[242:243], v[92:93]
	v_fma_f64 v[20:21], v[240:241], v[94:95], -v[20:21]
	ds_read_b128 v[240:243], v1 offset:1888
	ds_read_b128 v[90:93], v1 offset:1904
	s_waitcnt vmcnt(18) lgkmcnt(2)
	v_mul_f64 v[94:95], v[82:83], v[200:201]
	s_waitcnt vmcnt(16)
	v_fmac_f64_e32 v[94:95], v[84:85], v[202:203]
	v_add_f64 v[2:3], v[2:3], v[94:95]
	s_waitcnt vmcnt(14) lgkmcnt(1)
	v_mul_f64 v[94:95], v[240:241], v[206:207]
	s_waitcnt vmcnt(12)
	v_fmac_f64_e32 v[94:95], v[242:243], v[208:209]
	v_add_f64 v[2:3], v[2:3], v[94:95]
	ds_read_b128 v[94:97], v1 offset:1920
	buffer_load_dword v220, off, s[0:3], 0 offset:968
	buffer_load_dword v221, off, s[0:3], 0 offset:972
	;; [unrolled: 1-line block ×4, first 2 shown]
	s_waitcnt vmcnt(13) lgkmcnt(1)
	v_mul_f64 v[102:103], v[90:91], v[212:213]
	s_waitcnt vmcnt(11)
	v_fmac_f64_e32 v[102:103], v[92:93], v[216:217]
	v_add_f64 v[2:3], v[2:3], v[102:103]
	s_waitcnt vmcnt(9) lgkmcnt(0)
	v_mul_f64 v[102:103], v[94:95], v[204:205]
	s_waitcnt vmcnt(8)
	v_fmac_f64_e32 v[102:103], v[96:97], v[210:211]
	v_add_f64 v[2:3], v[2:3], v[102:103]
	s_waitcnt vmcnt(6)
	v_mul_f64 v[102:103], v[98:99], v[118:119]
	s_waitcnt vmcnt(4)
	v_fmac_f64_e32 v[102:103], v[100:101], v[218:219]
	v_add_f64 v[2:3], v[2:3], v[102:103]
	ds_read_b128 v[102:105], v1 offset:1952
	buffer_load_dword v225, off, s[0:3], 0 offset:988
	buffer_load_dword v224, off, s[0:3], 0 offset:984
	buffer_load_dword v227, off, s[0:3], 0 offset:980
	buffer_load_dword v226, off, s[0:3], 0 offset:976
	v_add_f64 v[254:255], v[4:5], v[20:21]
	v_add_f64 v[4:5], v[254:255], v[250:251]
	v_add_f64 v[4:5], v[4:5], v[252:253]
	v_add_f64 v[4:5], v[4:5], v[6:7]
	v_accvgpr_read_b32 v6, a194
	v_accvgpr_read_b32 v7, a195
	v_mul_f64 v[6:7], v[134:135], v[6:7]
	v_fma_f64 v[6:7], v[132:133], v[8:9], -v[6:7]
	v_add_f64 v[4:5], v[4:5], v[6:7]
	v_mul_f64 v[6:7], v[130:131], v[142:143]
	v_fma_f64 v[6:7], v[128:129], v[146:147], -v[6:7]
	v_add_f64 v[4:5], v[4:5], v[6:7]
	v_accvgpr_read_b32 v6, a198
	v_accvgpr_read_b32 v7, a199
	v_accvgpr_read_b32 v8, a200
	v_mul_f64 v[6:7], v[126:127], v[6:7]
	v_accvgpr_read_b32 v9, a201
	v_fma_f64 v[6:7], v[124:125], v[8:9], -v[6:7]
	v_add_f64 v[4:5], v[4:5], v[6:7]
	v_mul_f64 v[6:7], v[122:123], v[150:151]
	v_fma_f64 v[6:7], v[120:121], v[152:153], -v[6:7]
	v_add_f64 v[4:5], v[4:5], v[6:7]
	v_accvgpr_read_b32 v6, a202
	v_accvgpr_read_b32 v7, a203
	v_accvgpr_read_b32 v8, a204
	v_mul_f64 v[6:7], v[24:25], v[6:7]
	v_accvgpr_read_b32 v9, a205
	;; [unrolled: 10-line block ×3, first 2 shown]
	v_fma_f64 v[6:7], v[30:31], v[8:9], -v[6:7]
	v_add_f64 v[4:5], v[4:5], v[6:7]
	v_mul_f64 v[6:7], v[36:37], v[158:159]
	v_fma_f64 v[6:7], v[34:35], v[162:163], -v[6:7]
	v_add_f64 v[4:5], v[4:5], v[6:7]
	v_mul_f64 v[6:7], v[40:41], v[140:141]
	;; [unrolled: 3-line block ×9, first 2 shown]
	v_fma_f64 v[6:7], v[66:67], v[186:187], -v[6:7]
	v_add_f64 v[4:5], v[4:5], v[6:7]
	s_waitcnt vmcnt(6) lgkmcnt(0)
	v_mul_f64 v[106:107], v[102:103], v[220:221]
	v_mul_f64 v[6:7], v[72:73], v[188:189]
	s_waitcnt vmcnt(4)
	v_fmac_f64_e32 v[106:107], v[104:105], v[222:223]
	v_add_f64 v[2:3], v[2:3], v[106:107]
	ds_read_b128 v[106:109], v1 offset:1968
	v_fma_f64 v[6:7], v[70:71], v[192:193], -v[6:7]
	v_add_f64 v[4:5], v[4:5], v[6:7]
	v_mul_f64 v[6:7], v[76:77], v[196:197]
	v_fma_f64 v[6:7], v[74:75], v[198:199], -v[6:7]
	v_add_f64 v[4:5], v[4:5], v[6:7]
	v_mul_f64 v[6:7], v[80:81], v[190:191]
	s_waitcnt vmcnt(2) lgkmcnt(0)
	v_mul_f64 v[228:229], v[106:107], v[224:225]
	v_fma_f64 v[6:7], v[78:79], v[194:195], -v[6:7]
	s_waitcnt vmcnt(0)
	v_fmac_f64_e32 v[228:229], v[108:109], v[226:227]
	v_add_f64 v[2:3], v[2:3], v[228:229]
	buffer_load_dword v228, off, s[0:3], 0 offset:1000
	buffer_load_dword v229, off, s[0:3], 0 offset:1004
	;; [unrolled: 1-line block ×4, first 2 shown]
	ds_read_b128 v[236:239], v1 offset:1984
	buffer_load_dword v235, off, s[0:3], 0 offset:1020
	buffer_load_dword v234, off, s[0:3], 0 offset:1016
	;; [unrolled: 1-line block ×4, first 2 shown]
	v_add_f64 v[4:5], v[4:5], v[6:7]
	v_mul_f64 v[6:7], v[84:85], v[200:201]
	v_fma_f64 v[6:7], v[82:83], v[202:203], -v[6:7]
	v_add_f64 v[4:5], v[4:5], v[6:7]
	v_mul_f64 v[6:7], v[242:243], v[206:207]
	v_fma_f64 v[6:7], v[240:241], v[208:209], -v[6:7]
	v_add_f64 v[4:5], v[4:5], v[6:7]
	v_mul_f64 v[6:7], v[92:93], v[212:213]
	v_fma_f64 v[6:7], v[90:91], v[216:217], -v[6:7]
	v_add_f64 v[4:5], v[4:5], v[6:7]
	v_mul_f64 v[6:7], v[96:97], v[204:205]
	v_fma_f64 v[6:7], v[94:95], v[210:211], -v[6:7]
	v_add_f64 v[4:5], v[4:5], v[6:7]
	v_mul_f64 v[6:7], v[100:101], v[118:119]
	v_fma_f64 v[6:7], v[98:99], v[218:219], -v[6:7]
	v_add_f64 v[4:5], v[4:5], v[6:7]
	v_mul_f64 v[6:7], v[104:105], v[220:221]
	v_fma_f64 v[6:7], v[102:103], v[222:223], -v[6:7]
	v_add_f64 v[4:5], v[4:5], v[6:7]
	v_mul_f64 v[6:7], v[108:109], v[224:225]
	v_fma_f64 v[6:7], v[106:107], v[226:227], -v[6:7]
	v_add_f64 v[4:5], v[4:5], v[6:7]
	s_waitcnt vmcnt(6) lgkmcnt(0)
	v_mul_f64 v[232:233], v[236:237], v[228:229]
	v_mul_f64 v[6:7], v[238:239], v[228:229]
	s_waitcnt vmcnt(4)
	v_fmac_f64_e32 v[232:233], v[238:239], v[230:231]
	v_add_f64 v[232:233], v[2:3], v[232:233]
	ds_read_b128 v[0:3], v1 offset:2000
	v_fma_f64 v[6:7], v[236:237], v[230:231], -v[6:7]
	v_add_f64 v[4:5], v[4:5], v[6:7]
	s_waitcnt vmcnt(2) lgkmcnt(0)
	v_mul_f64 v[246:247], v[0:1], v[234:235]
	s_waitcnt vmcnt(0)
	v_fmac_f64_e32 v[246:247], v[2:3], v[244:245]
	v_add_f64 v[232:233], v[232:233], v[246:247]
	buffer_load_dword v248, off, s[0:3], 0 offset:240
	buffer_load_dword v249, off, s[0:3], 0 offset:244
	buffer_load_dword v246, off, s[0:3], 0 offset:248
	buffer_load_dword v247, off, s[0:3], 0 offset:252
	v_mul_f64 v[2:3], v[2:3], v[234:235]
	v_fma_f64 v[0:1], v[0:1], v[244:245], -v[2:3]
	v_add_f64 v[0:1], v[4:5], v[0:1]
	s_waitcnt vmcnt(2)
	v_add_f64 v[0:1], v[248:249], -v[0:1]
	s_waitcnt vmcnt(0)
	v_add_f64 v[2:3], v[246:247], -v[232:233]
	buffer_store_dword v1, off, s[0:3], 0 offset:244
	buffer_store_dword v0, off, s[0:3], 0 offset:240
	;; [unrolled: 1-line block ×4, first 2 shown]
	v_accvgpr_read_b32 v0, a188
	v_cmp_lt_u32_e32 vcc, 13, v0
	s_and_saveexec_b64 s[4:5], vcc
	s_cbranch_execz .LBB126_377
; %bb.376:
	v_accvgpr_read_b32 v0, a175
	buffer_load_dword v2, v0, s[0:3], 0 offen
	buffer_load_dword v3, v0, s[0:3], 0 offen offset:4
	buffer_load_dword v4, v0, s[0:3], 0 offen offset:8
	;; [unrolled: 1-line block ×3, first 2 shown]
	v_mov_b32_e32 v0, 0
	v_accvgpr_read_b32 v1, a189
	buffer_store_dword v0, off, s[0:3], 0 offset:224
	buffer_store_dword v0, off, s[0:3], 0 offset:228
	;; [unrolled: 1-line block ×4, first 2 shown]
	s_waitcnt vmcnt(4)
	ds_write_b128 v1, v[2:5]
.LBB126_377:
	s_or_b64 exec, exec, s[4:5]
	s_waitcnt lgkmcnt(0)
	; wave barrier
	s_waitcnt lgkmcnt(0)
	buffer_load_dword v38, off, s[0:3], 0 offset:240
	buffer_load_dword v39, off, s[0:3], 0 offset:244
	;; [unrolled: 1-line block ×42, first 2 shown]
	v_mov_b32_e32 v1, 0
	buffer_load_dword v99, off, s[0:3], 0 offset:388
	buffer_load_dword v98, off, s[0:3], 0 offset:384
	;; [unrolled: 1-line block ×7, first 2 shown]
	ds_read_b128 v[108:111], v1 offset:1232
	ds_read_b128 v[112:115], v1 offset:1248
	;; [unrolled: 1-line block ×11, first 2 shown]
	v_accvgpr_read_b32 v0, a188
	v_cmp_lt_u32_e32 vcc, 12, v0
	s_waitcnt vmcnt(45) lgkmcnt(10)
	v_mul_f64 v[2:3], v[108:109], v[40:41]
	v_fmac_f64_e32 v[2:3], v[110:111], v[38:39]
	v_add_f64 v[2:3], v[2:3], 0
	v_mul_f64 v[40:41], v[110:111], v[40:41]
	s_waitcnt vmcnt(41) lgkmcnt(9)
	v_mul_f64 v[4:5], v[112:113], v[46:47]
	v_fmac_f64_e32 v[4:5], v[114:115], v[44:45]
	v_add_f64 v[2:3], v[2:3], v[4:5]
	buffer_load_dword v84, off, s[0:3], 0 offset:424
	buffer_load_dword v253, off, s[0:3], 0 offset:420
	buffer_load_dword v252, off, s[0:3], 0 offset:416
	buffer_load_dword v105, off, s[0:3], 0 offset:476
	buffer_load_dword v104, off, s[0:3], 0 offset:472
	buffer_load_dword v107, off, s[0:3], 0 offset:468
	buffer_load_dword v106, off, s[0:3], 0 offset:464
	buffer_load_dword v255, off, s[0:3], 0 offset:460
	buffer_load_dword v254, off, s[0:3], 0 offset:456
	buffer_load_dword v177, off, s[0:3], 0 offset:452
	buffer_load_dword v176, off, s[0:3], 0 offset:448
	buffer_load_dword v87, off, s[0:3], 0 offset:508
	buffer_load_dword v86, off, s[0:3], 0 offset:504
	buffer_load_dword v89, off, s[0:3], 0 offset:500
	buffer_load_dword v88, off, s[0:3], 0 offset:496
	buffer_load_dword v71, off, s[0:3], 0 offset:492
	buffer_load_dword v70, off, s[0:3], 0 offset:488
	buffer_load_dword v73, off, s[0:3], 0 offset:484
	buffer_load_dword v72, off, s[0:3], 0 offset:480
	buffer_load_dword v91, off, s[0:3], 0 offset:540
	buffer_load_dword v90, off, s[0:3], 0 offset:536
	buffer_load_dword v93, off, s[0:3], 0 offset:532
	buffer_load_dword v92, off, s[0:3], 0 offset:528
	buffer_load_dword v101, off, s[0:3], 0 offset:524
	buffer_load_dword v100, off, s[0:3], 0 offset:520
	buffer_load_dword v103, off, s[0:3], 0 offset:516
	buffer_load_dword v102, off, s[0:3], 0 offset:512
	buffer_load_dword v5, off, s[0:3], 0 offset:572
	buffer_load_dword v4, off, s[0:3], 0 offset:568
	s_waitcnt vmcnt(62) lgkmcnt(8)
	v_mul_f64 v[6:7], v[116:117], v[42:43]
	s_waitcnt lgkmcnt(6)
	v_mul_f64 v[10:11], v[182:183], v[48:49]
	v_fmac_f64_e32 v[10:11], v[184:185], v[50:51]
	v_mul_f64 v[42:43], v[118:119], v[42:43]
	v_mul_f64 v[8:9], v[172:173], v[52:53]
	;; [unrolled: 1-line block ×3, first 2 shown]
	s_waitcnt vmcnt(60) lgkmcnt(4)
	v_mul_f64 v[14:15], v[192:193], v[56:57]
	s_waitcnt vmcnt(58)
	v_fmac_f64_e32 v[14:15], v[194:195], v[54:55]
	s_waitcnt vmcnt(56)
	v_mul_f64 v[12:13], v[186:187], v[58:59]
	s_waitcnt vmcnt(54) lgkmcnt(2)
	v_mul_f64 v[18:19], v[200:201], v[64:65]
	s_waitcnt vmcnt(51)
	v_mul_f64 v[16:17], v[196:197], v[66:67]
	s_waitcnt vmcnt(49) lgkmcnt(1)
	v_mul_f64 v[20:21], v[204:205], v[60:61]
	s_waitcnt vmcnt(47)
	v_fmac_f64_e32 v[6:7], v[118:119], v[74:75]
	v_add_f64 v[2:3], v[2:3], v[6:7]
	s_waitcnt vmcnt(45)
	v_fmac_f64_e32 v[8:9], v[174:175], v[178:179]
	v_add_f64 v[2:3], v[2:3], v[8:9]
	;; [unrolled: 3-line block ×3, first 2 shown]
	v_add_f64 v[2:3], v[2:3], v[12:13]
	v_add_f64 v[2:3], v[2:3], v[14:15]
	s_waitcnt vmcnt(41)
	v_fmac_f64_e32 v[16:17], v[198:199], v[68:69]
	v_add_f64 v[2:3], v[2:3], v[16:17]
	s_waitcnt vmcnt(40)
	v_fmac_f64_e32 v[18:19], v[202:203], v[62:63]
	;; [unrolled: 3-line block ×3, first 2 shown]
	v_add_f64 v[2:3], v[2:3], v[20:21]
	v_fma_f64 v[110:111], v[116:117], v[74:75], -v[42:43]
	v_mul_f64 v[42:43], v[174:175], v[52:53]
	s_waitcnt vmcnt(0)
	v_pk_mov_b32 v[14:15], v[4:5], v[4:5] op_sel:[0,1]
	buffer_load_dword v5, off, s[0:3], 0 offset:564
	buffer_load_dword v4, off, s[0:3], 0 offset:560
	v_accvgpr_write_b32 a191, v15
	v_accvgpr_write_b32 a190, v14
	s_waitcnt vmcnt(0)
	v_pk_mov_b32 v[16:17], v[4:5], v[4:5] op_sel:[0,1]
	buffer_load_dword v95, off, s[0:3], 0 offset:556
	buffer_load_dword v94, off, s[0:3], 0 offset:552
	;; [unrolled: 1-line block ×6, first 2 shown]
	v_accvgpr_write_b32 a193, v17
	v_accvgpr_write_b32 a192, v16
	s_waitcnt vmcnt(0)
	v_pk_mov_b32 v[22:23], v[4:5], v[4:5] op_sel:[0,1]
	buffer_load_dword v5, off, s[0:3], 0 offset:596
	buffer_load_dword v4, off, s[0:3], 0 offset:592
	v_accvgpr_write_b32 a197, v23
	v_accvgpr_write_b32 a196, v22
	s_waitcnt vmcnt(0)
	v_pk_mov_b32 v[24:25], v[4:5], v[4:5] op_sel:[0,1]
	buffer_load_dword v5, off, s[0:3], 0 offset:588
	buffer_load_dword v4, off, s[0:3], 0 offset:584
	;; [unrolled: 6-line block ×3, first 2 shown]
	buffer_load_dword v5, off, s[0:3], 0 offset:636
	buffer_load_dword v4, off, s[0:3], 0 offset:632
	v_accvgpr_write_b32 a195, v19
	v_accvgpr_write_b32 a194, v18
	s_waitcnt vmcnt(0)
	v_pk_mov_b32 v[30:31], v[4:5], v[4:5] op_sel:[0,1]
	buffer_load_dword v5, off, s[0:3], 0 offset:628
	buffer_load_dword v4, off, s[0:3], 0 offset:624
	v_accvgpr_write_b32 a201, v31
	v_accvgpr_write_b32 a200, v30
	s_waitcnt vmcnt(0)
	v_pk_mov_b32 v[32:33], v[4:5], v[4:5] op_sel:[0,1]
	buffer_load_dword v149, off, s[0:3], 0 offset:620
	buffer_load_dword v148, off, s[0:3], 0 offset:616
	buffer_load_dword v151, off, s[0:3], 0 offset:612
	buffer_load_dword v150, off, s[0:3], 0 offset:608
	buffer_load_dword v5, off, s[0:3], 0 offset:668
	buffer_load_dword v4, off, s[0:3], 0 offset:664
	v_accvgpr_write_b32 a203, v33
	v_accvgpr_write_b32 a202, v32
	s_waitcnt vmcnt(0)
	v_pk_mov_b32 v[164:165], v[4:5], v[4:5] op_sel:[0,1]
	buffer_load_dword v5, off, s[0:3], 0 offset:660
	buffer_load_dword v4, off, s[0:3], 0 offset:656
	v_accvgpr_write_b32 a205, v165
	v_accvgpr_write_b32 a204, v164
	s_waitcnt vmcnt(0)
	v_pk_mov_b32 v[166:167], v[4:5], v[4:5] op_sel:[0,1]
	buffer_load_dword v153, off, s[0:3], 0 offset:652
	buffer_load_dword v152, off, s[0:3], 0 offset:648
	buffer_load_dword v155, off, s[0:3], 0 offset:644
	buffer_load_dword v154, off, s[0:3], 0 offset:640
	;; [unrolled: 16-line block ×3, first 2 shown]
	buffer_load_dword v5, off, s[0:3], 0 offset:732
	buffer_load_dword v4, off, s[0:3], 0 offset:728
	buffer_load_dword v147, off, s[0:3], 0 offset:724
	buffer_load_dword v146, off, s[0:3], 0 offset:720
	buffer_load_dword v161, off, s[0:3], 0 offset:716
	buffer_load_dword v160, off, s[0:3], 0 offset:712
	buffer_load_dword v163, off, s[0:3], 0 offset:708
	buffer_load_dword v162, off, s[0:3], 0 offset:704
	ds_read_b128 v[216:219], v1 offset:1408
	ds_read_b128 v[220:223], v1 offset:1424
	;; [unrolled: 1-line block ×14, first 2 shown]
	s_waitcnt lgkmcnt(5)
	v_mul_f64 v[8:9], v[248:249], v[94:95]
	v_fmac_f64_e32 v[8:9], v[250:251], v[96:97]
	s_waitcnt lgkmcnt(4)
	v_mul_f64 v[12:13], v[140:141], v[14:15]
	v_fmac_f64_e32 v[12:13], v[142:143], v[16:17]
	s_waitcnt lgkmcnt(3)
	v_mul_f64 v[16:17], v[136:137], v[18:19]
	ds_read_b128 v[120:123], v1 offset:1632
	v_fmac_f64_e32 v[16:17], v[138:139], v[144:145]
	s_waitcnt lgkmcnt(3)
	v_mul_f64 v[20:21], v[132:133], v[22:23]
	v_fmac_f64_e32 v[20:21], v[134:135], v[24:25]
	s_waitcnt lgkmcnt(2)
	v_mul_f64 v[24:25], v[128:129], v[148:149]
	;; [unrolled: 3-line block ×3, first 2 shown]
	v_fmac_f64_e32 v[28:29], v[126:127], v[32:33]
	v_accvgpr_write_b32 a211, v171
	v_accvgpr_write_b32 a210, v170
	v_mul_f64 v[94:95], v[250:251], v[94:95]
	v_fma_f64 v[250:251], v[248:249], v[96:97], -v[94:95]
	s_waitcnt vmcnt(6)
	v_pk_mov_b32 v[212:213], v[4:5], v[4:5] op_sel:[0,1]
	v_mul_f64 v[4:5], v[208:209], v[76:77]
	v_fmac_f64_e32 v[4:5], v[210:211], v[82:83]
	v_add_f64 v[2:3], v[2:3], v[4:5]
	v_mul_f64 v[4:5], v[216:217], v[84:85]
	v_fmac_f64_e32 v[4:5], v[218:219], v[252:253]
	v_add_f64 v[2:3], v[2:3], v[4:5]
	;; [unrolled: 3-line block ×9, first 2 shown]
	v_add_f64 v[10:11], v[6:7], v[8:9]
	v_add_f64 v[14:15], v[10:11], v[12:13]
	;; [unrolled: 1-line block ×6, first 2 shown]
	ds_read_b128 v[26:29], v1 offset:1648
	s_waitcnt lgkmcnt(1)
	v_mul_f64 v[32:33], v[120:121], v[152:153]
	v_fmac_f64_e32 v[32:33], v[122:123], v[154:155]
	v_add_f64 v[34:35], v[30:31], v[32:33]
	ds_read_b128 v[30:33], v1 offset:1664
	s_waitcnt lgkmcnt(1)
	v_mul_f64 v[36:37], v[26:27], v[164:165]
	v_fmac_f64_e32 v[36:37], v[28:29], v[166:167]
	v_add_f64 v[164:165], v[34:35], v[36:37]
	ds_read_b128 v[34:37], v1 offset:1680
	s_waitcnt lgkmcnt(1)
	v_mul_f64 v[4:5], v[30:31], v[156:157]
	v_fmac_f64_e32 v[4:5], v[32:33], v[158:159]
	v_fma_f64 v[18:19], v[108:109], v[38:39], -v[40:41]
	ds_read_b128 v[38:41], v1 offset:1696
	v_add_f64 v[4:5], v[164:165], v[4:5]
	buffer_load_dword v165, off, s[0:3], 0 offset:748
	buffer_load_dword v164, off, s[0:3], 0 offset:744
	;; [unrolled: 1-line block ×4, first 2 shown]
	s_waitcnt lgkmcnt(1)
	v_mul_f64 v[108:109], v[34:35], v[168:169]
	v_fmac_f64_e32 v[108:109], v[36:37], v[170:171]
	buffer_load_dword v22, off, s[0:3], 0 offset:760
	buffer_load_dword v170, off, s[0:3], 0 offset:752
	;; [unrolled: 1-line block ×4, first 2 shown]
	v_fma_f64 v[168:169], v[112:113], v[44:45], -v[46:47]
	v_fma_f64 v[112:113], v[172:173], v[178:179], -v[42:43]
	buffer_load_dword v173, off, s[0:3], 0 offset:796
	buffer_load_dword v175, off, s[0:3], 0 offset:780
	;; [unrolled: 1-line block ×8, first 2 shown]
	v_mul_f64 v[46:47], v[184:185], v[48:49]
	ds_read_b128 v[42:45], v1 offset:1712
	v_fma_f64 v[114:115], v[182:183], v[50:51], -v[46:47]
	buffer_load_dword v118, off, s[0:3], 0 offset:824
	buffer_load_dword v183, off, s[0:3], 0 offset:812
	buffer_load_dword v182, off, s[0:3], 0 offset:808
	buffer_load_dword v185, off, s[0:3], 0 offset:804
	buffer_load_dword v184, off, s[0:3], 0 offset:800
	v_mul_f64 v[46:47], v[188:189], v[58:59]
	v_fma_f64 v[116:117], v[186:187], v[190:191], -v[46:47]
	buffer_load_dword v186, off, s[0:3], 0 offset:816
	buffer_load_dword v119, off, s[0:3], 0 offset:828
	;; [unrolled: 1-line block ×7, first 2 shown]
	v_mul_f64 v[8:9], v[198:199], v[66:67]
	v_mul_f64 v[46:47], v[194:195], v[56:57]
	v_fma_f64 v[10:11], v[196:197], v[68:69], -v[8:9]
	buffer_load_dword v194, off, s[0:3], 0 offset:856
	buffer_load_dword v196, off, s[0:3], 0 offset:848
	;; [unrolled: 1-line block ×4, first 2 shown]
	v_fma_f64 v[14:15], v[192:193], v[54:55], -v[46:47]
	v_mul_f64 v[46:47], v[202:203], v[64:65]
	v_fma_f64 v[8:9], v[200:201], v[62:63], -v[46:47]
	buffer_load_dword v193, off, s[0:3], 0 offset:892
	buffer_load_dword v199, off, s[0:3], 0 offset:876
	;; [unrolled: 1-line block ×8, first 2 shown]
	v_mul_f64 v[50:51], v[206:207], v[60:61]
	ds_read_b128 v[46:49], v1 offset:1728
	v_fma_f64 v[6:7], v[204:205], v[98:99], -v[50:51]
	buffer_load_dword v205, off, s[0:3], 0 offset:908
	buffer_load_dword v204, off, s[0:3], 0 offset:904
	;; [unrolled: 1-line block ×4, first 2 shown]
	v_accvgpr_write_b32 a212, v212
	v_mul_f64 v[16:17], v[210:211], v[76:77]
	s_waitcnt lgkmcnt(1)
	v_mul_f64 v[12:13], v[42:43], v[212:213]
	v_accvgpr_write_b32 a213, v213
	v_fma_f64 v[16:17], v[208:209], v[82:83], -v[16:17]
	buffer_load_dword v208, off, s[0:3], 0 offset:920
	buffer_load_dword v210, off, s[0:3], 0 offset:912
	;; [unrolled: 1-line block ×8, first 2 shown]
	v_mul_f64 v[50:51], v[218:219], v[84:85]
	v_fma_f64 v[252:253], v[216:217], v[252:253], -v[50:51]
	buffer_load_dword v216, off, s[0:3], 0 offset:952
	buffer_load_dword v218, off, s[0:3], 0 offset:944
	;; [unrolled: 1-line block ×4, first 2 shown]
	v_add_f64 v[4:5], v[4:5], v[108:109]
	s_waitcnt vmcnt(58)
	v_mul_f64 v[108:109], v[38:39], v[160:161]
	s_waitcnt vmcnt(56)
	v_fmac_f64_e32 v[108:109], v[40:41], v[162:163]
	v_add_f64 v[108:109], v[4:5], v[108:109]
	v_fmac_f64_e32 v[12:13], v[44:45], v[146:147]
	v_add_f64 v[12:13], v[108:109], v[12:13]
	v_mul_f64 v[54:55], v[222:223], v[78:79]
	v_fma_f64 v[220:221], v[220:221], v[80:81], -v[54:55]
	v_mul_f64 v[58:59], v[226:227], v[254:255]
	v_fma_f64 v[176:177], v[224:225], v[176:177], -v[58:59]
	ds_read_b128 v[58:61], v1 offset:1776
	v_mul_f64 v[66:67], v[230:231], v[104:105]
	v_fma_f64 v[254:255], v[228:229], v[106:107], -v[66:67]
	ds_read_b128 v[66:69], v1 offset:1808
	;; [unrolled: 3-line block ×4, first 2 shown]
	v_add_f64 v[18:19], v[18:19], 0
	v_add_f64 v[18:19], v[18:19], v[168:169]
	;; [unrolled: 1-line block ×7, first 2 shown]
	ds_read_b128 v[70:73], v1 offset:1824
	v_add_f64 v[10:11], v[14:15], v[10:11]
	v_add_f64 v[8:9], v[10:11], v[8:9]
	;; [unrolled: 1-line block ×6, first 2 shown]
	ds_read_b128 v[78:81], v1 offset:1856
	v_add_f64 v[6:7], v[6:7], v[176:177]
	v_add_f64 v[6:7], v[6:7], v[254:255]
	;; [unrolled: 1-line block ×3, first 2 shown]
	v_accvgpr_read_b32 v6, a192
	v_accvgpr_read_b32 v7, a193
	ds_read_b128 v[94:97], v1 offset:1920
	s_waitcnt vmcnt(54) lgkmcnt(7)
	v_mul_f64 v[50:51], v[46:47], v[164:165]
	s_waitcnt vmcnt(52)
	v_fmac_f64_e32 v[50:51], v[48:49], v[166:167]
	v_add_f64 v[12:13], v[12:13], v[50:51]
	ds_read_b128 v[50:53], v1 offset:1744
	s_waitcnt vmcnt(49) lgkmcnt(0)
	v_mul_f64 v[62:63], v[50:51], v[22:23]
	s_waitcnt vmcnt(48)
	v_fmac_f64_e32 v[62:63], v[52:53], v[170:171]
	v_add_f64 v[12:13], v[12:13], v[62:63]
	s_waitcnt vmcnt(45)
	v_mul_f64 v[62:63], v[54:55], v[174:175]
	s_waitcnt vmcnt(43)
	v_fmac_f64_e32 v[62:63], v[56:57], v[180:181]
	v_add_f64 v[12:13], v[12:13], v[62:63]
	s_waitcnt vmcnt(42)
	v_mul_f64 v[62:63], v[58:59], v[172:173]
	s_waitcnt vmcnt(40)
	v_fmac_f64_e32 v[62:63], v[60:61], v[178:179]
	v_add_f64 v[12:13], v[12:13], v[62:63]
	ds_read_b128 v[62:65], v1 offset:1792
	s_waitcnt vmcnt(33)
	v_mul_f64 v[20:21], v[66:67], v[118:119]
	s_waitcnt vmcnt(32)
	v_fmac_f64_e32 v[20:21], v[68:69], v[186:187]
	s_waitcnt vmcnt(21)
	v_mul_f64 v[24:25], v[78:79], v[198:199]
	s_waitcnt vmcnt(19)
	v_fmac_f64_e32 v[24:25], v[80:81], v[202:203]
	s_waitcnt lgkmcnt(0)
	v_mul_f64 v[74:75], v[62:63], v[182:183]
	v_fmac_f64_e32 v[74:75], v[64:65], v[184:185]
	v_add_f64 v[12:13], v[12:13], v[74:75]
	ds_read_b128 v[74:77], v1 offset:1840
	v_add_f64 v[12:13], v[12:13], v[20:21]
	v_mul_f64 v[20:21], v[70:71], v[188:189]
	v_fmac_f64_e32 v[20:21], v[72:73], v[190:191]
	v_add_f64 v[12:13], v[12:13], v[20:21]
	v_mul_f64 v[20:21], v[238:239], v[86:87]
	s_waitcnt lgkmcnt(0)
	v_mul_f64 v[86:87], v[74:75], v[194:195]
	v_fmac_f64_e32 v[86:87], v[76:77], v[196:197]
	v_add_f64 v[12:13], v[12:13], v[86:87]
	v_fma_f64 v[20:21], v[236:237], v[88:89], -v[20:21]
	v_add_f64 v[12:13], v[12:13], v[24:25]
	ds_read_b128 v[86:89], v1 offset:1888
	s_waitcnt vmcnt(18)
	v_mul_f64 v[24:25], v[82:83], v[192:193]
	s_waitcnt vmcnt(16)
	v_fmac_f64_e32 v[24:25], v[84:85], v[200:201]
	v_add_f64 v[12:13], v[12:13], v[24:25]
	v_mul_f64 v[24:25], v[246:247], v[90:91]
	v_fma_f64 v[24:25], v[244:245], v[92:93], -v[24:25]
	ds_read_b128 v[90:93], v1 offset:1904
	s_waitcnt vmcnt(14) lgkmcnt(1)
	v_mul_f64 v[98:99], v[86:87], v[204:205]
	s_waitcnt vmcnt(12)
	v_fmac_f64_e32 v[98:99], v[88:89], v[206:207]
	v_add_f64 v[12:13], v[12:13], v[98:99]
	v_add_f64 v[4:5], v[4:5], v[20:21]
	s_waitcnt vmcnt(9) lgkmcnt(0)
	v_mul_f64 v[98:99], v[90:91], v[208:209]
	s_waitcnt vmcnt(8)
	v_fmac_f64_e32 v[98:99], v[92:93], v[210:211]
	v_add_f64 v[12:13], v[12:13], v[98:99]
	s_waitcnt vmcnt(6)
	v_mul_f64 v[98:99], v[94:95], v[212:213]
	s_waitcnt vmcnt(4)
	v_fmac_f64_e32 v[98:99], v[96:97], v[214:215]
	v_add_f64 v[12:13], v[12:13], v[98:99]
	ds_read_b128 v[98:101], v1 offset:1936
	v_add_f64 v[2:3], v[4:5], v[2:3]
	v_accvgpr_read_b32 v4, a190
	v_accvgpr_read_b32 v5, a191
	v_add_f64 v[252:253], v[2:3], v[24:25]
	s_waitcnt vmcnt(1) lgkmcnt(0)
	v_mul_f64 v[102:103], v[98:99], v[216:217]
	s_waitcnt vmcnt(0)
	v_fmac_f64_e32 v[102:103], v[100:101], v[218:219]
	v_add_f64 v[106:107], v[12:13], v[102:103]
	buffer_load_dword v13, off, s[0:3], 0 offset:972
	buffer_load_dword v12, off, s[0:3], 0 offset:968
	;; [unrolled: 1-line block ×4, first 2 shown]
	ds_read_b128 v[102:105], v1 offset:1952
	buffer_load_dword v224, off, s[0:3], 0 offset:984
	buffer_load_dword v225, off, s[0:3], 0 offset:988
	;; [unrolled: 1-line block ×4, first 2 shown]
	v_mul_f64 v[4:5], v[142:143], v[4:5]
	v_add_f64 v[2:3], v[252:253], v[250:251]
	v_fma_f64 v[4:5], v[140:141], v[6:7], -v[4:5]
	v_add_f64 v[2:3], v[2:3], v[4:5]
	v_accvgpr_read_b32 v4, a194
	v_accvgpr_read_b32 v5, a195
	v_mul_f64 v[4:5], v[138:139], v[4:5]
	v_fma_f64 v[4:5], v[136:137], v[144:145], -v[4:5]
	v_add_f64 v[2:3], v[2:3], v[4:5]
	v_accvgpr_read_b32 v4, a196
	v_accvgpr_read_b32 v5, a197
	v_accvgpr_read_b32 v6, a198
	v_mul_f64 v[4:5], v[134:135], v[4:5]
	v_accvgpr_read_b32 v7, a199
	v_fma_f64 v[4:5], v[132:133], v[6:7], -v[4:5]
	v_add_f64 v[2:3], v[2:3], v[4:5]
	v_mul_f64 v[4:5], v[130:131], v[148:149]
	v_fma_f64 v[4:5], v[128:129], v[150:151], -v[4:5]
	v_add_f64 v[2:3], v[2:3], v[4:5]
	v_accvgpr_read_b32 v4, a200
	v_accvgpr_read_b32 v5, a201
	v_accvgpr_read_b32 v6, a202
	v_mul_f64 v[4:5], v[126:127], v[4:5]
	v_accvgpr_read_b32 v7, a203
	v_fma_f64 v[4:5], v[124:125], v[6:7], -v[4:5]
	v_add_f64 v[2:3], v[2:3], v[4:5]
	;; [unrolled: 10-line block ×4, first 2 shown]
	v_mul_f64 v[4:5], v[40:41], v[160:161]
	v_fma_f64 v[4:5], v[38:39], v[162:163], -v[4:5]
	v_add_f64 v[2:3], v[2:3], v[4:5]
	v_accvgpr_read_b32 v4, a212
	v_accvgpr_read_b32 v5, a213
	v_mul_f64 v[4:5], v[44:45], v[4:5]
	v_fma_f64 v[4:5], v[42:43], v[146:147], -v[4:5]
	v_add_f64 v[2:3], v[2:3], v[4:5]
	v_mul_f64 v[4:5], v[48:49], v[164:165]
	v_fma_f64 v[4:5], v[46:47], v[166:167], -v[4:5]
	v_add_f64 v[2:3], v[2:3], v[4:5]
	;; [unrolled: 3-line block ×8, first 2 shown]
	s_waitcnt vmcnt(6) lgkmcnt(0)
	v_mul_f64 v[108:109], v[102:103], v[12:13]
	v_mul_f64 v[4:5], v[76:77], v[194:195]
	s_waitcnt vmcnt(4)
	v_fmac_f64_e32 v[108:109], v[104:105], v[222:223]
	v_add_f64 v[228:229], v[106:107], v[108:109]
	ds_read_b128 v[106:109], v1 offset:1968
	v_fma_f64 v[4:5], v[74:75], v[196:197], -v[4:5]
	v_add_f64 v[2:3], v[2:3], v[4:5]
	v_mul_f64 v[4:5], v[80:81], v[198:199]
	v_fma_f64 v[4:5], v[78:79], v[202:203], -v[4:5]
	s_waitcnt vmcnt(2) lgkmcnt(0)
	v_mul_f64 v[230:231], v[106:107], v[224:225]
	s_waitcnt vmcnt(0)
	v_fmac_f64_e32 v[230:231], v[108:109], v[226:227]
	v_add_f64 v[232:233], v[228:229], v[230:231]
	buffer_load_dword v229, off, s[0:3], 0 offset:1004
	buffer_load_dword v228, off, s[0:3], 0 offset:1000
	;; [unrolled: 1-line block ×4, first 2 shown]
	ds_read_b128 v[236:239], v1 offset:1984
	v_add_f64 v[2:3], v[2:3], v[4:5]
	v_mul_f64 v[4:5], v[84:85], v[192:193]
	v_fma_f64 v[4:5], v[82:83], v[200:201], -v[4:5]
	v_add_f64 v[2:3], v[2:3], v[4:5]
	v_mul_f64 v[4:5], v[88:89], v[204:205]
	v_fma_f64 v[4:5], v[86:87], v[206:207], -v[4:5]
	;; [unrolled: 3-line block ×7, first 2 shown]
	v_add_f64 v[2:3], v[2:3], v[4:5]
	s_waitcnt vmcnt(2) lgkmcnt(0)
	v_mul_f64 v[234:235], v[236:237], v[228:229]
	v_mul_f64 v[4:5], v[238:239], v[228:229]
	s_waitcnt vmcnt(0)
	v_fmac_f64_e32 v[234:235], v[238:239], v[230:231]
	v_add_f64 v[232:233], v[232:233], v[234:235]
	buffer_load_dword v234, off, s[0:3], 0 offset:1016
	buffer_load_dword v235, off, s[0:3], 0 offset:1020
	buffer_load_dword v244, off, s[0:3], 0 offset:1008
	buffer_load_dword v245, off, s[0:3], 0 offset:1012
	ds_read_b128 v[240:243], v1 offset:2000
	buffer_load_dword v248, off, s[0:3], 0 offset:224
	buffer_load_dword v249, off, s[0:3], 0 offset:228
	v_fma_f64 v[4:5], v[236:237], v[230:231], -v[4:5]
	v_add_f64 v[2:3], v[2:3], v[4:5]
	s_waitcnt vmcnt(4) lgkmcnt(0)
	v_mul_f64 v[246:247], v[240:241], v[234:235]
	v_mul_f64 v[4:5], v[242:243], v[234:235]
	s_waitcnt vmcnt(2)
	v_fmac_f64_e32 v[246:247], v[242:243], v[244:245]
	v_add_f64 v[232:233], v[232:233], v[246:247]
	buffer_load_dword v246, off, s[0:3], 0 offset:232
	buffer_load_dword v247, off, s[0:3], 0 offset:236
	v_fma_f64 v[4:5], v[240:241], v[244:245], -v[4:5]
	v_add_f64 v[2:3], v[2:3], v[4:5]
	s_waitcnt vmcnt(2)
	v_add_f64 v[2:3], v[248:249], -v[2:3]
	s_waitcnt vmcnt(0)
	v_add_f64 v[4:5], v[246:247], -v[232:233]
	buffer_store_dword v3, off, s[0:3], 0 offset:228
	buffer_store_dword v2, off, s[0:3], 0 offset:224
	;; [unrolled: 1-line block ×4, first 2 shown]
	s_and_saveexec_b64 s[4:5], vcc
	s_cbranch_execz .LBB126_379
; %bb.378:
	v_accvgpr_read_b32 v0, a176
	buffer_load_dword v2, v0, s[0:3], 0 offen
	buffer_load_dword v3, v0, s[0:3], 0 offen offset:4
	buffer_load_dword v4, v0, s[0:3], 0 offen offset:8
	;; [unrolled: 1-line block ×3, first 2 shown]
	v_accvgpr_read_b32 v0, a189
	buffer_store_dword v1, off, s[0:3], 0 offset:208
	buffer_store_dword v1, off, s[0:3], 0 offset:212
	;; [unrolled: 1-line block ×4, first 2 shown]
	s_waitcnt vmcnt(4)
	ds_write_b128 v0, v[2:5]
.LBB126_379:
	s_or_b64 exec, exec, s[4:5]
	s_waitcnt lgkmcnt(0)
	; wave barrier
	s_waitcnt lgkmcnt(0)
	buffer_load_dword v176, off, s[0:3], 0 offset:224
	buffer_load_dword v177, off, s[0:3], 0 offset:228
	;; [unrolled: 1-line block ×42, first 2 shown]
	ds_read_b128 v[42:45], v1 offset:1216
	ds_read_b128 v[108:111], v1 offset:1232
	;; [unrolled: 1-line block ×10, first 2 shown]
	buffer_load_dword v201, off, s[0:3], 0 offset:372
	buffer_load_dword v200, off, s[0:3], 0 offset:368
	ds_read_b128 v[46:49], v1 offset:1376
	buffer_load_dword v85, off, s[0:3], 0 offset:428
	buffer_load_dword v84, off, s[0:3], 0 offset:424
	;; [unrolled: 1-line block ×6, first 2 shown]
	s_waitcnt vmcnt(46) lgkmcnt(10)
	v_mul_f64 v[2:3], v[42:43], v[36:37]
	v_fmac_f64_e32 v[2:3], v[44:45], v[176:177]
	v_add_f64 v[2:3], v[2:3], 0
	v_mul_f64 v[36:37], v[44:45], v[36:37]
	s_waitcnt vmcnt(42) lgkmcnt(9)
	v_mul_f64 v[4:5], v[108:109], v[40:41]
	v_fmac_f64_e32 v[4:5], v[110:111], v[38:39]
	v_add_f64 v[2:3], v[2:3], v[4:5]
	buffer_load_dword v211, off, s[0:3], 0 offset:404
	buffer_load_dword v210, off, s[0:3], 0 offset:400
	buffer_load_dword v249, off, s[0:3], 0 offset:460
	buffer_load_dword v248, off, s[0:3], 0 offset:456
	buffer_load_dword v251, off, s[0:3], 0 offset:452
	buffer_load_dword v250, off, s[0:3], 0 offset:448
	buffer_load_dword v163, off, s[0:3], 0 offset:444
	buffer_load_dword v162, off, s[0:3], 0 offset:440
	buffer_load_dword v51, off, s[0:3], 0 offset:436
	buffer_load_dword v50, off, s[0:3], 0 offset:432
	buffer_load_dword v101, off, s[0:3], 0 offset:492
	buffer_load_dword v100, off, s[0:3], 0 offset:488
	buffer_load_dword v103, off, s[0:3], 0 offset:484
	buffer_load_dword v102, off, s[0:3], 0 offset:480
	buffer_load_dword v63, off, s[0:3], 0 offset:476
	buffer_load_dword v62, off, s[0:3], 0 offset:472
	buffer_load_dword v65, off, s[0:3], 0 offset:468
	buffer_load_dword v64, off, s[0:3], 0 offset:464
	buffer_load_dword v89, off, s[0:3], 0 offset:524
	buffer_load_dword v88, off, s[0:3], 0 offset:520
	buffer_load_dword v93, off, s[0:3], 0 offset:516
	buffer_load_dword v92, off, s[0:3], 0 offset:512
	buffer_load_dword v105, off, s[0:3], 0 offset:508
	buffer_load_dword v104, off, s[0:3], 0 offset:504
	buffer_load_dword v107, off, s[0:3], 0 offset:500
	buffer_load_dword v106, off, s[0:3], 0 offset:496
	buffer_load_dword v95, off, s[0:3], 0 offset:556
	buffer_load_dword v94, off, s[0:3], 0 offset:552
	buffer_load_dword v97, off, s[0:3], 0 offset:548
	buffer_load_dword v96, off, s[0:3], 0 offset:544
	buffer_load_dword v91, off, s[0:3], 0 offset:540
	buffer_load_dword v90, off, s[0:3], 0 offset:536
	buffer_load_dword v99, off, s[0:3], 0 offset:532
	buffer_load_dword v98, off, s[0:3], 0 offset:528
	buffer_load_dword v5, off, s[0:3], 0 offset:588
	buffer_load_dword v4, off, s[0:3], 0 offset:584
	s_waitcnt vmcnt(62) lgkmcnt(8)
	v_mul_f64 v[6:7], v[112:113], v[160:161]
	s_waitcnt lgkmcnt(6)
	v_mul_f64 v[10:11], v[170:171], v[52:53]
	v_fmac_f64_e32 v[10:11], v[172:173], v[54:55]
	v_mul_f64 v[40:41], v[110:111], v[40:41]
	v_mul_f64 v[8:9], v[116:117], v[56:57]
	v_fma_f64 v[108:109], v[108:109], v[38:39], -v[40:41]
	s_waitcnt lgkmcnt(4)
	v_mul_f64 v[14:15], v[184:185], v[58:59]
	v_mul_f64 v[110:111], v[114:115], v[160:161]
	v_fmac_f64_e32 v[14:15], v[186:187], v[60:61]
	v_mul_f64 v[56:57], v[118:119], v[56:57]
	v_mul_f64 v[12:13], v[180:181], v[202:203]
	;; [unrolled: 1-line block ×3, first 2 shown]
	s_waitcnt lgkmcnt(2)
	v_mul_f64 v[18:19], v[192:193], v[212:213]
	s_waitcnt vmcnt(59)
	v_mul_f64 v[16:17], v[188:189], v[70:71]
	s_waitcnt vmcnt(57) lgkmcnt(1)
	v_mul_f64 v[20:21], v[196:197], v[68:69]
	s_waitcnt vmcnt(55)
	v_fmac_f64_e32 v[6:7], v[114:115], v[78:79]
	v_add_f64 v[2:3], v[2:3], v[6:7]
	s_waitcnt vmcnt(53)
	v_fmac_f64_e32 v[8:9], v[118:119], v[76:77]
	v_add_f64 v[2:3], v[2:3], v[8:9]
	s_waitcnt vmcnt(51)
	v_fmac_f64_e32 v[12:13], v[182:183], v[74:75]
	v_add_f64 v[2:3], v[2:3], v[10:11]
	v_add_f64 v[2:3], v[2:3], v[12:13]
	s_waitcnt vmcnt(49)
	v_fmac_f64_e32 v[16:17], v[190:191], v[72:73]
	v_add_f64 v[2:3], v[2:3], v[14:15]
	s_waitcnt vmcnt(48)
	v_fmac_f64_e32 v[18:19], v[194:195], v[66:67]
	v_add_f64 v[2:3], v[2:3], v[16:17]
	v_add_f64 v[2:3], v[2:3], v[18:19]
	v_fma_f64 v[110:111], v[112:113], v[78:79], -v[110:111]
	s_waitcnt vmcnt(42)
	v_fmac_f64_e32 v[20:21], v[198:199], v[200:201]
	v_add_f64 v[2:3], v[2:3], v[20:21]
	v_fma_f64 v[112:113], v[116:117], v[76:77], -v[56:57]
	s_waitcnt vmcnt(0)
	v_pk_mov_b32 v[18:19], v[4:5], v[4:5] op_sel:[0,1]
	buffer_load_dword v5, off, s[0:3], 0 offset:580
	buffer_load_dword v4, off, s[0:3], 0 offset:576
	v_accvgpr_write_b32 a195, v19
	v_accvgpr_write_b32 a194, v18
	s_waitcnt vmcnt(0)
	v_pk_mov_b32 v[22:23], v[4:5], v[4:5] op_sel:[0,1]
	buffer_load_dword v5, off, s[0:3], 0 offset:572
	buffer_load_dword v4, off, s[0:3], 0 offset:568
	v_accvgpr_write_b32 a197, v23
	v_accvgpr_write_b32 a196, v22
	s_waitcnt vmcnt(0)
	v_pk_mov_b32 v[14:15], v[4:5], v[4:5] op_sel:[0,1]
	buffer_load_dword v5, off, s[0:3], 0 offset:564
	buffer_load_dword v4, off, s[0:3], 0 offset:560
	v_accvgpr_write_b32 a191, v15
	v_accvgpr_write_b32 a190, v14
	s_waitcnt vmcnt(0)
	v_pk_mov_b32 v[16:17], v[4:5], v[4:5] op_sel:[0,1]
	buffer_load_dword v5, off, s[0:3], 0 offset:620
	buffer_load_dword v4, off, s[0:3], 0 offset:616
	v_accvgpr_write_b32 a193, v17
	v_accvgpr_write_b32 a192, v16
	s_waitcnt vmcnt(0)
	v_pk_mov_b32 v[26:27], v[4:5], v[4:5] op_sel:[0,1]
	buffer_load_dword v5, off, s[0:3], 0 offset:612
	buffer_load_dword v4, off, s[0:3], 0 offset:608
	v_accvgpr_write_b32 a203, v27
	v_accvgpr_write_b32 a202, v26
	s_waitcnt vmcnt(0)
	v_pk_mov_b32 v[28:29], v[4:5], v[4:5] op_sel:[0,1]
	buffer_load_dword v5, off, s[0:3], 0 offset:604
	buffer_load_dword v4, off, s[0:3], 0 offset:600
	v_accvgpr_write_b32 a205, v29
	v_accvgpr_write_b32 a204, v28
	s_waitcnt vmcnt(0)
	v_pk_mov_b32 v[24:25], v[4:5], v[4:5] op_sel:[0,1]
	buffer_load_dword v5, off, s[0:3], 0 offset:596
	buffer_load_dword v4, off, s[0:3], 0 offset:592
	v_accvgpr_write_b32 a199, v25
	v_accvgpr_write_b32 a198, v24
	s_waitcnt vmcnt(0)
	v_pk_mov_b32 v[30:31], v[4:5], v[4:5] op_sel:[0,1]
	buffer_load_dword v5, off, s[0:3], 0 offset:652
	buffer_load_dword v4, off, s[0:3], 0 offset:648
	v_accvgpr_write_b32 a201, v31
	v_accvgpr_write_b32 a200, v30
	s_waitcnt vmcnt(0)
	v_pk_mov_b32 v[164:165], v[4:5], v[4:5] op_sel:[0,1]
	buffer_load_dword v5, off, s[0:3], 0 offset:644
	buffer_load_dword v4, off, s[0:3], 0 offset:640
	v_accvgpr_write_b32 a207, v165
	v_accvgpr_write_b32 a206, v164
	s_waitcnt vmcnt(0)
	v_pk_mov_b32 v[166:167], v[4:5], v[4:5] op_sel:[0,1]
	buffer_load_dword v149, off, s[0:3], 0 offset:636
	buffer_load_dword v148, off, s[0:3], 0 offset:632
	;; [unrolled: 1-line block ×6, first 2 shown]
	v_accvgpr_write_b32 a209, v167
	v_accvgpr_write_b32 a208, v166
	s_waitcnt vmcnt(0)
	v_pk_mov_b32 v[168:169], v[4:5], v[4:5] op_sel:[0,1]
	buffer_load_dword v5, off, s[0:3], 0 offset:676
	buffer_load_dword v4, off, s[0:3], 0 offset:672
	s_waitcnt vmcnt(0)
	v_pk_mov_b32 v[174:175], v[4:5], v[4:5] op_sel:[0,1]
	buffer_load_dword v153, off, s[0:3], 0 offset:668
	buffer_load_dword v152, off, s[0:3], 0 offset:664
	;; [unrolled: 1-line block ×12, first 2 shown]
	ds_read_b128 v[204:207], v1 offset:1392
	ds_read_b128 v[216:219], v1 offset:1408
	;; [unrolled: 1-line block ×14, first 2 shown]
	s_waitcnt lgkmcnt(4)
	v_mul_f64 v[8:9], v[252:253], v[94:95]
	ds_read_b128 v[128:131], v1 offset:1616
	ds_read_b128 v[124:127], v1 offset:1632
	v_fmac_f64_e32 v[8:9], v[254:255], v[96:97]
	s_waitcnt lgkmcnt(5)
	v_mul_f64 v[12:13], v[144:145], v[14:15]
	v_fmac_f64_e32 v[12:13], v[146:147], v[16:17]
	s_waitcnt lgkmcnt(4)
	v_mul_f64 v[16:17], v[140:141], v[18:19]
	;; [unrolled: 3-line block ×6, first 2 shown]
	ds_read_b128 v[120:123], v1 offset:1648
	v_fmac_f64_e32 v[32:33], v[126:127], v[166:167]
	v_accvgpr_write_b32 a211, v175
	v_accvgpr_write_b32 a210, v174
	v_mul_f64 v[94:95], v[254:255], v[94:95]
	v_fma_f64 v[252:253], v[252:253], v[96:97], -v[94:95]
	s_waitcnt vmcnt(6)
	v_pk_mov_b32 v[214:215], v[4:5], v[4:5] op_sel:[0,1]
	v_mul_f64 v[4:5], v[46:47], v[80:81]
	v_fmac_f64_e32 v[4:5], v[48:49], v[82:83]
	v_add_f64 v[2:3], v[2:3], v[4:5]
	v_mul_f64 v[4:5], v[204:205], v[208:209]
	v_fmac_f64_e32 v[4:5], v[206:207], v[210:211]
	v_add_f64 v[2:3], v[2:3], v[4:5]
	;; [unrolled: 3-line block ×10, first 2 shown]
	v_add_f64 v[10:11], v[6:7], v[8:9]
	v_add_f64 v[14:15], v[10:11], v[12:13]
	;; [unrolled: 1-line block ×7, first 2 shown]
	ds_read_b128 v[30:33], v1 offset:1664
	ds_read_b128 v[26:29], v1 offset:1680
	s_waitcnt lgkmcnt(2)
	v_mul_f64 v[4:5], v[120:121], v[152:153]
	v_fma_f64 v[22:23], v[42:43], v[176:177], -v[36:37]
	v_fmac_f64_e32 v[4:5], v[122:123], v[154:155]
	s_waitcnt lgkmcnt(1)
	v_mul_f64 v[42:43], v[30:31], v[168:169]
	v_add_f64 v[4:5], v[164:165], v[4:5]
	v_fmac_f64_e32 v[42:43], v[32:33], v[174:175]
	v_add_f64 v[4:5], v[4:5], v[42:43]
	s_waitcnt vmcnt(2) lgkmcnt(0)
	v_mul_f64 v[42:43], v[26:27], v[156:157]
	s_waitcnt vmcnt(0)
	v_fmac_f64_e32 v[42:43], v[28:29], v[158:159]
	v_add_f64 v[4:5], v[4:5], v[42:43]
	ds_read_b128 v[42:45], v1 offset:1696
	ds_read_b128 v[38:41], v1 offset:1712
	buffer_load_dword v160, off, s[0:3], 0 offset:744
	buffer_load_dword v165, off, s[0:3], 0 offset:732
	;; [unrolled: 1-line block ×5, first 2 shown]
	v_pk_mov_b32 v[36:37], v[168:169], v[168:169] op_sel:[0,1]
	buffer_load_dword v168, off, s[0:3], 0 offset:736
	buffer_load_dword v161, off, s[0:3], 0 offset:748
	;; [unrolled: 1-line block ×5, first 2 shown]
	v_fma_f64 v[18:19], v[170:171], v[54:55], -v[52:53]
	buffer_load_dword v177, off, s[0:3], 0 offset:764
	buffer_load_dword v176, off, s[0:3], 0 offset:760
	;; [unrolled: 1-line block ×7, first 2 shown]
	v_mul_f64 v[8:9], v[182:183], v[202:203]
	v_fma_f64 v[14:15], v[180:181], v[74:75], -v[8:9]
	buffer_load_dword v172, off, s[0:3], 0 offset:800
	buffer_load_dword v181, off, s[0:3], 0 offset:796
	;; [unrolled: 1-line block ×7, first 2 shown]
	v_mul_f64 v[52:53], v[186:187], v[58:59]
	v_fma_f64 v[10:11], v[184:185], v[60:61], -v[52:53]
	buffer_load_dword v185, off, s[0:3], 0 offset:828
	buffer_load_dword v184, off, s[0:3], 0 offset:824
	;; [unrolled: 1-line block ×4, first 2 shown]
	v_mul_f64 v[52:53], v[190:191], v[70:71]
	v_mul_f64 v[16:17], v[194:195], v[212:213]
	buffer_load_dword v190, off, s[0:3], 0 offset:840
	v_fma_f64 v[16:17], v[192:193], v[66:67], -v[16:17]
	buffer_load_dword v192, off, s[0:3], 0 offset:832
	buffer_load_dword v191, off, s[0:3], 0 offset:844
	;; [unrolled: 1-line block ×3, first 2 shown]
	v_fma_f64 v[8:9], v[188:189], v[72:73], -v[52:53]
	v_mul_f64 v[52:53], v[198:199], v[68:69]
	v_fma_f64 v[6:7], v[196:197], v[200:201], -v[52:53]
	buffer_load_dword v189, off, s[0:3], 0 offset:876
	buffer_load_dword v195, off, s[0:3], 0 offset:860
	;; [unrolled: 1-line block ×12, first 2 shown]
	v_mul_f64 v[20:21], v[48:49], v[80:81]
	v_accvgpr_write_b32 a212, v214
	v_fma_f64 v[20:21], v[46:47], v[82:83], -v[20:21]
	v_mul_f64 v[46:47], v[206:207], v[208:209]
	s_waitcnt lgkmcnt(1)
	v_mul_f64 v[12:13], v[42:43], v[214:215]
	v_accvgpr_write_b32 a213, v215
	v_fma_f64 v[2:3], v[204:205], v[210:211], -v[46:47]
	buffer_load_dword v206, off, s[0:3], 0 offset:904
	buffer_load_dword v208, off, s[0:3], 0 offset:896
	;; [unrolled: 1-line block ×12, first 2 shown]
	v_fmac_f64_e32 v[12:13], v[44:45], v[34:35]
	v_add_f64 v[4:5], v[4:5], v[12:13]
	v_mul_f64 v[12:13], v[218:219], v[84:85]
	v_fma_f64 v[12:13], v[216:217], v[86:87], -v[12:13]
	buffer_load_dword v217, off, s[0:3], 0 offset:956
	buffer_load_dword v216, off, s[0:3], 0 offset:952
	;; [unrolled: 1-line block ×4, first 2 shown]
	ds_read_b128 v[46:49], v1 offset:1728
	v_mul_f64 v[58:59], v[226:227], v[248:249]
	v_mul_f64 v[62:63], v[230:231], v[62:63]
	v_fma_f64 v[248:249], v[228:229], v[64:65], -v[62:63]
	ds_read_b128 v[62:65], v1 offset:1792
	v_mul_f64 v[70:71], v[234:235], v[100:101]
	v_fma_f64 v[232:233], v[232:233], v[102:103], -v[70:71]
	ds_read_b128 v[70:73], v1 offset:1824
	v_mul_f64 v[82:83], v[242:243], v[88:89]
	ds_read_b128 v[94:97], v1 offset:1920
	v_add_f64 v[22:23], v[22:23], 0
	v_add_f64 v[22:23], v[22:23], v[108:109]
	;; [unrolled: 1-line block ×13, first 2 shown]
	v_accvgpr_read_b32 v6, a192
	v_accvgpr_read_b32 v7, a193
	s_waitcnt vmcnt(57) lgkmcnt(4)
	v_mul_f64 v[24:25], v[38:39], v[164:165]
	s_waitcnt vmcnt(55)
	v_fmac_f64_e32 v[24:25], v[40:41], v[166:167]
	v_add_f64 v[4:5], v[4:5], v[24:25]
	v_mul_f64 v[24:25], v[222:223], v[162:163]
	v_fma_f64 v[24:25], v[220:221], v[50:51], -v[24:25]
	ds_read_b128 v[50:53], v1 offset:1744
	s_waitcnt vmcnt(53) lgkmcnt(4)
	v_mul_f64 v[54:55], v[46:47], v[160:161]
	s_waitcnt vmcnt(52)
	v_fmac_f64_e32 v[54:55], v[48:49], v[168:169]
	v_add_f64 v[4:5], v[4:5], v[54:55]
	ds_read_b128 v[54:57], v1 offset:1760
	v_fma_f64 v[162:163], v[224:225], v[250:251], -v[58:59]
	ds_read_b128 v[58:61], v1 offset:1776
	s_waitcnt vmcnt(48) lgkmcnt(2)
	v_mul_f64 v[66:67], v[50:51], v[176:177]
	s_waitcnt vmcnt(46)
	v_fmac_f64_e32 v[66:67], v[52:53], v[178:179]
	v_add_f64 v[4:5], v[4:5], v[66:67]
	s_waitcnt lgkmcnt(1)
	v_mul_f64 v[66:67], v[54:55], v[118:119]
	s_waitcnt vmcnt(44)
	v_fmac_f64_e32 v[66:67], v[56:57], v[174:175]
	v_add_f64 v[4:5], v[4:5], v[66:67]
	s_waitcnt vmcnt(40) lgkmcnt(0)
	v_mul_f64 v[66:67], v[58:59], v[180:181]
	s_waitcnt vmcnt(38)
	v_fmac_f64_e32 v[66:67], v[60:61], v[182:183]
	v_add_f64 v[4:5], v[4:5], v[66:67]
	s_waitcnt vmcnt(37)
	v_mul_f64 v[66:67], v[62:63], v[170:171]
	s_waitcnt vmcnt(36)
	v_fmac_f64_e32 v[66:67], v[64:65], v[172:173]
	v_add_f64 v[4:5], v[4:5], v[66:67]
	ds_read_b128 v[66:69], v1 offset:1808
	v_fma_f64 v[250:251], v[240:241], v[92:93], -v[82:83]
	ds_read_b128 v[82:85], v1 offset:1872
	s_waitcnt vmcnt(29)
	v_mul_f64 v[78:79], v[70:71], v[190:191]
	s_waitcnt vmcnt(28)
	v_fmac_f64_e32 v[78:79], v[72:73], v[192:193]
	s_waitcnt lgkmcnt(1)
	v_mul_f64 v[74:75], v[66:67], v[184:185]
	v_fmac_f64_e32 v[74:75], v[68:69], v[186:187]
	v_add_f64 v[4:5], v[4:5], v[74:75]
	v_mul_f64 v[74:75], v[238:239], v[104:105]
	v_fma_f64 v[106:107], v[236:237], v[106:107], -v[74:75]
	ds_read_b128 v[74:77], v1 offset:1840
	v_add_f64 v[4:5], v[4:5], v[78:79]
	ds_read_b128 v[78:81], v1 offset:1856
	s_waitcnt vmcnt(18) lgkmcnt(2)
	v_mul_f64 v[88:89], v[82:83], v[196:197]
	s_waitcnt vmcnt(16)
	v_fmac_f64_e32 v[88:89], v[84:85], v[202:203]
	s_waitcnt lgkmcnt(1)
	v_mul_f64 v[86:87], v[74:75], v[194:195]
	v_fmac_f64_e32 v[86:87], v[76:77], v[200:201]
	v_add_f64 v[4:5], v[4:5], v[86:87]
	s_waitcnt lgkmcnt(0)
	v_mul_f64 v[86:87], v[78:79], v[188:189]
	v_fmac_f64_e32 v[86:87], v[80:81], v[198:199]
	v_add_f64 v[86:87], v[4:5], v[86:87]
	v_mul_f64 v[4:5], v[246:247], v[90:91]
	ds_read_b128 v[90:93], v1 offset:1888
	v_fma_f64 v[4:5], v[244:245], v[98:99], -v[4:5]
	v_add_f64 v[98:99], v[86:87], v[88:89]
	ds_read_b128 v[86:89], v1 offset:1904
	v_add_f64 v[2:3], v[2:3], v[24:25]
	s_waitcnt vmcnt(13) lgkmcnt(1)
	v_mul_f64 v[100:101], v[90:91], v[206:207]
	s_waitcnt vmcnt(12)
	v_fmac_f64_e32 v[100:101], v[92:93], v[208:209]
	v_add_f64 v[98:99], v[98:99], v[100:101]
	s_waitcnt vmcnt(9) lgkmcnt(0)
	v_mul_f64 v[100:101], v[86:87], v[212:213]
	s_waitcnt vmcnt(7)
	v_fmac_f64_e32 v[100:101], v[88:89], v[214:215]
	v_add_f64 v[98:99], v[98:99], v[100:101]
	s_waitcnt vmcnt(5)
	v_mul_f64 v[100:101], v[94:95], v[204:205]
	s_waitcnt vmcnt(4)
	v_fmac_f64_e32 v[100:101], v[96:97], v[210:211]
	v_add_f64 v[102:103], v[98:99], v[100:101]
	ds_read_b128 v[98:101], v1 offset:1936
	buffer_load_dword v220, off, s[0:3], 0 offset:968
	buffer_load_dword v221, off, s[0:3], 0 offset:972
	;; [unrolled: 1-line block ×4, first 2 shown]
	v_add_f64 v[2:3], v[2:3], v[162:163]
	v_add_f64 v[2:3], v[2:3], v[248:249]
	;; [unrolled: 1-line block ×3, first 2 shown]
	s_waitcnt vmcnt(6) lgkmcnt(0)
	v_mul_f64 v[104:105], v[98:99], v[216:217]
	s_waitcnt vmcnt(4)
	v_fmac_f64_e32 v[104:105], v[100:101], v[218:219]
	v_add_f64 v[114:115], v[102:103], v[104:105]
	ds_read_b128 v[102:105], v1 offset:1952
	buffer_load_dword v225, off, s[0:3], 0 offset:988
	buffer_load_dword v224, off, s[0:3], 0 offset:984
	buffer_load_dword v227, off, s[0:3], 0 offset:980
	buffer_load_dword v226, off, s[0:3], 0 offset:976
	ds_read_b128 v[236:239], v1 offset:1968
	buffer_load_dword v228, off, s[0:3], 0 offset:1000
	buffer_load_dword v229, off, s[0:3], 0 offset:1004
	buffer_load_dword v230, off, s[0:3], 0 offset:992
	buffer_load_dword v231, off, s[0:3], 0 offset:996
	;; [unrolled: 5-line block ×3, first 2 shown]
	v_add_f64 v[2:3], v[2:3], v[106:107]
	v_add_f64 v[254:255], v[2:3], v[250:251]
	;; [unrolled: 1-line block ×3, first 2 shown]
	v_accvgpr_read_b32 v4, a190
	v_accvgpr_read_b32 v5, a191
	v_mul_f64 v[4:5], v[146:147], v[4:5]
	v_add_f64 v[2:3], v[2:3], v[252:253]
	v_fma_f64 v[4:5], v[144:145], v[6:7], -v[4:5]
	v_add_f64 v[2:3], v[2:3], v[4:5]
	v_accvgpr_read_b32 v4, a194
	v_accvgpr_read_b32 v5, a195
	v_accvgpr_read_b32 v6, a196
	v_mul_f64 v[4:5], v[142:143], v[4:5]
	v_accvgpr_read_b32 v7, a197
	v_fma_f64 v[4:5], v[140:141], v[6:7], -v[4:5]
	v_add_f64 v[2:3], v[2:3], v[4:5]
	v_accvgpr_read_b32 v4, a198
	v_accvgpr_read_b32 v5, a199
	v_accvgpr_read_b32 v6, a200
	v_mul_f64 v[4:5], v[138:139], v[4:5]
	v_accvgpr_read_b32 v7, a201
	;; [unrolled: 7-line block ×3, first 2 shown]
	v_fma_f64 v[4:5], v[132:133], v[6:7], -v[4:5]
	v_add_f64 v[2:3], v[2:3], v[4:5]
	v_mul_f64 v[4:5], v[130:131], v[148:149]
	v_fma_f64 v[4:5], v[128:129], v[150:151], -v[4:5]
	v_add_f64 v[2:3], v[2:3], v[4:5]
	v_accvgpr_read_b32 v4, a206
	v_accvgpr_read_b32 v5, a207
	;; [unrolled: 1-line block ×3, first 2 shown]
	v_mul_f64 v[4:5], v[126:127], v[4:5]
	v_accvgpr_read_b32 v7, a209
	v_fma_f64 v[4:5], v[124:125], v[6:7], -v[4:5]
	v_add_f64 v[2:3], v[2:3], v[4:5]
	v_mul_f64 v[4:5], v[122:123], v[152:153]
	v_fma_f64 v[4:5], v[120:121], v[154:155], -v[4:5]
	v_accvgpr_read_b32 v6, a210
	v_add_f64 v[2:3], v[2:3], v[4:5]
	v_mul_f64 v[4:5], v[32:33], v[36:37]
	v_accvgpr_read_b32 v7, a211
	v_fma_f64 v[4:5], v[30:31], v[6:7], -v[4:5]
	v_add_f64 v[2:3], v[2:3], v[4:5]
	v_mul_f64 v[4:5], v[28:29], v[156:157]
	v_fma_f64 v[4:5], v[26:27], v[158:159], -v[4:5]
	v_add_f64 v[2:3], v[2:3], v[4:5]
	v_accvgpr_read_b32 v4, a212
	v_accvgpr_read_b32 v5, a213
	v_mul_f64 v[4:5], v[44:45], v[4:5]
	v_fma_f64 v[4:5], v[42:43], v[34:35], -v[4:5]
	v_add_f64 v[2:3], v[2:3], v[4:5]
	v_mul_f64 v[4:5], v[40:41], v[164:165]
	v_fma_f64 v[4:5], v[38:39], v[166:167], -v[4:5]
	v_add_f64 v[2:3], v[2:3], v[4:5]
	;; [unrolled: 3-line block ×4, first 2 shown]
	s_waitcnt vmcnt(14) lgkmcnt(2)
	v_mul_f64 v[116:117], v[102:103], v[220:221]
	v_mul_f64 v[4:5], v[56:57], v[118:119]
	s_waitcnt vmcnt(12)
	v_fmac_f64_e32 v[116:117], v[104:105], v[222:223]
	v_add_f64 v[114:115], v[114:115], v[116:117]
	v_fma_f64 v[4:5], v[54:55], v[174:175], -v[4:5]
	v_add_f64 v[2:3], v[2:3], v[4:5]
	v_mul_f64 v[4:5], v[60:61], v[180:181]
	v_fma_f64 v[4:5], v[58:59], v[182:183], -v[4:5]
	s_waitcnt vmcnt(10) lgkmcnt(1)
	v_mul_f64 v[116:117], v[236:237], v[224:225]
	v_add_f64 v[2:3], v[2:3], v[4:5]
	s_waitcnt vmcnt(8)
	v_fmac_f64_e32 v[116:117], v[238:239], v[226:227]
	v_add_f64 v[114:115], v[114:115], v[116:117]
	s_waitcnt vmcnt(6) lgkmcnt(0)
	v_mul_f64 v[116:117], v[240:241], v[228:229]
	s_waitcnt vmcnt(4)
	v_fmac_f64_e32 v[116:117], v[242:243], v[230:231]
	v_add_f64 v[246:247], v[114:115], v[116:117]
	ds_read_b128 v[114:117], v1 offset:2000
	v_mul_f64 v[4:5], v[64:65], v[170:171]
	v_fma_f64 v[4:5], v[62:63], v[172:173], -v[4:5]
	v_add_f64 v[2:3], v[2:3], v[4:5]
	v_mul_f64 v[4:5], v[68:69], v[184:185]
	s_waitcnt vmcnt(2) lgkmcnt(0)
	v_mul_f64 v[0:1], v[114:115], v[234:235]
	s_waitcnt vmcnt(0)
	v_fmac_f64_e32 v[0:1], v[116:117], v[244:245]
	v_add_f64 v[0:1], v[246:247], v[0:1]
	buffer_load_dword v248, off, s[0:3], 0 offset:208
	buffer_load_dword v249, off, s[0:3], 0 offset:212
	;; [unrolled: 1-line block ×4, first 2 shown]
	v_fma_f64 v[4:5], v[66:67], v[186:187], -v[4:5]
	v_add_f64 v[2:3], v[2:3], v[4:5]
	v_mul_f64 v[4:5], v[72:73], v[190:191]
	v_fma_f64 v[4:5], v[70:71], v[192:193], -v[4:5]
	v_add_f64 v[2:3], v[2:3], v[4:5]
	v_mul_f64 v[4:5], v[76:77], v[194:195]
	;; [unrolled: 3-line block ×12, first 2 shown]
	v_fma_f64 v[4:5], v[114:115], v[244:245], -v[4:5]
	v_add_f64 v[2:3], v[2:3], v[4:5]
	s_waitcnt vmcnt(2)
	v_add_f64 v[2:3], v[248:249], -v[2:3]
	s_waitcnt vmcnt(0)
	v_add_f64 v[0:1], v[246:247], -v[0:1]
	buffer_store_dword v3, off, s[0:3], 0 offset:212
	buffer_store_dword v2, off, s[0:3], 0 offset:208
	;; [unrolled: 1-line block ×4, first 2 shown]
	v_accvgpr_read_b32 v0, a188
	v_cmp_lt_u32_e32 vcc, 11, v0
	s_and_saveexec_b64 s[4:5], vcc
	s_cbranch_execz .LBB126_381
; %bb.380:
	v_accvgpr_read_b32 v0, a177
	buffer_load_dword v2, v0, s[0:3], 0 offen
	buffer_load_dword v3, v0, s[0:3], 0 offen offset:4
	buffer_load_dword v4, v0, s[0:3], 0 offen offset:8
	;; [unrolled: 1-line block ×3, first 2 shown]
	v_mov_b32_e32 v0, 0
	v_accvgpr_read_b32 v1, a189
	buffer_store_dword v0, off, s[0:3], 0 offset:192
	buffer_store_dword v0, off, s[0:3], 0 offset:196
	buffer_store_dword v0, off, s[0:3], 0 offset:200
	buffer_store_dword v0, off, s[0:3], 0 offset:204
	s_waitcnt vmcnt(4)
	ds_write_b128 v1, v[2:5]
.LBB126_381:
	s_or_b64 exec, exec, s[4:5]
	v_mov_b32_e32 v136, 0
	s_waitcnt lgkmcnt(0)
	; wave barrier
	s_waitcnt lgkmcnt(0)
	buffer_load_dword v30, off, s[0:3], 0 offset:208
	buffer_load_dword v31, off, s[0:3], 0 offset:212
	;; [unrolled: 1-line block ×54, first 2 shown]
	ds_read_b128 v[114:117], v136 offset:1200
	ds_read_b128 v[158:161], v136 offset:1216
	;; [unrolled: 1-line block ×9, first 2 shown]
	buffer_load_dword v109, off, s[0:3], 0 offset:436
	buffer_load_dword v108, off, s[0:3], 0 offset:432
	;; [unrolled: 1-line block ×32, first 2 shown]
	s_waitcnt vmcnt(62) lgkmcnt(8)
	v_mul_f64 v[2:3], v[114:115], v[32:33]
	v_fmac_f64_e32 v[2:3], v[116:117], v[30:31]
	v_add_f64 v[2:3], v[2:3], 0
	v_mul_f64 v[32:33], v[116:117], v[32:33]
	s_waitcnt lgkmcnt(7)
	v_mul_f64 v[4:5], v[158:159], v[38:39]
	v_fmac_f64_e32 v[4:5], v[160:161], v[36:37]
	s_waitcnt lgkmcnt(6)
	v_mul_f64 v[6:7], v[168:169], v[34:35]
	v_add_f64 v[2:3], v[2:3], v[4:5]
	s_waitcnt lgkmcnt(4)
	v_mul_f64 v[10:11], v[176:177], v[40:41]
	v_fma_f64 v[254:255], v[114:115], v[30:31], -v[32:33]
	v_fmac_f64_e32 v[10:11], v[178:179], v[42:43]
	v_mul_f64 v[38:39], v[160:161], v[38:39]
	v_mul_f64 v[8:9], v[172:173], v[44:45]
	s_waitcnt lgkmcnt(2)
	v_mul_f64 v[14:15], v[184:185], v[48:49]
	v_fmac_f64_e32 v[14:15], v[186:187], v[50:51]
	v_mul_f64 v[12:13], v[180:181], v[56:57]
	s_waitcnt lgkmcnt(1)
	v_mul_f64 v[16:17], v[188:189], v[52:53]
	s_waitcnt vmcnt(60)
	v_fmac_f64_e32 v[6:7], v[170:171], v[62:63]
	v_add_f64 v[2:3], v[2:3], v[6:7]
	s_waitcnt vmcnt(58)
	v_fmac_f64_e32 v[8:9], v[174:175], v[60:61]
	v_add_f64 v[2:3], v[2:3], v[8:9]
	;; [unrolled: 3-line block ×3, first 2 shown]
	v_add_f64 v[2:3], v[2:3], v[12:13]
	v_add_f64 v[2:3], v[2:3], v[14:15]
	s_waitcnt vmcnt(54)
	v_fmac_f64_e32 v[16:17], v[190:191], v[54:55]
	v_add_f64 v[2:3], v[2:3], v[16:17]
	s_waitcnt vmcnt(50) lgkmcnt(0)
	v_mul_f64 v[4:5], v[192:193], v[46:47]
	v_fmac_f64_e32 v[4:5], v[194:195], v[64:65]
	v_add_f64 v[2:3], v[2:3], v[4:5]
	s_waitcnt vmcnt(0)
	v_pk_mov_b32 v[14:15], v[0:1], v[0:1] op_sel:[0,1]
	buffer_load_dword v1, off, s[0:3], 0 offset:564
	buffer_load_dword v0, off, s[0:3], 0 offset:560
	v_accvgpr_write_b32 a191, v15
	v_accvgpr_write_b32 a190, v14
	s_waitcnt vmcnt(0)
	v_pk_mov_b32 v[18:19], v[0:1], v[0:1] op_sel:[0,1]
	buffer_load_dword v95, off, s[0:3], 0 offset:556
	buffer_load_dword v94, off, s[0:3], 0 offset:552
	;; [unrolled: 1-line block ×6, first 2 shown]
	v_accvgpr_write_b32 a193, v19
	v_accvgpr_write_b32 a192, v18
	s_waitcnt vmcnt(0)
	v_pk_mov_b32 v[22:23], v[0:1], v[0:1] op_sel:[0,1]
	buffer_load_dword v1, off, s[0:3], 0 offset:596
	buffer_load_dword v0, off, s[0:3], 0 offset:592
	v_accvgpr_write_b32 a199, v23
	v_accvgpr_write_b32 a198, v22
	s_waitcnt vmcnt(0)
	v_pk_mov_b32 v[24:25], v[0:1], v[0:1] op_sel:[0,1]
	buffer_load_dword v1, off, s[0:3], 0 offset:588
	buffer_load_dword v0, off, s[0:3], 0 offset:584
	;; [unrolled: 6-line block ×11, first 2 shown]
	ds_read_b128 v[196:199], v136 offset:1344
	ds_read_b128 v[200:203], v136 offset:1360
	;; [unrolled: 1-line block ×8, first 2 shown]
	s_waitcnt lgkmcnt(7)
	v_mul_f64 v[4:5], v[196:197], v[70:71]
	v_fmac_f64_e32 v[4:5], v[198:199], v[72:73]
	v_add_f64 v[2:3], v[2:3], v[4:5]
	s_waitcnt lgkmcnt(6)
	v_mul_f64 v[4:5], v[200:201], v[66:67]
	v_fmac_f64_e32 v[4:5], v[202:203], v[68:69]
	v_add_f64 v[2:3], v[2:3], v[4:5]
	;; [unrolled: 4-line block ×8, first 2 shown]
	v_accvgpr_write_b32 a211, v157
	v_accvgpr_write_b32 a210, v156
	s_waitcnt vmcnt(0)
	v_pk_mov_b32 v[166:167], v[0:1], v[0:1] op_sel:[0,1]
	buffer_load_dword v1, off, s[0:3], 0 offset:700
	buffer_load_dword v155, off, s[0:3], 0 offset:684
	buffer_load_dword v154, off, s[0:3], 0 offset:680
	buffer_load_dword v153, off, s[0:3], 0 offset:676
	buffer_load_dword v152, off, s[0:3], 0 offset:672
	buffer_load_dword v0, off, s[0:3], 0 offset:696
	buffer_load_dword v139, off, s[0:3], 0 offset:692
	buffer_load_dword v138, off, s[0:3], 0 offset:688
	ds_read_b128 v[232:235], v136 offset:1472
	ds_read_b128 v[236:239], v136 offset:1488
	;; [unrolled: 1-line block ×6, first 2 shown]
	s_waitcnt lgkmcnt(5)
	v_mul_f64 v[4:5], v[232:233], v[102:103]
	v_fmac_f64_e32 v[4:5], v[234:235], v[106:107]
	v_add_f64 v[2:3], v[2:3], v[4:5]
	s_waitcnt lgkmcnt(4)
	v_mul_f64 v[4:5], v[236:237], v[78:79]
	v_fmac_f64_e32 v[4:5], v[238:239], v[80:81]
	v_add_f64 v[2:3], v[2:3], v[4:5]
	s_waitcnt lgkmcnt(3)
	v_mul_f64 v[4:5], v[240:241], v[82:83]
	ds_read_b128 v[144:147], v136 offset:1568
	ds_read_b128 v[132:135], v136 offset:1584
	v_fmac_f64_e32 v[4:5], v[242:243], v[84:85]
	v_add_f64 v[2:3], v[2:3], v[4:5]
	s_waitcnt lgkmcnt(4)
	v_mul_f64 v[4:5], v[244:245], v[86:87]
	ds_read_b128 v[128:131], v136 offset:1600
	ds_read_b128 v[124:127], v136 offset:1616
	v_fmac_f64_e32 v[4:5], v[246:247], v[88:89]
	s_waitcnt lgkmcnt(5)
	v_mul_f64 v[8:9], v[248:249], v[94:95]
	v_add_f64 v[6:7], v[2:3], v[4:5]
	v_fmac_f64_e32 v[8:9], v[250:251], v[96:97]
	s_waitcnt lgkmcnt(4)
	v_mul_f64 v[12:13], v[148:149], v[14:15]
	v_add_f64 v[10:11], v[6:7], v[8:9]
	v_fmac_f64_e32 v[12:13], v[150:151], v[18:19]
	s_waitcnt lgkmcnt(3)
	v_mul_f64 v[16:17], v[144:145], v[20:21]
	v_add_f64 v[14:15], v[10:11], v[12:13]
	v_fmac_f64_e32 v[16:17], v[146:147], v[26:27]
	s_waitcnt lgkmcnt(2)
	v_mul_f64 v[20:21], v[132:133], v[22:23]
	v_add_f64 v[18:19], v[14:15], v[16:17]
	v_fmac_f64_e32 v[20:21], v[134:135], v[24:25]
	s_waitcnt lgkmcnt(1)
	v_mul_f64 v[28:29], v[128:129], v[140:141]
	v_add_f64 v[26:27], v[18:19], v[20:21]
	v_fmac_f64_e32 v[28:29], v[130:131], v[142:143]
	ds_read_b128 v[140:143], v136 offset:1632
	v_add_f64 v[26:27], v[26:27], v[28:29]
	s_waitcnt lgkmcnt(1)
	v_mul_f64 v[28:29], v[124:125], v[120:121]
	v_fmac_f64_e32 v[28:29], v[126:127], v[122:123]
	ds_read_b128 v[120:123], v136 offset:1648
	v_add_f64 v[26:27], v[26:27], v[28:29]
	s_waitcnt lgkmcnt(1)
	v_mul_f64 v[28:29], v[140:141], v[156:157]
	v_fmac_f64_e32 v[28:29], v[142:143], v[166:167]
	v_accvgpr_write_b32 a213, v167
	s_waitcnt lgkmcnt(0)
	v_mul_f64 v[114:115], v[120:121], v[162:163]
	v_add_f64 v[156:157], v[26:27], v[28:29]
	v_fmac_f64_e32 v[114:115], v[122:123], v[164:165]
	v_accvgpr_write_b32 a212, v166
	ds_read_b128 v[30:33], v136 offset:1664
	v_add_f64 v[114:115], v[156:157], v[114:115]
	buffer_load_dword v157, off, s[0:3], 0 offset:732
	buffer_load_dword v156, off, s[0:3], 0 offset:728
	v_fma_f64 v[26:27], v[158:159], v[36:37], -v[38:39]
	buffer_load_dword v159, off, s[0:3], 0 offset:724
	buffer_load_dword v158, off, s[0:3], 0 offset:720
	;; [unrolled: 1-line block ×6, first 2 shown]
	v_mul_f64 v[4:5], v[170:171], v[34:35]
	v_fma_f64 v[24:25], v[168:169], v[62:63], -v[4:5]
	buffer_load_dword v160, off, s[0:3], 0 offset:760
	buffer_load_dword v165, off, s[0:3], 0 offset:748
	;; [unrolled: 1-line block ×5, first 2 shown]
	v_mul_f64 v[34:35], v[174:175], v[44:45]
	v_fma_f64 v[116:117], v[172:173], v[60:61], -v[34:35]
	ds_read_b128 v[34:37], v136 offset:1680
	buffer_load_dword v170, off, s[0:3], 0 offset:752
	buffer_load_dword v161, off, s[0:3], 0 offset:764
	;; [unrolled: 1-line block ×3, first 2 shown]
	v_mul_f64 v[8:9], v[186:187], v[48:49]
	v_fma_f64 v[18:19], v[184:185], v[50:51], -v[8:9]
	v_mul_f64 v[12:13], v[194:195], v[46:47]
	v_fma_f64 v[12:13], v[192:193], v[64:65], -v[12:13]
	;; [unrolled: 2-line block ×6, first 2 shown]
	s_waitcnt vmcnt(21) lgkmcnt(1)
	v_mul_f64 v[38:39], v[30:31], v[154:155]
	v_mul_f64 v[82:83], v[242:243], v[82:83]
	s_waitcnt vmcnt(19)
	v_fmac_f64_e32 v[38:39], v[32:33], v[152:153]
	s_waitcnt vmcnt(18) lgkmcnt(0)
	v_mul_f64 v[44:45], v[34:35], v[0:1]
	v_add_f64 v[38:39], v[114:115], v[38:39]
	s_waitcnt vmcnt(16)
	v_fmac_f64_e32 v[44:45], v[36:37], v[138:139]
	v_add_f64 v[60:61], v[38:39], v[44:45]
	v_mul_f64 v[38:39], v[178:179], v[40:41]
	v_fma_f64 v[114:115], v[176:177], v[42:43], -v[38:39]
	buffer_load_dword v173, off, s[0:3], 0 offset:796
	buffer_load_dword v175, off, s[0:3], 0 offset:780
	;; [unrolled: 1-line block ×8, first 2 shown]
	v_mul_f64 v[38:39], v[182:183], v[56:57]
	v_fma_f64 v[22:23], v[180:181], v[58:59], -v[38:39]
	ds_read_b128 v[38:41], v136 offset:1696
	buffer_load_dword v181, off, s[0:3], 0 offset:812
	buffer_load_dword v180, off, s[0:3], 0 offset:808
	;; [unrolled: 1-line block ×4, first 2 shown]
	v_mul_f64 v[42:43], v[190:191], v[52:53]
	v_fma_f64 v[14:15], v[188:189], v[54:55], -v[42:43]
	buffer_load_dword v185, off, s[0:3], 0 offset:828
	buffer_load_dword v184, off, s[0:3], 0 offset:824
	;; [unrolled: 1-line block ×9, first 2 shown]
	v_mul_f64 v[42:43], v[198:199], v[70:71]
	buffer_load_dword v194, off, s[0:3], 0 offset:848
	buffer_load_dword v193, off, s[0:3], 0 offset:860
	;; [unrolled: 1-line block ×3, first 2 shown]
	v_fma_f64 v[10:11], v[196:197], v[72:73], -v[42:43]
	buffer_load_dword v197, off, s[0:3], 0 offset:876
	buffer_load_dword v196, off, s[0:3], 0 offset:872
	;; [unrolled: 1-line block ×4, first 2 shown]
	v_mul_f64 v[42:43], v[206:207], v[100:101]
	v_fma_f64 v[100:101], v[204:205], v[104:105], -v[42:43]
	buffer_load_dword v203, off, s[0:3], 0 offset:892
	buffer_load_dword v202, off, s[0:3], 0 offset:888
	;; [unrolled: 1-line block ×4, first 2 shown]
	v_mul_f64 v[42:43], v[210:211], v[92:93]
	v_fma_f64 v[8:9], v[208:209], v[76:77], -v[42:43]
	buffer_load_dword v201, off, s[0:3], 0 offset:924
	buffer_load_dword v207, off, s[0:3], 0 offset:908
	;; [unrolled: 1-line block ×12, first 2 shown]
	ds_read_b128 v[42:45], v136 offset:1712
	ds_read_b128 v[46:49], v136 offset:1728
	v_mul_f64 v[54:55], v[222:223], v[74:75]
	v_fma_f64 v[252:253], v[220:221], v[108:109], -v[54:55]
	ds_read_b128 v[54:57], v136 offset:1760
	v_mul_f64 v[58:59], v[226:227], v[110:111]
	v_fma_f64 v[216:217], v[224:225], v[112:113], -v[58:59]
	;; [unrolled: 3-line block ×3, first 2 shown]
	v_fma_f64 v[2:3], v[240:241], v[84:85], -v[82:83]
	ds_read_b128 v[82:85], v136 offset:1872
	v_mul_f64 v[86:87], v[246:247], v[86:87]
	v_fma_f64 v[246:247], v[244:245], v[88:89], -v[86:87]
	ds_read_b128 v[86:89], v136 offset:1888
	v_mul_f64 v[94:95], v[250:251], v[94:95]
	v_fma_f64 v[250:251], v[248:249], v[96:97], -v[94:95]
	ds_read_b128 v[70:73], v136 offset:1824
	ds_read_b128 v[78:81], v136 offset:1856
	;; [unrolled: 1-line block ×3, first 2 shown]
	s_waitcnt vmcnt(54) lgkmcnt(9)
	v_mul_f64 v[20:21], v[38:39], v[162:163]
	s_waitcnt lgkmcnt(8)
	v_mul_f64 v[50:51], v[42:43], v[156:157]
	s_waitcnt vmcnt(52)
	v_fmac_f64_e32 v[20:21], v[40:41], v[166:167]
	v_add_f64 v[20:21], v[60:61], v[20:21]
	v_fmac_f64_e32 v[50:51], v[44:45], v[158:159]
	v_add_f64 v[20:21], v[20:21], v[50:51]
	s_waitcnt vmcnt(49) lgkmcnt(7)
	v_mul_f64 v[50:51], v[46:47], v[164:165]
	s_waitcnt vmcnt(47)
	v_fmac_f64_e32 v[50:51], v[48:49], v[168:169]
	v_add_f64 v[20:21], v[20:21], v[50:51]
	ds_read_b128 v[50:53], v136 offset:1744
	ds_read_b128 v[58:61], v136 offset:1776
	s_waitcnt vmcnt(45) lgkmcnt(1)
	v_mul_f64 v[62:63], v[50:51], v[160:161]
	s_waitcnt vmcnt(44)
	v_fmac_f64_e32 v[62:63], v[52:53], v[170:171]
	v_add_f64 v[20:21], v[20:21], v[62:63]
	s_waitcnt vmcnt(41)
	v_mul_f64 v[62:63], v[54:55], v[174:175]
	s_waitcnt vmcnt(39)
	v_fmac_f64_e32 v[62:63], v[56:57], v[178:179]
	v_add_f64 v[20:21], v[20:21], v[62:63]
	s_waitcnt vmcnt(38) lgkmcnt(0)
	v_mul_f64 v[62:63], v[58:59], v[172:173]
	s_waitcnt vmcnt(36)
	v_fmac_f64_e32 v[62:63], v[60:61], v[176:177]
	v_add_f64 v[20:21], v[20:21], v[62:63]
	ds_read_b128 v[62:65], v136 offset:1792
	s_waitcnt vmcnt(34) lgkmcnt(0)
	v_mul_f64 v[74:75], v[62:63], v[180:181]
	s_waitcnt vmcnt(32)
	v_fmac_f64_e32 v[74:75], v[64:65], v[182:183]
	v_add_f64 v[20:21], v[20:21], v[74:75]
	s_waitcnt vmcnt(30)
	v_mul_f64 v[74:75], v[66:67], v[184:185]
	s_waitcnt vmcnt(28)
	v_fmac_f64_e32 v[74:75], v[68:69], v[188:189]
	v_add_f64 v[20:21], v[20:21], v[74:75]
	s_waitcnt vmcnt(26)
	v_mul_f64 v[74:75], v[70:71], v[186:187]
	s_waitcnt vmcnt(24)
	v_fmac_f64_e32 v[74:75], v[72:73], v[190:191]
	v_add_f64 v[20:21], v[20:21], v[74:75]
	ds_read_b128 v[74:77], v136 offset:1840
	s_waitcnt vmcnt(18)
	v_mul_f64 v[28:29], v[78:79], v[196:197]
	s_waitcnt vmcnt(16)
	v_fmac_f64_e32 v[28:29], v[80:81], v[198:199]
	s_waitcnt vmcnt(9)
	v_mul_f64 v[102:103], v[86:87], v[206:207]
	s_waitcnt vmcnt(7)
	v_fmac_f64_e32 v[102:103], v[88:89], v[212:213]
	s_waitcnt lgkmcnt(0)
	v_mul_f64 v[90:91], v[74:75], v[192:193]
	v_fmac_f64_e32 v[90:91], v[76:77], v[194:195]
	v_add_f64 v[90:91], v[20:21], v[90:91]
	v_add_f64 v[28:29], v[90:91], v[28:29]
	v_mul_f64 v[90:91], v[82:83], v[202:203]
	buffer_load_dword v20, off, s[0:3], 0 offset:952
	v_fmac_f64_e32 v[90:91], v[84:85], v[204:205]
	v_add_f64 v[28:29], v[28:29], v[90:91]
	ds_read_b128 v[90:93], v136 offset:1904
	buffer_load_dword v218, off, s[0:3], 0 offset:944
	buffer_load_dword v21, off, s[0:3], 0 offset:956
	;; [unrolled: 1-line block ×3, first 2 shown]
	ds_read_b128 v[240:243], v136 offset:1936
	buffer_load_dword v221, off, s[0:3], 0 offset:972
	buffer_load_dword v220, off, s[0:3], 0 offset:968
	;; [unrolled: 1-line block ×4, first 2 shown]
	v_add_f64 v[28:29], v[28:29], v[102:103]
	s_waitcnt vmcnt(14) lgkmcnt(1)
	v_mul_f64 v[102:103], v[90:91], v[200:201]
	s_waitcnt vmcnt(12)
	v_fmac_f64_e32 v[102:103], v[92:93], v[210:211]
	v_add_f64 v[28:29], v[28:29], v[102:103]
	s_waitcnt vmcnt(10)
	v_mul_f64 v[102:103], v[94:95], v[208:209]
	s_waitcnt vmcnt(8)
	v_fmac_f64_e32 v[102:103], v[96:97], v[214:215]
	v_add_f64 v[28:29], v[28:29], v[102:103]
	s_waitcnt vmcnt(5) lgkmcnt(0)
	v_mul_f64 v[102:103], v[240:241], v[20:21]
	s_waitcnt vmcnt(4)
	v_fmac_f64_e32 v[102:103], v[242:243], v[218:219]
	v_add_f64 v[28:29], v[28:29], v[102:103]
	ds_read_b128 v[102:105], v136 offset:1952
	buffer_load_dword v224, off, s[0:3], 0 offset:984
	buffer_load_dword v225, off, s[0:3], 0 offset:988
	buffer_load_dword v226, off, s[0:3], 0 offset:976
	buffer_load_dword v227, off, s[0:3], 0 offset:980
	s_waitcnt vmcnt(6) lgkmcnt(0)
	v_mul_f64 v[106:107], v[102:103], v[220:221]
	s_waitcnt vmcnt(4)
	v_fmac_f64_e32 v[106:107], v[104:105], v[222:223]
	v_add_f64 v[28:29], v[28:29], v[106:107]
	ds_read_b128 v[106:109], v136 offset:1968
	buffer_load_dword v229, off, s[0:3], 0 offset:1004
	buffer_load_dword v228, off, s[0:3], 0 offset:1000
	buffer_load_dword v231, off, s[0:3], 0 offset:996
	buffer_load_dword v230, off, s[0:3], 0 offset:992
	s_waitcnt vmcnt(6) lgkmcnt(0)
	v_mul_f64 v[110:111], v[106:107], v[224:225]
	s_waitcnt vmcnt(4)
	v_fmac_f64_e32 v[110:111], v[108:109], v[226:227]
	v_add_f64 v[28:29], v[28:29], v[110:111]
	ds_read_b128 v[110:113], v136 offset:1984
	buffer_load_dword v234, off, s[0:3], 0 offset:1016
	buffer_load_dword v235, off, s[0:3], 0 offset:1020
	buffer_load_dword v244, off, s[0:3], 0 offset:1008
	buffer_load_dword v245, off, s[0:3], 0 offset:1012
	ds_read_b128 v[236:239], v136 offset:2000
	buffer_load_dword v248, off, s[0:3], 0 offset:192
	buffer_load_dword v249, off, s[0:3], 0 offset:196
	s_waitcnt vmcnt(8) lgkmcnt(1)
	v_mul_f64 v[232:233], v[110:111], v[228:229]
	s_waitcnt vmcnt(6)
	v_fmac_f64_e32 v[232:233], v[112:113], v[230:231]
	v_add_f64 v[28:29], v[28:29], v[232:233]
	s_waitcnt vmcnt(4) lgkmcnt(0)
	v_mul_f64 v[232:233], v[236:237], v[234:235]
	s_waitcnt vmcnt(2)
	v_fmac_f64_e32 v[232:233], v[238:239], v[244:245]
	v_add_f64 v[232:233], v[28:29], v[232:233]
	v_add_f64 v[28:29], v[254:255], 0
	;; [unrolled: 1-line block ×22, first 2 shown]
	buffer_load_dword v246, off, s[0:3], 0 offset:200
	buffer_load_dword v247, off, s[0:3], 0 offset:204
	v_accvgpr_read_b32 v4, a190
	v_accvgpr_read_b32 v5, a191
	;; [unrolled: 1-line block ×3, first 2 shown]
	v_mul_f64 v[4:5], v[150:151], v[4:5]
	v_accvgpr_read_b32 v7, a193
	v_add_f64 v[2:3], v[252:253], v[250:251]
	v_fma_f64 v[4:5], v[148:149], v[6:7], -v[4:5]
	v_add_f64 v[2:3], v[2:3], v[4:5]
	v_accvgpr_read_b32 v4, a194
	v_accvgpr_read_b32 v5, a195
	v_accvgpr_read_b32 v6, a196
	v_mul_f64 v[4:5], v[146:147], v[4:5]
	v_accvgpr_read_b32 v7, a197
	v_fma_f64 v[4:5], v[144:145], v[6:7], -v[4:5]
	v_add_f64 v[2:3], v[2:3], v[4:5]
	v_accvgpr_read_b32 v4, a198
	v_accvgpr_read_b32 v5, a199
	v_accvgpr_read_b32 v6, a200
	v_mul_f64 v[4:5], v[134:135], v[4:5]
	v_accvgpr_read_b32 v7, a201
	;; [unrolled: 7-line block ×6, first 2 shown]
	v_fma_f64 v[4:5], v[120:121], v[6:7], -v[4:5]
	v_add_f64 v[2:3], v[2:3], v[4:5]
	v_mul_f64 v[4:5], v[32:33], v[154:155]
	v_fma_f64 v[4:5], v[30:31], v[152:153], -v[4:5]
	v_add_f64 v[2:3], v[2:3], v[4:5]
	v_mul_f64 v[4:5], v[36:37], v[0:1]
	;; [unrolled: 3-line block ×22, first 2 shown]
	v_fma_f64 v[4:5], v[236:237], v[244:245], -v[4:5]
	v_add_f64 v[2:3], v[2:3], v[4:5]
	v_accvgpr_read_b32 v0, a188
	s_waitcnt vmcnt(2)
	v_add_f64 v[2:3], v[248:249], -v[2:3]
	v_cmp_lt_u32_e32 vcc, 10, v0
	s_waitcnt vmcnt(0)
	v_add_f64 v[4:5], v[246:247], -v[232:233]
	buffer_store_dword v3, off, s[0:3], 0 offset:196
	buffer_store_dword v2, off, s[0:3], 0 offset:192
	;; [unrolled: 1-line block ×4, first 2 shown]
	s_and_saveexec_b64 s[4:5], vcc
	s_cbranch_execz .LBB126_383
; %bb.382:
	v_accvgpr_read_b32 v0, a178
	buffer_load_dword v2, v0, s[0:3], 0 offen
	buffer_load_dword v3, v0, s[0:3], 0 offen offset:4
	buffer_load_dword v4, v0, s[0:3], 0 offen offset:8
	;; [unrolled: 1-line block ×3, first 2 shown]
	v_accvgpr_read_b32 v0, a189
	buffer_store_dword v136, off, s[0:3], 0 offset:176
	buffer_store_dword v136, off, s[0:3], 0 offset:180
	;; [unrolled: 1-line block ×4, first 2 shown]
	s_waitcnt vmcnt(4)
	ds_write_b128 v0, v[2:5]
.LBB126_383:
	s_or_b64 exec, exec, s[4:5]
	s_waitcnt lgkmcnt(0)
	; wave barrier
	s_waitcnt lgkmcnt(0)
	buffer_load_dword v22, off, s[0:3], 0 offset:192
	buffer_load_dword v23, off, s[0:3], 0 offset:196
	;; [unrolled: 1-line block ×36, first 2 shown]
	ds_read_b128 v[18:21], v136 offset:1184
	ds_read_b128 v[26:29], v136 offset:1200
	;; [unrolled: 1-line block ×9, first 2 shown]
	buffer_load_dword v91, off, s[0:3], 0 offset:364
	buffer_load_dword v90, off, s[0:3], 0 offset:360
	;; [unrolled: 1-line block ×58, first 2 shown]
	s_waitcnt vmcnt(62) lgkmcnt(8)
	v_mul_f64 v[2:3], v[18:19], v[24:25]
	v_fmac_f64_e32 v[2:3], v[20:21], v[22:23]
	v_add_f64 v[2:3], v[2:3], 0
	v_mul_f64 v[20:21], v[20:21], v[24:25]
	s_waitcnt lgkmcnt(7)
	v_mul_f64 v[4:5], v[26:27], v[162:163]
	v_fmac_f64_e32 v[4:5], v[28:29], v[160:161]
	s_waitcnt lgkmcnt(6)
	v_mul_f64 v[6:7], v[54:55], v[158:159]
	v_add_f64 v[2:3], v[2:3], v[4:5]
	s_waitcnt lgkmcnt(4)
	v_mul_f64 v[10:11], v[34:35], v[168:169]
	v_fma_f64 v[20:21], v[18:19], v[22:23], -v[20:21]
	v_fmac_f64_e32 v[10:11], v[36:37], v[172:173]
	v_mul_f64 v[28:29], v[28:29], v[162:163]
	v_mul_f64 v[8:9], v[30:31], v[68:69]
	v_fma_f64 v[160:161], v[26:27], v[160:161], -v[28:29]
	s_waitcnt lgkmcnt(2)
	v_mul_f64 v[14:15], v[50:51], v[74:75]
	v_mul_f64 v[36:37], v[36:37], v[168:169]
	v_fmac_f64_e32 v[14:15], v[52:53], v[76:77]
	v_fma_f64 v[18:19], v[34:35], v[172:173], -v[36:37]
	v_mul_f64 v[12:13], v[38:39], v[80:81]
	v_mul_f64 v[52:53], v[52:53], v[74:75]
	s_waitcnt lgkmcnt(1)
	v_mul_f64 v[16:17], v[46:47], v[72:73]
	v_add_f64 v[20:21], v[20:21], 0
	v_fmac_f64_e32 v[6:7], v[56:57], v[86:87]
	v_add_f64 v[2:3], v[2:3], v[6:7]
	v_fmac_f64_e32 v[8:9], v[32:33], v[166:167]
	v_add_f64 v[2:3], v[2:3], v[8:9]
	v_fmac_f64_e32 v[12:13], v[40:41], v[170:171]
	v_add_f64 v[2:3], v[2:3], v[10:11]
	v_add_f64 v[2:3], v[2:3], v[12:13]
	;; [unrolled: 1-line block ×3, first 2 shown]
	v_fmac_f64_e32 v[16:17], v[48:49], v[78:79]
	v_add_f64 v[2:3], v[2:3], v[16:17]
	v_mul_f64 v[32:33], v[32:33], v[68:69]
	v_mul_f64 v[40:41], v[40:41], v[80:81]
	v_fma_f64 v[168:169], v[38:39], v[170:171], -v[40:41]
	s_waitcnt vmcnt(0)
	v_pk_mov_b32 v[120:121], v[0:1], v[0:1] op_sel:[0,1]
	buffer_load_dword v1, off, s[0:3], 0 offset:580
	buffer_load_dword v0, off, s[0:3], 0 offset:576
	v_accvgpr_write_b32 a197, v121
	v_accvgpr_write_b32 a196, v120
	v_add_f64 v[20:21], v[20:21], v[160:161]
	s_waitcnt vmcnt(0)
	v_pk_mov_b32 v[122:123], v[0:1], v[0:1] op_sel:[0,1]
	buffer_load_dword v1, off, s[0:3], 0 offset:572
	buffer_load_dword v0, off, s[0:3], 0 offset:568
	v_accvgpr_write_b32 a199, v123
	v_accvgpr_write_b32 a198, v122
	s_waitcnt vmcnt(0)
	v_pk_mov_b32 v[14:15], v[0:1], v[0:1] op_sel:[0,1]
	buffer_load_dword v1, off, s[0:3], 0 offset:564
	buffer_load_dword v0, off, s[0:3], 0 offset:560
	v_pk_mov_b32 v[138:139], v[14:15], v[14:15] op_sel:[0,1]
	s_waitcnt vmcnt(0)
	v_pk_mov_b32 v[124:125], v[0:1], v[0:1] op_sel:[0,1]
	buffer_load_dword v1, off, s[0:3], 0 offset:620
	buffer_load_dword v0, off, s[0:3], 0 offset:616
	v_accvgpr_write_b32 a195, v125
	v_accvgpr_write_b32 a194, v124
	s_waitcnt vmcnt(0)
	v_pk_mov_b32 v[176:177], v[0:1], v[0:1] op_sel:[0,1]
	buffer_load_dword v1, off, s[0:3], 0 offset:612
	buffer_load_dword v0, off, s[0:3], 0 offset:608
	v_accvgpr_write_b32 a205, v177
	v_accvgpr_write_b32 a204, v176
	;; [unrolled: 6-line block ×5, first 2 shown]
	s_waitcnt vmcnt(0)
	v_pk_mov_b32 v[180:181], v[0:1], v[0:1] op_sel:[0,1]
	buffer_load_dword v1, off, s[0:3], 0 offset:644
	buffer_load_dword v0, off, s[0:3], 0 offset:640
	;; [unrolled: 1-line block ×4, first 2 shown]
	v_accvgpr_write_b32 a213, v181
	v_accvgpr_write_b32 a212, v180
	s_waitcnt vmcnt(2)
	v_accvgpr_write_b32 a215, v1
	v_accvgpr_write_b32 a214, v0
	s_waitcnt vmcnt(0)
	v_pk_mov_b32 v[188:189], v[4:5], v[4:5] op_sel:[0,1]
	buffer_load_dword v5, off, s[0:3], 0 offset:628
	buffer_load_dword v4, off, s[0:3], 0 offset:624
	ds_read_b128 v[184:187], v136 offset:1328
	ds_read_b128 v[196:199], v136 offset:1344
	;; [unrolled: 1-line block ×9, first 2 shown]
	buffer_load_dword v149, off, s[0:3], 0 offset:668
	buffer_load_dword v148, off, s[0:3], 0 offset:664
	;; [unrolled: 1-line block ×4, first 2 shown]
	ds_read_b128 v[246:249], v136 offset:1472
	buffer_load_dword v153, off, s[0:3], 0 offset:684
	buffer_load_dword v152, off, s[0:3], 0 offset:680
	;; [unrolled: 1-line block ×8, first 2 shown]
	ds_read_b128 v[250:253], v136 offset:1488
	ds_read_b128 v[58:61], v136 offset:1504
	;; [unrolled: 1-line block ×4, first 2 shown]
	v_accvgpr_write_b32 a209, v189
	v_accvgpr_write_b32 a208, v188
	s_waitcnt lgkmcnt(5)
	v_mul_f64 v[68:69], v[244:245], v[118:119]
	ds_read_b128 v[132:135], v136 offset:1568
	s_waitcnt lgkmcnt(1)
	v_mul_f64 v[8:9], v[82:83], v[96:97]
	v_fmac_f64_e32 v[8:9], v[84:85], v[100:101]
	v_mul_f64 v[84:85], v[84:85], v[96:97]
	s_waitcnt lgkmcnt(0)
	v_mul_f64 v[16:17], v[132:133], v[120:121]
	v_fmac_f64_e32 v[16:17], v[134:135], v[122:123]
	s_waitcnt vmcnt(12)
	v_pk_mov_b32 v[190:191], v[4:5], v[4:5] op_sel:[0,1]
	v_mul_f64 v[4:5], v[42:43], v[70:71]
	v_fmac_f64_e32 v[4:5], v[44:45], v[88:89]
	v_add_f64 v[2:3], v[2:3], v[4:5]
	v_mul_f64 v[4:5], v[184:185], v[94:95]
	v_fmac_f64_e32 v[4:5], v[186:187], v[98:99]
	v_add_f64 v[2:3], v[2:3], v[4:5]
	;; [unrolled: 3-line block ×14, first 2 shown]
	ds_read_b128 v[2:5], v136 offset:1552
	buffer_load_dword v157, off, s[0:3], 0 offset:716
	buffer_load_dword v156, off, s[0:3], 0 offset:712
	ds_read_b128 v[140:143], v136 offset:1584
	ds_read_b128 v[128:131], v136 offset:1600
	v_add_f64 v[10:11], v[6:7], v[8:9]
	s_waitcnt lgkmcnt(2)
	v_mul_f64 v[12:13], v[2:3], v[14:15]
	v_fmac_f64_e32 v[12:13], v[4:5], v[124:125]
	s_waitcnt lgkmcnt(1)
	v_mul_f64 v[174:175], v[140:141], v[126:127]
	ds_read_b128 v[124:127], v136 offset:1616
	ds_read_b128 v[120:123], v136 offset:1632
	v_add_f64 v[14:15], v[10:11], v[12:13]
	v_accvgpr_write_b32 a193, v5
	v_add_f64 v[164:165], v[14:15], v[16:17]
	v_fmac_f64_e32 v[174:175], v[142:143], v[182:183]
	s_waitcnt lgkmcnt(2)
	v_mul_f64 v[22:23], v[128:129], v[176:177]
	v_accvgpr_write_b32 a192, v4
	v_accvgpr_write_b32 a191, v3
	v_accvgpr_write_b32 a190, v2
	v_add_f64 v[4:5], v[164:165], v[174:175]
	v_fmac_f64_e32 v[22:23], v[130:131], v[178:179]
	v_add_f64 v[4:5], v[4:5], v[22:23]
	s_waitcnt lgkmcnt(1)
	v_mul_f64 v[22:23], v[124:125], v[188:189]
	v_fmac_f64_e32 v[22:23], v[126:127], v[190:191]
	s_waitcnt lgkmcnt(0)
	v_mul_f64 v[162:163], v[120:121], v[180:181]
	v_add_f64 v[4:5], v[4:5], v[22:23]
	ds_read_b128 v[26:29], v136 offset:1648
	v_fmac_f64_e32 v[162:163], v[122:123], v[0:1]
	v_add_f64 v[174:175], v[4:5], v[162:163]
	buffer_load_dword v163, off, s[0:3], 0 offset:708
	buffer_load_dword v162, off, s[0:3], 0 offset:704
	v_mul_f64 v[4:5], v[56:57], v[158:159]
	buffer_load_dword v158, off, s[0:3], 0 offset:744
	buffer_load_dword v24, off, s[0:3], 0 offset:736
	;; [unrolled: 1-line block ×4, first 2 shown]
	v_fma_f64 v[188:189], v[30:31], v[166:167], -v[32:33]
	buffer_load_dword v167, off, s[0:3], 0 offset:724
	buffer_load_dword v166, off, s[0:3], 0 offset:720
	;; [unrolled: 1-line block ×3, first 2 shown]
	s_waitcnt vmcnt(21) lgkmcnt(0)
	v_mul_f64 v[30:31], v[26:27], v[148:149]
	buffer_load_dword v25, off, s[0:3], 0 offset:740
	s_waitcnt vmcnt(20)
	v_fmac_f64_e32 v[30:31], v[28:29], v[150:151]
	v_fma_f64 v[86:87], v[54:55], v[86:87], -v[4:5]
	v_add_f64 v[54:55], v[174:175], v[30:31]
	ds_read_b128 v[30:33], v136 offset:1664
	ds_read_b128 v[34:37], v136 offset:1680
	;; [unrolled: 1-line block ×3, first 2 shown]
	buffer_load_dword v23, off, s[0:3], 0 offset:764
	buffer_load_dword v22, off, s[0:3], 0 offset:760
	;; [unrolled: 1-line block ×16, first 2 shown]
	v_mul_f64 v[44:45], v[44:45], v[70:71]
	v_accvgpr_write_b32 a211, v191
	v_fma_f64 v[10:11], v[42:43], v[88:89], -v[44:45]
	v_mul_f64 v[42:43], v[186:187], v[94:95]
	v_accvgpr_write_b32 a210, v190
	v_fma_f64 v[94:95], v[184:185], v[98:99], -v[42:43]
	buffer_load_dword v185, off, s[0:3], 0 offset:828
	buffer_load_dword v184, off, s[0:3], 0 offset:824
	;; [unrolled: 1-line block ×8, first 2 shown]
	s_waitcnt vmcnt(42) lgkmcnt(2)
	v_mul_f64 v[8:9], v[30:31], v[152:153]
	s_waitcnt vmcnt(40)
	v_fmac_f64_e32 v[8:9], v[32:33], v[154:155]
	v_add_f64 v[8:9], v[54:55], v[8:9]
	s_waitcnt vmcnt(38) lgkmcnt(1)
	v_mul_f64 v[54:55], v[34:35], v[144:145]
	s_waitcnt vmcnt(36)
	v_fmac_f64_e32 v[54:55], v[36:37], v[146:147]
	v_mul_f64 v[42:43], v[198:199], v[90:91]
	v_add_f64 v[54:55], v[8:9], v[54:55]
	v_fma_f64 v[8:9], v[196:197], v[92:93], -v[42:43]
	v_mul_f64 v[42:43], v[202:203], v[192:193]
	v_fma_f64 v[6:7], v[200:201], v[194:195], -v[42:43]
	buffer_load_dword v193, off, s[0:3], 0 offset:876
	buffer_load_dword v195, off, s[0:3], 0 offset:860
	;; [unrolled: 1-line block ×12, first 2 shown]
	v_mul_f64 v[42:43], v[210:211], v[204:205]
	v_fma_f64 v[4:5], v[208:209], v[206:207], -v[42:43]
	v_mul_f64 v[42:43], v[214:215], v[254:255]
	v_mul_f64 v[12:13], v[48:49], v[72:73]
	v_fma_f64 v[254:255], v[212:213], v[66:67], -v[42:43]
	buffer_load_dword v207, off, s[0:3], 0 offset:908
	buffer_load_dword v206, off, s[0:3], 0 offset:904
	;; [unrolled: 1-line block ×12, first 2 shown]
	ds_read_b128 v[42:45], v136 offset:1712
	v_fma_f64 v[12:13], v[46:47], v[78:79], -v[12:13]
	v_mul_f64 v[46:47], v[232:233], v[102:103]
	v_fma_f64 v[232:233], v[230:231], v[104:105], -v[46:47]
	ds_read_b128 v[46:49], v136 offset:1728
	v_fma_f64 v[14:15], v[50:51], v[76:77], -v[52:53]
	v_mul_f64 v[50:51], v[236:237], v[226:227]
	v_fma_f64 v[226:227], v[234:235], v[228:229], -v[50:51]
	ds_read_b128 v[50:53], v136 offset:1744
	v_mul_f64 v[66:67], v[240:241], v[220:221]
	v_fma_f64 v[220:221], v[238:239], v[222:223], -v[66:67]
	ds_read_b128 v[236:239], v136 offset:1776
	v_fma_f64 v[118:119], v[242:243], v[224:225], -v[68:69]
	s_waitcnt vmcnt(58) lgkmcnt(4)
	v_mul_f64 v[16:17], v[38:39], v[156:157]
	ds_read_b128 v[240:243], v136 offset:1792
	v_mul_f64 v[70:71], v[248:249], v[114:115]
	v_fma_f64 v[246:247], v[246:247], v[116:117], -v[70:71]
	ds_read_b128 v[70:73], v136 offset:1824
	v_mul_f64 v[60:61], v[60:61], v[106:107]
	v_mul_f64 v[64:65], v[64:65], v[108:109]
	v_fma_f64 v[2:3], v[58:59], v[110:111], -v[60:61]
	ds_read_b128 v[58:61], v136 offset:1872
	v_add_f64 v[20:21], v[20:21], v[86:87]
	v_add_f64 v[20:21], v[20:21], v[188:189]
	;; [unrolled: 1-line block ×17, first 2 shown]
	v_accvgpr_read_b32 v6, a190
	s_waitcnt vmcnt(56)
	v_fmac_f64_e32 v[16:17], v[40:41], v[162:163]
	v_add_f64 v[16:17], v[54:55], v[16:17]
	s_waitcnt vmcnt(52) lgkmcnt(6)
	v_mul_f64 v[54:55], v[42:43], v[164:165]
	s_waitcnt vmcnt(50)
	v_fmac_f64_e32 v[54:55], v[44:45], v[166:167]
	v_add_f64 v[16:17], v[16:17], v[54:55]
	s_waitcnt vmcnt(49) lgkmcnt(5)
	v_mul_f64 v[54:55], v[46:47], v[158:159]
	s_waitcnt vmcnt(48)
	v_fmac_f64_e32 v[54:55], v[48:49], v[24:25]
	v_add_f64 v[16:17], v[16:17], v[54:55]
	v_accvgpr_read_b32 v8, a192
	v_accvgpr_read_b32 v9, a193
	;; [unrolled: 1-line block ×3, first 2 shown]
	s_waitcnt vmcnt(46) lgkmcnt(4)
	v_mul_f64 v[54:55], v[50:51], v[22:23]
	v_accvgpr_write_b32 a217, v149
	s_waitcnt vmcnt(44)
	v_fmac_f64_e32 v[54:55], v[52:53], v[170:171]
	v_add_f64 v[16:17], v[16:17], v[54:55]
	ds_read_b128 v[54:57], v136 offset:1760
	v_accvgpr_write_b32 a216, v148
	s_waitcnt vmcnt(42) lgkmcnt(0)
	v_mul_f64 v[66:67], v[54:55], v[174:175]
	s_waitcnt vmcnt(40)
	v_fmac_f64_e32 v[66:67], v[56:57], v[176:177]
	v_add_f64 v[16:17], v[16:17], v[66:67]
	s_waitcnt vmcnt(36)
	v_mul_f64 v[66:67], v[236:237], v[180:181]
	s_waitcnt vmcnt(34)
	v_fmac_f64_e32 v[66:67], v[238:239], v[182:183]
	v_add_f64 v[16:17], v[16:17], v[66:67]
	v_mul_f64 v[66:67], v[240:241], v[172:173]
	s_waitcnt vmcnt(32)
	v_fmac_f64_e32 v[66:67], v[242:243], v[178:179]
	v_add_f64 v[16:17], v[16:17], v[66:67]
	ds_read_b128 v[66:69], v136 offset:1808
	s_waitcnt vmcnt(25)
	v_mul_f64 v[78:79], v[70:71], v[186:187]
	s_waitcnt vmcnt(24)
	v_fmac_f64_e32 v[78:79], v[72:73], v[88:89]
	s_waitcnt lgkmcnt(0)
	v_mul_f64 v[74:75], v[66:67], v[184:185]
	v_fmac_f64_e32 v[74:75], v[68:69], v[190:191]
	v_add_f64 v[16:17], v[16:17], v[74:75]
	v_mul_f64 v[74:75], v[252:253], v[216:217]
	v_fma_f64 v[248:249], v[250:251], v[218:219], -v[74:75]
	ds_read_b128 v[74:77], v136 offset:1840
	v_add_f64 v[16:17], v[16:17], v[78:79]
	ds_read_b128 v[78:81], v136 offset:1856
	v_fma_f64 v[250:251], v[62:63], v[112:113], -v[64:65]
	ds_read_b128 v[62:65], v136 offset:1904
	s_waitcnt vmcnt(21) lgkmcnt(2)
	v_mul_f64 v[90:91], v[74:75], v[194:195]
	s_waitcnt vmcnt(19)
	v_fmac_f64_e32 v[90:91], v[76:77], v[200:201]
	v_add_f64 v[16:17], v[16:17], v[90:91]
	s_waitcnt vmcnt(18) lgkmcnt(1)
	v_mul_f64 v[90:91], v[78:79], v[192:193]
	s_waitcnt vmcnt(16)
	v_fmac_f64_e32 v[90:91], v[80:81], v[198:199]
	v_add_f64 v[16:17], v[16:17], v[90:91]
	ds_read_b128 v[90:93], v136 offset:1888
	v_fma_f64 v[252:253], v[82:83], v[100:101], -v[84:85]
	ds_read_b128 v[82:85], v136 offset:1920
	buffer_load_dword v217, off, s[0:3], 0 offset:956
	buffer_load_dword v216, off, s[0:3], 0 offset:952
	;; [unrolled: 1-line block ×4, first 2 shown]
	s_waitcnt vmcnt(18)
	v_mul_f64 v[98:99], v[58:59], v[196:197]
	s_waitcnt vmcnt(16)
	v_fmac_f64_e32 v[98:99], v[60:61], v[202:203]
	s_waitcnt vmcnt(14) lgkmcnt(1)
	v_mul_f64 v[96:97], v[90:91], v[206:207]
	v_add_f64 v[16:17], v[16:17], v[98:99]
	s_waitcnt vmcnt(12)
	v_fmac_f64_e32 v[96:97], v[92:93], v[208:209]
	ds_read_b128 v[98:101], v136 offset:1936
	v_add_f64 v[16:17], v[16:17], v[96:97]
	s_waitcnt vmcnt(9)
	v_mul_f64 v[96:97], v[62:63], v[212:213]
	s_waitcnt vmcnt(7)
	v_fmac_f64_e32 v[96:97], v[64:65], v[214:215]
	v_add_f64 v[16:17], v[16:17], v[96:97]
	s_waitcnt vmcnt(5) lgkmcnt(1)
	v_mul_f64 v[96:97], v[82:83], v[204:205]
	s_waitcnt vmcnt(4)
	v_fmac_f64_e32 v[96:97], v[84:85], v[210:211]
	v_add_f64 v[16:17], v[16:17], v[96:97]
	v_add_f64 v[4:5], v[4:5], v[248:249]
	;; [unrolled: 1-line block ×3, first 2 shown]
	v_mul_f64 v[4:5], v[8:9], v[138:139]
	v_accvgpr_read_b32 v8, a194
	v_add_f64 v[2:3], v[254:255], v[250:251]
	v_accvgpr_read_b32 v9, a195
	v_add_f64 v[2:3], v[2:3], v[252:253]
	v_fma_f64 v[4:5], v[6:7], v[8:9], -v[4:5]
	v_add_f64 v[2:3], v[2:3], v[4:5]
	v_accvgpr_read_b32 v4, a196
	v_accvgpr_read_b32 v5, a197
	v_accvgpr_read_b32 v6, a198
	v_mul_f64 v[4:5], v[134:135], v[4:5]
	v_accvgpr_read_b32 v7, a199
	v_fma_f64 v[4:5], v[132:133], v[6:7], -v[4:5]
	v_add_f64 v[2:3], v[2:3], v[4:5]
	v_accvgpr_read_b32 v4, a200
	v_accvgpr_read_b32 v5, a201
	v_accvgpr_read_b32 v6, a202
	v_mul_f64 v[4:5], v[142:143], v[4:5]
	v_accvgpr_read_b32 v7, a203
	;; [unrolled: 7-line block ×5, first 2 shown]
	v_fma_f64 v[4:5], v[120:121], v[6:7], -v[4:5]
	v_add_f64 v[2:3], v[2:3], v[4:5]
	v_accvgpr_read_b32 v4, a216
	v_accvgpr_read_b32 v5, a217
	v_mul_f64 v[4:5], v[28:29], v[4:5]
	v_fma_f64 v[4:5], v[26:27], v[150:151], -v[4:5]
	v_add_f64 v[2:3], v[2:3], v[4:5]
	v_mul_f64 v[4:5], v[32:33], v[152:153]
	v_fma_f64 v[4:5], v[30:31], v[154:155], -v[4:5]
	v_add_f64 v[2:3], v[2:3], v[4:5]
	;; [unrolled: 3-line block ×6, first 2 shown]
	s_waitcnt vmcnt(2) lgkmcnt(0)
	v_mul_f64 v[96:97], v[98:99], v[216:217]
	v_mul_f64 v[4:5], v[52:53], v[22:23]
	s_waitcnt vmcnt(0)
	v_fmac_f64_e32 v[96:97], v[100:101], v[218:219]
	v_add_f64 v[16:17], v[16:17], v[96:97]
	buffer_load_dword v96, off, s[0:3], 0 offset:968
	buffer_load_dword v97, off, s[0:3], 0 offset:972
	;; [unrolled: 1-line block ×4, first 2 shown]
	ds_read_b128 v[102:105], v136 offset:1952
	v_fma_f64 v[4:5], v[50:51], v[170:171], -v[4:5]
	v_add_f64 v[2:3], v[2:3], v[4:5]
	v_mul_f64 v[4:5], v[56:57], v[174:175]
	v_fma_f64 v[4:5], v[54:55], v[176:177], -v[4:5]
	v_add_f64 v[2:3], v[2:3], v[4:5]
	v_mul_f64 v[4:5], v[238:239], v[180:181]
	;; [unrolled: 3-line block ×12, first 2 shown]
	v_fma_f64 v[4:5], v[98:99], v[218:219], -v[4:5]
	v_add_f64 v[2:3], v[2:3], v[4:5]
	s_waitcnt vmcnt(2) lgkmcnt(0)
	v_mul_f64 v[106:107], v[102:103], v[96:97]
	v_mul_f64 v[4:5], v[104:105], v[96:97]
	s_waitcnt vmcnt(0)
	v_fmac_f64_e32 v[106:107], v[104:105], v[222:223]
	v_add_f64 v[110:111], v[16:17], v[106:107]
	buffer_load_dword v225, off, s[0:3], 0 offset:988
	buffer_load_dword v224, off, s[0:3], 0 offset:984
	;; [unrolled: 1-line block ×4, first 2 shown]
	ds_read_b128 v[106:109], v136 offset:1968
	buffer_load_dword v228, off, s[0:3], 0 offset:1000
	buffer_load_dword v229, off, s[0:3], 0 offset:1004
	;; [unrolled: 1-line block ×4, first 2 shown]
	v_fma_f64 v[4:5], v[102:103], v[222:223], -v[4:5]
	v_add_f64 v[2:3], v[2:3], v[4:5]
	s_waitcnt vmcnt(6) lgkmcnt(0)
	v_mul_f64 v[112:113], v[106:107], v[224:225]
	v_mul_f64 v[4:5], v[108:109], v[224:225]
	s_waitcnt vmcnt(4)
	v_fmac_f64_e32 v[112:113], v[108:109], v[16:17]
	v_add_f64 v[114:115], v[110:111], v[112:113]
	ds_read_b128 v[110:113], v136 offset:1984
	buffer_load_dword v235, off, s[0:3], 0 offset:1020
	buffer_load_dword v234, off, s[0:3], 0 offset:1016
	;; [unrolled: 1-line block ×4, first 2 shown]
	v_fma_f64 v[4:5], v[106:107], v[16:17], -v[4:5]
	v_add_f64 v[2:3], v[2:3], v[4:5]
	s_waitcnt vmcnt(6) lgkmcnt(0)
	v_mul_f64 v[116:117], v[110:111], v[228:229]
	s_waitcnt vmcnt(4)
	v_fmac_f64_e32 v[116:117], v[112:113], v[230:231]
	v_add_f64 v[0:1], v[114:115], v[116:117]
	ds_read_b128 v[114:117], v136 offset:2000
	buffer_load_dword v248, off, s[0:3], 0 offset:176
	buffer_load_dword v249, off, s[0:3], 0 offset:180
	;; [unrolled: 1-line block ×4, first 2 shown]
	v_mul_f64 v[4:5], v[112:113], v[228:229]
	v_fma_f64 v[4:5], v[110:111], v[230:231], -v[4:5]
	v_add_f64 v[2:3], v[2:3], v[4:5]
	s_waitcnt vmcnt(6) lgkmcnt(0)
	v_mul_f64 v[148:149], v[114:115], v[234:235]
	v_mul_f64 v[4:5], v[116:117], v[234:235]
	s_waitcnt vmcnt(4)
	v_fmac_f64_e32 v[148:149], v[116:117], v[244:245]
	v_fma_f64 v[4:5], v[114:115], v[244:245], -v[4:5]
	v_add_f64 v[0:1], v[0:1], v[148:149]
	v_add_f64 v[2:3], v[2:3], v[4:5]
	s_waitcnt vmcnt(2)
	v_add_f64 v[2:3], v[248:249], -v[2:3]
	s_waitcnt vmcnt(0)
	v_add_f64 v[0:1], v[246:247], -v[0:1]
	buffer_store_dword v3, off, s[0:3], 0 offset:180
	buffer_store_dword v2, off, s[0:3], 0 offset:176
	;; [unrolled: 1-line block ×4, first 2 shown]
	v_accvgpr_read_b32 v0, a188
	v_cmp_lt_u32_e32 vcc, 9, v0
	s_and_saveexec_b64 s[4:5], vcc
	s_cbranch_execz .LBB126_385
; %bb.384:
	v_accvgpr_read_b32 v0, a179
	buffer_load_dword v2, v0, s[0:3], 0 offen
	buffer_load_dword v3, v0, s[0:3], 0 offen offset:4
	buffer_load_dword v4, v0, s[0:3], 0 offen offset:8
	;; [unrolled: 1-line block ×3, first 2 shown]
	v_mov_b32_e32 v0, 0
	v_accvgpr_read_b32 v1, a189
	buffer_store_dword v0, off, s[0:3], 0 offset:160
	buffer_store_dword v0, off, s[0:3], 0 offset:164
	;; [unrolled: 1-line block ×4, first 2 shown]
	s_waitcnt vmcnt(4)
	ds_write_b128 v1, v[2:5]
.LBB126_385:
	s_or_b64 exec, exec, s[4:5]
	s_waitcnt lgkmcnt(0)
	; wave barrier
	s_waitcnt lgkmcnt(0)
	buffer_load_dword v136, off, s[0:3], 0 offset:176
	buffer_load_dword v137, off, s[0:3], 0 offset:180
	;; [unrolled: 1-line block ×36, first 2 shown]
	v_mov_b32_e32 v138, 0
	buffer_load_dword v55, off, s[0:3], 0 offset:348
	buffer_load_dword v54, off, s[0:3], 0 offset:344
	;; [unrolled: 1-line block ×18, first 2 shown]
	ds_read_b128 v[22:25], v138 offset:1168
	ds_read_b128 v[110:113], v138 offset:1184
	;; [unrolled: 1-line block ×9, first 2 shown]
	s_waitcnt vmcnt(50) lgkmcnt(8)
	v_mul_f64 v[2:3], v[22:23], v[16:17]
	v_fmac_f64_e32 v[2:3], v[24:25], v[136:137]
	v_add_f64 v[2:3], v[2:3], 0
	v_mul_f64 v[16:17], v[24:25], v[16:17]
	s_waitcnt vmcnt(46) lgkmcnt(7)
	v_mul_f64 v[4:5], v[110:111], v[20:21]
	v_fmac_f64_e32 v[4:5], v[112:113], v[156:157]
	s_waitcnt vmcnt(44) lgkmcnt(6)
	v_mul_f64 v[6:7], v[114:115], v[26:27]
	v_add_f64 v[2:3], v[2:3], v[4:5]
	s_waitcnt vmcnt(42) lgkmcnt(4)
	v_mul_f64 v[10:11], v[166:167], v[30:31]
	v_fma_f64 v[252:253], v[22:23], v[136:137], -v[16:17]
	s_waitcnt vmcnt(40)
	v_fmac_f64_e32 v[10:11], v[168:169], v[32:33]
	v_mul_f64 v[20:21], v[112:113], v[20:21]
	s_waitcnt vmcnt(38)
	v_mul_f64 v[8:9], v[162:163], v[28:29]
	v_mul_f64 v[26:27], v[116:117], v[26:27]
	s_waitcnt vmcnt(36) lgkmcnt(2)
	v_mul_f64 v[68:69], v[174:175], v[44:45]
	v_mul_f64 v[28:29], v[164:165], v[28:29]
	s_waitcnt vmcnt(34)
	v_fmac_f64_e32 v[68:69], v[176:177], v[46:47]
	v_mul_f64 v[30:31], v[168:169], v[30:31]
	s_waitcnt vmcnt(32)
	v_mul_f64 v[12:13], v[170:171], v[34:35]
	v_mul_f64 v[34:35], v[172:173], v[34:35]
	s_waitcnt vmcnt(30) lgkmcnt(1)
	v_mul_f64 v[118:119], v[178:179], v[42:43]
	v_mul_f64 v[42:43], v[180:181], v[42:43]
	s_waitcnt vmcnt(28)
	v_fmac_f64_e32 v[6:7], v[116:117], v[160:161]
	v_add_f64 v[2:3], v[2:3], v[6:7]
	s_waitcnt vmcnt(26)
	v_fmac_f64_e32 v[8:9], v[164:165], v[38:39]
	v_add_f64 v[2:3], v[2:3], v[8:9]
	s_waitcnt vmcnt(24)
	v_fmac_f64_e32 v[12:13], v[172:173], v[36:37]
	v_add_f64 v[2:3], v[2:3], v[10:11]
	v_add_f64 v[2:3], v[2:3], v[12:13]
	v_add_f64 v[2:3], v[2:3], v[68:69]
	buffer_load_dword v109, off, s[0:3], 0 offset:404
	buffer_load_dword v108, off, s[0:3], 0 offset:400
	;; [unrolled: 1-line block ×40, first 2 shown]
	s_waitcnt vmcnt(62)
	v_fmac_f64_e32 v[118:119], v[180:181], v[50:51]
	s_waitcnt vmcnt(58) lgkmcnt(0)
	v_mul_f64 v[4:5], v[182:183], v[48:49]
	v_add_f64 v[2:3], v[2:3], v[118:119]
	v_fmac_f64_e32 v[4:5], v[184:185], v[52:53]
	v_add_f64 v[2:3], v[2:3], v[4:5]
	v_fma_f64 v[254:255], v[114:115], v[160:161], -v[26:27]
	v_fma_f64 v[250:251], v[162:163], v[38:39], -v[28:29]
	;; [unrolled: 1-line block ×3, first 2 shown]
	s_waitcnt vmcnt(0)
	v_pk_mov_b32 v[6:7], v[0:1], v[0:1] op_sel:[0,1]
	buffer_load_dword v1, off, s[0:3], 0 offset:564
	buffer_load_dword v0, off, s[0:3], 0 offset:560
	v_accvgpr_write_b32 a199, v7
	v_accvgpr_write_b32 a198, v6
	s_waitcnt vmcnt(0)
	v_pk_mov_b32 v[8:9], v[0:1], v[0:1] op_sel:[0,1]
	buffer_load_dword v91, off, s[0:3], 0 offset:556
	buffer_load_dword v90, off, s[0:3], 0 offset:552
	;; [unrolled: 1-line block ×6, first 2 shown]
	v_accvgpr_write_b32 a201, v9
	v_accvgpr_write_b32 a200, v8
	s_waitcnt vmcnt(0)
	v_pk_mov_b32 v[120:121], v[0:1], v[0:1] op_sel:[0,1]
	buffer_load_dword v1, off, s[0:3], 0 offset:596
	buffer_load_dword v0, off, s[0:3], 0 offset:592
	v_pk_mov_b32 v[136:137], v[120:121], v[120:121] op_sel:[0,1]
	s_waitcnt vmcnt(0)
	v_pk_mov_b32 v[122:123], v[0:1], v[0:1] op_sel:[0,1]
	buffer_load_dword v1, off, s[0:3], 0 offset:588
	buffer_load_dword v0, off, s[0:3], 0 offset:584
	v_accvgpr_write_b32 a207, v123
	v_accvgpr_write_b32 a206, v122
	s_waitcnt vmcnt(0)
	v_pk_mov_b32 v[128:129], v[0:1], v[0:1] op_sel:[0,1]
	buffer_load_dword v1, off, s[0:3], 0 offset:580
	buffer_load_dword v0, off, s[0:3], 0 offset:576
	v_accvgpr_write_b32 a203, v129
	v_accvgpr_write_b32 a202, v128
	;; [unrolled: 6-line block ×5, first 2 shown]
	s_waitcnt vmcnt(0)
	v_pk_mov_b32 v[140:141], v[0:1], v[0:1] op_sel:[0,1]
	buffer_load_dword v1, off, s[0:3], 0 offset:612
	buffer_load_dword v0, off, s[0:3], 0 offset:608
	ds_read_b128 v[186:189], v138 offset:1312
	ds_read_b128 v[190:193], v138 offset:1328
	;; [unrolled: 1-line block ×9, first 2 shown]
	s_waitcnt lgkmcnt(8)
	v_mul_f64 v[4:5], v[186:187], v[58:59]
	v_fmac_f64_e32 v[4:5], v[188:189], v[60:61]
	v_add_f64 v[2:3], v[2:3], v[4:5]
	s_waitcnt lgkmcnt(7)
	v_mul_f64 v[4:5], v[190:191], v[54:55]
	v_fmac_f64_e32 v[4:5], v[192:193], v[56:57]
	v_add_f64 v[2:3], v[2:3], v[4:5]
	;; [unrolled: 4-line block ×9, first 2 shown]
	v_accvgpr_write_b32 a209, v141
	v_accvgpr_write_b32 a208, v140
	v_mul_f64 v[16:17], v[200:201], v[64:65]
	v_fma_f64 v[16:17], v[198:199], v[66:67], -v[16:17]
	s_waitcnt vmcnt(0)
	v_pk_mov_b32 v[142:143], v[0:1], v[0:1] op_sel:[0,1]
	buffer_load_dword v19, off, s[0:3], 0 offset:652
	buffer_load_dword v18, off, s[0:3], 0 offset:648
	;; [unrolled: 1-line block ×4, first 2 shown]
	ds_read_b128 v[224:227], v138 offset:1456
	buffer_load_dword v15, off, s[0:3], 0 offset:668
	buffer_load_dword v14, off, s[0:3], 0 offset:664
	;; [unrolled: 1-line block ×12, first 2 shown]
	ds_read_b128 v[228:231], v138 offset:1472
	ds_read_b128 v[232:235], v138 offset:1488
	s_waitcnt lgkmcnt(2)
	v_mul_f64 v[4:5], v[224:225], v[68:69]
	v_fmac_f64_e32 v[4:5], v[226:227], v[70:71]
	ds_read_b128 v[236:239], v138 offset:1504
	ds_read_b128 v[240:243], v138 offset:1520
	v_add_f64 v[2:3], v[2:3], v[4:5]
	s_waitcnt lgkmcnt(3)
	v_mul_f64 v[4:5], v[228:229], v[72:73]
	v_fmac_f64_e32 v[4:5], v[230:231], v[82:83]
	v_add_f64 v[2:3], v[2:3], v[4:5]
	s_waitcnt lgkmcnt(2)
	v_mul_f64 v[4:5], v[232:233], v[74:75]
	v_fmac_f64_e32 v[4:5], v[234:235], v[76:77]
	;; [unrolled: 4-line block ×3, first 2 shown]
	v_add_f64 v[2:3], v[2:3], v[4:5]
	ds_read_b128 v[244:247], v138 offset:1536
	s_waitcnt lgkmcnt(1)
	v_mul_f64 v[4:5], v[240:241], v[86:87]
	v_fmac_f64_e32 v[4:5], v[242:243], v[88:89]
	v_add_f64 v[10:11], v[2:3], v[4:5]
	ds_read_b128 v[2:5], v138 offset:1552
	ds_read_b128 v[132:135], v138 offset:1568
	ds_read_b128 v[144:147], v138 offset:1600
	s_waitcnt lgkmcnt(3)
	v_mul_f64 v[12:13], v[244:245], v[90:91]
	v_fmac_f64_e32 v[12:13], v[246:247], v[92:93]
	v_add_f64 v[10:11], v[10:11], v[12:13]
	s_waitcnt lgkmcnt(2)
	v_mul_f64 v[12:13], v[2:3], v[6:7]
	v_fmac_f64_e32 v[12:13], v[4:5], v[8:9]
	v_add_f64 v[10:11], v[10:11], v[12:13]
	s_waitcnt lgkmcnt(1)
	v_mul_f64 v[12:13], v[132:133], v[128:129]
	v_accvgpr_write_b32 a197, v135
	v_fmac_f64_e32 v[12:13], v[134:135], v[130:131]
	v_accvgpr_write_b32 a196, v134
	v_accvgpr_write_b32 a195, v133
	;; [unrolled: 1-line block ×3, first 2 shown]
	ds_read_b128 v[132:135], v138 offset:1584
	ds_read_b128 v[128:131], v138 offset:1632
	v_add_f64 v[118:119], v[10:11], v[12:13]
	s_waitcnt lgkmcnt(2)
	v_mul_f64 v[24:25], v[144:145], v[140:141]
	v_accvgpr_write_b32 a211, v143
	s_waitcnt lgkmcnt(1)
	v_mul_f64 v[22:23], v[132:133], v[120:121]
	v_fmac_f64_e32 v[22:23], v[134:135], v[122:123]
	v_add_f64 v[22:23], v[118:119], v[22:23]
	v_fma_f64 v[118:119], v[110:111], v[156:157], -v[20:21]
	ds_read_b128 v[156:159], v138 offset:1616
	v_fmac_f64_e32 v[24:25], v[146:147], v[142:143]
	v_accvgpr_write_b32 a210, v142
	buffer_load_dword v161, off, s[0:3], 0 offset:716
	buffer_load_dword v160, off, s[0:3], 0 offset:712
	;; [unrolled: 1-line block ×4, first 2 shown]
	s_waitcnt lgkmcnt(0)
	v_mul_f64 v[26:27], v[156:157], v[124:125]
	v_fmac_f64_e32 v[26:27], v[158:159], v[126:127]
	buffer_load_dword v163, off, s[0:3], 0 offset:708
	buffer_load_dword v162, off, s[0:3], 0 offset:704
	;; [unrolled: 1-line block ×3, first 2 shown]
	ds_read_b128 v[124:127], v138 offset:1648
	ds_read_b128 v[120:123], v138 offset:1664
	buffer_load_dword v141, off, s[0:3], 0 offset:724
	v_accvgpr_write_b32 a193, v5
	v_add_f64 v[110:111], v[22:23], v[24:25]
	ds_read_b128 v[34:37], v138 offset:1680
	v_accvgpr_write_b32 a192, v4
	v_accvgpr_write_b32 a191, v3
	;; [unrolled: 1-line block ×3, first 2 shown]
	v_add_f64 v[26:27], v[110:111], v[26:27]
	v_fma_f64 v[24:25], v[178:179], v[50:51], -v[42:43]
	v_mul_f64 v[42:43], v[184:185], v[48:49]
	v_fma_f64 v[22:23], v[182:183], v[52:53], -v[42:43]
	v_mul_f64 v[42:43], v[188:189], v[58:59]
	;; [unrolled: 2-line block ×3, first 2 shown]
	v_mul_f64 v[42:43], v[196:197], v[96:97]
	v_mul_f64 v[48:49], v[214:215], v[104:105]
	v_fma_f64 v[10:11], v[212:213], v[106:107], -v[48:49]
	v_mul_f64 v[50:51], v[218:219], v[84:85]
	v_mul_f64 v[74:75], v[234:235], v[74:75]
	v_mul_f64 v[78:79], v[238:239], v[78:79]
	s_waitcnt vmcnt(22)
	v_mul_f64 v[28:29], v[128:129], v[18:19]
	v_accvgpr_write_b32 a217, v19
	s_waitcnt vmcnt(20)
	v_fmac_f64_e32 v[28:29], v[130:131], v[0:1]
	s_waitcnt vmcnt(18) lgkmcnt(2)
	v_mul_f64 v[4:5], v[124:125], v[14:15]
	v_add_f64 v[38:39], v[26:27], v[28:29]
	s_waitcnt vmcnt(16)
	v_fmac_f64_e32 v[4:5], v[126:127], v[40:41]
	v_add_f64 v[4:5], v[38:39], v[4:5]
	s_waitcnt vmcnt(13) lgkmcnt(1)
	v_mul_f64 v[38:39], v[120:121], v[150:151]
	s_waitcnt vmcnt(11)
	v_fmac_f64_e32 v[38:39], v[122:123], v[154:155]
	v_add_f64 v[4:5], v[4:5], v[38:39]
	s_waitcnt vmcnt(10) lgkmcnt(0)
	v_mul_f64 v[38:39], v[34:35], v[152:153]
	v_accvgpr_write_b32 a221, v41
	s_waitcnt vmcnt(8)
	v_fmac_f64_e32 v[38:39], v[36:37], v[148:149]
	v_fma_f64 v[26:27], v[166:167], v[32:33], -v[30:31]
	v_accvgpr_write_b32 a220, v40
	v_add_f64 v[110:111], v[4:5], v[38:39]
	ds_read_b128 v[38:41], v138 offset:1696
	buffer_load_dword v31, off, s[0:3], 0 offset:748
	buffer_load_dword v30, off, s[0:3], 0 offset:744
	;; [unrolled: 1-line block ×9, first 2 shown]
	v_mul_f64 v[4:5], v[176:177], v[44:45]
	v_fma_f64 v[112:113], v[174:175], v[46:47], -v[4:5]
	buffer_load_dword v177, off, s[0:3], 0 offset:780
	buffer_load_dword v176, off, s[0:3], 0 offset:776
	;; [unrolled: 1-line block ×15, first 2 shown]
	v_accvgpr_write_b32 a216, v18
	v_fma_f64 v[18:19], v[190:191], v[56:57], -v[12:13]
	buffer_load_dword v189, off, s[0:3], 0 offset:844
	buffer_load_dword v188, off, s[0:3], 0 offset:840
	;; [unrolled: 1-line block ×4, first 2 shown]
	v_accvgpr_write_b32 a219, v1
	v_accvgpr_write_b32 a218, v0
	v_pk_mov_b32 v[0:1], v[14:15], v[14:15] op_sel:[0,1]
	v_fma_f64 v[14:15], v[194:195], v[98:99], -v[42:43]
	buffer_load_dword v193, off, s[0:3], 0 offset:860
	buffer_load_dword v192, off, s[0:3], 0 offset:856
	;; [unrolled: 1-line block ×8, first 2 shown]
	v_mul_f64 v[42:43], v[204:205], v[210:211]
	v_fma_f64 v[248:249], v[202:203], v[248:249], -v[42:43]
	v_mul_f64 v[42:43], v[208:209], v[62:63]
	buffer_load_dword v203, off, s[0:3], 0 offset:892
	buffer_load_dword v202, off, s[0:3], 0 offset:888
	;; [unrolled: 1-line block ×4, first 2 shown]
	v_fma_f64 v[12:13], v[206:207], v[108:109], -v[42:43]
	buffer_load_dword v200, off, s[0:3], 0 offset:920
	buffer_load_dword v209, off, s[0:3], 0 offset:908
	;; [unrolled: 1-line block ×8, first 2 shown]
	ds_read_b128 v[42:45], v138 offset:1712
	buffer_load_dword v213, off, s[0:3], 0 offset:940
	buffer_load_dword v212, off, s[0:3], 0 offset:936
	;; [unrolled: 1-line block ×4, first 2 shown]
	v_mul_f64 v[62:63], v[226:227], v[68:69]
	v_fma_f64 v[8:9], v[224:225], v[70:71], -v[62:63]
	ds_read_b128 v[62:65], v138 offset:1792
	v_fma_f64 v[4:5], v[232:233], v[76:77], -v[74:75]
	v_fma_f64 v[232:233], v[236:237], v[80:81], -v[78:79]
	ds_read_b128 v[78:81], v138 offset:1856
	v_mul_f64 v[86:87], v[242:243], v[86:87]
	v_fma_f64 v[2:3], v[240:241], v[88:89], -v[86:87]
	ds_read_b128 v[86:89], v138 offset:1888
	v_mul_f64 v[90:91], v[246:247], v[90:91]
	v_fma_f64 v[236:237], v[244:245], v[92:93], -v[90:91]
	ds_read_b128 v[74:77], v138 offset:1840
	ds_read_b128 v[90:93], v138 offset:1904
	s_waitcnt vmcnt(58) lgkmcnt(6)
	v_mul_f64 v[46:47], v[38:39], v[160:161]
	s_waitcnt vmcnt(54)
	v_fmac_f64_e32 v[46:47], v[40:41], v[162:163]
	s_waitcnt vmcnt(53) lgkmcnt(5)
	v_mul_f64 v[48:49], v[42:43], v[142:143]
	v_add_f64 v[46:47], v[110:111], v[46:47]
	v_fma_f64 v[110:111], v[216:217], v[94:95], -v[50:51]
	s_waitcnt vmcnt(52)
	v_fmac_f64_e32 v[48:49], v[44:45], v[140:141]
	v_add_f64 v[54:55], v[46:47], v[48:49]
	ds_read_b128 v[46:49], v138 offset:1728
	ds_read_b128 v[50:53], v138 offset:1744
	;; [unrolled: 1-line block ×3, first 2 shown]
	s_waitcnt vmcnt(50) lgkmcnt(2)
	v_mul_f64 v[56:57], v[46:47], v[30:31]
	s_waitcnt vmcnt(48)
	v_fmac_f64_e32 v[56:57], v[48:49], v[170:171]
	v_add_f64 v[58:59], v[54:55], v[56:57]
	v_mul_f64 v[54:55], v[222:223], v[100:101]
	v_fma_f64 v[216:217], v[220:221], v[102:103], -v[54:55]
	ds_read_b128 v[54:57], v138 offset:1760
	s_waitcnt vmcnt(46) lgkmcnt(2)
	v_mul_f64 v[60:61], v[50:51], v[168:169]
	s_waitcnt vmcnt(44)
	v_fmac_f64_e32 v[60:61], v[52:53], v[172:173]
	v_add_f64 v[66:67], v[58:59], v[60:61]
	ds_read_b128 v[58:61], v138 offset:1776
	s_waitcnt vmcnt(41) lgkmcnt(1)
	v_mul_f64 v[68:69], v[54:55], v[176:177]
	s_waitcnt vmcnt(39)
	v_fmac_f64_e32 v[68:69], v[56:57], v[180:181]
	v_add_f64 v[70:71], v[66:67], v[68:69]
	v_mul_f64 v[66:67], v[230:231], v[72:73]
	v_fma_f64 v[6:7], v[228:229], v[82:83], -v[66:67]
	ds_read_b128 v[66:69], v138 offset:1808
	s_waitcnt vmcnt(38) lgkmcnt(1)
	v_mul_f64 v[84:85], v[58:59], v[166:167]
	s_waitcnt vmcnt(36)
	v_fmac_f64_e32 v[84:85], v[60:61], v[178:179]
	s_waitcnt vmcnt(33)
	v_mul_f64 v[72:73], v[62:63], v[184:185]
	v_add_f64 v[70:71], v[70:71], v[84:85]
	s_waitcnt vmcnt(31)
	v_fmac_f64_e32 v[72:73], v[64:65], v[186:187]
	v_add_f64 v[70:71], v[70:71], v[72:73]
	s_waitcnt vmcnt(29) lgkmcnt(0)
	v_mul_f64 v[72:73], v[66:67], v[174:175]
	s_waitcnt vmcnt(28)
	v_fmac_f64_e32 v[72:73], v[68:69], v[182:183]
	v_add_f64 v[82:83], v[70:71], v[72:73]
	ds_read_b128 v[70:73], v138 offset:1824
	s_waitcnt vmcnt(26) lgkmcnt(0)
	v_mul_f64 v[28:29], v[70:71], v[188:189]
	s_waitcnt vmcnt(24)
	v_fmac_f64_e32 v[28:29], v[72:73], v[190:191]
	v_add_f64 v[28:29], v[82:83], v[28:29]
	s_waitcnt vmcnt(22)
	v_mul_f64 v[82:83], v[74:75], v[192:193]
	s_waitcnt vmcnt(20)
	v_fmac_f64_e32 v[82:83], v[76:77], v[196:197]
	v_add_f64 v[28:29], v[28:29], v[82:83]
	s_waitcnt vmcnt(18)
	v_mul_f64 v[82:83], v[78:79], v[194:195]
	s_waitcnt vmcnt(16)
	v_fmac_f64_e32 v[82:83], v[80:81], v[198:199]
	v_add_f64 v[28:29], v[28:29], v[82:83]
	ds_read_b128 v[82:85], v138 offset:1872
	buffer_load_dword v242, off, s[0:3], 0 offset:952
	buffer_load_dword v243, off, s[0:3], 0 offset:956
	buffer_load_dword v218, off, s[0:3], 0 offset:944
	buffer_load_dword v219, off, s[0:3], 0 offset:948
	ds_read_b128 v[98:101], v138 offset:1936
	buffer_load_dword v221, off, s[0:3], 0 offset:972
	buffer_load_dword v220, off, s[0:3], 0 offset:968
	buffer_load_dword v223, off, s[0:3], 0 offset:964
	buffer_load_dword v222, off, s[0:3], 0 offset:960
	;; [unrolled: 5-line block ×5, first 2 shown]
	s_waitcnt vmcnt(34) lgkmcnt(4)
	v_mul_f64 v[32:33], v[82:83], v[202:203]
	s_waitcnt vmcnt(32)
	v_fmac_f64_e32 v[32:33], v[84:85], v[204:205]
	v_add_f64 v[28:29], v[28:29], v[32:33]
	s_waitcnt vmcnt(29)
	v_mul_f64 v[32:33], v[86:87], v[208:209]
	s_waitcnt vmcnt(27)
	v_fmac_f64_e32 v[32:33], v[88:89], v[210:211]
	v_add_f64 v[28:29], v[28:29], v[32:33]
	s_waitcnt vmcnt(25)
	;; [unrolled: 5-line block ×3, first 2 shown]
	v_mul_f64 v[32:33], v[94:95], v[212:213]
	s_waitcnt vmcnt(20)
	v_fmac_f64_e32 v[32:33], v[96:97], v[214:215]
	v_add_f64 v[28:29], v[28:29], v[32:33]
	ds_read_b128 v[114:117], v138 offset:2000
	s_waitcnt vmcnt(18) lgkmcnt(4)
	v_mul_f64 v[32:33], v[98:99], v[242:243]
	s_waitcnt vmcnt(16)
	v_fmac_f64_e32 v[32:33], v[100:101], v[218:219]
	v_add_f64 v[28:29], v[28:29], v[32:33]
	s_waitcnt vmcnt(14) lgkmcnt(3)
	v_mul_f64 v[32:33], v[102:103], v[220:221]
	s_waitcnt vmcnt(12)
	v_fmac_f64_e32 v[32:33], v[104:105], v[222:223]
	v_add_f64 v[28:29], v[28:29], v[32:33]
	;; [unrolled: 5-line block ×5, first 2 shown]
	v_add_f64 v[32:33], v[252:253], 0
	v_add_f64 v[32:33], v[32:33], v[118:119]
	;; [unrolled: 1-line block ×15, first 2 shown]
	buffer_load_dword v248, off, s[0:3], 0 offset:160
	buffer_load_dword v249, off, s[0:3], 0 offset:164
	v_add_f64 v[10:11], v[12:13], v[10:11]
	buffer_load_dword v246, off, s[0:3], 0 offset:168
	buffer_load_dword v247, off, s[0:3], 0 offset:172
	v_add_f64 v[10:11], v[10:11], v[110:111]
	v_add_f64 v[10:11], v[10:11], v[216:217]
	;; [unrolled: 1-line block ×7, first 2 shown]
	v_accvgpr_read_b32 v6, a190
	v_accvgpr_read_b32 v4, a198
	;; [unrolled: 1-line block ×5, first 2 shown]
	v_mul_f64 v[4:5], v[8:9], v[4:5]
	v_accvgpr_read_b32 v8, a200
	v_accvgpr_read_b32 v7, a191
	;; [unrolled: 1-line block ×3, first 2 shown]
	v_add_f64 v[2:3], v[252:253], v[236:237]
	v_fma_f64 v[4:5], v[6:7], v[8:9], -v[4:5]
	v_add_f64 v[2:3], v[2:3], v[4:5]
	v_accvgpr_read_b32 v6, a194
	v_accvgpr_read_b32 v4, a202
	;; [unrolled: 1-line block ×5, first 2 shown]
	v_mul_f64 v[4:5], v[8:9], v[4:5]
	v_accvgpr_read_b32 v8, a204
	v_accvgpr_read_b32 v7, a195
	v_accvgpr_read_b32 v9, a205
	v_fma_f64 v[4:5], v[6:7], v[8:9], -v[4:5]
	v_accvgpr_read_b32 v6, a206
	v_add_f64 v[2:3], v[2:3], v[4:5]
	v_mul_f64 v[4:5], v[134:135], v[136:137]
	v_accvgpr_read_b32 v7, a207
	v_fma_f64 v[4:5], v[132:133], v[6:7], -v[4:5]
	v_add_f64 v[2:3], v[2:3], v[4:5]
	v_accvgpr_read_b32 v4, a208
	v_accvgpr_read_b32 v5, a209
	v_accvgpr_read_b32 v6, a210
	v_mul_f64 v[4:5], v[146:147], v[4:5]
	v_accvgpr_read_b32 v7, a211
	v_fma_f64 v[4:5], v[144:145], v[6:7], -v[4:5]
	v_add_f64 v[2:3], v[2:3], v[4:5]
	v_accvgpr_read_b32 v4, a212
	v_accvgpr_read_b32 v5, a213
	v_accvgpr_read_b32 v6, a214
	;; [unrolled: 7-line block ×3, first 2 shown]
	v_mul_f64 v[4:5], v[130:131], v[4:5]
	v_accvgpr_read_b32 v7, a219
	v_fma_f64 v[4:5], v[128:129], v[6:7], -v[4:5]
	v_add_f64 v[2:3], v[2:3], v[4:5]
	v_mul_f64 v[4:5], v[126:127], v[0:1]
	v_accvgpr_read_b32 v0, a220
	v_accvgpr_read_b32 v1, a221
	v_fma_f64 v[4:5], v[124:125], v[0:1], -v[4:5]
	v_add_f64 v[2:3], v[2:3], v[4:5]
	v_mul_f64 v[4:5], v[122:123], v[150:151]
	v_fma_f64 v[4:5], v[120:121], v[154:155], -v[4:5]
	v_add_f64 v[2:3], v[2:3], v[4:5]
	v_mul_f64 v[4:5], v[36:37], v[152:153]
	;; [unrolled: 3-line block ×22, first 2 shown]
	v_fma_f64 v[4:5], v[114:115], v[244:245], -v[4:5]
	v_add_f64 v[2:3], v[2:3], v[4:5]
	v_accvgpr_read_b32 v0, a188
	s_waitcnt vmcnt(2)
	v_add_f64 v[2:3], v[248:249], -v[2:3]
	v_cmp_lt_u32_e32 vcc, 8, v0
	s_waitcnt vmcnt(0)
	v_add_f64 v[4:5], v[246:247], -v[28:29]
	buffer_store_dword v3, off, s[0:3], 0 offset:164
	buffer_store_dword v2, off, s[0:3], 0 offset:160
	;; [unrolled: 1-line block ×4, first 2 shown]
	s_and_saveexec_b64 s[4:5], vcc
	s_cbranch_execz .LBB126_387
; %bb.386:
	v_accvgpr_read_b32 v0, a180
	buffer_load_dword v2, v0, s[0:3], 0 offen
	buffer_load_dword v3, v0, s[0:3], 0 offen offset:4
	buffer_load_dword v4, v0, s[0:3], 0 offen offset:8
	;; [unrolled: 1-line block ×3, first 2 shown]
	v_accvgpr_read_b32 v0, a189
	buffer_store_dword v138, off, s[0:3], 0 offset:144
	buffer_store_dword v138, off, s[0:3], 0 offset:148
	;; [unrolled: 1-line block ×4, first 2 shown]
	s_waitcnt vmcnt(4)
	ds_write_b128 v0, v[2:5]
.LBB126_387:
	s_or_b64 exec, exec, s[4:5]
	s_waitcnt lgkmcnt(0)
	; wave barrier
	s_waitcnt lgkmcnt(0)
	buffer_load_dword v130, off, s[0:3], 0 offset:160
	buffer_load_dword v131, off, s[0:3], 0 offset:164
	;; [unrolled: 1-line block ×42, first 2 shown]
	ds_read_b128 v[14:17], v138 offset:1152
	ds_read_b128 v[26:29], v138 offset:1168
	;; [unrolled: 1-line block ×10, first 2 shown]
	buffer_load_dword v105, off, s[0:3], 0 offset:308
	buffer_load_dword v104, off, s[0:3], 0 offset:304
	ds_read_b128 v[42:45], v138 offset:1312
	buffer_load_dword v65, off, s[0:3], 0 offset:364
	buffer_load_dword v64, off, s[0:3], 0 offset:360
	;; [unrolled: 1-line block ×6, first 2 shown]
	s_waitcnt vmcnt(46) lgkmcnt(10)
	v_mul_f64 v[2:3], v[14:15], v[8:9]
	v_fmac_f64_e32 v[2:3], v[16:17], v[130:131]
	v_add_f64 v[2:3], v[2:3], 0
	v_mul_f64 v[8:9], v[16:17], v[8:9]
	s_waitcnt vmcnt(42) lgkmcnt(9)
	v_mul_f64 v[4:5], v[26:27], v[12:13]
	v_fmac_f64_e32 v[4:5], v[28:29], v[146:147]
	s_waitcnt vmcnt(40) lgkmcnt(8)
	v_mul_f64 v[66:67], v[106:107], v[154:155]
	v_add_f64 v[2:3], v[2:3], v[4:5]
	s_waitcnt vmcnt(38) lgkmcnt(6)
	v_mul_f64 v[72:73], v[114:115], v[30:31]
	v_mul_f64 v[12:13], v[28:29], v[12:13]
	s_waitcnt vmcnt(36)
	v_fmac_f64_e32 v[72:73], v[116:117], v[32:33]
	v_fma_f64 v[130:131], v[14:15], v[130:131], -v[8:9]
	s_waitcnt vmcnt(34)
	v_mul_f64 v[68:69], v[110:111], v[22:23]
	v_mul_f64 v[30:31], v[116:117], v[30:31]
	s_waitcnt vmcnt(32) lgkmcnt(4)
	v_mul_f64 v[76:77], v[164:165], v[38:39]
	v_mul_f64 v[22:23], v[112:113], v[22:23]
	s_waitcnt vmcnt(30)
	v_fmac_f64_e32 v[76:77], v[166:167], v[40:41]
	s_waitcnt vmcnt(28)
	v_mul_f64 v[74:75], v[156:157], v[34:35]
	v_mul_f64 v[34:35], v[158:159], v[34:35]
	s_waitcnt vmcnt(26) lgkmcnt(2)
	v_mul_f64 v[80:81], v[172:173], v[52:53]
	v_mul_f64 v[52:53], v[174:175], v[52:53]
	s_waitcnt vmcnt(23)
	v_mul_f64 v[78:79], v[168:169], v[56:57]
	s_waitcnt vmcnt(21) lgkmcnt(1)
	v_mul_f64 v[144:145], v[46:47], v[50:51]
	s_waitcnt vmcnt(19)
	v_fmac_f64_e32 v[66:67], v[108:109], v[180:181]
	v_add_f64 v[2:3], v[2:3], v[66:67]
	s_waitcnt vmcnt(17)
	v_fmac_f64_e32 v[68:69], v[112:113], v[24:25]
	v_add_f64 v[2:3], v[2:3], v[68:69]
	;; [unrolled: 3-line block ×3, first 2 shown]
	v_add_f64 v[2:3], v[2:3], v[74:75]
	s_waitcnt vmcnt(13)
	v_fmac_f64_e32 v[78:79], v[170:171], v[58:59]
	v_add_f64 v[2:3], v[2:3], v[76:77]
	s_waitcnt vmcnt(12)
	v_fmac_f64_e32 v[80:81], v[174:175], v[54:55]
	v_add_f64 v[2:3], v[2:3], v[78:79]
	v_add_f64 v[2:3], v[2:3], v[80:81]
	buffer_load_dword v187, off, s[0:3], 0 offset:340
	buffer_load_dword v186, off, s[0:3], 0 offset:336
	buffer_load_dword v209, off, s[0:3], 0 offset:396
	buffer_load_dword v208, off, s[0:3], 0 offset:392
	buffer_load_dword v211, off, s[0:3], 0 offset:388
	buffer_load_dword v210, off, s[0:3], 0 offset:384
	buffer_load_dword v249, off, s[0:3], 0 offset:380
	buffer_load_dword v248, off, s[0:3], 0 offset:376
	buffer_load_dword v251, off, s[0:3], 0 offset:372
	buffer_load_dword v250, off, s[0:3], 0 offset:368
	buffer_load_dword v97, off, s[0:3], 0 offset:428
	buffer_load_dword v96, off, s[0:3], 0 offset:424
	buffer_load_dword v99, off, s[0:3], 0 offset:420
	buffer_load_dword v98, off, s[0:3], 0 offset:416
	buffer_load_dword v253, off, s[0:3], 0 offset:412
	buffer_load_dword v252, off, s[0:3], 0 offset:408
	buffer_load_dword v255, off, s[0:3], 0 offset:404
	buffer_load_dword v254, off, s[0:3], 0 offset:400
	buffer_load_dword v77, off, s[0:3], 0 offset:460
	buffer_load_dword v76, off, s[0:3], 0 offset:456
	buffer_load_dword v87, off, s[0:3], 0 offset:452
	buffer_load_dword v86, off, s[0:3], 0 offset:448
	buffer_load_dword v101, off, s[0:3], 0 offset:444
	buffer_load_dword v100, off, s[0:3], 0 offset:440
	buffer_load_dword v103, off, s[0:3], 0 offset:436
	buffer_load_dword v102, off, s[0:3], 0 offset:432
	buffer_load_dword v67, off, s[0:3], 0 offset:492
	buffer_load_dword v66, off, s[0:3], 0 offset:488
	buffer_load_dword v69, off, s[0:3], 0 offset:484
	buffer_load_dword v68, off, s[0:3], 0 offset:480
	buffer_load_dword v89, off, s[0:3], 0 offset:476
	buffer_load_dword v88, off, s[0:3], 0 offset:472
	buffer_load_dword v95, off, s[0:3], 0 offset:468
	buffer_load_dword v94, off, s[0:3], 0 offset:464
	buffer_load_dword v79, off, s[0:3], 0 offset:524
	buffer_load_dword v78, off, s[0:3], 0 offset:520
	buffer_load_dword v81, off, s[0:3], 0 offset:516
	buffer_load_dword v80, off, s[0:3], 0 offset:512
	buffer_load_dword v73, off, s[0:3], 0 offset:508
	buffer_load_dword v72, off, s[0:3], 0 offset:504
	buffer_load_dword v75, off, s[0:3], 0 offset:500
	buffer_load_dword v74, off, s[0:3], 0 offset:496
	buffer_load_dword v91, off, s[0:3], 0 offset:556
	buffer_load_dword v90, off, s[0:3], 0 offset:552
	buffer_load_dword v93, off, s[0:3], 0 offset:548
	buffer_load_dword v92, off, s[0:3], 0 offset:544
	buffer_load_dword v83, off, s[0:3], 0 offset:540
	buffer_load_dword v82, off, s[0:3], 0 offset:536
	buffer_load_dword v85, off, s[0:3], 0 offset:532
	buffer_load_dword v84, off, s[0:3], 0 offset:528
	buffer_load_dword v5, off, s[0:3], 0 offset:588
	buffer_load_dword v4, off, s[0:3], 0 offset:584
	s_waitcnt vmcnt(58)
	v_fmac_f64_e32 v[144:145], v[48:49], v[104:105]
	v_add_f64 v[2:3], v[2:3], v[144:145]
	s_waitcnt vmcnt(0)
	v_pk_mov_b32 v[122:123], v[4:5], v[4:5] op_sel:[0,1]
	buffer_load_dword v5, off, s[0:3], 0 offset:580
	buffer_load_dword v4, off, s[0:3], 0 offset:576
	v_accvgpr_write_b32 a199, v123
	v_accvgpr_write_b32 a198, v122
	s_waitcnt vmcnt(0)
	v_pk_mov_b32 v[124:125], v[4:5], v[4:5] op_sel:[0,1]
	buffer_load_dword v5, off, s[0:3], 0 offset:572
	buffer_load_dword v4, off, s[0:3], 0 offset:568
	v_accvgpr_write_b32 a201, v125
	v_accvgpr_write_b32 a200, v124
	;; [unrolled: 6-line block ×6, first 2 shown]
	s_waitcnt vmcnt(0)
	v_pk_mov_b32 v[184:185], v[4:5], v[4:5] op_sel:[0,1]
	buffer_load_dword v5, off, s[0:3], 0 offset:596
	buffer_load_dword v4, off, s[0:3], 0 offset:592
	s_waitcnt vmcnt(0)
	v_pk_mov_b32 v[188:189], v[4:5], v[4:5] op_sel:[0,1]
	buffer_load_dword v5, off, s[0:3], 0 offset:652
	buffer_load_dword v4, off, s[0:3], 0 offset:648
	v_accvgpr_write_b32 a203, v189
	v_accvgpr_write_b32 a202, v188
	s_waitcnt vmcnt(0)
	v_pk_mov_b32 v[162:163], v[4:5], v[4:5] op_sel:[0,1]
	buffer_load_dword v5, off, s[0:3], 0 offset:644
	buffer_load_dword v4, off, s[0:3], 0 offset:640
	v_accvgpr_write_b32 a209, v163
	v_accvgpr_write_b32 a208, v162
	s_waitcnt vmcnt(0)
	v_pk_mov_b32 v[182:183], v[4:5], v[4:5] op_sel:[0,1]
	buffer_load_dword v7, off, s[0:3], 0 offset:636
	buffer_load_dword v6, off, s[0:3], 0 offset:632
	;; [unrolled: 1-line block ×4, first 2 shown]
	ds_read_b128 v[176:179], v138 offset:1328
	ds_read_b128 v[192:195], v138 offset:1344
	;; [unrolled: 1-line block ×7, first 2 shown]
	buffer_load_dword v11, off, s[0:3], 0 offset:668
	buffer_load_dword v10, off, s[0:3], 0 offset:664
	;; [unrolled: 1-line block ×4, first 2 shown]
	ds_read_b128 v[220:223], v138 offset:1440
	buffer_load_dword v132, off, s[0:3], 0 offset:680
	buffer_load_dword v133, off, s[0:3], 0 offset:684
	;; [unrolled: 1-line block ×4, first 2 shown]
	ds_read_b128 v[224:227], v138 offset:1456
	ds_read_b128 v[228:231], v138 offset:1472
	;; [unrolled: 1-line block ×4, first 2 shown]
	buffer_load_dword v149, off, s[0:3], 0 offset:700
	buffer_load_dword v148, off, s[0:3], 0 offset:696
	;; [unrolled: 1-line block ×4, first 2 shown]
	ds_read_b128 v[240:243], v138 offset:1520
	ds_read_b128 v[244:247], v138 offset:1536
	;; [unrolled: 1-line block ×4, first 2 shown]
	v_accvgpr_write_b32 a211, v183
	v_accvgpr_write_b32 a210, v182
	s_waitcnt lgkmcnt(1)
	v_accvgpr_write_b32 a227, v137
	v_accvgpr_write_b32 a226, v136
	;; [unrolled: 1-line block ×4, first 2 shown]
	s_waitcnt lgkmcnt(0)
	v_mul_f64 v[14:15], v[16:17], v[122:123]
	v_fmac_f64_e32 v[14:15], v[18:19], v[124:125]
	v_accvgpr_write_b32 a197, v19
	ds_read_b128 v[122:125], v138 offset:1648
	v_accvgpr_write_b32 a196, v18
	v_accvgpr_write_b32 a195, v17
	;; [unrolled: 1-line block ×3, first 2 shown]
	v_mul_f64 v[18:19], v[108:109], v[154:155]
	v_fma_f64 v[108:109], v[114:115], v[32:33], -v[30:31]
	ds_read_b128 v[30:33], v138 offset:1664
	v_fma_f64 v[180:181], v[106:107], v[180:181], -v[18:19]
	v_fma_f64 v[106:107], v[110:111], v[24:25], -v[22:23]
	v_fma_f64 v[18:19], v[172:173], v[54:55], -v[52:53]
	v_pk_mov_b32 v[154:155], v[184:185], v[184:185] op_sel:[0,1]
	v_mul_f64 v[54:55], v[222:223], v[76:77]
	s_waitcnt vmcnt(14)
	v_accvgpr_write_b32 a215, v7
	v_accvgpr_write_b32 a214, v6
	s_waitcnt vmcnt(12)
	v_pk_mov_b32 v[190:191], v[4:5], v[4:5] op_sel:[0,1]
	v_mul_f64 v[4:5], v[42:43], v[60:61]
	v_fmac_f64_e32 v[4:5], v[44:45], v[62:63]
	v_add_f64 v[2:3], v[2:3], v[4:5]
	v_mul_f64 v[4:5], v[176:177], v[118:119]
	v_fmac_f64_e32 v[4:5], v[178:179], v[186:187]
	v_add_f64 v[2:3], v[2:3], v[4:5]
	;; [unrolled: 3-line block ×15, first 2 shown]
	v_mul_f64 v[4:5], v[134:135], v[140:141]
	v_fmac_f64_e32 v[4:5], v[136:137], v[142:143]
	ds_read_b128 v[134:137], v138 offset:1584
	v_add_f64 v[4:5], v[160:161], v[4:5]
	v_fma_f64 v[160:161], v[26:27], v[146:147], -v[12:13]
	ds_read_b128 v[144:147], v138 offset:1600
	v_add_f64 v[4:5], v[4:5], v[14:15]
	s_waitcnt lgkmcnt(1)
	v_mul_f64 v[26:27], v[134:135], v[184:185]
	v_fmac_f64_e32 v[26:27], v[136:137], v[188:189]
	ds_read_b128 v[140:143], v138 offset:1616
	v_add_f64 v[4:5], v[4:5], v[26:27]
	s_waitcnt lgkmcnt(1)
	v_mul_f64 v[26:27], v[144:145], v[126:127]
	v_fmac_f64_e32 v[26:27], v[146:147], v[128:129]
	;; [unrolled: 5-line block ×3, first 2 shown]
	v_add_f64 v[4:5], v[4:5], v[26:27]
	s_waitcnt lgkmcnt(0)
	v_mul_f64 v[26:27], v[126:127], v[162:163]
	v_fmac_f64_e32 v[26:27], v[128:129], v[182:183]
	s_waitcnt vmcnt(10)
	v_mul_f64 v[110:111], v[122:123], v[10:11]
	v_add_f64 v[4:5], v[4:5], v[26:27]
	s_waitcnt vmcnt(8)
	v_fmac_f64_e32 v[110:111], v[124:125], v[120:121]
	s_waitcnt vmcnt(6)
	v_mul_f64 v[112:113], v[30:31], v[132:133]
	v_add_f64 v[4:5], v[4:5], v[110:111]
	v_fma_f64 v[110:111], v[156:157], v[36:37], -v[34:35]
	ds_read_b128 v[34:37], v138 offset:1680
	buffer_load_dword v157, off, s[0:3], 0 offset:716
	buffer_load_dword v156, off, s[0:3], 0 offset:712
	s_waitcnt vmcnt(6)
	v_fmac_f64_e32 v[112:113], v[32:33], v[20:21]
	v_add_f64 v[112:113], v[4:5], v[112:113]
	buffer_load_dword v163, off, s[0:3], 0 offset:708
	buffer_load_dword v162, off, s[0:3], 0 offset:704
	v_mul_f64 v[4:5], v[166:167], v[38:39]
	v_fma_f64 v[182:183], v[164:165], v[40:41], -v[4:5]
	buffer_load_dword v158, off, s[0:3], 0 offset:744
	buffer_load_dword v26, off, s[0:3], 0 offset:736
	;; [unrolled: 1-line block ×8, first 2 shown]
	v_mul_f64 v[38:39], v[170:171], v[56:57]
	v_fma_f64 v[22:23], v[168:169], v[58:59], -v[38:39]
	ds_read_b128 v[38:41], v138 offset:1696
	buffer_load_dword v169, off, s[0:3], 0 offset:764
	buffer_load_dword v168, off, s[0:3], 0 offset:760
	;; [unrolled: 1-line block ×8, first 2 shown]
	s_waitcnt vmcnt(22) lgkmcnt(1)
	v_mul_f64 v[8:9], v[34:35], v[148:149]
	s_waitcnt vmcnt(20)
	v_fmac_f64_e32 v[8:9], v[36:37], v[0:1]
	v_add_f64 v[8:9], v[112:113], v[8:9]
	v_mul_f64 v[14:15], v[178:179], v[118:119]
	buffer_load_dword v179, off, s[0:3], 0 offset:796
	buffer_load_dword v178, off, s[0:3], 0 offset:792
	;; [unrolled: 1-line block ×8, first 2 shown]
	v_accvgpr_write_b32 a213, v191
	v_accvgpr_write_b32 a212, v190
	v_fma_f64 v[14:15], v[176:177], v[186:187], -v[14:15]
	buffer_load_dword v176, off, s[0:3], 0 offset:840
	buffer_load_dword v189, off, s[0:3], 0 offset:828
	;; [unrolled: 1-line block ×8, first 2 shown]
	v_mul_f64 v[12:13], v[48:49], v[50:51]
	v_mul_f64 v[44:45], v[44:45], v[60:61]
	v_accvgpr_write_b32 a217, v11
	v_fma_f64 v[16:17], v[46:47], v[104:105], -v[12:13]
	v_fma_f64 v[12:13], v[42:43], v[62:63], -v[44:45]
	v_mul_f64 v[42:43], v[194:195], v[64:65]
	v_accvgpr_write_b32 a216, v10
	v_fma_f64 v[10:11], v[192:193], v[70:71], -v[42:43]
	buffer_load_dword v193, off, s[0:3], 0 offset:860
	buffer_load_dword v192, off, s[0:3], 0 offset:856
	;; [unrolled: 1-line block ×4, first 2 shown]
	v_accvgpr_write_b32 a223, v21
	v_mul_f64 v[42:43], v[202:203], v[208:209]
	v_accvgpr_write_b32 a222, v20
	v_mul_f64 v[20:21], v[198:199], v[248:249]
	v_fma_f64 v[248:249], v[200:201], v[210:211], -v[42:43]
	buffer_load_dword v198, off, s[0:3], 0 offset:872
	buffer_load_dword v200, off, s[0:3], 0 offset:864
	buffer_load_dword v199, off, s[0:3], 0 offset:876
	buffer_load_dword v201, off, s[0:3], 0 offset:868
	v_mul_f64 v[42:43], v[206:207], v[252:253]
	v_fma_f64 v[20:21], v[196:197], v[250:251], -v[20:21]
	v_fma_f64 v[254:255], v[204:205], v[254:255], -v[42:43]
	buffer_load_dword v197, off, s[0:3], 0 offset:908
	buffer_load_dword v203, off, s[0:3], 0 offset:892
	;; [unrolled: 1-line block ×12, first 2 shown]
	ds_read_b128 v[42:45], v138 offset:1712
	v_mul_f64 v[46:47], v[214:215], v[96:97]
	v_fma_f64 v[250:251], v[212:213], v[98:99], -v[46:47]
	v_mul_f64 v[46:47], v[218:219], v[100:101]
	buffer_load_dword v212, off, s[0:3], 0 offset:936
	buffer_load_dword v214, off, s[0:3], 0 offset:928
	;; [unrolled: 1-line block ×4, first 2 shown]
	v_fma_f64 v[6:7], v[216:217], v[102:103], -v[46:47]
	ds_read_b128 v[46:49], v138 offset:1728
	v_fma_f64 v[4:5], v[220:221], v[86:87], -v[54:55]
	ds_read_b128 v[54:57], v138 offset:1760
	ds_read_b128 v[58:61], v138 offset:1776
	v_mul_f64 v[66:67], v[230:231], v[66:67]
	v_fma_f64 v[2:3], v[228:229], v[68:69], -v[66:67]
	ds_read_b128 v[66:69], v138 offset:1808
	v_mul_f64 v[70:71], v[234:235], v[72:73]
	v_fma_f64 v[232:233], v[232:233], v[74:75], -v[70:71]
	ds_read_b128 v[70:73], v138 offset:1824
	ds_read_b128 v[74:77], v138 offset:1840
	v_mul_f64 v[90:91], v[246:247], v[90:91]
	v_fma_f64 v[252:253], v[244:245], v[92:93], -v[90:91]
	v_accvgpr_write_b32 a219, v121
	v_accvgpr_write_b32 a218, v120
	v_add_f64 v[120:121], v[130:131], 0
	v_add_f64 v[120:121], v[120:121], v[160:161]
	;; [unrolled: 1-line block ×9, first 2 shown]
	ds_read_b128 v[90:93], v138 offset:1904
	v_add_f64 v[16:17], v[18:19], v[16:17]
	v_add_f64 v[12:13], v[16:17], v[12:13]
	;; [unrolled: 1-line block ×5, first 2 shown]
	v_accvgpr_write_b32 a221, v133
	v_add_f64 v[10:11], v[10:11], v[248:249]
	v_accvgpr_write_b32 a220, v132
	s_waitcnt vmcnt(58) lgkmcnt(8)
	v_mul_f64 v[50:51], v[38:39], v[156:157]
	v_pk_mov_b32 v[132:133], v[0:1], v[0:1] op_sel:[0,1]
	v_add_f64 v[10:11], v[10:11], v[254:255]
	s_waitcnt vmcnt(56)
	v_fmac_f64_e32 v[50:51], v[40:41], v[162:163]
	v_add_f64 v[8:9], v[8:9], v[50:51]
	v_add_f64 v[10:11], v[10:11], v[250:251]
	s_waitcnt vmcnt(52) lgkmcnt(7)
	v_mul_f64 v[50:51], v[42:43], v[164:165]
	s_waitcnt vmcnt(50)
	v_fmac_f64_e32 v[50:51], v[44:45], v[166:167]
	v_add_f64 v[8:9], v[8:9], v[50:51]
	s_waitcnt vmcnt(49) lgkmcnt(6)
	v_mul_f64 v[50:51], v[46:47], v[158:159]
	s_waitcnt vmcnt(48)
	v_fmac_f64_e32 v[50:51], v[48:49], v[26:27]
	v_add_f64 v[8:9], v[8:9], v[50:51]
	ds_read_b128 v[50:53], v138 offset:1744
	s_waitcnt vmcnt(41) lgkmcnt(6)
	v_mul_f64 v[62:63], v[54:55], v[170:171]
	s_waitcnt vmcnt(40)
	v_fmac_f64_e32 v[62:63], v[56:57], v[174:175]
	s_waitcnt vmcnt(38) lgkmcnt(5)
	v_mul_f64 v[28:29], v[58:59], v[178:179]
	s_waitcnt vmcnt(36)
	v_fmac_f64_e32 v[28:29], v[60:61], v[112:113]
	s_waitcnt lgkmcnt(0)
	v_mul_f64 v[24:25], v[50:51], v[168:169]
	v_fmac_f64_e32 v[24:25], v[52:53], v[172:173]
	v_add_f64 v[8:9], v[8:9], v[24:25]
	v_add_f64 v[8:9], v[8:9], v[62:63]
	ds_read_b128 v[62:65], v138 offset:1792
	v_add_f64 v[8:9], v[8:9], v[28:29]
	v_mul_f64 v[24:25], v[226:227], v[88:89]
	v_fma_f64 v[24:25], v[224:225], v[94:95], -v[24:25]
	v_add_f64 v[6:7], v[10:11], v[6:7]
	s_waitcnt vmcnt(34) lgkmcnt(0)
	v_mul_f64 v[28:29], v[62:63], v[118:119]
	s_waitcnt vmcnt(32)
	v_fmac_f64_e32 v[28:29], v[64:65], v[184:185]
	v_add_f64 v[8:9], v[8:9], v[28:29]
	s_waitcnt vmcnt(29)
	v_mul_f64 v[28:29], v[66:67], v[188:189]
	s_waitcnt vmcnt(27)
	v_fmac_f64_e32 v[28:29], v[68:69], v[190:191]
	v_add_f64 v[8:9], v[8:9], v[28:29]
	s_waitcnt vmcnt(25)
	v_mul_f64 v[28:29], v[70:71], v[176:177]
	s_waitcnt vmcnt(24)
	v_fmac_f64_e32 v[28:29], v[72:73], v[186:187]
	v_add_f64 v[8:9], v[8:9], v[28:29]
	v_mul_f64 v[28:29], v[238:239], v[78:79]
	v_fma_f64 v[28:29], v[236:237], v[80:81], -v[28:29]
	ds_read_b128 v[78:81], v138 offset:1856
	s_waitcnt vmcnt(22)
	v_mul_f64 v[86:87], v[74:75], v[192:193]
	s_waitcnt vmcnt(20)
	v_fmac_f64_e32 v[86:87], v[76:77], v[194:195]
	v_add_f64 v[86:87], v[8:9], v[86:87]
	v_mul_f64 v[8:9], v[242:243], v[82:83]
	v_fma_f64 v[8:9], v[240:241], v[84:85], -v[8:9]
	ds_read_b128 v[82:85], v138 offset:1872
	s_waitcnt vmcnt(17) lgkmcnt(1)
	v_mul_f64 v[88:89], v[78:79], v[198:199]
	s_waitcnt vmcnt(16)
	v_fmac_f64_e32 v[88:89], v[80:81], v[200:201]
	v_add_f64 v[94:95], v[86:87], v[88:89]
	ds_read_b128 v[86:89], v138 offset:1888
	s_waitcnt vmcnt(13) lgkmcnt(1)
	v_mul_f64 v[96:97], v[82:83], v[202:203]
	s_waitcnt vmcnt(11)
	v_fmac_f64_e32 v[96:97], v[84:85], v[208:209]
	v_add_f64 v[94:95], v[94:95], v[96:97]
	v_add_f64 v[4:5], v[6:7], v[4:5]
	s_waitcnt vmcnt(10) lgkmcnt(0)
	v_mul_f64 v[96:97], v[86:87], v[196:197]
	s_waitcnt vmcnt(8)
	v_fmac_f64_e32 v[96:97], v[88:89], v[206:207]
	v_add_f64 v[94:95], v[94:95], v[96:97]
	s_waitcnt vmcnt(6)
	v_mul_f64 v[96:97], v[90:91], v[204:205]
	s_waitcnt vmcnt(4)
	v_fmac_f64_e32 v[96:97], v[92:93], v[210:211]
	v_add_f64 v[98:99], v[94:95], v[96:97]
	ds_read_b128 v[94:97], v138 offset:1920
	buffer_load_dword v217, off, s[0:3], 0 offset:956
	buffer_load_dword v216, off, s[0:3], 0 offset:952
	;; [unrolled: 1-line block ×4, first 2 shown]
	v_add_f64 v[4:5], v[4:5], v[24:25]
	v_add_f64 v[2:3], v[4:5], v[2:3]
	;; [unrolled: 1-line block ×3, first 2 shown]
	s_waitcnt vmcnt(5) lgkmcnt(0)
	v_mul_f64 v[100:101], v[94:95], v[212:213]
	s_waitcnt vmcnt(4)
	v_fmac_f64_e32 v[100:101], v[96:97], v[214:215]
	v_add_f64 v[102:103], v[98:99], v[100:101]
	ds_read_b128 v[98:101], v138 offset:1936
	buffer_load_dword v220, off, s[0:3], 0 offset:968
	buffer_load_dword v221, off, s[0:3], 0 offset:972
	;; [unrolled: 1-line block ×4, first 2 shown]
	v_add_f64 v[254:255], v[2:3], v[28:29]
	v_add_f64 v[2:3], v[254:255], v[8:9]
	v_accvgpr_read_b32 v4, a190
	v_accvgpr_read_b32 v8, a224
	;; [unrolled: 1-line block ×7, first 2 shown]
	v_mul_f64 v[4:5], v[10:11], v[4:5]
	v_accvgpr_read_b32 v7, a193
	v_add_f64 v[2:3], v[2:3], v[252:253]
	v_fma_f64 v[4:5], v[8:9], v[6:7], -v[4:5]
	v_add_f64 v[2:3], v[2:3], v[4:5]
	v_accvgpr_read_b32 v6, a194
	v_accvgpr_read_b32 v4, a198
	;; [unrolled: 1-line block ×5, first 2 shown]
	v_mul_f64 v[4:5], v[8:9], v[4:5]
	v_accvgpr_read_b32 v8, a200
	v_accvgpr_read_b32 v7, a195
	;; [unrolled: 1-line block ×3, first 2 shown]
	v_fma_f64 v[4:5], v[6:7], v[8:9], -v[4:5]
	v_accvgpr_read_b32 v6, a202
	v_add_f64 v[2:3], v[2:3], v[4:5]
	v_mul_f64 v[4:5], v[136:137], v[154:155]
	v_accvgpr_read_b32 v7, a203
	v_fma_f64 v[4:5], v[134:135], v[6:7], -v[4:5]
	v_add_f64 v[2:3], v[2:3], v[4:5]
	v_accvgpr_read_b32 v4, a204
	v_accvgpr_read_b32 v5, a205
	v_accvgpr_read_b32 v6, a206
	v_mul_f64 v[4:5], v[146:147], v[4:5]
	v_accvgpr_read_b32 v7, a207
	v_fma_f64 v[4:5], v[144:145], v[6:7], -v[4:5]
	v_add_f64 v[2:3], v[2:3], v[4:5]
	v_accvgpr_read_b32 v4, a214
	v_accvgpr_read_b32 v5, a215
	v_accvgpr_read_b32 v6, a212
	;; [unrolled: 7-line block ×5, first 2 shown]
	v_mul_f64 v[4:5], v[32:33], v[4:5]
	v_accvgpr_read_b32 v7, a223
	v_fma_f64 v[4:5], v[30:31], v[6:7], -v[4:5]
	v_add_f64 v[2:3], v[2:3], v[4:5]
	v_mul_f64 v[4:5], v[36:37], v[148:149]
	v_fma_f64 v[4:5], v[34:35], v[132:133], -v[4:5]
	v_add_f64 v[2:3], v[2:3], v[4:5]
	v_mul_f64 v[4:5], v[40:41], v[156:157]
	s_waitcnt vmcnt(6) lgkmcnt(0)
	v_mul_f64 v[104:105], v[98:99], v[216:217]
	v_fma_f64 v[4:5], v[38:39], v[162:163], -v[4:5]
	s_waitcnt vmcnt(4)
	v_fmac_f64_e32 v[104:105], v[100:101], v[218:219]
	v_add_f64 v[114:115], v[102:103], v[104:105]
	ds_read_b128 v[102:105], v138 offset:1952
	buffer_load_dword v225, off, s[0:3], 0 offset:988
	buffer_load_dword v224, off, s[0:3], 0 offset:984
	buffer_load_dword v227, off, s[0:3], 0 offset:980
	buffer_load_dword v226, off, s[0:3], 0 offset:976
	ds_read_b128 v[236:239], v138 offset:1968
	buffer_load_dword v228, off, s[0:3], 0 offset:1000
	buffer_load_dword v229, off, s[0:3], 0 offset:1004
	buffer_load_dword v230, off, s[0:3], 0 offset:992
	buffer_load_dword v231, off, s[0:3], 0 offset:996
	;; [unrolled: 5-line block ×3, first 2 shown]
	s_waitcnt vmcnt(14) lgkmcnt(2)
	v_mul_f64 v[116:117], v[102:103], v[220:221]
	s_waitcnt vmcnt(12)
	v_fmac_f64_e32 v[116:117], v[104:105], v[222:223]
	v_add_f64 v[114:115], v[114:115], v[116:117]
	v_add_f64 v[2:3], v[2:3], v[4:5]
	v_mul_f64 v[4:5], v[44:45], v[164:165]
	v_fma_f64 v[4:5], v[42:43], v[166:167], -v[4:5]
	v_add_f64 v[2:3], v[2:3], v[4:5]
	v_mul_f64 v[4:5], v[48:49], v[158:159]
	v_fma_f64 v[4:5], v[46:47], v[26:27], -v[4:5]
	;; [unrolled: 3-line block ×16, first 2 shown]
	v_add_f64 v[2:3], v[2:3], v[4:5]
	s_waitcnt vmcnt(10) lgkmcnt(1)
	v_mul_f64 v[116:117], v[236:237], v[224:225]
	v_mul_f64 v[4:5], v[238:239], v[224:225]
	s_waitcnt vmcnt(8)
	v_fmac_f64_e32 v[116:117], v[238:239], v[226:227]
	v_add_f64 v[114:115], v[114:115], v[116:117]
	s_waitcnt vmcnt(6) lgkmcnt(0)
	v_mul_f64 v[116:117], v[240:241], v[228:229]
	s_waitcnt vmcnt(4)
	v_fmac_f64_e32 v[116:117], v[242:243], v[230:231]
	v_add_f64 v[246:247], v[114:115], v[116:117]
	ds_read_b128 v[114:117], v138 offset:2000
	v_fma_f64 v[4:5], v[236:237], v[226:227], -v[4:5]
	v_add_f64 v[2:3], v[2:3], v[4:5]
	v_mul_f64 v[4:5], v[242:243], v[228:229]
	v_fma_f64 v[4:5], v[240:241], v[230:231], -v[4:5]
	s_waitcnt vmcnt(2) lgkmcnt(0)
	v_mul_f64 v[0:1], v[114:115], v[234:235]
	s_waitcnt vmcnt(0)
	v_fmac_f64_e32 v[0:1], v[116:117], v[244:245]
	v_add_f64 v[0:1], v[246:247], v[0:1]
	buffer_load_dword v248, off, s[0:3], 0 offset:144
	buffer_load_dword v249, off, s[0:3], 0 offset:148
	;; [unrolled: 1-line block ×4, first 2 shown]
	v_add_f64 v[2:3], v[2:3], v[4:5]
	v_mul_f64 v[4:5], v[116:117], v[234:235]
	v_fma_f64 v[4:5], v[114:115], v[244:245], -v[4:5]
	v_add_f64 v[2:3], v[2:3], v[4:5]
	s_waitcnt vmcnt(2)
	v_add_f64 v[2:3], v[248:249], -v[2:3]
	s_waitcnt vmcnt(0)
	v_add_f64 v[0:1], v[246:247], -v[0:1]
	buffer_store_dword v3, off, s[0:3], 0 offset:148
	buffer_store_dword v2, off, s[0:3], 0 offset:144
	;; [unrolled: 1-line block ×4, first 2 shown]
	v_accvgpr_read_b32 v0, a188
	v_cmp_lt_u32_e32 vcc, 7, v0
	s_and_saveexec_b64 s[4:5], vcc
	s_cbranch_execz .LBB126_389
; %bb.388:
	v_accvgpr_read_b32 v0, a181
	buffer_load_dword v2, v0, s[0:3], 0 offen
	buffer_load_dword v3, v0, s[0:3], 0 offen offset:4
	buffer_load_dword v4, v0, s[0:3], 0 offen offset:8
	;; [unrolled: 1-line block ×3, first 2 shown]
	v_mov_b32_e32 v0, 0
	v_accvgpr_read_b32 v1, a189
	buffer_store_dword v0, off, s[0:3], 0 offset:128
	buffer_store_dword v0, off, s[0:3], 0 offset:132
	;; [unrolled: 1-line block ×4, first 2 shown]
	s_waitcnt vmcnt(4)
	ds_write_b128 v1, v[2:5]
.LBB126_389:
	s_or_b64 exec, exec, s[4:5]
	s_waitcnt lgkmcnt(0)
	; wave barrier
	s_waitcnt lgkmcnt(0)
	buffer_load_dword v2, off, s[0:3], 0 offset:144
	buffer_load_dword v3, off, s[0:3], 0 offset:148
	;; [unrolled: 1-line block ×42, first 2 shown]
	v_mov_b32_e32 v92, 0
	buffer_load_dword v83, off, s[0:3], 0 offset:292
	buffer_load_dword v82, off, s[0:3], 0 offset:288
	;; [unrolled: 1-line block ×7, first 2 shown]
	ds_read_b128 v[10:13], v92 offset:1136
	ds_read_b128 v[22:25], v92 offset:1152
	;; [unrolled: 1-line block ×11, first 2 shown]
	s_waitcnt vmcnt(45) lgkmcnt(10)
	v_mul_f64 v[56:57], v[10:11], v[4:5]
	v_fmac_f64_e32 v[56:57], v[12:13], v[2:3]
	v_add_f64 v[56:57], v[56:57], 0
	v_mul_f64 v[4:5], v[12:13], v[4:5]
	s_waitcnt vmcnt(41) lgkmcnt(9)
	v_mul_f64 v[58:59], v[22:23], v[8:9]
	v_fmac_f64_e32 v[58:59], v[24:25], v[138:139]
	s_waitcnt vmcnt(39) lgkmcnt(8)
	v_mul_f64 v[60:61], v[98:99], v[14:15]
	v_add_f64 v[56:57], v[56:57], v[58:59]
	s_waitcnt vmcnt(37) lgkmcnt(6)
	v_mul_f64 v[64:65], v[106:107], v[26:27]
	v_fma_f64 v[136:137], v[10:11], v[2:3], -v[4:5]
	s_waitcnt vmcnt(35)
	v_fmac_f64_e32 v[64:65], v[108:109], v[28:29]
	v_mul_f64 v[8:9], v[24:25], v[8:9]
	s_waitcnt vmcnt(33)
	v_mul_f64 v[62:63], v[102:103], v[18:19]
	v_mul_f64 v[14:15], v[100:101], v[14:15]
	s_waitcnt vmcnt(31) lgkmcnt(4)
	v_mul_f64 v[68:69], v[114:115], v[34:35]
	v_mul_f64 v[18:19], v[104:105], v[18:19]
	s_waitcnt vmcnt(29)
	v_fmac_f64_e32 v[68:69], v[116:117], v[36:37]
	v_mul_f64 v[26:27], v[108:109], v[26:27]
	s_waitcnt vmcnt(27)
	v_mul_f64 v[66:67], v[110:111], v[30:31]
	v_mul_f64 v[34:35], v[116:117], v[34:35]
	s_waitcnt vmcnt(25) lgkmcnt(2)
	v_mul_f64 v[74:75], v[166:167], v[38:39]
	s_waitcnt vmcnt(22)
	v_mul_f64 v[70:71], v[162:163], v[44:45]
	s_waitcnt vmcnt(20) lgkmcnt(1)
	v_mul_f64 v[118:119], v[172:173], v[42:43]
	s_waitcnt vmcnt(18)
	v_fmac_f64_e32 v[60:61], v[100:101], v[16:17]
	v_add_f64 v[56:57], v[56:57], v[60:61]
	s_waitcnt vmcnt(16)
	v_fmac_f64_e32 v[62:63], v[104:105], v[20:21]
	v_add_f64 v[56:57], v[56:57], v[62:63]
	;; [unrolled: 3-line block ×3, first 2 shown]
	v_add_f64 v[56:57], v[56:57], v[66:67]
	s_waitcnt vmcnt(12)
	v_fmac_f64_e32 v[70:71], v[164:165], v[46:47]
	v_add_f64 v[56:57], v[56:57], v[68:69]
	s_waitcnt vmcnt(11)
	v_fmac_f64_e32 v[74:75], v[168:169], v[40:41]
	v_add_f64 v[56:57], v[56:57], v[70:71]
	v_add_f64 v[140:141], v[56:57], v[74:75]
	buffer_load_dword v72, off, s[0:3], 0 offset:328
	buffer_load_dword v201, off, s[0:3], 0 offset:324
	;; [unrolled: 1-line block ×53, first 2 shown]
	s_waitcnt vmcnt(58)
	v_fmac_f64_e32 v[118:119], v[174:175], v[82:83]
	v_add_f64 v[118:119], v[140:141], v[118:119]
	s_waitcnt lgkmcnt(0)
	v_mul_f64 v[140:141], v[176:177], v[48:49]
	v_fmac_f64_e32 v[140:141], v[178:179], v[50:51]
	v_add_f64 v[118:119], v[118:119], v[140:141]
	v_fma_f64 v[100:101], v[106:107], v[28:29], -v[26:27]
	s_waitcnt vmcnt(0)
	v_pk_mov_b32 v[142:143], v[0:1], v[0:1] op_sel:[0,1]
	buffer_load_dword v1, off, s[0:3], 0 offset:564
	buffer_load_dword v0, off, s[0:3], 0 offset:560
	;; [unrolled: 1-line block ×8, first 2 shown]
	v_accvgpr_write_b32 a195, v143
	v_accvgpr_write_b32 a194, v142
	s_waitcnt vmcnt(6)
	v_pk_mov_b32 v[150:151], v[0:1], v[0:1] op_sel:[0,1]
	s_waitcnt vmcnt(0)
	v_pk_mov_b32 v[122:123], v[120:121], v[120:121] op_sel:[0,1]
	buffer_load_dword v121, off, s[0:3], 0 offset:596
	buffer_load_dword v120, off, s[0:3], 0 offset:592
	v_accvgpr_write_b32 a197, v151
	v_accvgpr_write_b32 a196, v150
	;; [unrolled: 1-line block ×4, first 2 shown]
	s_waitcnt vmcnt(0)
	v_pk_mov_b32 v[124:125], v[120:121], v[120:121] op_sel:[0,1]
	buffer_load_dword v121, off, s[0:3], 0 offset:588
	buffer_load_dword v120, off, s[0:3], 0 offset:584
	v_accvgpr_write_b32 a213, v125
	v_accvgpr_write_b32 a212, v124
	s_waitcnt vmcnt(0)
	v_pk_mov_b32 v[130:131], v[120:121], v[120:121] op_sel:[0,1]
	buffer_load_dword v121, off, s[0:3], 0 offset:580
	buffer_load_dword v120, off, s[0:3], 0 offset:576
	v_accvgpr_write_b32 a203, v131
	v_accvgpr_write_b32 a202, v130
	;; [unrolled: 6-line block ×5, first 2 shown]
	s_waitcnt vmcnt(0)
	v_pk_mov_b32 v[134:135], v[120:121], v[120:121] op_sel:[0,1]
	buffer_load_dword v121, off, s[0:3], 0 offset:612
	buffer_load_dword v120, off, s[0:3], 0 offset:608
	ds_read_b128 v[180:183], v92 offset:1312
	ds_read_b128 v[184:187], v92 offset:1328
	ds_read_b128 v[188:191], v92 offset:1344
	ds_read_b128 v[192:195], v92 offset:1360
	ds_read_b128 v[196:199], v92 offset:1376
	ds_read_b128 v[206:209], v92 offset:1392
	ds_read_b128 v[212:215], v92 offset:1408
	s_waitcnt lgkmcnt(6)
	v_mul_f64 v[140:141], v[180:181], v[72:73]
	v_fmac_f64_e32 v[140:141], v[182:183], v[200:201]
	v_add_f64 v[118:119], v[118:119], v[140:141]
	s_waitcnt lgkmcnt(5)
	v_mul_f64 v[140:141], v[184:185], v[54:55]
	v_fmac_f64_e32 v[140:141], v[186:187], v[52:53]
	v_add_f64 v[118:119], v[118:119], v[140:141]
	;; [unrolled: 4-line block ×4, first 2 shown]
	s_waitcnt lgkmcnt(2)
	v_mul_f64 v[140:141], v[196:197], v[252:253]
	v_fmac_f64_e32 v[140:141], v[198:199], v[254:255]
	s_waitcnt lgkmcnt(1)
	v_mul_f64 v[144:145], v[206:207], v[250:251]
	v_add_f64 v[118:119], v[118:119], v[140:141]
	v_fmac_f64_e32 v[144:145], v[208:209], v[96:97]
	s_waitcnt lgkmcnt(0)
	v_mul_f64 v[146:147], v[212:213], v[84:85]
	v_add_f64 v[118:119], v[118:119], v[144:145]
	v_fmac_f64_e32 v[146:147], v[214:215], v[94:95]
	v_add_f64 v[118:119], v[118:119], v[146:147]
	v_accvgpr_write_b32 a219, v135
	v_accvgpr_write_b32 a218, v134
	s_waitcnt vmcnt(0)
	v_pk_mov_b32 v[154:155], v[120:121], v[120:121] op_sel:[0,1]
	buffer_load_dword v121, off, s[0:3], 0 offset:652
	buffer_load_dword v120, off, s[0:3], 0 offset:648
	v_accvgpr_write_b32 a221, v155
	v_accvgpr_write_b32 a220, v154
	s_waitcnt vmcnt(0)
	v_pk_mov_b32 v[156:157], v[120:121], v[120:121] op_sel:[0,1]
	buffer_load_dword v121, off, s[0:3], 0 offset:644
	buffer_load_dword v120, off, s[0:3], 0 offset:640
	ds_read_b128 v[216:219], v92 offset:1424
	v_accvgpr_write_b32 a223, v157
	v_accvgpr_write_b32 a222, v156
	s_waitcnt lgkmcnt(0)
	v_mul_f64 v[148:149], v[216:217], v[56:57]
	v_fmac_f64_e32 v[148:149], v[218:219], v[58:59]
	v_add_f64 v[118:119], v[118:119], v[148:149]
	s_waitcnt vmcnt(0)
	v_pk_mov_b32 v[158:159], v[120:121], v[120:121] op_sel:[0,1]
	buffer_load_dword v120, off, s[0:3], 0 offset:664
	buffer_load_dword v121, off, s[0:3], 0 offset:668
	v_accvgpr_write_b32 a225, v159
	v_accvgpr_write_b32 a224, v158
	s_waitcnt vmcnt(0)
	v_pk_mov_b32 v[160:161], v[120:121], v[120:121] op_sel:[0,1]
	buffer_load_dword v120, off, s[0:3], 0 offset:656
	buffer_load_dword v121, off, s[0:3], 0 offset:660
	ds_read_b128 v[220:223], v92 offset:1440
	ds_read_b128 v[224:227], v92 offset:1456
	;; [unrolled: 1-line block ×4, first 2 shown]
	v_accvgpr_write_b32 a227, v161
	s_waitcnt lgkmcnt(3)
	v_mul_f64 v[148:149], v[220:221], v[60:61]
	v_fmac_f64_e32 v[148:149], v[222:223], v[70:71]
	v_add_f64 v[118:119], v[118:119], v[148:149]
	s_waitcnt lgkmcnt(2)
	v_mul_f64 v[148:149], v[224:225], v[62:63]
	v_fmac_f64_e32 v[148:149], v[226:227], v[64:65]
	s_waitcnt lgkmcnt(1)
	v_mul_f64 v[152:153], v[228:229], v[66:67]
	v_add_f64 v[118:119], v[118:119], v[148:149]
	v_fmac_f64_e32 v[152:153], v[230:231], v[68:69]
	v_add_f64 v[118:119], v[118:119], v[152:153]
	s_waitcnt lgkmcnt(0)
	v_mul_f64 v[152:153], v[232:233], v[74:75]
	v_fmac_f64_e32 v[152:153], v[234:235], v[76:77]
	v_add_f64 v[118:119], v[118:119], v[152:153]
	v_accvgpr_write_b32 a226, v160
	v_mul_f64 v[66:67], v[230:231], v[66:67]
	s_waitcnt vmcnt(0)
	v_pk_mov_b32 v[170:171], v[120:121], v[120:121] op_sel:[0,1]
	buffer_load_dword v1, off, s[0:3], 0 offset:684
	buffer_load_dword v0, off, s[0:3], 0 offset:680
	buffer_load_dword v121, off, s[0:3], 0 offset:676
	buffer_load_dword v120, off, s[0:3], 0 offset:672
	ds_read_b128 v[236:239], v92 offset:1504
	ds_read_b128 v[240:243], v92 offset:1520
	;; [unrolled: 1-line block ×5, first 2 shown]
	s_waitcnt lgkmcnt(4)
	v_mul_f64 v[152:153], v[236:237], v[78:79]
	v_fmac_f64_e32 v[152:153], v[238:239], v[80:81]
	v_add_f64 v[118:119], v[118:119], v[152:153]
	s_waitcnt lgkmcnt(3)
	v_mul_f64 v[152:153], v[240:241], v[86:87]
	v_fmac_f64_e32 v[152:153], v[242:243], v[88:89]
	s_waitcnt lgkmcnt(2)
	v_mul_f64 v[4:5], v[244:245], v[90:91]
	v_add_f64 v[118:119], v[118:119], v[152:153]
	v_fmac_f64_e32 v[4:5], v[246:247], v[6:7]
	v_add_f64 v[4:5], v[118:119], v[4:5]
	v_fma_f64 v[118:119], v[22:23], v[138:139], -v[8:9]
	s_waitcnt lgkmcnt(1)
	v_pk_mov_b32 v[24:25], v[12:13], v[12:13] op_sel:[0,1]
	v_pk_mov_b32 v[22:23], v[10:11], v[10:11] op_sel:[0,1]
	ds_read_b128 v[138:141], v92 offset:1568
	v_mul_f64 v[10:11], v[22:23], v[142:143]
	v_fmac_f64_e32 v[10:11], v[24:25], v[150:151]
	v_add_f64 v[4:5], v[4:5], v[10:11]
	ds_read_b128 v[8:11], v92 offset:1584
	v_accvgpr_write_b32 a193, v25
	ds_read_b128 v[148:151], v92 offset:1600
	v_accvgpr_write_b32 a192, v24
	v_accvgpr_write_b32 a191, v23
	;; [unrolled: 1-line block ×3, first 2 shown]
	s_waitcnt lgkmcnt(2)
	v_mul_f64 v[22:23], v[138:139], v[130:131]
	v_fmac_f64_e32 v[22:23], v[140:141], v[132:133]
	v_accvgpr_write_b32 a201, v141
	v_accvgpr_write_b32 a200, v140
	v_accvgpr_write_b32 a199, v139
	v_accvgpr_write_b32 a198, v138
	v_add_f64 v[4:5], v[4:5], v[22:23]
	s_waitcnt lgkmcnt(1)
	v_mul_f64 v[22:23], v[8:9], v[122:123]
	ds_read_b128 v[140:143], v92 offset:1632
	ds_read_b128 v[130:133], v92 offset:1648
	v_fmac_f64_e32 v[22:23], v[10:11], v[124:125]
	v_add_f64 v[4:5], v[4:5], v[22:23]
	s_waitcnt lgkmcnt(2)
	v_mul_f64 v[22:23], v[148:149], v[134:135]
	v_fmac_f64_e32 v[22:23], v[150:151], v[154:155]
	v_add_f64 v[4:5], v[4:5], v[22:23]
	v_mul_f64 v[22:23], v[144:145], v[126:127]
	v_fma_f64 v[152:153], v[98:99], v[16:17], -v[14:15]
	v_fma_f64 v[98:99], v[102:103], v[20:21], -v[18:19]
	v_fmac_f64_e32 v[22:23], v[146:147], v[128:129]
	s_waitcnt lgkmcnt(1)
	v_mul_f64 v[102:103], v[140:141], v[156:157]
	ds_read_b128 v[124:127], v92 offset:1664
	buffer_load_dword v129, off, s[0:3], 0 offset:700
	buffer_load_dword v128, off, s[0:3], 0 offset:696
	v_fmac_f64_e32 v[102:103], v[142:143], v[158:159]
	buffer_load_dword v159, off, s[0:3], 0 offset:692
	buffer_load_dword v158, off, s[0:3], 0 offset:688
	s_waitcnt lgkmcnt(1)
	v_mul_f64 v[106:107], v[130:131], v[160:161]
	buffer_load_dword v138, off, s[0:3], 0 offset:728
	buffer_load_dword v122, off, s[0:3], 0 offset:720
	;; [unrolled: 1-line block ×4, first 2 shown]
	v_accvgpr_write_b32 a209, v11
	v_accvgpr_write_b32 a208, v10
	;; [unrolled: 1-line block ×4, first 2 shown]
	v_mul_f64 v[10:11], v[164:165], v[44:45]
	buffer_load_dword v165, off, s[0:3], 0 offset:708
	buffer_load_dword v164, off, s[0:3], 0 offset:704
	;; [unrolled: 1-line block ×4, first 2 shown]
	v_add_f64 v[4:5], v[4:5], v[22:23]
	v_add_f64 v[102:103], v[4:5], v[102:103]
	v_mul_f64 v[4:5], v[112:113], v[30:31]
	v_accvgpr_write_b32 a229, v171
	v_fma_f64 v[30:31], v[114:115], v[36:37], -v[34:35]
	v_mul_f64 v[34:35], v[168:169], v[38:39]
	v_fmac_f64_e32 v[106:107], v[132:133], v[170:171]
	v_accvgpr_write_b32 a228, v170
	v_fma_f64 v[26:27], v[162:163], v[46:47], -v[10:11]
	v_fma_f64 v[22:23], v[166:167], v[40:41], -v[34:35]
	buffer_load_dword v162, off, s[0:3], 0 offset:760
	buffer_load_dword v167, off, s[0:3], 0 offset:748
	;; [unrolled: 1-line block ×8, first 2 shown]
	v_mul_f64 v[8:9], v[174:175], v[42:43]
	v_mul_f64 v[34:35], v[178:179], v[48:49]
	v_fma_f64 v[18:19], v[172:173], v[82:83], -v[8:9]
	v_fma_f64 v[14:15], v[176:177], v[50:51], -v[34:35]
	v_mul_f64 v[16:17], v[182:183], v[72:73]
	buffer_load_dword v173, off, s[0:3], 0 offset:796
	buffer_load_dword v177, off, s[0:3], 0 offset:780
	;; [unrolled: 1-line block ×6, first 2 shown]
	v_fma_f64 v[16:17], v[180:181], v[200:201], -v[16:17]
	buffer_load_dword v181, off, s[0:3], 0 offset:788
	buffer_load_dword v180, off, s[0:3], 0 offset:784
	v_mul_f64 v[34:35], v[186:187], v[54:55]
	v_fma_f64 v[200:201], v[184:185], v[52:53], -v[34:35]
	buffer_load_dword v174, off, s[0:3], 0 offset:824
	buffer_load_dword v185, off, s[0:3], 0 offset:812
	;; [unrolled: 1-line block ×8, first 2 shown]
	v_mul_f64 v[42:43], v[190:191], v[210:211]
	ds_read_b128 v[38:41], v92 offset:1680
	ds_read_b128 v[34:37], v92 offset:1696
	v_fma_f64 v[248:249], v[188:189], v[248:249], -v[42:43]
	buffer_load_dword v189, off, s[0:3], 0 offset:844
	buffer_load_dword v188, off, s[0:3], 0 offset:840
	;; [unrolled: 1-line block ×4, first 2 shown]
	v_mul_f64 v[42:43], v[194:195], v[202:203]
	v_fma_f64 v[12:13], v[192:193], v[204:205], -v[42:43]
	buffer_load_dword v192, off, s[0:3], 0 offset:856
	buffer_load_dword v194, off, s[0:3], 0 offset:848
	;; [unrolled: 1-line block ×4, first 2 shown]
	v_mul_f64 v[42:43], v[198:199], v[252:253]
	v_fma_f64 v[252:253], v[196:197], v[254:255], -v[42:43]
	buffer_load_dword v199, off, s[0:3], 0 offset:876
	buffer_load_dword v198, off, s[0:3], 0 offset:872
	;; [unrolled: 1-line block ×8, first 2 shown]
	v_mul_f64 v[42:43], v[208:209], v[250:251]
	v_fma_f64 v[250:251], v[206:207], v[96:97], -v[42:43]
	buffer_load_dword v196, off, s[0:3], 0 offset:920
	buffer_load_dword v209, off, s[0:3], 0 offset:908
	;; [unrolled: 1-line block ×8, first 2 shown]
	s_waitcnt vmcnt(62) lgkmcnt(2)
	v_mul_f64 v[44:45], v[124:125], v[0:1]
	v_add_f64 v[102:103], v[102:103], v[106:107]
	s_waitcnt vmcnt(60)
	v_fmac_f64_e32 v[44:45], v[126:127], v[120:121]
	v_mul_f64 v[42:43], v[214:215], v[84:85]
	v_add_f64 v[46:47], v[102:103], v[44:45]
	v_fma_f64 v[10:11], v[212:213], v[94:95], -v[42:43]
	ds_read_b128 v[42:45], v92 offset:1712
	v_mul_f64 v[50:51], v[218:219], v[56:57]
	v_fma_f64 v[102:103], v[216:217], v[58:59], -v[50:51]
	ds_read_b128 v[50:53], v92 offset:1744
	v_fma_f64 v[134:135], v[228:229], v[68:69], -v[66:67]
	ds_read_b128 v[66:69], v92 offset:1808
	v_mul_f64 v[78:79], v[238:239], v[78:79]
	v_fma_f64 v[104:105], v[110:111], v[32:33], -v[4:5]
	v_fma_f64 v[4:5], v[236:237], v[80:81], -v[78:79]
	ds_read_b128 v[78:81], v92 offset:1856
	v_mul_f64 v[86:87], v[242:243], v[86:87]
	v_fma_f64 v[2:3], v[240:241], v[88:89], -v[86:87]
	ds_read_b128 v[154:157], v92 offset:1904
	ds_read_b128 v[86:89], v92 offset:1888
	s_waitcnt vmcnt(58) lgkmcnt(7)
	v_mul_f64 v[48:49], v[38:39], v[128:129]
	s_waitcnt vmcnt(56)
	v_fmac_f64_e32 v[48:49], v[40:41], v[158:159]
	v_add_f64 v[20:21], v[46:47], v[48:49]
	s_waitcnt vmcnt(52) lgkmcnt(6)
	v_mul_f64 v[46:47], v[34:35], v[160:161]
	s_waitcnt vmcnt(50)
	v_fmac_f64_e32 v[46:47], v[36:37], v[164:165]
	v_add_f64 v[20:21], v[20:21], v[46:47]
	s_waitcnt vmcnt(49) lgkmcnt(5)
	v_mul_f64 v[46:47], v[42:43], v[138:139]
	s_waitcnt vmcnt(48)
	v_fmac_f64_e32 v[46:47], v[44:45], v[122:123]
	v_add_f64 v[20:21], v[20:21], v[46:47]
	ds_read_b128 v[46:49], v92 offset:1728
	s_waitcnt vmcnt(45) lgkmcnt(0)
	v_mul_f64 v[54:55], v[46:47], v[166:167]
	s_waitcnt vmcnt(43)
	v_fmac_f64_e32 v[54:55], v[48:49], v[170:171]
	v_add_f64 v[20:21], v[20:21], v[54:55]
	v_mul_f64 v[54:55], v[222:223], v[60:61]
	v_fma_f64 v[8:9], v[220:221], v[70:71], -v[54:55]
	ds_read_b128 v[54:57], v92 offset:1760
	ds_read_b128 v[58:61], v92 offset:1776
	s_waitcnt vmcnt(41)
	v_mul_f64 v[24:25], v[50:51], v[162:163]
	s_waitcnt vmcnt(40)
	v_fmac_f64_e32 v[24:25], v[52:53], v[168:169]
	v_add_f64 v[20:21], v[20:21], v[24:25]
	v_mul_f64 v[24:25], v[226:227], v[62:63]
	v_fma_f64 v[24:25], v[224:225], v[64:65], -v[24:25]
	ds_read_b128 v[62:65], v92 offset:1792
	s_waitcnt vmcnt(37) lgkmcnt(2)
	v_mul_f64 v[70:71], v[54:55], v[176:177]
	s_waitcnt vmcnt(35)
	v_fmac_f64_e32 v[70:71], v[56:57], v[178:179]
	v_add_f64 v[20:21], v[20:21], v[70:71]
	s_waitcnt vmcnt(34) lgkmcnt(1)
	v_mul_f64 v[70:71], v[58:59], v[172:173]
	s_waitcnt vmcnt(32)
	v_fmac_f64_e32 v[70:71], v[60:61], v[180:181]
	v_add_f64 v[20:21], v[20:21], v[70:71]
	ds_read_b128 v[70:73], v92 offset:1824
	s_waitcnt vmcnt(29) lgkmcnt(1)
	v_mul_f64 v[28:29], v[62:63], v[184:185]
	s_waitcnt vmcnt(27)
	v_fmac_f64_e32 v[28:29], v[64:65], v[186:187]
	v_add_f64 v[20:21], v[20:21], v[28:29]
	s_waitcnt vmcnt(25)
	v_mul_f64 v[28:29], v[66:67], v[174:175]
	s_waitcnt vmcnt(24)
	v_fmac_f64_e32 v[28:29], v[68:69], v[182:183]
	v_add_f64 v[20:21], v[20:21], v[28:29]
	v_mul_f64 v[28:29], v[234:235], v[74:75]
	v_fma_f64 v[28:29], v[232:233], v[76:77], -v[28:29]
	ds_read_b128 v[74:77], v92 offset:1840
	s_waitcnt vmcnt(22) lgkmcnt(1)
	v_mul_f64 v[82:83], v[70:71], v[188:189]
	s_waitcnt vmcnt(20)
	v_fmac_f64_e32 v[82:83], v[72:73], v[190:191]
	v_add_f64 v[20:21], v[20:21], v[82:83]
	s_waitcnt vmcnt(14)
	v_mul_f64 v[32:33], v[78:79], v[198:199]
	s_waitcnt lgkmcnt(0)
	v_mul_f64 v[82:83], v[74:75], v[192:193]
	v_fmac_f64_e32 v[82:83], v[76:77], v[194:195]
	v_add_f64 v[20:21], v[20:21], v[82:83]
	ds_read_b128 v[82:85], v92 offset:1872
	s_waitcnt vmcnt(12)
	v_fmac_f64_e32 v[32:33], v[80:81], v[202:203]
	v_add_f64 v[32:33], v[20:21], v[32:33]
	buffer_load_dword v213, off, s[0:3], 0 offset:940
	buffer_load_dword v212, off, s[0:3], 0 offset:936
	;; [unrolled: 1-line block ×4, first 2 shown]
	v_mul_f64 v[20:21], v[246:247], v[90:91]
	s_waitcnt vmcnt(14) lgkmcnt(0)
	v_mul_f64 v[94:95], v[82:83], v[254:255]
	s_waitcnt vmcnt(12)
	v_fmac_f64_e32 v[94:95], v[84:85], v[204:205]
	v_add_f64 v[32:33], v[32:33], v[94:95]
	s_waitcnt vmcnt(9)
	v_mul_f64 v[94:95], v[86:87], v[208:209]
	s_waitcnt vmcnt(7)
	v_fmac_f64_e32 v[94:95], v[88:89], v[210:211]
	v_add_f64 v[32:33], v[32:33], v[94:95]
	s_waitcnt vmcnt(5)
	v_mul_f64 v[94:95], v[154:155], v[196:197]
	s_waitcnt vmcnt(4)
	v_fmac_f64_e32 v[94:95], v[156:157], v[206:207]
	v_add_f64 v[32:33], v[32:33], v[94:95]
	ds_read_b128 v[94:97], v92 offset:1920
	buffer_load_dword v216, off, s[0:3], 0 offset:952
	buffer_load_dword v217, off, s[0:3], 0 offset:956
	buffer_load_dword v218, off, s[0:3], 0 offset:944
	buffer_load_dword v219, off, s[0:3], 0 offset:948
	ds_read_b128 v[236:239], v92 offset:1936
	buffer_load_dword v221, off, s[0:3], 0 offset:972
	buffer_load_dword v220, off, s[0:3], 0 offset:968
	buffer_load_dword v223, off, s[0:3], 0 offset:964
	buffer_load_dword v222, off, s[0:3], 0 offset:960
	;; [unrolled: 5-line block ×3, first 2 shown]
	v_fma_f64 v[20:21], v[244:245], v[6:7], -v[20:21]
	s_waitcnt vmcnt(14) lgkmcnt(2)
	v_mul_f64 v[106:107], v[94:95], v[212:213]
	s_waitcnt vmcnt(12)
	v_fmac_f64_e32 v[106:107], v[96:97], v[214:215]
	v_add_f64 v[32:33], v[32:33], v[106:107]
	s_waitcnt vmcnt(10) lgkmcnt(1)
	v_mul_f64 v[106:107], v[236:237], v[216:217]
	s_waitcnt vmcnt(8)
	v_fmac_f64_e32 v[106:107], v[238:239], v[218:219]
	v_add_f64 v[32:33], v[32:33], v[106:107]
	;; [unrolled: 5-line block ×3, first 2 shown]
	ds_read_b128 v[106:109], v92 offset:1968
	buffer_load_dword v229, off, s[0:3], 0 offset:1004
	buffer_load_dword v228, off, s[0:3], 0 offset:1000
	;; [unrolled: 1-line block ×4, first 2 shown]
	s_waitcnt vmcnt(6) lgkmcnt(0)
	v_mul_f64 v[110:111], v[106:107], v[224:225]
	s_waitcnt vmcnt(4)
	v_fmac_f64_e32 v[110:111], v[108:109], v[226:227]
	v_add_f64 v[32:33], v[32:33], v[110:111]
	ds_read_b128 v[110:113], v92 offset:1984
	buffer_load_dword v234, off, s[0:3], 0 offset:1016
	buffer_load_dword v235, off, s[0:3], 0 offset:1020
	;; [unrolled: 1-line block ×4, first 2 shown]
	s_waitcnt vmcnt(6) lgkmcnt(0)
	v_mul_f64 v[114:115], v[110:111], v[228:229]
	s_waitcnt vmcnt(4)
	v_fmac_f64_e32 v[114:115], v[112:113], v[230:231]
	v_add_f64 v[32:33], v[32:33], v[114:115]
	ds_read_b128 v[114:117], v92 offset:2000
	s_waitcnt vmcnt(2) lgkmcnt(0)
	v_mul_f64 v[232:233], v[114:115], v[234:235]
	s_waitcnt vmcnt(0)
	v_fmac_f64_e32 v[232:233], v[116:117], v[244:245]
	v_add_f64 v[232:233], v[32:33], v[232:233]
	v_add_f64 v[32:33], v[136:137], 0
	;; [unrolled: 1-line block ×22, first 2 shown]
	buffer_load_dword v248, off, s[0:3], 0 offset:128
	buffer_load_dword v249, off, s[0:3], 0 offset:132
	v_add_f64 v[6:7], v[8:9], v[134:135]
	buffer_load_dword v246, off, s[0:3], 0 offset:136
	buffer_load_dword v247, off, s[0:3], 0 offset:140
	v_add_f64 v[6:7], v[6:7], v[28:29]
	v_add_f64 v[4:5], v[6:7], v[4:5]
	;; [unrolled: 1-line block ×3, first 2 shown]
	v_accvgpr_read_b32 v6, a190
	v_accvgpr_read_b32 v4, a194
	;; [unrolled: 1-line block ×5, first 2 shown]
	v_mul_f64 v[4:5], v[8:9], v[4:5]
	v_accvgpr_read_b32 v8, a196
	v_accvgpr_read_b32 v7, a191
	;; [unrolled: 1-line block ×3, first 2 shown]
	v_add_f64 v[2:3], v[252:253], v[20:21]
	v_fma_f64 v[4:5], v[6:7], v[8:9], -v[4:5]
	v_add_f64 v[2:3], v[2:3], v[4:5]
	v_accvgpr_read_b32 v6, a198
	v_accvgpr_read_b32 v4, a202
	;; [unrolled: 1-line block ×5, first 2 shown]
	v_mul_f64 v[4:5], v[8:9], v[4:5]
	v_accvgpr_read_b32 v8, a204
	v_accvgpr_read_b32 v7, a199
	;; [unrolled: 1-line block ×3, first 2 shown]
	v_fma_f64 v[4:5], v[6:7], v[8:9], -v[4:5]
	v_add_f64 v[2:3], v[2:3], v[4:5]
	v_accvgpr_read_b32 v6, a206
	v_accvgpr_read_b32 v4, a210
	;; [unrolled: 1-line block ×5, first 2 shown]
	v_mul_f64 v[4:5], v[8:9], v[4:5]
	v_accvgpr_read_b32 v8, a212
	v_accvgpr_read_b32 v7, a207
	;; [unrolled: 1-line block ×3, first 2 shown]
	v_fma_f64 v[4:5], v[6:7], v[8:9], -v[4:5]
	v_add_f64 v[2:3], v[2:3], v[4:5]
	v_accvgpr_read_b32 v4, a218
	v_accvgpr_read_b32 v5, a219
	v_accvgpr_read_b32 v6, a220
	v_mul_f64 v[4:5], v[150:151], v[4:5]
	v_accvgpr_read_b32 v7, a221
	v_fma_f64 v[4:5], v[148:149], v[6:7], -v[4:5]
	v_add_f64 v[2:3], v[2:3], v[4:5]
	v_accvgpr_read_b32 v4, a214
	v_accvgpr_read_b32 v5, a215
	v_accvgpr_read_b32 v6, a216
	v_mul_f64 v[4:5], v[146:147], v[4:5]
	v_accvgpr_read_b32 v7, a217
	;; [unrolled: 7-line block ×4, first 2 shown]
	v_fma_f64 v[4:5], v[130:131], v[6:7], -v[4:5]
	v_add_f64 v[2:3], v[2:3], v[4:5]
	v_mul_f64 v[4:5], v[126:127], v[0:1]
	v_fma_f64 v[4:5], v[124:125], v[120:121], -v[4:5]
	v_add_f64 v[2:3], v[2:3], v[4:5]
	v_mul_f64 v[4:5], v[40:41], v[128:129]
	;; [unrolled: 3-line block ×22, first 2 shown]
	v_fma_f64 v[4:5], v[114:115], v[244:245], -v[4:5]
	v_add_f64 v[2:3], v[2:3], v[4:5]
	v_accvgpr_read_b32 v0, a188
	s_waitcnt vmcnt(2)
	v_add_f64 v[2:3], v[248:249], -v[2:3]
	v_cmp_lt_u32_e32 vcc, 6, v0
	s_waitcnt vmcnt(0)
	v_add_f64 v[4:5], v[246:247], -v[232:233]
	buffer_store_dword v3, off, s[0:3], 0 offset:132
	buffer_store_dword v2, off, s[0:3], 0 offset:128
	;; [unrolled: 1-line block ×4, first 2 shown]
	s_and_saveexec_b64 s[4:5], vcc
	s_cbranch_execz .LBB126_391
; %bb.390:
	v_accvgpr_read_b32 v0, a182
	buffer_load_dword v2, v0, s[0:3], 0 offen
	buffer_load_dword v3, v0, s[0:3], 0 offen offset:4
	buffer_load_dword v4, v0, s[0:3], 0 offen offset:8
	;; [unrolled: 1-line block ×3, first 2 shown]
	v_accvgpr_read_b32 v0, a189
	buffer_store_dword v92, off, s[0:3], 0 offset:112
	buffer_store_dword v92, off, s[0:3], 0 offset:116
	;; [unrolled: 1-line block ×4, first 2 shown]
	s_waitcnt vmcnt(4)
	ds_write_b128 v0, v[2:5]
.LBB126_391:
	s_or_b64 exec, exec, s[4:5]
	s_waitcnt lgkmcnt(0)
	; wave barrier
	s_waitcnt lgkmcnt(0)
	buffer_load_dword v4, off, s[0:3], 0 offset:128
	buffer_load_dword v5, off, s[0:3], 0 offset:132
	;; [unrolled: 1-line block ×42, first 2 shown]
	ds_read_b128 v[102:105], v92 offset:1120
	ds_read_b128 v[106:109], v92 offset:1136
	;; [unrolled: 1-line block ×10, first 2 shown]
	buffer_load_dword v169, off, s[0:3], 0 offset:276
	buffer_load_dword v168, off, s[0:3], 0 offset:272
	ds_read_b128 v[38:41], v92 offset:1280
	buffer_load_dword v87, off, s[0:3], 0 offset:332
	buffer_load_dword v86, off, s[0:3], 0 offset:328
	;; [unrolled: 1-line block ×6, first 2 shown]
	s_waitcnt vmcnt(46) lgkmcnt(10)
	v_mul_f64 v[56:57], v[102:103], v[10:11]
	v_fmac_f64_e32 v[56:57], v[104:105], v[4:5]
	v_add_f64 v[56:57], v[56:57], 0
	v_mul_f64 v[10:11], v[104:105], v[10:11]
	s_waitcnt vmcnt(42) lgkmcnt(9)
	v_mul_f64 v[58:59], v[106:107], v[8:9]
	v_fmac_f64_e32 v[58:59], v[108:109], v[2:3]
	s_waitcnt vmcnt(40) lgkmcnt(8)
	v_mul_f64 v[62:63], v[110:111], v[6:7]
	v_add_f64 v[56:57], v[56:57], v[58:59]
	s_waitcnt vmcnt(38) lgkmcnt(6)
	v_mul_f64 v[66:67], v[152:153], v[14:15]
	v_mul_f64 v[8:9], v[108:109], v[8:9]
	s_waitcnt vmcnt(36)
	v_fmac_f64_e32 v[66:67], v[154:155], v[252:253]
	v_fma_f64 v[236:237], v[106:107], v[2:3], -v[8:9]
	s_waitcnt vmcnt(34)
	v_mul_f64 v[64:65], v[114:115], v[144:145]
	v_mul_f64 v[6:7], v[112:113], v[6:7]
	s_waitcnt vmcnt(32) lgkmcnt(4)
	v_mul_f64 v[70:71], v[160:161], v[26:27]
	v_mul_f64 v[14:15], v[154:155], v[14:15]
	s_waitcnt vmcnt(30)
	v_fmac_f64_e32 v[70:71], v[162:163], v[28:29]
	v_fma_f64 v[252:253], v[152:153], v[252:253], -v[14:15]
	s_waitcnt vmcnt(28)
	v_mul_f64 v[68:69], v[156:157], v[18:19]
	v_mul_f64 v[26:27], v[162:163], v[26:27]
	s_waitcnt vmcnt(26) lgkmcnt(2)
	v_mul_f64 v[74:75], v[42:43], v[46:47]
	v_mul_f64 v[18:19], v[158:159], v[18:19]
	s_waitcnt vmcnt(23)
	v_mul_f64 v[72:73], v[164:165], v[30:31]
	s_waitcnt vmcnt(21) lgkmcnt(1)
	v_mul_f64 v[118:119], v[34:35], v[50:51]
	s_waitcnt vmcnt(19)
	v_fmac_f64_e32 v[62:63], v[112:113], v[24:25]
	v_add_f64 v[56:57], v[56:57], v[62:63]
	s_waitcnt vmcnt(17)
	v_fmac_f64_e32 v[64:65], v[116:117], v[22:23]
	v_add_f64 v[56:57], v[56:57], v[64:65]
	;; [unrolled: 3-line block ×3, first 2 shown]
	v_add_f64 v[56:57], v[56:57], v[68:69]
	s_waitcnt vmcnt(13)
	v_fmac_f64_e32 v[72:73], v[166:167], v[32:33]
	v_add_f64 v[56:57], v[56:57], v[70:71]
	s_waitcnt vmcnt(12)
	v_fmac_f64_e32 v[74:75], v[44:45], v[48:49]
	v_add_f64 v[56:57], v[56:57], v[72:73]
	v_add_f64 v[136:137], v[56:57], v[74:75]
	buffer_load_dword v177, off, s[0:3], 0 offset:308
	buffer_load_dword v176, off, s[0:3], 0 offset:304
	;; [unrolled: 1-line block ×60, first 2 shown]
	s_waitcnt vmcnt(62)
	v_fmac_f64_e32 v[118:119], v[36:37], v[168:169]
	v_add_f64 v[118:119], v[136:137], v[118:119]
	s_waitcnt lgkmcnt(0)
	v_mul_f64 v[136:137], v[38:39], v[52:53]
	v_fmac_f64_e32 v[136:137], v[40:41], v[54:55]
	v_add_f64 v[118:119], v[118:119], v[136:137]
	v_fma_f64 v[250:251], v[110:111], v[24:25], -v[6:7]
	v_mul_f64 v[40:41], v[40:41], v[52:53]
	v_mul_f64 v[44:45], v[44:45], v[46:47]
	s_waitcnt vmcnt(0)
	v_pk_mov_b32 v[120:121], v[0:1], v[0:1] op_sel:[0,1]
	buffer_load_dword v1, off, s[0:3], 0 offset:580
	buffer_load_dword v0, off, s[0:3], 0 offset:576
	v_accvgpr_write_b32 a207, v121
	v_accvgpr_write_b32 a206, v120
	s_waitcnt vmcnt(0)
	v_pk_mov_b32 v[122:123], v[0:1], v[0:1] op_sel:[0,1]
	buffer_load_dword v1, off, s[0:3], 0 offset:572
	buffer_load_dword v0, off, s[0:3], 0 offset:568
	v_accvgpr_write_b32 a209, v123
	v_accvgpr_write_b32 a208, v122
	s_waitcnt vmcnt(0)
	v_pk_mov_b32 v[126:127], v[0:1], v[0:1] op_sel:[0,1]
	buffer_load_dword v1, off, s[0:3], 0 offset:564
	buffer_load_dword v0, off, s[0:3], 0 offset:560
	v_accvgpr_write_b32 a195, v127
	v_accvgpr_write_b32 a194, v126
	s_waitcnt vmcnt(0)
	v_pk_mov_b32 v[130:131], v[0:1], v[0:1] op_sel:[0,1]
	buffer_load_dword v1, off, s[0:3], 0 offset:620
	buffer_load_dword v0, off, s[0:3], 0 offset:616
	v_accvgpr_write_b32 a197, v131
	v_accvgpr_write_b32 a196, v130
	s_waitcnt vmcnt(0)
	v_pk_mov_b32 v[124:125], v[0:1], v[0:1] op_sel:[0,1]
	buffer_load_dword v1, off, s[0:3], 0 offset:612
	buffer_load_dword v0, off, s[0:3], 0 offset:608
	;; [unrolled: 1-line block ×4, first 2 shown]
	v_accvgpr_write_b32 a215, v125
	v_accvgpr_write_b32 a214, v124
	s_waitcnt vmcnt(2)
	v_accvgpr_write_b32 a217, v1
	v_accvgpr_write_b32 a216, v0
	s_waitcnt vmcnt(0)
	v_pk_mov_b32 v[142:143], v[128:129], v[128:129] op_sel:[0,1]
	buffer_load_dword v129, off, s[0:3], 0 offset:596
	buffer_load_dword v128, off, s[0:3], 0 offset:592
	ds_read_b128 v[172:175], v92 offset:1296
	ds_read_b128 v[180:183], v92 offset:1312
	ds_read_b128 v[184:187], v92 offset:1328
	ds_read_b128 v[188:191], v92 offset:1344
	ds_read_b128 v[192:195], v92 offset:1360
	ds_read_b128 v[196:199], v92 offset:1376
	ds_read_b128 v[202:205], v92 offset:1392
	ds_read_b128 v[212:215], v92 offset:1408
	ds_read_b128 v[216:219], v92 offset:1424
	buffer_load_dword v133, off, s[0:3], 0 offset:636
	buffer_load_dword v132, off, s[0:3], 0 offset:632
	s_waitcnt lgkmcnt(8)
	v_mul_f64 v[136:137], v[172:173], v[98:99]
	v_fmac_f64_e32 v[136:137], v[174:175], v[176:177]
	v_add_f64 v[118:119], v[118:119], v[136:137]
	s_waitcnt lgkmcnt(7)
	v_mul_f64 v[136:137], v[180:181], v[86:87]
	v_fmac_f64_e32 v[136:137], v[182:183], v[60:61]
	v_add_f64 v[118:119], v[118:119], v[136:137]
	;; [unrolled: 4-line block ×9, first 2 shown]
	v_accvgpr_write_b32 a211, v143
	v_accvgpr_write_b32 a210, v142
	v_mul_f64 v[46:47], v[218:219], v[88:89]
	s_waitcnt vmcnt(2)
	v_accvgpr_write_b32 a213, v129
	v_accvgpr_write_b32 a212, v128
	s_waitcnt vmcnt(0)
	v_pk_mov_b32 v[178:179], v[132:133], v[132:133] op_sel:[0,1]
	buffer_load_dword v133, off, s[0:3], 0 offset:628
	buffer_load_dword v132, off, s[0:3], 0 offset:624
	ds_read_b128 v[220:223], v92 offset:1440
	buffer_load_dword v16, off, s[0:3], 0 offset:648
	buffer_load_dword v136, off, s[0:3], 0 offset:640
	;; [unrolled: 1-line block ×4, first 2 shown]
	ds_read_b128 v[224:227], v92 offset:1456
	buffer_load_dword v135, off, s[0:3], 0 offset:684
	buffer_load_dword v13, off, s[0:3], 0 offset:668
	;; [unrolled: 1-line block ×8, first 2 shown]
	ds_read_b128 v[228:231], v92 offset:1472
	ds_read_b128 v[232:235], v92 offset:1488
	s_waitcnt lgkmcnt(3)
	v_mul_f64 v[170:171], v[220:221], v[56:57]
	v_fmac_f64_e32 v[170:171], v[222:223], v[58:59]
	v_add_f64 v[118:119], v[118:119], v[170:171]
	s_waitcnt lgkmcnt(2)
	v_mul_f64 v[170:171], v[224:225], v[62:63]
	v_fmac_f64_e32 v[170:171], v[226:227], v[64:65]
	v_add_f64 v[118:119], v[118:119], v[170:171]
	;; [unrolled: 4-line block ×3, first 2 shown]
	s_waitcnt lgkmcnt(0)
	v_mul_f64 v[170:171], v[232:233], v[70:71]
	ds_read_b128 v[238:241], v92 offset:1504
	v_fmac_f64_e32 v[170:171], v[234:235], v[72:73]
	v_add_f64 v[170:171], v[118:119], v[170:171]
	v_fma_f64 v[118:119], v[102:103], v[4:5], -v[10:11]
	ds_read_b128 v[102:105], v92 offset:1520
	ds_read_b128 v[106:109], v92 offset:1536
	;; [unrolled: 1-line block ×3, first 2 shown]
	s_waitcnt lgkmcnt(3)
	v_mul_f64 v[4:5], v[238:239], v[78:79]
	v_fmac_f64_e32 v[4:5], v[240:241], v[80:81]
	v_add_f64 v[2:3], v[170:171], v[4:5]
	s_waitcnt lgkmcnt(2)
	v_mul_f64 v[4:5], v[102:103], v[82:83]
	v_fmac_f64_e32 v[4:5], v[104:105], v[84:85]
	v_add_f64 v[2:3], v[2:3], v[4:5]
	;; [unrolled: 4-line block ×3, first 2 shown]
	ds_read_b128 v[2:5], v92 offset:1552
	ds_read_b128 v[152:155], v92 offset:1600
	v_mul_f64 v[10:11], v[116:117], v[144:145]
	s_waitcnt lgkmcnt(2)
	v_accvgpr_write_b32 a201, v9
	v_accvgpr_write_b32 a200, v8
	s_waitcnt lgkmcnt(1)
	v_mul_f64 v[24:25], v[2:3], v[126:127]
	v_accvgpr_write_b32 a193, v5
	v_fmac_f64_e32 v[24:25], v[4:5], v[130:131]
	v_accvgpr_write_b32 a192, v4
	v_accvgpr_write_b32 a191, v3
	v_accvgpr_write_b32 a190, v2
	ds_read_b128 v[2:5], v92 offset:1584
	v_fma_f64 v[126:127], v[114:115], v[22:23], -v[10:11]
	v_add_f64 v[22:23], v[170:171], v[24:25]
	v_mul_f64 v[24:25], v[6:7], v[120:121]
	v_fmac_f64_e32 v[24:25], v[8:9], v[122:123]
	s_waitcnt lgkmcnt(0)
	v_accvgpr_write_b32 a205, v5
	v_add_f64 v[22:23], v[22:23], v[24:25]
	v_mul_f64 v[24:25], v[2:3], v[142:143]
	v_accvgpr_write_b32 a204, v4
	v_accvgpr_write_b32 a203, v3
	;; [unrolled: 1-line block ×3, first 2 shown]
	buffer_load_dword v151, off, s[0:3], 0 offset:700
	buffer_load_dword v150, off, s[0:3], 0 offset:696
	;; [unrolled: 1-line block ×4, first 2 shown]
	ds_read_b128 v[146:149], v92 offset:1616
	v_fmac_f64_e32 v[24:25], v[4:5], v[128:129]
	ds_read_b128 v[128:131], v92 offset:1632
	ds_read_b128 v[142:145], v92 offset:1648
	v_add_f64 v[4:5], v[22:23], v[24:25]
	v_mul_f64 v[22:23], v[152:153], v[124:125]
	ds_read_b128 v[122:125], v92 offset:1664
	v_fmac_f64_e32 v[22:23], v[154:155], v[0:1]
	v_add_f64 v[4:5], v[4:5], v[22:23]
	s_waitcnt lgkmcnt(3)
	v_mul_f64 v[22:23], v[146:147], v[178:179]
	v_accvgpr_write_b32 a199, v7
	v_accvgpr_write_b32 a198, v6
	v_mul_f64 v[8:9], v[36:37], v[50:51]
	v_fma_f64 v[116:117], v[156:157], v[20:21], -v[18:19]
	v_fma_f64 v[156:157], v[160:161], v[28:29], -v[26:27]
	;; [unrolled: 1-line block ×3, first 2 shown]
	v_accvgpr_write_b32 a219, v179
	v_accvgpr_write_b32 a218, v178
	v_fma_f64 v[24:25], v[38:39], v[54:55], -v[40:41]
	v_mul_f64 v[38:39], v[182:183], v[86:87]
	v_fma_f64 v[18:19], v[180:181], v[60:61], -v[38:39]
	v_mul_f64 v[38:39], v[186:187], v[208:209]
	v_fma_f64 v[28:29], v[42:43], v[48:49], -v[44:45]
	s_waitcnt vmcnt(9) lgkmcnt(1)
	v_mul_f64 v[114:115], v[142:143], v[12:13]
	v_fmac_f64_e32 v[22:23], v[148:149], v[132:133]
	v_accvgpr_write_b32 a221, v133
	v_mul_f64 v[110:111], v[128:129], v[16:17]
	v_accvgpr_write_b32 a220, v132
	v_add_f64 v[4:5], v[4:5], v[22:23]
	v_fmac_f64_e32 v[110:111], v[130:131], v[136:137]
	buffer_load_dword v132, off, s[0:3], 0 offset:712
	v_add_f64 v[110:111], v[4:5], v[110:111]
	s_waitcnt vmcnt(8)
	v_fmac_f64_e32 v[114:115], v[144:145], v[138:139]
	buffer_load_dword v120, off, s[0:3], 0 offset:704
	buffer_load_dword v133, off, s[0:3], 0 offset:716
	;; [unrolled: 1-line block ×3, first 2 shown]
	v_add_f64 v[110:111], v[110:111], v[114:115]
	s_waitcnt vmcnt(10) lgkmcnt(0)
	v_mul_f64 v[114:115], v[122:123], v[134:135]
	s_waitcnt vmcnt(8)
	v_fmac_f64_e32 v[114:115], v[124:125], v[140:141]
	v_mul_f64 v[4:5], v[166:167], v[30:31]
	v_add_f64 v[110:111], v[110:111], v[114:115]
	buffer_load_dword v114, off, s[0:3], 0 offset:744
	v_fma_f64 v[112:113], v[164:165], v[32:33], -v[4:5]
	buffer_load_dword v165, off, s[0:3], 0 offset:732
	buffer_load_dword v164, off, s[0:3], 0 offset:728
	;; [unrolled: 1-line block ×7, first 2 shown]
	v_accvgpr_write_b32 a229, v13
	v_accvgpr_write_b32 a228, v12
	v_mul_f64 v[12:13], v[174:175], v[98:99]
	ds_read_b128 v[34:37], v92 offset:1680
	buffer_load_dword v169, off, s[0:3], 0 offset:764
	buffer_load_dword v168, off, s[0:3], 0 offset:760
	;; [unrolled: 1-line block ×4, first 2 shown]
	v_fma_f64 v[22:23], v[172:173], v[176:177], -v[12:13]
	buffer_load_dword v173, off, s[0:3], 0 offset:780
	buffer_load_dword v172, off, s[0:3], 0 offset:776
	;; [unrolled: 1-line block ×8, first 2 shown]
	v_accvgpr_write_b32 a223, v17
	buffer_load_dword v180, off, s[0:3], 0 offset:808
	v_accvgpr_write_b32 a222, v16
	v_fma_f64 v[16:17], v[184:185], v[210:211], -v[38:39]
	buffer_load_dword v184, off, s[0:3], 0 offset:800
	buffer_load_dword v181, off, s[0:3], 0 offset:812
	;; [unrolled: 1-line block ×3, first 2 shown]
	v_mul_f64 v[38:39], v[190:191], v[200:201]
	v_fma_f64 v[14:15], v[188:189], v[206:207], -v[38:39]
	buffer_load_dword v182, off, s[0:3], 0 offset:840
	buffer_load_dword v189, off, s[0:3], 0 offset:828
	;; [unrolled: 1-line block ×8, first 2 shown]
	v_mul_f64 v[38:39], v[194:195], v[242:243]
	v_fma_f64 v[244:245], v[192:193], v[244:245], -v[38:39]
	buffer_load_dword v193, off, s[0:3], 0 offset:860
	buffer_load_dword v192, off, s[0:3], 0 offset:856
	;; [unrolled: 1-line block ×4, first 2 shown]
	v_mul_f64 v[38:39], v[198:199], v[96:97]
	buffer_load_dword v199, off, s[0:3], 0 offset:876
	buffer_load_dword v198, off, s[0:3], 0 offset:872
	;; [unrolled: 1-line block ×4, first 2 shown]
	v_fma_f64 v[12:13], v[196:197], v[100:101], -v[38:39]
	v_mul_f64 v[38:39], v[204:205], v[246:247]
	v_fma_f64 v[248:249], v[202:203], v[248:249], -v[38:39]
	buffer_load_dword v196, off, s[0:3], 0 offset:904
	buffer_load_dword v205, off, s[0:3], 0 offset:892
	;; [unrolled: 1-line block ×12, first 2 shown]
	ds_read_b128 v[38:41], v92 offset:1696
	v_mul_f64 v[42:43], v[214:215], v[74:75]
	v_fma_f64 v[10:11], v[216:217], v[94:95], -v[46:47]
	ds_read_b128 v[46:49], v92 offset:1728
	v_mul_f64 v[54:55], v[222:223], v[56:57]
	v_fma_f64 v[8:9], v[220:221], v[58:59], -v[54:55]
	;; [unrolled: 3-line block ×3, first 2 shown]
	v_mul_f64 v[66:67], v[230:231], v[66:67]
	s_waitcnt vmcnt(58) lgkmcnt(3)
	v_mul_f64 v[20:21], v[34:35], v[150:151]
	v_fma_f64 v[4:5], v[228:229], v[68:69], -v[66:67]
	s_waitcnt vmcnt(56)
	v_fmac_f64_e32 v[20:21], v[36:37], v[2:3]
	v_add_f64 v[20:21], v[110:111], v[20:21]
	v_fma_f64 v[110:111], v[212:213], v[76:77], -v[42:43]
	ds_read_b128 v[42:45], v92 offset:1712
	v_mul_f64 v[70:71], v[234:235], v[70:71]
	v_fma_f64 v[232:233], v[232:233], v[72:73], -v[70:71]
	ds_read_b128 v[70:73], v92 offset:1824
	v_accvgpr_write_b32 a227, v135
	v_mul_f64 v[78:79], v[240:241], v[78:79]
	ds_read_b128 v[58:61], v92 offset:1776
	v_accvgpr_write_b32 a226, v134
	v_pk_mov_b32 v[134:135], v[2:3], v[2:3] op_sel:[0,1]
	v_fma_f64 v[2:3], v[238:239], v[80:81], -v[78:79]
	ds_read_b128 v[78:81], v92 offset:1856
	v_mul_f64 v[82:83], v[104:105], v[82:83]
	v_fma_f64 v[246:247], v[102:103], v[84:85], -v[82:83]
	v_mul_f64 v[90:91], v[108:109], v[90:91]
	v_fma_f64 v[238:239], v[106:107], v[254:255], -v[90:91]
	v_add_f64 v[118:119], v[118:119], 0
	ds_read_b128 v[66:69], v92 offset:1808
	v_add_f64 v[118:119], v[118:119], v[236:237]
	v_add_f64 v[118:119], v[118:119], v[250:251]
	;; [unrolled: 1-line block ×10, first 2 shown]
	ds_read_b128 v[82:85], v92 offset:1872
	v_add_f64 v[22:23], v[24:25], v[22:23]
	v_add_f64 v[18:19], v[22:23], v[18:19]
	s_waitcnt vmcnt(53) lgkmcnt(8)
	v_mul_f64 v[50:51], v[38:39], v[132:133]
	s_waitcnt vmcnt(52)
	v_fmac_f64_e32 v[50:51], v[40:41], v[120:121]
	v_add_f64 v[20:21], v[20:21], v[50:51]
	v_add_f64 v[16:17], v[18:19], v[16:17]
	s_waitcnt vmcnt(49) lgkmcnt(5)
	v_mul_f64 v[50:51], v[42:43], v[164:165]
	v_add_f64 v[14:15], v[16:17], v[14:15]
	s_waitcnt vmcnt(47)
	v_fmac_f64_e32 v[50:51], v[44:45], v[166:167]
	v_add_f64 v[20:21], v[20:21], v[50:51]
	s_waitcnt vmcnt(45)
	v_mul_f64 v[50:51], v[46:47], v[114:115]
	s_waitcnt vmcnt(44)
	v_fmac_f64_e32 v[50:51], v[48:49], v[162:163]
	v_add_f64 v[20:21], v[20:21], v[50:51]
	ds_read_b128 v[50:53], v92 offset:1744
	ds_read_b128 v[30:33], v92 offset:1904
	v_add_f64 v[14:15], v[14:15], v[244:245]
	v_add_f64 v[12:13], v[14:15], v[12:13]
	;; [unrolled: 1-line block ×3, first 2 shown]
	s_waitcnt vmcnt(42) lgkmcnt(1)
	v_mul_f64 v[74:75], v[50:51], v[168:169]
	s_waitcnt vmcnt(40)
	v_fmac_f64_e32 v[74:75], v[52:53], v[170:171]
	s_waitcnt vmcnt(38)
	v_mul_f64 v[62:63], v[54:55], v[172:173]
	v_add_f64 v[20:21], v[20:21], v[74:75]
	s_waitcnt vmcnt(36)
	v_fmac_f64_e32 v[62:63], v[56:57], v[176:177]
	v_add_f64 v[20:21], v[20:21], v[62:63]
	s_waitcnt vmcnt(34)
	v_mul_f64 v[62:63], v[58:59], v[174:175]
	s_waitcnt vmcnt(32)
	v_fmac_f64_e32 v[62:63], v[60:61], v[178:179]
	v_add_f64 v[20:21], v[20:21], v[62:63]
	ds_read_b128 v[62:65], v92 offset:1792
	s_waitcnt vmcnt(9)
	v_mul_f64 v[94:95], v[82:83], v[204:205]
	s_waitcnt vmcnt(7)
	v_fmac_f64_e32 v[94:95], v[84:85], v[208:209]
	v_add_f64 v[12:13], v[12:13], v[110:111]
	v_add_f64 v[10:11], v[12:13], v[10:11]
	s_waitcnt lgkmcnt(0)
	v_mul_f64 v[74:75], v[62:63], v[180:181]
	v_fmac_f64_e32 v[74:75], v[64:65], v[184:185]
	v_add_f64 v[20:21], v[20:21], v[74:75]
	v_mul_f64 v[74:75], v[66:67], v[188:189]
	v_fmac_f64_e32 v[74:75], v[68:69], v[190:191]
	v_add_f64 v[20:21], v[20:21], v[74:75]
	v_mul_f64 v[74:75], v[70:71], v[182:183]
	v_fmac_f64_e32 v[74:75], v[72:73], v[186:187]
	v_add_f64 v[20:21], v[20:21], v[74:75]
	ds_read_b128 v[74:77], v92 offset:1840
	v_add_f64 v[8:9], v[10:11], v[8:9]
	v_add_f64 v[6:7], v[8:9], v[6:7]
	;; [unrolled: 1-line block ×4, first 2 shown]
	s_waitcnt lgkmcnt(0)
	v_mul_f64 v[86:87], v[74:75], v[192:193]
	v_fmac_f64_e32 v[86:87], v[76:77], v[194:195]
	v_add_f64 v[20:21], v[20:21], v[86:87]
	v_mul_f64 v[86:87], v[78:79], v[198:199]
	v_fmac_f64_e32 v[86:87], v[80:81], v[200:201]
	v_add_f64 v[20:21], v[20:21], v[86:87]
	ds_read_b128 v[86:89], v92 offset:1888
	buffer_load_dword v212, off, s[0:3], 0 offset:936
	buffer_load_dword v213, off, s[0:3], 0 offset:940
	;; [unrolled: 1-line block ×4, first 2 shown]
	v_add_f64 v[20:21], v[20:21], v[94:95]
	v_add_f64 v[254:255], v[4:5], v[2:3]
	v_accvgpr_read_b32 v6, a190
	s_waitcnt vmcnt(9) lgkmcnt(0)
	v_mul_f64 v[94:95], v[86:87], v[196:197]
	s_waitcnt vmcnt(8)
	v_fmac_f64_e32 v[94:95], v[88:89], v[202:203]
	v_add_f64 v[20:21], v[20:21], v[94:95]
	s_waitcnt vmcnt(6)
	v_mul_f64 v[94:95], v[30:31], v[206:207]
	s_waitcnt vmcnt(4)
	v_fmac_f64_e32 v[94:95], v[32:33], v[210:211]
	v_add_f64 v[20:21], v[20:21], v[94:95]
	ds_read_b128 v[94:97], v92 offset:1920
	buffer_load_dword v217, off, s[0:3], 0 offset:956
	buffer_load_dword v216, off, s[0:3], 0 offset:952
	;; [unrolled: 1-line block ×4, first 2 shown]
	v_accvgpr_read_b32 v4, a194
	v_accvgpr_read_b32 v8, a192
	;; [unrolled: 1-line block ×4, first 2 shown]
	v_mul_f64 v[4:5], v[8:9], v[4:5]
	v_accvgpr_read_b32 v8, a196
	v_add_f64 v[2:3], v[254:255], v[246:247]
	v_accvgpr_read_b32 v7, a191
	v_accvgpr_read_b32 v9, a197
	v_add_f64 v[2:3], v[2:3], v[238:239]
	v_fma_f64 v[4:5], v[6:7], v[8:9], -v[4:5]
	v_add_f64 v[2:3], v[2:3], v[4:5]
	v_accvgpr_read_b32 v6, a198
	v_accvgpr_read_b32 v4, a206
	;; [unrolled: 1-line block ×5, first 2 shown]
	v_mul_f64 v[4:5], v[8:9], v[4:5]
	v_accvgpr_read_b32 v8, a208
	v_accvgpr_read_b32 v7, a199
	;; [unrolled: 1-line block ×3, first 2 shown]
	v_fma_f64 v[4:5], v[6:7], v[8:9], -v[4:5]
	v_add_f64 v[2:3], v[2:3], v[4:5]
	v_accvgpr_read_b32 v6, a202
	v_accvgpr_read_b32 v4, a210
	;; [unrolled: 1-line block ×5, first 2 shown]
	v_mul_f64 v[4:5], v[8:9], v[4:5]
	v_accvgpr_read_b32 v8, a212
	v_accvgpr_read_b32 v7, a203
	;; [unrolled: 1-line block ×3, first 2 shown]
	v_fma_f64 v[4:5], v[6:7], v[8:9], -v[4:5]
	v_add_f64 v[2:3], v[2:3], v[4:5]
	v_accvgpr_read_b32 v4, a214
	v_accvgpr_read_b32 v5, a215
	;; [unrolled: 1-line block ×3, first 2 shown]
	v_mul_f64 v[4:5], v[154:155], v[4:5]
	v_accvgpr_read_b32 v7, a217
	v_fma_f64 v[4:5], v[152:153], v[6:7], -v[4:5]
	v_add_f64 v[2:3], v[2:3], v[4:5]
	v_accvgpr_read_b32 v4, a218
	v_accvgpr_read_b32 v5, a219
	;; [unrolled: 1-line block ×3, first 2 shown]
	v_mul_f64 v[4:5], v[148:149], v[4:5]
	v_accvgpr_read_b32 v7, a221
	v_accvgpr_write_b32 a225, v137
	v_fma_f64 v[4:5], v[146:147], v[6:7], -v[4:5]
	v_accvgpr_write_b32 a224, v136
	v_add_f64 v[2:3], v[2:3], v[4:5]
	v_accvgpr_read_b32 v4, a222
	v_accvgpr_read_b32 v5, a223
	;; [unrolled: 1-line block ×3, first 2 shown]
	v_mul_f64 v[4:5], v[130:131], v[4:5]
	v_accvgpr_read_b32 v7, a225
	v_fma_f64 v[4:5], v[128:129], v[6:7], -v[4:5]
	v_add_f64 v[2:3], v[2:3], v[4:5]
	v_accvgpr_read_b32 v4, a228
	v_accvgpr_read_b32 v5, a229
	v_pk_mov_b32 v[136:137], v[138:139], v[138:139] op_sel:[0,1]
	v_mul_f64 v[4:5], v[144:145], v[4:5]
	v_fma_f64 v[4:5], v[142:143], v[136:137], -v[4:5]
	v_add_f64 v[2:3], v[2:3], v[4:5]
	v_accvgpr_read_b32 v4, a226
	v_accvgpr_read_b32 v5, a227
	v_mul_f64 v[4:5], v[124:125], v[4:5]
	s_waitcnt vmcnt(6) lgkmcnt(0)
	v_mul_f64 v[98:99], v[94:95], v[212:213]
	v_fma_f64 v[4:5], v[122:123], v[140:141], -v[4:5]
	s_waitcnt vmcnt(4)
	v_fmac_f64_e32 v[98:99], v[96:97], v[214:215]
	v_add_f64 v[20:21], v[20:21], v[98:99]
	ds_read_b128 v[98:101], v92 offset:1936
	buffer_load_dword v220, off, s[0:3], 0 offset:968
	buffer_load_dword v221, off, s[0:3], 0 offset:972
	;; [unrolled: 1-line block ×4, first 2 shown]
	v_add_f64 v[2:3], v[2:3], v[4:5]
	v_mul_f64 v[4:5], v[36:37], v[150:151]
	v_fma_f64 v[4:5], v[34:35], v[134:135], -v[4:5]
	v_add_f64 v[2:3], v[2:3], v[4:5]
	v_mul_f64 v[4:5], v[40:41], v[132:133]
	s_waitcnt vmcnt(6) lgkmcnt(0)
	v_mul_f64 v[102:103], v[98:99], v[216:217]
	v_fma_f64 v[4:5], v[38:39], v[120:121], -v[4:5]
	s_waitcnt vmcnt(4)
	v_fmac_f64_e32 v[102:103], v[100:101], v[218:219]
	v_add_f64 v[20:21], v[20:21], v[102:103]
	ds_read_b128 v[102:105], v92 offset:1952
	buffer_load_dword v225, off, s[0:3], 0 offset:988
	buffer_load_dword v224, off, s[0:3], 0 offset:984
	;; [unrolled: 1-line block ×4, first 2 shown]
	v_add_f64 v[2:3], v[2:3], v[4:5]
	v_mul_f64 v[4:5], v[44:45], v[164:165]
	v_fma_f64 v[4:5], v[42:43], v[166:167], -v[4:5]
	v_add_f64 v[2:3], v[2:3], v[4:5]
	v_mul_f64 v[4:5], v[48:49], v[114:115]
	v_fma_f64 v[4:5], v[46:47], v[162:163], -v[4:5]
	;; [unrolled: 3-line block ×15, first 2 shown]
	v_add_f64 v[2:3], v[2:3], v[4:5]
	s_waitcnt vmcnt(6) lgkmcnt(0)
	v_mul_f64 v[106:107], v[102:103], v[220:221]
	v_mul_f64 v[4:5], v[104:105], v[220:221]
	s_waitcnt vmcnt(4)
	v_fmac_f64_e32 v[106:107], v[104:105], v[222:223]
	v_add_f64 v[20:21], v[20:21], v[106:107]
	ds_read_b128 v[106:109], v92 offset:1968
	buffer_load_dword v228, off, s[0:3], 0 offset:1000
	buffer_load_dword v229, off, s[0:3], 0 offset:1004
	buffer_load_dword v230, off, s[0:3], 0 offset:992
	buffer_load_dword v231, off, s[0:3], 0 offset:996
	ds_read_b128 v[240:243], v92 offset:1984
	v_fma_f64 v[4:5], v[102:103], v[222:223], -v[4:5]
	v_add_f64 v[2:3], v[2:3], v[4:5]
	s_waitcnt vmcnt(6) lgkmcnt(1)
	v_mul_f64 v[158:159], v[106:107], v[224:225]
	v_mul_f64 v[4:5], v[108:109], v[224:225]
	s_waitcnt vmcnt(4)
	v_fmac_f64_e32 v[158:159], v[108:109], v[226:227]
	v_add_f64 v[20:21], v[20:21], v[158:159]
	v_fma_f64 v[4:5], v[106:107], v[226:227], -v[4:5]
	v_add_f64 v[2:3], v[2:3], v[4:5]
	s_waitcnt vmcnt(2) lgkmcnt(0)
	v_mul_f64 v[158:159], v[240:241], v[228:229]
	v_mul_f64 v[4:5], v[242:243], v[228:229]
	s_waitcnt vmcnt(0)
	v_fmac_f64_e32 v[158:159], v[242:243], v[230:231]
	v_add_f64 v[0:1], v[20:21], v[158:159]
	buffer_load_dword v235, off, s[0:3], 0 offset:1020
	buffer_load_dword v234, off, s[0:3], 0 offset:1016
	;; [unrolled: 1-line block ×4, first 2 shown]
	ds_read_b128 v[158:161], v92 offset:2000
	buffer_load_dword v250, off, s[0:3], 0 offset:112
	buffer_load_dword v251, off, s[0:3], 0 offset:116
	;; [unrolled: 1-line block ×4, first 2 shown]
	v_fma_f64 v[4:5], v[240:241], v[230:231], -v[4:5]
	v_add_f64 v[2:3], v[2:3], v[4:5]
	s_waitcnt vmcnt(6) lgkmcnt(0)
	v_mul_f64 v[138:139], v[158:159], v[234:235]
	v_mul_f64 v[4:5], v[160:161], v[234:235]
	s_waitcnt vmcnt(4)
	v_fmac_f64_e32 v[138:139], v[160:161], v[20:21]
	v_fma_f64 v[4:5], v[158:159], v[20:21], -v[4:5]
	v_add_f64 v[0:1], v[0:1], v[138:139]
	v_add_f64 v[2:3], v[2:3], v[4:5]
	s_waitcnt vmcnt(2)
	v_add_f64 v[2:3], v[250:251], -v[2:3]
	s_waitcnt vmcnt(0)
	v_add_f64 v[0:1], v[248:249], -v[0:1]
	buffer_store_dword v3, off, s[0:3], 0 offset:116
	buffer_store_dword v2, off, s[0:3], 0 offset:112
	buffer_store_dword v1, off, s[0:3], 0 offset:124
	buffer_store_dword v0, off, s[0:3], 0 offset:120
	v_accvgpr_read_b32 v0, a188
	v_cmp_lt_u32_e32 vcc, 5, v0
	s_and_saveexec_b64 s[4:5], vcc
	s_cbranch_execz .LBB126_393
; %bb.392:
	v_accvgpr_read_b32 v0, a183
	buffer_load_dword v2, v0, s[0:3], 0 offen
	buffer_load_dword v3, v0, s[0:3], 0 offen offset:4
	buffer_load_dword v4, v0, s[0:3], 0 offen offset:8
	buffer_load_dword v5, v0, s[0:3], 0 offen offset:12
	v_mov_b32_e32 v0, 0
	v_accvgpr_read_b32 v1, a189
	buffer_store_dword v0, off, s[0:3], 0 offset:96
	buffer_store_dword v0, off, s[0:3], 0 offset:100
	;; [unrolled: 1-line block ×4, first 2 shown]
	s_waitcnt vmcnt(4)
	ds_write_b128 v1, v[2:5]
.LBB126_393:
	s_or_b64 exec, exec, s[4:5]
	s_waitcnt lgkmcnt(0)
	; wave barrier
	s_waitcnt lgkmcnt(0)
	buffer_load_dword v6, off, s[0:3], 0 offset:112
	buffer_load_dword v7, off, s[0:3], 0 offset:116
	;; [unrolled: 1-line block ×42, first 2 shown]
	v_mov_b32_e32 v236, 0
	buffer_load_dword v91, off, s[0:3], 0 offset:260
	buffer_load_dword v90, off, s[0:3], 0 offset:256
	;; [unrolled: 1-line block ×7, first 2 shown]
	ds_read_b128 v[104:107], v236 offset:1104
	ds_read_b128 v[108:111], v236 offset:1120
	ds_read_b128 v[112:115], v236 offset:1136
	ds_read_b128 v[152:155], v236 offset:1152
	ds_read_b128 v[156:159], v236 offset:1168
	ds_read_b128 v[160:163], v236 offset:1184
	ds_read_b128 v[164:167], v236 offset:1200
	ds_read_b128 v[168:171], v236 offset:1216
	ds_read_b128 v[172:175], v236 offset:1232
	ds_read_b128 v[176:179], v236 offset:1248
	ds_read_b128 v[34:37], v236 offset:1264
	s_waitcnt vmcnt(45) lgkmcnt(10)
	v_mul_f64 v[52:53], v[104:105], v[10:11]
	v_fmac_f64_e32 v[52:53], v[106:107], v[6:7]
	v_add_f64 v[52:53], v[52:53], 0
	v_mul_f64 v[10:11], v[106:107], v[10:11]
	s_waitcnt vmcnt(41) lgkmcnt(9)
	v_mul_f64 v[54:55], v[108:109], v[8:9]
	v_fmac_f64_e32 v[54:55], v[110:111], v[4:5]
	s_waitcnt vmcnt(39) lgkmcnt(8)
	v_mul_f64 v[56:57], v[112:113], v[2:3]
	v_add_f64 v[52:53], v[52:53], v[54:55]
	s_waitcnt vmcnt(37) lgkmcnt(6)
	v_mul_f64 v[60:61], v[156:157], v[234:235]
	v_fma_f64 v[6:7], v[104:105], v[6:7], -v[10:11]
	s_waitcnt vmcnt(35)
	v_fmac_f64_e32 v[60:61], v[158:159], v[140:141]
	v_mul_f64 v[8:9], v[110:111], v[8:9]
	s_waitcnt vmcnt(33)
	v_mul_f64 v[58:59], v[152:153], v[146:147]
	v_accvgpr_write_b32 a227, v7
	s_waitcnt vmcnt(31) lgkmcnt(4)
	v_mul_f64 v[64:65], v[164:165], v[22:23]
	v_fma_f64 v[4:5], v[108:109], v[4:5], -v[8:9]
	s_waitcnt vmcnt(29)
	v_fmac_f64_e32 v[64:65], v[166:167], v[150:151]
	v_accvgpr_write_b32 a226, v6
	s_waitcnt vmcnt(27)
	v_mul_f64 v[62:63], v[160:161], v[18:19]
	v_accvgpr_write_b32 a229, v5
	s_waitcnt vmcnt(25) lgkmcnt(2)
	v_mul_f64 v[70:71], v[172:173], v[30:31]
	v_accvgpr_write_b32 a228, v4
	v_mul_f64 v[2:3], v[114:115], v[2:3]
	s_waitcnt vmcnt(22)
	v_mul_f64 v[66:67], v[168:169], v[26:27]
	v_mul_f64 v[10:11], v[158:159], v[234:235]
	s_waitcnt vmcnt(20) lgkmcnt(1)
	v_mul_f64 v[116:117], v[176:177], v[38:39]
	v_mul_f64 v[26:27], v[170:171], v[26:27]
	s_waitcnt vmcnt(18)
	v_fmac_f64_e32 v[56:57], v[114:115], v[44:45]
	v_add_f64 v[52:53], v[52:53], v[56:57]
	s_waitcnt vmcnt(16)
	v_fmac_f64_e32 v[58:59], v[154:155], v[40:41]
	v_add_f64 v[52:53], v[52:53], v[58:59]
	;; [unrolled: 3-line block ×3, first 2 shown]
	v_add_f64 v[52:53], v[52:53], v[62:63]
	s_waitcnt vmcnt(12)
	v_fmac_f64_e32 v[66:67], v[170:171], v[28:29]
	v_add_f64 v[52:53], v[52:53], v[64:65]
	s_waitcnt vmcnt(11)
	v_fmac_f64_e32 v[70:71], v[174:175], v[32:33]
	v_add_f64 v[52:53], v[52:53], v[66:67]
	v_add_f64 v[118:119], v[52:53], v[70:71]
	buffer_load_dword v68, off, s[0:3], 0 offset:296
	buffer_load_dword v233, off, s[0:3], 0 offset:292
	;; [unrolled: 1-line block ×69, first 2 shown]
	s_waitcnt vmcnt(62)
	v_fmac_f64_e32 v[116:117], v[178:179], v[90:91]
	v_add_f64 v[116:117], v[118:119], v[116:117]
	s_waitcnt lgkmcnt(0)
	v_mul_f64 v[118:119], v[34:35], v[42:43]
	v_fmac_f64_e32 v[118:119], v[36:37], v[46:47]
	v_add_f64 v[116:117], v[116:117], v[118:119]
	v_fma_f64 v[142:143], v[112:113], v[44:45], -v[2:3]
	v_mul_f64 v[2:3], v[154:155], v[146:147]
	v_fma_f64 v[254:255], v[152:153], v[40:41], -v[2:3]
	v_mul_f64 v[36:37], v[36:37], v[42:43]
	v_mul_f64 v[38:39], v[178:179], v[38:39]
	v_accvgpr_read_b32 v235, a229
	v_accvgpr_read_b32 v234, a228
	s_waitcnt vmcnt(6)
	v_accvgpr_write_b32 a197, v15
	v_accvgpr_write_b32 a196, v14
	v_pk_mov_b32 v[138:139], v[0:1], v[0:1] op_sel:[0,1]
	s_waitcnt vmcnt(0)
	v_pk_mov_b32 v[124:125], v[120:121], v[120:121] op_sel:[0,1]
	buffer_load_dword v121, off, s[0:3], 0 offset:596
	buffer_load_dword v120, off, s[0:3], 0 offset:592
	v_accvgpr_write_b32 a195, v139
	v_accvgpr_write_b32 a194, v138
	;; [unrolled: 1-line block ×4, first 2 shown]
	s_waitcnt vmcnt(0)
	v_pk_mov_b32 v[126:127], v[120:121], v[120:121] op_sel:[0,1]
	buffer_load_dword v121, off, s[0:3], 0 offset:588
	buffer_load_dword v120, off, s[0:3], 0 offset:584
	v_accvgpr_write_b32 a209, v127
	v_accvgpr_write_b32 a208, v126
	s_waitcnt vmcnt(0)
	v_pk_mov_b32 v[128:129], v[120:121], v[120:121] op_sel:[0,1]
	buffer_load_dword v121, off, s[0:3], 0 offset:580
	buffer_load_dword v120, off, s[0:3], 0 offset:576
	ds_read_b128 v[180:183], v236 offset:1280
	ds_read_b128 v[184:187], v236 offset:1296
	;; [unrolled: 1-line block ×10, first 2 shown]
	s_waitcnt lgkmcnt(9)
	v_mul_f64 v[118:119], v[180:181], v[68:69]
	v_fmac_f64_e32 v[118:119], v[182:183], v[232:233]
	v_add_f64 v[116:117], v[116:117], v[118:119]
	s_waitcnt lgkmcnt(8)
	v_mul_f64 v[118:119], v[184:185], v[48:49]
	v_fmac_f64_e32 v[118:119], v[186:187], v[50:51]
	v_add_f64 v[116:117], v[116:117], v[118:119]
	;; [unrolled: 4-line block ×10, first 2 shown]
	v_accvgpr_write_b32 a203, v129
	v_accvgpr_write_b32 a202, v128
	s_waitcnt vmcnt(0)
	v_pk_mov_b32 v[130:131], v[120:121], v[120:121] op_sel:[0,1]
	buffer_load_dword v121, off, s[0:3], 0 offset:620
	buffer_load_dword v120, off, s[0:3], 0 offset:616
	v_accvgpr_write_b32 a205, v131
	v_accvgpr_write_b32 a204, v130
	s_waitcnt vmcnt(0)
	v_pk_mov_b32 v[132:133], v[120:121], v[120:121] op_sel:[0,1]
	buffer_load_dword v121, off, s[0:3], 0 offset:612
	buffer_load_dword v120, off, s[0:3], 0 offset:608
	ds_read_b128 v[220:223], v236 offset:1440
	v_accvgpr_write_b32 a211, v133
	v_accvgpr_write_b32 a210, v132
	s_waitcnt lgkmcnt(0)
	v_mul_f64 v[118:119], v[220:221], v[56:57]
	v_fmac_f64_e32 v[118:119], v[222:223], v[66:67]
	v_add_f64 v[116:117], v[116:117], v[118:119]
	s_waitcnt vmcnt(0)
	v_pk_mov_b32 v[134:135], v[120:121], v[120:121] op_sel:[0,1]
	buffer_load_dword v120, off, s[0:3], 0 offset:632
	buffer_load_dword v122, off, s[0:3], 0 offset:624
	;; [unrolled: 1-line block ×4, first 2 shown]
	ds_read_b128 v[224:227], v236 offset:1456
	buffer_load_dword v13, off, s[0:3], 0 offset:668
	buffer_load_dword v17, off, s[0:3], 0 offset:652
	;; [unrolled: 1-line block ×12, first 2 shown]
	ds_read_b128 v[228:231], v236 offset:1472
	ds_read_b128 v[104:107], v236 offset:1488
	;; [unrolled: 1-line block ×4, first 2 shown]
	s_waitcnt lgkmcnt(4)
	v_mul_f64 v[118:119], v[224:225], v[58:59]
	v_fmac_f64_e32 v[118:119], v[226:227], v[60:61]
	s_waitcnt lgkmcnt(3)
	v_mul_f64 v[6:7], v[228:229], v[62:63]
	v_add_f64 v[116:117], v[116:117], v[118:119]
	v_fmac_f64_e32 v[6:7], v[230:231], v[64:65]
	v_add_f64 v[4:5], v[116:117], v[6:7]
	s_waitcnt lgkmcnt(2)
	v_mul_f64 v[6:7], v[104:105], v[70:71]
	v_fmac_f64_e32 v[6:7], v[106:107], v[72:73]
	v_add_f64 v[4:5], v[4:5], v[6:7]
	s_waitcnt lgkmcnt(1)
	v_mul_f64 v[6:7], v[108:109], v[74:75]
	ds_read_b128 v[112:115], v236 offset:1536
	v_fmac_f64_e32 v[6:7], v[110:111], v[76:77]
	v_add_f64 v[6:7], v[4:5], v[6:7]
	ds_read_b128 v[2:5], v236 offset:1552
	s_waitcnt lgkmcnt(2)
	v_mul_f64 v[8:9], v[238:239], v[82:83]
	v_fmac_f64_e32 v[8:9], v[240:241], v[84:85]
	v_add_f64 v[6:7], v[6:7], v[8:9]
	s_waitcnt lgkmcnt(1)
	v_mul_f64 v[8:9], v[112:113], v[86:87]
	v_fmac_f64_e32 v[8:9], v[114:115], v[88:89]
	v_add_f64 v[6:7], v[6:7], v[8:9]
	;; [unrolled: 4-line block ×3, first 2 shown]
	ds_read_b128 v[6:9], v236 offset:1568
	v_mul_f64 v[14:15], v[162:163], v[18:19]
	v_fma_f64 v[152:153], v[160:161], v[148:149], -v[14:15]
	ds_read_b128 v[146:149], v236 offset:1600
	v_accvgpr_write_b32 a193, v5
	v_accvgpr_write_b32 a192, v4
	;; [unrolled: 1-line block ×6, first 2 shown]
	v_fma_f64 v[116:117], v[168:169], v[28:29], -v[26:27]
	v_mul_f64 v[62:63], v[230:231], v[62:63]
	v_mul_f64 v[74:75], v[110:111], v[74:75]
	s_waitcnt vmcnt(9)
	v_accvgpr_write_b32 a219, v17
	v_accvgpr_write_b32 a218, v16
	s_waitcnt vmcnt(4)
	v_accvgpr_write_b32 a223, v21
	v_pk_mov_b32 v[136:137], v[120:121], v[120:121] op_sel:[0,1]
	v_fma_f64 v[120:121], v[156:157], v[140:141], -v[10:11]
	ds_read_b128 v[138:141], v236 offset:1584
	s_waitcnt lgkmcnt(2)
	v_mul_f64 v[4:5], v[6:7], v[128:129]
	v_fmac_f64_e32 v[4:5], v[8:9], v[130:131]
	v_add_f64 v[4:5], v[40:41], v[4:5]
	v_accvgpr_write_b32 a201, v9
	s_waitcnt lgkmcnt(0)
	v_mul_f64 v[18:19], v[138:139], v[124:125]
	v_fmac_f64_e32 v[18:19], v[140:141], v[126:127]
	v_add_f64 v[4:5], v[4:5], v[18:19]
	v_mul_f64 v[18:19], v[146:147], v[132:133]
	v_fmac_f64_e32 v[18:19], v[148:149], v[134:135]
	v_add_f64 v[40:41], v[4:5], v[18:19]
	v_mul_f64 v[4:5], v[166:167], v[22:23]
	ds_read_b128 v[132:135], v236 offset:1616
	v_fma_f64 v[118:119], v[164:165], v[150:151], -v[4:5]
	buffer_load_dword v150, off, s[0:3], 0 offset:696
	buffer_load_dword v151, off, s[0:3], 0 offset:700
	v_accvgpr_write_b32 a200, v8
	v_accvgpr_write_b32 a199, v7
	;; [unrolled: 1-line block ×3, first 2 shown]
	ds_read_b128 v[128:131], v236 offset:1632
	buffer_load_dword v154, off, s[0:3], 0 offset:688
	buffer_load_dword v155, off, s[0:3], 0 offset:692
	v_mul_f64 v[8:9], v[174:175], v[30:31]
	ds_read_b128 v[124:127], v236 offset:1648
	v_fma_f64 v[26:27], v[172:173], v[32:33], -v[8:9]
	ds_read_b128 v[30:33], v236 offset:1664
	buffer_load_dword v157, off, s[0:3], 0 offset:716
	buffer_load_dword v156, off, s[0:3], 0 offset:712
	;; [unrolled: 1-line block ×16, first 2 shown]
	s_waitcnt lgkmcnt(3)
	v_mul_f64 v[22:23], v[132:133], v[136:137]
	v_fmac_f64_e32 v[22:23], v[134:135], v[122:123]
	v_fma_f64 v[18:19], v[34:35], v[46:47], -v[36:37]
	v_mul_f64 v[34:35], v[182:183], v[68:69]
	v_add_f64 v[40:41], v[40:41], v[22:23]
	v_fma_f64 v[22:23], v[176:177], v[90:91], -v[38:39]
	v_fma_f64 v[232:233], v[180:181], v[232:233], -v[34:35]
	ds_read_b128 v[34:37], v236 offset:1680
	buffer_load_dword v168, off, s[0:3], 0 offset:792
	buffer_load_dword v175, off, s[0:3], 0 offset:780
	;; [unrolled: 1-line block ×5, first 2 shown]
	v_mul_f64 v[38:39], v[186:187], v[48:49]
	buffer_load_dword v178, off, s[0:3], 0 offset:784
	buffer_load_dword v169, off, s[0:3], 0 offset:796
	;; [unrolled: 1-line block ×3, first 2 shown]
	v_fma_f64 v[180:181], v[184:185], v[50:51], -v[38:39]
	v_mul_f64 v[38:39], v[190:191], v[244:245]
	s_waitcnt lgkmcnt(3)
	v_mul_f64 v[44:45], v[128:129], v[16:17]
	v_fma_f64 v[16:17], v[188:189], v[246:247], -v[38:39]
	v_mul_f64 v[38:39], v[194:195], v[242:243]
	buffer_load_dword v243, off, s[0:3], 0 offset:812
	buffer_load_dword v242, off, s[0:3], 0 offset:808
	;; [unrolled: 1-line block ×8, first 2 shown]
	v_fma_f64 v[14:15], v[192:193], v[102:103], -v[38:39]
	buffer_load_dword v185, off, s[0:3], 0 offset:860
	buffer_load_dword v191, off, s[0:3], 0 offset:844
	;; [unrolled: 1-line block ×8, first 2 shown]
	v_fmac_f64_e32 v[44:45], v[130:131], v[144:145]
	v_add_f64 v[40:41], v[40:41], v[44:45]
	s_waitcnt lgkmcnt(2)
	v_mul_f64 v[44:45], v[124:125], v[12:13]
	v_fmac_f64_e32 v[44:45], v[126:127], v[20:21]
	v_add_f64 v[40:41], v[40:41], v[44:45]
	s_waitcnt vmcnt(46) lgkmcnt(1)
	v_mul_f64 v[44:45], v[30:31], v[24:25]
	v_mul_f64 v[38:39], v[198:199], v[250:251]
	s_waitcnt vmcnt(44)
	v_fmac_f64_e32 v[44:45], v[32:33], v[0:1]
	v_fma_f64 v[250:251], v[196:197], v[252:253], -v[38:39]
	v_mul_f64 v[38:39], v[202:203], v[248:249]
	v_add_f64 v[44:45], v[40:41], v[44:45]
	v_fma_f64 v[248:249], v[200:201], v[100:101], -v[38:39]
	ds_read_b128 v[38:41], v236 offset:1696
	buffer_load_dword v197, off, s[0:3], 0 offset:876
	buffer_load_dword v196, off, s[0:3], 0 offset:872
	;; [unrolled: 1-line block ×4, first 2 shown]
	v_accvgpr_write_b32 a217, v123
	v_mul_f64 v[46:47], v[206:207], v[96:97]
	v_accvgpr_write_b32 a216, v122
	v_pk_mov_b32 v[122:123], v[12:13], v[12:13] op_sel:[0,1]
	v_fma_f64 v[12:13], v[204:205], v[98:99], -v[46:47]
	buffer_load_dword v200, off, s[0:3], 0 offset:888
	buffer_load_dword v202, off, s[0:3], 0 offset:880
	;; [unrolled: 1-line block ×8, first 2 shown]
	v_mul_f64 v[46:47], v[210:211], v[80:81]
	v_fma_f64 v[10:11], v[208:209], v[94:95], -v[46:47]
	buffer_load_dword v208, off, s[0:3], 0 offset:920
	buffer_load_dword v210, off, s[0:3], 0 offset:912
	;; [unrolled: 1-line block ×4, first 2 shown]
	v_accvgpr_write_b32 a222, v20
	v_mul_f64 v[46:47], v[218:219], v[52:53]
	v_fma_f64 v[252:253], v[216:217], v[54:55], -v[46:47]
	v_mul_f64 v[50:51], v[222:223], v[56:57]
	v_fma_f64 v[6:7], v[220:221], v[66:67], -v[50:51]
	ds_read_b128 v[50:53], v236 offset:1744
	v_accvgpr_write_b32 a221, v25
	v_accvgpr_write_b32 a220, v24
	ds_read_b128 v[46:49], v236 offset:1728
	v_fma_f64 v[4:5], v[228:229], v[64:65], -v[62:63]
	v_accvgpr_write_b32 a215, v137
	v_accvgpr_write_b32 a214, v136
	v_fma_f64 v[136:137], v[108:109], v[76:77], -v[74:75]
	ds_read_b128 v[74:77], v236 offset:1840
	ds_read_b128 v[62:65], v236 offset:1792
	s_waitcnt vmcnt(58) lgkmcnt(5)
	v_mul_f64 v[42:43], v[34:35], v[150:151]
	s_waitcnt vmcnt(56)
	v_fmac_f64_e32 v[42:43], v[36:37], v[154:155]
	v_add_f64 v[42:43], v[44:45], v[42:43]
	v_mul_f64 v[44:45], v[214:215], v[78:79]
	s_waitcnt vmcnt(54) lgkmcnt(4)
	v_mul_f64 v[20:21], v[38:39], v[156:157]
	v_fma_f64 v[8:9], v[212:213], v[92:93], -v[44:45]
	s_waitcnt vmcnt(52)
	v_fmac_f64_e32 v[20:21], v[40:41], v[158:159]
	v_add_f64 v[20:21], v[42:43], v[20:21]
	ds_read_b128 v[42:45], v236 offset:1712
	s_waitcnt vmcnt(45) lgkmcnt(3)
	v_mul_f64 v[24:25], v[46:47], v[166:167]
	s_waitcnt vmcnt(43)
	v_fmac_f64_e32 v[24:25], v[48:49], v[172:173]
	s_waitcnt lgkmcnt(0)
	v_mul_f64 v[54:55], v[42:43], v[160:161]
	v_fmac_f64_e32 v[54:55], v[44:45], v[162:163]
	v_add_f64 v[20:21], v[20:21], v[54:55]
	v_add_f64 v[20:21], v[20:21], v[24:25]
	ds_read_b128 v[54:57], v236 offset:1760
	s_waitcnt vmcnt(42)
	v_mul_f64 v[24:25], v[50:51], v[164:165]
	s_waitcnt vmcnt(40)
	v_fmac_f64_e32 v[24:25], v[52:53], v[170:171]
	v_add_f64 v[20:21], v[20:21], v[24:25]
	v_mul_f64 v[24:25], v[226:227], v[58:59]
	v_fma_f64 v[24:25], v[224:225], v[60:61], -v[24:25]
	ds_read_b128 v[58:61], v236 offset:1776
	s_waitcnt vmcnt(37) lgkmcnt(1)
	v_mul_f64 v[66:67], v[54:55], v[174:175]
	s_waitcnt vmcnt(35)
	v_fmac_f64_e32 v[66:67], v[56:57], v[176:177]
	v_add_f64 v[20:21], v[20:21], v[66:67]
	ds_read_b128 v[66:69], v236 offset:1808
	s_waitcnt vmcnt(33) lgkmcnt(1)
	v_mul_f64 v[28:29], v[58:59], v[168:169]
	s_waitcnt vmcnt(32)
	v_fmac_f64_e32 v[28:29], v[60:61], v[178:179]
	v_add_f64 v[20:21], v[20:21], v[28:29]
	s_waitcnt vmcnt(30)
	v_mul_f64 v[28:29], v[62:63], v[242:243]
	s_waitcnt vmcnt(28)
	v_fmac_f64_e32 v[28:29], v[64:65], v[182:183]
	v_add_f64 v[20:21], v[20:21], v[28:29]
	v_mul_f64 v[28:29], v[106:107], v[70:71]
	v_fma_f64 v[28:29], v[104:105], v[72:73], -v[28:29]
	ds_read_b128 v[70:73], v236 offset:1824
	s_waitcnt vmcnt(25) lgkmcnt(1)
	v_mul_f64 v[78:79], v[66:67], v[186:187]
	s_waitcnt vmcnt(24)
	v_fmac_f64_e32 v[78:79], v[68:69], v[188:189]
	v_add_f64 v[20:21], v[20:21], v[78:79]
	s_waitcnt vmcnt(21) lgkmcnt(0)
	v_mul_f64 v[78:79], v[70:71], v[190:191]
	s_waitcnt vmcnt(19)
	v_fmac_f64_e32 v[78:79], v[72:73], v[194:195]
	v_add_f64 v[20:21], v[20:21], v[78:79]
	s_waitcnt vmcnt(18)
	v_mul_f64 v[78:79], v[74:75], v[184:185]
	s_waitcnt vmcnt(16)
	v_fmac_f64_e32 v[78:79], v[76:77], v[192:193]
	v_add_f64 v[90:91], v[20:21], v[78:79]
	ds_read_b128 v[78:81], v236 offset:1856
	v_mul_f64 v[20:21], v[240:241], v[82:83]
	v_fma_f64 v[2:3], v[238:239], v[84:85], -v[20:21]
	ds_read_b128 v[82:85], v236 offset:1872
	v_mul_f64 v[20:21], v[114:115], v[86:87]
	v_fma_f64 v[20:21], v[112:113], v[88:89], -v[20:21]
	ds_read_b128 v[86:89], v236 offset:1888
	s_waitcnt vmcnt(14) lgkmcnt(2)
	v_mul_f64 v[92:93], v[78:79], v[196:197]
	s_waitcnt vmcnt(12)
	v_fmac_f64_e32 v[92:93], v[80:81], v[198:199]
	v_add_f64 v[90:91], v[90:91], v[92:93]
	s_waitcnt vmcnt(9) lgkmcnt(1)
	v_mul_f64 v[92:93], v[82:83], v[200:201]
	s_waitcnt vmcnt(8)
	v_fmac_f64_e32 v[92:93], v[84:85], v[202:203]
	v_add_f64 v[90:91], v[90:91], v[92:93]
	;; [unrolled: 5-line block ×3, first 2 shown]
	ds_read_b128 v[90:93], v236 offset:1904
	buffer_load_dword v213, off, s[0:3], 0 offset:940
	buffer_load_dword v212, off, s[0:3], 0 offset:936
	buffer_load_dword v215, off, s[0:3], 0 offset:932
	buffer_load_dword v214, off, s[0:3], 0 offset:928
	v_accvgpr_write_b32 a225, v21
	v_accvgpr_write_b32 a224, v20
	s_waitcnt vmcnt(5) lgkmcnt(0)
	v_mul_f64 v[96:97], v[90:91], v[208:209]
	s_waitcnt vmcnt(4)
	v_fmac_f64_e32 v[96:97], v[92:93], v[210:211]
	v_add_f64 v[98:99], v[94:95], v[96:97]
	ds_read_b128 v[94:97], v236 offset:1920
	buffer_load_dword v216, off, s[0:3], 0 offset:952
	buffer_load_dword v217, off, s[0:3], 0 offset:956
	buffer_load_dword v218, off, s[0:3], 0 offset:944
	buffer_load_dword v219, off, s[0:3], 0 offset:948
	s_waitcnt vmcnt(6) lgkmcnt(0)
	v_mul_f64 v[100:101], v[94:95], v[212:213]
	s_waitcnt vmcnt(4)
	v_fmac_f64_e32 v[100:101], v[96:97], v[214:215]
	v_add_f64 v[102:103], v[98:99], v[100:101]
	ds_read_b128 v[98:101], v236 offset:1936
	buffer_load_dword v221, off, s[0:3], 0 offset:972
	buffer_load_dword v220, off, s[0:3], 0 offset:968
	buffer_load_dword v223, off, s[0:3], 0 offset:964
	buffer_load_dword v222, off, s[0:3], 0 offset:960
	;; [unrolled: 10-line block ×5, first 2 shown]
	s_waitcnt vmcnt(6) lgkmcnt(0)
	v_mul_f64 v[238:239], v[110:111], v[228:229]
	s_waitcnt vmcnt(4)
	v_fmac_f64_e32 v[238:239], v[112:113], v[230:231]
	v_add_f64 v[114:115], v[114:115], v[238:239]
	ds_read_b128 v[238:241], v236 offset:2000
	s_waitcnt vmcnt(2) lgkmcnt(0)
	v_mul_f64 v[20:21], v[238:239], v[244:245]
	s_waitcnt vmcnt(0)
	v_fmac_f64_e32 v[20:21], v[240:241], v[246:247]
	v_add_f64 v[114:115], v[114:115], v[20:21]
	v_accvgpr_read_b32 v20, a226
	v_accvgpr_read_b32 v21, a227
	v_add_f64 v[20:21], v[20:21], 0
	v_add_f64 v[20:21], v[20:21], v[234:235]
	;; [unrolled: 1-line block ×22, first 2 shown]
	buffer_load_dword v250, off, s[0:3], 0 offset:96
	buffer_load_dword v251, off, s[0:3], 0 offset:100
	v_add_f64 v[6:7], v[6:7], v[24:25]
	buffer_load_dword v248, off, s[0:3], 0 offset:104
	buffer_load_dword v249, off, s[0:3], 0 offset:108
	v_add_f64 v[4:5], v[6:7], v[4:5]
	v_add_f64 v[4:5], v[4:5], v[28:29]
	;; [unrolled: 1-line block ×4, first 2 shown]
	v_accvgpr_read_b32 v6, a190
	v_accvgpr_read_b32 v4, a194
	;; [unrolled: 1-line block ×6, first 2 shown]
	v_mul_f64 v[4:5], v[8:9], v[4:5]
	v_accvgpr_read_b32 v8, a196
	v_accvgpr_read_b32 v3, a225
	;; [unrolled: 1-line block ×4, first 2 shown]
	v_add_f64 v[2:3], v[234:235], v[2:3]
	v_fma_f64 v[4:5], v[6:7], v[8:9], -v[4:5]
	v_add_f64 v[2:3], v[2:3], v[4:5]
	v_accvgpr_read_b32 v6, a198
	v_accvgpr_read_b32 v4, a202
	;; [unrolled: 1-line block ×5, first 2 shown]
	v_mul_f64 v[4:5], v[8:9], v[4:5]
	v_accvgpr_read_b32 v8, a204
	v_accvgpr_read_b32 v7, a199
	;; [unrolled: 1-line block ×3, first 2 shown]
	v_fma_f64 v[4:5], v[6:7], v[8:9], -v[4:5]
	v_add_f64 v[2:3], v[2:3], v[4:5]
	v_accvgpr_read_b32 v4, a206
	v_accvgpr_read_b32 v5, a207
	v_accvgpr_read_b32 v6, a208
	v_mul_f64 v[4:5], v[140:141], v[4:5]
	v_accvgpr_read_b32 v7, a209
	v_fma_f64 v[4:5], v[138:139], v[6:7], -v[4:5]
	v_add_f64 v[2:3], v[2:3], v[4:5]
	v_accvgpr_read_b32 v4, a210
	v_accvgpr_read_b32 v5, a211
	v_accvgpr_read_b32 v6, a212
	v_mul_f64 v[4:5], v[148:149], v[4:5]
	v_accvgpr_read_b32 v7, a213
	;; [unrolled: 7-line block ×3, first 2 shown]
	v_fma_f64 v[4:5], v[132:133], v[6:7], -v[4:5]
	v_add_f64 v[2:3], v[2:3], v[4:5]
	v_accvgpr_read_b32 v4, a218
	v_accvgpr_read_b32 v5, a219
	v_mul_f64 v[4:5], v[130:131], v[4:5]
	v_fma_f64 v[4:5], v[128:129], v[144:145], -v[4:5]
	v_accvgpr_read_b32 v6, a222
	v_add_f64 v[2:3], v[2:3], v[4:5]
	v_mul_f64 v[4:5], v[126:127], v[122:123]
	v_accvgpr_read_b32 v7, a223
	v_fma_f64 v[4:5], v[124:125], v[6:7], -v[4:5]
	v_add_f64 v[2:3], v[2:3], v[4:5]
	v_accvgpr_read_b32 v4, a220
	v_accvgpr_read_b32 v5, a221
	v_mul_f64 v[4:5], v[32:33], v[4:5]
	v_fma_f64 v[4:5], v[30:31], v[0:1], -v[4:5]
	v_add_f64 v[2:3], v[2:3], v[4:5]
	v_mul_f64 v[4:5], v[36:37], v[150:151]
	v_fma_f64 v[4:5], v[34:35], v[154:155], -v[4:5]
	v_add_f64 v[2:3], v[2:3], v[4:5]
	;; [unrolled: 3-line block ×22, first 2 shown]
	v_accvgpr_read_b32 v0, a188
	s_waitcnt vmcnt(2)
	v_add_f64 v[2:3], v[250:251], -v[2:3]
	v_cmp_lt_u32_e32 vcc, 4, v0
	s_waitcnt vmcnt(0)
	v_add_f64 v[4:5], v[248:249], -v[114:115]
	buffer_store_dword v3, off, s[0:3], 0 offset:100
	buffer_store_dword v2, off, s[0:3], 0 offset:96
	;; [unrolled: 1-line block ×4, first 2 shown]
	s_and_saveexec_b64 s[4:5], vcc
	s_cbranch_execz .LBB126_395
; %bb.394:
	v_accvgpr_read_b32 v0, a184
	buffer_load_dword v2, v0, s[0:3], 0 offen
	buffer_load_dword v3, v0, s[0:3], 0 offen offset:4
	buffer_load_dword v4, v0, s[0:3], 0 offen offset:8
	;; [unrolled: 1-line block ×3, first 2 shown]
	v_accvgpr_read_b32 v0, a189
	buffer_store_dword v236, off, s[0:3], 0 offset:80
	buffer_store_dword v236, off, s[0:3], 0 offset:84
	;; [unrolled: 1-line block ×4, first 2 shown]
	s_waitcnt vmcnt(4)
	ds_write_b128 v0, v[2:5]
.LBB126_395:
	s_or_b64 exec, exec, s[4:5]
	s_waitcnt lgkmcnt(0)
	; wave barrier
	s_waitcnt lgkmcnt(0)
	buffer_load_dword v6, off, s[0:3], 0 offset:96
	buffer_load_dword v7, off, s[0:3], 0 offset:100
	;; [unrolled: 1-line block ×42, first 2 shown]
	ds_read_b128 v[104:107], v236 offset:1088
	ds_read_b128 v[108:111], v236 offset:1104
	;; [unrolled: 1-line block ×10, first 2 shown]
	buffer_load_dword v99, off, s[0:3], 0 offset:244
	buffer_load_dword v98, off, s[0:3], 0 offset:240
	ds_read_b128 v[38:41], v236 offset:1248
	buffer_load_dword v85, off, s[0:3], 0 offset:300
	buffer_load_dword v84, off, s[0:3], 0 offset:296
	;; [unrolled: 1-line block ×6, first 2 shown]
	s_waitcnt vmcnt(46) lgkmcnt(10)
	v_mul_f64 v[52:53], v[104:105], v[10:11]
	v_fmac_f64_e32 v[52:53], v[106:107], v[6:7]
	v_add_f64 v[52:53], v[52:53], 0
	v_mul_f64 v[10:11], v[106:107], v[10:11]
	s_waitcnt vmcnt(42) lgkmcnt(9)
	v_mul_f64 v[54:55], v[108:109], v[8:9]
	v_fmac_f64_e32 v[54:55], v[110:111], v[4:5]
	s_waitcnt vmcnt(40) lgkmcnt(8)
	v_mul_f64 v[56:57], v[112:113], v[2:3]
	v_add_f64 v[52:53], v[52:53], v[54:55]
	s_waitcnt vmcnt(38) lgkmcnt(6)
	v_mul_f64 v[60:61], v[148:149], v[146:147]
	v_fma_f64 v[234:235], v[104:105], v[6:7], -v[10:11]
	s_waitcnt vmcnt(36)
	v_fmac_f64_e32 v[60:61], v[150:151], v[14:15]
	v_mul_f64 v[8:9], v[110:111], v[8:9]
	s_waitcnt vmcnt(34)
	v_mul_f64 v[58:59], v[116:117], v[230:231]
	v_mul_f64 v[2:3], v[114:115], v[2:3]
	s_waitcnt vmcnt(32) lgkmcnt(4)
	v_mul_f64 v[64:65], v[156:157], v[18:19]
	s_waitcnt vmcnt(30)
	v_fmac_f64_e32 v[64:65], v[158:159], v[20:21]
	s_waitcnt vmcnt(28)
	v_mul_f64 v[62:63], v[152:153], v[22:23]
	v_mul_f64 v[10:11], v[154:155], v[22:23]
	s_waitcnt vmcnt(26) lgkmcnt(2)
	v_mul_f64 v[68:69], v[164:165], v[26:27]
	s_waitcnt vmcnt(23)
	v_mul_f64 v[66:67], v[160:161], v[24:25]
	s_waitcnt vmcnt(21) lgkmcnt(1)
	v_mul_f64 v[128:129], v[30:31], v[34:35]
	s_waitcnt vmcnt(19)
	v_fmac_f64_e32 v[56:57], v[114:115], v[46:47]
	v_add_f64 v[52:53], v[52:53], v[56:57]
	s_waitcnt vmcnt(17)
	v_fmac_f64_e32 v[58:59], v[118:119], v[228:229]
	v_add_f64 v[52:53], v[52:53], v[58:59]
	;; [unrolled: 3-line block ×3, first 2 shown]
	v_add_f64 v[52:53], v[52:53], v[62:63]
	s_waitcnt vmcnt(13)
	v_fmac_f64_e32 v[66:67], v[162:163], v[36:37]
	v_add_f64 v[52:53], v[52:53], v[64:65]
	s_waitcnt vmcnt(12)
	v_fmac_f64_e32 v[68:69], v[166:167], v[28:29]
	v_add_f64 v[52:53], v[52:53], v[66:67]
	v_add_f64 v[130:131], v[52:53], v[68:69]
	buffer_load_dword v205, off, s[0:3], 0 offset:276
	buffer_load_dword v204, off, s[0:3], 0 offset:272
	;; [unrolled: 1-line block ×68, first 2 shown]
	s_waitcnt vmcnt(62)
	v_fmac_f64_e32 v[128:129], v[32:33], v[98:99]
	v_add_f64 v[128:129], v[130:131], v[128:129]
	s_waitcnt lgkmcnt(0)
	v_mul_f64 v[130:131], v[38:39], v[48:49]
	v_fmac_f64_e32 v[130:131], v[40:41], v[50:51]
	v_add_f64 v[128:129], v[128:129], v[130:131]
	v_fma_f64 v[238:239], v[112:113], v[46:47], -v[2:3]
	v_mul_f64 v[32:33], v[32:33], v[34:35]
	v_mul_f64 v[40:41], v[40:41], v[48:49]
	s_waitcnt vmcnt(0)
	v_pk_mov_b32 v[120:121], v[0:1], v[0:1] op_sel:[0,1]
	buffer_load_dword v1, off, s[0:3], 0 offset:580
	buffer_load_dword v0, off, s[0:3], 0 offset:576
	;; [unrolled: 1-line block ×4, first 2 shown]
	v_accvgpr_write_b32 a203, v121
	v_accvgpr_write_b32 a202, v120
	s_waitcnt vmcnt(2)
	v_accvgpr_write_b32 a205, v1
	v_accvgpr_write_b32 a204, v0
	s_waitcnt vmcnt(0)
	v_pk_mov_b32 v[124:125], v[122:123], v[122:123] op_sel:[0,1]
	buffer_load_dword v123, off, s[0:3], 0 offset:564
	buffer_load_dword v122, off, s[0:3], 0 offset:560
	ds_read_b128 v[168:171], v236 offset:1264
	ds_read_b128 v[172:175], v236 offset:1280
	;; [unrolled: 1-line block ×6, first 2 shown]
	s_waitcnt lgkmcnt(5)
	v_mul_f64 v[130:131], v[168:169], v[96:97]
	v_fmac_f64_e32 v[130:131], v[170:171], v[204:205]
	v_add_f64 v[128:129], v[128:129], v[130:131]
	s_waitcnt lgkmcnt(4)
	v_mul_f64 v[130:131], v[172:173], v[84:85]
	v_fmac_f64_e32 v[130:131], v[174:175], v[90:91]
	v_add_f64 v[128:129], v[128:129], v[130:131]
	;; [unrolled: 4-line block ×3, first 2 shown]
	s_waitcnt lgkmcnt(2)
	v_mul_f64 v[130:131], v[180:181], v[206:207]
	v_fmac_f64_e32 v[130:131], v[182:183], v[232:233]
	ds_read_b128 v[192:195], v236 offset:1360
	ds_read_b128 v[196:199], v236 offset:1376
	v_add_f64 v[128:129], v[128:129], v[130:131]
	s_waitcnt lgkmcnt(3)
	v_mul_f64 v[130:131], v[184:185], v[250:251]
	v_fmac_f64_e32 v[130:131], v[186:187], v[252:253]
	v_add_f64 v[128:129], v[128:129], v[130:131]
	s_waitcnt lgkmcnt(2)
	v_mul_f64 v[130:131], v[188:189], v[246:247]
	v_fmac_f64_e32 v[130:131], v[190:191], v[248:249]
	ds_read_b128 v[200:203], v236 offset:1392
	ds_read_b128 v[208:211], v236 offset:1408
	v_add_f64 v[128:129], v[128:129], v[130:131]
	s_waitcnt lgkmcnt(3)
	v_mul_f64 v[130:131], v[192:193], v[254:255]
	v_fmac_f64_e32 v[130:131], v[194:195], v[44:45]
	v_add_f64 v[128:129], v[128:129], v[130:131]
	s_waitcnt lgkmcnt(2)
	v_mul_f64 v[130:131], v[196:197], v[92:93]
	v_fmac_f64_e32 v[130:131], v[198:199], v[94:95]
	;; [unrolled: 4-line block ×3, first 2 shown]
	v_add_f64 v[136:137], v[128:129], v[130:131]
	ds_read_b128 v[212:215], v236 offset:1424
	buffer_load_dword v126, off, s[0:3], 0 offset:616
	buffer_load_dword v129, off, s[0:3], 0 offset:604
	;; [unrolled: 1-line block ×3, first 2 shown]
	s_waitcnt lgkmcnt(1)
	v_mul_f64 v[138:139], v[208:209], v[60:61]
	v_fmac_f64_e32 v[138:139], v[210:211], v[70:71]
	v_add_f64 v[220:221], v[136:137], v[138:139]
	s_waitcnt lgkmcnt(0)
	v_mul_f64 v[222:223], v[212:213], v[72:73]
	v_fmac_f64_e32 v[222:223], v[214:215], v[82:83]
	v_add_f64 v[220:221], v[220:221], v[222:223]
	v_fma_f64 v[136:137], v[108:109], v[4:5], -v[8:9]
	v_mul_f64 v[8:9], v[150:151], v[146:147]
	v_fma_f64 v[240:241], v[148:149], v[14:15], -v[8:9]
	v_accvgpr_write_b32 a195, v125
	v_accvgpr_write_b32 a194, v124
	v_mul_f64 v[14:15], v[158:159], v[18:19]
	v_fma_f64 v[150:151], v[156:157], v[20:21], -v[14:15]
	s_waitcnt vmcnt(3)
	v_accvgpr_write_b32 a197, v123
	v_accvgpr_write_b32 a196, v122
	s_waitcnt vmcnt(0)
	v_pk_mov_b32 v[130:131], v[128:129], v[128:129] op_sel:[0,1]
	buffer_load_dword v141, off, s[0:3], 0 offset:596
	buffer_load_dword v140, off, s[0:3], 0 offset:592
	;; [unrolled: 1-line block ×5, first 2 shown]
	ds_read_b128 v[216:219], v236 offset:1440
	buffer_load_dword v133, off, s[0:3], 0 offset:652
	buffer_load_dword v135, off, s[0:3], 0 offset:636
	;; [unrolled: 1-line block ×3, first 2 shown]
	v_accvgpr_write_b32 a211, v131
	v_accvgpr_write_b32 a210, v130
	s_waitcnt lgkmcnt(0)
	v_mul_f64 v[222:223], v[216:217], v[52:53]
	v_fmac_f64_e32 v[222:223], v[218:219], v[54:55]
	v_add_f64 v[224:225], v[220:221], v[222:223]
	s_waitcnt vmcnt(4)
	v_accvgpr_write_b32 a213, v127
	s_waitcnt vmcnt(3)
	v_accvgpr_write_b32 a215, v129
	v_accvgpr_write_b32 a214, v128
	s_waitcnt vmcnt(0)
	v_pk_mov_b32 v[144:145], v[134:135], v[134:135] op_sel:[0,1]
	buffer_load_dword v135, off, s[0:3], 0 offset:628
	buffer_load_dword v134, off, s[0:3], 0 offset:624
	;; [unrolled: 1-line block ×9, first 2 shown]
	ds_read_b128 v[220:223], v236 offset:1456
	ds_read_b128 v[104:107], v236 offset:1472
	;; [unrolled: 1-line block ×5, first 2 shown]
	s_waitcnt lgkmcnt(4)
	v_mul_f64 v[6:7], v[220:221], v[56:57]
	v_fmac_f64_e32 v[6:7], v[222:223], v[58:59]
	v_add_f64 v[4:5], v[224:225], v[6:7]
	ds_read_b128 v[224:227], v236 offset:1504
	s_waitcnt lgkmcnt(4)
	v_mul_f64 v[6:7], v[104:105], v[62:63]
	v_fmac_f64_e32 v[6:7], v[106:107], v[64:65]
	v_add_f64 v[4:5], v[4:5], v[6:7]
	s_waitcnt lgkmcnt(3)
	v_mul_f64 v[6:7], v[108:109], v[66:67]
	v_fmac_f64_e32 v[6:7], v[110:111], v[68:69]
	s_waitcnt lgkmcnt(0)
	v_mul_f64 v[2:3], v[224:225], v[74:75]
	v_add_f64 v[4:5], v[4:5], v[6:7]
	v_fmac_f64_e32 v[2:3], v[226:227], v[76:77]
	v_add_f64 v[2:3], v[4:5], v[2:3]
	v_mul_f64 v[4:5], v[118:119], v[230:231]
	v_fma_f64 v[118:119], v[116:117], v[228:229], -v[4:5]
	ds_read_b128 v[228:231], v236 offset:1536
	v_mul_f64 v[4:5], v[112:113], v[78:79]
	v_fmac_f64_e32 v[4:5], v[114:115], v[80:81]
	v_accvgpr_read_b32 v146, a190
	v_add_f64 v[6:7], v[2:3], v[4:5]
	s_waitcnt lgkmcnt(0)
	v_mul_f64 v[8:9], v[228:229], v[86:87]
	v_fmac_f64_e32 v[8:9], v[230:231], v[88:89]
	v_accvgpr_read_b32 v147, a191
	v_add_f64 v[6:7], v[6:7], v[8:9]
	v_accvgpr_read_b32 v148, a192
	v_accvgpr_read_b32 v149, a193
	v_mul_f64 v[8:9], v[146:147], v[124:125]
	v_fmac_f64_e32 v[8:9], v[148:149], v[122:123]
	v_add_f64 v[46:47], v[6:7], v[8:9]
	v_fma_f64 v[116:117], v[152:153], v[42:43], -v[10:11]
	v_accvgpr_write_b32 a212, v126
	v_accvgpr_write_b32 a221, v145
	;; [unrolled: 1-line block ×3, first 2 shown]
	s_waitcnt vmcnt(4)
	v_accvgpr_write_b32 a229, v17
	v_accvgpr_write_b32 a228, v16
	s_waitcnt vmcnt(2)
	v_accvgpr_write_b32 a227, v13
	v_pk_mov_b32 v[138:139], v[132:133], v[132:133] op_sel:[0,1]
	buffer_load_dword v132, off, s[0:3], 0 offset:680
	buffer_load_dword v133, off, s[0:3], 0 offset:684
	ds_read_b128 v[4:7], v236 offset:1568
	ds_read_b128 v[122:125], v236 offset:1584
	;; [unrolled: 1-line block ×3, first 2 shown]
	v_accvgpr_write_b32 a226, v12
	v_accvgpr_write_b32 a225, v139
	s_waitcnt lgkmcnt(2)
	v_pk_mov_b32 v[8:9], v[6:7], v[6:7] op_sel:[0,1]
	v_pk_mov_b32 v[6:7], v[4:5], v[4:5] op_sel:[0,1]
	v_mul_f64 v[4:5], v[6:7], v[120:121]
	v_accvgpr_write_b32 a201, v9
	v_fmac_f64_e32 v[4:5], v[8:9], v[0:1]
	v_accvgpr_write_b32 a200, v8
	v_accvgpr_write_b32 a199, v7
	;; [unrolled: 1-line block ×3, first 2 shown]
	ds_read_b128 v[6:9], v236 offset:1600
	s_waitcnt lgkmcnt(2)
	v_mul_f64 v[18:19], v[122:123], v[130:131]
	v_add_f64 v[4:5], v[46:47], v[4:5]
	v_fmac_f64_e32 v[18:19], v[124:125], v[140:141]
	v_add_f64 v[4:5], v[4:5], v[18:19]
	s_waitcnt lgkmcnt(0)
	v_mul_f64 v[18:19], v[6:7], v[126:127]
	v_fmac_f64_e32 v[18:19], v[8:9], v[128:129]
	v_accvgpr_write_b32 a219, v125
	v_accvgpr_write_b32 a218, v124
	;; [unrolled: 1-line block ×4, first 2 shown]
	v_add_f64 v[42:43], v[4:5], v[18:19]
	v_mul_f64 v[4:5], v[162:163], v[24:25]
	v_fma_f64 v[46:47], v[160:161], v[36:37], -v[4:5]
	v_mul_f64 v[36:37], v[146:147], v[144:145]
	v_fmac_f64_e32 v[36:37], v[148:149], v[134:135]
	v_add_f64 v[36:37], v[42:43], v[36:37]
	v_accvgpr_write_b32 a209, v9
	v_accvgpr_write_b32 a208, v8
	;; [unrolled: 1-line block ×4, first 2 shown]
	v_mul_f64 v[8:9], v[166:167], v[26:27]
	v_fma_f64 v[18:19], v[38:39], v[50:51], -v[40:41]
	v_mul_f64 v[38:39], v[174:175], v[84:85]
	v_fma_f64 v[14:15], v[172:173], v[90:91], -v[38:39]
	v_mul_f64 v[38:39], v[178:179], v[242:243]
	v_mul_f64 v[40:41], v[186:187], v[250:251]
	v_fma_f64 v[250:251], v[184:185], v[252:253], -v[40:41]
	v_mul_f64 v[40:41], v[190:191], v[246:247]
	v_fma_f64 v[10:11], v[188:189], v[248:249], -v[40:41]
	;; [unrolled: 2-line block ×4, first 2 shown]
	v_fma_f64 v[8:9], v[196:197], v[94:95], -v[40:41]
	v_mul_f64 v[40:41], v[202:203], v[100:101]
	v_fma_f64 v[6:7], v[200:201], v[102:103], -v[40:41]
	v_fma_f64 v[164:165], v[30:31], v[98:99], -v[32:33]
	v_mul_f64 v[26:27], v[222:223], v[56:57]
	v_accvgpr_write_b32 a224, v138
	v_accvgpr_write_b32 a223, v135
	;; [unrolled: 1-line block ×3, first 2 shown]
	s_waitcnt vmcnt(0)
	v_pk_mov_b32 v[2:3], v[132:133], v[132:133] op_sel:[0,1]
	buffer_load_dword v132, off, s[0:3], 0 offset:672
	buffer_load_dword v133, off, s[0:3], 0 offset:676
	ds_read_b128 v[128:131], v236 offset:1632
	ds_read_b128 v[124:127], v236 offset:1648
	v_pk_mov_b32 v[134:135], v[2:3], v[2:3] op_sel:[0,1]
	s_waitcnt lgkmcnt(1)
	v_mul_f64 v[42:43], v[128:129], v[138:139]
	v_fmac_f64_e32 v[42:43], v[130:131], v[16:17]
	v_add_f64 v[36:37], v[36:37], v[42:43]
	s_waitcnt lgkmcnt(0)
	v_mul_f64 v[42:43], v[124:125], v[12:13]
	v_fmac_f64_e32 v[42:43], v[126:127], v[142:143]
	v_add_f64 v[42:43], v[36:37], v[42:43]
	ds_read_b128 v[34:37], v236 offset:1664
	ds_read_b128 v[120:123], v236 offset:1680
	buffer_load_dword v152, off, s[0:3], 0 offset:712
	buffer_load_dword v157, off, s[0:3], 0 offset:700
	;; [unrolled: 1-line block ×10, first 2 shown]
	v_mul_f64 v[12:13], v[170:171], v[96:97]
	v_fma_f64 v[16:17], v[168:169], v[204:205], -v[12:13]
	buffer_load_dword v169, off, s[0:3], 0 offset:732
	buffer_load_dword v168, off, s[0:3], 0 offset:728
	;; [unrolled: 1-line block ×14, first 2 shown]
	v_fma_f64 v[12:13], v[176:177], v[244:245], -v[38:39]
	buffer_load_dword v177, off, s[0:3], 0 offset:796
	buffer_load_dword v176, off, s[0:3], 0 offset:792
	;; [unrolled: 1-line block ×4, first 2 shown]
	v_mul_f64 v[38:39], v[182:183], v[206:207]
	buffer_load_dword v182, off, s[0:3], 0 offset:808
	buffer_load_dword v184, off, s[0:3], 0 offset:800
	buffer_load_dword v183, off, s[0:3], 0 offset:812
	buffer_load_dword v185, off, s[0:3], 0 offset:804
	v_fma_f64 v[232:233], v[180:181], v[232:233], -v[38:39]
	buffer_load_dword v181, off, s[0:3], 0 offset:844
	buffer_load_dword v187, off, s[0:3], 0 offset:828
	;; [unrolled: 1-line block ×12, first 2 shown]
	s_waitcnt lgkmcnt(1)
	v_mul_f64 v[38:39], v[34:35], v[2:3]
	buffer_load_dword v198, off, s[0:3], 0 offset:872
	buffer_load_dword v200, off, s[0:3], 0 offset:864
	;; [unrolled: 1-line block ×12, first 2 shown]
	v_fma_f64 v[138:139], v[220:221], v[58:59], -v[26:27]
	s_waitcnt vmcnt(56)
	v_fmac_f64_e32 v[38:39], v[36:37], v[132:133]
	v_add_f64 v[20:21], v[42:43], v[38:39]
	v_mul_f64 v[38:39], v[210:211], v[60:61]
	v_fma_f64 v[248:249], v[208:209], v[70:71], -v[38:39]
	buffer_load_dword v209, off, s[0:3], 0 offset:924
	buffer_load_dword v208, off, s[0:3], 0 offset:920
	;; [unrolled: 1-line block ×4, first 2 shown]
	ds_read_b128 v[38:41], v236 offset:1696
	ds_read_b128 v[30:33], v236 offset:1728
	;; [unrolled: 1-line block ×4, first 2 shown]
	s_waitcnt vmcnt(57) lgkmcnt(4)
	v_mul_f64 v[42:43], v[120:121], v[156:157]
	s_waitcnt vmcnt(55)
	v_fmac_f64_e32 v[42:43], v[122:123], v[158:159]
	v_add_f64 v[20:21], v[20:21], v[42:43]
	v_mul_f64 v[42:43], v[214:215], v[72:73]
	v_fma_f64 v[4:5], v[212:213], v[82:83], -v[42:43]
	ds_read_b128 v[42:45], v236 offset:1712
	s_waitcnt vmcnt(53) lgkmcnt(4)
	v_mul_f64 v[24:25], v[38:39], v[152:153]
	s_waitcnt vmcnt(52)
	v_fmac_f64_e32 v[24:25], v[40:41], v[160:161]
	v_add_f64 v[20:21], v[20:21], v[24:25]
	v_mul_f64 v[24:25], v[218:219], v[52:53]
	ds_read_b128 v[50:53], v236 offset:1744
	v_fma_f64 v[28:29], v[216:217], v[54:55], -v[24:25]
	s_waitcnt vmcnt(48) lgkmcnt(1)
	v_mul_f64 v[24:25], v[42:43], v[168:169]
	s_waitcnt vmcnt(46)
	v_fmac_f64_e32 v[24:25], v[44:45], v[170:171]
	ds_read_b128 v[54:57], v236 offset:1760
	v_add_f64 v[20:21], v[20:21], v[24:25]
	v_mul_f64 v[24:25], v[30:31], v[154:155]
	s_waitcnt vmcnt(44)
	v_fmac_f64_e32 v[24:25], v[32:33], v[166:167]
	v_add_f64 v[20:21], v[20:21], v[24:25]
	s_waitcnt vmcnt(40) lgkmcnt(1)
	v_mul_f64 v[24:25], v[50:51], v[172:173]
	s_waitcnt vmcnt(38)
	v_fmac_f64_e32 v[24:25], v[52:53], v[174:175]
	v_add_f64 v[20:21], v[20:21], v[24:25]
	s_waitcnt vmcnt(37) lgkmcnt(0)
	v_mul_f64 v[24:25], v[54:55], v[162:163]
	s_waitcnt vmcnt(36)
	v_fmac_f64_e32 v[24:25], v[56:57], v[242:243]
	v_add_f64 v[20:21], v[20:21], v[24:25]
	v_mul_f64 v[24:25], v[106:107], v[62:63]
	v_fma_f64 v[252:253], v[104:105], v[64:65], -v[24:25]
	ds_read_b128 v[62:65], v236 offset:1792
	s_waitcnt vmcnt(34)
	v_mul_f64 v[24:25], v[58:59], v[176:177]
	s_waitcnt vmcnt(32)
	v_fmac_f64_e32 v[24:25], v[60:61], v[178:179]
	v_add_f64 v[20:21], v[20:21], v[24:25]
	v_mul_f64 v[24:25], v[110:111], v[66:67]
	v_fma_f64 v[2:3], v[108:109], v[68:69], -v[24:25]
	ds_read_b128 v[66:69], v236 offset:1808
	s_waitcnt vmcnt(29) lgkmcnt(1)
	v_mul_f64 v[24:25], v[62:63], v[182:183]
	s_waitcnt vmcnt(28)
	v_fmac_f64_e32 v[24:25], v[64:65], v[184:185]
	v_add_f64 v[20:21], v[20:21], v[24:25]
	ds_read_b128 v[70:73], v236 offset:1824
	v_mul_f64 v[24:25], v[226:227], v[74:75]
	v_fma_f64 v[48:49], v[224:225], v[76:77], -v[24:25]
	ds_read_b128 v[74:77], v236 offset:1840
	s_waitcnt vmcnt(25) lgkmcnt(2)
	v_mul_f64 v[24:25], v[66:67], v[186:187]
	s_waitcnt vmcnt(23)
	v_fmac_f64_e32 v[24:25], v[68:69], v[192:193]
	v_add_f64 v[20:21], v[20:21], v[24:25]
	s_waitcnt vmcnt(22) lgkmcnt(1)
	v_mul_f64 v[24:25], v[70:71], v[180:181]
	s_waitcnt vmcnt(20)
	v_fmac_f64_e32 v[24:25], v[72:73], v[190:191]
	s_waitcnt vmcnt(18) lgkmcnt(0)
	v_mul_f64 v[26:27], v[74:75], v[188:189]
	v_add_f64 v[24:25], v[20:21], v[24:25]
	s_waitcnt vmcnt(16)
	v_fmac_f64_e32 v[26:27], v[76:77], v[194:195]
	v_mul_f64 v[20:21], v[114:115], v[78:79]
	v_add_f64 v[24:25], v[24:25], v[26:27]
	v_mul_f64 v[26:27], v[230:231], v[86:87]
	v_fma_f64 v[20:21], v[112:113], v[80:81], -v[20:21]
	ds_read_b128 v[82:85], v236 offset:1856
	ds_read_b128 v[78:81], v236 offset:1872
	v_fma_f64 v[114:115], v[228:229], v[88:89], -v[26:27]
	ds_read_b128 v[86:89], v236 offset:1888
	buffer_load_dword v212, off, s[0:3], 0 offset:936
	buffer_load_dword v213, off, s[0:3], 0 offset:940
	buffer_load_dword v214, off, s[0:3], 0 offset:928
	buffer_load_dword v215, off, s[0:3], 0 offset:932
	ds_read_b128 v[94:97], v236 offset:1920
	buffer_load_dword v217, off, s[0:3], 0 offset:956
	buffer_load_dword v216, off, s[0:3], 0 offset:952
	buffer_load_dword v219, off, s[0:3], 0 offset:948
	buffer_load_dword v218, off, s[0:3], 0 offset:944
	;; [unrolled: 5-line block ×6, first 2 shown]
	s_waitcnt vmcnt(37) lgkmcnt(7)
	v_mul_f64 v[26:27], v[82:83], v[198:199]
	s_waitcnt vmcnt(36)
	v_fmac_f64_e32 v[26:27], v[84:85], v[200:201]
	v_add_f64 v[24:25], v[24:25], v[26:27]
	s_waitcnt vmcnt(33) lgkmcnt(6)
	v_mul_f64 v[26:27], v[78:79], v[204:205]
	s_waitcnt vmcnt(31)
	v_fmac_f64_e32 v[26:27], v[80:81], v[206:207]
	v_add_f64 v[24:25], v[24:25], v[26:27]
	;; [unrolled: 5-line block ×3, first 2 shown]
	s_waitcnt vmcnt(26)
	v_mul_f64 v[26:27], v[90:91], v[208:209]
	s_waitcnt vmcnt(24)
	v_fmac_f64_e32 v[26:27], v[92:93], v[210:211]
	v_add_f64 v[24:25], v[24:25], v[26:27]
	s_waitcnt vmcnt(22) lgkmcnt(4)
	v_mul_f64 v[26:27], v[94:95], v[212:213]
	s_waitcnt vmcnt(20)
	v_fmac_f64_e32 v[26:27], v[96:97], v[214:215]
	v_add_f64 v[24:25], v[24:25], v[26:27]
	s_waitcnt vmcnt(18) lgkmcnt(3)
	;; [unrolled: 5-line block ×5, first 2 shown]
	v_mul_f64 v[26:27], v[110:111], v[228:229]
	s_waitcnt vmcnt(4)
	v_fmac_f64_e32 v[26:27], v[112:113], v[230:231]
	v_add_f64 v[0:1], v[24:25], v[26:27]
	ds_read_b128 v[24:27], v236 offset:2000
	s_waitcnt vmcnt(2) lgkmcnt(0)
	v_mul_f64 v[144:145], v[24:25], v[244:245]
	s_waitcnt vmcnt(0)
	v_fmac_f64_e32 v[144:145], v[26:27], v[246:247]
	v_add_f64 v[0:1], v[0:1], v[144:145]
	v_add_f64 v[144:145], v[234:235], 0
	;; [unrolled: 1-line block ×23, first 2 shown]
	buffer_load_dword v254, off, s[0:3], 0 offset:80
	buffer_load_dword v255, off, s[0:3], 0 offset:84
	;; [unrolled: 1-line block ×4, first 2 shown]
	v_add_f64 v[4:5], v[4:5], v[28:29]
	v_add_f64 v[4:5], v[4:5], v[138:139]
	;; [unrolled: 1-line block ×4, first 2 shown]
	v_accvgpr_read_b32 v6, a190
	v_accvgpr_read_b32 v4, a194
	v_accvgpr_read_b32 v8, a192
	v_accvgpr_read_b32 v9, a193
	v_accvgpr_read_b32 v5, a195
	v_add_f64 v[234:235], v[2:3], v[48:49]
	v_mul_f64 v[4:5], v[8:9], v[4:5]
	v_accvgpr_read_b32 v8, a196
	v_add_f64 v[2:3], v[234:235], v[20:21]
	v_accvgpr_read_b32 v7, a191
	v_accvgpr_read_b32 v9, a197
	v_add_f64 v[2:3], v[2:3], v[114:115]
	v_fma_f64 v[4:5], v[6:7], v[8:9], -v[4:5]
	v_add_f64 v[2:3], v[2:3], v[4:5]
	v_accvgpr_read_b32 v6, a198
	v_accvgpr_read_b32 v4, a202
	;; [unrolled: 1-line block ×5, first 2 shown]
	v_mul_f64 v[4:5], v[8:9], v[4:5]
	v_accvgpr_read_b32 v8, a204
	v_accvgpr_read_b32 v7, a199
	v_accvgpr_read_b32 v9, a205
	v_fma_f64 v[4:5], v[6:7], v[8:9], -v[4:5]
	v_add_f64 v[2:3], v[2:3], v[4:5]
	v_accvgpr_read_b32 v4, a210
	v_accvgpr_read_b32 v6, a216
	;; [unrolled: 1-line block ×6, first 2 shown]
	v_mul_f64 v[4:5], v[8:9], v[4:5]
	v_fma_f64 v[4:5], v[6:7], v[140:141], -v[4:5]
	v_add_f64 v[2:3], v[2:3], v[4:5]
	v_accvgpr_read_b32 v6, a206
	v_accvgpr_read_b32 v4, a212
	;; [unrolled: 1-line block ×5, first 2 shown]
	v_mul_f64 v[4:5], v[8:9], v[4:5]
	v_accvgpr_read_b32 v8, a214
	v_accvgpr_read_b32 v7, a207
	v_accvgpr_read_b32 v9, a215
	v_fma_f64 v[4:5], v[6:7], v[8:9], -v[4:5]
	v_add_f64 v[2:3], v[2:3], v[4:5]
	v_accvgpr_read_b32 v4, a220
	v_accvgpr_read_b32 v5, a221
	;; [unrolled: 1-line block ×3, first 2 shown]
	v_mul_f64 v[4:5], v[148:149], v[4:5]
	v_accvgpr_read_b32 v7, a223
	v_fma_f64 v[4:5], v[146:147], v[6:7], -v[4:5]
	v_add_f64 v[2:3], v[2:3], v[4:5]
	v_accvgpr_read_b32 v4, a224
	v_accvgpr_read_b32 v5, a225
	;; [unrolled: 1-line block ×3, first 2 shown]
	v_mul_f64 v[4:5], v[130:131], v[4:5]
	v_accvgpr_read_b32 v7, a229
	v_fma_f64 v[4:5], v[128:129], v[6:7], -v[4:5]
	v_add_f64 v[2:3], v[2:3], v[4:5]
	v_accvgpr_read_b32 v4, a226
	v_accvgpr_read_b32 v5, a227
	v_mul_f64 v[4:5], v[126:127], v[4:5]
	v_fma_f64 v[4:5], v[124:125], v[142:143], -v[4:5]
	v_add_f64 v[2:3], v[2:3], v[4:5]
	v_mul_f64 v[4:5], v[36:37], v[134:135]
	v_fma_f64 v[4:5], v[34:35], v[132:133], -v[4:5]
	v_add_f64 v[2:3], v[2:3], v[4:5]
	v_mul_f64 v[4:5], v[122:123], v[156:157]
	v_fma_f64 v[4:5], v[120:121], v[158:159], -v[4:5]
	v_add_f64 v[2:3], v[2:3], v[4:5]
	v_mul_f64 v[4:5], v[40:41], v[152:153]
	v_fma_f64 v[4:5], v[38:39], v[160:161], -v[4:5]
	v_add_f64 v[2:3], v[2:3], v[4:5]
	v_mul_f64 v[4:5], v[44:45], v[168:169]
	v_fma_f64 v[4:5], v[42:43], v[170:171], -v[4:5]
	v_add_f64 v[2:3], v[2:3], v[4:5]
	v_mul_f64 v[4:5], v[32:33], v[154:155]
	v_fma_f64 v[4:5], v[30:31], v[166:167], -v[4:5]
	v_add_f64 v[2:3], v[2:3], v[4:5]
	v_mul_f64 v[4:5], v[52:53], v[172:173]
	v_fma_f64 v[4:5], v[50:51], v[174:175], -v[4:5]
	v_add_f64 v[2:3], v[2:3], v[4:5]
	v_mul_f64 v[4:5], v[56:57], v[162:163]
	v_fma_f64 v[4:5], v[54:55], v[242:243], -v[4:5]
	v_add_f64 v[2:3], v[2:3], v[4:5]
	v_mul_f64 v[4:5], v[60:61], v[176:177]
	v_fma_f64 v[4:5], v[58:59], v[178:179], -v[4:5]
	v_add_f64 v[2:3], v[2:3], v[4:5]
	v_mul_f64 v[4:5], v[64:65], v[182:183]
	v_fma_f64 v[4:5], v[62:63], v[184:185], -v[4:5]
	v_add_f64 v[2:3], v[2:3], v[4:5]
	v_mul_f64 v[4:5], v[68:69], v[186:187]
	v_fma_f64 v[4:5], v[66:67], v[192:193], -v[4:5]
	v_add_f64 v[2:3], v[2:3], v[4:5]
	v_mul_f64 v[4:5], v[72:73], v[180:181]
	v_fma_f64 v[4:5], v[70:71], v[190:191], -v[4:5]
	v_add_f64 v[2:3], v[2:3], v[4:5]
	v_mul_f64 v[4:5], v[76:77], v[188:189]
	v_fma_f64 v[4:5], v[74:75], v[194:195], -v[4:5]
	v_add_f64 v[2:3], v[2:3], v[4:5]
	v_mul_f64 v[4:5], v[84:85], v[198:199]
	v_fma_f64 v[4:5], v[82:83], v[200:201], -v[4:5]
	v_add_f64 v[2:3], v[2:3], v[4:5]
	v_mul_f64 v[4:5], v[80:81], v[204:205]
	v_fma_f64 v[4:5], v[78:79], v[206:207], -v[4:5]
	v_add_f64 v[2:3], v[2:3], v[4:5]
	v_mul_f64 v[4:5], v[88:89], v[196:197]
	v_fma_f64 v[4:5], v[86:87], v[202:203], -v[4:5]
	v_add_f64 v[2:3], v[2:3], v[4:5]
	v_mul_f64 v[4:5], v[92:93], v[208:209]
	v_fma_f64 v[4:5], v[90:91], v[210:211], -v[4:5]
	v_add_f64 v[2:3], v[2:3], v[4:5]
	v_mul_f64 v[4:5], v[96:97], v[212:213]
	v_fma_f64 v[4:5], v[94:95], v[214:215], -v[4:5]
	v_add_f64 v[2:3], v[2:3], v[4:5]
	v_mul_f64 v[4:5], v[100:101], v[216:217]
	v_fma_f64 v[4:5], v[98:99], v[218:219], -v[4:5]
	v_add_f64 v[2:3], v[2:3], v[4:5]
	v_mul_f64 v[4:5], v[104:105], v[220:221]
	v_fma_f64 v[4:5], v[102:103], v[222:223], -v[4:5]
	v_add_f64 v[2:3], v[2:3], v[4:5]
	v_mul_f64 v[4:5], v[108:109], v[224:225]
	v_fma_f64 v[4:5], v[106:107], v[226:227], -v[4:5]
	v_add_f64 v[2:3], v[2:3], v[4:5]
	v_mul_f64 v[4:5], v[112:113], v[228:229]
	v_fma_f64 v[4:5], v[110:111], v[230:231], -v[4:5]
	v_add_f64 v[2:3], v[2:3], v[4:5]
	v_mul_f64 v[4:5], v[26:27], v[244:245]
	v_fma_f64 v[4:5], v[24:25], v[246:247], -v[4:5]
	v_add_f64 v[2:3], v[2:3], v[4:5]
	s_waitcnt vmcnt(2)
	v_add_f64 v[2:3], v[254:255], -v[2:3]
	s_waitcnt vmcnt(0)
	v_add_f64 v[0:1], v[250:251], -v[0:1]
	buffer_store_dword v3, off, s[0:3], 0 offset:84
	buffer_store_dword v2, off, s[0:3], 0 offset:80
	;; [unrolled: 1-line block ×4, first 2 shown]
	v_accvgpr_read_b32 v0, a188
	v_cmp_lt_u32_e32 vcc, 3, v0
	s_and_saveexec_b64 s[4:5], vcc
	s_cbranch_execz .LBB126_397
; %bb.396:
	v_accvgpr_read_b32 v0, a185
	buffer_load_dword v2, v0, s[0:3], 0 offen
	buffer_load_dword v3, v0, s[0:3], 0 offen offset:4
	buffer_load_dword v4, v0, s[0:3], 0 offen offset:8
	;; [unrolled: 1-line block ×3, first 2 shown]
	v_mov_b32_e32 v0, 0
	v_accvgpr_read_b32 v1, a189
	buffer_store_dword v0, off, s[0:3], 0 offset:64
	buffer_store_dword v0, off, s[0:3], 0 offset:68
	;; [unrolled: 1-line block ×4, first 2 shown]
	s_waitcnt vmcnt(4)
	ds_write_b128 v1, v[2:5]
.LBB126_397:
	s_or_b64 exec, exec, s[4:5]
	s_waitcnt lgkmcnt(0)
	; wave barrier
	s_waitcnt lgkmcnt(0)
	buffer_load_dword v0, off, s[0:3], 0 offset:80
	buffer_load_dword v1, off, s[0:3], 0 offset:84
	;; [unrolled: 1-line block ×54, first 2 shown]
	v_mov_b32_e32 v240, 0
	ds_read_b128 v[116:119], v240 offset:1072
	ds_read_b128 v[140:143], v240 offset:1088
	;; [unrolled: 1-line block ×9, first 2 shown]
	s_waitcnt vmcnt(50) lgkmcnt(8)
	v_mul_f64 v[2:3], v[116:117], v[10:11]
	v_fmac_f64_e32 v[2:3], v[118:119], v[0:1]
	v_add_f64 v[2:3], v[2:3], 0
	v_mul_f64 v[10:11], v[118:119], v[10:11]
	s_waitcnt vmcnt(46) lgkmcnt(7)
	v_mul_f64 v[4:5], v[140:141], v[6:7]
	v_fmac_f64_e32 v[4:5], v[142:143], v[20:21]
	s_waitcnt vmcnt(44) lgkmcnt(6)
	v_mul_f64 v[46:47], v[144:145], v[252:253]
	v_add_f64 v[2:3], v[2:3], v[4:5]
	s_waitcnt vmcnt(42) lgkmcnt(4)
	v_mul_f64 v[56:57], v[152:153], v[242:243]
	v_fma_f64 v[0:1], v[116:117], v[0:1], -v[10:11]
	s_waitcnt vmcnt(40)
	v_fmac_f64_e32 v[56:57], v[154:155], v[8:9]
	v_accvgpr_write_b32 a231, v1
	s_waitcnt vmcnt(38)
	v_mul_f64 v[50:51], v[148:149], v[78:79]
	v_accvgpr_write_b32 a230, v0
	s_waitcnt vmcnt(36) lgkmcnt(2)
	v_mul_f64 v[60:61], v[160:161], v[136:137]
	s_waitcnt vmcnt(34)
	v_fmac_f64_e32 v[60:61], v[162:163], v[18:19]
	s_waitcnt vmcnt(32)
	v_mul_f64 v[58:59], v[156:157], v[28:29]
	v_mul_f64 v[10:11], v[158:159], v[28:29]
	s_waitcnt vmcnt(30) lgkmcnt(1)
	v_mul_f64 v[80:81], v[164:165], v[22:23]
	s_waitcnt vmcnt(28)
	v_fmac_f64_e32 v[46:47], v[146:147], v[138:139]
	v_add_f64 v[2:3], v[2:3], v[46:47]
	s_waitcnt vmcnt(26)
	v_fmac_f64_e32 v[50:51], v[150:151], v[122:123]
	v_add_f64 v[2:3], v[2:3], v[50:51]
	;; [unrolled: 3-line block ×3, first 2 shown]
	v_add_f64 v[2:3], v[2:3], v[58:59]
	v_add_f64 v[2:3], v[2:3], v[60:61]
	buffer_load_dword v111, off, s[0:3], 0 offset:308
	buffer_load_dword v110, off, s[0:3], 0 offset:304
	;; [unrolled: 1-line block ×62, first 2 shown]
	ds_read_b128 v[172:175], v240 offset:1216
	ds_read_b128 v[176:179], v240 offset:1232
	s_waitcnt vmcnt(62)
	v_fmac_f64_e32 v[80:81], v[166:167], v[26:27]
	v_add_f64 v[2:3], v[2:3], v[80:81]
	s_waitcnt lgkmcnt(2)
	v_mul_f64 v[80:81], v[168:169], v[234:235]
	v_fmac_f64_e32 v[80:81], v[170:171], v[36:37]
	ds_read_b128 v[180:183], v240 offset:1248
	ds_read_b128 v[184:187], v240 offset:1264
	v_add_f64 v[2:3], v[2:3], v[80:81]
	s_waitcnt lgkmcnt(3)
	v_mul_f64 v[80:81], v[172:173], v[42:43]
	v_fmac_f64_e32 v[80:81], v[174:175], v[44:45]
	v_add_f64 v[2:3], v[2:3], v[80:81]
	s_waitcnt lgkmcnt(2)
	v_mul_f64 v[80:81], v[176:177], v[38:39]
	v_fmac_f64_e32 v[80:81], v[178:179], v[40:41]
	ds_read_b128 v[188:191], v240 offset:1280
	ds_read_b128 v[192:195], v240 offset:1296
	v_add_f64 v[2:3], v[2:3], v[80:81]
	s_waitcnt lgkmcnt(3)
	v_mul_f64 v[80:81], v[180:181], v[86:87]
	v_fmac_f64_e32 v[80:81], v[182:183], v[88:89]
	v_add_f64 v[2:3], v[2:3], v[80:81]
	s_waitcnt lgkmcnt(2)
	v_mul_f64 v[80:81], v[184:185], v[52:53]
	v_fmac_f64_e32 v[80:81], v[186:187], v[54:55]
	ds_read_b128 v[196:199], v240 offset:1312
	ds_read_b128 v[200:203], v240 offset:1328
	v_add_f64 v[2:3], v[2:3], v[80:81]
	s_waitcnt vmcnt(58) lgkmcnt(3)
	v_mul_f64 v[80:81], v[188:189], v[30:31]
	s_waitcnt vmcnt(56)
	v_fmac_f64_e32 v[80:81], v[190:191], v[32:33]
	v_add_f64 v[2:3], v[2:3], v[80:81]
	s_waitcnt lgkmcnt(2)
	v_mul_f64 v[80:81], v[192:193], v[48:49]
	v_fmac_f64_e32 v[80:81], v[194:195], v[110:111]
	ds_read_b128 v[204:207], v240 offset:1344
	ds_read_b128 v[208:211], v240 offset:1360
	v_add_f64 v[2:3], v[2:3], v[80:81]
	s_waitcnt vmcnt(50) lgkmcnt(3)
	v_mul_f64 v[80:81], v[196:197], v[34:35]
	s_waitcnt vmcnt(48)
	;; [unrolled: 11-line block ×3, first 2 shown]
	v_fmac_f64_e32 v[80:81], v[206:207], v[112:113]
	v_add_f64 v[2:3], v[2:3], v[80:81]
	s_waitcnt lgkmcnt(2)
	v_mul_f64 v[80:81], v[208:209], v[92:93]
	v_fmac_f64_e32 v[80:81], v[210:211], v[96:97]
	v_add_f64 v[2:3], v[2:3], v[80:81]
	s_waitcnt vmcnt(34) lgkmcnt(1)
	v_mul_f64 v[80:81], v[212:213], v[102:103]
	s_waitcnt vmcnt(32)
	v_fmac_f64_e32 v[80:81], v[214:215], v[106:107]
	v_add_f64 v[2:3], v[2:3], v[80:81]
	s_waitcnt lgkmcnt(0)
	v_mul_f64 v[80:81], v[216:217], v[90:91]
	v_fmac_f64_e32 v[80:81], v[218:219], v[84:85]
	buffer_load_dword v15, off, s[0:3], 0 offset:572
	buffer_load_dword v101, off, s[0:3], 0 offset:556
	;; [unrolled: 1-line block ×8, first 2 shown]
	ds_read_b128 v[220:223], v240 offset:1408
	v_add_f64 v[2:3], v[2:3], v[80:81]
	buffer_load_dword v81, off, s[0:3], 0 offset:588
	buffer_load_dword v80, off, s[0:3], 0 offset:584
	v_mul_f64 v[30:31], v[190:191], v[30:31]
	s_waitcnt vmcnt(4)
	v_accvgpr_write_b32 a195, v15
	v_accvgpr_write_b32 a194, v14
	s_waitcnt vmcnt(2)
	v_accvgpr_write_b32 a197, v135
	v_accvgpr_write_b32 a196, v134
	s_waitcnt vmcnt(0)
	v_pk_mov_b32 v[126:127], v[80:81], v[80:81] op_sel:[0,1]
	buffer_load_dword v81, off, s[0:3], 0 offset:580
	buffer_load_dword v80, off, s[0:3], 0 offset:576
	ds_read_b128 v[224:227], v240 offset:1424
	v_accvgpr_write_b32 a203, v127
	v_accvgpr_write_b32 a202, v126
	s_waitcnt vmcnt(0)
	v_pk_mov_b32 v[130:131], v[80:81], v[80:81] op_sel:[0,1]
	buffer_load_dword v81, off, s[0:3], 0 offset:604
	buffer_load_dword v80, off, s[0:3], 0 offset:600
	;; [unrolled: 1-line block ×8, first 2 shown]
	ds_read_b128 v[228:231], v240 offset:1440
	buffer_load_dword v4, off, s[0:3], 0 offset:632
	buffer_load_dword v128, off, s[0:3], 0 offset:624
	;; [unrolled: 1-line block ×4, first 2 shown]
	ds_read_b128 v[244:247], v240 offset:1456
	ds_read_b128 v[248:251], v240 offset:1472
	v_accvgpr_write_b32 a205, v131
	v_accvgpr_write_b32 a204, v130
	s_waitcnt lgkmcnt(1)
	v_mul_f64 v[0:1], v[244:245], v[58:59]
	v_fmac_f64_e32 v[0:1], v[246:247], v[60:61]
	v_mul_f64 v[58:59], v[246:247], v[58:59]
	s_waitcnt vmcnt(8)
	v_accvgpr_write_b32 a219, v17
	v_accvgpr_write_b32 a218, v16
	s_waitcnt vmcnt(6)
	v_accvgpr_write_b32 a217, v13
	v_pk_mov_b32 v[132:133], v[80:81], v[80:81] op_sel:[0,1]
	v_mul_f64 v[80:81], v[220:221], v[68:69]
	v_fmac_f64_e32 v[80:81], v[222:223], v[82:83]
	v_add_f64 v[2:3], v[2:3], v[80:81]
	v_mul_f64 v[80:81], v[224:225], v[46:47]
	v_fmac_f64_e32 v[80:81], v[226:227], v[50:51]
	v_add_f64 v[2:3], v[2:3], v[80:81]
	;; [unrolled: 3-line block ×3, first 2 shown]
	v_add_f64 v[0:1], v[2:3], v[0:1]
	v_mul_f64 v[2:3], v[142:143], v[6:7]
	v_fma_f64 v[2:3], v[140:141], v[20:21], -v[2:3]
	buffer_load_dword v21, off, s[0:3], 0 offset:668
	buffer_load_dword v119, off, s[0:3], 0 offset:652
	;; [unrolled: 1-line block ×8, first 2 shown]
	v_accvgpr_write_b32 a233, v3
	v_accvgpr_write_b32 a232, v2
	v_mul_f64 v[2:3], v[146:147], v[252:253]
	ds_read_b128 v[252:255], v240 offset:1488
	v_mul_f64 v[6:7], v[150:151], v[78:79]
	ds_read_b128 v[78:81], v240 offset:1504
	v_fma_f64 v[144:145], v[144:145], v[138:139], -v[2:3]
	s_waitcnt lgkmcnt(2)
	v_mul_f64 v[2:3], v[248:249], v[62:63]
	v_fmac_f64_e32 v[2:3], v[250:251], v[64:65]
	v_add_f64 v[0:1], v[0:1], v[2:3]
	s_waitcnt lgkmcnt(1)
	v_mul_f64 v[2:3], v[252:253], v[70:71]
	v_fmac_f64_e32 v[2:3], v[254:255], v[72:73]
	v_add_f64 v[0:1], v[0:1], v[2:3]
	s_waitcnt lgkmcnt(0)
	v_mul_f64 v[2:3], v[78:79], v[74:75]
	v_fmac_f64_e32 v[2:3], v[80:81], v[76:77]
	ds_read_b128 v[140:143], v240 offset:1520
	v_fma_f64 v[138:139], v[148:149], v[122:123], -v[6:7]
	v_add_f64 v[6:7], v[0:1], v[2:3]
	v_mul_f64 v[0:1], v[154:155], v[242:243]
	v_fma_f64 v[150:151], v[152:153], v[8:9], -v[0:1]
	ds_read_b128 v[0:3], v240 offset:1536
	v_fma_f64 v[242:243], v[156:157], v[120:121], -v[10:11]
	ds_read_b128 v[120:123], v240 offset:1552
	ds_read_b128 v[146:149], v240 offset:1568
	s_waitcnt lgkmcnt(3)
	v_mul_f64 v[8:9], v[140:141], v[232:233]
	v_fmac_f64_e32 v[8:9], v[142:143], v[24:25]
	v_add_f64 v[6:7], v[6:7], v[8:9]
	s_waitcnt lgkmcnt(2)
	v_mul_f64 v[8:9], v[0:1], v[100:101]
	v_fmac_f64_e32 v[8:9], v[2:3], v[104:105]
	v_add_f64 v[6:7], v[6:7], v[8:9]
	s_waitcnt lgkmcnt(1)
	v_mul_f64 v[8:9], v[120:121], v[14:15]
	v_fmac_f64_e32 v[8:9], v[122:123], v[134:135]
	v_mul_f64 v[10:11], v[162:163], v[136:137]
	ds_read_b128 v[134:137], v240 offset:1584
	ds_read_b128 v[152:155], v240 offset:1600
	v_accvgpr_write_b32 a193, v123
	v_accvgpr_write_b32 a192, v122
	;; [unrolled: 1-line block ×4, first 2 shown]
	v_fma_f64 v[122:123], v[160:161], v[18:19], -v[10:11]
	s_waitcnt lgkmcnt(1)
	v_mul_f64 v[18:19], v[134:135], v[132:133]
	v_accvgpr_write_b32 a209, v137
	v_fmac_f64_e32 v[18:19], v[136:137], v[16:17]
	v_accvgpr_write_b32 a208, v136
	v_accvgpr_write_b32 a207, v135
	;; [unrolled: 1-line block ×3, first 2 shown]
	ds_read_b128 v[134:137], v240 offset:1616
	v_add_f64 v[28:29], v[6:7], v[8:9]
	v_mul_f64 v[8:9], v[146:147], v[126:127]
	v_fmac_f64_e32 v[8:9], v[148:149], v[130:131]
	v_accvgpr_write_b32 a201, v149
	v_mul_f64 v[14:15], v[166:167], v[22:23]
	v_add_f64 v[8:9], v[28:29], v[8:9]
	v_accvgpr_write_b32 a200, v148
	v_accvgpr_write_b32 a199, v147
	;; [unrolled: 1-line block ×3, first 2 shown]
	v_fma_f64 v[148:149], v[164:165], v[26:27], -v[14:15]
	ds_read_b128 v[14:17], v240 offset:1632
	v_add_f64 v[8:9], v[8:9], v[18:19]
	s_waitcnt lgkmcnt(2)
	v_mul_f64 v[18:19], v[152:153], v[12:13]
	v_accvgpr_write_b32 a213, v155
	s_waitcnt vmcnt(12)
	v_accvgpr_write_b32 a221, v125
	s_waitcnt vmcnt(9) lgkmcnt(1)
	v_mul_f64 v[26:27], v[134:135], v[4:5]
	v_fmac_f64_e32 v[18:19], v[154:155], v[124:125]
	v_accvgpr_write_b32 a212, v154
	v_accvgpr_write_b32 a211, v153
	;; [unrolled: 1-line block ×4, first 2 shown]
	s_waitcnt vmcnt(8)
	v_fmac_f64_e32 v[26:27], v[136:137], v[128:129]
	v_pk_mov_b32 v[146:147], v[128:129], v[128:129] op_sel:[0,1]
	buffer_load_dword v129, off, s[0:3], 0 offset:700
	buffer_load_dword v128, off, s[0:3], 0 offset:696
	;; [unrolled: 1-line block ×13, first 2 shown]
	v_accvgpr_write_b32 a215, v133
	v_accvgpr_write_b32 a214, v132
	ds_read_b128 v[130:133], v240 offset:1648
	buffer_load_dword v162, off, s[0:3], 0 offset:720
	buffer_load_dword v153, off, s[0:3], 0 offset:732
	;; [unrolled: 1-line block ×3, first 2 shown]
	v_mul_f64 v[22:23], v[170:171], v[234:235]
	v_fma_f64 v[234:235], v[168:169], v[36:37], -v[22:23]
	buffer_load_dword v165, off, s[0:3], 0 offset:764
	buffer_load_dword v167, off, s[0:3], 0 offset:748
	;; [unrolled: 1-line block ×8, first 2 shown]
	v_add_f64 v[8:9], v[8:9], v[18:19]
	v_add_f64 v[36:37], v[8:9], v[26:27]
	v_mul_f64 v[26:27], v[174:175], v[42:43]
	v_accvgpr_write_b32 a216, v12
	v_fma_f64 v[116:117], v[172:173], v[44:45], -v[26:27]
	v_mul_f64 v[12:13], v[178:179], v[38:39]
	v_mul_f64 v[26:27], v[182:183], v[86:87]
	v_fma_f64 v[18:19], v[176:177], v[40:41], -v[12:13]
	v_fma_f64 v[176:177], v[180:181], v[88:89], -v[26:27]
	;; [unrolled: 1-line block ×3, first 2 shown]
	ds_read_b128 v[30:33], v240 offset:1664
	buffer_load_dword v173, off, s[0:3], 0 offset:780
	buffer_load_dword v172, off, s[0:3], 0 offset:776
	;; [unrolled: 1-line block ×4, first 2 shown]
	s_waitcnt vmcnt(33) lgkmcnt(2)
	v_mul_f64 v[38:39], v[14:15], v[118:119]
	v_accvgpr_write_b32 a227, v17
	s_waitcnt vmcnt(31)
	v_fmac_f64_e32 v[38:39], v[16:17], v[236:237]
	v_accvgpr_write_b32 a226, v16
	v_accvgpr_write_b32 a225, v15
	;; [unrolled: 1-line block ×3, first 2 shown]
	v_mul_f64 v[16:17], v[198:199], v[34:35]
	v_fma_f64 v[16:17], v[196:197], v[114:115], -v[16:17]
	buffer_load_dword v115, off, s[0:3], 0 offset:796
	buffer_load_dword v114, off, s[0:3], 0 offset:792
	;; [unrolled: 1-line block ×8, first 2 shown]
	v_add_f64 v[36:37], v[36:37], v[38:39]
	s_waitcnt vmcnt(38) lgkmcnt(1)
	v_mul_f64 v[38:39], v[130:131], v[20:21]
	s_waitcnt vmcnt(36)
	v_fmac_f64_e32 v[38:39], v[132:133], v[238:239]
	v_add_f64 v[42:43], v[36:37], v[38:39]
	v_mul_f64 v[36:37], v[186:187], v[52:53]
	v_fma_f64 v[86:87], v[184:185], v[54:55], -v[36:37]
	buffer_load_dword v184, off, s[0:3], 0 offset:824
	buffer_load_dword v186, off, s[0:3], 0 offset:816
	;; [unrolled: 1-line block ×8, first 2 shown]
	v_mul_f64 v[36:37], v[194:195], v[48:49]
	buffer_load_dword v195, off, s[0:3], 0 offset:860
	buffer_load_dword v194, off, s[0:3], 0 offset:856
	;; [unrolled: 1-line block ×4, first 2 shown]
	v_mul_f64 v[34:35], v[202:203], v[94:95]
	v_mul_f64 v[22:23], v[206:207], v[108:109]
	v_fma_f64 v[14:15], v[192:193], v[110:111], -v[36:37]
	v_fma_f64 v[12:13], v[200:201], v[98:99], -v[34:35]
	;; [unrolled: 1-line block ×3, first 2 shown]
	buffer_load_dword v193, off, s[0:3], 0 offset:892
	buffer_load_dword v199, off, s[0:3], 0 offset:876
	;; [unrolled: 1-line block ×12, first 2 shown]
	v_mul_f64 v[34:35], v[210:211], v[92:93]
	v_fma_f64 v[208:209], v[208:209], v[96:97], -v[34:35]
	v_mul_f64 v[34:35], v[214:215], v[102:103]
	v_fma_f64 v[210:211], v[212:213], v[106:107], -v[34:35]
	;; [unrolled: 2-line block ×3, first 2 shown]
	ds_read_b128 v[34:37], v240 offset:1680
	v_mul_f64 v[38:39], v[222:223], v[68:69]
	v_fma_f64 v[126:127], v[220:221], v[82:83], -v[38:39]
	ds_read_b128 v[38:41], v240 offset:1696
	v_mul_f64 v[46:47], v[226:227], v[46:47]
	v_fma_f64 v[8:9], v[224:225], v[50:51], -v[46:47]
	ds_read_b128 v[46:49], v240 offset:1728
	v_mul_f64 v[50:51], v[230:231], v[56:57]
	v_accvgpr_write_b32 a229, v21
	v_fma_f64 v[212:213], v[228:229], v[66:67], -v[50:51]
	ds_read_b128 v[50:53], v240 offset:1744
	v_accvgpr_write_b32 a228, v20
	v_fma_f64 v[6:7], v[244:245], v[60:61], -v[58:59]
	ds_read_b128 v[58:61], v240 offset:1776
	v_mul_f64 v[62:63], v[250:251], v[62:63]
	v_fma_f64 v[120:121], v[248:249], v[64:65], -v[62:63]
	ds_read_b128 v[62:65], v240 offset:1792
	v_mul_f64 v[70:71], v[254:255], v[70:71]
	v_fma_f64 v[250:251], v[252:253], v[72:73], -v[70:71]
	ds_read_b128 v[70:73], v240 offset:1824
	v_mul_f64 v[74:75], v[80:81], v[74:75]
	v_fma_f64 v[252:253], v[78:79], v[76:77], -v[74:75]
	ds_read_b128 v[74:77], v240 offset:1840
	v_accvgpr_write_b32 a223, v5
	s_waitcnt vmcnt(54) lgkmcnt(8)
	v_mul_f64 v[44:45], v[30:31], v[154:155]
	v_accvgpr_write_b32 a222, v4
	s_waitcnt vmcnt(52)
	v_fmac_f64_e32 v[44:45], v[32:33], v[158:159]
	v_add_f64 v[42:43], v[42:43], v[44:45]
	s_waitcnt lgkmcnt(7)
	v_mul_f64 v[44:45], v[34:35], v[128:129]
	v_fmac_f64_e32 v[44:45], v[36:37], v[124:125]
	v_add_f64 v[42:43], v[42:43], v[44:45]
	s_waitcnt vmcnt(49) lgkmcnt(6)
	v_mul_f64 v[44:45], v[38:39], v[156:157]
	s_waitcnt vmcnt(47)
	v_fmac_f64_e32 v[44:45], v[40:41], v[160:161]
	v_add_f64 v[54:55], v[42:43], v[44:45]
	ds_read_b128 v[42:45], v240 offset:1712
	buffer_load_dword v254, off, s[0:3], 0 offset:920
	v_mul_f64 v[2:3], v[2:3], v[100:101]
	v_fma_f64 v[248:249], v[0:1], v[104:105], -v[2:3]
	s_waitcnt vmcnt(46) lgkmcnt(0)
	v_mul_f64 v[20:21], v[42:43], v[152:153]
	s_waitcnt vmcnt(45)
	v_fmac_f64_e32 v[20:21], v[44:45], v[162:163]
	v_add_f64 v[20:21], v[54:55], v[20:21]
	s_waitcnt vmcnt(42)
	v_mul_f64 v[54:55], v[46:47], v[166:167]
	s_waitcnt vmcnt(40)
	v_fmac_f64_e32 v[54:55], v[48:49], v[170:171]
	v_add_f64 v[20:21], v[20:21], v[54:55]
	s_waitcnt vmcnt(39)
	v_mul_f64 v[54:55], v[50:51], v[164:165]
	s_waitcnt vmcnt(37)
	v_fmac_f64_e32 v[54:55], v[52:53], v[168:169]
	v_add_f64 v[20:21], v[20:21], v[54:55]
	ds_read_b128 v[54:57], v240 offset:1760
	s_waitcnt vmcnt(35) lgkmcnt(0)
	v_mul_f64 v[66:67], v[54:55], v[172:173]
	s_waitcnt vmcnt(33)
	v_fmac_f64_e32 v[66:67], v[56:57], v[174:175]
	v_add_f64 v[20:21], v[20:21], v[66:67]
	s_waitcnt vmcnt(31)
	v_mul_f64 v[66:67], v[58:59], v[114:115]
	s_waitcnt vmcnt(29)
	v_fmac_f64_e32 v[66:67], v[60:61], v[180:181]
	v_add_f64 v[20:21], v[20:21], v[66:67]
	s_waitcnt vmcnt(27)
	v_mul_f64 v[66:67], v[62:63], v[178:179]
	s_waitcnt vmcnt(25)
	v_fmac_f64_e32 v[66:67], v[64:65], v[182:183]
	v_add_f64 v[20:21], v[20:21], v[66:67]
	ds_read_b128 v[66:69], v240 offset:1808
	s_waitcnt vmcnt(19)
	v_mul_f64 v[78:79], v[70:71], v[188:189]
	s_waitcnt vmcnt(17)
	v_fmac_f64_e32 v[78:79], v[72:73], v[190:191]
	s_waitcnt lgkmcnt(0)
	v_mul_f64 v[82:83], v[66:67], v[184:185]
	v_fmac_f64_e32 v[82:83], v[68:69], v[186:187]
	v_add_f64 v[20:21], v[20:21], v[82:83]
	v_add_f64 v[20:21], v[20:21], v[78:79]
	v_mul_f64 v[78:79], v[142:143], v[232:233]
	v_fma_f64 v[4:5], v[140:141], v[24:25], -v[78:79]
	ds_read_b128 v[78:81], v240 offset:1856
	s_waitcnt vmcnt(15)
	v_mul_f64 v[26:27], v[74:75], v[194:195]
	s_waitcnt vmcnt(13)
	v_fmac_f64_e32 v[26:27], v[76:77], v[196:197]
	v_add_f64 v[20:21], v[20:21], v[26:27]
	ds_read_b128 v[82:85], v240 offset:1872
	ds_read_b128 v[140:143], v240 offset:1888
	s_waitcnt vmcnt(10) lgkmcnt(2)
	v_mul_f64 v[0:1], v[78:79], v[198:199]
	buffer_load_dword v26, off, s[0:3], 0 offset:912
	buffer_load_dword v255, off, s[0:3], 0 offset:924
	;; [unrolled: 1-line block ×3, first 2 shown]
	s_waitcnt vmcnt(11)
	v_fmac_f64_e32 v[0:1], v[80:81], v[204:205]
	v_add_f64 v[0:1], v[20:21], v[0:1]
	ds_read_b128 v[90:93], v240 offset:1904
	buffer_load_dword v21, off, s[0:3], 0 offset:940
	buffer_load_dword v20, off, s[0:3], 0 offset:936
	buffer_load_dword v215, off, s[0:3], 0 offset:932
	buffer_load_dword v214, off, s[0:3], 0 offset:928
	ds_read_b128 v[94:97], v240 offset:1920
	buffer_load_dword v216, off, s[0:3], 0 offset:952
	buffer_load_dword v217, off, s[0:3], 0 offset:956
	buffer_load_dword v218, off, s[0:3], 0 offset:944
	buffer_load_dword v219, off, s[0:3], 0 offset:948
	;; [unrolled: 5-line block ×6, first 2 shown]
	s_waitcnt vmcnt(34) lgkmcnt(7)
	v_mul_f64 v[2:3], v[82:83], v[192:193]
	s_waitcnt vmcnt(32)
	v_fmac_f64_e32 v[2:3], v[84:85], v[202:203]
	v_add_f64 v[0:1], v[0:1], v[2:3]
	s_waitcnt vmcnt(30) lgkmcnt(6)
	v_mul_f64 v[2:3], v[140:141], v[200:201]
	s_waitcnt vmcnt(28)
	v_fmac_f64_e32 v[2:3], v[142:143], v[206:207]
	v_add_f64 v[0:1], v[0:1], v[2:3]
	v_accvgpr_read_b32 v24, a230
	v_accvgpr_read_b32 v25, a231
	s_waitcnt vmcnt(25) lgkmcnt(5)
	v_mul_f64 v[2:3], v[90:91], v[254:255]
	s_waitcnt vmcnt(24)
	v_fmac_f64_e32 v[2:3], v[92:93], v[26:27]
	v_add_f64 v[0:1], v[0:1], v[2:3]
	s_waitcnt vmcnt(22) lgkmcnt(4)
	v_mul_f64 v[2:3], v[94:95], v[20:21]
	s_waitcnt vmcnt(20)
	v_fmac_f64_e32 v[2:3], v[96:97], v[214:215]
	v_add_f64 v[0:1], v[0:1], v[2:3]
	;; [unrolled: 5-line block ×6, first 2 shown]
	ds_read_b128 v[0:3], v240 offset:2000
	s_waitcnt vmcnt(2) lgkmcnt(0)
	v_mul_f64 v[232:233], v[0:1], v[244:245]
	s_waitcnt vmcnt(0)
	v_fmac_f64_e32 v[232:233], v[2:3], v[246:247]
	v_add_f64 v[232:233], v[28:29], v[232:233]
	v_add_f64 v[28:29], v[24:25], 0
	v_accvgpr_read_b32 v24, a232
	v_accvgpr_read_b32 v25, a233
	v_add_f64 v[28:29], v[28:29], v[24:25]
	v_add_f64 v[28:29], v[28:29], v[144:145]
	;; [unrolled: 1-line block ×27, first 2 shown]
	buffer_load_dword v252, off, s[0:3], 0 offset:64
	buffer_load_dword v253, off, s[0:3], 0 offset:68
	;; [unrolled: 1-line block ×4, first 2 shown]
	v_add_f64 v[4:5], v[6:7], v[4:5]
	v_accvgpr_read_b32 v8, a190
	v_accvgpr_read_b32 v6, a194
	;; [unrolled: 1-line block ×5, first 2 shown]
	v_mul_f64 v[6:7], v[10:11], v[6:7]
	v_accvgpr_read_b32 v10, a196
	v_accvgpr_read_b32 v9, a191
	;; [unrolled: 1-line block ×3, first 2 shown]
	v_add_f64 v[4:5], v[4:5], v[248:249]
	v_fma_f64 v[6:7], v[8:9], v[10:11], -v[6:7]
	v_add_f64 v[4:5], v[4:5], v[6:7]
	v_accvgpr_read_b32 v8, a198
	v_accvgpr_read_b32 v6, a202
	v_accvgpr_read_b32 v10, a200
	v_accvgpr_read_b32 v11, a201
	v_accvgpr_read_b32 v7, a203
	v_mul_f64 v[6:7], v[10:11], v[6:7]
	v_accvgpr_read_b32 v10, a204
	v_accvgpr_read_b32 v9, a199
	v_accvgpr_read_b32 v11, a205
	v_fma_f64 v[6:7], v[8:9], v[10:11], -v[6:7]
	v_add_f64 v[4:5], v[4:5], v[6:7]
	v_accvgpr_read_b32 v8, a206
	v_accvgpr_read_b32 v6, a214
	v_accvgpr_read_b32 v10, a208
	v_accvgpr_read_b32 v11, a209
	v_accvgpr_read_b32 v7, a215
	v_mul_f64 v[6:7], v[10:11], v[6:7]
	v_accvgpr_read_b32 v10, a218
	v_accvgpr_read_b32 v9, a207
	v_accvgpr_read_b32 v11, a219
	;; [unrolled: 11-line block ×3, first 2 shown]
	v_fma_f64 v[6:7], v[8:9], v[10:11], -v[6:7]
	v_add_f64 v[4:5], v[4:5], v[6:7]
	v_accvgpr_read_b32 v6, a222
	v_accvgpr_read_b32 v7, a223
	v_mul_f64 v[6:7], v[136:137], v[6:7]
	v_accvgpr_read_b32 v8, a224
	v_fma_f64 v[6:7], v[134:135], v[146:147], -v[6:7]
	v_accvgpr_read_b32 v10, a226
	v_accvgpr_read_b32 v11, a227
	v_add_f64 v[4:5], v[4:5], v[6:7]
	v_accvgpr_read_b32 v9, a225
	v_mul_f64 v[6:7], v[10:11], v[118:119]
	v_fma_f64 v[6:7], v[8:9], v[236:237], -v[6:7]
	v_add_f64 v[4:5], v[4:5], v[6:7]
	v_accvgpr_read_b32 v6, a228
	v_accvgpr_read_b32 v7, a229
	v_mul_f64 v[6:7], v[132:133], v[6:7]
	v_fma_f64 v[6:7], v[130:131], v[238:239], -v[6:7]
	v_add_f64 v[4:5], v[4:5], v[6:7]
	v_mul_f64 v[6:7], v[32:33], v[154:155]
	v_fma_f64 v[6:7], v[30:31], v[158:159], -v[6:7]
	v_add_f64 v[4:5], v[4:5], v[6:7]
	v_mul_f64 v[6:7], v[36:37], v[128:129]
	v_fma_f64 v[6:7], v[34:35], v[124:125], -v[6:7]
	v_add_f64 v[4:5], v[4:5], v[6:7]
	v_mul_f64 v[6:7], v[40:41], v[156:157]
	v_fma_f64 v[6:7], v[38:39], v[160:161], -v[6:7]
	v_add_f64 v[4:5], v[4:5], v[6:7]
	v_mul_f64 v[6:7], v[44:45], v[152:153]
	v_fma_f64 v[6:7], v[42:43], v[162:163], -v[6:7]
	v_add_f64 v[4:5], v[4:5], v[6:7]
	v_mul_f64 v[6:7], v[48:49], v[166:167]
	v_fma_f64 v[6:7], v[46:47], v[170:171], -v[6:7]
	v_add_f64 v[4:5], v[4:5], v[6:7]
	v_mul_f64 v[6:7], v[52:53], v[164:165]
	v_fma_f64 v[6:7], v[50:51], v[168:169], -v[6:7]
	v_add_f64 v[4:5], v[4:5], v[6:7]
	v_mul_f64 v[6:7], v[56:57], v[172:173]
	v_fma_f64 v[6:7], v[54:55], v[174:175], -v[6:7]
	v_add_f64 v[4:5], v[4:5], v[6:7]
	v_mul_f64 v[6:7], v[60:61], v[114:115]
	v_fma_f64 v[6:7], v[58:59], v[180:181], -v[6:7]
	v_add_f64 v[4:5], v[4:5], v[6:7]
	v_mul_f64 v[6:7], v[64:65], v[178:179]
	v_fma_f64 v[6:7], v[62:63], v[182:183], -v[6:7]
	v_add_f64 v[4:5], v[4:5], v[6:7]
	v_mul_f64 v[6:7], v[68:69], v[184:185]
	v_fma_f64 v[6:7], v[66:67], v[186:187], -v[6:7]
	v_add_f64 v[4:5], v[4:5], v[6:7]
	v_mul_f64 v[6:7], v[72:73], v[188:189]
	v_fma_f64 v[6:7], v[70:71], v[190:191], -v[6:7]
	v_add_f64 v[4:5], v[4:5], v[6:7]
	v_mul_f64 v[6:7], v[76:77], v[194:195]
	v_fma_f64 v[6:7], v[74:75], v[196:197], -v[6:7]
	v_add_f64 v[4:5], v[4:5], v[6:7]
	v_mul_f64 v[6:7], v[80:81], v[198:199]
	v_fma_f64 v[6:7], v[78:79], v[204:205], -v[6:7]
	v_add_f64 v[4:5], v[4:5], v[6:7]
	v_mul_f64 v[6:7], v[84:85], v[192:193]
	v_fma_f64 v[6:7], v[82:83], v[202:203], -v[6:7]
	v_add_f64 v[4:5], v[4:5], v[6:7]
	v_mul_f64 v[6:7], v[142:143], v[200:201]
	v_fma_f64 v[6:7], v[140:141], v[206:207], -v[6:7]
	v_add_f64 v[4:5], v[4:5], v[6:7]
	v_mul_f64 v[6:7], v[92:93], v[254:255]
	v_fma_f64 v[6:7], v[90:91], v[26:27], -v[6:7]
	v_add_f64 v[4:5], v[4:5], v[6:7]
	v_mul_f64 v[6:7], v[96:97], v[20:21]
	v_fma_f64 v[6:7], v[94:95], v[214:215], -v[6:7]
	v_add_f64 v[4:5], v[4:5], v[6:7]
	v_mul_f64 v[6:7], v[100:101], v[216:217]
	v_fma_f64 v[6:7], v[98:99], v[218:219], -v[6:7]
	v_add_f64 v[4:5], v[4:5], v[6:7]
	v_mul_f64 v[6:7], v[104:105], v[220:221]
	v_fma_f64 v[6:7], v[102:103], v[222:223], -v[6:7]
	v_add_f64 v[4:5], v[4:5], v[6:7]
	v_mul_f64 v[6:7], v[108:109], v[224:225]
	v_fma_f64 v[6:7], v[106:107], v[226:227], -v[6:7]
	v_add_f64 v[4:5], v[4:5], v[6:7]
	v_mul_f64 v[6:7], v[112:113], v[228:229]
	v_fma_f64 v[6:7], v[110:111], v[230:231], -v[6:7]
	v_mul_f64 v[2:3], v[2:3], v[244:245]
	v_add_f64 v[4:5], v[4:5], v[6:7]
	v_fma_f64 v[0:1], v[0:1], v[246:247], -v[2:3]
	v_add_f64 v[0:1], v[4:5], v[0:1]
	s_waitcnt vmcnt(2)
	v_add_f64 v[0:1], v[252:253], -v[0:1]
	s_waitcnt vmcnt(0)
	v_add_f64 v[2:3], v[250:251], -v[232:233]
	buffer_store_dword v1, off, s[0:3], 0 offset:68
	buffer_store_dword v0, off, s[0:3], 0 offset:64
	;; [unrolled: 1-line block ×4, first 2 shown]
	v_accvgpr_read_b32 v0, a188
	v_cmp_lt_u32_e32 vcc, 2, v0
	s_and_saveexec_b64 s[4:5], vcc
	s_cbranch_execz .LBB126_399
; %bb.398:
	v_accvgpr_read_b32 v3, a186
	buffer_load_dword v0, v3, s[0:3], 0 offen
	buffer_load_dword v1, v3, s[0:3], 0 offen offset:4
	buffer_load_dword v2, v3, s[0:3], 0 offen offset:8
	s_nop 0
	buffer_load_dword v3, v3, s[0:3], 0 offen offset:12
	v_accvgpr_read_b32 v4, a189
	buffer_store_dword v240, off, s[0:3], 0 offset:48
	buffer_store_dword v240, off, s[0:3], 0 offset:52
	;; [unrolled: 1-line block ×4, first 2 shown]
	s_waitcnt vmcnt(4)
	ds_write_b128 v4, v[0:3]
.LBB126_399:
	s_or_b64 exec, exec, s[4:5]
	s_waitcnt lgkmcnt(0)
	; wave barrier
	s_waitcnt lgkmcnt(0)
	buffer_load_dword v54, off, s[0:3], 0 offset:64
	buffer_load_dword v55, off, s[0:3], 0 offset:68
	;; [unrolled: 1-line block ×36, first 2 shown]
	ds_read_b128 v[34:37], v240 offset:1056
	ds_read_b128 v[30:33], v240 offset:1072
	;; [unrolled: 1-line block ×9, first 2 shown]
	buffer_load_dword v83, off, s[0:3], 0 offset:236
	buffer_load_dword v82, off, s[0:3], 0 offset:232
	;; [unrolled: 1-line block ×19, first 2 shown]
	s_waitcnt vmcnt(51) lgkmcnt(8)
	v_mul_f64 v[0:1], v[34:35], v[56:57]
	v_fmac_f64_e32 v[0:1], v[36:37], v[54:55]
	v_add_f64 v[0:1], v[0:1], 0
	s_waitcnt vmcnt(47) lgkmcnt(7)
	v_mul_f64 v[2:3], v[30:31], v[66:67]
	v_fmac_f64_e32 v[2:3], v[32:33], v[64:65]
	s_waitcnt vmcnt(45) lgkmcnt(6)
	v_mul_f64 v[4:5], v[26:27], v[68:69]
	v_add_f64 v[0:1], v[0:1], v[2:3]
	s_waitcnt vmcnt(43) lgkmcnt(4)
	v_mul_f64 v[8:9], v[18:19], v[134:135]
	s_waitcnt vmcnt(41)
	v_fmac_f64_e32 v[8:9], v[20:21], v[154:155]
	s_waitcnt vmcnt(39)
	v_mul_f64 v[6:7], v[22:23], v[128:129]
	s_waitcnt vmcnt(37) lgkmcnt(2)
	v_mul_f64 v[12:13], v[120:121], v[130:131]
	s_waitcnt vmcnt(35)
	v_fmac_f64_e32 v[12:13], v[122:123], v[58:59]
	s_waitcnt vmcnt(33)
	v_mul_f64 v[10:11], v[14:15], v[236:237]
	s_waitcnt vmcnt(31) lgkmcnt(1)
	v_mul_f64 v[38:39], v[124:125], v[156:157]
	s_waitcnt vmcnt(29)
	v_fmac_f64_e32 v[4:5], v[28:29], v[70:71]
	v_add_f64 v[0:1], v[0:1], v[4:5]
	s_waitcnt vmcnt(27)
	v_fmac_f64_e32 v[6:7], v[24:25], v[144:145]
	v_add_f64 v[0:1], v[0:1], v[6:7]
	;; [unrolled: 3-line block ×3, first 2 shown]
	v_add_f64 v[0:1], v[0:1], v[10:11]
	v_add_f64 v[0:1], v[0:1], v[12:13]
	buffer_load_dword v112, off, s[0:3], 0 offset:288
	buffer_load_dword v13, off, s[0:3], 0 offset:284
	buffer_load_dword v12, off, s[0:3], 0 offset:280
	buffer_load_dword v175, off, s[0:3], 0 offset:276
	buffer_load_dword v174, off, s[0:3], 0 offset:272
	buffer_load_dword v177, off, s[0:3], 0 offset:332
	buffer_load_dword v176, off, s[0:3], 0 offset:328
	buffer_load_dword v179, off, s[0:3], 0 offset:324
	buffer_load_dword v178, off, s[0:3], 0 offset:320
	buffer_load_dword v171, off, s[0:3], 0 offset:316
	buffer_load_dword v170, off, s[0:3], 0 offset:312
	buffer_load_dword v173, off, s[0:3], 0 offset:308
	buffer_load_dword v172, off, s[0:3], 0 offset:304
	buffer_load_dword v185, off, s[0:3], 0 offset:364
	buffer_load_dword v184, off, s[0:3], 0 offset:360
	buffer_load_dword v187, off, s[0:3], 0 offset:356
	buffer_load_dword v186, off, s[0:3], 0 offset:352
	buffer_load_dword v181, off, s[0:3], 0 offset:348
	buffer_load_dword v180, off, s[0:3], 0 offset:344
	buffer_load_dword v183, off, s[0:3], 0 offset:340
	buffer_load_dword v182, off, s[0:3], 0 offset:336
	buffer_load_dword v115, off, s[0:3], 0 offset:396
	buffer_load_dword v114, off, s[0:3], 0 offset:392
	buffer_load_dword v117, off, s[0:3], 0 offset:388
	buffer_load_dword v116, off, s[0:3], 0 offset:384
	buffer_load_dword v189, off, s[0:3], 0 offset:380
	buffer_load_dword v188, off, s[0:3], 0 offset:376
	buffer_load_dword v191, off, s[0:3], 0 offset:372
	buffer_load_dword v190, off, s[0:3], 0 offset:368
	buffer_load_dword v103, off, s[0:3], 0 offset:428
	buffer_load_dword v102, off, s[0:3], 0 offset:424
	buffer_load_dword v105, off, s[0:3], 0 offset:420
	buffer_load_dword v104, off, s[0:3], 0 offset:416
	buffer_load_dword v197, off, s[0:3], 0 offset:412
	buffer_load_dword v196, off, s[0:3], 0 offset:408
	buffer_load_dword v199, off, s[0:3], 0 offset:404
	buffer_load_dword v198, off, s[0:3], 0 offset:400
	buffer_load_dword v91, off, s[0:3], 0 offset:460
	buffer_load_dword v90, off, s[0:3], 0 offset:456
	buffer_load_dword v93, off, s[0:3], 0 offset:452
	buffer_load_dword v92, off, s[0:3], 0 offset:448
	buffer_load_dword v107, off, s[0:3], 0 offset:444
	buffer_load_dword v106, off, s[0:3], 0 offset:440
	buffer_load_dword v109, off, s[0:3], 0 offset:436
	buffer_load_dword v108, off, s[0:3], 0 offset:432
	buffer_load_dword v79, off, s[0:3], 0 offset:492
	buffer_load_dword v78, off, s[0:3], 0 offset:488
	buffer_load_dword v81, off, s[0:3], 0 offset:484
	buffer_load_dword v80, off, s[0:3], 0 offset:480
	buffer_load_dword v99, off, s[0:3], 0 offset:476
	buffer_load_dword v98, off, s[0:3], 0 offset:472
	buffer_load_dword v101, off, s[0:3], 0 offset:468
	buffer_load_dword v100, off, s[0:3], 0 offset:464
	buffer_load_dword v75, off, s[0:3], 0 offset:524
	buffer_load_dword v74, off, s[0:3], 0 offset:520
	buffer_load_dword v77, off, s[0:3], 0 offset:516
	buffer_load_dword v76, off, s[0:3], 0 offset:512
	buffer_load_dword v87, off, s[0:3], 0 offset:508
	buffer_load_dword v86, off, s[0:3], 0 offset:504
	buffer_load_dword v89, off, s[0:3], 0 offset:500
	buffer_load_dword v88, off, s[0:3], 0 offset:496
	ds_read_b128 v[150:153], v240 offset:1200
	ds_read_b128 v[166:169], v240 offset:1216
	s_waitcnt vmcnt(62)
	v_fmac_f64_e32 v[38:39], v[126:127], v[62:63]
	s_waitcnt lgkmcnt(2)
	v_mul_f64 v[2:3], v[252:253], v[60:61]
	v_add_f64 v[0:1], v[0:1], v[38:39]
	v_fmac_f64_e32 v[2:3], v[254:255], v[72:73]
	ds_read_b128 v[192:195], v240 offset:1232
	ds_read_b128 v[200:203], v240 offset:1248
	v_add_f64 v[0:1], v[0:1], v[2:3]
	s_waitcnt lgkmcnt(3)
	v_mul_f64 v[2:3], v[150:151], v[94:95]
	v_fmac_f64_e32 v[2:3], v[152:153], v[96:97]
	v_add_f64 v[0:1], v[0:1], v[2:3]
	s_waitcnt lgkmcnt(2)
	v_mul_f64 v[2:3], v[166:167], v[82:83]
	v_fmac_f64_e32 v[2:3], v[168:169], v[84:85]
	ds_read_b128 v[204:207], v240 offset:1264
	ds_read_b128 v[214:217], v240 offset:1280
	v_add_f64 v[0:1], v[0:1], v[2:3]
	s_waitcnt lgkmcnt(3)
	v_mul_f64 v[2:3], v[192:193], v[158:159]
	v_fmac_f64_e32 v[2:3], v[194:195], v[164:165]
	v_add_f64 v[0:1], v[0:1], v[2:3]
	s_waitcnt lgkmcnt(2)
	v_mul_f64 v[2:3], v[200:201], v[160:161]
	v_fmac_f64_e32 v[2:3], v[202:203], v[162:163]
	ds_read_b128 v[218:221], v240 offset:1296
	ds_read_b128 v[222:225], v240 offset:1312
	v_add_f64 v[0:1], v[0:1], v[2:3]
	s_waitcnt vmcnt(58) lgkmcnt(3)
	v_mul_f64 v[2:3], v[204:205], v[12:13]
	s_waitcnt vmcnt(56)
	v_fmac_f64_e32 v[2:3], v[206:207], v[174:175]
	v_add_f64 v[0:1], v[0:1], v[2:3]
	s_waitcnt lgkmcnt(2)
	v_mul_f64 v[2:3], v[214:215], v[110:111]
	v_fmac_f64_e32 v[2:3], v[216:217], v[112:113]
	ds_read_b128 v[226:229], v240 offset:1328
	ds_read_b128 v[230:233], v240 offset:1344
	v_add_f64 v[0:1], v[0:1], v[2:3]
	s_waitcnt vmcnt(50) lgkmcnt(3)
	v_mul_f64 v[2:3], v[218:219], v[170:171]
	s_waitcnt vmcnt(48)
	;; [unrolled: 11-line block ×3, first 2 shown]
	v_fmac_f64_e32 v[2:3], v[228:229], v[182:183]
	v_add_f64 v[0:1], v[0:1], v[2:3]
	s_waitcnt lgkmcnt(2)
	v_mul_f64 v[2:3], v[230:231], v[184:185]
	v_fmac_f64_e32 v[2:3], v[232:233], v[186:187]
	ds_read_b128 v[38:41], v240 offset:1392
	v_add_f64 v[0:1], v[0:1], v[2:3]
	s_waitcnt vmcnt(34) lgkmcnt(2)
	v_mul_f64 v[2:3], v[244:245], v[188:189]
	s_waitcnt vmcnt(32)
	v_fmac_f64_e32 v[2:3], v[246:247], v[190:191]
	buffer_load_dword v119, off, s[0:3], 0 offset:540
	buffer_load_dword v118, off, s[0:3], 0 offset:536
	;; [unrolled: 1-line block ×4, first 2 shown]
	ds_read_b128 v[42:45], v240 offset:1408
	v_add_f64 v[0:1], v[0:1], v[2:3]
	s_waitcnt lgkmcnt(2)
	v_mul_f64 v[2:3], v[248:249], v[114:115]
	v_fmac_f64_e32 v[2:3], v[250:251], v[116:117]
	v_add_f64 v[0:1], v[0:1], v[2:3]
	s_waitcnt vmcnt(30) lgkmcnt(1)
	v_mul_f64 v[2:3], v[38:39], v[196:197]
	s_waitcnt vmcnt(28)
	v_fmac_f64_e32 v[2:3], v[40:41], v[198:199]
	v_add_f64 v[0:1], v[0:1], v[2:3]
	s_waitcnt lgkmcnt(0)
	v_mul_f64 v[2:3], v[42:43], v[102:103]
	v_fmac_f64_e32 v[2:3], v[44:45], v[104:105]
	buffer_load_dword v211, off, s[0:3], 0 offset:556
	buffer_load_dword v210, off, s[0:3], 0 offset:552
	ds_read_b128 v[46:49], v240 offset:1424
	buffer_load_dword v213, off, s[0:3], 0 offset:548
	buffer_load_dword v212, off, s[0:3], 0 offset:544
	v_add_f64 v[0:1], v[0:1], v[2:3]
	ds_read_b128 v[50:53], v240 offset:1440
	buffer_load_dword v3, off, s[0:3], 0 offset:572
	buffer_load_dword v2, off, s[0:3], 0 offset:568
	;; [unrolled: 1-line block ×12, first 2 shown]
	v_mul_f64 v[8:9], v[16:17], v[236:237]
	v_fma_f64 v[236:237], v[14:15], v[242:243], -v[8:9]
	v_mul_f64 v[16:17], v[122:123], v[130:131]
	v_fma_f64 v[242:243], v[120:121], v[58:59], -v[16:17]
	v_mul_f64 v[12:13], v[206:207], v[12:13]
	v_mul_f64 v[40:41], v[40:41], v[196:197]
	s_waitcnt vmcnt(6)
	v_accvgpr_write_b32 a207, v139
	v_accvgpr_write_b32 a206, v138
	s_waitcnt vmcnt(4)
	v_accvgpr_write_b32 a211, v149
	v_accvgpr_write_b32 a210, v148
	v_pk_mov_b32 v[146:147], v[2:3], v[2:3] op_sel:[0,1]
	s_waitcnt lgkmcnt(1)
	v_mul_f64 v[2:3], v[46:47], v[106:107]
	v_fmac_f64_e32 v[2:3], v[48:49], v[108:109]
	v_add_f64 v[0:1], v[0:1], v[2:3]
	v_mul_f64 v[2:3], v[36:37], v[56:57]
	v_fma_f64 v[2:3], v[34:35], v[54:55], -v[2:3]
	v_accvgpr_write_b32 a229, v3
	v_accvgpr_write_b32 a228, v2
	buffer_load_dword v2, off, s[0:3], 0 offset:616
	buffer_load_dword v4, off, s[0:3], 0 offset:608
	;; [unrolled: 1-line block ×3, first 2 shown]
	ds_read_b128 v[54:57], v240 offset:1456
	buffer_load_dword v5, off, s[0:3], 0 offset:612
	v_accvgpr_write_b32 a195, v147
	s_waitcnt vmcnt(6)
	v_accvgpr_write_b32 a209, v141
	v_accvgpr_write_b32 a194, v146
	;; [unrolled: 1-line block ×3, first 2 shown]
	s_waitcnt vmcnt(4)
	v_accvgpr_write_b32 a213, v143
	v_accvgpr_write_b32 a212, v142
	;; [unrolled: 1-line block ×4, first 2 shown]
	s_waitcnt vmcnt(1)
	v_pk_mov_b32 v[34:35], v[2:3], v[2:3] op_sel:[0,1]
	s_waitcnt lgkmcnt(1)
	v_mul_f64 v[2:3], v[50:51], v[90:91]
	v_fmac_f64_e32 v[2:3], v[52:53], v[92:93]
	v_add_f64 v[0:1], v[0:1], v[2:3]
	v_mul_f64 v[2:3], v[32:33], v[66:67]
	v_fma_f64 v[2:3], v[30:31], v[64:65], -v[2:3]
	ds_read_b128 v[64:67], v240 offset:1472
	v_accvgpr_write_b32 a231, v3
	v_accvgpr_write_b32 a230, v2
	s_waitcnt lgkmcnt(1)
	v_mul_f64 v[2:3], v[54:55], v[98:99]
	v_fmac_f64_e32 v[2:3], v[56:57], v[100:101]
	v_add_f64 v[0:1], v[0:1], v[2:3]
	v_mul_f64 v[2:3], v[28:29], v[68:69]
	v_fma_f64 v[2:3], v[26:27], v[70:71], -v[2:3]
	v_accvgpr_write_b32 a233, v3
	v_accvgpr_write_b32 a232, v2
	buffer_load_dword v3, off, s[0:3], 0 offset:636
	buffer_load_dword v2, off, s[0:3], 0 offset:632
	s_waitcnt vmcnt(2)
	v_pk_mov_b32 v[36:37], v[4:5], v[4:5] op_sel:[0,1]
	v_mul_f64 v[4:5], v[24:25], v[128:129]
	v_fma_f64 v[238:239], v[22:23], v[144:145], -v[4:5]
	v_mul_f64 v[24:25], v[168:169], v[82:83]
	v_accvgpr_write_b32 a217, v37
	v_accvgpr_write_b32 a215, v35
	;; [unrolled: 1-line block ×4, first 2 shown]
	v_mul_f64 v[52:53], v[52:53], v[90:91]
	v_mul_f64 v[56:57], v[56:57], v[98:99]
	s_waitcnt vmcnt(0)
	v_pk_mov_b32 v[26:27], v[2:3], v[2:3] op_sel:[0,1]
	buffer_load_dword v3, off, s[0:3], 0 offset:628
	buffer_load_dword v2, off, s[0:3], 0 offset:624
	ds_read_b128 v[68:71], v240 offset:1488
	buffer_load_dword v5, off, s[0:3], 0 offset:652
	buffer_load_dword v4, off, s[0:3], 0 offset:648
	;; [unrolled: 1-line block ×8, first 2 shown]
	v_accvgpr_write_b32 a219, v27
	s_waitcnt lgkmcnt(0)
	v_mul_f64 v[6:7], v[68:69], v[86:87]
	v_fmac_f64_e32 v[6:7], v[70:71], v[88:89]
	v_accvgpr_write_b32 a218, v26
	ds_read_b128 v[8:11], v240 offset:1520
	s_waitcnt vmcnt(8)
	v_pk_mov_b32 v[28:29], v[2:3], v[2:3] op_sel:[0,1]
	v_mul_f64 v[2:3], v[64:65], v[78:79]
	v_fmac_f64_e32 v[2:3], v[66:67], v[80:81]
	s_waitcnt vmcnt(6)
	v_pk_mov_b32 v[144:145], v[4:5], v[4:5] op_sel:[0,1]
	v_add_f64 v[4:5], v[0:1], v[2:3]
	v_mul_f64 v[0:1], v[20:21], v[134:135]
	v_fma_f64 v[134:135], v[18:19], v[154:155], -v[0:1]
	ds_read_b128 v[0:3], v240 offset:1504
	v_add_f64 v[4:5], v[4:5], v[6:7]
	v_accvgpr_write_b32 a221, v29
	v_accvgpr_write_b32 a220, v28
	s_waitcnt vmcnt(0)
	v_accvgpr_write_b32 a227, v133
	s_waitcnt lgkmcnt(0)
	v_mul_f64 v[6:7], v[0:1], v[74:75]
	v_fmac_f64_e32 v[6:7], v[2:3], v[76:77]
	v_add_f64 v[4:5], v[4:5], v[6:7]
	v_mul_f64 v[6:7], v[8:9], v[118:119]
	v_fmac_f64_e32 v[6:7], v[10:11], v[208:209]
	v_add_f64 v[14:15], v[4:5], v[6:7]
	ds_read_b128 v[4:7], v240 offset:1536
	buffer_load_dword v19, off, s[0:3], 0 offset:684
	buffer_load_dword v18, off, s[0:3], 0 offset:680
	ds_read_b128 v[20:23], v240 offset:1552
	ds_read_b128 v[120:123], v240 offset:1568
	v_accvgpr_write_b32 a226, v132
	s_waitcnt lgkmcnt(2)
	v_mul_f64 v[16:17], v[4:5], v[210:211]
	v_fmac_f64_e32 v[16:17], v[6:7], v[212:213]
	s_waitcnt lgkmcnt(1)
	v_accvgpr_write_b32 a193, v23
	v_accvgpr_write_b32 a192, v22
	;; [unrolled: 1-line block ×4, first 2 shown]
	v_add_f64 v[14:15], v[14:15], v[16:17]
	v_mul_f64 v[16:17], v[126:127], v[156:157]
	v_fma_f64 v[32:33], v[124:125], v[62:63], -v[16:17]
	s_waitcnt lgkmcnt(0)
	v_accvgpr_write_b32 a201, v123
	v_accvgpr_write_b32 a200, v122
	;; [unrolled: 1-line block ×6, first 2 shown]
	v_mul_f64 v[62:63], v[66:67], v[78:79]
	v_mul_f64 v[2:3], v[2:3], v[74:75]
	v_fma_f64 v[0:1], v[0:1], v[76:77], -v[2:3]
	v_mul_f64 v[10:11], v[10:11], v[118:119]
	v_mul_f64 v[6:7], v[6:7], v[210:211]
	v_accvgpr_write_b32 a225, v129
	v_accvgpr_write_b32 a224, v128
	s_waitcnt vmcnt(0)
	v_pk_mov_b32 v[58:59], v[18:19], v[18:19] op_sel:[0,1]
	v_mul_f64 v[18:19], v[20:21], v[146:147]
	v_mul_f64 v[20:21], v[254:255], v[60:61]
	v_fmac_f64_e32 v[18:19], v[22:23], v[136:137]
	v_fma_f64 v[154:155], v[252:253], v[72:73], -v[20:21]
	ds_read_b128 v[20:23], v240 offset:1584
	v_add_f64 v[14:15], v[14:15], v[18:19]
	v_mul_f64 v[18:19], v[120:121], v[138:139]
	v_fmac_f64_e32 v[18:19], v[122:123], v[148:149]
	ds_read_b128 v[146:149], v240 offset:1600
	v_add_f64 v[14:15], v[14:15], v[18:19]
	s_waitcnt lgkmcnt(1)
	v_mul_f64 v[18:19], v[20:21], v[140:141]
	ds_read_b128 v[138:141], v240 offset:1616
	buffer_load_dword v125, off, s[0:3], 0 offset:676
	buffer_load_dword v124, off, s[0:3], 0 offset:672
	v_fmac_f64_e32 v[18:19], v[22:23], v[142:143]
	v_add_f64 v[14:15], v[14:15], v[18:19]
	v_mul_f64 v[18:19], v[152:153], v[94:95]
	buffer_load_dword v130, off, s[0:3], 0 offset:712
	buffer_load_dword v142, off, s[0:3], 0 offset:704
	;; [unrolled: 1-line block ×4, first 2 shown]
	v_fma_f64 v[94:95], v[150:151], v[96:97], -v[18:19]
	v_fma_f64 v[96:97], v[166:167], v[84:85], -v[24:25]
	v_mul_f64 v[24:25], v[194:195], v[158:159]
	buffer_load_dword v159, off, s[0:3], 0 offset:692
	buffer_load_dword v158, off, s[0:3], 0 offset:688
	buffer_load_dword v131, off, s[0:3], 0 offset:716
	buffer_load_dword v143, off, s[0:3], 0 offset:708
	v_fma_f64 v[30:31], v[192:193], v[164:165], -v[24:25]
	s_waitcnt lgkmcnt(0)
	v_mul_f64 v[24:25], v[138:139], v[26:27]
	v_mul_f64 v[26:27], v[202:203], v[160:161]
	ds_read_b128 v[120:123], v240 offset:1632
	ds_read_b128 v[150:153], v240 offset:1648
	v_fma_f64 v[126:127], v[200:201], v[162:163], -v[26:27]
	ds_read_b128 v[252:255], v240 offset:1664
	buffer_load_dword v161, off, s[0:3], 0 offset:732
	buffer_load_dword v160, off, s[0:3], 0 offset:728
	;; [unrolled: 1-line block ×4, first 2 shown]
	v_accvgpr_write_b32 a205, v23
	v_accvgpr_write_b32 a204, v22
	;; [unrolled: 1-line block ×4, first 2 shown]
	v_mul_f64 v[22:23], v[146:147], v[34:35]
	v_fmac_f64_e32 v[22:23], v[148:149], v[36:37]
	v_add_f64 v[22:23], v[14:15], v[22:23]
	v_fmac_f64_e32 v[24:25], v[140:141], v[28:29]
	s_waitcnt lgkmcnt(2)
	v_mul_f64 v[36:37], v[120:121], v[144:145]
	v_add_f64 v[34:35], v[22:23], v[24:25]
	v_fmac_f64_e32 v[36:37], v[122:123], v[128:129]
	v_add_f64 v[34:35], v[34:35], v[36:37]
	s_waitcnt lgkmcnt(1)
	v_mul_f64 v[36:37], v[150:151], v[234:235]
	buffer_load_dword v167, off, s[0:3], 0 offset:748
	buffer_load_dword v166, off, s[0:3], 0 offset:744
	;; [unrolled: 1-line block ×4, first 2 shown]
	v_fmac_f64_e32 v[36:37], v[152:153], v[132:133]
	v_add_f64 v[34:35], v[34:35], v[36:37]
	v_mul_f64 v[36:37], v[216:217], v[110:111]
	v_fma_f64 v[82:83], v[214:215], v[112:113], -v[36:37]
	v_mul_f64 v[36:37], v[220:221], v[170:171]
	v_fma_f64 v[28:29], v[204:205], v[174:175], -v[12:13]
	v_fma_f64 v[84:85], v[218:219], v[172:173], -v[36:37]
	buffer_load_dword v165, off, s[0:3], 0 offset:780
	buffer_load_dword v164, off, s[0:3], 0 offset:776
	;; [unrolled: 1-line block ×8, first 2 shown]
	v_mul_f64 v[36:37], v[224:225], v[176:177]
	v_fma_f64 v[214:215], v[222:223], v[178:179], -v[36:37]
	s_waitcnt lgkmcnt(0)
	v_mul_f64 v[36:37], v[252:253], v[58:59]
	v_pk_mov_b32 v[132:133], v[58:59], v[58:59] op_sel:[0,1]
	v_mul_f64 v[58:59], v[228:229], v[180:181]
	v_fma_f64 v[22:23], v[226:227], v[182:183], -v[58:59]
	buffer_load_dword v177, off, s[0:3], 0 offset:796
	buffer_load_dword v176, off, s[0:3], 0 offset:792
	;; [unrolled: 1-line block ×8, first 2 shown]
	v_mul_f64 v[26:27], v[232:233], v[184:185]
	v_mul_f64 v[58:59], v[246:247], v[188:189]
	v_fma_f64 v[26:27], v[230:231], v[186:187], -v[26:27]
	v_fma_f64 v[244:245], v[244:245], v[190:191], -v[58:59]
	buffer_load_dword v185, off, s[0:3], 0 offset:844
	buffer_load_dword v187, off, s[0:3], 0 offset:828
	;; [unrolled: 1-line block ×12, first 2 shown]
	v_mul_f64 v[58:59], v[250:251], v[114:115]
	v_fma_f64 v[20:21], v[248:249], v[116:117], -v[58:59]
	v_fma_f64 v[18:19], v[38:39], v[198:199], -v[40:41]
	buffer_load_dword v199, off, s[0:3], 0 offset:876
	buffer_load_dword v198, off, s[0:3], 0 offset:872
	;; [unrolled: 1-line block ×12, first 2 shown]
	v_mul_f64 v[38:39], v[44:45], v[102:103]
	v_fma_f64 v[16:17], v[42:43], v[104:105], -v[38:39]
	ds_read_b128 v[38:41], v240 offset:1696
	v_mul_f64 v[42:43], v[48:49], v[106:107]
	v_fma_f64 v[144:145], v[46:47], v[108:109], -v[42:43]
	ds_read_b128 v[42:45], v240 offset:1712
	v_fma_f64 v[14:15], v[50:51], v[92:93], -v[52:53]
	ds_read_b128 v[50:53], v240 offset:1744
	v_fma_f64 v[248:249], v[54:55], v[100:101], -v[56:57]
	ds_read_b128 v[54:57], v240 offset:1760
	v_fma_f64 v[12:13], v[64:65], v[80:81], -v[62:63]
	ds_read_b128 v[62:65], v240 offset:1792
	ds_read_b128 v[74:77], v240 offset:1840
	v_fma_f64 v[250:251], v[4:5], v[212:213], -v[6:7]
	s_waitcnt vmcnt(56)
	v_fmac_f64_e32 v[36:37], v[254:255], v[124:125]
	v_add_f64 v[58:59], v[34:35], v[36:37]
	ds_read_b128 v[34:37], v240 offset:1680
	s_waitcnt vmcnt(52) lgkmcnt(0)
	v_mul_f64 v[60:61], v[34:35], v[156:157]
	s_waitcnt vmcnt(50)
	v_fmac_f64_e32 v[60:61], v[36:37], v[158:159]
	s_waitcnt vmcnt(49)
	v_mul_f64 v[48:49], v[38:39], v[130:131]
	v_add_f64 v[46:47], v[58:59], v[60:61]
	s_waitcnt vmcnt(48)
	v_fmac_f64_e32 v[48:49], v[40:41], v[142:143]
	v_add_f64 v[46:47], v[46:47], v[48:49]
	s_waitcnt vmcnt(46)
	v_mul_f64 v[48:49], v[42:43], v[160:161]
	s_waitcnt vmcnt(44)
	v_fmac_f64_e32 v[48:49], v[44:45], v[162:163]
	v_add_f64 v[58:59], v[46:47], v[48:49]
	ds_read_b128 v[46:49], v240 offset:1728
	s_waitcnt vmcnt(42) lgkmcnt(0)
	v_mul_f64 v[24:25], v[46:47], v[166:167]
	s_waitcnt vmcnt(40)
	v_fmac_f64_e32 v[24:25], v[48:49], v[168:169]
	v_add_f64 v[24:25], v[58:59], v[24:25]
	s_waitcnt vmcnt(36)
	v_mul_f64 v[58:59], v[50:51], v[172:173]
	s_waitcnt vmcnt(34)
	v_fmac_f64_e32 v[58:59], v[52:53], v[174:175]
	v_add_f64 v[24:25], v[24:25], v[58:59]
	v_mul_f64 v[58:59], v[54:55], v[164:165]
	s_waitcnt vmcnt(32)
	v_fmac_f64_e32 v[58:59], v[56:57], v[170:171]
	v_add_f64 v[24:25], v[24:25], v[58:59]
	ds_read_b128 v[58:61], v240 offset:1776
	s_waitcnt vmcnt(30) lgkmcnt(0)
	v_mul_f64 v[66:67], v[58:59], v[176:177]
	s_waitcnt vmcnt(28)
	v_fmac_f64_e32 v[66:67], v[60:61], v[182:183]
	v_add_f64 v[24:25], v[24:25], v[66:67]
	v_mul_f64 v[66:67], v[70:71], v[86:87]
	v_fma_f64 v[136:137], v[68:69], v[88:89], -v[66:67]
	ds_read_b128 v[66:69], v240 offset:1808
	s_waitcnt vmcnt(25)
	v_mul_f64 v[70:71], v[62:63], v[178:179]
	s_waitcnt vmcnt(24)
	v_fmac_f64_e32 v[70:71], v[64:65], v[180:181]
	v_add_f64 v[24:25], v[24:25], v[70:71]
	ds_read_b128 v[70:73], v240 offset:1824
	s_waitcnt vmcnt(21) lgkmcnt(1)
	v_mul_f64 v[2:3], v[66:67], v[186:187]
	s_waitcnt vmcnt(19)
	v_fmac_f64_e32 v[2:3], v[68:69], v[192:193]
	v_add_f64 v[2:3], v[24:25], v[2:3]
	ds_read_b128 v[86:89], v240 offset:1888
	s_waitcnt vmcnt(18) lgkmcnt(1)
	v_mul_f64 v[24:25], v[70:71], v[184:185]
	s_waitcnt vmcnt(16)
	v_fmac_f64_e32 v[24:25], v[72:73], v[190:191]
	v_add_f64 v[2:3], v[2:3], v[24:25]
	v_fma_f64 v[24:25], v[8:9], v[208:209], -v[10:11]
	ds_read_b128 v[8:11], v240 offset:1856
	s_waitcnt vmcnt(14)
	v_mul_f64 v[78:79], v[74:75], v[188:189]
	s_waitcnt vmcnt(12)
	v_fmac_f64_e32 v[78:79], v[76:77], v[194:195]
	v_add_f64 v[2:3], v[2:3], v[78:79]
	ds_read_b128 v[78:81], v240 offset:1872
	buffer_load_dword v209, off, s[0:3], 0 offset:924
	buffer_load_dword v208, off, s[0:3], 0 offset:920
	;; [unrolled: 1-line block ×4, first 2 shown]
	s_waitcnt vmcnt(14) lgkmcnt(1)
	v_mul_f64 v[4:5], v[8:9], v[198:199]
	s_waitcnt vmcnt(12)
	v_fmac_f64_e32 v[4:5], v[10:11], v[200:201]
	ds_read_b128 v[90:93], v240 offset:1904
	buffer_load_dword v212, off, s[0:3], 0 offset:936
	buffer_load_dword v213, off, s[0:3], 0 offset:940
	;; [unrolled: 1-line block ×4, first 2 shown]
	v_add_f64 v[2:3], v[2:3], v[4:5]
	s_waitcnt vmcnt(13) lgkmcnt(1)
	v_mul_f64 v[4:5], v[78:79], v[204:205]
	s_waitcnt vmcnt(11)
	v_fmac_f64_e32 v[4:5], v[80:81], v[206:207]
	v_add_f64 v[2:3], v[2:3], v[4:5]
	s_waitcnt vmcnt(9)
	v_mul_f64 v[4:5], v[86:87], v[196:197]
	s_waitcnt vmcnt(8)
	v_fmac_f64_e32 v[4:5], v[88:89], v[202:203]
	v_add_f64 v[2:3], v[2:3], v[4:5]
	v_mul_f64 v[10:11], v[10:11], v[198:199]
	v_fma_f64 v[8:9], v[8:9], v[200:201], -v[10:11]
	v_mul_f64 v[10:11], v[80:81], v[204:205]
	v_fma_f64 v[10:11], v[78:79], v[206:207], -v[10:11]
	s_waitcnt vmcnt(6) lgkmcnt(0)
	v_mul_f64 v[4:5], v[90:91], v[208:209]
	s_waitcnt vmcnt(4)
	v_fmac_f64_e32 v[4:5], v[92:93], v[210:211]
	v_add_f64 v[2:3], v[2:3], v[4:5]
	ds_read_b128 v[4:7], v240 offset:1920
	buffer_load_dword v217, off, s[0:3], 0 offset:956
	buffer_load_dword v216, off, s[0:3], 0 offset:952
	;; [unrolled: 1-line block ×4, first 2 shown]
	s_waitcnt vmcnt(6) lgkmcnt(0)
	v_mul_f64 v[98:99], v[4:5], v[212:213]
	s_waitcnt vmcnt(4)
	v_fmac_f64_e32 v[98:99], v[6:7], v[118:119]
	v_add_f64 v[2:3], v[2:3], v[98:99]
	ds_read_b128 v[98:101], v240 offset:1936
	buffer_load_dword v220, off, s[0:3], 0 offset:968
	buffer_load_dword v221, off, s[0:3], 0 offset:972
	;; [unrolled: 1-line block ×4, first 2 shown]
	v_mul_f64 v[6:7], v[6:7], v[212:213]
	v_fma_f64 v[4:5], v[4:5], v[118:119], -v[6:7]
	s_waitcnt vmcnt(6) lgkmcnt(0)
	v_mul_f64 v[102:103], v[98:99], v[216:217]
	v_mul_f64 v[6:7], v[100:101], v[216:217]
	s_waitcnt vmcnt(4)
	v_fmac_f64_e32 v[102:103], v[100:101], v[218:219]
	v_add_f64 v[2:3], v[2:3], v[102:103]
	ds_read_b128 v[102:105], v240 offset:1952
	buffer_load_dword v225, off, s[0:3], 0 offset:988
	buffer_load_dword v224, off, s[0:3], 0 offset:984
	;; [unrolled: 1-line block ×4, first 2 shown]
	v_fma_f64 v[6:7], v[98:99], v[218:219], -v[6:7]
	s_waitcnt vmcnt(6) lgkmcnt(0)
	v_mul_f64 v[106:107], v[102:103], v[220:221]
	s_waitcnt vmcnt(4)
	v_fmac_f64_e32 v[106:107], v[104:105], v[222:223]
	v_add_f64 v[2:3], v[2:3], v[106:107]
	ds_read_b128 v[106:109], v240 offset:1968
	buffer_load_dword v228, off, s[0:3], 0 offset:1000
	buffer_load_dword v229, off, s[0:3], 0 offset:1004
	;; [unrolled: 1-line block ×4, first 2 shown]
	s_waitcnt vmcnt(6) lgkmcnt(0)
	v_mul_f64 v[110:111], v[106:107], v[224:225]
	s_waitcnt vmcnt(4)
	v_fmac_f64_e32 v[110:111], v[108:109], v[226:227]
	v_add_f64 v[2:3], v[2:3], v[110:111]
	ds_read_b128 v[110:113], v240 offset:1984
	buffer_load_dword v233, off, s[0:3], 0 offset:1020
	buffer_load_dword v232, off, s[0:3], 0 offset:1016
	;; [unrolled: 1-line block ×4, first 2 shown]
	s_waitcnt vmcnt(6) lgkmcnt(0)
	v_mul_f64 v[114:115], v[110:111], v[228:229]
	s_waitcnt vmcnt(4)
	v_fmac_f64_e32 v[114:115], v[112:113], v[230:231]
	v_add_f64 v[2:3], v[2:3], v[114:115]
	ds_read_b128 v[114:117], v240 offset:2000
	v_accvgpr_read_b32 v241, a231
	v_accvgpr_read_b32 v240, a230
	s_waitcnt vmcnt(2) lgkmcnt(0)
	v_mul_f64 v[128:129], v[114:115], v[232:233]
	s_waitcnt vmcnt(0)
	v_fmac_f64_e32 v[128:129], v[116:117], v[246:247]
	v_add_f64 v[128:129], v[2:3], v[128:129]
	v_accvgpr_read_b32 v2, a228
	v_accvgpr_read_b32 v3, a229
	v_add_f64 v[2:3], v[2:3], 0
	v_add_f64 v[2:3], v[2:3], v[240:241]
	v_accvgpr_read_b32 v241, a233
	v_accvgpr_read_b32 v240, a232
	v_add_f64 v[2:3], v[2:3], v[240:241]
	v_add_f64 v[2:3], v[2:3], v[238:239]
	;; [unrolled: 1-line block ×27, first 2 shown]
	buffer_load_dword v2, off, s[0:3], 0 offset:48
	buffer_load_dword v3, off, s[0:3], 0 offset:52
	;; [unrolled: 1-line block ×4, first 2 shown]
	v_accvgpr_read_b32 v16, a190
	v_accvgpr_read_b32 v14, a194
	;; [unrolled: 1-line block ×5, first 2 shown]
	v_mul_f64 v[14:15], v[18:19], v[14:15]
	v_accvgpr_read_b32 v18, a196
	v_add_f64 v[12:13], v[12:13], v[24:25]
	v_accvgpr_read_b32 v17, a191
	v_accvgpr_read_b32 v19, a197
	v_add_f64 v[12:13], v[12:13], v[250:251]
	v_fma_f64 v[14:15], v[16:17], v[18:19], -v[14:15]
	v_add_f64 v[12:13], v[12:13], v[14:15]
	v_accvgpr_read_b32 v16, a198
	v_accvgpr_read_b32 v14, a206
	;; [unrolled: 1-line block ×5, first 2 shown]
	v_mul_f64 v[14:15], v[18:19], v[14:15]
	v_accvgpr_read_b32 v18, a210
	v_accvgpr_read_b32 v17, a199
	;; [unrolled: 1-line block ×3, first 2 shown]
	v_fma_f64 v[14:15], v[16:17], v[18:19], -v[14:15]
	v_add_f64 v[12:13], v[12:13], v[14:15]
	v_accvgpr_read_b32 v16, a202
	v_accvgpr_read_b32 v14, a208
	v_accvgpr_read_b32 v18, a204
	v_accvgpr_read_b32 v19, a205
	v_accvgpr_read_b32 v15, a209
	v_mul_f64 v[14:15], v[18:19], v[14:15]
	v_accvgpr_read_b32 v18, a212
	v_accvgpr_read_b32 v17, a203
	;; [unrolled: 1-line block ×3, first 2 shown]
	v_fma_f64 v[14:15], v[16:17], v[18:19], -v[14:15]
	v_add_f64 v[12:13], v[12:13], v[14:15]
	v_accvgpr_read_b32 v14, a214
	v_accvgpr_read_b32 v15, a215
	v_accvgpr_read_b32 v16, a216
	v_mul_f64 v[14:15], v[148:149], v[14:15]
	v_accvgpr_read_b32 v17, a217
	v_fma_f64 v[14:15], v[146:147], v[16:17], -v[14:15]
	v_add_f64 v[12:13], v[12:13], v[14:15]
	v_accvgpr_read_b32 v14, a218
	v_accvgpr_read_b32 v15, a219
	v_accvgpr_read_b32 v16, a220
	v_mul_f64 v[14:15], v[140:141], v[14:15]
	v_accvgpr_read_b32 v17, a221
	;; [unrolled: 7-line block ×3, first 2 shown]
	v_fma_f64 v[14:15], v[120:121], v[16:17], -v[14:15]
	v_accvgpr_read_b32 v16, a226
	v_add_f64 v[12:13], v[12:13], v[14:15]
	v_mul_f64 v[14:15], v[152:153], v[234:235]
	v_accvgpr_read_b32 v17, a227
	v_fma_f64 v[14:15], v[150:151], v[16:17], -v[14:15]
	v_add_f64 v[12:13], v[12:13], v[14:15]
	v_mul_f64 v[14:15], v[254:255], v[132:133]
	v_fma_f64 v[14:15], v[252:253], v[124:125], -v[14:15]
	v_add_f64 v[12:13], v[12:13], v[14:15]
	v_mul_f64 v[14:15], v[36:37], v[156:157]
	;; [unrolled: 3-line block ×12, first 2 shown]
	v_fma_f64 v[14:15], v[74:75], v[194:195], -v[14:15]
	v_add_f64 v[12:13], v[12:13], v[14:15]
	v_add_f64 v[8:9], v[12:13], v[8:9]
	;; [unrolled: 1-line block ×3, first 2 shown]
	v_mul_f64 v[10:11], v[88:89], v[196:197]
	v_fma_f64 v[10:11], v[86:87], v[202:203], -v[10:11]
	v_add_f64 v[8:9], v[8:9], v[10:11]
	v_mul_f64 v[10:11], v[92:93], v[208:209]
	v_fma_f64 v[10:11], v[90:91], v[210:211], -v[10:11]
	v_add_f64 v[8:9], v[8:9], v[10:11]
	v_add_f64 v[4:5], v[8:9], v[4:5]
	;; [unrolled: 1-line block ×3, first 2 shown]
	v_mul_f64 v[6:7], v[104:105], v[220:221]
	v_fma_f64 v[6:7], v[102:103], v[222:223], -v[6:7]
	v_add_f64 v[4:5], v[4:5], v[6:7]
	v_mul_f64 v[6:7], v[108:109], v[224:225]
	v_fma_f64 v[6:7], v[106:107], v[226:227], -v[6:7]
	v_add_f64 v[4:5], v[4:5], v[6:7]
	;; [unrolled: 3-line block ×4, first 2 shown]
	s_waitcnt vmcnt(2)
	v_add_f64 v[2:3], v[2:3], -v[4:5]
	s_waitcnt vmcnt(0)
	v_add_f64 v[0:1], v[0:1], -v[128:129]
	buffer_store_dword v3, off, s[0:3], 0 offset:52
	buffer_store_dword v2, off, s[0:3], 0 offset:48
	;; [unrolled: 1-line block ×4, first 2 shown]
	v_accvgpr_read_b32 v0, a188
	v_cmp_lt_u32_e32 vcc, 1, v0
	s_and_saveexec_b64 s[4:5], vcc
	s_cbranch_execz .LBB126_401
; %bb.400:
	v_accvgpr_read_b32 v3, a187
	buffer_load_dword v0, v3, s[0:3], 0 offen
	buffer_load_dword v1, v3, s[0:3], 0 offen offset:4
	buffer_load_dword v2, v3, s[0:3], 0 offen offset:8
	s_nop 0
	buffer_load_dword v3, v3, s[0:3], 0 offen offset:12
	v_mov_b32_e32 v4, 0
	v_accvgpr_read_b32 v5, a189
	buffer_store_dword v4, off, s[0:3], 0 offset:32
	buffer_store_dword v4, off, s[0:3], 0 offset:36
	;; [unrolled: 1-line block ×4, first 2 shown]
	s_waitcnt vmcnt(4)
	ds_write_b128 v5, v[0:3]
.LBB126_401:
	s_or_b64 exec, exec, s[4:5]
	s_waitcnt lgkmcnt(0)
	; wave barrier
	s_waitcnt lgkmcnt(0)
	buffer_load_dword v2, off, s[0:3], 0 offset:48
	buffer_load_dword v3, off, s[0:3], 0 offset:52
	;; [unrolled: 1-line block ×18, first 2 shown]
	v_mov_b32_e32 v234, 0
	s_waitcnt vmcnt(0)
	v_pk_mov_b32 v[24:25], v[6:7], v[6:7] op_sel:[0,1]
	buffer_load_dword v21, off, s[0:3], 0 offset:148
	buffer_load_dword v20, off, s[0:3], 0 offset:144
	;; [unrolled: 1-line block ×36, first 2 shown]
	ds_read_b128 v[128:131], v234 offset:1040
	ds_read_b128 v[132:135], v234 offset:1056
	;; [unrolled: 1-line block ×9, first 2 shown]
	s_waitcnt lgkmcnt(7)
	v_mul_f64 v[14:15], v[132:133], v[0:1]
	s_waitcnt lgkmcnt(6)
	v_mul_f64 v[16:17], v[136:137], v[230:231]
	v_fmac_f64_e32 v[14:15], v[134:135], v[66:67]
	s_waitcnt lgkmcnt(5)
	v_mul_f64 v[38:39], v[142:143], v[8:9]
	s_waitcnt lgkmcnt(4)
	v_mul_f64 v[40:41], v[148:149], v[98:99]
	v_fmac_f64_e32 v[40:41], v[150:151], v[4:5]
	s_waitcnt lgkmcnt(2)
	v_mul_f64 v[44:45], v[160:161], v[24:25]
	v_accvgpr_write_b32 a193, v25
	v_accvgpr_write_b32 a192, v24
	v_mul_f64 v[0:1], v[134:135], v[0:1]
	v_fma_f64 v[0:1], v[132:133], v[66:67], -v[0:1]
	v_accvgpr_write_b32 a243, v1
	v_accvgpr_write_b32 a242, v0
	v_mul_f64 v[0:1], v[138:139], v[230:231]
	s_waitcnt vmcnt(28)
	v_fmac_f64_e32 v[16:17], v[138:139], v[30:31]
	v_fma_f64 v[0:1], v[136:137], v[30:31], -v[0:1]
	s_waitcnt vmcnt(26)
	v_fmac_f64_e32 v[38:39], v[144:145], v[28:29]
	v_accvgpr_write_b32 a245, v1
	v_accvgpr_write_b32 a244, v0
	v_fmac_f64_e32 v[44:45], v[162:163], v[20:21]
	v_mul_f64 v[0:1], v[144:145], v[8:9]
	v_mul_f64 v[42:43], v[152:153], v[6:7]
	s_waitcnt vmcnt(24)
	v_fmac_f64_e32 v[42:43], v[154:155], v[96:97]
	v_pk_mov_b32 v[22:23], v[12:13], v[12:13] op_sel:[0,1]
	v_mul_f64 v[12:13], v[128:129], v[10:11]
	v_fmac_f64_e32 v[12:13], v[130:131], v[2:3]
	v_add_f64 v[12:13], v[12:13], 0
	v_add_f64 v[12:13], v[12:13], v[14:15]
	;; [unrolled: 1-line block ×7, first 2 shown]
	buffer_load_dword v109, off, s[0:3], 0 offset:276
	buffer_load_dword v108, off, s[0:3], 0 offset:272
	;; [unrolled: 1-line block ×62, first 2 shown]
	ds_read_b128 v[174:177], v234 offset:1184
	ds_read_b128 v[178:181], v234 offset:1200
	s_waitcnt lgkmcnt(3)
	v_mul_f64 v[68:69], v[166:167], v[22:23]
	s_waitcnt vmcnt(62)
	v_fmac_f64_e32 v[68:69], v[168:169], v[18:19]
	s_waitcnt lgkmcnt(2)
	v_mul_f64 v[14:15], v[170:171], v[250:251]
	v_add_f64 v[12:13], v[12:13], v[68:69]
	v_fmac_f64_e32 v[14:15], v[172:173], v[232:233]
	ds_read_b128 v[182:185], v234 offset:1216
	ds_read_b128 v[186:189], v234 offset:1232
	v_add_f64 v[12:13], v[12:13], v[14:15]
	s_waitcnt lgkmcnt(3)
	v_mul_f64 v[14:15], v[174:175], v[124:125]
	v_fmac_f64_e32 v[14:15], v[176:177], v[126:127]
	v_add_f64 v[12:13], v[12:13], v[14:15]
	s_waitcnt lgkmcnt(2)
	v_mul_f64 v[14:15], v[178:179], v[34:35]
	v_fmac_f64_e32 v[14:15], v[180:181], v[248:249]
	ds_read_b128 v[190:193], v234 offset:1248
	ds_read_b128 v[194:197], v234 offset:1264
	v_add_f64 v[12:13], v[12:13], v[14:15]
	s_waitcnt lgkmcnt(3)
	v_mul_f64 v[14:15], v[182:183], v[92:93]
	v_fmac_f64_e32 v[14:15], v[184:185], v[94:95]
	v_add_f64 v[12:13], v[12:13], v[14:15]
	s_waitcnt lgkmcnt(2)
	v_mul_f64 v[14:15], v[186:187], v[74:75]
	v_fmac_f64_e32 v[14:15], v[188:189], v[76:77]
	ds_read_b128 v[198:201], v234 offset:1280
	ds_read_b128 v[206:209], v234 offset:1296
	v_add_f64 v[12:13], v[12:13], v[14:15]
	s_waitcnt vmcnt(58) lgkmcnt(3)
	v_mul_f64 v[14:15], v[190:191], v[26:27]
	s_waitcnt vmcnt(56)
	v_fmac_f64_e32 v[14:15], v[192:193], v[238:239]
	v_add_f64 v[12:13], v[12:13], v[14:15]
	s_waitcnt lgkmcnt(2)
	v_mul_f64 v[14:15], v[194:195], v[62:63]
	v_fmac_f64_e32 v[14:15], v[196:197], v[108:109]
	ds_read_b128 v[210:213], v234 offset:1312
	ds_read_b128 v[214:217], v234 offset:1328
	v_add_f64 v[12:13], v[12:13], v[14:15]
	s_waitcnt vmcnt(50) lgkmcnt(3)
	v_mul_f64 v[14:15], v[198:199], v[158:159]
	s_waitcnt vmcnt(48)
	;; [unrolled: 11-line block ×4, first 2 shown]
	v_fmac_f64_e32 v[14:15], v[220:221], v[16:17]
	v_add_f64 v[12:13], v[12:13], v[14:15]
	s_waitcnt lgkmcnt(2)
	v_mul_f64 v[14:15], v[222:223], v[80:81]
	v_fmac_f64_e32 v[14:15], v[224:225], v[86:87]
	v_add_f64 v[12:13], v[12:13], v[14:15]
	s_waitcnt vmcnt(26) lgkmcnt(1)
	v_mul_f64 v[14:15], v[226:227], v[84:85]
	s_waitcnt vmcnt(24)
	v_fmac_f64_e32 v[14:15], v[228:229], v[90:91]
	v_add_f64 v[12:13], v[12:13], v[14:15]
	s_waitcnt lgkmcnt(0)
	v_mul_f64 v[14:15], v[120:121], v[78:79]
	v_fmac_f64_e32 v[14:15], v[122:123], v[72:73]
	ds_read_b128 v[244:247], v234 offset:1408
	buffer_load_dword v203, off, s[0:3], 0 offset:524
	buffer_load_dword v202, off, s[0:3], 0 offset:520
	;; [unrolled: 1-line block ×4, first 2 shown]
	v_add_f64 v[38:39], v[12:13], v[14:15]
	ds_read_b128 v[12:15], v234 offset:1424
	buffer_load_dword v111, off, s[0:3], 0 offset:540
	buffer_load_dword v110, off, s[0:3], 0 offset:536
	;; [unrolled: 1-line block ×10, first 2 shown]
	v_accvgpr_write_b32 a191, v23
	v_accvgpr_write_b32 a190, v22
	v_mul_f64 v[10:11], v[130:131], v[10:11]
	v_fma_f64 v[2:3], v[128:129], v[2:3], -v[10:11]
	s_waitcnt vmcnt(32) lgkmcnt(1)
	v_mul_f64 v[40:41], v[244:245], v[64:65]
	v_accvgpr_write_b32 a241, v3
	s_waitcnt vmcnt(30)
	v_fmac_f64_e32 v[40:41], v[246:247], v[70:71]
	v_accvgpr_write_b32 a240, v2
	s_waitcnt lgkmcnt(0)
	v_mul_f64 v[2:3], v[12:13], v[46:47]
	v_add_f64 v[38:39], v[38:39], v[40:41]
	v_fmac_f64_e32 v[2:3], v[14:15], v[48:49]
	v_add_f64 v[2:3], v[38:39], v[2:3]
	v_fma_f64 v[136:137], v[142:143], v[28:29], -v[0:1]
	v_mul_f64 v[0:1], v[150:151], v[98:99]
	v_fma_f64 v[134:135], v[148:149], v[4:5], -v[0:1]
	v_mul_f64 v[0:1], v[154:155], v[6:7]
	v_fma_f64 v[142:143], v[152:153], v[96:97], -v[0:1]
	v_accvgpr_read_b32 v0, a192
	v_accvgpr_read_b32 v1, a193
	v_mul_f64 v[74:75], v[188:189], v[74:75]
	v_mul_f64 v[26:27], v[192:193], v[26:27]
	v_mul_f64 v[82:83], v[216:217], v[82:83]
	v_fma_f64 v[82:83], v[214:215], v[88:89], -v[82:83]
	v_mul_f64 v[88:89], v[220:221], v[44:45]
	v_mul_f64 v[84:85], v[228:229], v[84:85]
	;; [unrolled: 1-line block ×4, first 2 shown]
	v_fma_f64 v[90:91], v[226:227], v[90:91], -v[84:85]
	v_fma_f64 v[120:121], v[120:121], v[72:73], -v[78:79]
	v_mul_f64 v[64:65], v[246:247], v[64:65]
	v_mul_f64 v[80:81], v[224:225], v[80:81]
	v_fma_f64 v[80:81], v[222:223], v[86:87], -v[80:81]
	v_mul_f64 v[14:15], v[14:15], v[46:47]
	v_fma_f64 v[62:63], v[194:195], v[108:109], -v[62:63]
	v_fma_f64 v[194:195], v[218:219], v[16:17], -v[88:89]
	s_waitcnt vmcnt(0)
	v_pk_mov_b32 v[146:147], v[42:43], v[42:43] op_sel:[0,1]
	buffer_load_dword v25, off, s[0:3], 0 offset:564
	buffer_load_dword v24, off, s[0:3], 0 offset:560
	buffer_load_dword v23, off, s[0:3], 0 offset:588
	buffer_load_dword v22, off, s[0:3], 0 offset:584
	buffer_load_dword v43, off, s[0:3], 0 offset:580
	buffer_load_dword v42, off, s[0:3], 0 offset:576
	ds_read_b128 v[252:255], v234 offset:1440
	buffer_load_dword v130, off, s[0:3], 0 offset:600
	buffer_load_dword v236, off, s[0:3], 0 offset:592
	;; [unrolled: 1-line block ×8, first 2 shown]
	ds_read_b128 v[66:69], v234 offset:1456
	v_accvgpr_write_b32 a199, v147
	s_waitcnt lgkmcnt(1)
	v_mul_f64 v[10:11], v[252:253], v[50:51]
	v_fmac_f64_e32 v[10:11], v[254:255], v[52:53]
	v_add_f64 v[10:11], v[2:3], v[10:11]
	buffer_load_dword v3, off, s[0:3], 0 offset:636
	buffer_load_dword v2, off, s[0:3], 0 offset:632
	s_waitcnt lgkmcnt(0)
	v_mul_f64 v[4:5], v[66:67], v[54:55]
	v_fmac_f64_e32 v[4:5], v[68:69], v[36:37]
	v_add_f64 v[4:5], v[10:11], v[4:5]
	v_accvgpr_write_b32 a198, v146
	v_mul_f64 v[46:47], v[254:255], v[50:51]
	v_fma_f64 v[252:253], v[252:253], v[52:53], -v[46:47]
	v_mul_f64 v[54:55], v[68:69], v[54:55]
	v_fma_f64 v[254:255], v[66:67], v[36:37], -v[54:55]
	v_accvgpr_read_b32 v54, a242
	v_accvgpr_read_b32 v55, a243
	s_waitcnt vmcnt(14)
	v_accvgpr_write_b32 a203, v25
	v_accvgpr_write_b32 a202, v24
	s_waitcnt vmcnt(12)
	v_accvgpr_write_b32 a201, v23
	v_accvgpr_write_b32 a200, v22
	;; [unrolled: 3-line block ×4, first 2 shown]
	s_waitcnt vmcnt(4)
	v_accvgpr_write_b32 a220, v242
	s_waitcnt vmcnt(2)
	v_accvgpr_write_b32 a218, v240
	v_accvgpr_write_b32 a221, v243
	;; [unrolled: 1-line block ×4, first 2 shown]
	s_waitcnt vmcnt(0)
	v_pk_mov_b32 v[138:139], v[2:3], v[2:3] op_sel:[0,1]
	buffer_load_dword v3, off, s[0:3], 0 offset:628
	buffer_load_dword v2, off, s[0:3], 0 offset:624
	;; [unrolled: 1-line block ×10, first 2 shown]
	ds_read_b128 v[38:41], v234 offset:1472
	ds_read_b128 v[28:31], v234 offset:1488
	;; [unrolled: 1-line block ×5, first 2 shown]
	s_waitcnt lgkmcnt(4)
	v_mul_f64 v[6:7], v[38:39], v[32:33]
	v_fmac_f64_e32 v[6:7], v[40:41], v[60:61]
	v_add_f64 v[4:5], v[4:5], v[6:7]
	s_waitcnt lgkmcnt(3)
	v_mul_f64 v[6:7], v[28:29], v[140:141]
	v_fmac_f64_e32 v[6:7], v[30:31], v[118:119]
	v_add_f64 v[8:9], v[4:5], v[6:7]
	v_mul_f64 v[4:5], v[162:163], v[0:1]
	v_fma_f64 v[132:133], v[160:161], v[20:21], -v[4:5]
	ds_read_b128 v[4:7], v234 offset:1520
	s_waitcnt lgkmcnt(3)
	v_mul_f64 v[10:11], v[96:97], v[202:203]
	v_accvgpr_read_b32 v0, a190
	v_fmac_f64_e32 v[10:11], v[98:99], v[204:205]
	v_accvgpr_read_b32 v1, a191
	v_add_f64 v[20:21], v[8:9], v[10:11]
	v_mul_f64 v[8:9], v[168:169], v[0:1]
	v_fma_f64 v[144:145], v[166:167], v[18:19], -v[8:9]
	ds_read_b128 v[8:11], v234 offset:1536
	s_waitcnt lgkmcnt(1)
	v_mul_f64 v[18:19], v[4:5], v[110:111]
	v_fmac_f64_e32 v[18:19], v[6:7], v[114:115]
	v_add_f64 v[18:19], v[20:21], v[18:19]
	v_mul_f64 v[20:21], v[172:173], v[250:251]
	v_fma_f64 v[128:129], v[170:171], v[232:233], -v[20:21]
	s_waitcnt lgkmcnt(0)
	v_mul_f64 v[20:21], v[8:9], v[112:113]
	v_fmac_f64_e32 v[20:21], v[10:11], v[116:117]
	v_add_f64 v[18:19], v[18:19], v[20:21]
	v_mul_f64 v[20:21], v[148:149], v[146:147]
	v_fmac_f64_e32 v[20:21], v[150:151], v[24:25]
	v_accvgpr_write_b32 a193, v151
	v_accvgpr_write_b32 a192, v150
	v_accvgpr_write_b32 a191, v149
	v_accvgpr_write_b32 a190, v148
	v_add_f64 v[18:19], v[18:19], v[20:21]
	ds_read_b128 v[146:149], v234 offset:1600
	v_mul_f64 v[20:21], v[152:153], v[22:23]
	v_mul_f64 v[22:23], v[176:177], v[124:125]
	v_fma_f64 v[250:251], v[174:175], v[126:127], -v[22:23]
	ds_read_b128 v[22:25], v234 offset:1584
	v_fmac_f64_e32 v[20:21], v[154:155], v[42:43]
	v_add_f64 v[18:19], v[18:19], v[20:21]
	v_mul_f64 v[20:21], v[180:181], v[34:35]
	v_fma_f64 v[42:43], v[178:179], v[248:249], -v[20:21]
	s_waitcnt lgkmcnt(0)
	v_pk_mov_b32 v[20:21], v[22:23], v[22:23] op_sel:[0,1]
	v_pk_mov_b32 v[22:23], v[24:25], v[24:25] op_sel:[0,1]
	v_mul_f64 v[24:25], v[20:21], v[130:131]
	v_fmac_f64_e32 v[24:25], v[22:23], v[236:237]
	v_add_f64 v[124:125], v[18:19], v[24:25]
	v_mul_f64 v[18:19], v[184:185], v[92:93]
	v_mul_f64 v[92:93], v[146:147], v[242:243]
	v_fmac_f64_e32 v[92:93], v[148:149], v[240:241]
	buffer_load_dword v1, off, s[0:3], 0 offset:684
	buffer_load_dword v0, off, s[0:3], 0 offset:680
	;; [unrolled: 1-line block ×4, first 2 shown]
	v_fma_f64 v[24:25], v[182:183], v[94:95], -v[18:19]
	buffer_load_dword v19, off, s[0:3], 0 offset:676
	buffer_load_dword v18, off, s[0:3], 0 offset:672
	;; [unrolled: 1-line block ×3, first 2 shown]
	v_add_f64 v[92:93], v[124:125], v[92:93]
	ds_read_b128 v[124:127], v234 offset:1616
	v_accvgpr_write_b32 a217, v149
	v_accvgpr_write_b32 a216, v148
	;; [unrolled: 1-line block ×4, first 2 shown]
	ds_read_b128 v[146:149], v234 offset:1632
	v_accvgpr_write_b32 a209, v23
	ds_read_b128 v[240:243], v234 offset:1648
	v_accvgpr_write_b32 a208, v22
	v_accvgpr_write_b32 a207, v21
	;; [unrolled: 1-line block ×3, first 2 shown]
	v_fma_f64 v[22:23], v[186:187], v[76:77], -v[74:75]
	s_waitcnt lgkmcnt(2)
	v_mul_f64 v[74:75], v[124:125], v[138:139]
	v_accvgpr_write_b32 a197, v155
	v_accvgpr_write_b32 a196, v154
	;; [unrolled: 1-line block ×4, first 2 shown]
	ds_read_b128 v[152:155], v234 offset:1664
	buffer_load_dword v237, off, s[0:3], 0 offset:692
	s_waitcnt vmcnt(16)
	v_fmac_f64_e32 v[74:75], v[126:127], v[2:3]
	v_add_f64 v[74:75], v[92:93], v[74:75]
	s_waitcnt vmcnt(13) lgkmcnt(2)
	v_mul_f64 v[92:93], v[146:147], v[156:157]
	s_waitcnt vmcnt(11)
	v_fmac_f64_e32 v[92:93], v[148:149], v[56:57]
	v_accvgpr_write_b32 a233, v149
	v_add_f64 v[74:75], v[74:75], v[92:93]
	s_waitcnt vmcnt(10) lgkmcnt(1)
	v_mul_f64 v[92:93], v[240:241], v[230:231]
	s_waitcnt vmcnt(8)
	v_accvgpr_write_b32 a237, v59
	v_accvgpr_write_b32 a232, v148
	;; [unrolled: 1-line block ×4, first 2 shown]
	v_fmac_f64_e32 v[92:93], v[242:243], v[58:59]
	v_accvgpr_write_b32 a236, v58
	buffer_load_dword v147, off, s[0:3], 0 offset:716
	buffer_load_dword v146, off, s[0:3], 0 offset:712
	;; [unrolled: 1-line block ×6, first 2 shown]
	v_fma_f64 v[76:77], v[190:191], v[238:239], -v[26:27]
	v_add_f64 v[74:75], v[74:75], v[92:93]
	v_mul_f64 v[92:93], v[200:201], v[158:159]
	buffer_load_dword v159, off, s[0:3], 0 offset:724
	buffer_load_dword v158, off, s[0:3], 0 offset:720
	;; [unrolled: 1-line block ×3, first 2 shown]
	v_accvgpr_write_b32 a225, v127
	v_accvgpr_write_b32 a210, v130
	;; [unrolled: 1-line block ×5, first 2 shown]
	buffer_load_dword v27, off, s[0:3], 0 offset:748
	buffer_load_dword v26, off, s[0:3], 0 offset:744
	;; [unrolled: 1-line block ×27, first 2 shown]
	v_fma_f64 v[198:199], v[198:199], v[164:165], -v[92:93]
	v_mul_f64 v[92:93], v[208:209], v[100:101]
	buffer_load_dword v123, off, s[0:3], 0 offset:860
	buffer_load_dword v122, off, s[0:3], 0 offset:856
	;; [unrolled: 1-line block ×12, first 2 shown]
	ds_read_b128 v[148:151], v234 offset:1680
	v_fma_f64 v[92:93], v[206:207], v[102:103], -v[92:93]
	v_fma_f64 v[206:207], v[244:245], v[70:71], -v[64:65]
	buffer_load_dword v65, off, s[0:3], 0 offset:908
	buffer_load_dword v64, off, s[0:3], 0 offset:904
	buffer_load_dword v201, off, s[0:3], 0 offset:900
	buffer_load_dword v200, off, s[0:3], 0 offset:896
	ds_read_b128 v[244:247], v234 offset:1696
	ds_read_b128 v[164:167], v234 offset:1712
	v_fma_f64 v[20:21], v[12:13], v[48:49], -v[14:15]
	ds_read_b128 v[46:49], v234 offset:1728
	ds_read_b128 v[160:163], v234 offset:1760
	;; [unrolled: 1-line block ×3, first 2 shown]
	v_mul_f64 v[40:41], v[40:41], v[32:33]
	v_accvgpr_write_b32 a229, v3
	v_accvgpr_write_b32 a228, v2
	;; [unrolled: 1-line block ×3, first 2 shown]
	v_mul_f64 v[2:3], v[30:31], v[140:141]
	v_accvgpr_write_b32 a238, v56
	v_mul_f64 v[16:17], v[98:99], v[202:203]
	v_fma_f64 v[16:17], v[96:97], v[204:205], -v[16:17]
	ds_read_b128 v[30:33], v234 offset:1856
	v_mul_f64 v[94:95], v[212:213], v[104:105]
	v_fma_f64 v[192:193], v[210:211], v[106:107], -v[94:95]
	v_accvgpr_write_b32 a235, v157
	v_accvgpr_write_b32 a234, v156
	v_accvgpr_write_b32 a227, v139
	v_accvgpr_write_b32 a226, v138
	s_waitcnt vmcnt(58) lgkmcnt(7)
	v_mul_f64 v[86:87], v[152:153], v[0:1]
	v_pk_mov_b32 v[156:157], v[0:1], v[0:1] op_sel:[0,1]
	s_waitcnt vmcnt(54)
	v_fmac_f64_e32 v[86:87], v[154:155], v[18:19]
	s_waitcnt vmcnt(53) lgkmcnt(6)
	v_mul_f64 v[72:73], v[148:149], v[232:233]
	v_add_f64 v[70:71], v[74:75], v[86:87]
	v_fma_f64 v[74:75], v[38:39], v[60:61], -v[40:41]
	v_pk_mov_b32 v[56:57], v[18:19], v[18:19] op_sel:[0,1]
	v_fma_f64 v[18:19], v[28:29], v[118:119], -v[2:3]
	ds_read_b128 v[86:89], v234 offset:1888
	ds_read_b128 v[168:171], v234 offset:1840
	s_waitcnt vmcnt(52)
	v_fmac_f64_e32 v[72:73], v[150:151], v[236:237]
	v_add_f64 v[70:71], v[70:71], v[72:73]
	s_waitcnt vmcnt(50) lgkmcnt(7)
	v_mul_f64 v[14:15], v[244:245], v[146:147]
	s_waitcnt vmcnt(48)
	v_fmac_f64_e32 v[14:15], v[246:247], v[58:59]
	v_add_f64 v[14:15], v[70:71], v[14:15]
	s_waitcnt vmcnt(46) lgkmcnt(6)
	v_mul_f64 v[50:51], v[164:165], v[34:35]
	ds_read_b128 v[70:73], v234 offset:1824
	s_waitcnt vmcnt(44)
	v_fmac_f64_e32 v[50:51], v[166:167], v[158:159]
	v_add_f64 v[14:15], v[14:15], v[50:51]
	ds_read_b128 v[50:53], v234 offset:1744
	s_waitcnt vmcnt(41) lgkmcnt(7)
	v_mul_f64 v[66:67], v[46:47], v[26:27]
	s_waitcnt vmcnt(39)
	v_fmac_f64_e32 v[66:67], v[48:49], v[172:173]
	v_add_f64 v[14:15], v[14:15], v[66:67]
	s_waitcnt vmcnt(33) lgkmcnt(6)
	v_mul_f64 v[38:39], v[160:161], v[176:177]
	s_waitcnt lgkmcnt(0)
	v_mul_f64 v[66:67], v[50:51], v[238:239]
	v_fmac_f64_e32 v[66:67], v[52:53], v[126:127]
	v_add_f64 v[14:15], v[14:15], v[66:67]
	s_waitcnt vmcnt(31)
	v_fmac_f64_e32 v[38:39], v[162:163], v[178:179]
	v_add_f64 v[14:15], v[14:15], v[38:39]
	s_waitcnt vmcnt(29)
	v_mul_f64 v[38:39], v[180:181], v[130:131]
	s_waitcnt vmcnt(28)
	v_fmac_f64_e32 v[38:39], v[182:183], v[174:175]
	v_add_f64 v[14:15], v[14:15], v[38:39]
	ds_read_b128 v[38:41], v234 offset:1792
	ds_read_b128 v[66:69], v234 offset:1808
	s_waitcnt vmcnt(26) lgkmcnt(1)
	v_mul_f64 v[2:3], v[38:39], v[44:45]
	s_waitcnt vmcnt(24)
	v_fmac_f64_e32 v[2:3], v[40:41], v[124:125]
	v_add_f64 v[2:3], v[14:15], v[2:3]
	s_waitcnt vmcnt(22) lgkmcnt(0)
	v_mul_f64 v[14:15], v[66:67], v[184:185]
	s_waitcnt vmcnt(20)
	v_fmac_f64_e32 v[14:15], v[68:69], v[188:189]
	v_add_f64 v[2:3], v[2:3], v[14:15]
	s_waitcnt vmcnt(18)
	v_mul_f64 v[14:15], v[70:71], v[186:187]
	s_waitcnt vmcnt(16)
	v_fmac_f64_e32 v[14:15], v[72:73], v[190:191]
	v_add_f64 v[14:15], v[2:3], v[14:15]
	v_mul_f64 v[2:3], v[6:7], v[110:111]
	v_fma_f64 v[12:13], v[4:5], v[114:115], -v[2:3]
	v_mul_f64 v[2:3], v[10:11], v[112:113]
	v_fma_f64 v[2:3], v[8:9], v[116:117], -v[2:3]
	ds_read_b128 v[8:11], v234 offset:1872
	buffer_load_dword v202, off, s[0:3], 0 offset:920
	buffer_load_dword v203, off, s[0:3], 0 offset:924
	;; [unrolled: 1-line block ×4, first 2 shown]
	s_waitcnt vmcnt(18)
	v_mul_f64 v[4:5], v[168:169], v[122:123]
	s_waitcnt vmcnt(16)
	v_fmac_f64_e32 v[4:5], v[170:171], v[226:227]
	s_waitcnt vmcnt(13)
	v_mul_f64 v[6:7], v[30:31], v[196:197]
	v_add_f64 v[4:5], v[14:15], v[4:5]
	s_waitcnt vmcnt(11)
	v_fmac_f64_e32 v[6:7], v[32:33], v[248:249]
	v_add_f64 v[4:5], v[4:5], v[6:7]
	s_waitcnt vmcnt(9) lgkmcnt(0)
	v_mul_f64 v[6:7], v[8:9], v[78:79]
	s_waitcnt vmcnt(8)
	v_fmac_f64_e32 v[6:7], v[10:11], v[84:85]
	v_add_f64 v[4:5], v[4:5], v[6:7]
	s_waitcnt vmcnt(6)
	v_mul_f64 v[6:7], v[86:87], v[64:65]
	s_waitcnt vmcnt(4)
	v_fmac_f64_e32 v[6:7], v[88:89], v[200:201]
	v_add_f64 v[14:15], v[4:5], v[6:7]
	ds_read_b128 v[4:7], v234 offset:1904
	s_waitcnt vmcnt(2) lgkmcnt(0)
	v_mul_f64 v[94:95], v[4:5], v[202:203]
	s_waitcnt vmcnt(0)
	v_fmac_f64_e32 v[94:95], v[6:7], v[204:205]
	v_add_f64 v[98:99], v[14:15], v[94:95]
	buffer_load_dword v15, off, s[0:3], 0 offset:940
	buffer_load_dword v14, off, s[0:3], 0 offset:936
	;; [unrolled: 1-line block ×4, first 2 shown]
	ds_read_b128 v[94:97], v234 offset:1920
	buffer_load_dword v210, off, s[0:3], 0 offset:952
	buffer_load_dword v211, off, s[0:3], 0 offset:956
	buffer_load_dword v212, off, s[0:3], 0 offset:944
	buffer_load_dword v213, off, s[0:3], 0 offset:948
	s_waitcnt vmcnt(6) lgkmcnt(0)
	v_mul_f64 v[100:101], v[94:95], v[14:15]
	s_waitcnt vmcnt(4)
	v_fmac_f64_e32 v[100:101], v[96:97], v[208:209]
	v_add_f64 v[102:103], v[98:99], v[100:101]
	ds_read_b128 v[98:101], v234 offset:1936
	buffer_load_dword v215, off, s[0:3], 0 offset:972
	buffer_load_dword v214, off, s[0:3], 0 offset:968
	buffer_load_dword v217, off, s[0:3], 0 offset:964
	buffer_load_dword v216, off, s[0:3], 0 offset:960
	s_waitcnt vmcnt(6) lgkmcnt(0)
	v_mul_f64 v[104:105], v[98:99], v[210:211]
	s_waitcnt vmcnt(4)
	v_fmac_f64_e32 v[104:105], v[100:101], v[212:213]
	v_add_f64 v[106:107], v[102:103], v[104:105]
	;; [unrolled: 10-line block ×5, first 2 shown]
	ds_read_b128 v[114:117], v234 offset:2000
	s_waitcnt vmcnt(2) lgkmcnt(0)
	v_mul_f64 v[138:139], v[114:115], v[228:229]
	s_waitcnt vmcnt(0)
	v_fmac_f64_e32 v[138:139], v[116:117], v[28:29]
	v_add_f64 v[36:37], v[0:1], v[138:139]
	v_accvgpr_read_b32 v0, a240
	v_accvgpr_read_b32 v1, a241
	v_add_f64 v[0:1], v[0:1], 0
	v_add_f64 v[0:1], v[0:1], v[54:55]
	v_accvgpr_read_b32 v54, a244
	v_accvgpr_read_b32 v55, a245
	v_add_f64 v[0:1], v[0:1], v[54:55]
	v_add_f64 v[0:1], v[0:1], v[136:137]
	;; [unrolled: 1-line block ×25, first 2 shown]
	buffer_load_dword v254, off, s[0:3], 0 offset:32
	buffer_load_dword v255, off, s[0:3], 0 offset:36
	;; [unrolled: 1-line block ×4, first 2 shown]
	v_add_f64 v[0:1], v[0:1], v[74:75]
	v_add_f64 v[0:1], v[0:1], v[18:19]
	;; [unrolled: 1-line block ×5, first 2 shown]
	v_accvgpr_read_b32 v16, a190
	v_accvgpr_read_b32 v2, a198
	v_accvgpr_read_b32 v18, a192
	v_accvgpr_read_b32 v19, a193
	v_accvgpr_read_b32 v3, a199
	v_accvgpr_read_b32 v12, a202
	v_accvgpr_read_b32 v17, a191
	v_mul_f64 v[2:3], v[18:19], v[2:3]
	v_accvgpr_read_b32 v13, a203
	v_fma_f64 v[2:3], v[16:17], v[12:13], -v[2:3]
	v_add_f64 v[0:1], v[0:1], v[2:3]
	v_accvgpr_read_b32 v16, a194
	v_accvgpr_read_b32 v2, a200
	v_accvgpr_read_b32 v18, a196
	v_accvgpr_read_b32 v19, a197
	v_accvgpr_read_b32 v3, a201
	v_accvgpr_read_b32 v12, a204
	v_accvgpr_read_b32 v17, a195
	v_mul_f64 v[2:3], v[18:19], v[2:3]
	v_accvgpr_read_b32 v13, a205
	v_fma_f64 v[2:3], v[16:17], v[12:13], -v[2:3]
	v_add_f64 v[0:1], v[0:1], v[2:3]
	;; [unrolled: 11-line block ×5, first 2 shown]
	v_accvgpr_read_b32 v16, a230
	v_accvgpr_read_b32 v2, a234
	;; [unrolled: 1-line block ×7, first 2 shown]
	v_mul_f64 v[2:3], v[18:19], v[2:3]
	v_accvgpr_read_b32 v13, a239
	v_fma_f64 v[2:3], v[16:17], v[12:13], -v[2:3]
	v_accvgpr_read_b32 v12, a236
	v_add_f64 v[0:1], v[0:1], v[2:3]
	v_mul_f64 v[2:3], v[242:243], v[230:231]
	v_accvgpr_read_b32 v13, a237
	v_fma_f64 v[2:3], v[240:241], v[12:13], -v[2:3]
	v_add_f64 v[0:1], v[0:1], v[2:3]
	v_mul_f64 v[2:3], v[154:155], v[156:157]
	v_fma_f64 v[2:3], v[152:153], v[56:57], -v[2:3]
	v_add_f64 v[0:1], v[0:1], v[2:3]
	v_mul_f64 v[2:3], v[150:151], v[232:233]
	;; [unrolled: 3-line block ×22, first 2 shown]
	v_fma_f64 v[2:3], v[114:115], v[28:29], -v[2:3]
	v_add_f64 v[0:1], v[0:1], v[2:3]
	s_waitcnt vmcnt(2)
	v_add_f64 v[0:1], v[254:255], -v[0:1]
	s_waitcnt vmcnt(0)
	v_add_f64 v[2:3], v[252:253], -v[36:37]
	buffer_store_dword v1, off, s[0:3], 0 offset:36
	buffer_store_dword v0, off, s[0:3], 0 offset:32
	;; [unrolled: 1-line block ×4, first 2 shown]
	v_accvgpr_read_b32 v0, a188
	v_cmp_ne_u32_e32 vcc, 0, v0
	s_and_saveexec_b64 s[4:5], vcc
	s_cbranch_execz .LBB126_403
; %bb.402:
	buffer_load_dword v0, off, s[0:3], 0 offset:16
	buffer_load_dword v1, off, s[0:3], 0 offset:20
	;; [unrolled: 1-line block ×4, first 2 shown]
	v_accvgpr_read_b32 v4, a189
	buffer_store_dword v234, off, s[0:3], 0 offset:16
	buffer_store_dword v234, off, s[0:3], 0 offset:20
	;; [unrolled: 1-line block ×4, first 2 shown]
	s_waitcnt vmcnt(4)
	ds_write_b128 v4, v[0:3]
.LBB126_403:
	s_or_b64 exec, exec, s[4:5]
	s_waitcnt lgkmcnt(0)
	; wave barrier
	s_waitcnt lgkmcnt(0)
	buffer_load_dword v0, off, s[0:3], 0 offset:32
	buffer_load_dword v1, off, s[0:3], 0 offset:36
	buffer_load_dword v4, off, s[0:3], 0 offset:40
	buffer_load_dword v5, off, s[0:3], 0 offset:44
	buffer_load_dword v24, off, s[0:3], 0 offset:48
	buffer_load_dword v25, off, s[0:3], 0 offset:52
	buffer_load_dword v2, off, s[0:3], 0 offset:56
	buffer_load_dword v3, off, s[0:3], 0 offset:60
	buffer_load_dword v16, off, s[0:3], 0 offset:72
	buffer_load_dword v17, off, s[0:3], 0 offset:76
	buffer_load_dword v7, off, s[0:3], 0 offset:108
	buffer_load_dword v6, off, s[0:3], 0 offset:104
	s_and_b64 vcc, exec, s[18:19]
	s_waitcnt vmcnt(0)
	v_pk_mov_b32 v[26:27], v[6:7], v[6:7] op_sel:[0,1]
	buffer_load_dword v239, off, s[0:3], 0 offset:100
	buffer_load_dword v238, off, s[0:3], 0 offset:96
	;; [unrolled: 1-line block ×30, first 2 shown]
	ds_read_b128 v[116:119], v234 offset:1024
	ds_read_b128 v[120:123], v234 offset:1040
	ds_read_b128 v[124:127], v234 offset:1056
	ds_read_b128 v[128:131], v234 offset:1072
	ds_read_b128 v[136:139], v234 offset:1088
	ds_read_b128 v[148:151], v234 offset:1104
	ds_read_b128 v[160:163], v234 offset:1120
	ds_read_b128 v[164:167], v234 offset:1136
	ds_read_b128 v[168:171], v234 offset:1152
	ds_read_b128 v[20:23], v234 offset:1168
	buffer_load_dword v135, off, s[0:3], 0 offset:180
	buffer_load_dword v134, off, s[0:3], 0 offset:176
	ds_read_b128 v[244:247], v234 offset:1184
	buffer_load_dword v87, off, s[0:3], 0 offset:236
	buffer_load_dword v86, off, s[0:3], 0 offset:232
	;; [unrolled: 1-line block ×6, first 2 shown]
	s_waitcnt lgkmcnt(10)
	v_mul_f64 v[8:9], v[116:117], v[4:5]
	s_waitcnt lgkmcnt(9)
	v_mul_f64 v[10:11], v[120:121], v[2:3]
	v_fmac_f64_e32 v[8:9], v[118:119], v[0:1]
	s_waitcnt lgkmcnt(8)
	v_mul_f64 v[12:13], v[124:125], v[16:17]
	v_fmac_f64_e32 v[10:11], v[122:123], v[24:25]
	v_add_f64 v[8:9], v[8:9], 0
	v_add_f64 v[8:9], v[8:9], v[10:11]
	s_waitcnt lgkmcnt(6)
	v_mul_f64 v[36:37], v[136:137], v[26:27]
	v_mul_f64 v[4:5], v[118:119], v[4:5]
	v_fma_f64 v[0:1], v[116:117], v[0:1], -v[4:5]
	v_accvgpr_write_b32 a237, v1
	v_accvgpr_write_b32 a236, v0
	v_mul_f64 v[0:1], v[122:123], v[2:3]
	v_fma_f64 v[0:1], v[120:121], v[24:25], -v[0:1]
	v_accvgpr_write_b32 a239, v1
	v_accvgpr_write_b32 a238, v0
	v_mul_f64 v[0:1], v[126:127], v[16:17]
	v_accvgpr_write_b32 a189, v27
	v_accvgpr_write_b32 a188, v26
	s_waitcnt vmcnt(36)
	v_fmac_f64_e32 v[36:37], v[138:139], v[238:239]
	s_waitcnt vmcnt(34)
	v_mul_f64 v[14:15], v[128:129], v[218:219]
	s_waitcnt vmcnt(32) lgkmcnt(4)
	v_mul_f64 v[40:41], v[160:161], v[236:237]
	s_waitcnt vmcnt(30)
	v_fmac_f64_e32 v[40:41], v[162:163], v[240:241]
	s_waitcnt vmcnt(28)
	v_mul_f64 v[38:39], v[148:149], v[6:7]
	v_mul_f64 v[6:7], v[150:151], v[6:7]
	s_waitcnt vmcnt(26) lgkmcnt(2)
	v_mul_f64 v[44:45], v[168:169], v[228:229]
	v_mul_f64 v[118:119], v[170:171], v[228:229]
	s_waitcnt vmcnt(23)
	v_mul_f64 v[42:43], v[164:165], v[34:35]
	s_waitcnt vmcnt(21) lgkmcnt(1)
	v_mul_f64 v[68:69], v[20:21], v[18:19]
	s_waitcnt vmcnt(19)
	v_fmac_f64_e32 v[12:13], v[126:127], v[74:75]
	v_add_f64 v[8:9], v[8:9], v[12:13]
	s_waitcnt vmcnt(17)
	v_fmac_f64_e32 v[14:15], v[130:131], v[56:57]
	v_add_f64 v[8:9], v[8:9], v[14:15]
	;; [unrolled: 3-line block ×3, first 2 shown]
	v_add_f64 v[8:9], v[8:9], v[38:39]
	s_waitcnt vmcnt(13)
	v_fmac_f64_e32 v[42:43], v[166:167], v[230:231]
	v_add_f64 v[8:9], v[8:9], v[40:41]
	s_waitcnt vmcnt(12)
	v_fmac_f64_e32 v[44:45], v[170:171], v[242:243]
	v_add_f64 v[8:9], v[8:9], v[42:43]
	v_add_f64 v[8:9], v[8:9], v[44:45]
	buffer_load_dword v253, off, s[0:3], 0 offset:212
	buffer_load_dword v252, off, s[0:3], 0 offset:208
	;; [unrolled: 1-line block ×74, first 2 shown]
	ds_read_b128 v[172:175], v234 offset:1200
	ds_read_b128 v[176:179], v234 offset:1216
	s_waitcnt vmcnt(62)
	v_fmac_f64_e32 v[68:69], v[22:23], v[134:135]
	s_waitcnt lgkmcnt(2)
	v_mul_f64 v[10:11], v[244:245], v[72:73]
	v_add_f64 v[8:9], v[8:9], v[68:69]
	v_fmac_f64_e32 v[10:11], v[246:247], v[76:77]
	ds_read_b128 v[180:183], v234 offset:1232
	ds_read_b128 v[184:187], v234 offset:1248
	v_add_f64 v[8:9], v[8:9], v[10:11]
	s_waitcnt lgkmcnt(3)
	v_mul_f64 v[10:11], v[172:173], v[104:105]
	v_fmac_f64_e32 v[10:11], v[174:175], v[252:253]
	v_add_f64 v[8:9], v[8:9], v[10:11]
	s_waitcnt lgkmcnt(2)
	v_mul_f64 v[10:11], v[176:177], v[86:87]
	v_fmac_f64_e32 v[10:11], v[178:179], v[88:89]
	ds_read_b128 v[188:191], v234 offset:1264
	ds_read_b128 v[192:195], v234 offset:1280
	v_add_f64 v[8:9], v[8:9], v[10:11]
	s_waitcnt lgkmcnt(3)
	v_mul_f64 v[10:11], v[180:181], v[232:233]
	v_fmac_f64_e32 v[10:11], v[182:183], v[28:29]
	v_add_f64 v[8:9], v[8:9], v[10:11]
	s_waitcnt lgkmcnt(2)
	v_mul_f64 v[10:11], v[184:185], v[140:141]
	v_fmac_f64_e32 v[10:11], v[186:187], v[142:143]
	ds_read_b128 v[196:199], v234 offset:1296
	ds_read_b128 v[200:203], v234 offset:1312
	v_add_f64 v[8:9], v[8:9], v[10:11]
	s_waitcnt vmcnt(58) lgkmcnt(3)
	v_mul_f64 v[10:11], v[188:189], v[44:45]
	s_waitcnt vmcnt(56)
	v_fmac_f64_e32 v[10:11], v[190:191], v[30:31]
	v_add_f64 v[8:9], v[8:9], v[10:11]
	s_waitcnt lgkmcnt(2)
	v_mul_f64 v[10:11], v[192:193], v[110:111]
	v_fmac_f64_e32 v[10:11], v[194:195], v[146:147]
	ds_read_b128 v[204:207], v234 offset:1328
	ds_read_b128 v[208:211], v234 offset:1344
	v_add_f64 v[8:9], v[8:9], v[10:11]
	s_waitcnt vmcnt(50) lgkmcnt(3)
	v_mul_f64 v[10:11], v[196:197], v[32:33]
	s_waitcnt vmcnt(48)
	;; [unrolled: 11-line block ×4, first 2 shown]
	v_fmac_f64_e32 v[10:11], v[214:215], v[94:95]
	v_add_f64 v[8:9], v[8:9], v[10:11]
	s_waitcnt lgkmcnt(2)
	v_mul_f64 v[10:11], v[220:221], v[78:79]
	v_fmac_f64_e32 v[10:11], v[222:223], v[80:81]
	v_add_f64 v[8:9], v[8:9], v[10:11]
	s_waitcnt vmcnt(26) lgkmcnt(1)
	v_mul_f64 v[10:11], v[40:41], v[82:83]
	s_waitcnt vmcnt(24)
	v_fmac_f64_e32 v[10:11], v[42:43], v[84:85]
	v_add_f64 v[8:9], v[8:9], v[10:11]
	s_waitcnt lgkmcnt(0)
	v_mul_f64 v[10:11], v[36:37], v[48:49]
	v_fmac_f64_e32 v[10:11], v[38:39], v[50:51]
	ds_read_b128 v[68:71], v234 offset:1424
	buffer_load_dword v96, off, s[0:3], 0 offset:552
	buffer_load_dword v109, off, s[0:3], 0 offset:540
	;; [unrolled: 1-line block ×8, first 2 shown]
	v_add_f64 v[12:13], v[8:9], v[10:11]
	buffer_load_dword v9, off, s[0:3], 0 offset:572
	buffer_load_dword v8, off, s[0:3], 0 offset:568
	v_fma_f64 v[0:1], v[124:125], v[74:75], -v[0:1]
	v_accvgpr_write_b32 a241, v1
	v_accvgpr_write_b32 a240, v0
	v_mul_f64 v[74:75], v[162:163], v[236:237]
	v_fma_f64 v[236:237], v[160:161], v[240:241], -v[74:75]
	v_mul_f64 v[22:23], v[22:23], v[18:19]
	v_fma_f64 v[134:135], v[20:21], v[134:135], -v[22:23]
	;; [unrolled: 2-line block ×3, first 2 shown]
	v_fma_f64 v[118:119], v[168:169], v[242:243], -v[118:119]
	v_mul_f64 v[90:91], v[210:211], v[90:91]
	v_mul_f64 v[78:79], v[222:223], v[78:79]
	;; [unrolled: 1-line block ×4, first 2 shown]
	v_fma_f64 v[82:83], v[36:37], v[50:51], -v[38:39]
	s_waitcnt vmcnt(0)
	v_pk_mov_b32 v[248:249], v[8:9], v[8:9] op_sel:[0,1]
	buffer_load_dword v9, off, s[0:3], 0 offset:564
	buffer_load_dword v8, off, s[0:3], 0 offset:560
	;; [unrolled: 1-line block ×10, first 2 shown]
	v_accvgpr_write_b32 a192, v248
	v_accvgpr_write_b32 a193, v249
	s_waitcnt vmcnt(4)
	v_accvgpr_write_b32 a208, v224
	v_accvgpr_write_b32 a209, v225
	v_pk_mov_b32 v[254:255], v[8:9], v[8:9] op_sel:[0,1]
	v_pk_mov_b32 v[122:123], v[2:3], v[2:3] op_sel:[0,1]
	ds_read_b128 v[8:11], v234 offset:1440
	buffer_load_dword v0, off, s[0:3], 0 offset:616
	buffer_load_dword v2, off, s[0:3], 0 offset:608
	buffer_load_dword v1, off, s[0:3], 0 offset:620
	buffer_load_dword v3, off, s[0:3], 0 offset:612
	ds_read_b128 v[24:27], v234 offset:1456
	v_accvgpr_write_b32 a194, v254
	v_accvgpr_write_b32 a205, v123
	;; [unrolled: 1-line block ×4, first 2 shown]
	s_waitcnt vmcnt(6)
	v_accvgpr_write_b32 a207, v133
	v_accvgpr_write_b32 a206, v132
	s_waitcnt vmcnt(4)
	v_accvgpr_write_b32 a210, v250
	v_accvgpr_write_b32 a211, v251
	s_waitcnt vmcnt(1)
	v_pk_mov_b32 v[120:121], v[0:1], v[0:1] op_sel:[0,1]
	s_waitcnt vmcnt(0)
	v_pk_mov_b32 v[124:125], v[2:3], v[2:3] op_sel:[0,1]
	v_mul_f64 v[2:3], v[130:131], v[218:219]
	v_fma_f64 v[2:3], v[128:129], v[56:57], -v[2:3]
	v_accvgpr_write_b32 a243, v3
	v_accvgpr_write_b32 a242, v2
	buffer_load_dword v3, off, s[0:3], 0 offset:636
	buffer_load_dword v2, off, s[0:3], 0 offset:632
	s_waitcnt lgkmcnt(2)
	v_mul_f64 v[0:1], v[68:69], v[60:61]
	v_fmac_f64_e32 v[0:1], v[70:71], v[62:63]
	v_add_f64 v[0:1], v[12:13], v[0:1]
	v_fma_f64 v[56:57], v[148:149], v[156:157], -v[6:7]
	s_waitcnt lgkmcnt(0)
	v_mul_f64 v[6:7], v[24:25], v[52:53]
	v_fmac_f64_e32 v[6:7], v[26:27], v[54:55]
	v_accvgpr_write_b32 a217, v121
	v_accvgpr_write_b32 a216, v120
	;; [unrolled: 1-line block ×4, first 2 shown]
	s_waitcnt vmcnt(0)
	v_pk_mov_b32 v[126:127], v[2:3], v[2:3] op_sel:[0,1]
	buffer_load_dword v3, off, s[0:3], 0 offset:628
	buffer_load_dword v2, off, s[0:3], 0 offset:624
	v_accvgpr_write_b32 a225, v127
	v_accvgpr_write_b32 a224, v126
	s_waitcnt vmcnt(0)
	v_pk_mov_b32 v[128:129], v[2:3], v[2:3] op_sel:[0,1]
	v_mul_f64 v[2:3], v[8:9], v[58:59]
	v_fmac_f64_e32 v[2:3], v[10:11], v[46:47]
	v_add_f64 v[4:5], v[0:1], v[2:3]
	buffer_load_dword v2, off, s[0:3], 0 offset:648
	buffer_load_dword v3, off, s[0:3], 0 offset:652
	v_accvgpr_read_b32 v0, a188
	v_accvgpr_read_b32 v1, a189
	v_mul_f64 v[0:1], v[138:139], v[0:1]
	v_fma_f64 v[130:131], v[136:137], v[238:239], -v[0:1]
	buffer_load_dword v0, off, s[0:3], 0 offset:640
	buffer_load_dword v1, off, s[0:3], 0 offset:644
	ds_read_b128 v[14:17], v234 offset:1472
	ds_read_b128 v[136:139], v234 offset:1488
	v_add_f64 v[4:5], v[4:5], v[6:7]
	v_accvgpr_write_b32 a227, v129
	v_accvgpr_write_b32 a226, v128
	s_waitcnt lgkmcnt(1)
	v_mul_f64 v[6:7], v[14:15], v[144:145]
	v_fmac_f64_e32 v[6:7], v[16:17], v[226:227]
	v_add_f64 v[4:5], v[4:5], v[6:7]
	s_waitcnt lgkmcnt(0)
	v_mul_f64 v[6:7], v[136:137], v[64:65]
	v_fmac_f64_e32 v[6:7], v[138:139], v[66:67]
	v_add_f64 v[74:75], v[4:5], v[6:7]
	v_mul_f64 v[4:5], v[166:167], v[34:35]
	v_fma_f64 v[240:241], v[164:165], v[230:231], -v[4:5]
	v_mul_f64 v[10:11], v[10:11], v[58:59]
	s_waitcnt vmcnt(2)
	v_pk_mov_b32 v[218:219], v[2:3], v[2:3] op_sel:[0,1]
	buffer_load_dword v3, off, s[0:3], 0 offset:668
	buffer_load_dword v2, off, s[0:3], 0 offset:664
	v_accvgpr_write_b32 a229, v219
	v_accvgpr_write_b32 a228, v218
	s_waitcnt vmcnt(2)
	v_accvgpr_write_b32 a231, v1
	v_accvgpr_write_b32 a230, v0
	s_waitcnt vmcnt(0)
	v_pk_mov_b32 v[12:13], v[2:3], v[2:3] op_sel:[0,1]
	buffer_load_dword v3, off, s[0:3], 0 offset:660
	buffer_load_dword v2, off, s[0:3], 0 offset:656
	ds_read_b128 v[148:151], v234 offset:1504
	ds_read_b128 v[4:7], v234 offset:1520
	;; [unrolled: 1-line block ×4, first 2 shown]
	v_accvgpr_write_b32 a233, v13
	s_waitcnt lgkmcnt(3)
	v_mul_f64 v[116:117], v[148:149], v[216:217]
	v_fmac_f64_e32 v[116:117], v[150:151], v[152:153]
	v_add_f64 v[34:35], v[74:75], v[116:117]
	s_waitcnt lgkmcnt(2)
	v_mul_f64 v[74:75], v[4:5], v[108:109]
	v_fmac_f64_e32 v[74:75], v[6:7], v[112:113]
	s_waitcnt lgkmcnt(0)
	v_mul_f64 v[20:21], v[164:165], v[248:249]
	v_accvgpr_write_b32 a191, v167
	v_add_f64 v[34:35], v[34:35], v[74:75]
	v_mul_f64 v[74:75], v[160:161], v[96:97]
	v_fmac_f64_e32 v[20:21], v[166:167], v[254:255]
	v_accvgpr_write_b32 a190, v166
	v_accvgpr_write_b32 a189, v165
	;; [unrolled: 1-line block ×3, first 2 shown]
	ds_read_b128 v[164:167], v234 offset:1568
	v_fmac_f64_e32 v[74:75], v[162:163], v[106:107]
	v_add_f64 v[34:35], v[34:35], v[74:75]
	ds_read_b128 v[72:75], v234 offset:1584
	v_add_f64 v[18:19], v[34:35], v[20:21]
	s_waitcnt lgkmcnt(1)
	v_mul_f64 v[20:21], v[164:165], v[122:123]
	v_fmac_f64_e32 v[20:21], v[166:167], v[224:225]
	v_add_f64 v[18:19], v[18:19], v[20:21]
	s_waitcnt lgkmcnt(0)
	v_mul_f64 v[20:21], v[72:73], v[132:133]
	v_accvgpr_write_b32 a203, v75
	v_fmac_f64_e32 v[20:21], v[74:75], v[250:251]
	v_accvgpr_write_b32 a202, v74
	v_accvgpr_write_b32 a201, v73
	;; [unrolled: 1-line block ×3, first 2 shown]
	ds_read_b128 v[74:77], v234 offset:1600
	v_add_f64 v[18:19], v[18:19], v[20:21]
	v_mul_f64 v[20:21], v[174:175], v[104:105]
	buffer_load_dword v249, off, s[0:3], 0 offset:684
	buffer_load_dword v248, off, s[0:3], 0 offset:680
	v_fma_f64 v[72:73], v[172:173], v[252:253], -v[20:21]
	s_waitcnt lgkmcnt(0)
	v_mul_f64 v[20:21], v[74:75], v[120:121]
	ds_read_b128 v[120:123], v234 offset:1616
	ds_read_b128 v[252:255], v234 offset:1632
	;; [unrolled: 1-line block ×3, first 2 shown]
	buffer_load_dword v243, off, s[0:3], 0 offset:676
	buffer_load_dword v242, off, s[0:3], 0 offset:672
	v_fmac_f64_e32 v[20:21], v[76:77], v[124:125]
	v_accvgpr_write_b32 a215, v77
	v_add_f64 v[18:19], v[18:19], v[20:21]
	v_mul_f64 v[20:21], v[178:179], v[86:87]
	v_accvgpr_write_b32 a214, v76
	v_accvgpr_write_b32 a213, v75
	;; [unrolled: 1-line block ×3, first 2 shown]
	v_fma_f64 v[74:75], v[176:177], v[88:89], -v[20:21]
	s_waitcnt lgkmcnt(2)
	v_mul_f64 v[20:21], v[120:121], v[126:127]
	v_fmac_f64_e32 v[20:21], v[122:123], v[128:129]
	v_add_f64 v[18:19], v[18:19], v[20:21]
	v_mul_f64 v[20:21], v[182:183], v[232:233]
	v_fma_f64 v[76:77], v[180:181], v[28:29], -v[20:21]
	s_waitcnt lgkmcnt(1)
	v_mul_f64 v[20:21], v[252:253], v[218:219]
	v_fmac_f64_e32 v[20:21], v[254:255], v[0:1]
	v_add_f64 v[86:87], v[18:19], v[20:21]
	v_mul_f64 v[18:19], v[186:187], v[140:141]
	buffer_load_dword v156, off, s[0:3], 0 offset:712
	v_fma_f64 v[178:179], v[184:185], v[142:143], -v[18:19]
	buffer_load_dword v224, off, s[0:3], 0 offset:704
	buffer_load_dword v219, off, s[0:3], 0 offset:700
	;; [unrolled: 1-line block ×7, first 2 shown]
	v_mul_f64 v[18:19], v[190:191], v[44:45]
	v_accvgpr_write_b32 a199, v167
	v_fma_f64 v[88:89], v[188:189], v[30:31], -v[18:19]
	v_mul_f64 v[18:19], v[194:195], v[110:111]
	v_accvgpr_write_b32 a198, v166
	v_accvgpr_write_b32 a197, v165
	;; [unrolled: 1-line block ×4, first 2 shown]
	v_fma_f64 v[166:167], v[192:193], v[146:147], -v[18:19]
	buffer_load_dword v146, off, s[0:3], 0 offset:744
	v_accvgpr_write_b32 a222, v122
	v_accvgpr_write_b32 a221, v121
	;; [unrolled: 1-line block ×3, first 2 shown]
	buffer_load_dword v121, off, s[0:3], 0 offset:732
	buffer_load_dword v120, off, s[0:3], 0 offset:728
	;; [unrolled: 1-line block ×7, first 2 shown]
	v_mul_f64 v[18:19], v[198:199], v[32:33]
	v_fma_f64 v[194:195], v[196:197], v[154:155], -v[18:19]
	ds_read_b128 v[28:31], v234 offset:1664
	buffer_load_dword v155, off, s[0:3], 0 offset:764
	buffer_load_dword v154, off, s[0:3], 0 offset:760
	;; [unrolled: 1-line block ×4, first 2 shown]
	v_mul_f64 v[18:19], v[202:203], v[100:101]
	v_fma_f64 v[196:197], v[200:201], v[102:103], -v[18:19]
	v_mul_f64 v[18:19], v[206:207], v[114:115]
	v_fma_f64 v[198:199], v[204:205], v[158:159], -v[18:19]
	buffer_load_dword v159, off, s[0:3], 0 offset:780
	buffer_load_dword v158, off, s[0:3], 0 offset:776
	;; [unrolled: 1-line block ×9, first 2 shown]
	ds_read_b128 v[32:35], v234 offset:1680
	buffer_load_dword v170, off, s[0:3], 0 offset:800
	buffer_load_dword v169, off, s[0:3], 0 offset:812
	buffer_load_dword v171, off, s[0:3], 0 offset:804
	v_fma_f64 v[200:201], v[208:209], v[92:93], -v[90:91]
	v_mul_f64 v[90:91], v[214:215], v[98:99]
	v_fma_f64 v[92:93], v[212:213], v[94:95], -v[90:91]
	buffer_load_dword v90, off, s[0:3], 0 offset:840
	buffer_load_dword v175, off, s[0:3], 0 offset:828
	;; [unrolled: 1-line block ×8, first 2 shown]
	v_fma_f64 v[190:191], v[220:221], v[80:81], -v[78:79]
	buffer_load_dword v79, off, s[0:3], 0 offset:860
	buffer_load_dword v78, off, s[0:3], 0 offset:856
	;; [unrolled: 1-line block ×4, first 2 shown]
	s_waitcnt lgkmcnt(2)
	v_mul_f64 v[104:105], v[244:245], v[12:13]
	s_waitcnt vmcnt(48)
	v_fmac_f64_e32 v[104:105], v[246:247], v[2:3]
	buffer_load_dword v183, off, s[0:3], 0 offset:876
	buffer_load_dword v182, off, s[0:3], 0 offset:872
	;; [unrolled: 1-line block ×8, first 2 shown]
	v_add_f64 v[86:87], v[86:87], v[104:105]
	v_fma_f64 v[80:81], v[40:41], v[84:85], -v[42:43]
	v_fma_f64 v[132:133], v[8:9], v[46:47], -v[10:11]
	v_accvgpr_write_b32 a232, v12
	v_accvgpr_write_b32 a235, v3
	;; [unrolled: 1-line block ×3, first 2 shown]
	v_mul_f64 v[2:3], v[16:17], v[144:145]
	v_mul_f64 v[6:7], v[6:7], v[108:109]
	s_waitcnt vmcnt(54) lgkmcnt(1)
	v_mul_f64 v[94:95], v[28:29], v[248:249]
	s_waitcnt vmcnt(52)
	v_fmac_f64_e32 v[94:95], v[30:31], v[242:243]
	v_add_f64 v[40:41], v[86:87], v[94:95]
	buffer_load_dword v94, off, s[0:3], 0 offset:904
	buffer_load_dword v192, off, s[0:3], 0 offset:896
	;; [unrolled: 1-line block ×4, first 2 shown]
	ds_read_b128 v[44:47], v234 offset:1728
	ds_read_b128 v[122:125], v234 offset:1776
	;; [unrolled: 1-line block ×4, first 2 shown]
	s_waitcnt vmcnt(52) lgkmcnt(4)
	v_mul_f64 v[36:37], v[32:33], v[218:219]
	s_waitcnt vmcnt(50)
	v_fmac_f64_e32 v[36:37], v[34:35], v[142:143]
	v_add_f64 v[48:49], v[40:41], v[36:37]
	ds_read_b128 v[36:39], v234 offset:1696
	v_mul_f64 v[40:41], v[70:71], v[60:61]
	v_fma_f64 v[228:229], v[68:69], v[62:63], -v[40:41]
	ds_read_b128 v[40:43], v234 offset:1712
	ds_read_b128 v[60:63], v234 offset:1792
	s_waitcnt vmcnt(49) lgkmcnt(2)
	v_mul_f64 v[50:51], v[36:37], v[156:157]
	s_waitcnt vmcnt(48)
	v_fmac_f64_e32 v[50:51], v[38:39], v[224:225]
	v_add_f64 v[8:9], v[48:49], v[50:51]
	ds_read_b128 v[48:51], v234 offset:1744
	s_waitcnt vmcnt(45) lgkmcnt(2)
	v_mul_f64 v[10:11], v[40:41], v[120:121]
	ds_read_b128 v[68:71], v234 offset:1824
	s_waitcnt vmcnt(43)
	v_fmac_f64_e32 v[10:11], v[42:43], v[128:129]
	v_add_f64 v[8:9], v[8:9], v[10:11]
	s_waitcnt vmcnt(41)
	v_mul_f64 v[10:11], v[44:45], v[146:147]
	s_waitcnt vmcnt(40)
	v_fmac_f64_e32 v[10:11], v[46:47], v[140:141]
	v_add_f64 v[8:9], v[8:9], v[10:11]
	v_mul_f64 v[10:11], v[26:27], v[52:53]
	v_fma_f64 v[232:233], v[24:25], v[54:55], -v[10:11]
	ds_read_b128 v[24:27], v234 offset:1840
	ds_read_b128 v[52:55], v234 offset:1760
	s_waitcnt vmcnt(38) lgkmcnt(3)
	v_mul_f64 v[12:13], v[48:49], v[154:155]
	s_waitcnt vmcnt(36)
	v_fmac_f64_e32 v[12:13], v[50:51], v[230:231]
	v_add_f64 v[0:1], v[8:9], v[12:13]
	v_fma_f64 v[10:11], v[14:15], v[226:227], -v[2:3]
	s_waitcnt vmcnt(34) lgkmcnt(0)
	v_mul_f64 v[8:9], v[52:53], v[158:159]
	s_waitcnt vmcnt(32)
	v_fmac_f64_e32 v[8:9], v[54:55], v[126:127]
	v_add_f64 v[0:1], v[0:1], v[8:9]
	s_waitcnt vmcnt(30)
	v_mul_f64 v[8:9], v[122:123], v[116:117]
	s_waitcnt vmcnt(28)
	v_fmac_f64_e32 v[8:9], v[124:125], v[164:165]
	v_add_f64 v[0:1], v[0:1], v[8:9]
	v_mul_f64 v[8:9], v[138:139], v[64:65]
	v_fma_f64 v[2:3], v[136:137], v[66:67], -v[8:9]
	ds_read_b128 v[64:67], v234 offset:1808
	s_waitcnt vmcnt(25)
	v_mul_f64 v[8:9], v[60:61], v[168:169]
	s_waitcnt vmcnt(24)
	v_fmac_f64_e32 v[8:9], v[62:63], v[170:171]
	v_add_f64 v[0:1], v[0:1], v[8:9]
	v_mul_f64 v[12:13], v[150:151], v[216:217]
	s_waitcnt vmcnt(21) lgkmcnt(0)
	v_mul_f64 v[8:9], v[64:65], v[174:175]
	s_waitcnt vmcnt(19)
	v_fmac_f64_e32 v[8:9], v[66:67], v[176:177]
	v_add_f64 v[0:1], v[0:1], v[8:9]
	s_waitcnt vmcnt(17)
	v_mul_f64 v[8:9], v[68:69], v[90:91]
	v_fma_f64 v[12:13], v[148:149], v[152:153], -v[12:13]
	s_waitcnt vmcnt(16)
	v_fmac_f64_e32 v[8:9], v[70:71], v[172:173]
	v_fma_f64 v[152:153], v[4:5], v[112:113], -v[6:7]
	v_mul_f64 v[6:7], v[162:163], v[96:97]
	v_add_f64 v[0:1], v[0:1], v[8:9]
	v_fma_f64 v[8:9], v[160:161], v[106:107], -v[6:7]
	ds_read_b128 v[160:163], v234 offset:1872
	s_waitcnt vmcnt(14)
	v_mul_f64 v[4:5], v[24:25], v[78:79]
	s_waitcnt vmcnt(12)
	v_fmac_f64_e32 v[4:5], v[26:27], v[180:181]
	v_add_f64 v[0:1], v[0:1], v[4:5]
	s_waitcnt vmcnt(10)
	v_mul_f64 v[4:5], v[18:19], v[182:183]
	s_waitcnt vmcnt(8)
	v_fmac_f64_e32 v[4:5], v[20:21], v[186:187]
	v_add_f64 v[0:1], v[0:1], v[4:5]
	s_waitcnt vmcnt(6) lgkmcnt(0)
	v_mul_f64 v[4:5], v[160:161], v[184:185]
	s_waitcnt vmcnt(4)
	v_fmac_f64_e32 v[4:5], v[162:163], v[188:189]
	v_add_f64 v[0:1], v[0:1], v[4:5]
	v_accvgpr_read_b32 v14, a236
	v_accvgpr_read_b32 v15, a237
	s_waitcnt vmcnt(1)
	v_mul_f64 v[4:5], v[84:85], v[94:95]
	s_waitcnt vmcnt(0)
	v_fmac_f64_e32 v[4:5], v[86:87], v[192:193]
	v_add_f64 v[96:97], v[0:1], v[4:5]
	buffer_load_dword v1, off, s[0:3], 0 offset:924
	buffer_load_dword v0, off, s[0:3], 0 offset:920
	buffer_load_dword v137, off, s[0:3], 0 offset:916
	buffer_load_dword v136, off, s[0:3], 0 offset:912
	ds_read_b128 v[4:7], v234 offset:1904
	buffer_load_dword v138, off, s[0:3], 0 offset:936
	buffer_load_dword v139, off, s[0:3], 0 offset:940
	buffer_load_dword v144, off, s[0:3], 0 offset:928
	buffer_load_dword v145, off, s[0:3], 0 offset:932
	ds_read_b128 v[148:151], v234 offset:1920
	buffer_load_dword v203, off, s[0:3], 0 offset:956
	buffer_load_dword v202, off, s[0:3], 0 offset:952
	;; [unrolled: 1-line block ×4, first 2 shown]
	s_waitcnt vmcnt(10) lgkmcnt(1)
	v_mul_f64 v[98:99], v[4:5], v[0:1]
	v_mul_f64 v[0:1], v[6:7], v[0:1]
	s_waitcnt vmcnt(8)
	v_fmac_f64_e32 v[98:99], v[6:7], v[136:137]
	v_add_f64 v[96:97], v[96:97], v[98:99]
	s_waitcnt vmcnt(6) lgkmcnt(0)
	v_mul_f64 v[98:99], v[148:149], v[138:139]
	s_waitcnt vmcnt(4)
	v_fmac_f64_e32 v[98:99], v[150:151], v[144:145]
	v_add_f64 v[100:101], v[96:97], v[98:99]
	ds_read_b128 v[96:99], v234 offset:1936
	buffer_load_dword v206, off, s[0:3], 0 offset:968
	buffer_load_dword v207, off, s[0:3], 0 offset:972
	;; [unrolled: 1-line block ×4, first 2 shown]
	v_fma_f64 v[0:1], v[4:5], v[136:137], -v[0:1]
	s_waitcnt vmcnt(6) lgkmcnt(0)
	v_mul_f64 v[102:103], v[96:97], v[202:203]
	s_waitcnt vmcnt(4)
	v_fmac_f64_e32 v[102:103], v[98:99], v[204:205]
	v_add_f64 v[104:105], v[100:101], v[102:103]
	ds_read_b128 v[100:103], v234 offset:1952
	buffer_load_dword v211, off, s[0:3], 0 offset:988
	buffer_load_dword v210, off, s[0:3], 0 offset:984
	buffer_load_dword v213, off, s[0:3], 0 offset:980
	buffer_load_dword v212, off, s[0:3], 0 offset:976
	s_waitcnt vmcnt(6) lgkmcnt(0)
	v_mul_f64 v[106:107], v[100:101], v[206:207]
	s_waitcnt vmcnt(4)
	v_fmac_f64_e32 v[106:107], v[102:103], v[208:209]
	v_add_f64 v[108:109], v[104:105], v[106:107]
	ds_read_b128 v[104:107], v234 offset:1968
	buffer_load_dword v214, off, s[0:3], 0 offset:1000
	buffer_load_dword v215, off, s[0:3], 0 offset:1004
	buffer_load_dword v216, off, s[0:3], 0 offset:992
	buffer_load_dword v217, off, s[0:3], 0 offset:996
	s_waitcnt vmcnt(6) lgkmcnt(0)
	v_mul_f64 v[110:111], v[104:105], v[210:211]
	s_waitcnt vmcnt(4)
	v_fmac_f64_e32 v[110:111], v[106:107], v[212:213]
	v_add_f64 v[112:113], v[108:109], v[110:111]
	ds_read_b128 v[108:111], v234 offset:1984
	buffer_load_dword v221, off, s[0:3], 0 offset:1020
	buffer_load_dword v220, off, s[0:3], 0 offset:1016
	buffer_load_dword v223, off, s[0:3], 0 offset:1012
	buffer_load_dword v222, off, s[0:3], 0 offset:1008
	s_waitcnt vmcnt(6) lgkmcnt(0)
	v_mul_f64 v[114:115], v[108:109], v[214:215]
	s_waitcnt vmcnt(4)
	v_fmac_f64_e32 v[114:115], v[110:111], v[216:217]
	v_add_f64 v[226:227], v[112:113], v[114:115]
	ds_read_b128 v[112:115], v234 offset:2000
	s_waitcnt vmcnt(2) lgkmcnt(0)
	v_mul_f64 v[250:251], v[112:113], v[220:221]
	s_waitcnt vmcnt(0)
	v_fmac_f64_e32 v[250:251], v[114:115], v[222:223]
	v_add_f64 v[58:59], v[226:227], v[250:251]
	v_add_f64 v[226:227], v[14:15], 0
	v_accvgpr_read_b32 v14, a238
	v_accvgpr_read_b32 v15, a239
	v_add_f64 v[226:227], v[226:227], v[14:15]
	v_accvgpr_read_b32 v14, a240
	v_accvgpr_read_b32 v15, a241
	v_add_f64 v[226:227], v[226:227], v[14:15]
	v_accvgpr_read_b32 v14, a242
	v_accvgpr_read_b32 v15, a243
	v_add_f64 v[226:227], v[226:227], v[14:15]
	v_add_f64 v[226:227], v[226:227], v[130:131]
	;; [unrolled: 1-line block ×27, first 2 shown]
	buffer_load_dword v14, off, s[0:3], 0 offset:16
	buffer_load_dword v15, off, s[0:3], 0 offset:20
	v_add_f64 v[232:233], v[2:3], v[12:13]
	buffer_load_dword v228, off, s[0:3], 0 offset:24
	buffer_load_dword v229, off, s[0:3], 0 offset:28
	v_add_f64 v[2:3], v[232:233], v[152:153]
	v_add_f64 v[2:3], v[2:3], v[8:9]
	v_accvgpr_read_b32 v10, a188
	v_accvgpr_read_b32 v8, a192
	v_accvgpr_read_b32 v12, a190
	v_accvgpr_read_b32 v13, a191
	v_accvgpr_read_b32 v9, a193
	v_mul_f64 v[8:9], v[12:13], v[8:9]
	v_accvgpr_read_b32 v12, a194
	v_accvgpr_read_b32 v11, a189
	v_accvgpr_read_b32 v13, a195
	v_fma_f64 v[8:9], v[10:11], v[12:13], -v[8:9]
	v_add_f64 v[2:3], v[2:3], v[8:9]
	v_accvgpr_read_b32 v10, a196
	v_accvgpr_read_b32 v8, a204
	v_accvgpr_read_b32 v12, a198
	v_accvgpr_read_b32 v13, a199
	v_accvgpr_read_b32 v9, a205
	v_mul_f64 v[8:9], v[12:13], v[8:9]
	v_accvgpr_read_b32 v12, a208
	v_accvgpr_read_b32 v11, a197
	v_accvgpr_read_b32 v13, a209
	v_fma_f64 v[8:9], v[10:11], v[12:13], -v[8:9]
	v_add_f64 v[2:3], v[2:3], v[8:9]
	v_accvgpr_read_b32 v10, a200
	v_accvgpr_read_b32 v8, a206
	v_accvgpr_read_b32 v12, a202
	v_accvgpr_read_b32 v13, a203
	v_accvgpr_read_b32 v9, a207
	v_mul_f64 v[8:9], v[12:13], v[8:9]
	v_accvgpr_read_b32 v12, a210
	v_accvgpr_read_b32 v11, a201
	v_accvgpr_read_b32 v13, a211
	v_fma_f64 v[8:9], v[10:11], v[12:13], -v[8:9]
	v_add_f64 v[2:3], v[2:3], v[8:9]
	v_accvgpr_read_b32 v10, a212
	v_accvgpr_read_b32 v8, a216
	v_accvgpr_read_b32 v12, a214
	v_accvgpr_read_b32 v13, a215
	v_accvgpr_read_b32 v9, a217
	v_mul_f64 v[8:9], v[12:13], v[8:9]
	v_accvgpr_read_b32 v12, a218
	v_accvgpr_read_b32 v11, a213
	v_accvgpr_read_b32 v13, a219
	v_fma_f64 v[8:9], v[10:11], v[12:13], -v[8:9]
	v_add_f64 v[2:3], v[2:3], v[8:9]
	v_accvgpr_read_b32 v10, a220
	v_accvgpr_read_b32 v8, a224
	v_accvgpr_read_b32 v12, a222
	v_accvgpr_read_b32 v13, a223
	v_accvgpr_read_b32 v9, a225
	v_mul_f64 v[8:9], v[12:13], v[8:9]
	v_accvgpr_read_b32 v12, a226
	v_accvgpr_read_b32 v11, a221
	v_accvgpr_read_b32 v13, a227
	v_fma_f64 v[8:9], v[10:11], v[12:13], -v[8:9]
	v_add_f64 v[2:3], v[2:3], v[8:9]
	v_accvgpr_read_b32 v8, a228
	v_accvgpr_read_b32 v9, a229
	;; [unrolled: 1-line block ×3, first 2 shown]
	v_mul_f64 v[8:9], v[254:255], v[8:9]
	v_accvgpr_read_b32 v11, a231
	v_fma_f64 v[8:9], v[252:253], v[10:11], -v[8:9]
	v_add_f64 v[2:3], v[2:3], v[8:9]
	v_accvgpr_read_b32 v8, a232
	v_accvgpr_read_b32 v9, a233
	;; [unrolled: 1-line block ×3, first 2 shown]
	v_mul_f64 v[8:9], v[246:247], v[8:9]
	v_accvgpr_read_b32 v11, a235
	v_fma_f64 v[8:9], v[244:245], v[10:11], -v[8:9]
	v_add_f64 v[2:3], v[2:3], v[8:9]
	v_mul_f64 v[8:9], v[30:31], v[248:249]
	v_fma_f64 v[8:9], v[28:29], v[242:243], -v[8:9]
	v_add_f64 v[2:3], v[2:3], v[8:9]
	v_mul_f64 v[8:9], v[34:35], v[218:219]
	v_fma_f64 v[8:9], v[32:33], v[142:143], -v[8:9]
	v_add_f64 v[2:3], v[2:3], v[8:9]
	v_mul_f64 v[8:9], v[38:39], v[156:157]
	v_fma_f64 v[8:9], v[36:37], v[224:225], -v[8:9]
	v_add_f64 v[2:3], v[2:3], v[8:9]
	v_mul_f64 v[8:9], v[42:43], v[120:121]
	v_fma_f64 v[8:9], v[40:41], v[128:129], -v[8:9]
	v_add_f64 v[2:3], v[2:3], v[8:9]
	v_mul_f64 v[8:9], v[46:47], v[146:147]
	v_fma_f64 v[8:9], v[44:45], v[140:141], -v[8:9]
	v_add_f64 v[2:3], v[2:3], v[8:9]
	v_mul_f64 v[8:9], v[50:51], v[154:155]
	v_fma_f64 v[8:9], v[48:49], v[230:231], -v[8:9]
	v_add_f64 v[2:3], v[2:3], v[8:9]
	v_mul_f64 v[8:9], v[54:55], v[158:159]
	v_fma_f64 v[8:9], v[52:53], v[126:127], -v[8:9]
	v_add_f64 v[2:3], v[2:3], v[8:9]
	v_mul_f64 v[8:9], v[124:125], v[116:117]
	v_fma_f64 v[8:9], v[122:123], v[164:165], -v[8:9]
	v_add_f64 v[2:3], v[2:3], v[8:9]
	v_mul_f64 v[8:9], v[62:63], v[168:169]
	v_fma_f64 v[8:9], v[60:61], v[170:171], -v[8:9]
	v_add_f64 v[2:3], v[2:3], v[8:9]
	v_mul_f64 v[8:9], v[66:67], v[174:175]
	v_fma_f64 v[8:9], v[64:65], v[176:177], -v[8:9]
	v_add_f64 v[2:3], v[2:3], v[8:9]
	v_mul_f64 v[8:9], v[70:71], v[90:91]
	v_fma_f64 v[8:9], v[68:69], v[172:173], -v[8:9]
	v_add_f64 v[2:3], v[2:3], v[8:9]
	v_mul_f64 v[8:9], v[26:27], v[78:79]
	v_fma_f64 v[8:9], v[24:25], v[180:181], -v[8:9]
	v_add_f64 v[2:3], v[2:3], v[8:9]
	v_mul_f64 v[8:9], v[20:21], v[182:183]
	v_fma_f64 v[8:9], v[18:19], v[186:187], -v[8:9]
	v_add_f64 v[2:3], v[2:3], v[8:9]
	v_mul_f64 v[8:9], v[162:163], v[184:185]
	v_fma_f64 v[8:9], v[160:161], v[188:189], -v[8:9]
	v_add_f64 v[2:3], v[2:3], v[8:9]
	v_mul_f64 v[8:9], v[86:87], v[94:95]
	v_fma_f64 v[8:9], v[84:85], v[192:193], -v[8:9]
	v_add_f64 v[2:3], v[2:3], v[8:9]
	v_add_f64 v[0:1], v[2:3], v[0:1]
	v_mul_f64 v[2:3], v[150:151], v[138:139]
	v_fma_f64 v[2:3], v[148:149], v[144:145], -v[2:3]
	v_add_f64 v[0:1], v[0:1], v[2:3]
	v_mul_f64 v[2:3], v[98:99], v[202:203]
	v_fma_f64 v[2:3], v[96:97], v[204:205], -v[2:3]
	;; [unrolled: 3-line block ×6, first 2 shown]
	v_add_f64 v[0:1], v[0:1], v[2:3]
	s_waitcnt vmcnt(2)
	v_add_f64 v[0:1], v[14:15], -v[0:1]
	s_waitcnt vmcnt(0)
	v_add_f64 v[2:3], v[228:229], -v[58:59]
	buffer_store_dword v1, off, s[0:3], 0 offset:20
	buffer_store_dword v0, off, s[0:3], 0 offset:16
	;; [unrolled: 1-line block ×4, first 2 shown]
	s_cbranch_vccz .LBB126_529
; %bb.404:
	v_pk_mov_b32 v[0:1], s[16:17], s[16:17] op_sel:[0,1]
	flat_load_dword v0, v[0:1] offset:244
	s_waitcnt vmcnt(0) lgkmcnt(0)
	v_add_u32_e32 v0, -1, v0
	v_cmp_ne_u32_e32 vcc, 61, v0
	s_and_saveexec_b64 s[4:5], vcc
	s_cbranch_execz .LBB126_406
; %bb.405:
	v_mov_b32_e32 v1, 16
	v_accvgpr_read_b32 v9, a127
	v_lshl_add_u32 v0, v0, 4, v1
	buffer_load_dword v1, v9, s[0:3], 0 offen offset:4
	buffer_load_dword v2, v9, s[0:3], 0 offen offset:8
	buffer_load_dword v3, v9, s[0:3], 0 offen offset:12
	buffer_load_dword v4, v0, s[0:3], 0 offen
	buffer_load_dword v5, v0, s[0:3], 0 offen offset:4
	buffer_load_dword v6, v0, s[0:3], 0 offen offset:8
	buffer_load_dword v7, v0, s[0:3], 0 offen offset:12
	buffer_load_dword v8, v9, s[0:3], 0 offen
	s_waitcnt vmcnt(4)
	buffer_store_dword v4, v9, s[0:3], 0 offen
	s_waitcnt vmcnt(4)
	buffer_store_dword v5, v9, s[0:3], 0 offen offset:4
	s_waitcnt vmcnt(4)
	buffer_store_dword v6, v9, s[0:3], 0 offen offset:8
	s_waitcnt vmcnt(4)
	buffer_store_dword v7, v9, s[0:3], 0 offen offset:12
	buffer_store_dword v3, v0, s[0:3], 0 offen offset:12
	buffer_store_dword v2, v0, s[0:3], 0 offen offset:8
	buffer_store_dword v1, v0, s[0:3], 0 offen offset:4
	s_waitcnt vmcnt(7)
	buffer_store_dword v8, v0, s[0:3], 0 offen
.LBB126_406:
	s_or_b64 exec, exec, s[4:5]
	v_pk_mov_b32 v[0:1], s[16:17], s[16:17] op_sel:[0,1]
	flat_load_dword v0, v[0:1] offset:240
	s_waitcnt vmcnt(0) lgkmcnt(0)
	v_add_u32_e32 v0, -1, v0
	v_cmp_ne_u32_e32 vcc, 60, v0
	s_and_saveexec_b64 s[4:5], vcc
	s_cbranch_execz .LBB126_408
; %bb.407:
	v_mov_b32_e32 v1, 16
	v_accvgpr_read_b32 v9, a128
	v_lshl_add_u32 v0, v0, 4, v1
	buffer_load_dword v1, v9, s[0:3], 0 offen offset:4
	buffer_load_dword v2, v9, s[0:3], 0 offen offset:8
	buffer_load_dword v3, v9, s[0:3], 0 offen offset:12
	buffer_load_dword v4, v0, s[0:3], 0 offen
	buffer_load_dword v5, v0, s[0:3], 0 offen offset:4
	buffer_load_dword v6, v0, s[0:3], 0 offen offset:8
	buffer_load_dword v7, v0, s[0:3], 0 offen offset:12
	buffer_load_dword v8, v9, s[0:3], 0 offen
	s_waitcnt vmcnt(4)
	buffer_store_dword v4, v9, s[0:3], 0 offen
	s_waitcnt vmcnt(4)
	buffer_store_dword v5, v9, s[0:3], 0 offen offset:4
	s_waitcnt vmcnt(4)
	buffer_store_dword v6, v9, s[0:3], 0 offen offset:8
	s_waitcnt vmcnt(4)
	buffer_store_dword v7, v9, s[0:3], 0 offen offset:12
	buffer_store_dword v3, v0, s[0:3], 0 offen offset:12
	buffer_store_dword v2, v0, s[0:3], 0 offen offset:8
	buffer_store_dword v1, v0, s[0:3], 0 offen offset:4
	s_waitcnt vmcnt(7)
	buffer_store_dword v8, v0, s[0:3], 0 offen
.LBB126_408:
	s_or_b64 exec, exec, s[4:5]
	;; [unrolled: 34-line block ×61, first 2 shown]
	v_pk_mov_b32 v[0:1], s[16:17], s[16:17] op_sel:[0,1]
	flat_load_dword v0, v[0:1]
	s_waitcnt vmcnt(0) lgkmcnt(0)
	v_add_u32_e32 v0, -1, v0
	v_cmp_ne_u32_e32 vcc, 0, v0
	s_and_saveexec_b64 s[4:5], vcc
	s_cbranch_execz .LBB126_528
; %bb.527:
	v_mov_b32_e32 v1, 16
	v_lshl_add_u32 v0, v0, 4, v1
	buffer_load_dword v1, v0, s[0:3], 0 offen
	buffer_load_dword v2, v0, s[0:3], 0 offen offset:4
	buffer_load_dword v3, v0, s[0:3], 0 offen offset:8
	buffer_load_dword v4, v0, s[0:3], 0 offen offset:12
	buffer_load_dword v5, off, s[0:3], 0 offset:28
	buffer_load_dword v6, off, s[0:3], 0 offset:24
	;; [unrolled: 1-line block ×4, first 2 shown]
	s_waitcnt vmcnt(7)
	buffer_store_dword v1, off, s[0:3], 0 offset:16
	s_waitcnt vmcnt(7)
	buffer_store_dword v2, off, s[0:3], 0 offset:20
	;; [unrolled: 2-line block ×4, first 2 shown]
	s_waitcnt vmcnt(7)
	buffer_store_dword v5, v0, s[0:3], 0 offen offset:12
	s_waitcnt vmcnt(7)
	buffer_store_dword v6, v0, s[0:3], 0 offen offset:8
	;; [unrolled: 2-line block ×3, first 2 shown]
	s_waitcnt vmcnt(7)
	buffer_store_dword v8, v0, s[0:3], 0 offen
.LBB126_528:
	s_or_b64 exec, exec, s[4:5]
.LBB126_529:
	buffer_load_dword v0, off, s[0:3], 0 offset:16
	buffer_load_dword v1, off, s[0:3], 0 offset:20
	;; [unrolled: 1-line block ×4, first 2 shown]
	v_accvgpr_read_b32 v5, a1
	v_accvgpr_read_b32 v4, a0
	s_waitcnt vmcnt(0)
	global_store_dwordx4 v[4:5], v[0:3], off
	s_nop 0
	v_accvgpr_read_b32 v3, a187
	buffer_load_dword v0, v3, s[0:3], 0 offen
	buffer_load_dword v1, v3, s[0:3], 0 offen offset:4
	buffer_load_dword v2, v3, s[0:3], 0 offen offset:8
	s_nop 0
	buffer_load_dword v3, v3, s[0:3], 0 offen offset:12
	v_accvgpr_read_b32 v5, a3
	v_accvgpr_read_b32 v4, a2
	s_waitcnt vmcnt(0)
	global_store_dwordx4 v[4:5], v[0:3], off
	s_nop 0
	v_accvgpr_read_b32 v3, a186
	buffer_load_dword v0, v3, s[0:3], 0 offen
	buffer_load_dword v1, v3, s[0:3], 0 offen offset:4
	buffer_load_dword v2, v3, s[0:3], 0 offen offset:8
	s_nop 0
	buffer_load_dword v3, v3, s[0:3], 0 offen offset:12
	;; [unrolled: 11-line block ×21, first 2 shown]
	v_accvgpr_read_b32 v4, a42
	v_accvgpr_read_b32 v5, a43
	s_waitcnt vmcnt(0)
	global_store_dwordx4 v[4:5], v[0:3], off
	v_accvgpr_read_b32 v4, a166
	buffer_load_dword v0, v4, s[0:3], 0 offen
	buffer_load_dword v1, v4, s[0:3], 0 offen offset:4
	buffer_load_dword v2, v4, s[0:3], 0 offen offset:8
	buffer_load_dword v3, v4, s[0:3], 0 offen offset:12
	v_accvgpr_read_b32 v4, a44
	v_accvgpr_read_b32 v5, a45
	s_waitcnt vmcnt(0)
	global_store_dwordx4 v[4:5], v[0:3], off
	v_accvgpr_read_b32 v4, a165
	buffer_load_dword v0, v4, s[0:3], 0 offen
	buffer_load_dword v1, v4, s[0:3], 0 offen offset:4
	buffer_load_dword v2, v4, s[0:3], 0 offen offset:8
	buffer_load_dword v3, v4, s[0:3], 0 offen offset:12
	v_accvgpr_read_b32 v4, a46
	v_accvgpr_read_b32 v5, a47
	s_waitcnt vmcnt(0)
	global_store_dwordx4 v[4:5], v[0:3], off
	v_accvgpr_read_b32 v4, a164
	buffer_load_dword v0, v4, s[0:3], 0 offen
	buffer_load_dword v1, v4, s[0:3], 0 offen offset:4
	buffer_load_dword v2, v4, s[0:3], 0 offen offset:8
	buffer_load_dword v3, v4, s[0:3], 0 offen offset:12
	v_accvgpr_read_b32 v4, a48
	v_accvgpr_read_b32 v5, a49
	s_waitcnt vmcnt(0)
	global_store_dwordx4 v[4:5], v[0:3], off
	v_accvgpr_read_b32 v4, a163
	buffer_load_dword v0, v4, s[0:3], 0 offen
	buffer_load_dword v1, v4, s[0:3], 0 offen offset:4
	buffer_load_dword v2, v4, s[0:3], 0 offen offset:8
	buffer_load_dword v3, v4, s[0:3], 0 offen offset:12
	v_accvgpr_read_b32 v4, a50
	v_accvgpr_read_b32 v5, a51
	s_waitcnt vmcnt(0)
	global_store_dwordx4 v[4:5], v[0:3], off
	v_accvgpr_read_b32 v4, a162
	buffer_load_dword v0, v4, s[0:3], 0 offen
	buffer_load_dword v1, v4, s[0:3], 0 offen offset:4
	buffer_load_dword v2, v4, s[0:3], 0 offen offset:8
	buffer_load_dword v3, v4, s[0:3], 0 offen offset:12
	v_accvgpr_read_b32 v4, a52
	v_accvgpr_read_b32 v5, a53
	s_waitcnt vmcnt(0)
	global_store_dwordx4 v[4:5], v[0:3], off
	v_accvgpr_read_b32 v4, a161
	buffer_load_dword v0, v4, s[0:3], 0 offen
	buffer_load_dword v1, v4, s[0:3], 0 offen offset:4
	buffer_load_dword v2, v4, s[0:3], 0 offen offset:8
	buffer_load_dword v3, v4, s[0:3], 0 offen offset:12
	v_accvgpr_read_b32 v4, a54
	v_accvgpr_read_b32 v5, a55
	s_waitcnt vmcnt(0)
	global_store_dwordx4 v[4:5], v[0:3], off
	v_accvgpr_read_b32 v4, a160
	buffer_load_dword v0, v4, s[0:3], 0 offen
	buffer_load_dword v1, v4, s[0:3], 0 offen offset:4
	buffer_load_dword v2, v4, s[0:3], 0 offen offset:8
	buffer_load_dword v3, v4, s[0:3], 0 offen offset:12
	v_accvgpr_read_b32 v4, a56
	v_accvgpr_read_b32 v5, a57
	s_waitcnt vmcnt(0)
	global_store_dwordx4 v[4:5], v[0:3], off
	v_accvgpr_read_b32 v4, a159
	buffer_load_dword v0, v4, s[0:3], 0 offen
	buffer_load_dword v1, v4, s[0:3], 0 offen offset:4
	buffer_load_dword v2, v4, s[0:3], 0 offen offset:8
	buffer_load_dword v3, v4, s[0:3], 0 offen offset:12
	v_accvgpr_read_b32 v4, a58
	v_accvgpr_read_b32 v5, a59
	s_waitcnt vmcnt(0)
	global_store_dwordx4 v[4:5], v[0:3], off
	v_accvgpr_read_b32 v4, a158
	buffer_load_dword v0, v4, s[0:3], 0 offen
	buffer_load_dword v1, v4, s[0:3], 0 offen offset:4
	buffer_load_dword v2, v4, s[0:3], 0 offen offset:8
	buffer_load_dword v3, v4, s[0:3], 0 offen offset:12
	v_accvgpr_read_b32 v4, a60
	v_accvgpr_read_b32 v5, a61
	s_waitcnt vmcnt(0)
	global_store_dwordx4 v[4:5], v[0:3], off
	v_accvgpr_read_b32 v4, a157
	buffer_load_dword v0, v4, s[0:3], 0 offen
	buffer_load_dword v1, v4, s[0:3], 0 offen offset:4
	buffer_load_dword v2, v4, s[0:3], 0 offen offset:8
	buffer_load_dword v3, v4, s[0:3], 0 offen offset:12
	v_accvgpr_read_b32 v4, a62
	v_accvgpr_read_b32 v5, a63
	s_waitcnt vmcnt(0)
	global_store_dwordx4 v[4:5], v[0:3], off
	v_accvgpr_read_b32 v4, a156
	buffer_load_dword v0, v4, s[0:3], 0 offen
	buffer_load_dword v1, v4, s[0:3], 0 offen offset:4
	buffer_load_dword v2, v4, s[0:3], 0 offen offset:8
	buffer_load_dword v3, v4, s[0:3], 0 offen offset:12
	v_accvgpr_read_b32 v4, a64
	v_accvgpr_read_b32 v5, a65
	s_waitcnt vmcnt(0)
	global_store_dwordx4 v[4:5], v[0:3], off
	v_accvgpr_read_b32 v4, a155
	buffer_load_dword v0, v4, s[0:3], 0 offen
	buffer_load_dword v1, v4, s[0:3], 0 offen offset:4
	buffer_load_dword v2, v4, s[0:3], 0 offen offset:8
	buffer_load_dword v3, v4, s[0:3], 0 offen offset:12
	v_accvgpr_read_b32 v4, a66
	v_accvgpr_read_b32 v5, a67
	s_waitcnt vmcnt(0)
	global_store_dwordx4 v[4:5], v[0:3], off
	v_accvgpr_read_b32 v4, a154
	buffer_load_dword v0, v4, s[0:3], 0 offen
	buffer_load_dword v1, v4, s[0:3], 0 offen offset:4
	buffer_load_dword v2, v4, s[0:3], 0 offen offset:8
	buffer_load_dword v3, v4, s[0:3], 0 offen offset:12
	v_accvgpr_read_b32 v4, a68
	v_accvgpr_read_b32 v5, a69
	s_waitcnt vmcnt(0)
	global_store_dwordx4 v[4:5], v[0:3], off
	v_accvgpr_read_b32 v4, a153
	buffer_load_dword v0, v4, s[0:3], 0 offen
	buffer_load_dword v1, v4, s[0:3], 0 offen offset:4
	buffer_load_dword v2, v4, s[0:3], 0 offen offset:8
	buffer_load_dword v3, v4, s[0:3], 0 offen offset:12
	v_accvgpr_read_b32 v4, a70
	v_accvgpr_read_b32 v5, a71
	s_waitcnt vmcnt(0)
	global_store_dwordx4 v[4:5], v[0:3], off
	v_accvgpr_read_b32 v4, a152
	buffer_load_dword v0, v4, s[0:3], 0 offen
	buffer_load_dword v1, v4, s[0:3], 0 offen offset:4
	buffer_load_dword v2, v4, s[0:3], 0 offen offset:8
	buffer_load_dword v3, v4, s[0:3], 0 offen offset:12
	v_accvgpr_read_b32 v4, a72
	v_accvgpr_read_b32 v5, a73
	s_waitcnt vmcnt(0)
	global_store_dwordx4 v[4:5], v[0:3], off
	v_accvgpr_read_b32 v4, a151
	buffer_load_dword v0, v4, s[0:3], 0 offen
	buffer_load_dword v1, v4, s[0:3], 0 offen offset:4
	buffer_load_dword v2, v4, s[0:3], 0 offen offset:8
	buffer_load_dword v3, v4, s[0:3], 0 offen offset:12
	v_accvgpr_read_b32 v4, a74
	v_accvgpr_read_b32 v5, a75
	s_waitcnt vmcnt(0)
	global_store_dwordx4 v[4:5], v[0:3], off
	v_accvgpr_read_b32 v4, a150
	buffer_load_dword v0, v4, s[0:3], 0 offen
	buffer_load_dword v1, v4, s[0:3], 0 offen offset:4
	buffer_load_dword v2, v4, s[0:3], 0 offen offset:8
	buffer_load_dword v3, v4, s[0:3], 0 offen offset:12
	v_accvgpr_read_b32 v4, a76
	v_accvgpr_read_b32 v5, a77
	s_waitcnt vmcnt(0)
	global_store_dwordx4 v[4:5], v[0:3], off
	v_accvgpr_read_b32 v4, a149
	buffer_load_dword v0, v4, s[0:3], 0 offen
	buffer_load_dword v1, v4, s[0:3], 0 offen offset:4
	buffer_load_dword v2, v4, s[0:3], 0 offen offset:8
	buffer_load_dword v3, v4, s[0:3], 0 offen offset:12
	v_accvgpr_read_b32 v4, a78
	v_accvgpr_read_b32 v5, a79
	s_waitcnt vmcnt(0)
	global_store_dwordx4 v[4:5], v[0:3], off
	v_accvgpr_read_b32 v4, a148
	buffer_load_dword v0, v4, s[0:3], 0 offen
	buffer_load_dword v1, v4, s[0:3], 0 offen offset:4
	buffer_load_dword v2, v4, s[0:3], 0 offen offset:8
	buffer_load_dword v3, v4, s[0:3], 0 offen offset:12
	v_accvgpr_read_b32 v4, a80
	v_accvgpr_read_b32 v5, a81
	s_waitcnt vmcnt(0)
	global_store_dwordx4 v[4:5], v[0:3], off
	v_accvgpr_read_b32 v4, a147
	buffer_load_dword v0, v4, s[0:3], 0 offen
	buffer_load_dword v1, v4, s[0:3], 0 offen offset:4
	buffer_load_dword v2, v4, s[0:3], 0 offen offset:8
	buffer_load_dword v3, v4, s[0:3], 0 offen offset:12
	v_accvgpr_read_b32 v4, a82
	v_accvgpr_read_b32 v5, a83
	s_waitcnt vmcnt(0)
	global_store_dwordx4 v[4:5], v[0:3], off
	v_accvgpr_read_b32 v4, a146
	buffer_load_dword v0, v4, s[0:3], 0 offen
	buffer_load_dword v1, v4, s[0:3], 0 offen offset:4
	buffer_load_dword v2, v4, s[0:3], 0 offen offset:8
	buffer_load_dword v3, v4, s[0:3], 0 offen offset:12
	v_accvgpr_read_b32 v4, a86
	v_accvgpr_read_b32 v5, a87
	s_waitcnt vmcnt(0)
	global_store_dwordx4 v[4:5], v[0:3], off
	v_accvgpr_read_b32 v4, a145
	buffer_load_dword v0, v4, s[0:3], 0 offen
	buffer_load_dword v1, v4, s[0:3], 0 offen offset:4
	buffer_load_dword v2, v4, s[0:3], 0 offen offset:8
	buffer_load_dword v3, v4, s[0:3], 0 offen offset:12
	v_accvgpr_read_b32 v4, a88
	v_accvgpr_read_b32 v5, a89
	s_waitcnt vmcnt(0)
	global_store_dwordx4 v[4:5], v[0:3], off
	v_accvgpr_read_b32 v4, a144
	buffer_load_dword v0, v4, s[0:3], 0 offen
	buffer_load_dword v1, v4, s[0:3], 0 offen offset:4
	buffer_load_dword v2, v4, s[0:3], 0 offen offset:8
	buffer_load_dword v3, v4, s[0:3], 0 offen offset:12
	v_accvgpr_read_b32 v4, a90
	v_accvgpr_read_b32 v5, a91
	s_waitcnt vmcnt(0)
	global_store_dwordx4 v[4:5], v[0:3], off
	v_accvgpr_read_b32 v4, a143
	buffer_load_dword v0, v4, s[0:3], 0 offen
	buffer_load_dword v1, v4, s[0:3], 0 offen offset:4
	buffer_load_dword v2, v4, s[0:3], 0 offen offset:8
	buffer_load_dword v3, v4, s[0:3], 0 offen offset:12
	v_accvgpr_read_b32 v4, a92
	v_accvgpr_read_b32 v5, a93
	s_waitcnt vmcnt(0)
	global_store_dwordx4 v[4:5], v[0:3], off
	v_accvgpr_read_b32 v4, a142
	buffer_load_dword v0, v4, s[0:3], 0 offen
	buffer_load_dword v1, v4, s[0:3], 0 offen offset:4
	buffer_load_dword v2, v4, s[0:3], 0 offen offset:8
	buffer_load_dword v3, v4, s[0:3], 0 offen offset:12
	v_accvgpr_read_b32 v4, a94
	v_accvgpr_read_b32 v5, a95
	s_waitcnt vmcnt(0)
	global_store_dwordx4 v[4:5], v[0:3], off
	v_accvgpr_read_b32 v4, a141
	buffer_load_dword v0, v4, s[0:3], 0 offen
	buffer_load_dword v1, v4, s[0:3], 0 offen offset:4
	buffer_load_dword v2, v4, s[0:3], 0 offen offset:8
	buffer_load_dword v3, v4, s[0:3], 0 offen offset:12
	v_accvgpr_read_b32 v4, a96
	v_accvgpr_read_b32 v5, a97
	s_waitcnt vmcnt(0)
	global_store_dwordx4 v[4:5], v[0:3], off
	v_accvgpr_read_b32 v4, a140
	buffer_load_dword v0, v4, s[0:3], 0 offen
	buffer_load_dword v1, v4, s[0:3], 0 offen offset:4
	buffer_load_dword v2, v4, s[0:3], 0 offen offset:8
	buffer_load_dword v3, v4, s[0:3], 0 offen offset:12
	v_accvgpr_read_b32 v4, a98
	v_accvgpr_read_b32 v5, a99
	s_waitcnt vmcnt(0)
	global_store_dwordx4 v[4:5], v[0:3], off
	v_accvgpr_read_b32 v4, a139
	buffer_load_dword v0, v4, s[0:3], 0 offen
	buffer_load_dword v1, v4, s[0:3], 0 offen offset:4
	buffer_load_dword v2, v4, s[0:3], 0 offen offset:8
	buffer_load_dword v3, v4, s[0:3], 0 offen offset:12
	v_accvgpr_read_b32 v4, a100
	v_accvgpr_read_b32 v5, a101
	s_waitcnt vmcnt(0)
	global_store_dwordx4 v[4:5], v[0:3], off
	v_accvgpr_read_b32 v4, a138
	buffer_load_dword v0, v4, s[0:3], 0 offen
	buffer_load_dword v1, v4, s[0:3], 0 offen offset:4
	buffer_load_dword v2, v4, s[0:3], 0 offen offset:8
	buffer_load_dword v3, v4, s[0:3], 0 offen offset:12
	v_accvgpr_read_b32 v4, a102
	v_accvgpr_read_b32 v5, a103
	s_waitcnt vmcnt(0)
	global_store_dwordx4 v[4:5], v[0:3], off
	v_accvgpr_read_b32 v4, a137
	buffer_load_dword v0, v4, s[0:3], 0 offen
	buffer_load_dword v1, v4, s[0:3], 0 offen offset:4
	buffer_load_dword v2, v4, s[0:3], 0 offen offset:8
	buffer_load_dword v3, v4, s[0:3], 0 offen offset:12
	v_accvgpr_read_b32 v4, a104
	v_accvgpr_read_b32 v5, a105
	s_waitcnt vmcnt(0)
	global_store_dwordx4 v[4:5], v[0:3], off
	v_accvgpr_read_b32 v4, a136
	buffer_load_dword v0, v4, s[0:3], 0 offen
	buffer_load_dword v1, v4, s[0:3], 0 offen offset:4
	buffer_load_dword v2, v4, s[0:3], 0 offen offset:8
	buffer_load_dword v3, v4, s[0:3], 0 offen offset:12
	v_accvgpr_read_b32 v4, a106
	v_accvgpr_read_b32 v5, a107
	s_waitcnt vmcnt(0)
	global_store_dwordx4 v[4:5], v[0:3], off
	v_accvgpr_read_b32 v4, a135
	buffer_load_dword v0, v4, s[0:3], 0 offen
	buffer_load_dword v1, v4, s[0:3], 0 offen offset:4
	buffer_load_dword v2, v4, s[0:3], 0 offen offset:8
	buffer_load_dword v3, v4, s[0:3], 0 offen offset:12
	v_accvgpr_read_b32 v4, a108
	v_accvgpr_read_b32 v5, a109
	s_waitcnt vmcnt(0)
	global_store_dwordx4 v[4:5], v[0:3], off
	v_accvgpr_read_b32 v4, a134
	buffer_load_dword v0, v4, s[0:3], 0 offen
	buffer_load_dword v1, v4, s[0:3], 0 offen offset:4
	buffer_load_dword v2, v4, s[0:3], 0 offen offset:8
	buffer_load_dword v3, v4, s[0:3], 0 offen offset:12
	v_accvgpr_read_b32 v4, a110
	v_accvgpr_read_b32 v5, a111
	s_waitcnt vmcnt(0)
	global_store_dwordx4 v[4:5], v[0:3], off
	v_accvgpr_read_b32 v4, a133
	buffer_load_dword v0, v4, s[0:3], 0 offen
	buffer_load_dword v1, v4, s[0:3], 0 offen offset:4
	buffer_load_dword v2, v4, s[0:3], 0 offen offset:8
	buffer_load_dword v3, v4, s[0:3], 0 offen offset:12
	v_accvgpr_read_b32 v4, a112
	v_accvgpr_read_b32 v5, a113
	s_waitcnt vmcnt(0)
	global_store_dwordx4 v[4:5], v[0:3], off
	v_accvgpr_read_b32 v4, a132
	buffer_load_dword v0, v4, s[0:3], 0 offen
	buffer_load_dword v1, v4, s[0:3], 0 offen offset:4
	buffer_load_dword v2, v4, s[0:3], 0 offen offset:8
	buffer_load_dword v3, v4, s[0:3], 0 offen offset:12
	v_accvgpr_read_b32 v4, a114
	v_accvgpr_read_b32 v5, a115
	s_waitcnt vmcnt(0)
	global_store_dwordx4 v[4:5], v[0:3], off
	v_accvgpr_read_b32 v4, a131
	buffer_load_dword v0, v4, s[0:3], 0 offen
	buffer_load_dword v1, v4, s[0:3], 0 offen offset:4
	buffer_load_dword v2, v4, s[0:3], 0 offen offset:8
	buffer_load_dword v3, v4, s[0:3], 0 offen offset:12
	v_accvgpr_read_b32 v4, a116
	v_accvgpr_read_b32 v5, a117
	s_waitcnt vmcnt(0)
	global_store_dwordx4 v[4:5], v[0:3], off
	v_accvgpr_read_b32 v4, a130
	buffer_load_dword v0, v4, s[0:3], 0 offen
	buffer_load_dword v1, v4, s[0:3], 0 offen offset:4
	buffer_load_dword v2, v4, s[0:3], 0 offen offset:8
	buffer_load_dword v3, v4, s[0:3], 0 offen offset:12
	v_accvgpr_read_b32 v4, a118
	v_accvgpr_read_b32 v5, a119
	s_waitcnt vmcnt(0)
	global_store_dwordx4 v[4:5], v[0:3], off
	v_accvgpr_read_b32 v4, a129
	buffer_load_dword v0, v4, s[0:3], 0 offen
	buffer_load_dword v1, v4, s[0:3], 0 offen offset:4
	buffer_load_dword v2, v4, s[0:3], 0 offen offset:8
	buffer_load_dword v3, v4, s[0:3], 0 offen offset:12
	v_accvgpr_read_b32 v4, a120
	v_accvgpr_read_b32 v5, a121
	s_waitcnt vmcnt(0)
	global_store_dwordx4 v[4:5], v[0:3], off
	v_accvgpr_read_b32 v4, a128
	buffer_load_dword v0, v4, s[0:3], 0 offen
	buffer_load_dword v1, v4, s[0:3], 0 offen offset:4
	buffer_load_dword v2, v4, s[0:3], 0 offen offset:8
	buffer_load_dword v3, v4, s[0:3], 0 offen offset:12
	v_accvgpr_read_b32 v4, a122
	v_accvgpr_read_b32 v5, a123
	s_waitcnt vmcnt(0)
	global_store_dwordx4 v[4:5], v[0:3], off
	v_accvgpr_read_b32 v4, a127
	buffer_load_dword v0, v4, s[0:3], 0 offen
	buffer_load_dword v1, v4, s[0:3], 0 offen offset:4
	buffer_load_dword v2, v4, s[0:3], 0 offen offset:8
	buffer_load_dword v3, v4, s[0:3], 0 offen offset:12
	v_accvgpr_read_b32 v4, a124
	v_accvgpr_read_b32 v5, a125
	s_waitcnt vmcnt(0)
	global_store_dwordx4 v[4:5], v[0:3], off
	v_accvgpr_read_b32 v4, a126
	buffer_load_dword v0, v4, s[0:3], 0 offen
	buffer_load_dword v1, v4, s[0:3], 0 offen offset:4
	buffer_load_dword v2, v4, s[0:3], 0 offen offset:8
	buffer_load_dword v3, v4, s[0:3], 0 offen offset:12
	v_accvgpr_read_b32 v4, a84
	v_accvgpr_read_b32 v5, a85
	s_waitcnt vmcnt(0)
	global_store_dwordx4 v[4:5], v[0:3], off
	s_endpgm
	.section	.rodata,"a",@progbits
	.p2align	6, 0x0
	.amdhsa_kernel _ZN9rocsolver6v33100L18getri_kernel_smallILi63E19rocblas_complex_numIdEPKPS3_EEvT1_iilPiilS8_bb
		.amdhsa_group_segment_fixed_size 2024
		.amdhsa_private_segment_fixed_size 1040
		.amdhsa_kernarg_size 60
		.amdhsa_user_sgpr_count 8
		.amdhsa_user_sgpr_private_segment_buffer 1
		.amdhsa_user_sgpr_dispatch_ptr 0
		.amdhsa_user_sgpr_queue_ptr 0
		.amdhsa_user_sgpr_kernarg_segment_ptr 1
		.amdhsa_user_sgpr_dispatch_id 0
		.amdhsa_user_sgpr_flat_scratch_init 1
		.amdhsa_user_sgpr_kernarg_preload_length 0
		.amdhsa_user_sgpr_kernarg_preload_offset 0
		.amdhsa_user_sgpr_private_segment_size 0
		.amdhsa_uses_dynamic_stack 0
		.amdhsa_system_sgpr_private_segment_wavefront_offset 1
		.amdhsa_system_sgpr_workgroup_id_x 1
		.amdhsa_system_sgpr_workgroup_id_y 0
		.amdhsa_system_sgpr_workgroup_id_z 0
		.amdhsa_system_sgpr_workgroup_info 0
		.amdhsa_system_vgpr_workitem_id 0
		.amdhsa_next_free_vgpr 502
		.amdhsa_next_free_sgpr 30
		.amdhsa_accum_offset 256
		.amdhsa_reserve_vcc 1
		.amdhsa_reserve_flat_scratch 1
		.amdhsa_float_round_mode_32 0
		.amdhsa_float_round_mode_16_64 0
		.amdhsa_float_denorm_mode_32 3
		.amdhsa_float_denorm_mode_16_64 3
		.amdhsa_dx10_clamp 1
		.amdhsa_ieee_mode 1
		.amdhsa_fp16_overflow 0
		.amdhsa_tg_split 0
		.amdhsa_exception_fp_ieee_invalid_op 0
		.amdhsa_exception_fp_denorm_src 0
		.amdhsa_exception_fp_ieee_div_zero 0
		.amdhsa_exception_fp_ieee_overflow 0
		.amdhsa_exception_fp_ieee_underflow 0
		.amdhsa_exception_fp_ieee_inexact 0
		.amdhsa_exception_int_div_zero 0
	.end_amdhsa_kernel
	.section	.text._ZN9rocsolver6v33100L18getri_kernel_smallILi63E19rocblas_complex_numIdEPKPS3_EEvT1_iilPiilS8_bb,"axG",@progbits,_ZN9rocsolver6v33100L18getri_kernel_smallILi63E19rocblas_complex_numIdEPKPS3_EEvT1_iilPiilS8_bb,comdat
.Lfunc_end126:
	.size	_ZN9rocsolver6v33100L18getri_kernel_smallILi63E19rocblas_complex_numIdEPKPS3_EEvT1_iilPiilS8_bb, .Lfunc_end126-_ZN9rocsolver6v33100L18getri_kernel_smallILi63E19rocblas_complex_numIdEPKPS3_EEvT1_iilPiilS8_bb
                                        ; -- End function
	.section	.AMDGPU.csdata,"",@progbits
; Kernel info:
; codeLenInByte = 246164
; NumSgprs: 36
; NumVgprs: 256
; NumAgprs: 246
; TotalNumVgprs: 502
; ScratchSize: 1040
; MemoryBound: 0
; FloatMode: 240
; IeeeMode: 1
; LDSByteSize: 2024 bytes/workgroup (compile time only)
; SGPRBlocks: 4
; VGPRBlocks: 62
; NumSGPRsForWavesPerEU: 36
; NumVGPRsForWavesPerEU: 502
; AccumOffset: 256
; Occupancy: 1
; WaveLimiterHint : 1
; COMPUTE_PGM_RSRC2:SCRATCH_EN: 1
; COMPUTE_PGM_RSRC2:USER_SGPR: 8
; COMPUTE_PGM_RSRC2:TRAP_HANDLER: 0
; COMPUTE_PGM_RSRC2:TGID_X_EN: 1
; COMPUTE_PGM_RSRC2:TGID_Y_EN: 0
; COMPUTE_PGM_RSRC2:TGID_Z_EN: 0
; COMPUTE_PGM_RSRC2:TIDIG_COMP_CNT: 0
; COMPUTE_PGM_RSRC3_GFX90A:ACCUM_OFFSET: 63
; COMPUTE_PGM_RSRC3_GFX90A:TG_SPLIT: 0
	.section	.text._ZN9rocsolver6v33100L18getri_kernel_smallILi64E19rocblas_complex_numIdEPKPS3_EEvT1_iilPiilS8_bb,"axG",@progbits,_ZN9rocsolver6v33100L18getri_kernel_smallILi64E19rocblas_complex_numIdEPKPS3_EEvT1_iilPiilS8_bb,comdat
	.globl	_ZN9rocsolver6v33100L18getri_kernel_smallILi64E19rocblas_complex_numIdEPKPS3_EEvT1_iilPiilS8_bb ; -- Begin function _ZN9rocsolver6v33100L18getri_kernel_smallILi64E19rocblas_complex_numIdEPKPS3_EEvT1_iilPiilS8_bb
	.p2align	8
	.type	_ZN9rocsolver6v33100L18getri_kernel_smallILi64E19rocblas_complex_numIdEPKPS3_EEvT1_iilPiilS8_bb,@function
_ZN9rocsolver6v33100L18getri_kernel_smallILi64E19rocblas_complex_numIdEPKPS3_EEvT1_iilPiilS8_bb: ; @_ZN9rocsolver6v33100L18getri_kernel_smallILi64E19rocblas_complex_numIdEPKPS3_EEvT1_iilPiilS8_bb
; %bb.0:
	s_add_u32 flat_scratch_lo, s6, s9
	s_addc_u32 flat_scratch_hi, s7, 0
	s_add_u32 s0, s0, s9
	v_mov_b32_e32 v254, v0
	s_addc_u32 s1, s1, 0
	v_cmp_gt_u32_e32 vcc, 64, v254
	s_and_saveexec_b64 s[6:7], vcc
	s_cbranch_execz .LBB127_282
; %bb.1:
	s_load_dword s10, s[4:5], 0x38
	s_load_dwordx2 s[6:7], s[4:5], 0x0
	s_load_dwordx4 s[12:15], s[4:5], 0x28
	s_waitcnt lgkmcnt(0)
	s_bitcmp1_b32 s10, 8
	s_cselect_b64 s[18:19], -1, 0
	s_ashr_i32 s9, s8, 31
	s_lshl_b64 s[16:17], s[8:9], 3
	s_add_u32 s6, s6, s16
	s_addc_u32 s7, s7, s17
	s_load_dwordx2 s[6:7], s[6:7], 0x0
	s_bfe_u32 s11, s10, 0x10008
	s_cmp_eq_u32 s11, 0
                                        ; implicit-def: $sgpr16_sgpr17
	s_cbranch_scc1 .LBB127_3
; %bb.2:
	s_load_dword s16, s[4:5], 0x20
	s_load_dwordx2 s[20:21], s[4:5], 0x18
	s_mul_i32 s11, s8, s13
	s_mul_hi_u32 s13, s8, s12
	s_add_i32 s11, s13, s11
	s_mul_i32 s13, s9, s12
	s_add_i32 s13, s11, s13
	s_mul_i32 s12, s8, s12
	s_waitcnt lgkmcnt(0)
	s_ashr_i32 s17, s16, 31
	s_lshl_b64 s[12:13], s[12:13], 2
	s_add_u32 s11, s20, s12
	s_addc_u32 s20, s21, s13
	s_lshl_b64 s[12:13], s[16:17], 2
	s_add_u32 s16, s11, s12
	s_addc_u32 s17, s20, s13
.LBB127_3:
	s_load_dwordx2 s[4:5], s[4:5], 0x8
	v_lshlrev_b32_e32 v94, 4, v254
	s_waitcnt lgkmcnt(0)
	s_ashr_i32 s13, s4, 31
	s_mov_b32 s12, s4
	s_lshl_b64 s[12:13], s[12:13], 4
	s_add_u32 s6, s6, s12
	s_addc_u32 s7, s7, s13
	global_load_dwordx4 v[6:9], v94, s[6:7]
	v_mov_b32_e32 v4, s7
	v_add_co_u32_e32 v12, vcc, s6, v94
	s_ashr_i32 s13, s5, 31
	s_mov_b32 s12, s5
	v_addc_co_u32_e32 v13, vcc, 0, v4, vcc
	s_lshl_b64 s[12:13], s[12:13], 4
	s_add_i32 s4, s5, s5
	v_mov_b32_e32 v4, s13
	v_add_co_u32_e32 v10, vcc, s12, v12
	v_add_u32_e32 v0, s4, v254
	v_addc_co_u32_e32 v11, vcc, v13, v4, vcc
	v_ashrrev_i32_e32 v1, 31, v0
	global_load_dwordx4 v[96:99], v[10:11], off
	v_lshlrev_b64 v[2:3], 4, v[0:1]
	v_mov_b32_e32 v1, s7
	v_add_co_u32_e32 v2, vcc, s6, v2
	v_accvgpr_write_b32 a73, v13
	v_accvgpr_write_b32 a59, v11
	v_addc_co_u32_e32 v3, vcc, v1, v3, vcc
	v_accvgpr_write_b32 a72, v12
	v_accvgpr_write_b32 a58, v10
	global_load_dwordx4 v[10:13], v[2:3], off
	v_add_u32_e32 v0, s5, v0
	v_add_u32_e32 v100, s5, v0
	v_add_u32_e32 v104, s5, v100
	v_add_u32_e32 v106, s5, v104
	v_add_u32_e32 v112, s5, v106
	v_add_u32_e32 v114, s5, v112
	v_add_u32_e32 v120, s5, v114
	v_add_u32_e32 v122, s5, v120
	v_add_u32_e32 v128, s5, v122
	v_add_u32_e32 v130, s5, v128
	v_add_u32_e32 v136, s5, v130
	v_add_u32_e32 v138, s5, v136
	v_add_u32_e32 v144, s5, v138
	v_add_u32_e32 v146, s5, v144
	v_add_u32_e32 v152, s5, v146
	v_add_u32_e32 v154, s5, v152
	v_add_u32_e32 v160, s5, v154
	v_add_u32_e32 v162, s5, v160
	v_add_u32_e32 v168, s5, v162
	v_add_u32_e32 v170, s5, v168
	v_add_u32_e32 v92, s5, v170
	v_add_u32_e32 v90, s5, v92
	v_add_u32_e32 v88, s5, v90
	v_add_u32_e32 v86, s5, v88
	v_add_u32_e32 v84, s5, v86
	v_add_u32_e32 v82, s5, v84
	v_add_u32_e32 v80, s5, v82
	v_add_u32_e32 v78, s5, v80
	v_add_u32_e32 v76, s5, v78
	v_add_u32_e32 v74, s5, v76
	v_add_u32_e32 v72, s5, v74
	v_add_u32_e32 v70, s5, v72
	v_add_u32_e32 v68, s5, v70
	v_add_u32_e32 v66, s5, v68
	v_add_u32_e32 v64, s5, v66
	v_add_u32_e32 v62, s5, v64
	v_add_u32_e32 v60, s5, v62
	v_add_u32_e32 v58, s5, v60
	v_add_u32_e32 v56, s5, v58
	v_add_u32_e32 v54, s5, v56
	v_add_u32_e32 v52, s5, v54
	v_add_u32_e32 v50, s5, v52
	v_add_u32_e32 v48, s5, v50
	v_add_u32_e32 v46, s5, v48
	v_add_u32_e32 v44, s5, v46
	v_add_u32_e32 v42, s5, v44
	v_add_u32_e32 v40, s5, v42
	v_add_u32_e32 v38, s5, v40
	v_add_u32_e32 v36, s5, v38
	v_add_u32_e32 v34, s5, v36
	v_add_u32_e32 v32, s5, v34
	v_add_u32_e32 v30, s5, v32
	v_add_u32_e32 v28, s5, v30
	v_add_u32_e32 v26, s5, v28
	v_add_u32_e32 v24, s5, v26
	v_add_u32_e32 v22, s5, v24
	v_add_u32_e32 v20, s5, v22
	v_add_u32_e32 v18, s5, v20
	v_add_u32_e32 v16, s5, v18
	v_accvgpr_write_b32 a45, v3
	v_add_u32_e32 v14, s5, v16
	v_accvgpr_write_b32 a44, v2
	v_add_u32_e32 v2, s5, v14
	v_ashrrev_i32_e32 v3, 31, v2
	v_lshlrev_b64 v[2:3], 4, v[2:3]
	v_add_co_u32_e32 v2, vcc, s6, v2
	v_addc_co_u32_e32 v3, vcc, v1, v3, vcc
	v_ashrrev_i32_e32 v1, 31, v0
	v_accvgpr_write_b32 a0, v2
	v_lshlrev_b64 v[0:1], 4, v[0:1]
	v_accvgpr_write_b32 a1, v3
	global_load_dwordx4 v[2:5], v[2:3], off
	s_waitcnt vmcnt(3)
	buffer_store_dword v9, off, s[0:3], 0 offset:28
	buffer_store_dword v8, off, s[0:3], 0 offset:24
	;; [unrolled: 1-line block ×4, first 2 shown]
	s_waitcnt vmcnt(6)
	buffer_store_dword v99, off, s[0:3], 0 offset:44
	buffer_store_dword v98, off, s[0:3], 0 offset:40
	;; [unrolled: 1-line block ×4, first 2 shown]
	s_waitcnt vmcnt(9)
	buffer_store_dword v13, off, s[0:3], 0 offset:60
	v_mov_b32_e32 v6, s7
	v_add_co_u32_e32 v8, vcc, s6, v0
	v_addc_co_u32_e32 v9, vcc, v6, v1, vcc
	v_ashrrev_i32_e32 v101, 31, v100
	global_load_dwordx4 v[96:99], v[8:9], off
	v_lshlrev_b64 v[0:1], 4, v[100:101]
	v_add_co_u32_e32 v0, vcc, s6, v0
	v_addc_co_u32_e32 v1, vcc, v6, v1, vcc
	global_load_dwordx4 v[100:103], v[0:1], off
	v_accvgpr_write_b32 a121, v1
	v_ashrrev_i32_e32 v105, 31, v104
	v_accvgpr_write_b32 a127, v9
	v_accvgpr_write_b32 a120, v0
	v_lshlrev_b64 v[0:1], 4, v[104:105]
	v_accvgpr_write_b32 a126, v8
	v_add_co_u32_e32 v8, vcc, s6, v0
	v_addc_co_u32_e32 v9, vcc, v6, v1, vcc
	v_ashrrev_i32_e32 v107, 31, v106
	v_lshlrev_b64 v[0:1], 4, v[106:107]
	global_load_dwordx4 v[104:107], v[8:9], off
	v_add_co_u32_e32 v0, vcc, s6, v0
	v_addc_co_u32_e32 v1, vcc, v6, v1, vcc
	global_load_dwordx4 v[108:111], v[0:1], off
	v_accvgpr_write_b32 a113, v1
	v_ashrrev_i32_e32 v113, 31, v112
	v_accvgpr_write_b32 a123, v9
	v_accvgpr_write_b32 a112, v0
	v_lshlrev_b64 v[0:1], 4, v[112:113]
	v_accvgpr_write_b32 a122, v8
	v_add_co_u32_e32 v8, vcc, s6, v0
	v_addc_co_u32_e32 v9, vcc, v6, v1, vcc
	v_ashrrev_i32_e32 v115, 31, v114
	v_lshlrev_b64 v[0:1], 4, v[114:115]
	global_load_dwordx4 v[112:115], v[8:9], off
	;; [unrolled: 14-line block ×9, first 2 shown]
	v_add_co_u32_e32 v0, vcc, s6, v0
	v_addc_co_u32_e32 v1, vcc, v6, v1, vcc
	v_accvgpr_write_b32 a43, v9
	v_accvgpr_write_b32 a31, v1
	v_ashrrev_i32_e32 v93, 31, v92
	v_accvgpr_write_b32 a42, v8
	v_accvgpr_write_b32 a30, v0
	global_load_dwordx4 v[6:9], v[0:1], off
	v_lshlrev_b64 v[0:1], 4, v[92:93]
	buffer_store_dword v12, off, s[0:3], 0 offset:56
	buffer_store_dword v11, off, s[0:3], 0 offset:52
	buffer_store_dword v10, off, s[0:3], 0 offset:48
	s_waitcnt vmcnt(22)
	buffer_store_dword v99, off, s[0:3], 0 offset:76
	buffer_store_dword v98, off, s[0:3], 0 offset:72
	buffer_store_dword v97, off, s[0:3], 0 offset:68
	buffer_store_dword v96, off, s[0:3], 0 offset:64
	s_waitcnt vmcnt(25)
	buffer_store_dword v103, off, s[0:3], 0 offset:92
	buffer_store_dword v102, off, s[0:3], 0 offset:88
	buffer_store_dword v101, off, s[0:3], 0 offset:84
	buffer_store_dword v100, off, s[0:3], 0 offset:80
	s_waitcnt vmcnt(28)
	buffer_store_dword v107, off, s[0:3], 0 offset:108
	buffer_store_dword v106, off, s[0:3], 0 offset:104
	buffer_store_dword v105, off, s[0:3], 0 offset:100
	buffer_store_dword v104, off, s[0:3], 0 offset:96
	s_waitcnt vmcnt(31)
	buffer_store_dword v111, off, s[0:3], 0 offset:124
	buffer_store_dword v110, off, s[0:3], 0 offset:120
	buffer_store_dword v109, off, s[0:3], 0 offset:116
	buffer_store_dword v108, off, s[0:3], 0 offset:112
	s_waitcnt vmcnt(34)
	buffer_store_dword v115, off, s[0:3], 0 offset:140
	buffer_store_dword v114, off, s[0:3], 0 offset:136
	buffer_store_dword v113, off, s[0:3], 0 offset:132
	buffer_store_dword v112, off, s[0:3], 0 offset:128
	s_waitcnt vmcnt(37)
	buffer_store_dword v119, off, s[0:3], 0 offset:156
	buffer_store_dword v118, off, s[0:3], 0 offset:152
	buffer_store_dword v117, off, s[0:3], 0 offset:148
	buffer_store_dword v116, off, s[0:3], 0 offset:144
	s_waitcnt vmcnt(40)
	buffer_store_dword v120, off, s[0:3], 0 offset:160
	buffer_store_dword v121, off, s[0:3], 0 offset:164
	buffer_store_dword v122, off, s[0:3], 0 offset:168
	buffer_store_dword v123, off, s[0:3], 0 offset:172
	s_waitcnt vmcnt(43)
	buffer_store_dword v124, off, s[0:3], 0 offset:176
	buffer_store_dword v125, off, s[0:3], 0 offset:180
	buffer_store_dword v126, off, s[0:3], 0 offset:184
	buffer_store_dword v127, off, s[0:3], 0 offset:188
	s_waitcnt vmcnt(46)
	buffer_store_dword v128, off, s[0:3], 0 offset:192
	buffer_store_dword v129, off, s[0:3], 0 offset:196
	buffer_store_dword v130, off, s[0:3], 0 offset:200
	buffer_store_dword v131, off, s[0:3], 0 offset:204
	s_waitcnt vmcnt(49)
	buffer_store_dword v135, off, s[0:3], 0 offset:220
	buffer_store_dword v134, off, s[0:3], 0 offset:216
	buffer_store_dword v133, off, s[0:3], 0 offset:212
	buffer_store_dword v132, off, s[0:3], 0 offset:208
	s_waitcnt vmcnt(52)
	buffer_store_dword v139, off, s[0:3], 0 offset:236
	buffer_store_dword v138, off, s[0:3], 0 offset:232
	buffer_store_dword v137, off, s[0:3], 0 offset:228
	buffer_store_dword v136, off, s[0:3], 0 offset:224
	s_waitcnt vmcnt(55)
	buffer_store_dword v143, off, s[0:3], 0 offset:252
	buffer_store_dword v142, off, s[0:3], 0 offset:248
	buffer_store_dword v141, off, s[0:3], 0 offset:244
	buffer_store_dword v140, off, s[0:3], 0 offset:240
	s_waitcnt vmcnt(58)
	buffer_store_dword v147, off, s[0:3], 0 offset:268
	buffer_store_dword v146, off, s[0:3], 0 offset:264
	buffer_store_dword v145, off, s[0:3], 0 offset:260
	buffer_store_dword v144, off, s[0:3], 0 offset:256
	s_waitcnt vmcnt(61)
	buffer_store_dword v151, off, s[0:3], 0 offset:284
	buffer_store_dword v150, off, s[0:3], 0 offset:280
	buffer_store_dword v149, off, s[0:3], 0 offset:276
	buffer_store_dword v148, off, s[0:3], 0 offset:272
	s_waitcnt vmcnt(62)
	buffer_store_dword v155, off, s[0:3], 0 offset:300
	buffer_store_dword v154, off, s[0:3], 0 offset:296
	buffer_store_dword v153, off, s[0:3], 0 offset:292
	;; [unrolled: 1-line block ×11, first 2 shown]
	s_waitcnt vmcnt(62)
	buffer_store_dword v167, off, s[0:3], 0 offset:348
	buffer_store_dword v166, off, s[0:3], 0 offset:344
	;; [unrolled: 1-line block ×9, first 2 shown]
	v_mov_b32_e32 v9, s7
	v_add_co_u32_e32 v10, vcc, s6, v0
	v_addc_co_u32_e32 v11, vcc, v9, v1, vcc
	v_ashrrev_i32_e32 v91, 31, v90
	v_lshlrev_b64 v[0:1], 4, v[90:91]
	global_load_dwordx4 v[90:93], v[10:11], off
	v_add_co_u32_e32 v0, vcc, s6, v0
	v_addc_co_u32_e32 v1, vcc, v9, v1, vcc
	global_load_dwordx4 v[96:99], v[0:1], off
	v_accvgpr_write_b32 a117, v1
	v_ashrrev_i32_e32 v89, 31, v88
	v_accvgpr_write_b32 a125, v11
	v_accvgpr_write_b32 a116, v0
	v_lshlrev_b64 v[0:1], 4, v[88:89]
	v_accvgpr_write_b32 a124, v10
	v_add_co_u32_e32 v10, vcc, s6, v0
	v_addc_co_u32_e32 v11, vcc, v9, v1, vcc
	v_ashrrev_i32_e32 v87, 31, v86
	v_lshlrev_b64 v[0:1], 4, v[86:87]
	global_load_dwordx4 v[86:89], v[10:11], off
	v_add_co_u32_e32 v0, vcc, s6, v0
	v_addc_co_u32_e32 v1, vcc, v9, v1, vcc
	global_load_dwordx4 v[100:103], v[0:1], off
	v_accvgpr_write_b32 a109, v1
	v_ashrrev_i32_e32 v85, 31, v84
	v_accvgpr_write_b32 a119, v11
	v_accvgpr_write_b32 a108, v0
	v_lshlrev_b64 v[0:1], 4, v[84:85]
	v_accvgpr_write_b32 a118, v10
	;; [unrolled: 14-line block ×9, first 2 shown]
	v_add_co_u32_e32 v10, vcc, s6, v0
	v_addc_co_u32_e32 v11, vcc, v9, v1, vcc
	v_ashrrev_i32_e32 v55, 31, v54
	v_lshlrev_b64 v[0:1], 4, v[54:55]
	global_load_dwordx4 v[54:57], v[10:11], off
	v_add_co_u32_e32 v0, vcc, s6, v0
	v_addc_co_u32_e32 v1, vcc, v9, v1, vcc
	v_accvgpr_write_b32 a21, v11
	v_accvgpr_write_b32 a13, v1
	v_ashrrev_i32_e32 v53, 31, v52
	v_accvgpr_write_b32 a20, v10
	v_accvgpr_write_b32 a12, v0
	global_load_dwordx4 v[10:13], v[0:1], off
	v_lshlrev_b64 v[0:1], 4, v[52:53]
	buffer_store_dword v8, off, s[0:3], 0 offset:376
	buffer_store_dword v7, off, s[0:3], 0 offset:372
	buffer_store_dword v6, off, s[0:3], 0 offset:368
	s_waitcnt vmcnt(22)
	buffer_store_dword v93, off, s[0:3], 0 offset:396
	buffer_store_dword v92, off, s[0:3], 0 offset:392
	buffer_store_dword v91, off, s[0:3], 0 offset:388
	buffer_store_dword v90, off, s[0:3], 0 offset:384
	s_waitcnt vmcnt(25)
	buffer_store_dword v99, off, s[0:3], 0 offset:412
	buffer_store_dword v98, off, s[0:3], 0 offset:408
	buffer_store_dword v97, off, s[0:3], 0 offset:404
	buffer_store_dword v96, off, s[0:3], 0 offset:400
	s_waitcnt vmcnt(28)
	buffer_store_dword v89, off, s[0:3], 0 offset:428
	buffer_store_dword v88, off, s[0:3], 0 offset:424
	buffer_store_dword v87, off, s[0:3], 0 offset:420
	buffer_store_dword v86, off, s[0:3], 0 offset:416
	s_waitcnt vmcnt(31)
	buffer_store_dword v103, off, s[0:3], 0 offset:444
	buffer_store_dword v102, off, s[0:3], 0 offset:440
	buffer_store_dword v101, off, s[0:3], 0 offset:436
	buffer_store_dword v100, off, s[0:3], 0 offset:432
	s_waitcnt vmcnt(34)
	buffer_store_dword v85, off, s[0:3], 0 offset:460
	buffer_store_dword v84, off, s[0:3], 0 offset:456
	buffer_store_dword v83, off, s[0:3], 0 offset:452
	buffer_store_dword v82, off, s[0:3], 0 offset:448
	s_waitcnt vmcnt(37)
	buffer_store_dword v107, off, s[0:3], 0 offset:476
	buffer_store_dword v106, off, s[0:3], 0 offset:472
	buffer_store_dword v105, off, s[0:3], 0 offset:468
	buffer_store_dword v104, off, s[0:3], 0 offset:464
	s_waitcnt vmcnt(40)
	buffer_store_dword v81, off, s[0:3], 0 offset:492
	buffer_store_dword v80, off, s[0:3], 0 offset:488
	buffer_store_dword v79, off, s[0:3], 0 offset:484
	buffer_store_dword v78, off, s[0:3], 0 offset:480
	s_waitcnt vmcnt(43)
	buffer_store_dword v111, off, s[0:3], 0 offset:508
	buffer_store_dword v110, off, s[0:3], 0 offset:504
	buffer_store_dword v109, off, s[0:3], 0 offset:500
	buffer_store_dword v108, off, s[0:3], 0 offset:496
	s_waitcnt vmcnt(46)
	buffer_store_dword v77, off, s[0:3], 0 offset:524
	buffer_store_dword v76, off, s[0:3], 0 offset:520
	buffer_store_dword v75, off, s[0:3], 0 offset:516
	buffer_store_dword v74, off, s[0:3], 0 offset:512
	s_waitcnt vmcnt(49)
	buffer_store_dword v115, off, s[0:3], 0 offset:540
	buffer_store_dword v114, off, s[0:3], 0 offset:536
	buffer_store_dword v113, off, s[0:3], 0 offset:532
	buffer_store_dword v112, off, s[0:3], 0 offset:528
	s_waitcnt vmcnt(52)
	buffer_store_dword v73, off, s[0:3], 0 offset:556
	buffer_store_dword v72, off, s[0:3], 0 offset:552
	buffer_store_dword v71, off, s[0:3], 0 offset:548
	buffer_store_dword v70, off, s[0:3], 0 offset:544
	s_waitcnt vmcnt(55)
	buffer_store_dword v119, off, s[0:3], 0 offset:572
	buffer_store_dword v118, off, s[0:3], 0 offset:568
	buffer_store_dword v117, off, s[0:3], 0 offset:564
	buffer_store_dword v116, off, s[0:3], 0 offset:560
	s_waitcnt vmcnt(58)
	buffer_store_dword v69, off, s[0:3], 0 offset:588
	buffer_store_dword v68, off, s[0:3], 0 offset:584
	buffer_store_dword v67, off, s[0:3], 0 offset:580
	buffer_store_dword v66, off, s[0:3], 0 offset:576
	s_waitcnt vmcnt(61)
	buffer_store_dword v123, off, s[0:3], 0 offset:604
	buffer_store_dword v122, off, s[0:3], 0 offset:600
	buffer_store_dword v121, off, s[0:3], 0 offset:596
	buffer_store_dword v120, off, s[0:3], 0 offset:592
	s_waitcnt vmcnt(62)
	buffer_store_dword v65, off, s[0:3], 0 offset:620
	buffer_store_dword v64, off, s[0:3], 0 offset:616
	buffer_store_dword v63, off, s[0:3], 0 offset:612
	;; [unrolled: 1-line block ×11, first 2 shown]
	s_waitcnt vmcnt(62)
	buffer_store_dword v131, off, s[0:3], 0 offset:668
	buffer_store_dword v130, off, s[0:3], 0 offset:664
	;; [unrolled: 1-line block ×9, first 2 shown]
	v_mov_b32_e32 v6, s7
	v_add_co_u32_e32 v8, vcc, s6, v0
	v_ashrrev_i32_e32 v51, 31, v50
	v_addc_co_u32_e32 v9, vcc, v6, v1, vcc
	v_lshlrev_b64 v[0:1], 4, v[50:51]
	v_add_co_u32_e32 v0, vcc, s6, v0
	v_addc_co_u32_e32 v1, vcc, v6, v1, vcc
	v_accvgpr_write_b32 a103, v9
	v_accvgpr_write_b32 a91, v1
	v_ashrrev_i32_e32 v49, 31, v48
	v_accvgpr_write_b32 a102, v8
	global_load_dwordx4 v[6:9], v[8:9], off
	v_accvgpr_write_b32 a90, v0
	global_load_dwordx4 v[50:53], v[0:1], off
	v_lshlrev_b64 v[0:1], 4, v[48:49]
	v_mov_b32_e32 v13, s7
	v_add_co_u32_e32 v48, vcc, s6, v0
	v_ashrrev_i32_e32 v47, 31, v46
	v_addc_co_u32_e32 v49, vcc, v13, v1, vcc
	v_lshlrev_b64 v[0:1], 4, v[46:47]
	v_add_co_u32_e32 v0, vcc, s6, v0
	v_addc_co_u32_e32 v1, vcc, v13, v1, vcc
	v_accvgpr_write_b32 a93, v49
	v_accvgpr_write_b32 a79, v1
	v_ashrrev_i32_e32 v45, 31, v44
	v_accvgpr_write_b32 a92, v48
	global_load_dwordx4 v[46:49], v[48:49], off
	v_accvgpr_write_b32 a78, v0
	global_load_dwordx4 v[54:57], v[0:1], off
	v_lshlrev_b64 v[0:1], 4, v[44:45]
	v_add_co_u32_e32 v44, vcc, s6, v0
	v_ashrrev_i32_e32 v43, 31, v42
	v_addc_co_u32_e32 v45, vcc, v13, v1, vcc
	v_lshlrev_b64 v[0:1], 4, v[42:43]
	v_add_co_u32_e32 v0, vcc, s6, v0
	v_addc_co_u32_e32 v1, vcc, v13, v1, vcc
	v_accvgpr_write_b32 a81, v45
	v_accvgpr_write_b32 a63, v1
	v_ashrrev_i32_e32 v41, 31, v40
	v_accvgpr_write_b32 a80, v44
	global_load_dwordx4 v[42:45], v[44:45], off
	v_accvgpr_write_b32 a62, v0
	global_load_dwordx4 v[58:61], v[0:1], off
	v_lshlrev_b64 v[0:1], 4, v[40:41]
	;; [unrolled: 14-line block ×8, first 2 shown]
	v_add_co_u32_e32 v16, vcc, s6, v0
	v_ashrrev_i32_e32 v15, 31, v14
	v_addc_co_u32_e32 v17, vcc, v13, v1, vcc
	v_lshlrev_b64 v[0:1], 4, v[14:15]
	v_add_co_u32_e32 v0, vcc, s6, v0
	v_addc_co_u32_e32 v1, vcc, v13, v1, vcc
	v_accvgpr_write_b32 a6, v16
	v_accvgpr_write_b32 a3, v1
	v_accvgpr_write_b32 a7, v17
	global_load_dwordx4 v[14:17], v[16:17], off
	v_accvgpr_write_b32 a2, v0
	global_load_dwordx4 v[86:89], v[0:1], off
	v_mov_b32_e32 v0, 16
	v_add_u32_e32 v1, 16, v0
	v_accvgpr_write_b32 a190, v1
	v_add_u32_e32 v1, 0xc0, v0
	v_accvgpr_write_b32 a179, v1
	;; [unrolled: 2-line block ×61, first 2 shown]
	v_add_u32_e32 v1, 0x3e0, v0
	v_add_u32_e32 v0, 0x3f0, v0
	s_bitcmp0_b32 s10, 0
	v_accvgpr_write_b32 a129, v1
	v_accvgpr_write_b32 a128, v0
	s_mov_b64 s[6:7], -1
	buffer_store_dword v12, off, s[0:3], 0 offset:696
	buffer_store_dword v11, off, s[0:3], 0 offset:692
	buffer_store_dword v10, off, s[0:3], 0 offset:688
	s_waitcnt vmcnt(22)
	buffer_store_dword v9, off, s[0:3], 0 offset:716
	buffer_store_dword v8, off, s[0:3], 0 offset:712
	buffer_store_dword v7, off, s[0:3], 0 offset:708
	buffer_store_dword v6, off, s[0:3], 0 offset:704
	s_waitcnt vmcnt(25)
	buffer_store_dword v53, off, s[0:3], 0 offset:732
	;; [unrolled: 5-line block ×15, first 2 shown]
	buffer_store_dword v24, off, s[0:3], 0 offset:936
	buffer_store_dword v23, off, s[0:3], 0 offset:932
	buffer_store_dword v22, off, s[0:3], 0 offset:928
	buffer_store_dword v81, off, s[0:3], 0 offset:956
	buffer_store_dword v80, off, s[0:3], 0 offset:952
	buffer_store_dword v79, off, s[0:3], 0 offset:948
	buffer_store_dword v78, off, s[0:3], 0 offset:944
	buffer_store_dword v21, off, s[0:3], 0 offset:972
	buffer_store_dword v20, off, s[0:3], 0 offset:968
	buffer_store_dword v19, off, s[0:3], 0 offset:964
	buffer_store_dword v18, off, s[0:3], 0 offset:960
	s_waitcnt vmcnt(62)
	buffer_store_dword v85, off, s[0:3], 0 offset:988
	buffer_store_dword v84, off, s[0:3], 0 offset:984
	;; [unrolled: 1-line block ×16, first 2 shown]
	s_cbranch_scc1 .LBB127_280
; %bb.4:
	v_cmp_eq_u32_e64 s[4:5], 0, v254
	s_and_saveexec_b64 s[6:7], s[4:5]
	s_cbranch_execz .LBB127_6
; %bb.5:
	v_mov_b32_e32 v0, 0
	ds_write_b32 v0, v0 offset:2048
.LBB127_6:
	s_or_b64 exec, exec, s[6:7]
	v_mov_b32_e32 v0, 16
	v_lshl_add_u32 v10, v254, 4, v0
	s_waitcnt lgkmcnt(0)
	; wave barrier
	s_waitcnt lgkmcnt(0)
	buffer_load_dword v0, v10, s[0:3], 0 offen
	buffer_load_dword v1, v10, s[0:3], 0 offen offset:4
	buffer_load_dword v2, v10, s[0:3], 0 offen offset:8
	;; [unrolled: 1-line block ×3, first 2 shown]
	s_waitcnt vmcnt(2)
	v_cmp_eq_f64_e32 vcc, 0, v[0:1]
	s_waitcnt vmcnt(0)
	v_cmp_eq_f64_e64 s[6:7], 0, v[2:3]
	s_and_b64 s[6:7], vcc, s[6:7]
	s_and_saveexec_b64 s[10:11], s[6:7]
	s_cbranch_execz .LBB127_10
; %bb.7:
	v_mov_b32_e32 v0, 0
	ds_read_b32 v2, v0 offset:2048
	v_add_u32_e32 v1, 1, v254
	s_waitcnt lgkmcnt(0)
	v_readfirstlane_b32 s6, v2
	s_cmp_eq_u32 s6, 0
	s_cselect_b64 s[12:13], -1, 0
	v_cmp_gt_i32_e32 vcc, s6, v1
	s_or_b64 s[12:13], s[12:13], vcc
	s_and_b64 exec, exec, s[12:13]
	s_cbranch_execz .LBB127_10
; %bb.8:
	s_mov_b64 s[12:13], 0
	v_mov_b32_e32 v2, s6
.LBB127_9:                              ; =>This Inner Loop Header: Depth=1
	ds_cmpst_rtn_b32 v2, v0, v2, v1 offset:2048
	s_waitcnt lgkmcnt(0)
	v_cmp_ne_u32_e32 vcc, 0, v2
	v_cmp_le_i32_e64 s[6:7], v2, v1
	s_and_b64 s[6:7], vcc, s[6:7]
	s_and_b64 s[6:7], exec, s[6:7]
	s_or_b64 s[12:13], s[6:7], s[12:13]
	s_andn2_b64 exec, exec, s[12:13]
	s_cbranch_execnz .LBB127_9
.LBB127_10:
	s_or_b64 exec, exec, s[10:11]
	v_mov_b32_e32 v1, 0
	s_waitcnt lgkmcnt(0)
	; wave barrier
	ds_read_b32 v0, v1 offset:2048
	s_and_saveexec_b64 s[6:7], s[4:5]
	s_cbranch_execz .LBB127_12
; %bb.11:
	s_lshl_b64 s[10:11], s[8:9], 2
	s_add_u32 s10, s14, s10
	s_addc_u32 s11, s15, s11
	s_waitcnt lgkmcnt(0)
	global_store_dword v1, v0, s[10:11]
.LBB127_12:
	s_or_b64 exec, exec, s[6:7]
	s_waitcnt lgkmcnt(0)
	v_cmp_ne_u32_e32 vcc, 0, v0
	s_mov_b64 s[6:7], 0
	s_cbranch_vccnz .LBB127_280
; %bb.13:
	buffer_load_dword v1, v10, s[0:3], 0 offen offset:4
	buffer_load_dword v0, v10, s[0:3], 0 offen
	buffer_load_dword v7, v10, s[0:3], 0 offen offset:12
	buffer_load_dword v6, v10, s[0:3], 0 offen offset:8
                                        ; implicit-def: $vgpr8_vgpr9
	s_waitcnt vmcnt(3)
	v_xor_b32_e32 v3, 0x80000000, v1
	s_waitcnt vmcnt(2)
	v_cmp_gt_f64_e32 vcc, 0, v[0:1]
	s_waitcnt vmcnt(1)
	v_xor_b32_e32 v4, 0x80000000, v7
	v_cndmask_b32_e32 v3, v1, v3, vcc
	s_waitcnt vmcnt(0)
	v_cmp_gt_f64_e32 vcc, 0, v[6:7]
	v_mov_b32_e32 v2, v0
	v_cndmask_b32_e32 v5, v7, v4, vcc
	v_mov_b32_e32 v4, v6
	v_cmp_ngt_f64_e32 vcc, v[2:3], v[4:5]
                                        ; implicit-def: $vgpr4_vgpr5
	s_and_saveexec_b64 s[6:7], vcc
	s_xor_b64 s[6:7], exec, s[6:7]
	s_cbranch_execz .LBB127_15
; %bb.14:
	v_div_scale_f64 v[2:3], s[10:11], v[6:7], v[6:7], v[0:1]
	v_rcp_f64_e32 v[4:5], v[2:3]
	v_div_scale_f64 v[8:9], vcc, v[0:1], v[6:7], v[0:1]
	v_fma_f64 v[12:13], -v[2:3], v[4:5], 1.0
	v_fmac_f64_e32 v[4:5], v[4:5], v[12:13]
	v_fma_f64 v[12:13], -v[2:3], v[4:5], 1.0
	v_fmac_f64_e32 v[4:5], v[4:5], v[12:13]
	v_mul_f64 v[12:13], v[8:9], v[4:5]
	v_fma_f64 v[2:3], -v[2:3], v[12:13], v[8:9]
	v_div_fmas_f64 v[2:3], v[2:3], v[4:5], v[12:13]
	v_div_fixup_f64 v[2:3], v[2:3], v[6:7], v[0:1]
	v_fmac_f64_e32 v[6:7], v[0:1], v[2:3]
	v_div_scale_f64 v[0:1], s[10:11], v[6:7], v[6:7], 1.0
	v_rcp_f64_e32 v[4:5], v[0:1]
	v_fma_f64 v[8:9], -v[0:1], v[4:5], 1.0
	v_fmac_f64_e32 v[4:5], v[4:5], v[8:9]
	v_fma_f64 v[8:9], -v[0:1], v[4:5], 1.0
	v_fmac_f64_e32 v[4:5], v[4:5], v[8:9]
	v_div_scale_f64 v[8:9], vcc, 1.0, v[6:7], 1.0
	v_mul_f64 v[12:13], v[8:9], v[4:5]
	v_fma_f64 v[0:1], -v[0:1], v[12:13], v[8:9]
	s_nop 1
	v_div_fmas_f64 v[0:1], v[0:1], v[4:5], v[12:13]
	v_div_fixup_f64 v[4:5], v[0:1], v[6:7], 1.0
	v_mul_f64 v[8:9], v[2:3], v[4:5]
	v_xor_b32_e32 v5, 0x80000000, v5
	v_xor_b32_e32 v3, 0x80000000, v9
	v_mov_b32_e32 v2, v8
                                        ; implicit-def: $vgpr0_vgpr1
                                        ; implicit-def: $vgpr6_vgpr7
.LBB127_15:
	s_andn2_saveexec_b64 s[6:7], s[6:7]
	s_cbranch_execz .LBB127_17
; %bb.16:
	v_div_scale_f64 v[2:3], s[10:11], v[0:1], v[0:1], v[6:7]
	v_rcp_f64_e32 v[4:5], v[2:3]
	v_div_scale_f64 v[8:9], vcc, v[6:7], v[0:1], v[6:7]
	v_fma_f64 v[12:13], -v[2:3], v[4:5], 1.0
	v_fmac_f64_e32 v[4:5], v[4:5], v[12:13]
	v_fma_f64 v[12:13], -v[2:3], v[4:5], 1.0
	v_fmac_f64_e32 v[4:5], v[4:5], v[12:13]
	v_mul_f64 v[12:13], v[8:9], v[4:5]
	v_fma_f64 v[2:3], -v[2:3], v[12:13], v[8:9]
	v_div_fmas_f64 v[2:3], v[2:3], v[4:5], v[12:13]
	v_div_fixup_f64 v[4:5], v[2:3], v[0:1], v[6:7]
	v_fmac_f64_e32 v[0:1], v[6:7], v[4:5]
	v_div_scale_f64 v[2:3], s[10:11], v[0:1], v[0:1], 1.0
	v_rcp_f64_e32 v[6:7], v[2:3]
	v_fma_f64 v[8:9], -v[2:3], v[6:7], 1.0
	v_fmac_f64_e32 v[6:7], v[6:7], v[8:9]
	v_fma_f64 v[8:9], -v[2:3], v[6:7], 1.0
	v_fmac_f64_e32 v[6:7], v[6:7], v[8:9]
	v_div_scale_f64 v[8:9], vcc, 1.0, v[0:1], 1.0
	v_mul_f64 v[12:13], v[8:9], v[6:7]
	v_fma_f64 v[2:3], -v[2:3], v[12:13], v[8:9]
	s_nop 1
	v_div_fmas_f64 v[2:3], v[2:3], v[6:7], v[12:13]
	v_div_fixup_f64 v[8:9], v[2:3], v[0:1], 1.0
	v_xor_b32_e32 v3, 0x80000000, v9
	v_mov_b32_e32 v2, v8
	v_mul_f64 v[4:5], v[4:5], -v[8:9]
.LBB127_17:
	s_or_b64 exec, exec, s[6:7]
	buffer_store_dword v9, v10, s[0:3], 0 offen offset:4
	buffer_store_dword v8, v10, s[0:3], 0 offen
	buffer_store_dword v5, v10, s[0:3], 0 offen offset:12
	buffer_store_dword v4, v10, s[0:3], 0 offen offset:8
	v_accvgpr_read_b32 v0, a190
	buffer_load_dword v15, v0, s[0:3], 0 offen offset:12
	buffer_load_dword v14, v0, s[0:3], 0 offen offset:8
	;; [unrolled: 1-line block ×3, first 2 shown]
	buffer_load_dword v12, v0, s[0:3], 0 offen
	v_xor_b32_e32 v5, 0x80000000, v5
	v_or_b32_e32 v6, 0x400, v94
	ds_write_b128 v94, v[2:5]
	s_waitcnt vmcnt(0)
	ds_write_b128 v94, v[12:15] offset:1024
	s_waitcnt lgkmcnt(0)
	; wave barrier
	s_waitcnt lgkmcnt(0)
	s_and_saveexec_b64 s[6:7], s[4:5]
	s_cbranch_execz .LBB127_19
; %bb.18:
	buffer_load_dword v4, v10, s[0:3], 0 offen offset:8
	buffer_load_dword v5, v10, s[0:3], 0 offen offset:12
	buffer_load_dword v8, v10, s[0:3], 0 offen
	buffer_load_dword v9, v10, s[0:3], 0 offen offset:4
	ds_read_b128 v[0:3], v6
	v_mov_b32_e32 v7, 0
	ds_read_b128 v[12:15], v7 offset:16
	s_waitcnt vmcnt(2) lgkmcnt(1)
	v_mul_f64 v[16:17], v[2:3], v[4:5]
	v_mul_f64 v[4:5], v[0:1], v[4:5]
	s_waitcnt vmcnt(0)
	v_fmac_f64_e32 v[4:5], v[2:3], v[8:9]
	v_fma_f64 v[0:1], v[0:1], v[8:9], -v[16:17]
	v_add_f64 v[2:3], v[4:5], 0
	v_add_f64 v[0:1], v[0:1], 0
	s_waitcnt lgkmcnt(0)
	v_mul_f64 v[4:5], v[2:3], v[14:15]
	v_mul_f64 v[8:9], v[0:1], v[14:15]
	v_fma_f64 v[0:1], v[0:1], v[12:13], -v[4:5]
	v_fmac_f64_e32 v[8:9], v[2:3], v[12:13]
	buffer_store_dword v0, off, s[0:3], 0 offset:32
	buffer_store_dword v1, off, s[0:3], 0 offset:36
	;; [unrolled: 1-line block ×4, first 2 shown]
.LBB127_19:
	s_or_b64 exec, exec, s[6:7]
	v_accvgpr_read_b32 v3, a189
	s_waitcnt lgkmcnt(0)
	; wave barrier
	buffer_load_dword v0, v3, s[0:3], 0 offen
	buffer_load_dword v1, v3, s[0:3], 0 offen offset:4
	buffer_load_dword v2, v3, s[0:3], 0 offen offset:8
	s_nop 0
	buffer_load_dword v3, v3, s[0:3], 0 offen offset:12
	v_cmp_gt_u32_e32 vcc, 2, v254
	s_waitcnt vmcnt(0)
	ds_write_b128 v6, v[0:3]
	s_waitcnt lgkmcnt(0)
	; wave barrier
	s_waitcnt lgkmcnt(0)
	s_and_saveexec_b64 s[6:7], vcc
	s_cbranch_execz .LBB127_23
; %bb.20:
	buffer_load_dword v4, v10, s[0:3], 0 offen offset:8
	buffer_load_dword v5, v10, s[0:3], 0 offen offset:12
	buffer_load_dword v8, v10, s[0:3], 0 offen
	buffer_load_dword v9, v10, s[0:3], 0 offen offset:4
	ds_read_b128 v[0:3], v6
	s_waitcnt vmcnt(2) lgkmcnt(0)
	v_mul_f64 v[12:13], v[2:3], v[4:5]
	v_mul_f64 v[4:5], v[0:1], v[4:5]
	s_waitcnt vmcnt(0)
	v_fma_f64 v[0:1], v[0:1], v[8:9], -v[12:13]
	v_fmac_f64_e32 v[4:5], v[2:3], v[8:9]
	v_add_f64 v[2:3], v[0:1], 0
	v_add_f64 v[0:1], v[4:5], 0
	s_and_saveexec_b64 s[10:11], s[4:5]
	s_cbranch_execz .LBB127_22
; %bb.21:
	buffer_load_dword v4, off, s[0:3], 0 offset:40
	buffer_load_dword v5, off, s[0:3], 0 offset:44
	;; [unrolled: 1-line block ×4, first 2 shown]
	v_mov_b32_e32 v7, 0
	ds_read_b128 v[12:15], v7 offset:1040
	s_waitcnt vmcnt(2) lgkmcnt(0)
	v_mul_f64 v[16:17], v[12:13], v[4:5]
	v_mul_f64 v[4:5], v[14:15], v[4:5]
	s_waitcnt vmcnt(0)
	v_fmac_f64_e32 v[16:17], v[14:15], v[8:9]
	v_fma_f64 v[4:5], v[12:13], v[8:9], -v[4:5]
	v_add_f64 v[0:1], v[0:1], v[16:17]
	v_add_f64 v[2:3], v[2:3], v[4:5]
.LBB127_22:
	s_or_b64 exec, exec, s[10:11]
	v_mov_b32_e32 v4, 0
	ds_read_b128 v[12:15], v4 offset:32
	s_waitcnt lgkmcnt(0)
	v_mul_f64 v[4:5], v[0:1], v[14:15]
	v_mul_f64 v[8:9], v[2:3], v[14:15]
	v_fma_f64 v[2:3], v[2:3], v[12:13], -v[4:5]
	v_fmac_f64_e32 v[8:9], v[0:1], v[12:13]
	buffer_store_dword v3, off, s[0:3], 0 offset:52
	buffer_store_dword v2, off, s[0:3], 0 offset:48
	;; [unrolled: 1-line block ×4, first 2 shown]
.LBB127_23:
	s_or_b64 exec, exec, s[6:7]
	v_accvgpr_read_b32 v3, a188
	s_waitcnt lgkmcnt(0)
	; wave barrier
	buffer_load_dword v0, v3, s[0:3], 0 offen
	buffer_load_dword v1, v3, s[0:3], 0 offen offset:4
	buffer_load_dword v2, v3, s[0:3], 0 offen offset:8
	s_nop 0
	buffer_load_dword v3, v3, s[0:3], 0 offen offset:12
	v_cmp_gt_u32_e64 s[6:7], 3, v254
	v_add_u32_e32 v7, -1, v254
	s_waitcnt vmcnt(0)
	ds_write_b128 v6, v[0:3]
	s_waitcnt lgkmcnt(0)
	; wave barrier
	s_waitcnt lgkmcnt(0)
	s_and_saveexec_b64 s[10:11], s[6:7]
	s_cbranch_execz .LBB127_27
; %bb.24:
	v_pk_mov_b32 v[0:1], 0, 0
	v_add_u32_e32 v4, -1, v254
	v_or_b32_e32 v5, 0x400, v94
	v_add_u32_e32 v8, 16, v94
	s_mov_b64 s[12:13], 0
	v_pk_mov_b32 v[2:3], v[0:1], v[0:1] op_sel:[0,1]
.LBB127_25:                             ; =>This Inner Loop Header: Depth=1
	buffer_load_dword v16, v8, s[0:3], 0 offen offset:8
	buffer_load_dword v17, v8, s[0:3], 0 offen offset:12
	buffer_load_dword v18, v8, s[0:3], 0 offen
	buffer_load_dword v19, v8, s[0:3], 0 offen offset:4
	ds_read_b128 v[12:15], v5
	v_add_u32_e32 v4, 1, v4
	v_cmp_lt_u32_e64 s[6:7], 1, v4
	v_add_u32_e32 v5, 16, v5
	v_add_u32_e32 v8, 16, v8
	s_or_b64 s[12:13], s[6:7], s[12:13]
	s_waitcnt vmcnt(2) lgkmcnt(0)
	v_mul_f64 v[20:21], v[14:15], v[16:17]
	v_mul_f64 v[16:17], v[12:13], v[16:17]
	s_waitcnt vmcnt(0)
	v_fma_f64 v[12:13], v[12:13], v[18:19], -v[20:21]
	v_fmac_f64_e32 v[16:17], v[14:15], v[18:19]
	v_add_f64 v[2:3], v[2:3], v[12:13]
	v_add_f64 v[0:1], v[0:1], v[16:17]
	s_andn2_b64 exec, exec, s[12:13]
	s_cbranch_execnz .LBB127_25
; %bb.26:
	s_or_b64 exec, exec, s[12:13]
	v_mov_b32_e32 v4, 0
	ds_read_b128 v[12:15], v4 offset:48
	s_waitcnt lgkmcnt(0)
	v_mul_f64 v[4:5], v[0:1], v[14:15]
	v_mul_f64 v[8:9], v[2:3], v[14:15]
	v_fma_f64 v[2:3], v[2:3], v[12:13], -v[4:5]
	v_fmac_f64_e32 v[8:9], v[0:1], v[12:13]
	buffer_store_dword v3, off, s[0:3], 0 offset:68
	buffer_store_dword v2, off, s[0:3], 0 offset:64
	buffer_store_dword v9, off, s[0:3], 0 offset:76
	buffer_store_dword v8, off, s[0:3], 0 offset:72
.LBB127_27:
	s_or_b64 exec, exec, s[10:11]
	v_accvgpr_read_b32 v3, a187
	s_waitcnt lgkmcnt(0)
	; wave barrier
	buffer_load_dword v0, v3, s[0:3], 0 offen
	buffer_load_dword v1, v3, s[0:3], 0 offen offset:4
	buffer_load_dword v2, v3, s[0:3], 0 offen offset:8
	s_nop 0
	buffer_load_dword v3, v3, s[0:3], 0 offen offset:12
	v_cmp_gt_u32_e64 s[6:7], 4, v254
	s_waitcnt vmcnt(0)
	ds_write_b128 v6, v[0:3]
	s_waitcnt lgkmcnt(0)
	; wave barrier
	s_waitcnt lgkmcnt(0)
	s_and_saveexec_b64 s[12:13], s[6:7]
	s_cbranch_execz .LBB127_31
; %bb.28:
	v_pk_mov_b32 v[0:1], 0, 0
	v_add_u32_e32 v4, -1, v254
	v_or_b32_e32 v5, 0x400, v94
	v_add_u32_e32 v8, 16, v94
	s_mov_b64 s[20:21], 0
	v_pk_mov_b32 v[2:3], v[0:1], v[0:1] op_sel:[0,1]
.LBB127_29:                             ; =>This Inner Loop Header: Depth=1
	buffer_load_dword v16, v8, s[0:3], 0 offen offset:8
	buffer_load_dword v17, v8, s[0:3], 0 offen offset:12
	buffer_load_dword v18, v8, s[0:3], 0 offen
	buffer_load_dword v19, v8, s[0:3], 0 offen offset:4
	ds_read_b128 v[12:15], v5
	v_add_u32_e32 v4, 1, v4
	v_cmp_lt_u32_e64 s[10:11], 2, v4
	v_add_u32_e32 v5, 16, v5
	v_add_u32_e32 v8, 16, v8
	s_or_b64 s[20:21], s[10:11], s[20:21]
	s_waitcnt vmcnt(2) lgkmcnt(0)
	v_mul_f64 v[20:21], v[14:15], v[16:17]
	v_mul_f64 v[16:17], v[12:13], v[16:17]
	s_waitcnt vmcnt(0)
	v_fma_f64 v[12:13], v[12:13], v[18:19], -v[20:21]
	v_fmac_f64_e32 v[16:17], v[14:15], v[18:19]
	v_add_f64 v[2:3], v[2:3], v[12:13]
	v_add_f64 v[0:1], v[0:1], v[16:17]
	s_andn2_b64 exec, exec, s[20:21]
	s_cbranch_execnz .LBB127_29
; %bb.30:
	s_or_b64 exec, exec, s[20:21]
	v_mov_b32_e32 v4, 0
	ds_read_b128 v[12:15], v4 offset:64
	s_waitcnt lgkmcnt(0)
	v_mul_f64 v[4:5], v[0:1], v[14:15]
	v_mul_f64 v[8:9], v[2:3], v[14:15]
	v_fma_f64 v[2:3], v[2:3], v[12:13], -v[4:5]
	v_fmac_f64_e32 v[8:9], v[0:1], v[12:13]
	buffer_store_dword v3, off, s[0:3], 0 offset:84
	buffer_store_dword v2, off, s[0:3], 0 offset:80
	buffer_store_dword v9, off, s[0:3], 0 offset:92
	buffer_store_dword v8, off, s[0:3], 0 offset:88
.LBB127_31:
	s_or_b64 exec, exec, s[12:13]
	v_accvgpr_read_b32 v3, a186
	s_waitcnt lgkmcnt(0)
	; wave barrier
	buffer_load_dword v0, v3, s[0:3], 0 offen
	buffer_load_dword v1, v3, s[0:3], 0 offen offset:4
	buffer_load_dword v2, v3, s[0:3], 0 offen offset:8
	s_nop 0
	buffer_load_dword v3, v3, s[0:3], 0 offen offset:12
	v_cmp_gt_u32_e64 s[10:11], 5, v254
	;; [unrolled: 59-line block ×5, first 2 shown]
	s_waitcnt vmcnt(0)
	ds_write_b128 v6, v[0:3]
	s_waitcnt lgkmcnt(0)
	; wave barrier
	s_waitcnt lgkmcnt(0)
	s_and_saveexec_b64 s[20:21], s[12:13]
	s_cbranch_execz .LBB127_59
; %bb.44:
	buffer_load_dword v4, v10, s[0:3], 0 offen offset:8
	buffer_load_dword v5, v10, s[0:3], 0 offen offset:12
	buffer_load_dword v8, v10, s[0:3], 0 offen
	buffer_load_dword v9, v10, s[0:3], 0 offen offset:4
	ds_read_b128 v[0:3], v6
	v_cmp_ne_u32_e64 s[12:13], 7, v254
	s_waitcnt vmcnt(2) lgkmcnt(0)
	v_mul_f64 v[12:13], v[2:3], v[4:5]
	v_mul_f64 v[14:15], v[0:1], v[4:5]
	s_waitcnt vmcnt(0)
	v_fma_f64 v[0:1], v[0:1], v[8:9], -v[12:13]
	v_fmac_f64_e32 v[14:15], v[2:3], v[8:9]
	v_add_f64 v[4:5], v[0:1], 0
	v_add_f64 v[2:3], v[14:15], 0
	s_and_saveexec_b64 s[22:23], s[12:13]
	s_cbranch_execz .LBB127_58
; %bb.45:
	buffer_load_dword v0, v10, s[0:3], 0 offen offset:24
	buffer_load_dword v1, v10, s[0:3], 0 offen offset:28
	;; [unrolled: 1-line block ×4, first 2 shown]
	ds_read_b128 v[12:15], v6 offset:16
	s_waitcnt vmcnt(2) lgkmcnt(0)
	v_mul_f64 v[16:17], v[14:15], v[0:1]
	v_mul_f64 v[0:1], v[12:13], v[0:1]
	s_waitcnt vmcnt(0)
	v_fma_f64 v[12:13], v[12:13], v[8:9], -v[16:17]
	v_fmac_f64_e32 v[0:1], v[14:15], v[8:9]
	v_add_f64 v[4:5], v[4:5], v[12:13]
	v_add_f64 v[2:3], v[2:3], v[0:1]
	s_and_saveexec_b64 s[12:13], s[10:11]
	s_cbranch_execz .LBB127_57
; %bb.46:
	buffer_load_dword v0, v10, s[0:3], 0 offen offset:40
	buffer_load_dword v1, v10, s[0:3], 0 offen offset:44
	;; [unrolled: 1-line block ×4, first 2 shown]
	ds_read_b128 v[12:15], v6 offset:32
	v_cmp_ne_u32_e64 s[10:11], 5, v254
	s_waitcnt vmcnt(2) lgkmcnt(0)
	v_mul_f64 v[16:17], v[14:15], v[0:1]
	v_mul_f64 v[0:1], v[12:13], v[0:1]
	s_waitcnt vmcnt(0)
	v_fma_f64 v[12:13], v[12:13], v[8:9], -v[16:17]
	v_fmac_f64_e32 v[0:1], v[14:15], v[8:9]
	v_add_f64 v[4:5], v[4:5], v[12:13]
	v_add_f64 v[2:3], v[2:3], v[0:1]
	s_and_saveexec_b64 s[24:25], s[10:11]
	s_cbranch_execz .LBB127_56
; %bb.47:
	buffer_load_dword v0, v10, s[0:3], 0 offen offset:56
	buffer_load_dword v1, v10, s[0:3], 0 offen offset:60
	;; [unrolled: 1-line block ×4, first 2 shown]
	ds_read_b128 v[12:15], v6 offset:48
	s_waitcnt vmcnt(2) lgkmcnt(0)
	v_mul_f64 v[16:17], v[14:15], v[0:1]
	v_mul_f64 v[0:1], v[12:13], v[0:1]
	s_waitcnt vmcnt(0)
	v_fma_f64 v[12:13], v[12:13], v[8:9], -v[16:17]
	v_fmac_f64_e32 v[0:1], v[14:15], v[8:9]
	v_add_f64 v[4:5], v[4:5], v[12:13]
	v_add_f64 v[2:3], v[2:3], v[0:1]
	s_and_saveexec_b64 s[10:11], s[6:7]
	s_cbranch_execz .LBB127_55
; %bb.48:
	buffer_load_dword v0, v10, s[0:3], 0 offen offset:72
	buffer_load_dword v1, v10, s[0:3], 0 offen offset:76
	;; [unrolled: 1-line block ×4, first 2 shown]
	ds_read_b128 v[12:15], v6 offset:64
	v_cmp_ne_u32_e64 s[6:7], 3, v254
	s_waitcnt vmcnt(2) lgkmcnt(0)
	v_mul_f64 v[16:17], v[14:15], v[0:1]
	v_mul_f64 v[0:1], v[12:13], v[0:1]
	s_waitcnt vmcnt(0)
	v_fma_f64 v[12:13], v[12:13], v[8:9], -v[16:17]
	v_fmac_f64_e32 v[0:1], v[14:15], v[8:9]
	v_add_f64 v[4:5], v[4:5], v[12:13]
	v_add_f64 v[2:3], v[2:3], v[0:1]
	s_and_saveexec_b64 s[26:27], s[6:7]
	s_cbranch_execz .LBB127_54
; %bb.49:
	buffer_load_dword v0, v10, s[0:3], 0 offen offset:88
	buffer_load_dword v1, v10, s[0:3], 0 offen offset:92
	;; [unrolled: 1-line block ×4, first 2 shown]
	ds_read_b128 v[12:15], v6 offset:80
	s_waitcnt vmcnt(2) lgkmcnt(0)
	v_mul_f64 v[16:17], v[14:15], v[0:1]
	v_mul_f64 v[0:1], v[12:13], v[0:1]
	s_waitcnt vmcnt(0)
	v_fma_f64 v[12:13], v[12:13], v[8:9], -v[16:17]
	v_fmac_f64_e32 v[0:1], v[14:15], v[8:9]
	v_add_f64 v[4:5], v[4:5], v[12:13]
	v_add_f64 v[2:3], v[2:3], v[0:1]
	s_and_saveexec_b64 s[6:7], vcc
	s_cbranch_execz .LBB127_53
; %bb.50:
	buffer_load_dword v0, v10, s[0:3], 0 offen offset:104
	buffer_load_dword v1, v10, s[0:3], 0 offen offset:108
	;; [unrolled: 1-line block ×4, first 2 shown]
	ds_read_b128 v[12:15], v6 offset:96
	s_waitcnt vmcnt(2) lgkmcnt(0)
	v_mul_f64 v[16:17], v[14:15], v[0:1]
	v_mul_f64 v[0:1], v[12:13], v[0:1]
	s_waitcnt vmcnt(0)
	v_fma_f64 v[12:13], v[12:13], v[8:9], -v[16:17]
	v_fmac_f64_e32 v[0:1], v[14:15], v[8:9]
	v_add_f64 v[4:5], v[4:5], v[12:13]
	v_add_f64 v[2:3], v[2:3], v[0:1]
	s_and_saveexec_b64 s[28:29], s[4:5]
	s_cbranch_execz .LBB127_52
; %bb.51:
	buffer_load_dword v0, v10, s[0:3], 0 offen offset:120
	buffer_load_dword v1, v10, s[0:3], 0 offen offset:124
	buffer_load_dword v12, v10, s[0:3], 0 offen offset:112
	buffer_load_dword v13, v10, s[0:3], 0 offen offset:116
	ds_read_b128 v[8:11], v6 offset:112
	s_waitcnt vmcnt(2) lgkmcnt(0)
	v_mul_f64 v[14:15], v[10:11], v[0:1]
	v_mul_f64 v[0:1], v[8:9], v[0:1]
	s_waitcnt vmcnt(0)
	v_fma_f64 v[8:9], v[8:9], v[12:13], -v[14:15]
	v_fmac_f64_e32 v[0:1], v[10:11], v[12:13]
	v_add_f64 v[4:5], v[4:5], v[8:9]
	v_add_f64 v[2:3], v[2:3], v[0:1]
.LBB127_52:
	s_or_b64 exec, exec, s[28:29]
.LBB127_53:
	s_or_b64 exec, exec, s[6:7]
.LBB127_54:
	s_or_b64 exec, exec, s[26:27]
.LBB127_55:
	s_or_b64 exec, exec, s[10:11]
.LBB127_56:
	s_or_b64 exec, exec, s[24:25]
.LBB127_57:
	s_or_b64 exec, exec, s[12:13]
.LBB127_58:
	s_or_b64 exec, exec, s[22:23]
	v_mov_b32_e32 v0, 0
	ds_read_b128 v[8:11], v0 offset:128
	s_waitcnt lgkmcnt(0)
	v_mul_f64 v[0:1], v[2:3], v[10:11]
	v_mul_f64 v[10:11], v[4:5], v[10:11]
	v_fma_f64 v[0:1], v[4:5], v[8:9], -v[0:1]
	v_fmac_f64_e32 v[10:11], v[2:3], v[8:9]
	buffer_store_dword v1, off, s[0:3], 0 offset:148
	buffer_store_dword v0, off, s[0:3], 0 offset:144
	;; [unrolled: 1-line block ×4, first 2 shown]
.LBB127_59:
	s_or_b64 exec, exec, s[20:21]
	v_accvgpr_read_b32 v3, a182
	s_waitcnt lgkmcnt(0)
	; wave barrier
	buffer_load_dword v0, v3, s[0:3], 0 offen
	buffer_load_dword v1, v3, s[0:3], 0 offen offset:4
	buffer_load_dword v2, v3, s[0:3], 0 offen offset:8
	s_nop 0
	buffer_load_dword v3, v3, s[0:3], 0 offen offset:12
	v_cmp_gt_u32_e32 vcc, 9, v254
	s_waitcnt vmcnt(0)
	ds_write_b128 v6, v[0:3]
	s_waitcnt lgkmcnt(0)
	; wave barrier
	s_waitcnt lgkmcnt(0)
	s_and_saveexec_b64 s[4:5], vcc
	s_cbranch_execz .LBB127_63
; %bb.60:
	v_pk_mov_b32 v[0:1], 0, 0
	v_add_u32_e32 v4, -1, v254
	v_or_b32_e32 v5, 0x400, v94
	v_add_u32_e32 v8, 16, v94
	s_mov_b64 s[6:7], 0
	v_pk_mov_b32 v[2:3], v[0:1], v[0:1] op_sel:[0,1]
.LBB127_61:                             ; =>This Inner Loop Header: Depth=1
	buffer_load_dword v14, v8, s[0:3], 0 offen offset:8
	buffer_load_dword v15, v8, s[0:3], 0 offen offset:12
	buffer_load_dword v16, v8, s[0:3], 0 offen
	buffer_load_dword v17, v8, s[0:3], 0 offen offset:4
	ds_read_b128 v[10:13], v5
	v_add_u32_e32 v4, 1, v4
	v_cmp_lt_u32_e32 vcc, 7, v4
	v_add_u32_e32 v5, 16, v5
	v_add_u32_e32 v8, 16, v8
	s_or_b64 s[6:7], vcc, s[6:7]
	s_waitcnt vmcnt(2) lgkmcnt(0)
	v_mul_f64 v[18:19], v[12:13], v[14:15]
	v_mul_f64 v[14:15], v[10:11], v[14:15]
	s_waitcnt vmcnt(0)
	v_fma_f64 v[10:11], v[10:11], v[16:17], -v[18:19]
	v_fmac_f64_e32 v[14:15], v[12:13], v[16:17]
	v_add_f64 v[2:3], v[2:3], v[10:11]
	v_add_f64 v[0:1], v[0:1], v[14:15]
	s_andn2_b64 exec, exec, s[6:7]
	s_cbranch_execnz .LBB127_61
; %bb.62:
	s_or_b64 exec, exec, s[6:7]
	v_mov_b32_e32 v4, 0
	ds_read_b128 v[8:11], v4 offset:144
	s_waitcnt lgkmcnt(0)
	v_mul_f64 v[4:5], v[0:1], v[10:11]
	v_mul_f64 v[10:11], v[2:3], v[10:11]
	v_fma_f64 v[2:3], v[2:3], v[8:9], -v[4:5]
	v_fmac_f64_e32 v[10:11], v[0:1], v[8:9]
	buffer_store_dword v3, off, s[0:3], 0 offset:164
	buffer_store_dword v2, off, s[0:3], 0 offset:160
	buffer_store_dword v11, off, s[0:3], 0 offset:172
	buffer_store_dword v10, off, s[0:3], 0 offset:168
.LBB127_63:
	s_or_b64 exec, exec, s[4:5]
	v_accvgpr_read_b32 v3, a181
	s_waitcnt lgkmcnt(0)
	; wave barrier
	buffer_load_dword v0, v3, s[0:3], 0 offen
	buffer_load_dword v1, v3, s[0:3], 0 offen offset:4
	buffer_load_dword v2, v3, s[0:3], 0 offen offset:8
	s_nop 0
	buffer_load_dword v3, v3, s[0:3], 0 offen offset:12
	v_cmp_gt_u32_e32 vcc, 10, v254
	s_waitcnt vmcnt(0)
	ds_write_b128 v6, v[0:3]
	s_waitcnt lgkmcnt(0)
	; wave barrier
	s_waitcnt lgkmcnt(0)
	s_and_saveexec_b64 s[4:5], vcc
	s_cbranch_execz .LBB127_67
; %bb.64:
	v_pk_mov_b32 v[0:1], 0, 0
	v_add_u32_e32 v4, -1, v254
	v_or_b32_e32 v5, 0x400, v94
	v_add_u32_e32 v8, 16, v94
	s_mov_b64 s[6:7], 0
	v_pk_mov_b32 v[2:3], v[0:1], v[0:1] op_sel:[0,1]
.LBB127_65:                             ; =>This Inner Loop Header: Depth=1
	buffer_load_dword v14, v8, s[0:3], 0 offen offset:8
	buffer_load_dword v15, v8, s[0:3], 0 offen offset:12
	buffer_load_dword v16, v8, s[0:3], 0 offen
	buffer_load_dword v17, v8, s[0:3], 0 offen offset:4
	ds_read_b128 v[10:13], v5
	v_add_u32_e32 v4, 1, v4
	v_cmp_lt_u32_e32 vcc, 8, v4
	v_add_u32_e32 v5, 16, v5
	v_add_u32_e32 v8, 16, v8
	s_or_b64 s[6:7], vcc, s[6:7]
	s_waitcnt vmcnt(2) lgkmcnt(0)
	v_mul_f64 v[18:19], v[12:13], v[14:15]
	v_mul_f64 v[14:15], v[10:11], v[14:15]
	s_waitcnt vmcnt(0)
	v_fma_f64 v[10:11], v[10:11], v[16:17], -v[18:19]
	v_fmac_f64_e32 v[14:15], v[12:13], v[16:17]
	v_add_f64 v[2:3], v[2:3], v[10:11]
	v_add_f64 v[0:1], v[0:1], v[14:15]
	s_andn2_b64 exec, exec, s[6:7]
	s_cbranch_execnz .LBB127_65
; %bb.66:
	s_or_b64 exec, exec, s[6:7]
	v_mov_b32_e32 v4, 0
	ds_read_b128 v[8:11], v4 offset:160
	s_waitcnt lgkmcnt(0)
	v_mul_f64 v[4:5], v[0:1], v[10:11]
	v_mul_f64 v[10:11], v[2:3], v[10:11]
	v_fma_f64 v[2:3], v[2:3], v[8:9], -v[4:5]
	v_fmac_f64_e32 v[10:11], v[0:1], v[8:9]
	buffer_store_dword v3, off, s[0:3], 0 offset:180
	buffer_store_dword v2, off, s[0:3], 0 offset:176
	buffer_store_dword v11, off, s[0:3], 0 offset:188
	buffer_store_dword v10, off, s[0:3], 0 offset:184
.LBB127_67:
	;; [unrolled: 59-line block ×10, first 2 shown]
	s_or_b64 exec, exec, s[4:5]
	v_accvgpr_read_b32 v3, a172
	s_waitcnt lgkmcnt(0)
	; wave barrier
	buffer_load_dword v0, v3, s[0:3], 0 offen
	buffer_load_dword v1, v3, s[0:3], 0 offen offset:4
	buffer_load_dword v2, v3, s[0:3], 0 offen offset:8
	s_nop 0
	buffer_load_dword v3, v3, s[0:3], 0 offen offset:12
	v_cmp_gt_u32_e32 vcc, 19, v254
	s_waitcnt vmcnt(0)
	ds_write_b128 v6, v[0:3]
	s_waitcnt lgkmcnt(0)
	; wave barrier
	s_waitcnt lgkmcnt(0)
	s_and_saveexec_b64 s[4:5], vcc
	s_cbranch_execz .LBB127_103
; %bb.100:
	v_pk_mov_b32 v[0:1], 0, 0
	v_add_u32_e32 v4, -1, v254
	v_or_b32_e32 v5, 0x400, v94
	v_add_u32_e32 v8, 16, v94
	s_mov_b64 s[6:7], 0
	v_pk_mov_b32 v[2:3], v[0:1], v[0:1] op_sel:[0,1]
.LBB127_101:                            ; =>This Inner Loop Header: Depth=1
	buffer_load_dword v14, v8, s[0:3], 0 offen offset:8
	buffer_load_dword v15, v8, s[0:3], 0 offen offset:12
	buffer_load_dword v16, v8, s[0:3], 0 offen
	buffer_load_dword v17, v8, s[0:3], 0 offen offset:4
	ds_read_b128 v[10:13], v5
	v_add_u32_e32 v4, 1, v4
	v_cmp_lt_u32_e32 vcc, 17, v4
	v_add_u32_e32 v5, 16, v5
	v_add_u32_e32 v8, 16, v8
	s_or_b64 s[6:7], vcc, s[6:7]
	s_waitcnt vmcnt(2) lgkmcnt(0)
	v_mul_f64 v[18:19], v[12:13], v[14:15]
	v_mul_f64 v[14:15], v[10:11], v[14:15]
	s_waitcnt vmcnt(0)
	v_fma_f64 v[10:11], v[10:11], v[16:17], -v[18:19]
	v_fmac_f64_e32 v[14:15], v[12:13], v[16:17]
	v_add_f64 v[2:3], v[2:3], v[10:11]
	v_add_f64 v[0:1], v[0:1], v[14:15]
	s_andn2_b64 exec, exec, s[6:7]
	s_cbranch_execnz .LBB127_101
; %bb.102:
	s_or_b64 exec, exec, s[6:7]
	v_mov_b32_e32 v4, 0
	ds_read_b128 v[8:11], v4 offset:304
	s_waitcnt lgkmcnt(0)
	v_mul_f64 v[4:5], v[0:1], v[10:11]
	v_mul_f64 v[10:11], v[2:3], v[10:11]
	v_fma_f64 v[2:3], v[2:3], v[8:9], -v[4:5]
	v_fmac_f64_e32 v[10:11], v[0:1], v[8:9]
	buffer_store_dword v3, off, s[0:3], 0 offset:324
	buffer_store_dword v2, off, s[0:3], 0 offset:320
	buffer_store_dword v11, off, s[0:3], 0 offset:332
	buffer_store_dword v10, off, s[0:3], 0 offset:328
.LBB127_103:
	s_or_b64 exec, exec, s[4:5]
	v_accvgpr_read_b32 v3, a171
	s_waitcnt lgkmcnt(0)
	; wave barrier
	buffer_load_dword v0, v3, s[0:3], 0 offen
	buffer_load_dword v1, v3, s[0:3], 0 offen offset:4
	buffer_load_dword v2, v3, s[0:3], 0 offen offset:8
	s_nop 0
	buffer_load_dword v3, v3, s[0:3], 0 offen offset:12
	v_cmp_gt_u32_e32 vcc, 20, v254
	s_waitcnt vmcnt(0)
	ds_write_b128 v6, v[0:3]
	s_waitcnt lgkmcnt(0)
	; wave barrier
	s_waitcnt lgkmcnt(0)
	s_and_saveexec_b64 s[4:5], vcc
	s_cbranch_execz .LBB127_107
; %bb.104:
	v_pk_mov_b32 v[0:1], 0, 0
	v_add_u32_e32 v4, -1, v254
	v_or_b32_e32 v5, 0x400, v94
	v_add_u32_e32 v8, 16, v94
	s_mov_b64 s[6:7], 0
	v_pk_mov_b32 v[2:3], v[0:1], v[0:1] op_sel:[0,1]
.LBB127_105:                            ; =>This Inner Loop Header: Depth=1
	buffer_load_dword v14, v8, s[0:3], 0 offen offset:8
	buffer_load_dword v15, v8, s[0:3], 0 offen offset:12
	buffer_load_dword v16, v8, s[0:3], 0 offen
	buffer_load_dword v17, v8, s[0:3], 0 offen offset:4
	ds_read_b128 v[10:13], v5
	v_add_u32_e32 v4, 1, v4
	v_cmp_lt_u32_e32 vcc, 18, v4
	v_add_u32_e32 v5, 16, v5
	v_add_u32_e32 v8, 16, v8
	s_or_b64 s[6:7], vcc, s[6:7]
	s_waitcnt vmcnt(2) lgkmcnt(0)
	v_mul_f64 v[18:19], v[12:13], v[14:15]
	v_mul_f64 v[14:15], v[10:11], v[14:15]
	s_waitcnt vmcnt(0)
	v_fma_f64 v[10:11], v[10:11], v[16:17], -v[18:19]
	v_fmac_f64_e32 v[14:15], v[12:13], v[16:17]
	v_add_f64 v[2:3], v[2:3], v[10:11]
	v_add_f64 v[0:1], v[0:1], v[14:15]
	s_andn2_b64 exec, exec, s[6:7]
	s_cbranch_execnz .LBB127_105
; %bb.106:
	s_or_b64 exec, exec, s[6:7]
	v_mov_b32_e32 v4, 0
	ds_read_b128 v[8:11], v4 offset:320
	s_waitcnt lgkmcnt(0)
	v_mul_f64 v[4:5], v[0:1], v[10:11]
	v_mul_f64 v[10:11], v[2:3], v[10:11]
	v_fma_f64 v[2:3], v[2:3], v[8:9], -v[4:5]
	v_fmac_f64_e32 v[10:11], v[0:1], v[8:9]
	buffer_store_dword v3, off, s[0:3], 0 offset:340
	buffer_store_dword v2, off, s[0:3], 0 offset:336
	buffer_store_dword v11, off, s[0:3], 0 offset:348
	buffer_store_dword v10, off, s[0:3], 0 offset:344
.LBB127_107:
	;; [unrolled: 59-line block ×44, first 2 shown]
	s_or_b64 exec, exec, s[4:5]
	v_accvgpr_read_b32 v3, a128
	s_waitcnt lgkmcnt(0)
	; wave barrier
	buffer_load_dword v0, v3, s[0:3], 0 offen
	buffer_load_dword v1, v3, s[0:3], 0 offen offset:4
	buffer_load_dword v2, v3, s[0:3], 0 offen offset:8
	s_nop 0
	buffer_load_dword v3, v3, s[0:3], 0 offen offset:12
	v_cmp_ne_u32_e32 vcc, 63, v254
	s_waitcnt vmcnt(0)
	ds_write_b128 v6, v[0:3]
	s_waitcnt lgkmcnt(0)
	; wave barrier
	s_waitcnt lgkmcnt(0)
	s_and_saveexec_b64 s[4:5], vcc
	s_cbranch_execz .LBB127_279
; %bb.276:
	v_pk_mov_b32 v[0:1], 0, 0
	v_or_b32_e32 v4, 0x400, v94
	v_add_u32_e32 v5, 16, v94
	s_mov_b64 s[6:7], 0
	v_pk_mov_b32 v[2:3], v[0:1], v[0:1] op_sel:[0,1]
.LBB127_277:                            ; =>This Inner Loop Header: Depth=1
	buffer_load_dword v12, v5, s[0:3], 0 offen offset:8
	buffer_load_dword v13, v5, s[0:3], 0 offen offset:12
	buffer_load_dword v14, v5, s[0:3], 0 offen
	buffer_load_dword v15, v5, s[0:3], 0 offen offset:4
	ds_read_b128 v[8:11], v4
	v_add_u32_e32 v7, 1, v7
	v_cmp_lt_u32_e32 vcc, 61, v7
	v_add_u32_e32 v4, 16, v4
	v_add_u32_e32 v5, 16, v5
	s_or_b64 s[6:7], vcc, s[6:7]
	s_waitcnt vmcnt(2) lgkmcnt(0)
	v_mul_f64 v[16:17], v[10:11], v[12:13]
	v_mul_f64 v[12:13], v[8:9], v[12:13]
	s_waitcnt vmcnt(0)
	v_fma_f64 v[8:9], v[8:9], v[14:15], -v[16:17]
	v_fmac_f64_e32 v[12:13], v[10:11], v[14:15]
	v_add_f64 v[2:3], v[2:3], v[8:9]
	v_add_f64 v[0:1], v[0:1], v[12:13]
	s_andn2_b64 exec, exec, s[6:7]
	s_cbranch_execnz .LBB127_277
; %bb.278:
	s_or_b64 exec, exec, s[6:7]
	v_mov_b32_e32 v4, 0
	ds_read_b128 v[4:7], v4 offset:1008
	s_waitcnt lgkmcnt(0)
	v_mul_f64 v[8:9], v[0:1], v[6:7]
	v_mul_f64 v[6:7], v[2:3], v[6:7]
	v_fma_f64 v[2:3], v[2:3], v[4:5], -v[8:9]
	v_fmac_f64_e32 v[6:7], v[0:1], v[4:5]
	buffer_store_dword v3, off, s[0:3], 0 offset:1028
	buffer_store_dword v2, off, s[0:3], 0 offset:1024
	;; [unrolled: 1-line block ×4, first 2 shown]
.LBB127_279:
	s_or_b64 exec, exec, s[4:5]
	s_mov_b64 s[6:7], -1
	s_waitcnt lgkmcnt(0)
	; wave barrier
.LBB127_280:
	s_and_b64 vcc, exec, s[6:7]
	s_cbranch_vccz .LBB127_282
; %bb.281:
	s_lshl_b64 s[4:5], s[8:9], 2
	s_add_u32 s4, s14, s4
	s_addc_u32 s5, s15, s5
	v_mov_b32_e32 v0, 0
	global_load_dword v0, v0, s[4:5]
	s_waitcnt vmcnt(0)
	v_cmp_ne_u32_e32 vcc, 0, v0
	s_cbranch_vccz .LBB127_283
.LBB127_282:
	s_endpgm
.LBB127_283:
	v_mov_b32_e32 v0, 0x400
	v_lshl_or_b32 v0, v254, 4, v0
	v_accvgpr_write_b32 a192, v0
	v_cmp_eq_u32_e32 vcc, 63, v254
	s_and_saveexec_b64 s[4:5], vcc
	s_cbranch_execz .LBB127_285
; %bb.284:
	v_accvgpr_read_b32 v3, a129
	buffer_load_dword v0, v3, s[0:3], 0 offen
	buffer_load_dword v1, v3, s[0:3], 0 offen offset:4
	buffer_load_dword v2, v3, s[0:3], 0 offen offset:8
	s_nop 0
	buffer_load_dword v3, v3, s[0:3], 0 offen offset:12
	v_mov_b32_e32 v4, 0
	v_accvgpr_read_b32 v5, a192
	buffer_store_dword v4, off, s[0:3], 0 offset:1008
	buffer_store_dword v4, off, s[0:3], 0 offset:1012
	;; [unrolled: 1-line block ×4, first 2 shown]
	s_waitcnt vmcnt(4)
	ds_write_b128 v5, v[0:3]
.LBB127_285:
	s_or_b64 exec, exec, s[4:5]
	s_waitcnt lgkmcnt(0)
	; wave barrier
	s_waitcnt lgkmcnt(0)
	buffer_load_dword v6, off, s[0:3], 0 offset:1032
	buffer_load_dword v7, off, s[0:3], 0 offset:1036
	buffer_load_dword v8, off, s[0:3], 0 offset:1024
	buffer_load_dword v9, off, s[0:3], 0 offset:1028
	buffer_load_dword v10, off, s[0:3], 0 offset:1008
	buffer_load_dword v11, off, s[0:3], 0 offset:1012
	buffer_load_dword v12, off, s[0:3], 0 offset:1016
	buffer_load_dword v13, off, s[0:3], 0 offset:1020
	v_mov_b32_e32 v0, 0
	ds_read_b128 v[2:5], v0 offset:2032
	v_cmp_lt_u32_e32 vcc, 61, v254
	s_waitcnt vmcnt(6) lgkmcnt(0)
	v_mul_f64 v[14:15], v[2:3], v[6:7]
	v_mul_f64 v[6:7], v[4:5], v[6:7]
	s_waitcnt vmcnt(4)
	v_fma_f64 v[2:3], v[2:3], v[8:9], -v[6:7]
	v_fmac_f64_e32 v[14:15], v[4:5], v[8:9]
	v_add_f64 v[2:3], v[2:3], 0
	v_add_f64 v[4:5], v[14:15], 0
	s_waitcnt vmcnt(2)
	v_add_f64 v[2:3], v[10:11], -v[2:3]
	s_waitcnt vmcnt(0)
	v_add_f64 v[4:5], v[12:13], -v[4:5]
	buffer_store_dword v2, off, s[0:3], 0 offset:1008
	buffer_store_dword v3, off, s[0:3], 0 offset:1012
	;; [unrolled: 1-line block ×4, first 2 shown]
	s_and_saveexec_b64 s[4:5], vcc
	s_cbranch_execz .LBB127_287
; %bb.286:
	v_accvgpr_read_b32 v1, a130
	buffer_load_dword v2, v1, s[0:3], 0 offen
	buffer_load_dword v3, v1, s[0:3], 0 offen offset:4
	buffer_load_dword v4, v1, s[0:3], 0 offen offset:8
	buffer_load_dword v5, v1, s[0:3], 0 offen offset:12
	v_accvgpr_read_b32 v1, a192
	buffer_store_dword v0, off, s[0:3], 0 offset:992
	buffer_store_dword v0, off, s[0:3], 0 offset:996
	;; [unrolled: 1-line block ×4, first 2 shown]
	s_waitcnt vmcnt(4)
	ds_write_b128 v1, v[2:5]
.LBB127_287:
	s_or_b64 exec, exec, s[4:5]
	s_waitcnt lgkmcnt(0)
	; wave barrier
	s_waitcnt lgkmcnt(0)
	buffer_load_dword v10, off, s[0:3], 0 offset:1016
	buffer_load_dword v11, off, s[0:3], 0 offset:1020
	;; [unrolled: 1-line block ×12, first 2 shown]
	ds_read_b128 v[2:5], v0 offset:2016
	ds_read_b128 v[6:9], v0 offset:2032
	v_cmp_lt_u32_e32 vcc, 60, v254
	s_waitcnt vmcnt(10) lgkmcnt(1)
	v_mul_f64 v[0:1], v[2:3], v[10:11]
	v_mul_f64 v[10:11], v[4:5], v[10:11]
	s_waitcnt vmcnt(8) lgkmcnt(0)
	v_mul_f64 v[22:23], v[6:7], v[12:13]
	v_mul_f64 v[12:13], v[8:9], v[12:13]
	s_waitcnt vmcnt(6)
	v_fma_f64 v[2:3], v[2:3], v[14:15], -v[10:11]
	v_fmac_f64_e32 v[0:1], v[4:5], v[14:15]
	s_waitcnt vmcnt(4)
	v_fma_f64 v[4:5], v[6:7], v[16:17], -v[12:13]
	v_add_f64 v[2:3], v[2:3], 0
	v_fmac_f64_e32 v[22:23], v[8:9], v[16:17]
	v_add_f64 v[0:1], v[0:1], 0
	v_add_f64 v[2:3], v[2:3], v[4:5]
	;; [unrolled: 1-line block ×3, first 2 shown]
	s_waitcnt vmcnt(2)
	v_add_f64 v[2:3], v[18:19], -v[2:3]
	s_waitcnt vmcnt(0)
	v_add_f64 v[0:1], v[20:21], -v[0:1]
	buffer_store_dword v2, off, s[0:3], 0 offset:992
	buffer_store_dword v3, off, s[0:3], 0 offset:996
	;; [unrolled: 1-line block ×4, first 2 shown]
	s_and_saveexec_b64 s[4:5], vcc
	s_cbranch_execz .LBB127_289
; %bb.288:
	v_accvgpr_read_b32 v3, a131
	buffer_load_dword v0, v3, s[0:3], 0 offen
	buffer_load_dword v1, v3, s[0:3], 0 offen offset:4
	buffer_load_dword v2, v3, s[0:3], 0 offen offset:8
	s_nop 0
	buffer_load_dword v3, v3, s[0:3], 0 offen offset:12
	v_mov_b32_e32 v4, 0
	v_accvgpr_read_b32 v5, a192
	buffer_store_dword v4, off, s[0:3], 0 offset:976
	buffer_store_dword v4, off, s[0:3], 0 offset:980
	;; [unrolled: 1-line block ×4, first 2 shown]
	s_waitcnt vmcnt(4)
	ds_write_b128 v5, v[0:3]
.LBB127_289:
	s_or_b64 exec, exec, s[4:5]
	s_waitcnt lgkmcnt(0)
	; wave barrier
	s_waitcnt lgkmcnt(0)
	buffer_load_dword v14, off, s[0:3], 0 offset:1000
	buffer_load_dword v15, off, s[0:3], 0 offset:1004
	;; [unrolled: 1-line block ×16, first 2 shown]
	v_mov_b32_e32 v0, 0
	ds_read_b128 v[2:5], v0 offset:2000
	ds_read_b128 v[6:9], v0 offset:2016
	;; [unrolled: 1-line block ×3, first 2 shown]
	v_cmp_lt_u32_e32 vcc, 59, v254
	s_waitcnt vmcnt(14) lgkmcnt(2)
	v_mul_f64 v[30:31], v[2:3], v[14:15]
	v_mul_f64 v[14:15], v[4:5], v[14:15]
	s_waitcnt vmcnt(12) lgkmcnt(1)
	v_mul_f64 v[32:33], v[6:7], v[16:17]
	v_mul_f64 v[16:17], v[8:9], v[16:17]
	;; [unrolled: 3-line block ×3, first 2 shown]
	s_waitcnt vmcnt(8)
	v_fma_f64 v[2:3], v[2:3], v[20:21], -v[14:15]
	v_fmac_f64_e32 v[30:31], v[4:5], v[20:21]
	s_waitcnt vmcnt(6)
	v_fma_f64 v[4:5], v[6:7], v[22:23], -v[16:17]
	v_add_f64 v[2:3], v[2:3], 0
	v_fmac_f64_e32 v[32:33], v[8:9], v[22:23]
	s_waitcnt vmcnt(4)
	v_fma_f64 v[6:7], v[10:11], v[24:25], -v[18:19]
	v_add_f64 v[8:9], v[30:31], 0
	v_add_f64 v[2:3], v[2:3], v[4:5]
	v_fmac_f64_e32 v[34:35], v[12:13], v[24:25]
	v_add_f64 v[8:9], v[8:9], v[32:33]
	v_add_f64 v[2:3], v[2:3], v[6:7]
	;; [unrolled: 1-line block ×3, first 2 shown]
	s_waitcnt vmcnt(2)
	v_add_f64 v[2:3], v[26:27], -v[2:3]
	s_waitcnt vmcnt(0)
	v_add_f64 v[4:5], v[28:29], -v[4:5]
	buffer_store_dword v2, off, s[0:3], 0 offset:976
	buffer_store_dword v3, off, s[0:3], 0 offset:980
	;; [unrolled: 1-line block ×4, first 2 shown]
	s_and_saveexec_b64 s[4:5], vcc
	s_cbranch_execz .LBB127_291
; %bb.290:
	v_accvgpr_read_b32 v1, a132
	buffer_load_dword v2, v1, s[0:3], 0 offen
	buffer_load_dword v3, v1, s[0:3], 0 offen offset:4
	buffer_load_dword v4, v1, s[0:3], 0 offen offset:8
	;; [unrolled: 1-line block ×3, first 2 shown]
	v_accvgpr_read_b32 v1, a192
	buffer_store_dword v0, off, s[0:3], 0 offset:960
	buffer_store_dword v0, off, s[0:3], 0 offset:964
	;; [unrolled: 1-line block ×4, first 2 shown]
	s_waitcnt vmcnt(4)
	ds_write_b128 v1, v[2:5]
.LBB127_291:
	s_or_b64 exec, exec, s[4:5]
	s_waitcnt lgkmcnt(0)
	; wave barrier
	s_waitcnt lgkmcnt(0)
	buffer_load_dword v18, off, s[0:3], 0 offset:984
	buffer_load_dword v19, off, s[0:3], 0 offset:988
	;; [unrolled: 1-line block ×20, first 2 shown]
	ds_read_b128 v[2:5], v0 offset:1984
	ds_read_b128 v[6:9], v0 offset:2000
	;; [unrolled: 1-line block ×4, first 2 shown]
	v_cmp_lt_u32_e32 vcc, 58, v254
	s_waitcnt vmcnt(18) lgkmcnt(3)
	v_mul_f64 v[0:1], v[2:3], v[18:19]
	v_mul_f64 v[18:19], v[4:5], v[18:19]
	s_waitcnt vmcnt(16) lgkmcnt(2)
	v_mul_f64 v[38:39], v[6:7], v[20:21]
	v_mul_f64 v[20:21], v[8:9], v[20:21]
	;; [unrolled: 3-line block ×4, first 2 shown]
	s_waitcnt vmcnt(10)
	v_fma_f64 v[2:3], v[2:3], v[26:27], -v[18:19]
	v_fmac_f64_e32 v[0:1], v[4:5], v[26:27]
	s_waitcnt vmcnt(8)
	v_fma_f64 v[4:5], v[6:7], v[28:29], -v[20:21]
	v_add_f64 v[2:3], v[2:3], 0
	v_fmac_f64_e32 v[38:39], v[8:9], v[28:29]
	s_waitcnt vmcnt(6)
	v_fma_f64 v[6:7], v[10:11], v[30:31], -v[22:23]
	v_add_f64 v[0:1], v[0:1], 0
	v_add_f64 v[2:3], v[2:3], v[4:5]
	v_fmac_f64_e32 v[40:41], v[12:13], v[30:31]
	s_waitcnt vmcnt(4)
	v_fma_f64 v[8:9], v[14:15], v[32:33], -v[24:25]
	v_add_f64 v[0:1], v[0:1], v[38:39]
	v_add_f64 v[2:3], v[2:3], v[6:7]
	v_fmac_f64_e32 v[42:43], v[16:17], v[32:33]
	v_add_f64 v[0:1], v[0:1], v[40:41]
	v_add_f64 v[2:3], v[2:3], v[8:9]
	;; [unrolled: 1-line block ×3, first 2 shown]
	s_waitcnt vmcnt(2)
	v_add_f64 v[2:3], v[34:35], -v[2:3]
	s_waitcnt vmcnt(0)
	v_add_f64 v[0:1], v[36:37], -v[0:1]
	buffer_store_dword v2, off, s[0:3], 0 offset:960
	buffer_store_dword v3, off, s[0:3], 0 offset:964
	;; [unrolled: 1-line block ×4, first 2 shown]
	s_and_saveexec_b64 s[4:5], vcc
	s_cbranch_execz .LBB127_293
; %bb.292:
	v_accvgpr_read_b32 v3, a133
	buffer_load_dword v0, v3, s[0:3], 0 offen
	buffer_load_dword v1, v3, s[0:3], 0 offen offset:4
	buffer_load_dword v2, v3, s[0:3], 0 offen offset:8
	s_nop 0
	buffer_load_dword v3, v3, s[0:3], 0 offen offset:12
	v_mov_b32_e32 v4, 0
	v_accvgpr_read_b32 v5, a192
	buffer_store_dword v4, off, s[0:3], 0 offset:944
	buffer_store_dword v4, off, s[0:3], 0 offset:948
	;; [unrolled: 1-line block ×4, first 2 shown]
	s_waitcnt vmcnt(4)
	ds_write_b128 v5, v[0:3]
.LBB127_293:
	s_or_b64 exec, exec, s[4:5]
	s_waitcnt lgkmcnt(0)
	; wave barrier
	s_waitcnt lgkmcnt(0)
	buffer_load_dword v22, off, s[0:3], 0 offset:968
	buffer_load_dword v23, off, s[0:3], 0 offset:972
	;; [unrolled: 1-line block ×24, first 2 shown]
	v_mov_b32_e32 v0, 0
	ds_read_b128 v[2:5], v0 offset:1968
	ds_read_b128 v[6:9], v0 offset:1984
	;; [unrolled: 1-line block ×5, first 2 shown]
	v_cmp_lt_u32_e32 vcc, 57, v254
	s_waitcnt vmcnt(22) lgkmcnt(4)
	v_mul_f64 v[46:47], v[2:3], v[22:23]
	v_mul_f64 v[22:23], v[4:5], v[22:23]
	s_waitcnt vmcnt(20) lgkmcnt(3)
	v_mul_f64 v[48:49], v[6:7], v[24:25]
	v_mul_f64 v[24:25], v[8:9], v[24:25]
	;; [unrolled: 3-line block ×4, first 2 shown]
	s_waitcnt vmcnt(13) lgkmcnt(0)
	v_mul_f64 v[54:55], v[18:19], v[28:29]
	s_waitcnt vmcnt(11)
	v_fma_f64 v[2:3], v[2:3], v[34:35], -v[22:23]
	v_fmac_f64_e32 v[46:47], v[4:5], v[34:35]
	s_waitcnt vmcnt(9)
	v_fma_f64 v[4:5], v[6:7], v[36:37], -v[24:25]
	v_add_f64 v[2:3], v[2:3], 0
	v_fmac_f64_e32 v[48:49], v[8:9], v[36:37]
	s_waitcnt vmcnt(7)
	v_fmac_f64_e32 v[50:51], v[12:13], v[38:39]
	v_fma_f64 v[6:7], v[10:11], v[38:39], -v[26:27]
	v_add_f64 v[12:13], v[46:47], 0
	v_add_f64 v[2:3], v[2:3], v[4:5]
	v_mul_f64 v[28:29], v[20:21], v[28:29]
	s_waitcnt vmcnt(5)
	v_fma_f64 v[8:9], v[14:15], v[40:41], -v[32:33]
	v_add_f64 v[12:13], v[12:13], v[48:49]
	v_add_f64 v[2:3], v[2:3], v[6:7]
	v_fmac_f64_e32 v[52:53], v[16:17], v[40:41]
	s_waitcnt vmcnt(4)
	v_fma_f64 v[10:11], v[18:19], v[30:31], -v[28:29]
	v_add_f64 v[4:5], v[12:13], v[50:51]
	v_add_f64 v[2:3], v[2:3], v[8:9]
	v_fmac_f64_e32 v[54:55], v[20:21], v[30:31]
	v_add_f64 v[4:5], v[4:5], v[52:53]
	v_add_f64 v[2:3], v[2:3], v[10:11]
	;; [unrolled: 1-line block ×3, first 2 shown]
	s_waitcnt vmcnt(2)
	v_add_f64 v[2:3], v[42:43], -v[2:3]
	s_waitcnt vmcnt(0)
	v_add_f64 v[4:5], v[44:45], -v[4:5]
	buffer_store_dword v3, off, s[0:3], 0 offset:948
	buffer_store_dword v2, off, s[0:3], 0 offset:944
	;; [unrolled: 1-line block ×4, first 2 shown]
	s_and_saveexec_b64 s[4:5], vcc
	s_cbranch_execz .LBB127_295
; %bb.294:
	v_accvgpr_read_b32 v1, a134
	buffer_load_dword v2, v1, s[0:3], 0 offen
	buffer_load_dword v3, v1, s[0:3], 0 offen offset:4
	buffer_load_dword v4, v1, s[0:3], 0 offen offset:8
	;; [unrolled: 1-line block ×3, first 2 shown]
	v_accvgpr_read_b32 v1, a192
	buffer_store_dword v0, off, s[0:3], 0 offset:928
	buffer_store_dword v0, off, s[0:3], 0 offset:932
	;; [unrolled: 1-line block ×4, first 2 shown]
	s_waitcnt vmcnt(4)
	ds_write_b128 v1, v[2:5]
.LBB127_295:
	s_or_b64 exec, exec, s[4:5]
	s_waitcnt lgkmcnt(0)
	; wave barrier
	s_waitcnt lgkmcnt(0)
	ds_read_b128 v[14:17], v0 offset:1952
	ds_read_b128 v[10:13], v0 offset:1968
	;; [unrolled: 1-line block ×4, first 2 shown]
	buffer_load_dword v24, off, s[0:3], 0 offset:928
	buffer_load_dword v25, off, s[0:3], 0 offset:932
	;; [unrolled: 1-line block ×20, first 2 shown]
	v_cmp_lt_u32_e32 vcc, 56, v254
	s_waitcnt vmcnt(12) lgkmcnt(3)
	v_mul_f64 v[18:19], v[14:15], v[32:33]
	v_fmac_f64_e32 v[18:19], v[16:17], v[26:27]
	v_add_f64 v[18:19], v[18:19], 0
	v_mul_f64 v[16:17], v[16:17], v[32:33]
	s_waitcnt vmcnt(8) lgkmcnt(2)
	v_mul_f64 v[20:21], v[10:11], v[34:35]
	v_fmac_f64_e32 v[20:21], v[12:13], v[28:29]
	v_add_f64 v[18:19], v[18:19], v[20:21]
	v_fma_f64 v[14:15], v[14:15], v[26:27], -v[16:17]
	s_waitcnt vmcnt(4) lgkmcnt(1)
	v_mul_f64 v[20:21], v[6:7], v[38:39]
	v_fmac_f64_e32 v[20:21], v[8:9], v[30:31]
	v_add_f64 v[18:19], v[18:19], v[20:21]
	s_waitcnt vmcnt(0) lgkmcnt(0)
	v_mul_f64 v[20:21], v[2:3], v[42:43]
	v_fmac_f64_e32 v[20:21], v[4:5], v[40:41]
	v_add_f64 v[44:45], v[18:19], v[20:21]
	ds_read_b128 v[18:21], v0 offset:2016
	buffer_load_dword v37, off, s[0:3], 0 offset:1012
	buffer_load_dword v36, off, s[0:3], 0 offset:1008
	;; [unrolled: 1-line block ×4, first 2 shown]
	v_mul_f64 v[12:13], v[12:13], v[34:35]
	v_add_f64 v[14:15], v[14:15], 0
	v_fma_f64 v[10:11], v[10:11], v[28:29], -v[12:13]
	v_mul_f64 v[8:9], v[8:9], v[38:39]
	v_add_f64 v[10:11], v[14:15], v[10:11]
	v_fma_f64 v[6:7], v[6:7], v[30:31], -v[8:9]
	;; [unrolled: 3-line block ×3, first 2 shown]
	v_add_f64 v[2:3], v[6:7], v[2:3]
	s_waitcnt vmcnt(0) lgkmcnt(0)
	v_mul_f64 v[46:47], v[18:19], v[48:49]
	v_fmac_f64_e32 v[46:47], v[20:21], v[36:37]
	v_add_f64 v[50:51], v[44:45], v[46:47]
	ds_read_b128 v[44:47], v0 offset:2032
	buffer_load_dword v1, off, s[0:3], 0 offset:1028
	buffer_load_dword v0, off, s[0:3], 0 offset:1024
	;; [unrolled: 1-line block ×4, first 2 shown]
	v_mul_f64 v[4:5], v[20:21], v[48:49]
	v_fma_f64 v[4:5], v[18:19], v[36:37], -v[4:5]
	v_add_f64 v[2:3], v[2:3], v[4:5]
	s_waitcnt vmcnt(0) lgkmcnt(0)
	v_mul_f64 v[54:55], v[44:45], v[52:53]
	v_mul_f64 v[4:5], v[46:47], v[52:53]
	v_fmac_f64_e32 v[54:55], v[46:47], v[0:1]
	v_fma_f64 v[0:1], v[44:45], v[0:1], -v[4:5]
	v_add_f64 v[0:1], v[2:3], v[0:1]
	v_add_f64 v[50:51], v[50:51], v[54:55]
	v_add_f64 v[0:1], v[24:25], -v[0:1]
	v_add_f64 v[2:3], v[22:23], -v[50:51]
	buffer_store_dword v1, off, s[0:3], 0 offset:932
	buffer_store_dword v0, off, s[0:3], 0 offset:928
	buffer_store_dword v3, off, s[0:3], 0 offset:940
	buffer_store_dword v2, off, s[0:3], 0 offset:936
	s_and_saveexec_b64 s[4:5], vcc
	s_cbranch_execz .LBB127_297
; %bb.296:
	v_accvgpr_read_b32 v3, a135
	buffer_load_dword v0, v3, s[0:3], 0 offen
	buffer_load_dword v1, v3, s[0:3], 0 offen offset:4
	buffer_load_dword v2, v3, s[0:3], 0 offen offset:8
	s_nop 0
	buffer_load_dword v3, v3, s[0:3], 0 offen offset:12
	v_mov_b32_e32 v4, 0
	v_accvgpr_read_b32 v5, a192
	buffer_store_dword v4, off, s[0:3], 0 offset:912
	buffer_store_dword v4, off, s[0:3], 0 offset:916
	;; [unrolled: 1-line block ×4, first 2 shown]
	s_waitcnt vmcnt(4)
	ds_write_b128 v5, v[0:3]
.LBB127_297:
	s_or_b64 exec, exec, s[4:5]
	v_mov_b32_e32 v0, 0
	s_waitcnt lgkmcnt(0)
	; wave barrier
	s_waitcnt lgkmcnt(0)
	ds_read_b128 v[14:17], v0 offset:1936
	ds_read_b128 v[10:13], v0 offset:1952
	;; [unrolled: 1-line block ×4, first 2 shown]
	buffer_load_dword v28, off, s[0:3], 0 offset:912
	buffer_load_dword v29, off, s[0:3], 0 offset:916
	;; [unrolled: 1-line block ×20, first 2 shown]
	v_cmp_lt_u32_e32 vcc, 55, v254
	s_waitcnt vmcnt(12) lgkmcnt(3)
	v_mul_f64 v[18:19], v[14:15], v[36:37]
	v_fmac_f64_e32 v[18:19], v[16:17], v[30:31]
	v_add_f64 v[18:19], v[18:19], 0
	v_mul_f64 v[16:17], v[16:17], v[36:37]
	s_waitcnt vmcnt(8) lgkmcnt(2)
	v_mul_f64 v[20:21], v[10:11], v[38:39]
	v_fmac_f64_e32 v[20:21], v[12:13], v[32:33]
	v_add_f64 v[18:19], v[18:19], v[20:21]
	v_fma_f64 v[14:15], v[14:15], v[30:31], -v[16:17]
	s_waitcnt vmcnt(4) lgkmcnt(1)
	v_mul_f64 v[20:21], v[6:7], v[42:43]
	v_fmac_f64_e32 v[20:21], v[8:9], v[34:35]
	v_add_f64 v[18:19], v[18:19], v[20:21]
	s_waitcnt vmcnt(0) lgkmcnt(0)
	v_mul_f64 v[20:21], v[2:3], v[46:47]
	v_fmac_f64_e32 v[20:21], v[4:5], v[44:45]
	v_add_f64 v[22:23], v[18:19], v[20:21]
	ds_read_b128 v[18:21], v0 offset:2000
	buffer_load_dword v41, off, s[0:3], 0 offset:996
	buffer_load_dword v40, off, s[0:3], 0 offset:992
	buffer_load_dword v55, off, s[0:3], 0 offset:1004
	buffer_load_dword v54, off, s[0:3], 0 offset:1000
	ds_read_b128 v[50:53], v0 offset:2016
	buffer_load_dword v57, off, s[0:3], 0 offset:1012
	buffer_load_dword v56, off, s[0:3], 0 offset:1008
	;; [unrolled: 1-line block ×4, first 2 shown]
	v_mul_f64 v[12:13], v[12:13], v[38:39]
	v_add_f64 v[14:15], v[14:15], 0
	v_fma_f64 v[10:11], v[10:11], v[32:33], -v[12:13]
	v_mul_f64 v[8:9], v[8:9], v[42:43]
	v_add_f64 v[10:11], v[14:15], v[10:11]
	v_fma_f64 v[6:7], v[6:7], v[34:35], -v[8:9]
	;; [unrolled: 3-line block ×3, first 2 shown]
	v_add_f64 v[2:3], v[6:7], v[2:3]
	s_waitcnt vmcnt(4) lgkmcnt(1)
	v_mul_f64 v[24:25], v[18:19], v[54:55]
	v_fmac_f64_e32 v[24:25], v[20:21], v[40:41]
	v_add_f64 v[22:23], v[22:23], v[24:25]
	s_waitcnt vmcnt(0) lgkmcnt(0)
	v_mul_f64 v[24:25], v[50:51], v[58:59]
	v_fmac_f64_e32 v[24:25], v[52:53], v[56:57]
	v_add_f64 v[60:61], v[22:23], v[24:25]
	ds_read_b128 v[22:25], v0 offset:2032
	buffer_load_dword v49, off, s[0:3], 0 offset:1028
	buffer_load_dword v48, off, s[0:3], 0 offset:1024
	;; [unrolled: 1-line block ×4, first 2 shown]
	v_mul_f64 v[4:5], v[20:21], v[54:55]
	v_fma_f64 v[4:5], v[18:19], v[40:41], -v[4:5]
	v_add_f64 v[2:3], v[2:3], v[4:5]
	v_mul_f64 v[4:5], v[52:53], v[58:59]
	v_fma_f64 v[4:5], v[50:51], v[56:57], -v[4:5]
	v_add_f64 v[2:3], v[2:3], v[4:5]
	s_waitcnt vmcnt(0) lgkmcnt(0)
	v_mul_f64 v[4:5], v[24:25], v[62:63]
	v_mul_f64 v[64:65], v[22:23], v[62:63]
	v_fma_f64 v[4:5], v[22:23], v[48:49], -v[4:5]
	v_fmac_f64_e32 v[64:65], v[24:25], v[48:49]
	v_add_f64 v[2:3], v[2:3], v[4:5]
	v_add_f64 v[60:61], v[60:61], v[64:65]
	v_add_f64 v[2:3], v[28:29], -v[2:3]
	v_add_f64 v[4:5], v[26:27], -v[60:61]
	buffer_store_dword v3, off, s[0:3], 0 offset:916
	buffer_store_dword v2, off, s[0:3], 0 offset:912
	;; [unrolled: 1-line block ×4, first 2 shown]
	s_and_saveexec_b64 s[4:5], vcc
	s_cbranch_execz .LBB127_299
; %bb.298:
	v_accvgpr_read_b32 v1, a136
	buffer_load_dword v2, v1, s[0:3], 0 offen
	buffer_load_dword v3, v1, s[0:3], 0 offen offset:4
	buffer_load_dword v4, v1, s[0:3], 0 offen offset:8
	buffer_load_dword v5, v1, s[0:3], 0 offen offset:12
	v_accvgpr_read_b32 v1, a192
	buffer_store_dword v0, off, s[0:3], 0 offset:896
	buffer_store_dword v0, off, s[0:3], 0 offset:900
	;; [unrolled: 1-line block ×4, first 2 shown]
	s_waitcnt vmcnt(4)
	ds_write_b128 v1, v[2:5]
.LBB127_299:
	s_or_b64 exec, exec, s[4:5]
	s_waitcnt lgkmcnt(0)
	; wave barrier
	s_waitcnt lgkmcnt(0)
	ds_read_b128 v[14:17], v0 offset:1920
	ds_read_b128 v[10:13], v0 offset:1936
	;; [unrolled: 1-line block ×4, first 2 shown]
	buffer_load_dword v36, off, s[0:3], 0 offset:896
	buffer_load_dword v37, off, s[0:3], 0 offset:900
	;; [unrolled: 1-line block ×20, first 2 shown]
	v_cmp_lt_u32_e32 vcc, 54, v254
	s_waitcnt vmcnt(12) lgkmcnt(3)
	v_mul_f64 v[18:19], v[14:15], v[44:45]
	v_fmac_f64_e32 v[18:19], v[16:17], v[38:39]
	v_add_f64 v[18:19], v[18:19], 0
	v_mul_f64 v[16:17], v[16:17], v[44:45]
	s_waitcnt vmcnt(8) lgkmcnt(2)
	v_mul_f64 v[20:21], v[10:11], v[46:47]
	v_fmac_f64_e32 v[20:21], v[12:13], v[40:41]
	v_add_f64 v[18:19], v[18:19], v[20:21]
	v_fma_f64 v[14:15], v[14:15], v[38:39], -v[16:17]
	s_waitcnt vmcnt(4) lgkmcnt(1)
	v_mul_f64 v[20:21], v[6:7], v[50:51]
	v_fmac_f64_e32 v[20:21], v[8:9], v[42:43]
	v_add_f64 v[18:19], v[18:19], v[20:21]
	s_waitcnt vmcnt(0) lgkmcnt(0)
	v_mul_f64 v[20:21], v[2:3], v[54:55]
	v_fmac_f64_e32 v[20:21], v[4:5], v[52:53]
	v_add_f64 v[22:23], v[18:19], v[20:21]
	ds_read_b128 v[18:21], v0 offset:1984
	buffer_load_dword v49, off, s[0:3], 0 offset:980
	buffer_load_dword v48, off, s[0:3], 0 offset:976
	;; [unrolled: 1-line block ×4, first 2 shown]
	ds_read_b128 v[30:33], v0 offset:2000
	buffer_load_dword v61, off, s[0:3], 0 offset:996
	buffer_load_dword v60, off, s[0:3], 0 offset:992
	;; [unrolled: 1-line block ×4, first 2 shown]
	v_mul_f64 v[12:13], v[12:13], v[46:47]
	v_add_f64 v[14:15], v[14:15], 0
	v_fma_f64 v[10:11], v[10:11], v[40:41], -v[12:13]
	v_mul_f64 v[8:9], v[8:9], v[50:51]
	v_add_f64 v[10:11], v[14:15], v[10:11]
	v_fma_f64 v[6:7], v[6:7], v[42:43], -v[8:9]
	v_mul_f64 v[4:5], v[4:5], v[54:55]
	v_add_f64 v[6:7], v[10:11], v[6:7]
	v_fma_f64 v[2:3], v[2:3], v[52:53], -v[4:5]
	v_add_f64 v[2:3], v[6:7], v[2:3]
	s_waitcnt vmcnt(4) lgkmcnt(1)
	v_mul_f64 v[24:25], v[18:19], v[64:65]
	v_fmac_f64_e32 v[24:25], v[20:21], v[48:49]
	v_add_f64 v[22:23], v[22:23], v[24:25]
	s_waitcnt vmcnt(0) lgkmcnt(0)
	v_mul_f64 v[24:25], v[30:31], v[62:63]
	v_fmac_f64_e32 v[24:25], v[32:33], v[60:61]
	v_add_f64 v[26:27], v[22:23], v[24:25]
	ds_read_b128 v[22:25], v0 offset:2016
	buffer_load_dword v57, off, s[0:3], 0 offset:1012
	buffer_load_dword v56, off, s[0:3], 0 offset:1008
	;; [unrolled: 1-line block ×4, first 2 shown]
	v_mul_f64 v[4:5], v[20:21], v[64:65]
	v_fma_f64 v[4:5], v[18:19], v[48:49], -v[4:5]
	v_add_f64 v[2:3], v[2:3], v[4:5]
	v_mul_f64 v[4:5], v[32:33], v[62:63]
	v_fma_f64 v[4:5], v[30:31], v[60:61], -v[4:5]
	v_add_f64 v[2:3], v[2:3], v[4:5]
	s_waitcnt vmcnt(0) lgkmcnt(0)
	v_mul_f64 v[28:29], v[22:23], v[66:67]
	v_fmac_f64_e32 v[28:29], v[24:25], v[56:57]
	v_add_f64 v[68:69], v[26:27], v[28:29]
	ds_read_b128 v[26:29], v0 offset:2032
	buffer_load_dword v59, off, s[0:3], 0 offset:1028
	buffer_load_dword v58, off, s[0:3], 0 offset:1024
	;; [unrolled: 1-line block ×4, first 2 shown]
	v_mul_f64 v[4:5], v[24:25], v[66:67]
	v_fma_f64 v[4:5], v[22:23], v[56:57], -v[4:5]
	v_add_f64 v[2:3], v[2:3], v[4:5]
	s_waitcnt vmcnt(0) lgkmcnt(0)
	v_mul_f64 v[70:71], v[26:27], v[0:1]
	v_mul_f64 v[0:1], v[28:29], v[0:1]
	v_fma_f64 v[0:1], v[26:27], v[58:59], -v[0:1]
	v_fmac_f64_e32 v[70:71], v[28:29], v[58:59]
	v_add_f64 v[0:1], v[2:3], v[0:1]
	v_add_f64 v[68:69], v[68:69], v[70:71]
	v_add_f64 v[0:1], v[36:37], -v[0:1]
	v_add_f64 v[2:3], v[34:35], -v[68:69]
	buffer_store_dword v1, off, s[0:3], 0 offset:900
	buffer_store_dword v0, off, s[0:3], 0 offset:896
	;; [unrolled: 1-line block ×4, first 2 shown]
	s_and_saveexec_b64 s[4:5], vcc
	s_cbranch_execz .LBB127_301
; %bb.300:
	v_accvgpr_read_b32 v3, a137
	buffer_load_dword v0, v3, s[0:3], 0 offen
	buffer_load_dword v1, v3, s[0:3], 0 offen offset:4
	buffer_load_dword v2, v3, s[0:3], 0 offen offset:8
	s_nop 0
	buffer_load_dword v3, v3, s[0:3], 0 offen offset:12
	v_mov_b32_e32 v4, 0
	v_accvgpr_read_b32 v5, a192
	buffer_store_dword v4, off, s[0:3], 0 offset:880
	buffer_store_dword v4, off, s[0:3], 0 offset:884
	;; [unrolled: 1-line block ×4, first 2 shown]
	s_waitcnt vmcnt(4)
	ds_write_b128 v5, v[0:3]
.LBB127_301:
	s_or_b64 exec, exec, s[4:5]
	v_mov_b32_e32 v80, 0
	s_waitcnt lgkmcnt(0)
	; wave barrier
	s_waitcnt lgkmcnt(0)
	ds_read_b128 v[18:21], v80 offset:1904
	ds_read_b128 v[14:17], v80 offset:1920
	;; [unrolled: 1-line block ×4, first 2 shown]
	buffer_load_dword v40, off, s[0:3], 0 offset:880
	buffer_load_dword v41, off, s[0:3], 0 offset:884
	;; [unrolled: 1-line block ×20, first 2 shown]
	v_cmp_lt_u32_e32 vcc, 53, v254
	s_waitcnt vmcnt(12) lgkmcnt(3)
	v_mul_f64 v[0:1], v[18:19], v[56:57]
	v_fmac_f64_e32 v[0:1], v[20:21], v[44:45]
	v_add_f64 v[0:1], v[0:1], 0
	v_mul_f64 v[20:21], v[20:21], v[56:57]
	s_waitcnt vmcnt(8) lgkmcnt(2)
	v_mul_f64 v[6:7], v[14:15], v[54:55]
	v_fmac_f64_e32 v[6:7], v[16:17], v[50:51]
	v_add_f64 v[0:1], v[0:1], v[6:7]
	v_fma_f64 v[18:19], v[18:19], v[44:45], -v[20:21]
	s_waitcnt vmcnt(4) lgkmcnt(1)
	v_mul_f64 v[6:7], v[10:11], v[52:53]
	v_fmac_f64_e32 v[6:7], v[12:13], v[48:49]
	v_add_f64 v[0:1], v[0:1], v[6:7]
	s_waitcnt vmcnt(0) lgkmcnt(0)
	v_mul_f64 v[6:7], v[2:3], v[58:59]
	v_fmac_f64_e32 v[6:7], v[4:5], v[46:47]
	v_add_f64 v[0:1], v[0:1], v[6:7]
	ds_read_b128 v[6:9], v80 offset:1968
	buffer_load_dword v43, off, s[0:3], 0 offset:964
	buffer_load_dword v42, off, s[0:3], 0 offset:960
	;; [unrolled: 1-line block ×4, first 2 shown]
	v_mul_f64 v[16:17], v[16:17], v[54:55]
	v_add_f64 v[18:19], v[18:19], 0
	v_fma_f64 v[14:15], v[14:15], v[50:51], -v[16:17]
	v_mul_f64 v[12:13], v[12:13], v[52:53]
	v_add_f64 v[14:15], v[18:19], v[14:15]
	v_fma_f64 v[10:11], v[10:11], v[48:49], -v[12:13]
	;; [unrolled: 3-line block ×3, first 2 shown]
	v_add_f64 v[2:3], v[10:11], v[2:3]
	s_waitcnt vmcnt(0) lgkmcnt(0)
	v_mul_f64 v[22:23], v[6:7], v[60:61]
	v_fmac_f64_e32 v[22:23], v[8:9], v[42:43]
	v_add_f64 v[0:1], v[0:1], v[22:23]
	ds_read_b128 v[22:25], v80 offset:1984
	buffer_load_dword v63, off, s[0:3], 0 offset:980
	buffer_load_dword v62, off, s[0:3], 0 offset:976
	buffer_load_dword v65, off, s[0:3], 0 offset:988
	buffer_load_dword v64, off, s[0:3], 0 offset:984
	v_mul_f64 v[4:5], v[8:9], v[60:61]
	v_fma_f64 v[4:5], v[6:7], v[42:43], -v[4:5]
	v_add_f64 v[2:3], v[2:3], v[4:5]
	s_waitcnt vmcnt(0) lgkmcnt(0)
	v_mul_f64 v[26:27], v[22:23], v[64:65]
	v_fmac_f64_e32 v[26:27], v[24:25], v[62:63]
	v_add_f64 v[0:1], v[0:1], v[26:27]
	ds_read_b128 v[26:29], v80 offset:2000
	buffer_load_dword v67, off, s[0:3], 0 offset:996
	buffer_load_dword v66, off, s[0:3], 0 offset:992
	buffer_load_dword v69, off, s[0:3], 0 offset:1004
	buffer_load_dword v68, off, s[0:3], 0 offset:1000
	v_mul_f64 v[4:5], v[24:25], v[64:65]
	v_fma_f64 v[4:5], v[22:23], v[62:63], -v[4:5]
	;; [unrolled: 12-line block ×4, first 2 shown]
	v_add_f64 v[2:3], v[2:3], v[4:5]
	s_waitcnt vmcnt(0) lgkmcnt(0)
	v_mul_f64 v[4:5], v[36:37], v[76:77]
	v_mul_f64 v[78:79], v[34:35], v[76:77]
	v_fma_f64 v[4:5], v[34:35], v[74:75], -v[4:5]
	v_fmac_f64_e32 v[78:79], v[36:37], v[74:75]
	v_add_f64 v[2:3], v[2:3], v[4:5]
	v_add_f64 v[0:1], v[0:1], v[78:79]
	v_add_f64 v[2:3], v[40:41], -v[2:3]
	v_add_f64 v[0:1], v[38:39], -v[0:1]
	buffer_store_dword v3, off, s[0:3], 0 offset:884
	buffer_store_dword v2, off, s[0:3], 0 offset:880
	;; [unrolled: 1-line block ×4, first 2 shown]
	s_and_saveexec_b64 s[4:5], vcc
	s_cbranch_execz .LBB127_303
; %bb.302:
	v_accvgpr_read_b32 v3, a138
	buffer_load_dword v0, v3, s[0:3], 0 offen
	buffer_load_dword v1, v3, s[0:3], 0 offen offset:4
	buffer_load_dword v2, v3, s[0:3], 0 offen offset:8
	s_nop 0
	buffer_load_dword v3, v3, s[0:3], 0 offen offset:12
	v_accvgpr_read_b32 v4, a192
	buffer_store_dword v80, off, s[0:3], 0 offset:864
	buffer_store_dword v80, off, s[0:3], 0 offset:868
	buffer_store_dword v80, off, s[0:3], 0 offset:872
	buffer_store_dword v80, off, s[0:3], 0 offset:876
	s_waitcnt vmcnt(4)
	ds_write_b128 v4, v[0:3]
.LBB127_303:
	s_or_b64 exec, exec, s[4:5]
	s_waitcnt lgkmcnt(0)
	; wave barrier
	s_waitcnt lgkmcnt(0)
	ds_read_b128 v[18:21], v80 offset:1888
	ds_read_b128 v[10:13], v80 offset:1904
	;; [unrolled: 1-line block ×4, first 2 shown]
	buffer_load_dword v44, off, s[0:3], 0 offset:864
	buffer_load_dword v45, off, s[0:3], 0 offset:868
	;; [unrolled: 1-line block ×20, first 2 shown]
	v_cmp_lt_u32_e32 vcc, 52, v254
	s_waitcnt vmcnt(12) lgkmcnt(3)
	v_mul_f64 v[0:1], v[18:19], v[62:63]
	v_fmac_f64_e32 v[0:1], v[20:21], v[58:59]
	v_add_f64 v[0:1], v[0:1], 0
	v_mul_f64 v[20:21], v[20:21], v[62:63]
	s_waitcnt vmcnt(8) lgkmcnt(2)
	v_mul_f64 v[14:15], v[10:11], v[60:61]
	v_fmac_f64_e32 v[14:15], v[12:13], v[56:57]
	v_add_f64 v[0:1], v[0:1], v[14:15]
	v_fma_f64 v[18:19], v[18:19], v[58:59], -v[20:21]
	s_waitcnt vmcnt(4) lgkmcnt(1)
	v_mul_f64 v[14:15], v[6:7], v[48:49]
	v_fmac_f64_e32 v[14:15], v[8:9], v[46:47]
	v_add_f64 v[0:1], v[0:1], v[14:15]
	s_waitcnt vmcnt(0) lgkmcnt(0)
	v_mul_f64 v[14:15], v[2:3], v[52:53]
	v_fmac_f64_e32 v[14:15], v[4:5], v[50:51]
	v_add_f64 v[0:1], v[0:1], v[14:15]
	ds_read_b128 v[14:17], v80 offset:1952
	buffer_load_dword v55, off, s[0:3], 0 offset:948
	buffer_load_dword v54, off, s[0:3], 0 offset:944
	;; [unrolled: 1-line block ×4, first 2 shown]
	v_mul_f64 v[12:13], v[12:13], v[60:61]
	v_add_f64 v[18:19], v[18:19], 0
	v_fma_f64 v[10:11], v[10:11], v[56:57], -v[12:13]
	v_mul_f64 v[8:9], v[8:9], v[48:49]
	v_add_f64 v[10:11], v[18:19], v[10:11]
	v_fma_f64 v[6:7], v[6:7], v[46:47], -v[8:9]
	;; [unrolled: 3-line block ×3, first 2 shown]
	v_add_f64 v[2:3], v[6:7], v[2:3]
	s_waitcnt vmcnt(0) lgkmcnt(0)
	v_mul_f64 v[22:23], v[14:15], v[64:65]
	v_fmac_f64_e32 v[22:23], v[16:17], v[54:55]
	v_add_f64 v[0:1], v[0:1], v[22:23]
	ds_read_b128 v[22:25], v80 offset:1968
	buffer_load_dword v67, off, s[0:3], 0 offset:964
	buffer_load_dword v66, off, s[0:3], 0 offset:960
	buffer_load_dword v69, off, s[0:3], 0 offset:972
	buffer_load_dword v68, off, s[0:3], 0 offset:968
	v_mul_f64 v[4:5], v[16:17], v[64:65]
	v_fma_f64 v[4:5], v[14:15], v[54:55], -v[4:5]
	v_add_f64 v[2:3], v[2:3], v[4:5]
	s_waitcnt vmcnt(0) lgkmcnt(0)
	v_mul_f64 v[26:27], v[22:23], v[68:69]
	v_fmac_f64_e32 v[26:27], v[24:25], v[66:67]
	v_add_f64 v[0:1], v[0:1], v[26:27]
	ds_read_b128 v[26:29], v80 offset:1984
	buffer_load_dword v71, off, s[0:3], 0 offset:980
	buffer_load_dword v70, off, s[0:3], 0 offset:976
	buffer_load_dword v73, off, s[0:3], 0 offset:988
	buffer_load_dword v72, off, s[0:3], 0 offset:984
	v_mul_f64 v[4:5], v[24:25], v[68:69]
	v_fma_f64 v[4:5], v[22:23], v[66:67], -v[4:5]
	;; [unrolled: 12-line block ×5, first 2 shown]
	v_add_f64 v[0:1], v[2:3], v[0:1]
	s_waitcnt vmcnt(0) lgkmcnt(0)
	v_mul_f64 v[2:3], v[40:41], v[84:85]
	v_mul_f64 v[86:87], v[38:39], v[84:85]
	v_fma_f64 v[2:3], v[38:39], v[80:81], -v[2:3]
	v_fmac_f64_e32 v[86:87], v[40:41], v[80:81]
	v_add_f64 v[0:1], v[0:1], v[2:3]
	v_add_f64 v[82:83], v[82:83], v[86:87]
	v_add_f64 v[0:1], v[44:45], -v[0:1]
	v_add_f64 v[2:3], v[42:43], -v[82:83]
	buffer_store_dword v1, off, s[0:3], 0 offset:868
	buffer_store_dword v0, off, s[0:3], 0 offset:864
	buffer_store_dword v3, off, s[0:3], 0 offset:876
	buffer_store_dword v2, off, s[0:3], 0 offset:872
	s_and_saveexec_b64 s[4:5], vcc
	s_cbranch_execz .LBB127_305
; %bb.304:
	v_accvgpr_read_b32 v3, a139
	buffer_load_dword v0, v3, s[0:3], 0 offen
	buffer_load_dword v1, v3, s[0:3], 0 offen offset:4
	buffer_load_dword v2, v3, s[0:3], 0 offen offset:8
	s_nop 0
	buffer_load_dword v3, v3, s[0:3], 0 offen offset:12
	v_mov_b32_e32 v4, 0
	v_accvgpr_read_b32 v5, a192
	buffer_store_dword v4, off, s[0:3], 0 offset:848
	buffer_store_dword v4, off, s[0:3], 0 offset:852
	buffer_store_dword v4, off, s[0:3], 0 offset:856
	buffer_store_dword v4, off, s[0:3], 0 offset:860
	s_waitcnt vmcnt(4)
	ds_write_b128 v5, v[0:3]
.LBB127_305:
	s_or_b64 exec, exec, s[4:5]
	v_mov_b32_e32 v94, 0
	s_waitcnt lgkmcnt(0)
	; wave barrier
	s_waitcnt lgkmcnt(0)
	ds_read_b128 v[14:17], v94 offset:1872
	ds_read_b128 v[10:13], v94 offset:1888
	;; [unrolled: 1-line block ×4, first 2 shown]
	buffer_load_dword v48, off, s[0:3], 0 offset:848
	buffer_load_dword v49, off, s[0:3], 0 offset:852
	;; [unrolled: 1-line block ×20, first 2 shown]
	v_cmp_lt_u32_e32 vcc, 51, v254
	s_waitcnt vmcnt(12) lgkmcnt(3)
	v_mul_f64 v[0:1], v[14:15], v[56:57]
	v_fmac_f64_e32 v[0:1], v[16:17], v[50:51]
	v_add_f64 v[0:1], v[0:1], 0
	v_mul_f64 v[16:17], v[16:17], v[56:57]
	s_waitcnt vmcnt(8) lgkmcnt(2)
	v_mul_f64 v[18:19], v[10:11], v[58:59]
	v_fmac_f64_e32 v[18:19], v[12:13], v[52:53]
	v_add_f64 v[0:1], v[0:1], v[18:19]
	v_fma_f64 v[14:15], v[14:15], v[50:51], -v[16:17]
	s_waitcnt vmcnt(4) lgkmcnt(1)
	v_mul_f64 v[18:19], v[6:7], v[60:61]
	v_fmac_f64_e32 v[18:19], v[8:9], v[54:55]
	v_add_f64 v[0:1], v[0:1], v[18:19]
	s_waitcnt vmcnt(0) lgkmcnt(0)
	v_mul_f64 v[18:19], v[2:3], v[64:65]
	v_fmac_f64_e32 v[18:19], v[4:5], v[62:63]
	v_add_f64 v[0:1], v[0:1], v[18:19]
	ds_read_b128 v[18:21], v94 offset:1936
	buffer_load_dword v67, off, s[0:3], 0 offset:932
	buffer_load_dword v66, off, s[0:3], 0 offset:928
	;; [unrolled: 1-line block ×4, first 2 shown]
	v_mul_f64 v[12:13], v[12:13], v[58:59]
	v_add_f64 v[14:15], v[14:15], 0
	v_fma_f64 v[10:11], v[10:11], v[52:53], -v[12:13]
	v_mul_f64 v[8:9], v[8:9], v[60:61]
	v_add_f64 v[10:11], v[14:15], v[10:11]
	v_fma_f64 v[6:7], v[6:7], v[54:55], -v[8:9]
	;; [unrolled: 3-line block ×3, first 2 shown]
	v_add_f64 v[2:3], v[6:7], v[2:3]
	s_waitcnt vmcnt(0) lgkmcnt(0)
	v_mul_f64 v[22:23], v[18:19], v[68:69]
	v_fmac_f64_e32 v[22:23], v[20:21], v[66:67]
	v_add_f64 v[0:1], v[0:1], v[22:23]
	ds_read_b128 v[22:25], v94 offset:1952
	buffer_load_dword v71, off, s[0:3], 0 offset:948
	buffer_load_dword v70, off, s[0:3], 0 offset:944
	buffer_load_dword v73, off, s[0:3], 0 offset:956
	buffer_load_dword v72, off, s[0:3], 0 offset:952
	v_mul_f64 v[4:5], v[20:21], v[68:69]
	v_fma_f64 v[4:5], v[18:19], v[66:67], -v[4:5]
	v_add_f64 v[2:3], v[2:3], v[4:5]
	s_waitcnt vmcnt(0) lgkmcnt(0)
	v_mul_f64 v[26:27], v[22:23], v[72:73]
	v_fmac_f64_e32 v[26:27], v[24:25], v[70:71]
	v_add_f64 v[0:1], v[0:1], v[26:27]
	ds_read_b128 v[26:29], v94 offset:1968
	buffer_load_dword v75, off, s[0:3], 0 offset:964
	buffer_load_dword v74, off, s[0:3], 0 offset:960
	buffer_load_dword v77, off, s[0:3], 0 offset:972
	buffer_load_dword v76, off, s[0:3], 0 offset:968
	v_mul_f64 v[4:5], v[24:25], v[72:73]
	v_fma_f64 v[4:5], v[22:23], v[70:71], -v[4:5]
	v_add_f64 v[2:3], v[2:3], v[4:5]
	s_waitcnt vmcnt(0) lgkmcnt(0)
	v_mul_f64 v[30:31], v[26:27], v[76:77]
	v_fmac_f64_e32 v[30:31], v[28:29], v[74:75]
	v_add_f64 v[0:1], v[0:1], v[30:31]
	ds_read_b128 v[30:33], v94 offset:1984
	buffer_load_dword v79, off, s[0:3], 0 offset:980
	buffer_load_dword v78, off, s[0:3], 0 offset:976
	buffer_load_dword v81, off, s[0:3], 0 offset:988
	buffer_load_dword v80, off, s[0:3], 0 offset:984
	v_mul_f64 v[4:5], v[28:29], v[76:77]
	v_fma_f64 v[4:5], v[26:27], v[74:75], -v[4:5]
	v_add_f64 v[2:3], v[2:3], v[4:5]
	s_waitcnt vmcnt(0) lgkmcnt(0)
	v_mul_f64 v[34:35], v[30:31], v[80:81]
	v_fmac_f64_e32 v[34:35], v[32:33], v[78:79]
	v_add_f64 v[0:1], v[0:1], v[34:35]
	ds_read_b128 v[34:37], v94 offset:2000
	buffer_load_dword v83, off, s[0:3], 0 offset:996
	buffer_load_dword v82, off, s[0:3], 0 offset:992
	buffer_load_dword v85, off, s[0:3], 0 offset:1004
	buffer_load_dword v84, off, s[0:3], 0 offset:1000
	v_mul_f64 v[4:5], v[32:33], v[80:81]
	v_fma_f64 v[4:5], v[30:31], v[78:79], -v[4:5]
	v_add_f64 v[2:3], v[2:3], v[4:5]
	s_waitcnt vmcnt(0) lgkmcnt(0)
	v_mul_f64 v[38:39], v[34:35], v[84:85]
	v_fmac_f64_e32 v[38:39], v[36:37], v[82:83]
	v_add_f64 v[0:1], v[0:1], v[38:39]
	ds_read_b128 v[38:41], v94 offset:2016
	buffer_load_dword v87, off, s[0:3], 0 offset:1012
	buffer_load_dword v86, off, s[0:3], 0 offset:1008
	buffer_load_dword v89, off, s[0:3], 0 offset:1020
	buffer_load_dword v88, off, s[0:3], 0 offset:1016
	v_mul_f64 v[4:5], v[36:37], v[84:85]
	v_fma_f64 v[4:5], v[34:35], v[82:83], -v[4:5]
	v_add_f64 v[2:3], v[2:3], v[4:5]
	s_waitcnt vmcnt(0) lgkmcnt(0)
	v_mul_f64 v[42:43], v[38:39], v[88:89]
	v_fmac_f64_e32 v[42:43], v[40:41], v[86:87]
	v_add_f64 v[0:1], v[0:1], v[42:43]
	ds_read_b128 v[42:45], v94 offset:2032
	buffer_load_dword v91, off, s[0:3], 0 offset:1028
	buffer_load_dword v90, off, s[0:3], 0 offset:1024
	buffer_load_dword v93, off, s[0:3], 0 offset:1036
	buffer_load_dword v92, off, s[0:3], 0 offset:1032
	v_mul_f64 v[4:5], v[40:41], v[88:89]
	v_fma_f64 v[4:5], v[38:39], v[86:87], -v[4:5]
	v_add_f64 v[2:3], v[2:3], v[4:5]
	s_waitcnt vmcnt(0) lgkmcnt(0)
	v_mul_f64 v[4:5], v[44:45], v[92:93]
	v_mul_f64 v[96:97], v[42:43], v[92:93]
	v_fma_f64 v[4:5], v[42:43], v[90:91], -v[4:5]
	v_fmac_f64_e32 v[96:97], v[44:45], v[90:91]
	v_add_f64 v[2:3], v[2:3], v[4:5]
	v_add_f64 v[0:1], v[0:1], v[96:97]
	v_add_f64 v[2:3], v[48:49], -v[2:3]
	v_add_f64 v[0:1], v[46:47], -v[0:1]
	buffer_store_dword v3, off, s[0:3], 0 offset:852
	buffer_store_dword v2, off, s[0:3], 0 offset:848
	;; [unrolled: 1-line block ×4, first 2 shown]
	s_and_saveexec_b64 s[4:5], vcc
	s_cbranch_execz .LBB127_307
; %bb.306:
	v_accvgpr_read_b32 v3, a140
	buffer_load_dword v0, v3, s[0:3], 0 offen
	buffer_load_dword v1, v3, s[0:3], 0 offen offset:4
	buffer_load_dword v2, v3, s[0:3], 0 offen offset:8
	s_nop 0
	buffer_load_dword v3, v3, s[0:3], 0 offen offset:12
	v_accvgpr_read_b32 v4, a192
	buffer_store_dword v94, off, s[0:3], 0 offset:832
	buffer_store_dword v94, off, s[0:3], 0 offset:836
	buffer_store_dword v94, off, s[0:3], 0 offset:840
	buffer_store_dword v94, off, s[0:3], 0 offset:844
	s_waitcnt vmcnt(4)
	ds_write_b128 v4, v[0:3]
.LBB127_307:
	s_or_b64 exec, exec, s[4:5]
	s_waitcnt lgkmcnt(0)
	; wave barrier
	s_waitcnt lgkmcnt(0)
	ds_read_b128 v[14:17], v94 offset:1856
	ds_read_b128 v[10:13], v94 offset:1872
	;; [unrolled: 1-line block ×4, first 2 shown]
	buffer_load_dword v48, off, s[0:3], 0 offset:832
	buffer_load_dword v49, off, s[0:3], 0 offset:836
	buffer_load_dword v46, off, s[0:3], 0 offset:840
	buffer_load_dword v47, off, s[0:3], 0 offset:844
	buffer_load_dword v50, off, s[0:3], 0 offset:848
	buffer_load_dword v51, off, s[0:3], 0 offset:852
	buffer_load_dword v56, off, s[0:3], 0 offset:856
	buffer_load_dword v57, off, s[0:3], 0 offset:860
	buffer_load_dword v52, off, s[0:3], 0 offset:864
	buffer_load_dword v53, off, s[0:3], 0 offset:868
	buffer_load_dword v58, off, s[0:3], 0 offset:872
	buffer_load_dword v59, off, s[0:3], 0 offset:876
	buffer_load_dword v54, off, s[0:3], 0 offset:880
	buffer_load_dword v55, off, s[0:3], 0 offset:884
	buffer_load_dword v60, off, s[0:3], 0 offset:888
	buffer_load_dword v61, off, s[0:3], 0 offset:892
	buffer_load_dword v63, off, s[0:3], 0 offset:900
	buffer_load_dword v62, off, s[0:3], 0 offset:896
	buffer_load_dword v65, off, s[0:3], 0 offset:908
	buffer_load_dword v64, off, s[0:3], 0 offset:904
	v_cmp_lt_u32_e32 vcc, 50, v254
	s_waitcnt vmcnt(12) lgkmcnt(3)
	v_mul_f64 v[0:1], v[14:15], v[56:57]
	v_fmac_f64_e32 v[0:1], v[16:17], v[50:51]
	v_add_f64 v[0:1], v[0:1], 0
	v_mul_f64 v[16:17], v[16:17], v[56:57]
	s_waitcnt vmcnt(8) lgkmcnt(2)
	v_mul_f64 v[18:19], v[10:11], v[58:59]
	v_fmac_f64_e32 v[18:19], v[12:13], v[52:53]
	v_add_f64 v[0:1], v[0:1], v[18:19]
	v_fma_f64 v[14:15], v[14:15], v[50:51], -v[16:17]
	s_waitcnt vmcnt(4) lgkmcnt(1)
	v_mul_f64 v[18:19], v[6:7], v[60:61]
	v_fmac_f64_e32 v[18:19], v[8:9], v[54:55]
	v_add_f64 v[0:1], v[0:1], v[18:19]
	s_waitcnt vmcnt(0) lgkmcnt(0)
	v_mul_f64 v[18:19], v[2:3], v[64:65]
	v_fmac_f64_e32 v[18:19], v[4:5], v[62:63]
	v_add_f64 v[0:1], v[0:1], v[18:19]
	ds_read_b128 v[18:21], v94 offset:1920
	buffer_load_dword v67, off, s[0:3], 0 offset:916
	buffer_load_dword v66, off, s[0:3], 0 offset:912
	;; [unrolled: 1-line block ×4, first 2 shown]
	v_mul_f64 v[12:13], v[12:13], v[58:59]
	v_add_f64 v[14:15], v[14:15], 0
	v_fma_f64 v[10:11], v[10:11], v[52:53], -v[12:13]
	v_mul_f64 v[8:9], v[8:9], v[60:61]
	v_add_f64 v[10:11], v[14:15], v[10:11]
	v_fma_f64 v[6:7], v[6:7], v[54:55], -v[8:9]
	v_mul_f64 v[4:5], v[4:5], v[64:65]
	v_add_f64 v[6:7], v[10:11], v[6:7]
	v_fma_f64 v[2:3], v[2:3], v[62:63], -v[4:5]
	v_add_f64 v[2:3], v[6:7], v[2:3]
	s_waitcnt vmcnt(0) lgkmcnt(0)
	v_mul_f64 v[22:23], v[18:19], v[68:69]
	v_fmac_f64_e32 v[22:23], v[20:21], v[66:67]
	v_add_f64 v[0:1], v[0:1], v[22:23]
	ds_read_b128 v[22:25], v94 offset:1936
	buffer_load_dword v71, off, s[0:3], 0 offset:932
	buffer_load_dword v70, off, s[0:3], 0 offset:928
	buffer_load_dword v73, off, s[0:3], 0 offset:940
	buffer_load_dword v72, off, s[0:3], 0 offset:936
	v_mul_f64 v[4:5], v[20:21], v[68:69]
	v_fma_f64 v[4:5], v[18:19], v[66:67], -v[4:5]
	v_add_f64 v[2:3], v[2:3], v[4:5]
	s_waitcnt vmcnt(0) lgkmcnt(0)
	v_mul_f64 v[26:27], v[22:23], v[72:73]
	v_fmac_f64_e32 v[26:27], v[24:25], v[70:71]
	v_add_f64 v[0:1], v[0:1], v[26:27]
	ds_read_b128 v[26:29], v94 offset:1952
	buffer_load_dword v75, off, s[0:3], 0 offset:948
	buffer_load_dword v74, off, s[0:3], 0 offset:944
	buffer_load_dword v77, off, s[0:3], 0 offset:956
	buffer_load_dword v76, off, s[0:3], 0 offset:952
	v_mul_f64 v[4:5], v[24:25], v[72:73]
	v_fma_f64 v[4:5], v[22:23], v[70:71], -v[4:5]
	;; [unrolled: 12-line block ×7, first 2 shown]
	v_add_f64 v[2:3], v[2:3], v[4:5]
	s_waitcnt vmcnt(0) lgkmcnt(0)
	v_mul_f64 v[4:5], v[96:97], v[100:101]
	v_mul_f64 v[102:103], v[94:95], v[100:101]
	v_fma_f64 v[4:5], v[94:95], v[98:99], -v[4:5]
	v_fmac_f64_e32 v[102:103], v[96:97], v[98:99]
	v_add_f64 v[2:3], v[2:3], v[4:5]
	v_add_f64 v[0:1], v[0:1], v[102:103]
	v_add_f64 v[2:3], v[48:49], -v[2:3]
	v_add_f64 v[0:1], v[46:47], -v[0:1]
	buffer_store_dword v3, off, s[0:3], 0 offset:836
	buffer_store_dword v2, off, s[0:3], 0 offset:832
	;; [unrolled: 1-line block ×4, first 2 shown]
	s_and_saveexec_b64 s[4:5], vcc
	s_cbranch_execz .LBB127_309
; %bb.308:
	v_accvgpr_read_b32 v3, a141
	buffer_load_dword v0, v3, s[0:3], 0 offen
	buffer_load_dword v1, v3, s[0:3], 0 offen offset:4
	buffer_load_dword v2, v3, s[0:3], 0 offen offset:8
	s_nop 0
	buffer_load_dword v3, v3, s[0:3], 0 offen offset:12
	v_mov_b32_e32 v4, 0
	v_accvgpr_read_b32 v5, a192
	buffer_store_dword v4, off, s[0:3], 0 offset:816
	buffer_store_dword v4, off, s[0:3], 0 offset:820
	;; [unrolled: 1-line block ×4, first 2 shown]
	s_waitcnt vmcnt(4)
	ds_write_b128 v5, v[0:3]
.LBB127_309:
	s_or_b64 exec, exec, s[4:5]
	s_waitcnt lgkmcnt(0)
	; wave barrier
	s_waitcnt lgkmcnt(0)
	buffer_load_dword v2, off, s[0:3], 0 offset:832
	buffer_load_dword v3, off, s[0:3], 0 offset:836
	;; [unrolled: 1-line block ×56, first 2 shown]
	v_mov_b32_e32 v0, 0
	ds_read_b128 v[30:33], v0 offset:1840
	ds_read_b128 v[34:37], v0 offset:1856
	;; [unrolled: 1-line block ×9, first 2 shown]
	v_cmp_lt_u32_e32 vcc, 49, v254
	s_waitcnt vmcnt(52) lgkmcnt(8)
	v_mul_f64 v[62:63], v[30:31], v[6:7]
	v_fmac_f64_e32 v[62:63], v[32:33], v[2:3]
	v_mul_f64 v[6:7], v[32:33], v[6:7]
	v_add_f64 v[62:63], v[62:63], 0
	s_waitcnt vmcnt(48) lgkmcnt(7)
	v_mul_f64 v[64:65], v[34:35], v[8:9]
	v_fmac_f64_e32 v[64:65], v[36:37], v[4:5]
	s_waitcnt vmcnt(46) lgkmcnt(6)
	v_mul_f64 v[66:67], v[38:39], v[10:11]
	v_fma_f64 v[2:3], v[30:31], v[2:3], -v[6:7]
	v_mul_f64 v[6:7], v[36:37], v[8:9]
	s_waitcnt vmcnt(44) lgkmcnt(5)
	v_mul_f64 v[68:69], v[42:43], v[12:13]
	v_add_f64 v[62:63], v[62:63], v[64:65]
	v_add_f64 v[2:3], v[2:3], 0
	v_fma_f64 v[4:5], v[34:35], v[4:5], -v[6:7]
	v_add_f64 v[2:3], v[2:3], v[4:5]
	v_mul_f64 v[4:5], v[40:41], v[10:11]
	s_waitcnt vmcnt(37) lgkmcnt(4)
	v_mul_f64 v[70:71], v[46:47], v[20:21]
	s_waitcnt lgkmcnt(3)
	v_mul_f64 v[72:73], v[50:51], v[18:19]
	s_waitcnt vmcnt(35)
	v_fmac_f64_e32 v[70:71], v[48:49], v[22:23]
	s_waitcnt lgkmcnt(2)
	v_mul_f64 v[74:75], v[54:55], v[14:15]
	s_waitcnt vmcnt(33)
	v_fmac_f64_e32 v[66:67], v[40:41], v[28:29]
	v_add_f64 v[62:63], v[62:63], v[66:67]
	s_waitcnt vmcnt(31)
	v_fmac_f64_e32 v[68:69], v[44:45], v[26:27]
	v_add_f64 v[62:63], v[62:63], v[68:69]
	v_fma_f64 v[4:5], v[38:39], v[28:29], -v[4:5]
	s_waitcnt vmcnt(29)
	v_fmac_f64_e32 v[72:73], v[52:53], v[24:25]
	v_add_f64 v[62:63], v[62:63], v[70:71]
	v_add_f64 v[2:3], v[2:3], v[4:5]
	v_mul_f64 v[4:5], v[44:45], v[12:13]
	s_waitcnt vmcnt(28)
	v_fmac_f64_e32 v[74:75], v[56:57], v[16:17]
	v_add_f64 v[62:63], v[62:63], v[72:73]
	v_fma_f64 v[4:5], v[42:43], v[26:27], -v[4:5]
	v_add_f64 v[66:67], v[62:63], v[74:75]
	ds_read_b128 v[62:65], v0 offset:1968
	s_waitcnt vmcnt(24) lgkmcnt(2)
	v_mul_f64 v[68:69], v[58:59], v[86:87]
	v_add_f64 v[2:3], v[2:3], v[4:5]
	v_mul_f64 v[4:5], v[48:49], v[20:21]
	s_waitcnt vmcnt(22)
	v_fmac_f64_e32 v[68:69], v[60:61], v[88:89]
	v_fma_f64 v[4:5], v[46:47], v[22:23], -v[4:5]
	v_add_f64 v[70:71], v[66:67], v[68:69]
	ds_read_b128 v[66:69], v0 offset:1984
	v_add_f64 v[2:3], v[2:3], v[4:5]
	v_mul_f64 v[4:5], v[52:53], v[18:19]
	v_fma_f64 v[4:5], v[50:51], v[24:25], -v[4:5]
	v_add_f64 v[2:3], v[2:3], v[4:5]
	v_mul_f64 v[4:5], v[56:57], v[14:15]
	s_waitcnt vmcnt(21) lgkmcnt(1)
	v_mul_f64 v[72:73], v[62:63], v[82:83]
	v_fma_f64 v[4:5], v[54:55], v[16:17], -v[4:5]
	s_waitcnt vmcnt(20)
	v_fmac_f64_e32 v[72:73], v[64:65], v[84:85]
	v_add_f64 v[2:3], v[2:3], v[4:5]
	v_mul_f64 v[4:5], v[60:61], v[86:87]
	v_add_f64 v[74:75], v[70:71], v[72:73]
	ds_read_b128 v[70:73], v0 offset:2000
	s_waitcnt vmcnt(16) lgkmcnt(1)
	v_mul_f64 v[76:77], v[66:67], v[94:95]
	v_fma_f64 v[4:5], v[58:59], v[88:89], -v[4:5]
	s_waitcnt vmcnt(14)
	v_fmac_f64_e32 v[76:77], v[68:69], v[96:97]
	v_add_f64 v[2:3], v[2:3], v[4:5]
	v_mul_f64 v[4:5], v[64:65], v[82:83]
	v_add_f64 v[110:111], v[74:75], v[76:77]
	ds_read_b128 v[74:77], v0 offset:2016
	v_fma_f64 v[4:5], v[62:63], v[84:85], -v[4:5]
	v_add_f64 v[2:3], v[2:3], v[4:5]
	v_mul_f64 v[4:5], v[68:69], v[94:95]
	v_fma_f64 v[4:5], v[66:67], v[96:97], -v[4:5]
	v_add_f64 v[2:3], v[2:3], v[4:5]
	s_waitcnt vmcnt(13) lgkmcnt(1)
	v_mul_f64 v[4:5], v[72:73], v[90:91]
	v_mul_f64 v[112:113], v[70:71], v[90:91]
	s_waitcnt vmcnt(12)
	v_fma_f64 v[4:5], v[70:71], v[92:93], -v[4:5]
	v_fmac_f64_e32 v[112:113], v[72:73], v[92:93]
	v_add_f64 v[2:3], v[2:3], v[4:5]
	s_waitcnt vmcnt(8) lgkmcnt(0)
	v_mul_f64 v[4:5], v[76:77], v[102:103]
	v_add_f64 v[110:111], v[110:111], v[112:113]
	v_mul_f64 v[112:113], v[74:75], v[102:103]
	s_waitcnt vmcnt(6)
	v_fma_f64 v[4:5], v[74:75], v[104:105], -v[4:5]
	v_fmac_f64_e32 v[112:113], v[76:77], v[104:105]
	v_add_f64 v[2:3], v[2:3], v[4:5]
	s_waitcnt vmcnt(5)
	v_mul_f64 v[4:5], v[80:81], v[98:99]
	v_add_f64 v[110:111], v[110:111], v[112:113]
	v_mul_f64 v[112:113], v[78:79], v[98:99]
	s_waitcnt vmcnt(4)
	v_fma_f64 v[4:5], v[78:79], v[100:101], -v[4:5]
	v_fmac_f64_e32 v[112:113], v[80:81], v[100:101]
	v_add_f64 v[2:3], v[2:3], v[4:5]
	v_add_f64 v[110:111], v[110:111], v[112:113]
	s_waitcnt vmcnt(2)
	v_add_f64 v[2:3], v[106:107], -v[2:3]
	s_waitcnt vmcnt(0)
	v_add_f64 v[4:5], v[108:109], -v[110:111]
	buffer_store_dword v3, off, s[0:3], 0 offset:820
	buffer_store_dword v2, off, s[0:3], 0 offset:816
	;; [unrolled: 1-line block ×4, first 2 shown]
	s_and_saveexec_b64 s[4:5], vcc
	s_cbranch_execz .LBB127_311
; %bb.310:
	v_accvgpr_read_b32 v1, a142
	buffer_load_dword v2, v1, s[0:3], 0 offen
	buffer_load_dword v3, v1, s[0:3], 0 offen offset:4
	buffer_load_dword v4, v1, s[0:3], 0 offen offset:8
	;; [unrolled: 1-line block ×3, first 2 shown]
	v_accvgpr_read_b32 v1, a192
	buffer_store_dword v0, off, s[0:3], 0 offset:800
	buffer_store_dword v0, off, s[0:3], 0 offset:804
	;; [unrolled: 1-line block ×4, first 2 shown]
	s_waitcnt vmcnt(4)
	ds_write_b128 v1, v[2:5]
.LBB127_311:
	s_or_b64 exec, exec, s[4:5]
	s_waitcnt lgkmcnt(0)
	; wave barrier
	s_waitcnt lgkmcnt(0)
	buffer_load_dword v2, off, s[0:3], 0 offset:816
	buffer_load_dword v3, off, s[0:3], 0 offset:820
	;; [unrolled: 1-line block ×60, first 2 shown]
	ds_read_b128 v[30:33], v0 offset:1824
	ds_read_b128 v[34:37], v0 offset:1840
	;; [unrolled: 1-line block ×8, first 2 shown]
	v_cmp_lt_u32_e32 vcc, 48, v254
	ds_read_b128 v[82:85], v0 offset:2032
	s_waitcnt vmcnt(56) lgkmcnt(8)
	v_mul_f64 v[62:63], v[30:31], v[6:7]
	v_fmac_f64_e32 v[62:63], v[32:33], v[2:3]
	v_add_f64 v[62:63], v[62:63], 0
	v_mul_f64 v[6:7], v[32:33], v[6:7]
	s_waitcnt vmcnt(52) lgkmcnt(7)
	v_mul_f64 v[64:65], v[34:35], v[8:9]
	v_fmac_f64_e32 v[64:65], v[36:37], v[4:5]
	s_waitcnt vmcnt(50) lgkmcnt(6)
	v_mul_f64 v[66:67], v[38:39], v[10:11]
	v_add_f64 v[62:63], v[62:63], v[64:65]
	s_waitcnt vmcnt(48) lgkmcnt(4)
	v_mul_f64 v[70:71], v[46:47], v[12:13]
	v_fma_f64 v[2:3], v[30:31], v[2:3], -v[6:7]
	s_waitcnt vmcnt(46)
	v_fmac_f64_e32 v[70:71], v[48:49], v[14:15]
	v_mul_f64 v[6:7], v[36:37], v[8:9]
	s_waitcnt vmcnt(44)
	v_mul_f64 v[68:69], v[42:43], v[16:17]
	v_add_f64 v[2:3], v[2:3], 0
	v_fma_f64 v[4:5], v[34:35], v[4:5], -v[6:7]
	v_add_f64 v[2:3], v[2:3], v[4:5]
	s_waitcnt vmcnt(40) lgkmcnt(3)
	v_mul_f64 v[72:73], v[50:51], v[22:23]
	v_mul_f64 v[4:5], v[40:41], v[10:11]
	s_waitcnt vmcnt(38)
	v_fmac_f64_e32 v[66:67], v[40:41], v[28:29]
	v_add_f64 v[62:63], v[62:63], v[66:67]
	s_waitcnt vmcnt(36)
	v_fmac_f64_e32 v[68:69], v[44:45], v[26:27]
	v_add_f64 v[62:63], v[62:63], v[68:69]
	;; [unrolled: 3-line block ×3, first 2 shown]
	s_waitcnt vmcnt(33) lgkmcnt(2)
	v_mul_f64 v[64:65], v[54:55], v[18:19]
	v_add_f64 v[62:63], v[62:63], v[72:73]
	s_waitcnt vmcnt(32)
	v_fmac_f64_e32 v[64:65], v[56:57], v[20:21]
	v_add_f64 v[66:67], v[62:63], v[64:65]
	ds_read_b128 v[62:65], v0 offset:1952
	v_fma_f64 v[4:5], v[38:39], v[28:29], -v[4:5]
	v_add_f64 v[2:3], v[2:3], v[4:5]
	v_mul_f64 v[4:5], v[44:45], v[16:17]
	v_fma_f64 v[4:5], v[42:43], v[26:27], -v[4:5]
	s_waitcnt vmcnt(28) lgkmcnt(2)
	v_mul_f64 v[68:69], v[58:59], v[90:91]
	v_add_f64 v[2:3], v[2:3], v[4:5]
	v_mul_f64 v[4:5], v[48:49], v[12:13]
	s_waitcnt vmcnt(26)
	v_fmac_f64_e32 v[68:69], v[60:61], v[92:93]
	v_fma_f64 v[4:5], v[46:47], v[14:15], -v[4:5]
	v_add_f64 v[70:71], v[66:67], v[68:69]
	ds_read_b128 v[66:69], v0 offset:1968
	s_waitcnt vmcnt(25) lgkmcnt(1)
	v_mul_f64 v[72:73], v[62:63], v[86:87]
	v_add_f64 v[2:3], v[2:3], v[4:5]
	v_mul_f64 v[4:5], v[52:53], v[22:23]
	s_waitcnt vmcnt(24)
	v_fmac_f64_e32 v[72:73], v[64:65], v[88:89]
	v_fma_f64 v[4:5], v[50:51], v[24:25], -v[4:5]
	v_add_f64 v[74:75], v[70:71], v[72:73]
	ds_read_b128 v[70:73], v0 offset:1984
	v_add_f64 v[2:3], v[2:3], v[4:5]
	v_mul_f64 v[4:5], v[56:57], v[18:19]
	v_fma_f64 v[4:5], v[54:55], v[20:21], -v[4:5]
	v_add_f64 v[2:3], v[2:3], v[4:5]
	v_mul_f64 v[4:5], v[60:61], v[90:91]
	s_waitcnt vmcnt(20) lgkmcnt(1)
	v_mul_f64 v[76:77], v[66:67], v[98:99]
	v_fma_f64 v[4:5], v[58:59], v[92:93], -v[4:5]
	s_waitcnt vmcnt(18)
	v_fmac_f64_e32 v[76:77], v[68:69], v[100:101]
	v_add_f64 v[2:3], v[2:3], v[4:5]
	v_mul_f64 v[4:5], v[64:65], v[86:87]
	v_add_f64 v[78:79], v[74:75], v[76:77]
	ds_read_b128 v[74:77], v0 offset:2000
	s_waitcnt vmcnt(17) lgkmcnt(1)
	v_mul_f64 v[80:81], v[70:71], v[94:95]
	v_fma_f64 v[4:5], v[62:63], v[88:89], -v[4:5]
	s_waitcnt vmcnt(16)
	v_fmac_f64_e32 v[80:81], v[72:73], v[96:97]
	v_add_f64 v[2:3], v[2:3], v[4:5]
	v_mul_f64 v[4:5], v[68:69], v[98:99]
	v_add_f64 v[118:119], v[78:79], v[80:81]
	ds_read_b128 v[78:81], v0 offset:2016
	v_fma_f64 v[4:5], v[66:67], v[100:101], -v[4:5]
	v_add_f64 v[2:3], v[2:3], v[4:5]
	v_mul_f64 v[4:5], v[72:73], v[94:95]
	v_fma_f64 v[4:5], v[70:71], v[96:97], -v[4:5]
	v_add_f64 v[2:3], v[2:3], v[4:5]
	s_waitcnt vmcnt(12) lgkmcnt(1)
	v_mul_f64 v[4:5], v[76:77], v[106:107]
	v_mul_f64 v[120:121], v[74:75], v[106:107]
	s_waitcnt vmcnt(10)
	v_fma_f64 v[4:5], v[74:75], v[108:109], -v[4:5]
	v_fmac_f64_e32 v[120:121], v[76:77], v[108:109]
	v_add_f64 v[2:3], v[2:3], v[4:5]
	s_waitcnt vmcnt(9) lgkmcnt(0)
	v_mul_f64 v[4:5], v[80:81], v[102:103]
	v_add_f64 v[0:1], v[118:119], v[120:121]
	v_mul_f64 v[118:119], v[78:79], v[102:103]
	s_waitcnt vmcnt(8)
	v_fma_f64 v[4:5], v[78:79], v[104:105], -v[4:5]
	v_fmac_f64_e32 v[118:119], v[80:81], v[104:105]
	v_add_f64 v[2:3], v[2:3], v[4:5]
	s_waitcnt vmcnt(6)
	v_mul_f64 v[4:5], v[84:85], v[110:111]
	v_add_f64 v[0:1], v[0:1], v[118:119]
	v_mul_f64 v[118:119], v[82:83], v[110:111]
	s_waitcnt vmcnt(4)
	v_fma_f64 v[4:5], v[82:83], v[112:113], -v[4:5]
	v_fmac_f64_e32 v[118:119], v[84:85], v[112:113]
	v_add_f64 v[2:3], v[2:3], v[4:5]
	v_add_f64 v[0:1], v[0:1], v[118:119]
	s_waitcnt vmcnt(2)
	v_add_f64 v[2:3], v[114:115], -v[2:3]
	s_waitcnt vmcnt(0)
	v_add_f64 v[0:1], v[116:117], -v[0:1]
	buffer_store_dword v3, off, s[0:3], 0 offset:804
	buffer_store_dword v2, off, s[0:3], 0 offset:800
	;; [unrolled: 1-line block ×4, first 2 shown]
	s_and_saveexec_b64 s[4:5], vcc
	s_cbranch_execz .LBB127_313
; %bb.312:
	v_accvgpr_read_b32 v3, a143
	buffer_load_dword v0, v3, s[0:3], 0 offen
	buffer_load_dword v1, v3, s[0:3], 0 offen offset:4
	buffer_load_dword v2, v3, s[0:3], 0 offen offset:8
	s_nop 0
	buffer_load_dword v3, v3, s[0:3], 0 offen offset:12
	v_mov_b32_e32 v4, 0
	v_accvgpr_read_b32 v5, a192
	buffer_store_dword v4, off, s[0:3], 0 offset:784
	buffer_store_dword v4, off, s[0:3], 0 offset:788
	;; [unrolled: 1-line block ×4, first 2 shown]
	s_waitcnt vmcnt(4)
	ds_write_b128 v5, v[0:3]
.LBB127_313:
	s_or_b64 exec, exec, s[4:5]
	s_waitcnt lgkmcnt(0)
	; wave barrier
	s_waitcnt lgkmcnt(0)
	buffer_load_dword v2, off, s[0:3], 0 offset:800
	buffer_load_dword v3, off, s[0:3], 0 offset:804
	;; [unrolled: 1-line block ×64, first 2 shown]
	v_mov_b32_e32 v44, 0
	ds_read_b128 v[36:39], v44 offset:1808
	ds_read_b128 v[40:43], v44 offset:1824
	;; [unrolled: 1-line block ×7, first 2 shown]
	v_cmp_lt_u32_e32 vcc, 47, v254
	s_waitcnt vmcnt(60) lgkmcnt(6)
	v_mul_f64 v[62:63], v[36:37], v[4:5]
	v_fmac_f64_e32 v[62:63], v[38:39], v[2:3]
	s_waitcnt vmcnt(58) lgkmcnt(5)
	v_mul_f64 v[64:65], v[40:41], v[6:7]
	v_add_f64 v[62:63], v[62:63], 0
	s_waitcnt vmcnt(56) lgkmcnt(4)
	v_mul_f64 v[66:67], v[46:47], v[8:9]
	v_mul_f64 v[4:5], v[38:39], v[4:5]
	s_waitcnt vmcnt(54) lgkmcnt(2)
	v_mul_f64 v[70:71], v[54:55], v[10:11]
	v_fma_f64 v[2:3], v[36:37], v[2:3], -v[4:5]
	v_mul_f64 v[4:5], v[42:43], v[6:7]
	s_waitcnt vmcnt(51)
	v_mul_f64 v[68:69], v[50:51], v[14:15]
	v_add_f64 v[2:3], v[2:3], 0
	s_waitcnt vmcnt(49)
	v_fmac_f64_e32 v[64:65], v[42:43], v[20:21]
	v_add_f64 v[62:63], v[62:63], v[64:65]
	s_waitcnt vmcnt(47)
	v_fmac_f64_e32 v[66:67], v[48:49], v[18:19]
	;; [unrolled: 3-line block ×4, first 2 shown]
	v_add_f64 v[66:67], v[62:63], v[70:71]
	ds_read_b128 v[62:65], v44 offset:1904
	s_waitcnt vmcnt(40) lgkmcnt(2)
	v_mul_f64 v[68:69], v[58:59], v[26:27]
	v_fma_f64 v[4:5], v[40:41], v[20:21], -v[4:5]
	s_waitcnt vmcnt(38)
	v_fmac_f64_e32 v[68:69], v[60:61], v[28:29]
	v_add_f64 v[70:71], v[66:67], v[68:69]
	ds_read_b128 v[66:69], v44 offset:1920
	s_waitcnt vmcnt(37) lgkmcnt(1)
	v_mul_f64 v[72:73], v[62:63], v[22:23]
	s_waitcnt vmcnt(36)
	v_fmac_f64_e32 v[72:73], v[64:65], v[24:25]
	v_add_f64 v[74:75], v[70:71], v[72:73]
	ds_read_b128 v[70:73], v44 offset:1936
	s_waitcnt vmcnt(32) lgkmcnt(1)
	v_mul_f64 v[76:77], v[66:67], v[0:1]
	v_add_f64 v[2:3], v[2:3], v[4:5]
	v_mul_f64 v[4:5], v[48:49], v[8:9]
	s_waitcnt vmcnt(30)
	v_fmac_f64_e32 v[76:77], v[68:69], v[34:35]
	v_fma_f64 v[4:5], v[46:47], v[18:19], -v[4:5]
	v_add_f64 v[78:79], v[74:75], v[76:77]
	ds_read_b128 v[74:77], v44 offset:1952
	v_add_f64 v[2:3], v[2:3], v[4:5]
	v_mul_f64 v[4:5], v[52:53], v[14:15]
	v_fma_f64 v[4:5], v[50:51], v[16:17], -v[4:5]
	v_add_f64 v[2:3], v[2:3], v[4:5]
	v_mul_f64 v[4:5], v[56:57], v[10:11]
	s_waitcnt vmcnt(29) lgkmcnt(1)
	v_mul_f64 v[80:81], v[70:71], v[30:31]
	v_fma_f64 v[4:5], v[54:55], v[12:13], -v[4:5]
	s_waitcnt vmcnt(28)
	v_fmac_f64_e32 v[80:81], v[72:73], v[32:33]
	v_add_f64 v[2:3], v[2:3], v[4:5]
	v_mul_f64 v[4:5], v[60:61], v[26:27]
	v_add_f64 v[82:83], v[78:79], v[80:81]
	ds_read_b128 v[78:81], v44 offset:1968
	s_waitcnt vmcnt(24) lgkmcnt(1)
	v_mul_f64 v[84:85], v[74:75], v[102:103]
	v_fma_f64 v[4:5], v[58:59], v[28:29], -v[4:5]
	s_waitcnt vmcnt(22)
	v_fmac_f64_e32 v[84:85], v[76:77], v[104:105]
	v_add_f64 v[2:3], v[2:3], v[4:5]
	v_mul_f64 v[4:5], v[64:65], v[22:23]
	v_add_f64 v[86:87], v[82:83], v[84:85]
	ds_read_b128 v[82:85], v44 offset:1984
	v_fma_f64 v[4:5], v[62:63], v[24:25], -v[4:5]
	v_mul_f64 v[0:1], v[68:69], v[0:1]
	v_add_f64 v[2:3], v[2:3], v[4:5]
	v_fma_f64 v[0:1], v[66:67], v[34:35], -v[0:1]
	v_add_f64 v[0:1], v[2:3], v[0:1]
	v_mul_f64 v[2:3], v[72:73], v[30:31]
	s_waitcnt vmcnt(21) lgkmcnt(1)
	v_mul_f64 v[88:89], v[78:79], v[98:99]
	v_fma_f64 v[2:3], v[70:71], v[32:33], -v[2:3]
	s_waitcnt vmcnt(20)
	v_fmac_f64_e32 v[88:89], v[80:81], v[100:101]
	v_add_f64 v[0:1], v[0:1], v[2:3]
	v_mul_f64 v[2:3], v[76:77], v[102:103]
	v_add_f64 v[90:91], v[86:87], v[88:89]
	ds_read_b128 v[86:89], v44 offset:2000
	s_waitcnt vmcnt(16) lgkmcnt(1)
	v_mul_f64 v[92:93], v[82:83], v[110:111]
	v_fma_f64 v[2:3], v[74:75], v[104:105], -v[2:3]
	s_waitcnt vmcnt(14)
	v_fmac_f64_e32 v[92:93], v[84:85], v[112:113]
	v_add_f64 v[0:1], v[0:1], v[2:3]
	v_mul_f64 v[2:3], v[80:81], v[98:99]
	v_add_f64 v[126:127], v[90:91], v[92:93]
	ds_read_b128 v[90:93], v44 offset:2016
	v_fma_f64 v[2:3], v[78:79], v[100:101], -v[2:3]
	v_add_f64 v[0:1], v[0:1], v[2:3]
	v_mul_f64 v[2:3], v[84:85], v[110:111]
	v_fma_f64 v[2:3], v[82:83], v[112:113], -v[2:3]
	v_add_f64 v[0:1], v[0:1], v[2:3]
	s_waitcnt vmcnt(13) lgkmcnt(1)
	v_mul_f64 v[2:3], v[88:89], v[106:107]
	v_mul_f64 v[128:129], v[86:87], v[106:107]
	s_waitcnt vmcnt(12)
	v_fma_f64 v[2:3], v[86:87], v[108:109], -v[2:3]
	v_fmac_f64_e32 v[128:129], v[88:89], v[108:109]
	v_add_f64 v[0:1], v[0:1], v[2:3]
	s_waitcnt vmcnt(8) lgkmcnt(0)
	v_mul_f64 v[2:3], v[92:93], v[118:119]
	v_add_f64 v[126:127], v[126:127], v[128:129]
	v_mul_f64 v[128:129], v[90:91], v[118:119]
	s_waitcnt vmcnt(6)
	v_fma_f64 v[2:3], v[90:91], v[120:121], -v[2:3]
	v_fmac_f64_e32 v[128:129], v[92:93], v[120:121]
	v_add_f64 v[0:1], v[0:1], v[2:3]
	s_waitcnt vmcnt(5)
	v_mul_f64 v[2:3], v[96:97], v[114:115]
	v_add_f64 v[126:127], v[126:127], v[128:129]
	v_mul_f64 v[128:129], v[94:95], v[114:115]
	s_waitcnt vmcnt(4)
	v_fma_f64 v[2:3], v[94:95], v[116:117], -v[2:3]
	v_fmac_f64_e32 v[128:129], v[96:97], v[116:117]
	v_add_f64 v[0:1], v[0:1], v[2:3]
	v_add_f64 v[126:127], v[126:127], v[128:129]
	s_waitcnt vmcnt(2)
	v_add_f64 v[0:1], v[122:123], -v[0:1]
	s_waitcnt vmcnt(0)
	v_add_f64 v[2:3], v[124:125], -v[126:127]
	buffer_store_dword v1, off, s[0:3], 0 offset:788
	buffer_store_dword v0, off, s[0:3], 0 offset:784
	;; [unrolled: 1-line block ×4, first 2 shown]
	s_and_saveexec_b64 s[4:5], vcc
	s_cbranch_execz .LBB127_315
; %bb.314:
	v_accvgpr_read_b32 v3, a144
	buffer_load_dword v0, v3, s[0:3], 0 offen
	buffer_load_dword v1, v3, s[0:3], 0 offen offset:4
	buffer_load_dword v2, v3, s[0:3], 0 offen offset:8
	s_nop 0
	buffer_load_dword v3, v3, s[0:3], 0 offen offset:12
	v_accvgpr_read_b32 v4, a192
	buffer_store_dword v44, off, s[0:3], 0 offset:768
	buffer_store_dword v44, off, s[0:3], 0 offset:772
	;; [unrolled: 1-line block ×4, first 2 shown]
	s_waitcnt vmcnt(4)
	ds_write_b128 v4, v[0:3]
.LBB127_315:
	s_or_b64 exec, exec, s[4:5]
	s_waitcnt lgkmcnt(0)
	; wave barrier
	s_waitcnt lgkmcnt(0)
	buffer_load_dword v2, off, s[0:3], 0 offset:784
	buffer_load_dword v3, off, s[0:3], 0 offset:788
	;; [unrolled: 1-line block ×64, first 2 shown]
	ds_read_b128 v[46:49], v44 offset:1792
	ds_read_b128 v[50:53], v44 offset:1808
	;; [unrolled: 1-line block ×4, first 2 shown]
	buffer_load_dword v130, off, s[0:3], 0 offset:768
	buffer_load_dword v131, off, s[0:3], 0 offset:772
	;; [unrolled: 1-line block ×4, first 2 shown]
	v_cmp_lt_u32_e32 vcc, 46, v254
	ds_read_b128 v[106:109], v44 offset:2032
	s_waitcnt vmcnt(62) lgkmcnt(4)
	v_mul_f64 v[62:63], v[46:47], v[4:5]
	v_fmac_f64_e32 v[62:63], v[48:49], v[2:3]
	v_add_f64 v[62:63], v[62:63], 0
	s_waitcnt lgkmcnt(2)
	v_mul_f64 v[66:67], v[54:55], v[6:7]
	v_mul_f64 v[4:5], v[48:49], v[4:5]
	v_fma_f64 v[2:3], v[46:47], v[2:3], -v[4:5]
	s_waitcnt vmcnt(58) lgkmcnt(1)
	v_mul_f64 v[68:69], v[58:59], v[12:13]
	v_add_f64 v[2:3], v[2:3], 0
	s_waitcnt vmcnt(56)
	v_mul_f64 v[64:65], v[50:51], v[18:19]
	v_mul_f64 v[4:5], v[52:53], v[18:19]
	s_waitcnt vmcnt(53)
	v_fmac_f64_e32 v[66:67], v[56:57], v[16:17]
	s_waitcnt vmcnt(52)
	v_fmac_f64_e32 v[64:65], v[52:53], v[20:21]
	v_add_f64 v[70:71], v[62:63], v[64:65]
	ds_read_b128 v[62:65], v44 offset:1856
	v_add_f64 v[66:67], v[70:71], v[66:67]
	s_waitcnt vmcnt(50)
	v_fmac_f64_e32 v[68:69], v[60:61], v[14:15]
	v_add_f64 v[70:71], v[66:67], v[68:69]
	ds_read_b128 v[66:69], v44 offset:1872
	s_waitcnt vmcnt(49) lgkmcnt(1)
	v_mul_f64 v[72:73], v[62:63], v[8:9]
	s_waitcnt vmcnt(48)
	v_fmac_f64_e32 v[72:73], v[64:65], v[10:11]
	v_add_f64 v[74:75], v[70:71], v[72:73]
	ds_read_b128 v[70:73], v44 offset:1888
	s_waitcnt vmcnt(44) lgkmcnt(1)
	v_mul_f64 v[76:77], v[66:67], v[26:27]
	;; [unrolled: 6-line block ×3, first 2 shown]
	s_waitcnt vmcnt(40)
	v_fmac_f64_e32 v[80:81], v[72:73], v[24:25]
	v_add_f64 v[82:83], v[78:79], v[80:81]
	ds_read_b128 v[78:81], v44 offset:1920
	v_fma_f64 v[4:5], v[50:51], v[20:21], -v[4:5]
	s_waitcnt vmcnt(36) lgkmcnt(1)
	v_mul_f64 v[84:85], v[74:75], v[34:35]
	v_add_f64 v[2:3], v[2:3], v[4:5]
	v_mul_f64 v[4:5], v[56:57], v[6:7]
	s_waitcnt vmcnt(34)
	v_fmac_f64_e32 v[84:85], v[76:77], v[36:37]
	v_fma_f64 v[4:5], v[54:55], v[16:17], -v[4:5]
	v_add_f64 v[86:87], v[82:83], v[84:85]
	ds_read_b128 v[82:85], v44 offset:1936
	s_waitcnt vmcnt(33) lgkmcnt(1)
	v_mul_f64 v[88:89], v[78:79], v[30:31]
	v_add_f64 v[2:3], v[2:3], v[4:5]
	v_mul_f64 v[4:5], v[60:61], v[12:13]
	s_waitcnt vmcnt(32)
	v_fmac_f64_e32 v[88:89], v[80:81], v[32:33]
	v_fma_f64 v[4:5], v[58:59], v[14:15], -v[4:5]
	v_add_f64 v[90:91], v[86:87], v[88:89]
	ds_read_b128 v[86:89], v44 offset:1952
	v_add_f64 v[2:3], v[2:3], v[4:5]
	v_mul_f64 v[4:5], v[64:65], v[8:9]
	v_fma_f64 v[4:5], v[62:63], v[10:11], -v[4:5]
	v_add_f64 v[2:3], v[2:3], v[4:5]
	v_mul_f64 v[4:5], v[68:69], v[26:27]
	s_waitcnt vmcnt(28) lgkmcnt(1)
	v_mul_f64 v[92:93], v[82:83], v[40:41]
	v_fma_f64 v[4:5], v[66:67], v[28:29], -v[4:5]
	s_waitcnt vmcnt(26)
	v_fmac_f64_e32 v[92:93], v[84:85], v[42:43]
	v_add_f64 v[2:3], v[2:3], v[4:5]
	v_mul_f64 v[4:5], v[72:73], v[22:23]
	v_add_f64 v[94:95], v[90:91], v[92:93]
	ds_read_b128 v[90:93], v44 offset:1968
	s_waitcnt vmcnt(25) lgkmcnt(1)
	v_mul_f64 v[96:97], v[86:87], v[0:1]
	v_fma_f64 v[4:5], v[70:71], v[24:25], -v[4:5]
	s_waitcnt vmcnt(24)
	v_fmac_f64_e32 v[96:97], v[88:89], v[38:39]
	v_add_f64 v[2:3], v[2:3], v[4:5]
	v_mul_f64 v[4:5], v[76:77], v[34:35]
	v_add_f64 v[98:99], v[94:95], v[96:97]
	ds_read_b128 v[94:97], v44 offset:1984
	v_fma_f64 v[4:5], v[74:75], v[36:37], -v[4:5]
	v_add_f64 v[2:3], v[2:3], v[4:5]
	v_mul_f64 v[4:5], v[80:81], v[30:31]
	v_fma_f64 v[4:5], v[78:79], v[32:33], -v[4:5]
	s_waitcnt vmcnt(20) lgkmcnt(1)
	v_mul_f64 v[100:101], v[90:91], v[114:115]
	v_add_f64 v[2:3], v[2:3], v[4:5]
	v_mul_f64 v[4:5], v[84:85], v[40:41]
	s_waitcnt vmcnt(18)
	v_fmac_f64_e32 v[100:101], v[92:93], v[116:117]
	v_fma_f64 v[4:5], v[82:83], v[42:43], -v[4:5]
	v_mul_f64 v[0:1], v[88:89], v[0:1]
	v_add_f64 v[102:103], v[98:99], v[100:101]
	ds_read_b128 v[98:101], v44 offset:2000
	s_waitcnt vmcnt(17) lgkmcnt(1)
	v_mul_f64 v[104:105], v[94:95], v[110:111]
	v_add_f64 v[2:3], v[2:3], v[4:5]
	v_fma_f64 v[0:1], v[86:87], v[38:39], -v[0:1]
	s_waitcnt vmcnt(16)
	v_fmac_f64_e32 v[104:105], v[96:97], v[112:113]
	v_add_f64 v[0:1], v[2:3], v[0:1]
	v_mul_f64 v[2:3], v[92:93], v[114:115]
	v_add_f64 v[134:135], v[102:103], v[104:105]
	ds_read_b128 v[102:105], v44 offset:2016
	v_fma_f64 v[2:3], v[90:91], v[116:117], -v[2:3]
	v_add_f64 v[0:1], v[0:1], v[2:3]
	v_mul_f64 v[2:3], v[96:97], v[110:111]
	v_fma_f64 v[2:3], v[94:95], v[112:113], -v[2:3]
	v_add_f64 v[0:1], v[0:1], v[2:3]
	s_waitcnt vmcnt(12) lgkmcnt(1)
	v_mul_f64 v[2:3], v[100:101], v[122:123]
	v_mul_f64 v[136:137], v[98:99], v[122:123]
	s_waitcnt vmcnt(10)
	v_fma_f64 v[2:3], v[98:99], v[124:125], -v[2:3]
	v_fmac_f64_e32 v[136:137], v[100:101], v[124:125]
	v_add_f64 v[0:1], v[0:1], v[2:3]
	s_waitcnt vmcnt(9) lgkmcnt(0)
	v_mul_f64 v[2:3], v[104:105], v[118:119]
	v_add_f64 v[44:45], v[134:135], v[136:137]
	v_mul_f64 v[134:135], v[102:103], v[118:119]
	s_waitcnt vmcnt(8)
	v_fma_f64 v[2:3], v[102:103], v[120:121], -v[2:3]
	v_fmac_f64_e32 v[134:135], v[104:105], v[120:121]
	v_add_f64 v[0:1], v[0:1], v[2:3]
	s_waitcnt vmcnt(6)
	v_mul_f64 v[2:3], v[108:109], v[126:127]
	v_add_f64 v[44:45], v[44:45], v[134:135]
	v_mul_f64 v[134:135], v[106:107], v[126:127]
	s_waitcnt vmcnt(4)
	v_fma_f64 v[2:3], v[106:107], v[128:129], -v[2:3]
	v_fmac_f64_e32 v[134:135], v[108:109], v[128:129]
	v_add_f64 v[0:1], v[0:1], v[2:3]
	v_add_f64 v[44:45], v[44:45], v[134:135]
	s_waitcnt vmcnt(2)
	v_add_f64 v[0:1], v[130:131], -v[0:1]
	s_waitcnt vmcnt(0)
	v_add_f64 v[2:3], v[132:133], -v[44:45]
	buffer_store_dword v1, off, s[0:3], 0 offset:772
	buffer_store_dword v0, off, s[0:3], 0 offset:768
	;; [unrolled: 1-line block ×4, first 2 shown]
	s_and_saveexec_b64 s[4:5], vcc
	s_cbranch_execz .LBB127_317
; %bb.316:
	v_accvgpr_read_b32 v3, a145
	buffer_load_dword v0, v3, s[0:3], 0 offen
	buffer_load_dword v1, v3, s[0:3], 0 offen offset:4
	buffer_load_dword v2, v3, s[0:3], 0 offen offset:8
	s_nop 0
	buffer_load_dword v3, v3, s[0:3], 0 offen offset:12
	v_mov_b32_e32 v4, 0
	v_accvgpr_read_b32 v5, a192
	buffer_store_dword v4, off, s[0:3], 0 offset:752
	buffer_store_dword v4, off, s[0:3], 0 offset:756
	;; [unrolled: 1-line block ×4, first 2 shown]
	s_waitcnt vmcnt(4)
	ds_write_b128 v5, v[0:3]
.LBB127_317:
	s_or_b64 exec, exec, s[4:5]
	s_waitcnt lgkmcnt(0)
	; wave barrier
	s_waitcnt lgkmcnt(0)
	buffer_load_dword v2, off, s[0:3], 0 offset:768
	buffer_load_dword v3, off, s[0:3], 0 offset:772
	;; [unrolled: 1-line block ×68, first 2 shown]
	v_mov_b32_e32 v50, 0
	buffer_load_dword v138, off, s[0:3], 0 offset:752
	buffer_load_dword v139, off, s[0:3], 0 offset:756
	;; [unrolled: 1-line block ×3, first 2 shown]
	ds_read_b128 v[46:49], v50 offset:1776
	ds_read_b128 v[52:55], v50 offset:1792
	buffer_load_dword v141, off, s[0:3], 0 offset:764
	ds_read_b128 v[56:59], v50 offset:1808
	ds_read_b128 v[60:63], v50 offset:1824
	;; [unrolled: 1-line block ×3, first 2 shown]
	v_cmp_lt_u32_e32 vcc, 45, v254
	s_waitcnt vmcnt(62) lgkmcnt(4)
	v_mul_f64 v[64:65], v[46:47], v[6:7]
	v_fmac_f64_e32 v[64:65], v[48:49], v[2:3]
	v_add_f64 v[64:65], v[64:65], 0
	v_mul_f64 v[6:7], v[48:49], v[6:7]
	s_waitcnt lgkmcnt(3)
	v_mul_f64 v[66:67], v[52:53], v[10:11]
	v_fmac_f64_e32 v[66:67], v[54:55], v[4:5]
	v_add_f64 v[64:65], v[64:65], v[66:67]
	v_fma_f64 v[2:3], v[46:47], v[2:3], -v[6:7]
	s_waitcnt vmcnt(60) lgkmcnt(2)
	v_mul_f64 v[66:67], v[56:57], v[12:13]
	v_fmac_f64_e32 v[66:67], v[58:59], v[8:9]
	v_add_f64 v[68:69], v[64:65], v[66:67]
	ds_read_b128 v[64:67], v50 offset:1840
	s_waitcnt vmcnt(56) lgkmcnt(2)
	v_mul_f64 v[70:71], v[60:61], v[18:19]
	v_mul_f64 v[6:7], v[54:55], v[10:11]
	s_waitcnt vmcnt(54)
	v_fmac_f64_e32 v[70:71], v[62:63], v[20:21]
	v_add_f64 v[72:73], v[68:69], v[70:71]
	ds_read_b128 v[68:71], v50 offset:1856
	s_waitcnt vmcnt(53) lgkmcnt(1)
	v_mul_f64 v[74:75], v[64:65], v[14:15]
	s_waitcnt vmcnt(52)
	v_fmac_f64_e32 v[74:75], v[66:67], v[16:17]
	v_add_f64 v[76:77], v[72:73], v[74:75]
	ds_read_b128 v[72:75], v50 offset:1872
	s_waitcnt vmcnt(48) lgkmcnt(1)
	;; [unrolled: 6-line block ×4, first 2 shown]
	v_mul_f64 v[86:87], v[76:77], v[34:35]
	s_waitcnt vmcnt(38)
	v_fmac_f64_e32 v[86:87], v[78:79], v[36:37]
	v_add_f64 v[88:89], v[84:85], v[86:87]
	ds_read_b128 v[84:87], v50 offset:1920
	v_add_f64 v[2:3], v[2:3], 0
	v_fma_f64 v[4:5], v[52:53], v[4:5], -v[6:7]
	v_add_f64 v[2:3], v[2:3], v[4:5]
	v_mul_f64 v[4:5], v[58:59], v[12:13]
	v_fma_f64 v[4:5], v[56:57], v[8:9], -v[4:5]
	s_waitcnt vmcnt(37) lgkmcnt(1)
	v_mul_f64 v[90:91], v[80:81], v[30:31]
	v_add_f64 v[2:3], v[2:3], v[4:5]
	v_mul_f64 v[4:5], v[62:63], v[18:19]
	s_waitcnt vmcnt(36)
	v_fmac_f64_e32 v[90:91], v[82:83], v[32:33]
	v_fma_f64 v[4:5], v[60:61], v[20:21], -v[4:5]
	v_add_f64 v[92:93], v[88:89], v[90:91]
	ds_read_b128 v[88:91], v50 offset:1936
	s_waitcnt vmcnt(32) lgkmcnt(1)
	v_mul_f64 v[94:95], v[84:85], v[42:43]
	v_add_f64 v[2:3], v[2:3], v[4:5]
	v_mul_f64 v[4:5], v[66:67], v[14:15]
	s_waitcnt vmcnt(30)
	v_fmac_f64_e32 v[94:95], v[86:87], v[44:45]
	v_fma_f64 v[4:5], v[64:65], v[16:17], -v[4:5]
	v_add_f64 v[96:97], v[92:93], v[94:95]
	ds_read_b128 v[92:95], v50 offset:1952
	v_add_f64 v[2:3], v[2:3], v[4:5]
	v_mul_f64 v[4:5], v[70:71], v[26:27]
	v_fma_f64 v[4:5], v[68:69], v[28:29], -v[4:5]
	v_add_f64 v[2:3], v[2:3], v[4:5]
	v_mul_f64 v[4:5], v[74:75], v[22:23]
	s_waitcnt vmcnt(29) lgkmcnt(1)
	v_mul_f64 v[98:99], v[88:89], v[38:39]
	v_fma_f64 v[4:5], v[72:73], v[24:25], -v[4:5]
	s_waitcnt vmcnt(28)
	v_fmac_f64_e32 v[98:99], v[90:91], v[40:41]
	v_add_f64 v[2:3], v[2:3], v[4:5]
	v_mul_f64 v[4:5], v[78:79], v[34:35]
	v_add_f64 v[100:101], v[96:97], v[98:99]
	ds_read_b128 v[96:99], v50 offset:1968
	s_waitcnt vmcnt(24) lgkmcnt(1)
	v_mul_f64 v[102:103], v[92:93], v[118:119]
	v_fma_f64 v[4:5], v[76:77], v[36:37], -v[4:5]
	s_waitcnt vmcnt(22)
	v_fmac_f64_e32 v[102:103], v[94:95], v[120:121]
	v_add_f64 v[2:3], v[2:3], v[4:5]
	v_mul_f64 v[4:5], v[82:83], v[30:31]
	v_add_f64 v[104:105], v[100:101], v[102:103]
	ds_read_b128 v[100:103], v50 offset:1984
	v_fma_f64 v[4:5], v[80:81], v[32:33], -v[4:5]
	v_add_f64 v[2:3], v[2:3], v[4:5]
	v_mul_f64 v[4:5], v[86:87], v[42:43]
	v_fma_f64 v[4:5], v[84:85], v[44:45], -v[4:5]
	s_waitcnt vmcnt(21) lgkmcnt(1)
	v_mul_f64 v[106:107], v[96:97], v[0:1]
	v_add_f64 v[2:3], v[2:3], v[4:5]
	v_mul_f64 v[4:5], v[90:91], v[38:39]
	s_waitcnt vmcnt(20)
	v_fmac_f64_e32 v[106:107], v[98:99], v[116:117]
	v_fma_f64 v[4:5], v[88:89], v[40:41], -v[4:5]
	v_add_f64 v[108:109], v[104:105], v[106:107]
	ds_read_b128 v[104:107], v50 offset:2000
	s_waitcnt vmcnt(16) lgkmcnt(1)
	v_mul_f64 v[110:111], v[100:101], v[126:127]
	v_add_f64 v[2:3], v[2:3], v[4:5]
	v_mul_f64 v[4:5], v[94:95], v[118:119]
	s_waitcnt vmcnt(14)
	v_fmac_f64_e32 v[110:111], v[102:103], v[128:129]
	v_fma_f64 v[4:5], v[92:93], v[120:121], -v[4:5]
	v_mul_f64 v[0:1], v[98:99], v[0:1]
	v_add_f64 v[142:143], v[108:109], v[110:111]
	ds_read_b128 v[108:111], v50 offset:2016
	v_add_f64 v[2:3], v[2:3], v[4:5]
	v_fma_f64 v[0:1], v[96:97], v[116:117], -v[0:1]
	v_add_f64 v[0:1], v[2:3], v[0:1]
	v_mul_f64 v[2:3], v[102:103], v[126:127]
	v_fma_f64 v[2:3], v[100:101], v[128:129], -v[2:3]
	v_add_f64 v[0:1], v[0:1], v[2:3]
	s_waitcnt vmcnt(13) lgkmcnt(1)
	v_mul_f64 v[2:3], v[106:107], v[122:123]
	v_mul_f64 v[144:145], v[104:105], v[122:123]
	s_waitcnt vmcnt(12)
	v_fma_f64 v[2:3], v[104:105], v[124:125], -v[2:3]
	v_fmac_f64_e32 v[144:145], v[106:107], v[124:125]
	v_add_f64 v[0:1], v[0:1], v[2:3]
	s_waitcnt vmcnt(8) lgkmcnt(0)
	v_mul_f64 v[2:3], v[110:111], v[134:135]
	v_add_f64 v[142:143], v[142:143], v[144:145]
	v_mul_f64 v[144:145], v[108:109], v[134:135]
	s_waitcnt vmcnt(6)
	v_fma_f64 v[2:3], v[108:109], v[136:137], -v[2:3]
	v_fmac_f64_e32 v[144:145], v[110:111], v[136:137]
	v_add_f64 v[0:1], v[0:1], v[2:3]
	s_waitcnt vmcnt(5)
	v_mul_f64 v[2:3], v[114:115], v[130:131]
	v_add_f64 v[142:143], v[142:143], v[144:145]
	v_mul_f64 v[144:145], v[112:113], v[130:131]
	s_waitcnt vmcnt(4)
	v_fma_f64 v[2:3], v[112:113], v[132:133], -v[2:3]
	v_fmac_f64_e32 v[144:145], v[114:115], v[132:133]
	v_add_f64 v[0:1], v[0:1], v[2:3]
	v_add_f64 v[142:143], v[142:143], v[144:145]
	s_waitcnt vmcnt(2)
	v_add_f64 v[0:1], v[138:139], -v[0:1]
	s_waitcnt vmcnt(0)
	v_add_f64 v[2:3], v[140:141], -v[142:143]
	buffer_store_dword v1, off, s[0:3], 0 offset:756
	buffer_store_dword v0, off, s[0:3], 0 offset:752
	;; [unrolled: 1-line block ×4, first 2 shown]
	s_and_saveexec_b64 s[4:5], vcc
	s_cbranch_execz .LBB127_319
; %bb.318:
	v_accvgpr_read_b32 v3, a146
	buffer_load_dword v0, v3, s[0:3], 0 offen
	buffer_load_dword v1, v3, s[0:3], 0 offen offset:4
	buffer_load_dword v2, v3, s[0:3], 0 offen offset:8
	s_nop 0
	buffer_load_dword v3, v3, s[0:3], 0 offen offset:12
	v_accvgpr_read_b32 v4, a192
	buffer_store_dword v50, off, s[0:3], 0 offset:736
	buffer_store_dword v50, off, s[0:3], 0 offset:740
	buffer_store_dword v50, off, s[0:3], 0 offset:744
	buffer_store_dword v50, off, s[0:3], 0 offset:748
	s_waitcnt vmcnt(4)
	ds_write_b128 v4, v[0:3]
.LBB127_319:
	s_or_b64 exec, exec, s[4:5]
	s_waitcnt lgkmcnt(0)
	; wave barrier
	s_waitcnt lgkmcnt(0)
	buffer_load_dword v2, off, s[0:3], 0 offset:752
	buffer_load_dword v3, off, s[0:3], 0 offset:756
	buffer_load_dword v8, off, s[0:3], 0 offset:760
	buffer_load_dword v9, off, s[0:3], 0 offset:764
	buffer_load_dword v4, off, s[0:3], 0 offset:768
	buffer_load_dword v5, off, s[0:3], 0 offset:772
	buffer_load_dword v10, off, s[0:3], 0 offset:776
	buffer_load_dword v11, off, s[0:3], 0 offset:780
	buffer_load_dword v6, off, s[0:3], 0 offset:784
	buffer_load_dword v7, off, s[0:3], 0 offset:788
	buffer_load_dword v12, off, s[0:3], 0 offset:792
	buffer_load_dword v13, off, s[0:3], 0 offset:796
	buffer_load_dword v15, off, s[0:3], 0 offset:828
	buffer_load_dword v17, off, s[0:3], 0 offset:820
	buffer_load_dword v19, off, s[0:3], 0 offset:812
	buffer_load_dword v18, off, s[0:3], 0 offset:808
	buffer_load_dword v21, off, s[0:3], 0 offset:804
	buffer_load_dword v20, off, s[0:3], 0 offset:800
	buffer_load_dword v14, off, s[0:3], 0 offset:824
	buffer_load_dword v16, off, s[0:3], 0 offset:816
	buffer_load_dword v23, off, s[0:3], 0 offset:860
	buffer_load_dword v25, off, s[0:3], 0 offset:852
	buffer_load_dword v27, off, s[0:3], 0 offset:844
	buffer_load_dword v26, off, s[0:3], 0 offset:840
	buffer_load_dword v29, off, s[0:3], 0 offset:836
	buffer_load_dword v28, off, s[0:3], 0 offset:832
	buffer_load_dword v22, off, s[0:3], 0 offset:856
	buffer_load_dword v24, off, s[0:3], 0 offset:848
	buffer_load_dword v31, off, s[0:3], 0 offset:892
	buffer_load_dword v33, off, s[0:3], 0 offset:884
	buffer_load_dword v35, off, s[0:3], 0 offset:876
	buffer_load_dword v34, off, s[0:3], 0 offset:872
	buffer_load_dword v37, off, s[0:3], 0 offset:868
	buffer_load_dword v36, off, s[0:3], 0 offset:864
	buffer_load_dword v30, off, s[0:3], 0 offset:888
	buffer_load_dword v32, off, s[0:3], 0 offset:880
	buffer_load_dword v39, off, s[0:3], 0 offset:924
	buffer_load_dword v41, off, s[0:3], 0 offset:916
	buffer_load_dword v43, off, s[0:3], 0 offset:908
	buffer_load_dword v42, off, s[0:3], 0 offset:904
	buffer_load_dword v45, off, s[0:3], 0 offset:900
	buffer_load_dword v44, off, s[0:3], 0 offset:896
	buffer_load_dword v38, off, s[0:3], 0 offset:920
	buffer_load_dword v40, off, s[0:3], 0 offset:912
	buffer_load_dword v1, off, s[0:3], 0 offset:956
	buffer_load_dword v47, off, s[0:3], 0 offset:948
	buffer_load_dword v49, off, s[0:3], 0 offset:940
	buffer_load_dword v48, off, s[0:3], 0 offset:936
	buffer_load_dword v125, off, s[0:3], 0 offset:932
	buffer_load_dword v124, off, s[0:3], 0 offset:928
	buffer_load_dword v0, off, s[0:3], 0 offset:952
	buffer_load_dword v46, off, s[0:3], 0 offset:944
	buffer_load_dword v127, off, s[0:3], 0 offset:988
	buffer_load_dword v129, off, s[0:3], 0 offset:980
	buffer_load_dword v131, off, s[0:3], 0 offset:972
	buffer_load_dword v130, off, s[0:3], 0 offset:968
	buffer_load_dword v133, off, s[0:3], 0 offset:964
	buffer_load_dword v132, off, s[0:3], 0 offset:960
	buffer_load_dword v126, off, s[0:3], 0 offset:984
	buffer_load_dword v128, off, s[0:3], 0 offset:976
	buffer_load_dword v135, off, s[0:3], 0 offset:1020
	buffer_load_dword v137, off, s[0:3], 0 offset:1012
	buffer_load_dword v139, off, s[0:3], 0 offset:1004
	buffer_load_dword v138, off, s[0:3], 0 offset:1000
	buffer_load_dword v141, off, s[0:3], 0 offset:996
	buffer_load_dword v140, off, s[0:3], 0 offset:992
	buffer_load_dword v134, off, s[0:3], 0 offset:1016
	buffer_load_dword v136, off, s[0:3], 0 offset:1008
	buffer_load_dword v143, off, s[0:3], 0 offset:1036
	buffer_load_dword v142, off, s[0:3], 0 offset:1032
	buffer_load_dword v145, off, s[0:3], 0 offset:1028
	buffer_load_dword v144, off, s[0:3], 0 offset:1024
	ds_read_b128 v[52:55], v50 offset:1760
	buffer_load_dword v146, off, s[0:3], 0 offset:736
	buffer_load_dword v147, off, s[0:3], 0 offset:740
	buffer_load_dword v148, off, s[0:3], 0 offset:744
	buffer_load_dword v149, off, s[0:3], 0 offset:748
	ds_read_b128 v[56:59], v50 offset:1776
	ds_read_b128 v[60:63], v50 offset:1792
	;; [unrolled: 1-line block ×3, first 2 shown]
	v_cmp_lt_u32_e32 vcc, 44, v254
	ds_read_b128 v[120:123], v50 offset:2032
	s_waitcnt vmcnt(62) lgkmcnt(4)
	v_mul_f64 v[68:69], v[52:53], v[8:9]
	v_fmac_f64_e32 v[68:69], v[54:55], v[2:3]
	v_add_f64 v[68:69], v[68:69], 0
	v_mul_f64 v[8:9], v[54:55], v[8:9]
	s_waitcnt lgkmcnt(3)
	v_mul_f64 v[70:71], v[56:57], v[10:11]
	v_fmac_f64_e32 v[70:71], v[58:59], v[4:5]
	v_add_f64 v[68:69], v[68:69], v[70:71]
	v_fma_f64 v[2:3], v[52:53], v[2:3], -v[8:9]
	s_waitcnt lgkmcnt(2)
	v_mul_f64 v[70:71], v[60:61], v[12:13]
	v_fmac_f64_e32 v[70:71], v[62:63], v[6:7]
	v_add_f64 v[72:73], v[68:69], v[70:71]
	ds_read_b128 v[68:71], v50 offset:1824
	s_waitcnt vmcnt(60) lgkmcnt(2)
	v_mul_f64 v[74:75], v[64:65], v[18:19]
	v_mul_f64 v[8:9], v[58:59], v[10:11]
	s_waitcnt vmcnt(58)
	v_fmac_f64_e32 v[74:75], v[66:67], v[20:21]
	v_add_f64 v[76:77], v[72:73], v[74:75]
	ds_read_b128 v[72:75], v50 offset:1840
	s_waitcnt vmcnt(57) lgkmcnt(1)
	v_mul_f64 v[78:79], v[68:69], v[14:15]
	s_waitcnt vmcnt(56)
	v_fmac_f64_e32 v[78:79], v[70:71], v[16:17]
	v_add_f64 v[80:81], v[76:77], v[78:79]
	ds_read_b128 v[76:79], v50 offset:1856
	s_waitcnt vmcnt(52) lgkmcnt(1)
	;; [unrolled: 6-line block ×5, first 2 shown]
	v_mul_f64 v[94:95], v[84:85], v[30:31]
	v_add_f64 v[2:3], v[2:3], 0
	v_fma_f64 v[4:5], v[56:57], v[4:5], -v[8:9]
	s_waitcnt vmcnt(40)
	v_fmac_f64_e32 v[94:95], v[86:87], v[32:33]
	v_add_f64 v[2:3], v[2:3], v[4:5]
	v_mul_f64 v[4:5], v[62:63], v[12:13]
	v_add_f64 v[96:97], v[92:93], v[94:95]
	ds_read_b128 v[92:95], v50 offset:1920
	v_fma_f64 v[4:5], v[60:61], v[6:7], -v[4:5]
	v_add_f64 v[2:3], v[2:3], v[4:5]
	v_mul_f64 v[4:5], v[66:67], v[18:19]
	v_fma_f64 v[4:5], v[64:65], v[20:21], -v[4:5]
	s_waitcnt vmcnt(36) lgkmcnt(1)
	v_mul_f64 v[98:99], v[88:89], v[42:43]
	v_add_f64 v[2:3], v[2:3], v[4:5]
	v_mul_f64 v[4:5], v[70:71], v[14:15]
	s_waitcnt vmcnt(34)
	v_fmac_f64_e32 v[98:99], v[90:91], v[44:45]
	v_fma_f64 v[4:5], v[68:69], v[16:17], -v[4:5]
	v_add_f64 v[100:101], v[96:97], v[98:99]
	ds_read_b128 v[96:99], v50 offset:1936
	s_waitcnt vmcnt(33) lgkmcnt(1)
	v_mul_f64 v[102:103], v[92:93], v[38:39]
	v_add_f64 v[2:3], v[2:3], v[4:5]
	v_mul_f64 v[4:5], v[74:75], v[26:27]
	s_waitcnt vmcnt(32)
	v_fmac_f64_e32 v[102:103], v[94:95], v[40:41]
	v_fma_f64 v[4:5], v[72:73], v[28:29], -v[4:5]
	v_add_f64 v[104:105], v[100:101], v[102:103]
	ds_read_b128 v[100:103], v50 offset:1952
	v_add_f64 v[2:3], v[2:3], v[4:5]
	v_mul_f64 v[4:5], v[78:79], v[22:23]
	v_fma_f64 v[4:5], v[76:77], v[24:25], -v[4:5]
	v_add_f64 v[2:3], v[2:3], v[4:5]
	v_mul_f64 v[4:5], v[82:83], v[34:35]
	s_waitcnt vmcnt(28) lgkmcnt(1)
	v_mul_f64 v[106:107], v[96:97], v[48:49]
	v_fma_f64 v[4:5], v[80:81], v[36:37], -v[4:5]
	s_waitcnt vmcnt(26)
	v_fmac_f64_e32 v[106:107], v[98:99], v[124:125]
	v_add_f64 v[2:3], v[2:3], v[4:5]
	v_mul_f64 v[4:5], v[86:87], v[30:31]
	v_add_f64 v[108:109], v[104:105], v[106:107]
	ds_read_b128 v[104:107], v50 offset:1968
	s_waitcnt vmcnt(25) lgkmcnt(1)
	v_mul_f64 v[110:111], v[100:101], v[0:1]
	v_fma_f64 v[4:5], v[84:85], v[32:33], -v[4:5]
	s_waitcnt vmcnt(24)
	v_fmac_f64_e32 v[110:111], v[102:103], v[46:47]
	v_add_f64 v[2:3], v[2:3], v[4:5]
	v_mul_f64 v[4:5], v[90:91], v[42:43]
	v_add_f64 v[112:113], v[108:109], v[110:111]
	ds_read_b128 v[108:111], v50 offset:1984
	v_fma_f64 v[4:5], v[88:89], v[44:45], -v[4:5]
	v_add_f64 v[2:3], v[2:3], v[4:5]
	v_mul_f64 v[4:5], v[94:95], v[38:39]
	v_fma_f64 v[4:5], v[92:93], v[40:41], -v[4:5]
	s_waitcnt vmcnt(20) lgkmcnt(1)
	v_mul_f64 v[114:115], v[104:105], v[130:131]
	v_add_f64 v[2:3], v[2:3], v[4:5]
	v_mul_f64 v[4:5], v[98:99], v[48:49]
	s_waitcnt vmcnt(18)
	v_fmac_f64_e32 v[114:115], v[106:107], v[132:133]
	v_fma_f64 v[4:5], v[96:97], v[124:125], -v[4:5]
	v_mul_f64 v[0:1], v[102:103], v[0:1]
	v_add_f64 v[116:117], v[112:113], v[114:115]
	ds_read_b128 v[112:115], v50 offset:2000
	s_waitcnt vmcnt(17) lgkmcnt(1)
	v_mul_f64 v[118:119], v[108:109], v[126:127]
	v_add_f64 v[2:3], v[2:3], v[4:5]
	v_fma_f64 v[0:1], v[100:101], v[46:47], -v[0:1]
	s_waitcnt vmcnt(16)
	v_fmac_f64_e32 v[118:119], v[110:111], v[128:129]
	v_add_f64 v[0:1], v[2:3], v[0:1]
	v_mul_f64 v[2:3], v[106:107], v[130:131]
	v_add_f64 v[150:151], v[116:117], v[118:119]
	ds_read_b128 v[116:119], v50 offset:2016
	v_fma_f64 v[2:3], v[104:105], v[132:133], -v[2:3]
	v_add_f64 v[0:1], v[0:1], v[2:3]
	v_mul_f64 v[2:3], v[110:111], v[126:127]
	v_fma_f64 v[2:3], v[108:109], v[128:129], -v[2:3]
	v_add_f64 v[0:1], v[0:1], v[2:3]
	s_waitcnt vmcnt(12) lgkmcnt(1)
	v_mul_f64 v[2:3], v[114:115], v[138:139]
	v_mul_f64 v[152:153], v[112:113], v[138:139]
	s_waitcnt vmcnt(10)
	v_fma_f64 v[2:3], v[112:113], v[140:141], -v[2:3]
	v_fmac_f64_e32 v[152:153], v[114:115], v[140:141]
	v_add_f64 v[0:1], v[0:1], v[2:3]
	s_waitcnt vmcnt(9) lgkmcnt(0)
	v_mul_f64 v[2:3], v[118:119], v[134:135]
	v_add_f64 v[50:51], v[150:151], v[152:153]
	v_mul_f64 v[150:151], v[116:117], v[134:135]
	s_waitcnt vmcnt(8)
	v_fma_f64 v[2:3], v[116:117], v[136:137], -v[2:3]
	v_fmac_f64_e32 v[150:151], v[118:119], v[136:137]
	v_add_f64 v[0:1], v[0:1], v[2:3]
	s_waitcnt vmcnt(6)
	v_mul_f64 v[2:3], v[122:123], v[142:143]
	v_add_f64 v[50:51], v[50:51], v[150:151]
	v_mul_f64 v[150:151], v[120:121], v[142:143]
	s_waitcnt vmcnt(4)
	v_fma_f64 v[2:3], v[120:121], v[144:145], -v[2:3]
	v_fmac_f64_e32 v[150:151], v[122:123], v[144:145]
	v_add_f64 v[0:1], v[0:1], v[2:3]
	v_add_f64 v[50:51], v[50:51], v[150:151]
	s_waitcnt vmcnt(2)
	v_add_f64 v[0:1], v[146:147], -v[0:1]
	s_waitcnt vmcnt(0)
	v_add_f64 v[2:3], v[148:149], -v[50:51]
	buffer_store_dword v1, off, s[0:3], 0 offset:740
	buffer_store_dword v0, off, s[0:3], 0 offset:736
	;; [unrolled: 1-line block ×4, first 2 shown]
	s_and_saveexec_b64 s[4:5], vcc
	s_cbranch_execz .LBB127_321
; %bb.320:
	v_accvgpr_read_b32 v3, a147
	buffer_load_dword v0, v3, s[0:3], 0 offen
	buffer_load_dword v1, v3, s[0:3], 0 offen offset:4
	buffer_load_dword v2, v3, s[0:3], 0 offen offset:8
	s_nop 0
	buffer_load_dword v3, v3, s[0:3], 0 offen offset:12
	v_mov_b32_e32 v4, 0
	v_accvgpr_read_b32 v5, a192
	buffer_store_dword v4, off, s[0:3], 0 offset:720
	buffer_store_dword v4, off, s[0:3], 0 offset:724
	;; [unrolled: 1-line block ×4, first 2 shown]
	s_waitcnt vmcnt(4)
	ds_write_b128 v5, v[0:3]
.LBB127_321:
	s_or_b64 exec, exec, s[4:5]
	s_waitcnt lgkmcnt(0)
	; wave barrier
	s_waitcnt lgkmcnt(0)
	buffer_load_dword v2, off, s[0:3], 0 offset:736
	buffer_load_dword v3, off, s[0:3], 0 offset:740
	;; [unrolled: 1-line block ×76, first 2 shown]
	v_mov_b32_e32 v0, 0
	ds_read_b128 v[54:57], v0 offset:1744
	buffer_load_dword v154, off, s[0:3], 0 offset:720
	buffer_load_dword v155, off, s[0:3], 0 offset:724
	;; [unrolled: 1-line block ×4, first 2 shown]
	ds_read_b128 v[58:61], v0 offset:1760
	ds_read_b128 v[62:65], v0 offset:1776
	;; [unrolled: 1-line block ×4, first 2 shown]
	v_cmp_lt_u32_e32 vcc, 43, v254
	s_waitcnt vmcnt(62) lgkmcnt(4)
	v_mul_f64 v[70:71], v[54:55], v[8:9]
	v_fmac_f64_e32 v[70:71], v[56:57], v[2:3]
	v_add_f64 v[70:71], v[70:71], 0
	v_mul_f64 v[8:9], v[56:57], v[8:9]
	s_waitcnt lgkmcnt(3)
	v_mul_f64 v[72:73], v[58:59], v[10:11]
	v_fmac_f64_e32 v[72:73], v[60:61], v[4:5]
	v_add_f64 v[70:71], v[70:71], v[72:73]
	v_fma_f64 v[2:3], v[54:55], v[2:3], -v[8:9]
	s_waitcnt lgkmcnt(2)
	v_mul_f64 v[72:73], v[62:63], v[12:13]
	v_fmac_f64_e32 v[72:73], v[64:65], v[6:7]
	v_add_f64 v[74:75], v[70:71], v[72:73]
	ds_read_b128 v[70:73], v0 offset:1808
	s_waitcnt lgkmcnt(2)
	v_mul_f64 v[76:77], v[66:67], v[18:19]
	v_mul_f64 v[8:9], v[60:61], v[10:11]
	v_fmac_f64_e32 v[76:77], v[68:69], v[20:21]
	v_add_f64 v[78:79], v[74:75], v[76:77]
	ds_read_b128 v[74:77], v0 offset:1824
	s_waitcnt vmcnt(61) lgkmcnt(1)
	v_mul_f64 v[80:81], v[70:71], v[14:15]
	s_waitcnt vmcnt(60)
	v_fmac_f64_e32 v[80:81], v[72:73], v[16:17]
	v_add_f64 v[82:83], v[78:79], v[80:81]
	ds_read_b128 v[78:81], v0 offset:1840
	s_waitcnt vmcnt(56) lgkmcnt(1)
	v_mul_f64 v[84:85], v[74:75], v[26:27]
	s_waitcnt vmcnt(54)
	;; [unrolled: 6-line block ×4, first 2 shown]
	v_fmac_f64_e32 v[92:93], v[84:85], v[36:37]
	v_add_f64 v[94:95], v[90:91], v[92:93]
	ds_read_b128 v[90:93], v0 offset:1888
	v_add_f64 v[2:3], v[2:3], 0
	v_fma_f64 v[4:5], v[58:59], v[4:5], -v[8:9]
	s_waitcnt vmcnt(45) lgkmcnt(1)
	v_mul_f64 v[96:97], v[86:87], v[30:31]
	v_add_f64 v[2:3], v[2:3], v[4:5]
	v_mul_f64 v[4:5], v[64:65], v[12:13]
	s_waitcnt vmcnt(44)
	v_fmac_f64_e32 v[96:97], v[88:89], v[32:33]
	v_fma_f64 v[4:5], v[62:63], v[6:7], -v[4:5]
	v_add_f64 v[98:99], v[94:95], v[96:97]
	ds_read_b128 v[94:97], v0 offset:1904
	s_waitcnt vmcnt(40) lgkmcnt(1)
	v_mul_f64 v[100:101], v[90:91], v[42:43]
	v_add_f64 v[2:3], v[2:3], v[4:5]
	v_mul_f64 v[4:5], v[68:69], v[18:19]
	s_waitcnt vmcnt(38)
	v_fmac_f64_e32 v[100:101], v[92:93], v[44:45]
	v_fma_f64 v[4:5], v[66:67], v[20:21], -v[4:5]
	v_add_f64 v[102:103], v[98:99], v[100:101]
	ds_read_b128 v[98:101], v0 offset:1920
	v_add_f64 v[2:3], v[2:3], v[4:5]
	v_mul_f64 v[4:5], v[72:73], v[14:15]
	v_fma_f64 v[4:5], v[70:71], v[16:17], -v[4:5]
	v_add_f64 v[2:3], v[2:3], v[4:5]
	v_mul_f64 v[4:5], v[76:77], v[26:27]
	s_waitcnt vmcnt(37) lgkmcnt(1)
	v_mul_f64 v[104:105], v[94:95], v[38:39]
	v_fma_f64 v[4:5], v[74:75], v[28:29], -v[4:5]
	s_waitcnt vmcnt(36)
	v_fmac_f64_e32 v[104:105], v[96:97], v[40:41]
	v_add_f64 v[2:3], v[2:3], v[4:5]
	v_mul_f64 v[4:5], v[80:81], v[22:23]
	v_add_f64 v[106:107], v[102:103], v[104:105]
	ds_read_b128 v[102:105], v0 offset:1936
	s_waitcnt vmcnt(32) lgkmcnt(1)
	v_mul_f64 v[108:109], v[98:99], v[50:51]
	v_fma_f64 v[4:5], v[78:79], v[24:25], -v[4:5]
	s_waitcnt vmcnt(30)
	v_fmac_f64_e32 v[108:109], v[100:101], v[52:53]
	v_add_f64 v[2:3], v[2:3], v[4:5]
	v_mul_f64 v[4:5], v[84:85], v[34:35]
	v_add_f64 v[110:111], v[106:107], v[108:109]
	ds_read_b128 v[106:109], v0 offset:1952
	v_fma_f64 v[4:5], v[82:83], v[36:37], -v[4:5]
	v_add_f64 v[2:3], v[2:3], v[4:5]
	v_mul_f64 v[4:5], v[88:89], v[30:31]
	v_fma_f64 v[4:5], v[86:87], v[32:33], -v[4:5]
	s_waitcnt vmcnt(29) lgkmcnt(1)
	v_mul_f64 v[112:113], v[102:103], v[46:47]
	v_add_f64 v[2:3], v[2:3], v[4:5]
	v_mul_f64 v[4:5], v[92:93], v[42:43]
	s_waitcnt vmcnt(28)
	v_fmac_f64_e32 v[112:113], v[104:105], v[48:49]
	v_fma_f64 v[4:5], v[90:91], v[44:45], -v[4:5]
	v_add_f64 v[114:115], v[110:111], v[112:113]
	ds_read_b128 v[110:113], v0 offset:1968
	s_waitcnt vmcnt(24) lgkmcnt(1)
	v_mul_f64 v[116:117], v[106:107], v[134:135]
	v_add_f64 v[2:3], v[2:3], v[4:5]
	v_mul_f64 v[4:5], v[96:97], v[38:39]
	s_waitcnt vmcnt(22)
	v_fmac_f64_e32 v[116:117], v[108:109], v[136:137]
	v_fma_f64 v[4:5], v[94:95], v[40:41], -v[4:5]
	v_add_f64 v[118:119], v[114:115], v[116:117]
	ds_read_b128 v[114:117], v0 offset:1984
	v_add_f64 v[2:3], v[2:3], v[4:5]
	v_mul_f64 v[4:5], v[100:101], v[50:51]
	v_fma_f64 v[4:5], v[98:99], v[52:53], -v[4:5]
	v_add_f64 v[2:3], v[2:3], v[4:5]
	v_mul_f64 v[4:5], v[104:105], v[46:47]
	s_waitcnt vmcnt(21) lgkmcnt(1)
	v_mul_f64 v[120:121], v[110:111], v[130:131]
	v_fma_f64 v[4:5], v[102:103], v[48:49], -v[4:5]
	s_waitcnt vmcnt(20)
	v_fmac_f64_e32 v[120:121], v[112:113], v[132:133]
	v_add_f64 v[2:3], v[2:3], v[4:5]
	v_mul_f64 v[4:5], v[108:109], v[134:135]
	v_add_f64 v[122:123], v[118:119], v[120:121]
	ds_read_b128 v[118:121], v0 offset:2000
	s_waitcnt vmcnt(16) lgkmcnt(1)
	v_mul_f64 v[124:125], v[114:115], v[142:143]
	v_fma_f64 v[4:5], v[106:107], v[136:137], -v[4:5]
	s_waitcnt vmcnt(14)
	v_fmac_f64_e32 v[124:125], v[116:117], v[144:145]
	v_add_f64 v[2:3], v[2:3], v[4:5]
	v_mul_f64 v[4:5], v[112:113], v[130:131]
	v_add_f64 v[158:159], v[122:123], v[124:125]
	ds_read_b128 v[122:125], v0 offset:2016
	v_fma_f64 v[4:5], v[110:111], v[132:133], -v[4:5]
	v_add_f64 v[2:3], v[2:3], v[4:5]
	v_mul_f64 v[4:5], v[116:117], v[142:143]
	v_fma_f64 v[4:5], v[114:115], v[144:145], -v[4:5]
	v_add_f64 v[2:3], v[2:3], v[4:5]
	s_waitcnt vmcnt(13) lgkmcnt(1)
	v_mul_f64 v[4:5], v[120:121], v[138:139]
	v_mul_f64 v[160:161], v[118:119], v[138:139]
	s_waitcnt vmcnt(12)
	v_fma_f64 v[4:5], v[118:119], v[140:141], -v[4:5]
	v_fmac_f64_e32 v[160:161], v[120:121], v[140:141]
	v_add_f64 v[2:3], v[2:3], v[4:5]
	s_waitcnt vmcnt(8) lgkmcnt(0)
	v_mul_f64 v[4:5], v[124:125], v[150:151]
	v_add_f64 v[158:159], v[158:159], v[160:161]
	v_mul_f64 v[160:161], v[122:123], v[150:151]
	s_waitcnt vmcnt(6)
	v_fma_f64 v[4:5], v[122:123], v[152:153], -v[4:5]
	v_fmac_f64_e32 v[160:161], v[124:125], v[152:153]
	v_add_f64 v[2:3], v[2:3], v[4:5]
	s_waitcnt vmcnt(5)
	v_mul_f64 v[4:5], v[128:129], v[146:147]
	v_add_f64 v[158:159], v[158:159], v[160:161]
	v_mul_f64 v[160:161], v[126:127], v[146:147]
	s_waitcnt vmcnt(4)
	v_fma_f64 v[4:5], v[126:127], v[148:149], -v[4:5]
	v_fmac_f64_e32 v[160:161], v[128:129], v[148:149]
	v_add_f64 v[2:3], v[2:3], v[4:5]
	v_add_f64 v[158:159], v[158:159], v[160:161]
	s_waitcnt vmcnt(2)
	v_add_f64 v[2:3], v[154:155], -v[2:3]
	s_waitcnt vmcnt(0)
	v_add_f64 v[4:5], v[156:157], -v[158:159]
	buffer_store_dword v3, off, s[0:3], 0 offset:724
	buffer_store_dword v2, off, s[0:3], 0 offset:720
	;; [unrolled: 1-line block ×4, first 2 shown]
	s_and_saveexec_b64 s[4:5], vcc
	s_cbranch_execz .LBB127_323
; %bb.322:
	v_accvgpr_read_b32 v1, a148
	buffer_load_dword v2, v1, s[0:3], 0 offen
	buffer_load_dword v3, v1, s[0:3], 0 offen offset:4
	buffer_load_dword v4, v1, s[0:3], 0 offen offset:8
	;; [unrolled: 1-line block ×3, first 2 shown]
	v_accvgpr_read_b32 v1, a192
	buffer_store_dword v0, off, s[0:3], 0 offset:704
	buffer_store_dword v0, off, s[0:3], 0 offset:708
	;; [unrolled: 1-line block ×4, first 2 shown]
	s_waitcnt vmcnt(4)
	ds_write_b128 v1, v[2:5]
.LBB127_323:
	s_or_b64 exec, exec, s[4:5]
	s_waitcnt lgkmcnt(0)
	; wave barrier
	s_waitcnt lgkmcnt(0)
	buffer_load_dword v2, off, s[0:3], 0 offset:720
	buffer_load_dword v3, off, s[0:3], 0 offset:724
	buffer_load_dword v8, off, s[0:3], 0 offset:728
	buffer_load_dword v9, off, s[0:3], 0 offset:732
	buffer_load_dword v4, off, s[0:3], 0 offset:736
	buffer_load_dword v5, off, s[0:3], 0 offset:740
	buffer_load_dword v10, off, s[0:3], 0 offset:744
	buffer_load_dword v11, off, s[0:3], 0 offset:748
	buffer_load_dword v6, off, s[0:3], 0 offset:752
	buffer_load_dword v7, off, s[0:3], 0 offset:756
	buffer_load_dword v12, off, s[0:3], 0 offset:760
	buffer_load_dword v13, off, s[0:3], 0 offset:764
	buffer_load_dword v15, off, s[0:3], 0 offset:796
	buffer_load_dword v14, off, s[0:3], 0 offset:792
	buffer_load_dword v17, off, s[0:3], 0 offset:788
	buffer_load_dword v16, off, s[0:3], 0 offset:784
	buffer_load_dword v19, off, s[0:3], 0 offset:780
	buffer_load_dword v18, off, s[0:3], 0 offset:776
	buffer_load_dword v21, off, s[0:3], 0 offset:772
	buffer_load_dword v20, off, s[0:3], 0 offset:768
	buffer_load_dword v23, off, s[0:3], 0 offset:828
	buffer_load_dword v22, off, s[0:3], 0 offset:824
	buffer_load_dword v25, off, s[0:3], 0 offset:820
	buffer_load_dword v24, off, s[0:3], 0 offset:816
	buffer_load_dword v27, off, s[0:3], 0 offset:812
	buffer_load_dword v26, off, s[0:3], 0 offset:808
	buffer_load_dword v29, off, s[0:3], 0 offset:804
	buffer_load_dword v28, off, s[0:3], 0 offset:800
	buffer_load_dword v31, off, s[0:3], 0 offset:860
	buffer_load_dword v30, off, s[0:3], 0 offset:856
	buffer_load_dword v33, off, s[0:3], 0 offset:852
	buffer_load_dword v32, off, s[0:3], 0 offset:848
	buffer_load_dword v35, off, s[0:3], 0 offset:844
	buffer_load_dword v34, off, s[0:3], 0 offset:840
	buffer_load_dword v37, off, s[0:3], 0 offset:836
	buffer_load_dword v36, off, s[0:3], 0 offset:832
	buffer_load_dword v39, off, s[0:3], 0 offset:892
	buffer_load_dword v38, off, s[0:3], 0 offset:888
	buffer_load_dword v41, off, s[0:3], 0 offset:884
	buffer_load_dword v40, off, s[0:3], 0 offset:880
	buffer_load_dword v43, off, s[0:3], 0 offset:876
	buffer_load_dword v42, off, s[0:3], 0 offset:872
	buffer_load_dword v45, off, s[0:3], 0 offset:868
	buffer_load_dword v44, off, s[0:3], 0 offset:864
	buffer_load_dword v47, off, s[0:3], 0 offset:924
	buffer_load_dword v46, off, s[0:3], 0 offset:920
	buffer_load_dword v49, off, s[0:3], 0 offset:916
	buffer_load_dword v48, off, s[0:3], 0 offset:912
	buffer_load_dword v51, off, s[0:3], 0 offset:908
	buffer_load_dword v50, off, s[0:3], 0 offset:904
	buffer_load_dword v53, off, s[0:3], 0 offset:900
	buffer_load_dword v52, off, s[0:3], 0 offset:896
	buffer_load_dword v135, off, s[0:3], 0 offset:956
	buffer_load_dword v134, off, s[0:3], 0 offset:952
	buffer_load_dword v137, off, s[0:3], 0 offset:948
	buffer_load_dword v136, off, s[0:3], 0 offset:944
	buffer_load_dword v139, off, s[0:3], 0 offset:940
	buffer_load_dword v138, off, s[0:3], 0 offset:936
	buffer_load_dword v141, off, s[0:3], 0 offset:932
	buffer_load_dword v140, off, s[0:3], 0 offset:928
	buffer_load_dword v143, off, s[0:3], 0 offset:988
	buffer_load_dword v142, off, s[0:3], 0 offset:984
	buffer_load_dword v145, off, s[0:3], 0 offset:980
	buffer_load_dword v144, off, s[0:3], 0 offset:976
	buffer_load_dword v147, off, s[0:3], 0 offset:972
	buffer_load_dword v146, off, s[0:3], 0 offset:968
	buffer_load_dword v149, off, s[0:3], 0 offset:964
	buffer_load_dword v148, off, s[0:3], 0 offset:960
	buffer_load_dword v151, off, s[0:3], 0 offset:1020
	buffer_load_dword v150, off, s[0:3], 0 offset:1016
	buffer_load_dword v153, off, s[0:3], 0 offset:1012
	buffer_load_dword v152, off, s[0:3], 0 offset:1008
	buffer_load_dword v155, off, s[0:3], 0 offset:1004
	buffer_load_dword v154, off, s[0:3], 0 offset:1000
	buffer_load_dword v157, off, s[0:3], 0 offset:996
	buffer_load_dword v156, off, s[0:3], 0 offset:992
	ds_read_b128 v[54:57], v0 offset:1728
	buffer_load_dword v159, off, s[0:3], 0 offset:1036
	buffer_load_dword v158, off, s[0:3], 0 offset:1032
	;; [unrolled: 1-line block ×8, first 2 shown]
	ds_read_b128 v[58:61], v0 offset:1744
	ds_read_b128 v[62:65], v0 offset:1760
	;; [unrolled: 1-line block ×3, first 2 shown]
	v_cmp_lt_u32_e32 vcc, 42, v254
	ds_read_b128 v[130:133], v0 offset:2032
	s_waitcnt vmcnt(62) lgkmcnt(4)
	v_mul_f64 v[70:71], v[54:55], v[8:9]
	v_fmac_f64_e32 v[70:71], v[56:57], v[2:3]
	v_add_f64 v[70:71], v[70:71], 0
	v_mul_f64 v[8:9], v[56:57], v[8:9]
	s_waitcnt lgkmcnt(3)
	v_mul_f64 v[72:73], v[58:59], v[10:11]
	v_fmac_f64_e32 v[72:73], v[60:61], v[4:5]
	v_add_f64 v[70:71], v[70:71], v[72:73]
	v_fma_f64 v[2:3], v[54:55], v[2:3], -v[8:9]
	s_waitcnt lgkmcnt(2)
	v_mul_f64 v[72:73], v[62:63], v[12:13]
	v_fmac_f64_e32 v[72:73], v[64:65], v[6:7]
	v_add_f64 v[74:75], v[70:71], v[72:73]
	ds_read_b128 v[70:73], v0 offset:1792
	v_mul_f64 v[8:9], v[60:61], v[10:11]
	v_add_f64 v[2:3], v[2:3], 0
	s_waitcnt lgkmcnt(2)
	v_mul_f64 v[76:77], v[66:67], v[18:19]
	v_fma_f64 v[4:5], v[58:59], v[4:5], -v[8:9]
	v_fmac_f64_e32 v[76:77], v[68:69], v[20:21]
	v_add_f64 v[78:79], v[74:75], v[76:77]
	ds_read_b128 v[74:77], v0 offset:1808
	s_waitcnt lgkmcnt(1)
	v_mul_f64 v[80:81], v[70:71], v[14:15]
	v_fmac_f64_e32 v[80:81], v[72:73], v[16:17]
	v_add_f64 v[82:83], v[78:79], v[80:81]
	ds_read_b128 v[78:81], v0 offset:1824
	s_waitcnt vmcnt(58) lgkmcnt(1)
	v_mul_f64 v[84:85], v[74:75], v[26:27]
	s_waitcnt vmcnt(56)
	v_fmac_f64_e32 v[84:85], v[76:77], v[28:29]
	v_add_f64 v[86:87], v[82:83], v[84:85]
	ds_read_b128 v[82:85], v0 offset:1840
	s_waitcnt lgkmcnt(1)
	v_mul_f64 v[88:89], v[78:79], v[22:23]
	v_fmac_f64_e32 v[88:89], v[80:81], v[24:25]
	v_add_f64 v[90:91], v[86:87], v[88:89]
	ds_read_b128 v[86:89], v0 offset:1856
	s_waitcnt vmcnt(50) lgkmcnt(1)
	v_mul_f64 v[92:93], v[82:83], v[34:35]
	s_waitcnt vmcnt(48)
	v_fmac_f64_e32 v[92:93], v[84:85], v[36:37]
	v_add_f64 v[94:95], v[90:91], v[92:93]
	ds_read_b128 v[90:93], v0 offset:1872
	s_waitcnt lgkmcnt(1)
	v_mul_f64 v[96:97], v[86:87], v[30:31]
	v_fmac_f64_e32 v[96:97], v[88:89], v[32:33]
	v_add_f64 v[98:99], v[94:95], v[96:97]
	ds_read_b128 v[94:97], v0 offset:1888
	v_add_f64 v[2:3], v[2:3], v[4:5]
	v_mul_f64 v[4:5], v[64:65], v[12:13]
	v_fma_f64 v[4:5], v[62:63], v[6:7], -v[4:5]
	s_waitcnt vmcnt(42) lgkmcnt(1)
	v_mul_f64 v[100:101], v[90:91], v[42:43]
	v_add_f64 v[2:3], v[2:3], v[4:5]
	v_mul_f64 v[4:5], v[68:69], v[18:19]
	s_waitcnt vmcnt(40)
	v_fmac_f64_e32 v[100:101], v[92:93], v[44:45]
	v_fma_f64 v[4:5], v[66:67], v[20:21], -v[4:5]
	v_add_f64 v[102:103], v[98:99], v[100:101]
	ds_read_b128 v[98:101], v0 offset:1904
	s_waitcnt lgkmcnt(1)
	v_mul_f64 v[104:105], v[94:95], v[38:39]
	v_add_f64 v[2:3], v[2:3], v[4:5]
	v_mul_f64 v[4:5], v[72:73], v[14:15]
	v_fmac_f64_e32 v[104:105], v[96:97], v[40:41]
	v_fma_f64 v[4:5], v[70:71], v[16:17], -v[4:5]
	v_add_f64 v[106:107], v[102:103], v[104:105]
	ds_read_b128 v[102:105], v0 offset:1920
	v_add_f64 v[2:3], v[2:3], v[4:5]
	v_mul_f64 v[4:5], v[76:77], v[26:27]
	v_fma_f64 v[4:5], v[74:75], v[28:29], -v[4:5]
	v_add_f64 v[2:3], v[2:3], v[4:5]
	v_mul_f64 v[4:5], v[80:81], v[22:23]
	s_waitcnt vmcnt(34) lgkmcnt(1)
	v_mul_f64 v[108:109], v[98:99], v[50:51]
	v_fma_f64 v[4:5], v[78:79], v[24:25], -v[4:5]
	s_waitcnt vmcnt(32)
	v_fmac_f64_e32 v[108:109], v[100:101], v[52:53]
	v_add_f64 v[2:3], v[2:3], v[4:5]
	v_mul_f64 v[4:5], v[84:85], v[34:35]
	v_add_f64 v[110:111], v[106:107], v[108:109]
	ds_read_b128 v[106:109], v0 offset:1936
	s_waitcnt lgkmcnt(1)
	v_mul_f64 v[112:113], v[102:103], v[46:47]
	v_fma_f64 v[4:5], v[82:83], v[36:37], -v[4:5]
	v_fmac_f64_e32 v[112:113], v[104:105], v[48:49]
	v_add_f64 v[2:3], v[2:3], v[4:5]
	v_mul_f64 v[4:5], v[88:89], v[30:31]
	v_add_f64 v[114:115], v[110:111], v[112:113]
	ds_read_b128 v[110:113], v0 offset:1952
	v_fma_f64 v[4:5], v[86:87], v[32:33], -v[4:5]
	v_add_f64 v[2:3], v[2:3], v[4:5]
	v_mul_f64 v[4:5], v[92:93], v[42:43]
	v_fma_f64 v[4:5], v[90:91], v[44:45], -v[4:5]
	s_waitcnt vmcnt(26) lgkmcnt(1)
	v_mul_f64 v[116:117], v[106:107], v[138:139]
	v_add_f64 v[2:3], v[2:3], v[4:5]
	v_mul_f64 v[4:5], v[96:97], v[38:39]
	s_waitcnt vmcnt(24)
	v_fmac_f64_e32 v[116:117], v[108:109], v[140:141]
	v_fma_f64 v[4:5], v[94:95], v[40:41], -v[4:5]
	v_add_f64 v[118:119], v[114:115], v[116:117]
	ds_read_b128 v[114:117], v0 offset:1968
	s_waitcnt lgkmcnt(1)
	v_mul_f64 v[120:121], v[110:111], v[134:135]
	v_add_f64 v[2:3], v[2:3], v[4:5]
	v_mul_f64 v[4:5], v[100:101], v[50:51]
	v_fmac_f64_e32 v[120:121], v[112:113], v[136:137]
	v_fma_f64 v[4:5], v[98:99], v[52:53], -v[4:5]
	v_add_f64 v[122:123], v[118:119], v[120:121]
	ds_read_b128 v[118:121], v0 offset:1984
	v_add_f64 v[2:3], v[2:3], v[4:5]
	v_mul_f64 v[4:5], v[104:105], v[46:47]
	v_fma_f64 v[4:5], v[102:103], v[48:49], -v[4:5]
	v_add_f64 v[2:3], v[2:3], v[4:5]
	v_mul_f64 v[4:5], v[108:109], v[138:139]
	s_waitcnt vmcnt(18) lgkmcnt(1)
	v_mul_f64 v[124:125], v[114:115], v[146:147]
	v_fma_f64 v[4:5], v[106:107], v[140:141], -v[4:5]
	s_waitcnt vmcnt(16)
	v_fmac_f64_e32 v[124:125], v[116:117], v[148:149]
	v_add_f64 v[2:3], v[2:3], v[4:5]
	v_mul_f64 v[4:5], v[112:113], v[134:135]
	v_add_f64 v[126:127], v[122:123], v[124:125]
	ds_read_b128 v[122:125], v0 offset:2000
	s_waitcnt lgkmcnt(1)
	v_mul_f64 v[128:129], v[118:119], v[142:143]
	v_fma_f64 v[4:5], v[110:111], v[136:137], -v[4:5]
	v_fmac_f64_e32 v[128:129], v[120:121], v[144:145]
	v_add_f64 v[2:3], v[2:3], v[4:5]
	v_mul_f64 v[4:5], v[116:117], v[146:147]
	v_add_f64 v[166:167], v[126:127], v[128:129]
	ds_read_b128 v[126:129], v0 offset:2016
	v_fma_f64 v[4:5], v[114:115], v[148:149], -v[4:5]
	v_add_f64 v[2:3], v[2:3], v[4:5]
	v_mul_f64 v[4:5], v[120:121], v[142:143]
	v_fma_f64 v[4:5], v[118:119], v[144:145], -v[4:5]
	v_add_f64 v[2:3], v[2:3], v[4:5]
	s_waitcnt vmcnt(10) lgkmcnt(1)
	v_mul_f64 v[4:5], v[124:125], v[154:155]
	v_mul_f64 v[168:169], v[122:123], v[154:155]
	s_waitcnt vmcnt(8)
	v_fma_f64 v[4:5], v[122:123], v[156:157], -v[4:5]
	v_fmac_f64_e32 v[168:169], v[124:125], v[156:157]
	v_add_f64 v[2:3], v[2:3], v[4:5]
	s_waitcnt lgkmcnt(0)
	v_mul_f64 v[4:5], v[128:129], v[150:151]
	v_add_f64 v[0:1], v[166:167], v[168:169]
	v_mul_f64 v[166:167], v[126:127], v[150:151]
	v_fma_f64 v[4:5], v[126:127], v[152:153], -v[4:5]
	v_fmac_f64_e32 v[166:167], v[128:129], v[152:153]
	v_add_f64 v[2:3], v[2:3], v[4:5]
	s_waitcnt vmcnt(6)
	v_mul_f64 v[4:5], v[132:133], v[158:159]
	v_add_f64 v[0:1], v[0:1], v[166:167]
	v_mul_f64 v[166:167], v[130:131], v[158:159]
	s_waitcnt vmcnt(4)
	v_fma_f64 v[4:5], v[130:131], v[160:161], -v[4:5]
	v_fmac_f64_e32 v[166:167], v[132:133], v[160:161]
	v_add_f64 v[2:3], v[2:3], v[4:5]
	v_add_f64 v[0:1], v[0:1], v[166:167]
	s_waitcnt vmcnt(2)
	v_add_f64 v[2:3], v[162:163], -v[2:3]
	s_waitcnt vmcnt(0)
	v_add_f64 v[0:1], v[164:165], -v[0:1]
	buffer_store_dword v3, off, s[0:3], 0 offset:708
	buffer_store_dword v2, off, s[0:3], 0 offset:704
	;; [unrolled: 1-line block ×4, first 2 shown]
	s_and_saveexec_b64 s[4:5], vcc
	s_cbranch_execz .LBB127_325
; %bb.324:
	v_accvgpr_read_b32 v3, a149
	buffer_load_dword v0, v3, s[0:3], 0 offen
	buffer_load_dword v1, v3, s[0:3], 0 offen offset:4
	buffer_load_dword v2, v3, s[0:3], 0 offen offset:8
	s_nop 0
	buffer_load_dword v3, v3, s[0:3], 0 offen offset:12
	v_mov_b32_e32 v4, 0
	v_accvgpr_read_b32 v5, a192
	buffer_store_dword v4, off, s[0:3], 0 offset:688
	buffer_store_dword v4, off, s[0:3], 0 offset:692
	buffer_store_dword v4, off, s[0:3], 0 offset:696
	buffer_store_dword v4, off, s[0:3], 0 offset:700
	s_waitcnt vmcnt(4)
	ds_write_b128 v5, v[0:3]
.LBB127_325:
	s_or_b64 exec, exec, s[4:5]
	s_waitcnt lgkmcnt(0)
	; wave barrier
	s_waitcnt lgkmcnt(0)
	buffer_load_dword v4, off, s[0:3], 0 offset:688
	buffer_load_dword v5, off, s[0:3], 0 offset:692
	;; [unrolled: 1-line block ×84, first 2 shown]
	v_mov_b32_e32 v84, 0
	ds_read_b128 v[66:69], v84 offset:1712
	buffer_load_dword v171, off, s[0:3], 0 offset:1036
	buffer_load_dword v170, off, s[0:3], 0 offset:1032
	;; [unrolled: 1-line block ×4, first 2 shown]
	ds_read_b128 v[70:73], v84 offset:1728
	ds_read_b128 v[74:77], v84 offset:1744
	ds_read_b128 v[78:81], v84 offset:1760
	ds_read_b128 v[150:153], v84 offset:2032
	v_cmp_lt_u32_e32 vcc, 41, v254
	s_waitcnt vmcnt(62) lgkmcnt(4)
	v_mul_f64 v[86:87], v[66:67], v[12:13]
	v_fmac_f64_e32 v[86:87], v[68:69], v[6:7]
	s_waitcnt lgkmcnt(3)
	v_mul_f64 v[88:89], v[70:71], v[14:15]
	v_add_f64 v[86:87], v[86:87], 0
	v_fmac_f64_e32 v[88:89], v[72:73], v[8:9]
	v_add_f64 v[86:87], v[86:87], v[88:89]
	s_waitcnt lgkmcnt(2)
	v_mul_f64 v[88:89], v[74:75], v[16:17]
	v_fmac_f64_e32 v[88:89], v[76:77], v[10:11]
	v_add_f64 v[90:91], v[86:87], v[88:89]
	ds_read_b128 v[86:89], v84 offset:1776
	v_mul_f64 v[12:13], v[68:69], v[12:13]
	s_waitcnt lgkmcnt(2)
	v_mul_f64 v[92:93], v[78:79], v[22:23]
	v_fma_f64 v[6:7], v[66:67], v[6:7], -v[12:13]
	v_fmac_f64_e32 v[92:93], v[80:81], v[24:25]
	v_add_f64 v[94:95], v[90:91], v[92:93]
	ds_read_b128 v[90:93], v84 offset:1792
	s_waitcnt lgkmcnt(1)
	v_mul_f64 v[96:97], v[86:87], v[18:19]
	v_fmac_f64_e32 v[96:97], v[88:89], v[20:21]
	v_add_f64 v[98:99], v[94:95], v[96:97]
	ds_read_b128 v[94:97], v84 offset:1808
	s_waitcnt vmcnt(58) lgkmcnt(1)
	v_mul_f64 v[100:101], v[90:91], v[30:31]
	s_waitcnt vmcnt(56)
	v_fmac_f64_e32 v[100:101], v[92:93], v[32:33]
	v_add_f64 v[102:103], v[98:99], v[100:101]
	ds_read_b128 v[98:101], v84 offset:1824
	s_waitcnt lgkmcnt(1)
	v_mul_f64 v[104:105], v[94:95], v[26:27]
	v_fmac_f64_e32 v[104:105], v[96:97], v[28:29]
	v_add_f64 v[106:107], v[102:103], v[104:105]
	ds_read_b128 v[102:105], v84 offset:1840
	s_waitcnt vmcnt(50) lgkmcnt(1)
	v_mul_f64 v[108:109], v[98:99], v[38:39]
	s_waitcnt vmcnt(48)
	v_fmac_f64_e32 v[108:109], v[100:101], v[40:41]
	v_add_f64 v[110:111], v[106:107], v[108:109]
	ds_read_b128 v[106:109], v84 offset:1856
	s_waitcnt lgkmcnt(1)
	v_mul_f64 v[112:113], v[102:103], v[34:35]
	v_fmac_f64_e32 v[112:113], v[104:105], v[36:37]
	v_add_f64 v[114:115], v[110:111], v[112:113]
	ds_read_b128 v[110:113], v84 offset:1872
	s_waitcnt vmcnt(42) lgkmcnt(1)
	v_mul_f64 v[116:117], v[106:107], v[46:47]
	v_mul_f64 v[12:13], v[72:73], v[14:15]
	s_waitcnt vmcnt(40)
	v_fmac_f64_e32 v[116:117], v[108:109], v[48:49]
	v_add_f64 v[6:7], v[6:7], 0
	v_fma_f64 v[8:9], v[70:71], v[8:9], -v[12:13]
	v_add_f64 v[118:119], v[114:115], v[116:117]
	ds_read_b128 v[114:117], v84 offset:1888
	v_add_f64 v[6:7], v[6:7], v[8:9]
	v_mul_f64 v[8:9], v[76:77], v[16:17]
	v_fma_f64 v[8:9], v[74:75], v[10:11], -v[8:9]
	v_add_f64 v[6:7], v[6:7], v[8:9]
	v_mul_f64 v[8:9], v[80:81], v[22:23]
	s_waitcnt lgkmcnt(1)
	v_mul_f64 v[120:121], v[110:111], v[42:43]
	v_fma_f64 v[8:9], v[78:79], v[24:25], -v[8:9]
	v_fmac_f64_e32 v[120:121], v[112:113], v[44:45]
	v_add_f64 v[6:7], v[6:7], v[8:9]
	v_mul_f64 v[8:9], v[88:89], v[18:19]
	v_add_f64 v[122:123], v[118:119], v[120:121]
	ds_read_b128 v[118:121], v84 offset:1904
	s_waitcnt vmcnt(34) lgkmcnt(1)
	v_mul_f64 v[124:125], v[114:115], v[54:55]
	v_fma_f64 v[8:9], v[86:87], v[20:21], -v[8:9]
	s_waitcnt vmcnt(32)
	v_fmac_f64_e32 v[124:125], v[116:117], v[56:57]
	v_add_f64 v[6:7], v[6:7], v[8:9]
	v_mul_f64 v[8:9], v[92:93], v[30:31]
	v_add_f64 v[126:127], v[122:123], v[124:125]
	ds_read_b128 v[122:125], v84 offset:1920
	v_fma_f64 v[8:9], v[90:91], v[32:33], -v[8:9]
	v_add_f64 v[6:7], v[6:7], v[8:9]
	v_mul_f64 v[8:9], v[96:97], v[26:27]
	v_fma_f64 v[8:9], v[94:95], v[28:29], -v[8:9]
	s_waitcnt lgkmcnt(1)
	v_mul_f64 v[128:129], v[118:119], v[50:51]
	v_add_f64 v[6:7], v[6:7], v[8:9]
	v_mul_f64 v[8:9], v[100:101], v[38:39]
	v_fmac_f64_e32 v[128:129], v[120:121], v[52:53]
	v_fma_f64 v[8:9], v[98:99], v[40:41], -v[8:9]
	v_add_f64 v[130:131], v[126:127], v[128:129]
	ds_read_b128 v[126:129], v84 offset:1936
	s_waitcnt vmcnt(26) lgkmcnt(1)
	v_mul_f64 v[132:133], v[122:123], v[62:63]
	v_add_f64 v[6:7], v[6:7], v[8:9]
	v_mul_f64 v[8:9], v[104:105], v[34:35]
	s_waitcnt vmcnt(24)
	v_fmac_f64_e32 v[132:133], v[124:125], v[64:65]
	v_fma_f64 v[8:9], v[102:103], v[36:37], -v[8:9]
	v_add_f64 v[134:135], v[130:131], v[132:133]
	ds_read_b128 v[130:133], v84 offset:1952
	v_add_f64 v[6:7], v[6:7], v[8:9]
	v_mul_f64 v[8:9], v[108:109], v[46:47]
	v_fma_f64 v[8:9], v[106:107], v[48:49], -v[8:9]
	v_add_f64 v[6:7], v[6:7], v[8:9]
	v_mul_f64 v[8:9], v[112:113], v[42:43]
	s_waitcnt lgkmcnt(1)
	v_mul_f64 v[136:137], v[126:127], v[58:59]
	v_fma_f64 v[8:9], v[110:111], v[44:45], -v[8:9]
	v_fmac_f64_e32 v[136:137], v[128:129], v[60:61]
	v_add_f64 v[6:7], v[6:7], v[8:9]
	v_mul_f64 v[8:9], v[116:117], v[54:55]
	v_add_f64 v[138:139], v[134:135], v[136:137]
	ds_read_b128 v[134:137], v84 offset:1968
	s_waitcnt vmcnt(18) lgkmcnt(1)
	v_mul_f64 v[140:141], v[130:131], v[154:155]
	v_fma_f64 v[8:9], v[114:115], v[56:57], -v[8:9]
	s_waitcnt vmcnt(16)
	v_fmac_f64_e32 v[140:141], v[132:133], v[156:157]
	v_add_f64 v[6:7], v[6:7], v[8:9]
	v_mul_f64 v[8:9], v[120:121], v[50:51]
	v_add_f64 v[142:143], v[138:139], v[140:141]
	ds_read_b128 v[138:141], v84 offset:1984
	v_fma_f64 v[8:9], v[118:119], v[52:53], -v[8:9]
	v_add_f64 v[6:7], v[6:7], v[8:9]
	v_mul_f64 v[8:9], v[124:125], v[62:63]
	v_fma_f64 v[8:9], v[122:123], v[64:65], -v[8:9]
	s_waitcnt lgkmcnt(1)
	v_mul_f64 v[144:145], v[134:135], v[0:1]
	v_add_f64 v[6:7], v[6:7], v[8:9]
	v_mul_f64 v[8:9], v[128:129], v[58:59]
	v_fmac_f64_e32 v[144:145], v[136:137], v[82:83]
	v_fma_f64 v[8:9], v[126:127], v[60:61], -v[8:9]
	v_add_f64 v[146:147], v[142:143], v[144:145]
	ds_read_b128 v[142:145], v84 offset:2000
	s_waitcnt vmcnt(10) lgkmcnt(1)
	v_mul_f64 v[148:149], v[138:139], v[162:163]
	v_add_f64 v[6:7], v[6:7], v[8:9]
	v_mul_f64 v[8:9], v[132:133], v[154:155]
	s_waitcnt vmcnt(8)
	v_fmac_f64_e32 v[148:149], v[140:141], v[164:165]
	v_fma_f64 v[8:9], v[130:131], v[156:157], -v[8:9]
	v_mul_f64 v[0:1], v[136:137], v[0:1]
	v_add_f64 v[174:175], v[146:147], v[148:149]
	ds_read_b128 v[146:149], v84 offset:2016
	v_add_f64 v[6:7], v[6:7], v[8:9]
	v_fma_f64 v[0:1], v[134:135], v[82:83], -v[0:1]
	v_add_f64 v[0:1], v[6:7], v[0:1]
	v_mul_f64 v[6:7], v[140:141], v[162:163]
	v_fma_f64 v[6:7], v[138:139], v[164:165], -v[6:7]
	v_add_f64 v[0:1], v[0:1], v[6:7]
	s_waitcnt lgkmcnt(1)
	v_mul_f64 v[6:7], v[144:145], v[158:159]
	v_mul_f64 v[176:177], v[142:143], v[158:159]
	v_fma_f64 v[6:7], v[142:143], v[160:161], -v[6:7]
	v_fmac_f64_e32 v[176:177], v[144:145], v[160:161]
	v_add_f64 v[0:1], v[0:1], v[6:7]
	s_waitcnt vmcnt(6) lgkmcnt(0)
	v_mul_f64 v[6:7], v[148:149], v[166:167]
	v_add_f64 v[174:175], v[174:175], v[176:177]
	v_mul_f64 v[176:177], v[146:147], v[166:167]
	s_waitcnt vmcnt(4)
	v_fma_f64 v[6:7], v[146:147], v[168:169], -v[6:7]
	v_fmac_f64_e32 v[176:177], v[148:149], v[168:169]
	v_add_f64 v[0:1], v[0:1], v[6:7]
	s_waitcnt vmcnt(2)
	v_mul_f64 v[6:7], v[152:153], v[170:171]
	v_add_f64 v[174:175], v[174:175], v[176:177]
	v_mul_f64 v[176:177], v[150:151], v[170:171]
	s_waitcnt vmcnt(0)
	v_fma_f64 v[6:7], v[150:151], v[172:173], -v[6:7]
	v_fmac_f64_e32 v[176:177], v[152:153], v[172:173]
	v_add_f64 v[0:1], v[0:1], v[6:7]
	v_add_f64 v[174:175], v[174:175], v[176:177]
	v_add_f64 v[0:1], v[4:5], -v[0:1]
	v_add_f64 v[2:3], v[2:3], -v[174:175]
	buffer_store_dword v1, off, s[0:3], 0 offset:692
	buffer_store_dword v0, off, s[0:3], 0 offset:688
	;; [unrolled: 1-line block ×4, first 2 shown]
	s_and_saveexec_b64 s[4:5], vcc
	s_cbranch_execz .LBB127_327
; %bb.326:
	v_accvgpr_read_b32 v3, a150
	buffer_load_dword v0, v3, s[0:3], 0 offen
	buffer_load_dword v1, v3, s[0:3], 0 offen offset:4
	buffer_load_dword v2, v3, s[0:3], 0 offen offset:8
	s_nop 0
	buffer_load_dword v3, v3, s[0:3], 0 offen offset:12
	v_accvgpr_read_b32 v4, a192
	buffer_store_dword v84, off, s[0:3], 0 offset:672
	buffer_store_dword v84, off, s[0:3], 0 offset:676
	;; [unrolled: 1-line block ×4, first 2 shown]
	s_waitcnt vmcnt(4)
	ds_write_b128 v4, v[0:3]
.LBB127_327:
	s_or_b64 exec, exec, s[4:5]
	s_waitcnt lgkmcnt(0)
	; wave barrier
	s_waitcnt lgkmcnt(0)
	ds_read_b128 v[14:17], v84 offset:1696
	ds_read_b128 v[10:13], v84 offset:1712
	;; [unrolled: 1-line block ×4, first 2 shown]
	buffer_load_dword v20, off, s[0:3], 0 offset:672
	buffer_load_dword v21, off, s[0:3], 0 offset:676
	;; [unrolled: 1-line block ×92, first 2 shown]
	s_waitcnt vmcnt(62) lgkmcnt(3)
	v_mul_f64 v[86:87], v[14:15], v[28:29]
	v_fmac_f64_e32 v[86:87], v[16:17], v[22:23]
	s_waitcnt lgkmcnt(2)
	v_mul_f64 v[88:89], v[10:11], v[30:31]
	v_add_f64 v[86:87], v[86:87], 0
	v_fmac_f64_e32 v[88:89], v[12:13], v[24:25]
	v_add_f64 v[86:87], v[86:87], v[88:89]
	s_waitcnt lgkmcnt(1)
	v_mul_f64 v[88:89], v[6:7], v[32:33]
	v_fmac_f64_e32 v[88:89], v[8:9], v[26:27]
	v_add_f64 v[90:91], v[86:87], v[88:89]
	ds_read_b128 v[86:89], v84 offset:1760
	v_mul_f64 v[16:17], v[16:17], v[28:29]
	v_fma_f64 v[14:15], v[14:15], v[22:23], -v[16:17]
	s_waitcnt lgkmcnt(1)
	v_mul_f64 v[92:93], v[2:3], v[38:39]
	v_mul_f64 v[12:13], v[12:13], v[30:31]
	v_fmac_f64_e32 v[92:93], v[4:5], v[40:41]
	v_add_f64 v[94:95], v[90:91], v[92:93]
	ds_read_b128 v[90:93], v84 offset:1776
	s_waitcnt lgkmcnt(1)
	v_mul_f64 v[96:97], v[86:87], v[34:35]
	v_fmac_f64_e32 v[96:97], v[88:89], v[36:37]
	v_add_f64 v[98:99], v[94:95], v[96:97]
	ds_read_b128 v[94:97], v84 offset:1792
	s_waitcnt lgkmcnt(1)
	v_mul_f64 v[100:101], v[90:91], v[46:47]
	s_waitcnt vmcnt(60)
	v_fmac_f64_e32 v[100:101], v[92:93], v[48:49]
	v_add_f64 v[102:103], v[98:99], v[100:101]
	ds_read_b128 v[98:101], v84 offset:1808
	s_waitcnt lgkmcnt(1)
	v_mul_f64 v[104:105], v[94:95], v[42:43]
	v_fmac_f64_e32 v[104:105], v[96:97], v[44:45]
	v_add_f64 v[106:107], v[102:103], v[104:105]
	ds_read_b128 v[102:105], v84 offset:1824
	s_waitcnt vmcnt(54) lgkmcnt(1)
	v_mul_f64 v[108:109], v[98:99], v[54:55]
	s_waitcnt vmcnt(52)
	v_fmac_f64_e32 v[108:109], v[100:101], v[56:57]
	v_add_f64 v[110:111], v[106:107], v[108:109]
	ds_read_b128 v[106:109], v84 offset:1840
	s_waitcnt lgkmcnt(1)
	v_mul_f64 v[112:113], v[102:103], v[50:51]
	v_fmac_f64_e32 v[112:113], v[104:105], v[52:53]
	v_add_f64 v[114:115], v[110:111], v[112:113]
	ds_read_b128 v[110:113], v84 offset:1856
	s_waitcnt vmcnt(46) lgkmcnt(1)
	v_mul_f64 v[116:117], v[106:107], v[62:63]
	s_waitcnt vmcnt(44)
	v_fmac_f64_e32 v[116:117], v[108:109], v[64:65]
	v_add_f64 v[118:119], v[114:115], v[116:117]
	ds_read_b128 v[114:117], v84 offset:1872
	s_waitcnt lgkmcnt(1)
	v_mul_f64 v[120:121], v[110:111], v[58:59]
	v_fmac_f64_e32 v[120:121], v[112:113], v[60:61]
	v_add_f64 v[122:123], v[118:119], v[120:121]
	ds_read_b128 v[118:121], v84 offset:1888
	v_add_f64 v[14:15], v[14:15], 0
	v_fma_f64 v[10:11], v[10:11], v[24:25], -v[12:13]
	v_mul_f64 v[8:9], v[8:9], v[32:33]
	v_add_f64 v[10:11], v[14:15], v[10:11]
	v_fma_f64 v[6:7], v[6:7], v[26:27], -v[8:9]
	v_mul_f64 v[4:5], v[4:5], v[38:39]
	;; [unrolled: 3-line block ×3, first 2 shown]
	s_waitcnt vmcnt(38) lgkmcnt(1)
	v_mul_f64 v[124:125], v[114:115], v[70:71]
	v_add_f64 v[2:3], v[6:7], v[2:3]
	v_fma_f64 v[4:5], v[86:87], v[36:37], -v[4:5]
	s_waitcnt vmcnt(36)
	v_fmac_f64_e32 v[124:125], v[116:117], v[72:73]
	v_add_f64 v[2:3], v[2:3], v[4:5]
	v_mul_f64 v[4:5], v[92:93], v[46:47]
	v_add_f64 v[126:127], v[122:123], v[124:125]
	ds_read_b128 v[122:125], v84 offset:1904
	s_waitcnt lgkmcnt(1)
	v_mul_f64 v[128:129], v[118:119], v[66:67]
	v_fma_f64 v[4:5], v[90:91], v[48:49], -v[4:5]
	v_fmac_f64_e32 v[128:129], v[120:121], v[68:69]
	v_add_f64 v[2:3], v[2:3], v[4:5]
	v_mul_f64 v[4:5], v[96:97], v[42:43]
	v_add_f64 v[130:131], v[126:127], v[128:129]
	ds_read_b128 v[126:129], v84 offset:1920
	v_fma_f64 v[4:5], v[94:95], v[44:45], -v[4:5]
	v_add_f64 v[2:3], v[2:3], v[4:5]
	v_mul_f64 v[4:5], v[100:101], v[54:55]
	v_fma_f64 v[4:5], v[98:99], v[56:57], -v[4:5]
	s_waitcnt vmcnt(30) lgkmcnt(1)
	v_mul_f64 v[132:133], v[122:123], v[78:79]
	v_add_f64 v[2:3], v[2:3], v[4:5]
	v_mul_f64 v[4:5], v[104:105], v[50:51]
	s_waitcnt vmcnt(28)
	v_fmac_f64_e32 v[132:133], v[124:125], v[80:81]
	v_fma_f64 v[4:5], v[102:103], v[52:53], -v[4:5]
	v_add_f64 v[134:135], v[130:131], v[132:133]
	ds_read_b128 v[130:133], v84 offset:1936
	s_waitcnt lgkmcnt(1)
	v_mul_f64 v[136:137], v[126:127], v[74:75]
	v_add_f64 v[2:3], v[2:3], v[4:5]
	v_mul_f64 v[4:5], v[108:109], v[62:63]
	v_fmac_f64_e32 v[136:137], v[128:129], v[76:77]
	v_fma_f64 v[4:5], v[106:107], v[64:65], -v[4:5]
	v_add_f64 v[138:139], v[134:135], v[136:137]
	ds_read_b128 v[134:137], v84 offset:1952
	v_add_f64 v[2:3], v[2:3], v[4:5]
	v_mul_f64 v[4:5], v[112:113], v[58:59]
	v_fma_f64 v[4:5], v[110:111], v[60:61], -v[4:5]
	v_add_f64 v[2:3], v[2:3], v[4:5]
	v_mul_f64 v[4:5], v[116:117], v[70:71]
	s_waitcnt vmcnt(22) lgkmcnt(1)
	v_mul_f64 v[140:141], v[130:131], v[158:159]
	v_fma_f64 v[4:5], v[114:115], v[72:73], -v[4:5]
	s_waitcnt vmcnt(20)
	v_fmac_f64_e32 v[140:141], v[132:133], v[160:161]
	v_add_f64 v[2:3], v[2:3], v[4:5]
	v_mul_f64 v[4:5], v[120:121], v[66:67]
	v_add_f64 v[142:143], v[138:139], v[140:141]
	ds_read_b128 v[138:141], v84 offset:1968
	s_waitcnt lgkmcnt(1)
	v_mul_f64 v[144:145], v[134:135], v[0:1]
	v_fma_f64 v[4:5], v[118:119], v[68:69], -v[4:5]
	v_fmac_f64_e32 v[144:145], v[136:137], v[82:83]
	v_add_f64 v[2:3], v[2:3], v[4:5]
	v_mul_f64 v[4:5], v[124:125], v[78:79]
	v_add_f64 v[146:147], v[142:143], v[144:145]
	ds_read_b128 v[142:145], v84 offset:1984
	v_fma_f64 v[4:5], v[122:123], v[80:81], -v[4:5]
	v_add_f64 v[2:3], v[2:3], v[4:5]
	v_mul_f64 v[4:5], v[128:129], v[74:75]
	v_fma_f64 v[4:5], v[126:127], v[76:77], -v[4:5]
	s_waitcnt vmcnt(14) lgkmcnt(1)
	v_mul_f64 v[148:149], v[138:139], v[166:167]
	v_add_f64 v[2:3], v[2:3], v[4:5]
	v_mul_f64 v[4:5], v[132:133], v[158:159]
	s_waitcnt vmcnt(12)
	v_fmac_f64_e32 v[148:149], v[140:141], v[168:169]
	v_fma_f64 v[4:5], v[130:131], v[160:161], -v[4:5]
	v_mul_f64 v[0:1], v[136:137], v[0:1]
	v_add_f64 v[150:151], v[146:147], v[148:149]
	ds_read_b128 v[146:149], v84 offset:2000
	s_waitcnt lgkmcnt(1)
	v_mul_f64 v[152:153], v[142:143], v[162:163]
	v_add_f64 v[2:3], v[2:3], v[4:5]
	v_fma_f64 v[0:1], v[134:135], v[82:83], -v[0:1]
	v_fmac_f64_e32 v[152:153], v[144:145], v[164:165]
	v_add_f64 v[0:1], v[2:3], v[0:1]
	v_mul_f64 v[2:3], v[140:141], v[166:167]
	v_add_f64 v[182:183], v[150:151], v[152:153]
	ds_read_b128 v[150:153], v84 offset:2016
	ds_read_b128 v[154:157], v84 offset:2032
	v_fma_f64 v[2:3], v[138:139], v[168:169], -v[2:3]
	v_add_f64 v[0:1], v[0:1], v[2:3]
	v_mul_f64 v[2:3], v[144:145], v[162:163]
	v_fma_f64 v[2:3], v[142:143], v[164:165], -v[2:3]
	v_add_f64 v[0:1], v[0:1], v[2:3]
	s_waitcnt vmcnt(6) lgkmcnt(2)
	v_mul_f64 v[2:3], v[148:149], v[174:175]
	v_mul_f64 v[184:185], v[146:147], v[174:175]
	s_waitcnt vmcnt(4)
	v_fma_f64 v[2:3], v[146:147], v[176:177], -v[2:3]
	v_fmac_f64_e32 v[184:185], v[148:149], v[176:177]
	v_add_f64 v[0:1], v[0:1], v[2:3]
	s_waitcnt lgkmcnt(1)
	v_mul_f64 v[2:3], v[152:153], v[170:171]
	v_add_f64 v[84:85], v[182:183], v[184:185]
	v_mul_f64 v[182:183], v[150:151], v[170:171]
	v_fma_f64 v[2:3], v[150:151], v[172:173], -v[2:3]
	v_fmac_f64_e32 v[182:183], v[152:153], v[172:173]
	v_add_f64 v[0:1], v[0:1], v[2:3]
	s_waitcnt vmcnt(2) lgkmcnt(0)
	v_mul_f64 v[2:3], v[156:157], v[178:179]
	v_add_f64 v[84:85], v[84:85], v[182:183]
	v_mul_f64 v[182:183], v[154:155], v[178:179]
	s_waitcnt vmcnt(0)
	v_fma_f64 v[2:3], v[154:155], v[180:181], -v[2:3]
	v_fmac_f64_e32 v[182:183], v[156:157], v[180:181]
	v_add_f64 v[0:1], v[0:1], v[2:3]
	v_add_f64 v[84:85], v[84:85], v[182:183]
	v_add_f64 v[0:1], v[20:21], -v[0:1]
	v_cmp_lt_u32_e32 vcc, 40, v254
	v_add_f64 v[2:3], v[18:19], -v[84:85]
	buffer_store_dword v1, off, s[0:3], 0 offset:676
	buffer_store_dword v0, off, s[0:3], 0 offset:672
	;; [unrolled: 1-line block ×4, first 2 shown]
	s_and_saveexec_b64 s[4:5], vcc
	s_cbranch_execz .LBB127_329
; %bb.328:
	v_accvgpr_read_b32 v3, a151
	buffer_load_dword v0, v3, s[0:3], 0 offen
	buffer_load_dword v1, v3, s[0:3], 0 offen offset:4
	buffer_load_dword v2, v3, s[0:3], 0 offen offset:8
	s_nop 0
	buffer_load_dword v3, v3, s[0:3], 0 offen offset:12
	v_mov_b32_e32 v4, 0
	v_accvgpr_read_b32 v5, a192
	buffer_store_dword v4, off, s[0:3], 0 offset:656
	buffer_store_dword v4, off, s[0:3], 0 offset:660
	;; [unrolled: 1-line block ×4, first 2 shown]
	s_waitcnt vmcnt(4)
	ds_write_b128 v5, v[0:3]
.LBB127_329:
	s_or_b64 exec, exec, s[4:5]
	s_waitcnt lgkmcnt(0)
	; wave barrier
	s_waitcnt lgkmcnt(0)
	buffer_load_dword v9, off, s[0:3], 0 offset:684
	buffer_load_dword v6, off, s[0:3], 0 offset:696
	;; [unrolled: 1-line block ×64, first 2 shown]
	v_mov_b32_e32 v96, 0
	ds_read_b128 v[74:77], v96 offset:1680
	ds_read_b128 v[78:81], v96 offset:1696
	buffer_load_dword v67, off, s[0:3], 0 offset:940
	buffer_load_dword v66, off, s[0:3], 0 offset:936
	;; [unrolled: 1-line block ×8, first 2 shown]
	ds_read_b128 v[82:85], v96 offset:1712
	ds_read_b128 v[86:89], v96 offset:1728
	buffer_load_dword v95, off, s[0:3], 0 offset:972
	buffer_load_dword v94, off, s[0:3], 0 offset:968
	;; [unrolled: 1-line block ×24, first 2 shown]
	ds_read_b128 v[166:169], v96 offset:2032
	v_cmp_lt_u32_e32 vcc, 39, v254
	s_waitcnt vmcnt(62) lgkmcnt(1)
	v_mul_f64 v[98:99], v[86:87], v[22:23]
	v_fmac_f64_e32 v[98:99], v[88:89], v[24:25]
	v_mul_f64 v[90:91], v[78:79], v[6:7]
	v_mul_f64 v[0:1], v[74:75], v[8:9]
	;; [unrolled: 1-line block ×3, first 2 shown]
	v_fmac_f64_e32 v[0:1], v[76:77], v[10:11]
	v_add_f64 v[0:1], v[0:1], 0
	v_fma_f64 v[8:9], v[74:75], v[10:11], -v[8:9]
	v_mul_f64 v[6:7], v[80:81], v[6:7]
	v_add_f64 v[8:9], v[8:9], 0
	v_fmac_f64_e32 v[90:91], v[80:81], v[14:15]
	v_add_f64 v[0:1], v[0:1], v[90:91]
	v_mul_f64 v[90:91], v[82:83], v[16:17]
	v_fmac_f64_e32 v[90:91], v[84:85], v[12:13]
	v_add_f64 v[0:1], v[0:1], v[90:91]
	ds_read_b128 v[90:93], v96 offset:1744
	v_add_f64 v[0:1], v[0:1], v[98:99]
	ds_read_b128 v[98:101], v96 offset:1760
	v_fma_f64 v[6:7], v[78:79], v[14:15], -v[6:7]
	v_add_f64 v[6:7], v[8:9], v[6:7]
	s_waitcnt lgkmcnt(1)
	v_mul_f64 v[102:103], v[90:91], v[18:19]
	v_fmac_f64_e32 v[102:103], v[92:93], v[20:21]
	v_add_f64 v[0:1], v[0:1], v[102:103]
	ds_read_b128 v[102:105], v96 offset:1776
	s_waitcnt lgkmcnt(1)
	v_mul_f64 v[106:107], v[98:99], v[30:31]
	v_fmac_f64_e32 v[106:107], v[100:101], v[32:33]
	v_add_f64 v[0:1], v[0:1], v[106:107]
	ds_read_b128 v[106:109], v96 offset:1792
	;; [unrolled: 5-line block ×3, first 2 shown]
	s_waitcnt vmcnt(58) lgkmcnt(1)
	v_mul_f64 v[114:115], v[106:107], v[38:39]
	s_waitcnt vmcnt(56)
	v_fmac_f64_e32 v[114:115], v[108:109], v[40:41]
	v_add_f64 v[0:1], v[0:1], v[114:115]
	ds_read_b128 v[114:117], v96 offset:1824
	s_waitcnt lgkmcnt(1)
	v_mul_f64 v[118:119], v[110:111], v[34:35]
	v_fmac_f64_e32 v[118:119], v[112:113], v[36:37]
	v_add_f64 v[0:1], v[0:1], v[118:119]
	ds_read_b128 v[118:121], v96 offset:1840
	s_waitcnt vmcnt(50) lgkmcnt(1)
	v_mul_f64 v[122:123], v[114:115], v[46:47]
	s_waitcnt vmcnt(48)
	v_fmac_f64_e32 v[122:123], v[116:117], v[48:49]
	v_add_f64 v[0:1], v[0:1], v[122:123]
	ds_read_b128 v[122:125], v96 offset:1856
	v_mul_f64 v[8:9], v[84:85], v[16:17]
	s_waitcnt lgkmcnt(1)
	v_mul_f64 v[126:127], v[118:119], v[42:43]
	v_fma_f64 v[8:9], v[82:83], v[12:13], -v[8:9]
	v_fmac_f64_e32 v[126:127], v[120:121], v[44:45]
	v_add_f64 v[6:7], v[6:7], v[8:9]
	v_mul_f64 v[8:9], v[88:89], v[22:23]
	v_add_f64 v[0:1], v[0:1], v[126:127]
	ds_read_b128 v[126:129], v96 offset:1872
	s_waitcnt vmcnt(42) lgkmcnt(1)
	v_mul_f64 v[130:131], v[122:123], v[54:55]
	v_fma_f64 v[8:9], v[86:87], v[24:25], -v[8:9]
	s_waitcnt vmcnt(40)
	v_fmac_f64_e32 v[130:131], v[124:125], v[56:57]
	v_add_f64 v[6:7], v[6:7], v[8:9]
	v_mul_f64 v[8:9], v[92:93], v[18:19]
	v_add_f64 v[0:1], v[0:1], v[130:131]
	ds_read_b128 v[130:133], v96 offset:1888
	v_fma_f64 v[8:9], v[90:91], v[20:21], -v[8:9]
	v_add_f64 v[6:7], v[6:7], v[8:9]
	v_mul_f64 v[8:9], v[100:101], v[30:31]
	v_fma_f64 v[8:9], v[98:99], v[32:33], -v[8:9]
	s_waitcnt lgkmcnt(1)
	v_mul_f64 v[134:135], v[126:127], v[50:51]
	v_add_f64 v[6:7], v[6:7], v[8:9]
	v_mul_f64 v[8:9], v[104:105], v[26:27]
	v_fmac_f64_e32 v[134:135], v[128:129], v[52:53]
	v_fma_f64 v[8:9], v[102:103], v[28:29], -v[8:9]
	v_add_f64 v[0:1], v[0:1], v[134:135]
	ds_read_b128 v[134:137], v96 offset:1904
	s_waitcnt vmcnt(34) lgkmcnt(1)
	v_mul_f64 v[138:139], v[130:131], v[62:63]
	v_add_f64 v[6:7], v[6:7], v[8:9]
	v_mul_f64 v[8:9], v[108:109], v[38:39]
	s_waitcnt vmcnt(32)
	v_fmac_f64_e32 v[138:139], v[132:133], v[64:65]
	v_fma_f64 v[8:9], v[106:107], v[40:41], -v[8:9]
	v_add_f64 v[0:1], v[0:1], v[138:139]
	ds_read_b128 v[138:141], v96 offset:1920
	v_add_f64 v[6:7], v[6:7], v[8:9]
	v_mul_f64 v[8:9], v[112:113], v[34:35]
	v_fma_f64 v[8:9], v[110:111], v[36:37], -v[8:9]
	v_add_f64 v[6:7], v[6:7], v[8:9]
	v_mul_f64 v[8:9], v[116:117], v[46:47]
	s_waitcnt lgkmcnt(1)
	v_mul_f64 v[142:143], v[134:135], v[58:59]
	v_fma_f64 v[8:9], v[114:115], v[48:49], -v[8:9]
	v_fmac_f64_e32 v[142:143], v[136:137], v[60:61]
	v_add_f64 v[6:7], v[6:7], v[8:9]
	v_mul_f64 v[8:9], v[120:121], v[42:43]
	v_add_f64 v[0:1], v[0:1], v[142:143]
	ds_read_b128 v[142:145], v96 offset:1936
	s_waitcnt vmcnt(26) lgkmcnt(1)
	v_mul_f64 v[146:147], v[138:139], v[70:71]
	v_fma_f64 v[8:9], v[118:119], v[44:45], -v[8:9]
	s_waitcnt vmcnt(24)
	v_fmac_f64_e32 v[146:147], v[140:141], v[72:73]
	v_add_f64 v[6:7], v[6:7], v[8:9]
	v_mul_f64 v[8:9], v[124:125], v[54:55]
	v_add_f64 v[0:1], v[0:1], v[146:147]
	ds_read_b128 v[146:149], v96 offset:1952
	v_fma_f64 v[8:9], v[122:123], v[56:57], -v[8:9]
	v_add_f64 v[6:7], v[6:7], v[8:9]
	v_mul_f64 v[8:9], v[128:129], v[50:51]
	v_fma_f64 v[8:9], v[126:127], v[52:53], -v[8:9]
	s_waitcnt lgkmcnt(1)
	v_mul_f64 v[150:151], v[142:143], v[66:67]
	v_add_f64 v[6:7], v[6:7], v[8:9]
	v_mul_f64 v[8:9], v[132:133], v[62:63]
	v_fmac_f64_e32 v[150:151], v[144:145], v[68:69]
	v_fma_f64 v[8:9], v[130:131], v[64:65], -v[8:9]
	v_add_f64 v[0:1], v[0:1], v[150:151]
	ds_read_b128 v[150:153], v96 offset:1968
	s_waitcnt vmcnt(18) lgkmcnt(1)
	v_mul_f64 v[154:155], v[146:147], v[172:173]
	v_add_f64 v[6:7], v[6:7], v[8:9]
	v_mul_f64 v[8:9], v[136:137], v[58:59]
	s_waitcnt vmcnt(16)
	v_fmac_f64_e32 v[154:155], v[148:149], v[174:175]
	v_fma_f64 v[8:9], v[134:135], v[60:61], -v[8:9]
	v_add_f64 v[0:1], v[0:1], v[154:155]
	ds_read_b128 v[154:157], v96 offset:1984
	v_add_f64 v[6:7], v[6:7], v[8:9]
	v_mul_f64 v[8:9], v[140:141], v[70:71]
	v_fma_f64 v[8:9], v[138:139], v[72:73], -v[8:9]
	v_add_f64 v[6:7], v[6:7], v[8:9]
	v_mul_f64 v[8:9], v[144:145], v[66:67]
	s_waitcnt lgkmcnt(1)
	v_mul_f64 v[158:159], v[150:151], v[94:95]
	v_fma_f64 v[8:9], v[142:143], v[68:69], -v[8:9]
	v_fmac_f64_e32 v[158:159], v[152:153], v[170:171]
	v_add_f64 v[6:7], v[6:7], v[8:9]
	v_mul_f64 v[8:9], v[148:149], v[172:173]
	v_add_f64 v[0:1], v[0:1], v[158:159]
	ds_read_b128 v[158:161], v96 offset:2000
	s_waitcnt vmcnt(10) lgkmcnt(1)
	v_mul_f64 v[162:163], v[154:155], v[180:181]
	v_fma_f64 v[8:9], v[146:147], v[174:175], -v[8:9]
	s_waitcnt vmcnt(8)
	v_fmac_f64_e32 v[162:163], v[156:157], v[182:183]
	v_add_f64 v[6:7], v[6:7], v[8:9]
	v_mul_f64 v[8:9], v[152:153], v[94:95]
	v_add_f64 v[0:1], v[0:1], v[162:163]
	ds_read_b128 v[162:165], v96 offset:2016
	v_fma_f64 v[8:9], v[150:151], v[170:171], -v[8:9]
	v_add_f64 v[6:7], v[6:7], v[8:9]
	v_mul_f64 v[8:9], v[156:157], v[180:181]
	v_fma_f64 v[8:9], v[154:155], v[182:183], -v[8:9]
	v_add_f64 v[6:7], v[6:7], v[8:9]
	s_waitcnt lgkmcnt(1)
	v_mul_f64 v[8:9], v[160:161], v[176:177]
	v_mul_f64 v[192:193], v[158:159], v[176:177]
	v_fma_f64 v[8:9], v[158:159], v[178:179], -v[8:9]
	v_fmac_f64_e32 v[192:193], v[160:161], v[178:179]
	v_add_f64 v[6:7], v[6:7], v[8:9]
	s_waitcnt vmcnt(2) lgkmcnt(0)
	v_mul_f64 v[8:9], v[164:165], v[188:189]
	v_add_f64 v[0:1], v[0:1], v[192:193]
	v_mul_f64 v[192:193], v[162:163], v[188:189]
	s_waitcnt vmcnt(0)
	v_fma_f64 v[8:9], v[162:163], v[190:191], -v[8:9]
	v_fmac_f64_e32 v[192:193], v[164:165], v[190:191]
	v_add_f64 v[6:7], v[6:7], v[8:9]
	v_mul_f64 v[8:9], v[168:169], v[184:185]
	v_add_f64 v[0:1], v[0:1], v[192:193]
	v_mul_f64 v[192:193], v[166:167], v[184:185]
	v_fma_f64 v[8:9], v[166:167], v[186:187], -v[8:9]
	v_fmac_f64_e32 v[192:193], v[168:169], v[186:187]
	v_add_f64 v[6:7], v[6:7], v[8:9]
	v_add_f64 v[0:1], v[0:1], v[192:193]
	v_add_f64 v[4:5], v[4:5], -v[6:7]
	v_add_f64 v[0:1], v[2:3], -v[0:1]
	buffer_store_dword v5, off, s[0:3], 0 offset:660
	buffer_store_dword v4, off, s[0:3], 0 offset:656
	;; [unrolled: 1-line block ×4, first 2 shown]
	s_and_saveexec_b64 s[4:5], vcc
	s_cbranch_execz .LBB127_331
; %bb.330:
	v_accvgpr_read_b32 v3, a152
	buffer_load_dword v0, v3, s[0:3], 0 offen
	buffer_load_dword v1, v3, s[0:3], 0 offen offset:4
	buffer_load_dword v2, v3, s[0:3], 0 offen offset:8
	s_nop 0
	buffer_load_dword v3, v3, s[0:3], 0 offen offset:12
	v_accvgpr_read_b32 v4, a192
	buffer_store_dword v96, off, s[0:3], 0 offset:640
	buffer_store_dword v96, off, s[0:3], 0 offset:644
	;; [unrolled: 1-line block ×4, first 2 shown]
	s_waitcnt vmcnt(4)
	ds_write_b128 v4, v[0:3]
.LBB127_331:
	s_or_b64 exec, exec, s[4:5]
	s_waitcnt lgkmcnt(0)
	; wave barrier
	s_waitcnt lgkmcnt(0)
	buffer_load_dword v22, off, s[0:3], 0 offset:656
	buffer_load_dword v23, off, s[0:3], 0 offset:660
	;; [unrolled: 1-line block ×16, first 2 shown]
	ds_read_b128 v[2:5], v96 offset:1664
	ds_read_b128 v[6:9], v96 offset:1680
	ds_read_b128 v[10:13], v96 offset:1696
	ds_read_b128 v[14:17], v96 offset:1712
	buffer_load_dword v35, off, s[0:3], 0 offset:732
	buffer_load_dword v34, off, s[0:3], 0 offset:728
	;; [unrolled: 1-line block ×48, first 2 shown]
	v_cmp_lt_u32_e32 vcc, 38, v254
	s_waitcnt vmcnt(42) lgkmcnt(0)
	v_mul_f64 v[104:105], v[14:15], v[38:39]
	s_waitcnt vmcnt(40)
	v_fmac_f64_e32 v[104:105], v[16:17], v[40:41]
	v_mul_f64 v[0:1], v[2:3], v[24:25]
	v_fmac_f64_e32 v[0:1], v[4:5], v[22:23]
	v_add_f64 v[0:1], v[0:1], 0
	v_mul_f64 v[4:5], v[4:5], v[24:25]
	v_mul_f64 v[82:83], v[6:7], v[32:33]
	v_fma_f64 v[2:3], v[2:3], v[22:23], -v[4:5]
	v_mul_f64 v[98:99], v[10:11], v[26:27]
	v_fmac_f64_e32 v[98:99], v[12:13], v[30:31]
	v_fmac_f64_e32 v[82:83], v[8:9], v[28:29]
	v_add_f64 v[100:101], v[0:1], v[82:83]
	buffer_load_dword v83, off, s[0:3], 0 offset:924
	buffer_load_dword v82, off, s[0:3], 0 offset:920
	buffer_load_dword v85, off, s[0:3], 0 offset:916
	buffer_load_dword v84, off, s[0:3], 0 offset:912
	buffer_load_dword v87, off, s[0:3], 0 offset:908
	buffer_load_dword v86, off, s[0:3], 0 offset:904
	buffer_load_dword v89, off, s[0:3], 0 offset:900
	buffer_load_dword v88, off, s[0:3], 0 offset:896
	buffer_load_dword v1, off, s[0:3], 0 offset:956
	buffer_load_dword v0, off, s[0:3], 0 offset:952
	buffer_load_dword v91, off, s[0:3], 0 offset:948
	buffer_load_dword v90, off, s[0:3], 0 offset:944
	buffer_load_dword v93, off, s[0:3], 0 offset:940
	buffer_load_dword v92, off, s[0:3], 0 offset:936
	buffer_load_dword v95, off, s[0:3], 0 offset:932
	buffer_load_dword v94, off, s[0:3], 0 offset:928
	buffer_load_dword v179, off, s[0:3], 0 offset:988
	buffer_load_dword v178, off, s[0:3], 0 offset:984
	buffer_load_dword v181, off, s[0:3], 0 offset:980
	buffer_load_dword v180, off, s[0:3], 0 offset:976
	buffer_load_dword v183, off, s[0:3], 0 offset:972
	buffer_load_dword v182, off, s[0:3], 0 offset:968
	buffer_load_dword v185, off, s[0:3], 0 offset:964
	buffer_load_dword v184, off, s[0:3], 0 offset:960
	buffer_load_dword v187, off, s[0:3], 0 offset:1020
	buffer_load_dword v186, off, s[0:3], 0 offset:1016
	buffer_load_dword v189, off, s[0:3], 0 offset:1012
	buffer_load_dword v188, off, s[0:3], 0 offset:1008
	buffer_load_dword v191, off, s[0:3], 0 offset:1004
	buffer_load_dword v190, off, s[0:3], 0 offset:1000
	buffer_load_dword v193, off, s[0:3], 0 offset:996
	buffer_load_dword v192, off, s[0:3], 0 offset:992
	v_add_f64 v[102:103], v[100:101], v[98:99]
	ds_read_b128 v[98:101], v96 offset:1728
	buffer_load_dword v195, off, s[0:3], 0 offset:1036
	buffer_load_dword v194, off, s[0:3], 0 offset:1032
	;; [unrolled: 1-line block ×4, first 2 shown]
	v_add_f64 v[106:107], v[102:103], v[104:105]
	ds_read_b128 v[102:105], v96 offset:1744
	v_mul_f64 v[4:5], v[8:9], v[32:33]
	s_waitcnt lgkmcnt(1)
	v_mul_f64 v[108:109], v[98:99], v[34:35]
	v_fmac_f64_e32 v[108:109], v[100:101], v[36:37]
	v_add_f64 v[110:111], v[106:107], v[108:109]
	ds_read_b128 v[106:109], v96 offset:1760
	s_waitcnt vmcnt(62) lgkmcnt(1)
	v_mul_f64 v[112:113], v[102:103], v[46:47]
	v_fmac_f64_e32 v[112:113], v[104:105], v[48:49]
	v_add_f64 v[114:115], v[110:111], v[112:113]
	ds_read_b128 v[110:113], v96 offset:1776
	s_waitcnt lgkmcnt(1)
	v_mul_f64 v[116:117], v[106:107], v[42:43]
	v_fmac_f64_e32 v[116:117], v[108:109], v[44:45]
	v_add_f64 v[118:119], v[114:115], v[116:117]
	ds_read_b128 v[114:117], v96 offset:1792
	s_waitcnt lgkmcnt(1)
	v_mul_f64 v[120:121], v[110:111], v[54:55]
	s_waitcnt vmcnt(60)
	v_fmac_f64_e32 v[120:121], v[112:113], v[56:57]
	v_add_f64 v[122:123], v[118:119], v[120:121]
	ds_read_b128 v[118:121], v96 offset:1808
	s_waitcnt lgkmcnt(1)
	v_mul_f64 v[124:125], v[114:115], v[50:51]
	v_fmac_f64_e32 v[124:125], v[116:117], v[52:53]
	v_add_f64 v[126:127], v[122:123], v[124:125]
	ds_read_b128 v[122:125], v96 offset:1824
	s_waitcnt vmcnt(54) lgkmcnt(1)
	v_mul_f64 v[128:129], v[118:119], v[62:63]
	s_waitcnt vmcnt(52)
	v_fmac_f64_e32 v[128:129], v[120:121], v[64:65]
	v_add_f64 v[130:131], v[126:127], v[128:129]
	ds_read_b128 v[126:129], v96 offset:1840
	s_waitcnt lgkmcnt(1)
	v_mul_f64 v[132:133], v[122:123], v[58:59]
	v_fmac_f64_e32 v[132:133], v[124:125], v[60:61]
	v_add_f64 v[134:135], v[130:131], v[132:133]
	ds_read_b128 v[130:133], v96 offset:1856
	v_add_f64 v[2:3], v[2:3], 0
	v_fma_f64 v[4:5], v[6:7], v[28:29], -v[4:5]
	v_add_f64 v[2:3], v[2:3], v[4:5]
	v_mul_f64 v[4:5], v[12:13], v[26:27]
	v_fma_f64 v[4:5], v[10:11], v[30:31], -v[4:5]
	s_waitcnt vmcnt(46) lgkmcnt(1)
	v_mul_f64 v[136:137], v[126:127], v[70:71]
	v_add_f64 v[2:3], v[2:3], v[4:5]
	v_mul_f64 v[4:5], v[16:17], v[38:39]
	s_waitcnt vmcnt(44)
	v_fmac_f64_e32 v[136:137], v[128:129], v[72:73]
	v_fma_f64 v[4:5], v[14:15], v[40:41], -v[4:5]
	v_add_f64 v[138:139], v[134:135], v[136:137]
	ds_read_b128 v[134:137], v96 offset:1872
	s_waitcnt lgkmcnt(1)
	v_mul_f64 v[140:141], v[130:131], v[66:67]
	v_add_f64 v[2:3], v[2:3], v[4:5]
	v_mul_f64 v[4:5], v[100:101], v[34:35]
	v_fmac_f64_e32 v[140:141], v[132:133], v[68:69]
	v_fma_f64 v[4:5], v[98:99], v[36:37], -v[4:5]
	v_add_f64 v[142:143], v[138:139], v[140:141]
	ds_read_b128 v[138:141], v96 offset:1888
	v_add_f64 v[2:3], v[2:3], v[4:5]
	v_mul_f64 v[4:5], v[104:105], v[46:47]
	v_fma_f64 v[4:5], v[102:103], v[48:49], -v[4:5]
	v_add_f64 v[2:3], v[2:3], v[4:5]
	v_mul_f64 v[4:5], v[108:109], v[42:43]
	s_waitcnt vmcnt(38) lgkmcnt(1)
	v_mul_f64 v[144:145], v[134:135], v[78:79]
	v_fma_f64 v[4:5], v[106:107], v[44:45], -v[4:5]
	s_waitcnt vmcnt(36)
	v_fmac_f64_e32 v[144:145], v[136:137], v[80:81]
	v_add_f64 v[2:3], v[2:3], v[4:5]
	v_mul_f64 v[4:5], v[112:113], v[54:55]
	v_add_f64 v[146:147], v[142:143], v[144:145]
	ds_read_b128 v[142:145], v96 offset:1904
	s_waitcnt lgkmcnt(1)
	v_mul_f64 v[148:149], v[138:139], v[74:75]
	v_fma_f64 v[4:5], v[110:111], v[56:57], -v[4:5]
	v_fmac_f64_e32 v[148:149], v[140:141], v[76:77]
	v_add_f64 v[2:3], v[2:3], v[4:5]
	v_mul_f64 v[4:5], v[116:117], v[50:51]
	v_add_f64 v[150:151], v[146:147], v[148:149]
	ds_read_b128 v[146:149], v96 offset:1920
	v_fma_f64 v[4:5], v[114:115], v[52:53], -v[4:5]
	v_add_f64 v[2:3], v[2:3], v[4:5]
	v_mul_f64 v[4:5], v[120:121], v[62:63]
	v_fma_f64 v[4:5], v[118:119], v[64:65], -v[4:5]
	s_waitcnt vmcnt(30) lgkmcnt(1)
	v_mul_f64 v[152:153], v[142:143], v[86:87]
	v_add_f64 v[2:3], v[2:3], v[4:5]
	v_mul_f64 v[4:5], v[124:125], v[58:59]
	s_waitcnt vmcnt(28)
	v_fmac_f64_e32 v[152:153], v[144:145], v[88:89]
	v_fma_f64 v[4:5], v[122:123], v[60:61], -v[4:5]
	v_add_f64 v[154:155], v[150:151], v[152:153]
	ds_read_b128 v[150:153], v96 offset:1936
	s_waitcnt lgkmcnt(1)
	v_mul_f64 v[156:157], v[146:147], v[82:83]
	v_add_f64 v[2:3], v[2:3], v[4:5]
	v_mul_f64 v[4:5], v[128:129], v[70:71]
	v_fmac_f64_e32 v[156:157], v[148:149], v[84:85]
	v_fma_f64 v[4:5], v[126:127], v[72:73], -v[4:5]
	v_add_f64 v[158:159], v[154:155], v[156:157]
	ds_read_b128 v[154:157], v96 offset:1952
	v_add_f64 v[2:3], v[2:3], v[4:5]
	v_mul_f64 v[4:5], v[132:133], v[66:67]
	v_fma_f64 v[4:5], v[130:131], v[68:69], -v[4:5]
	v_add_f64 v[2:3], v[2:3], v[4:5]
	v_mul_f64 v[4:5], v[136:137], v[78:79]
	s_waitcnt vmcnt(22) lgkmcnt(1)
	v_mul_f64 v[160:161], v[150:151], v[92:93]
	v_fma_f64 v[4:5], v[134:135], v[80:81], -v[4:5]
	s_waitcnt vmcnt(20)
	v_fmac_f64_e32 v[160:161], v[152:153], v[94:95]
	v_add_f64 v[2:3], v[2:3], v[4:5]
	v_mul_f64 v[4:5], v[140:141], v[74:75]
	v_add_f64 v[162:163], v[158:159], v[160:161]
	ds_read_b128 v[158:161], v96 offset:1968
	s_waitcnt lgkmcnt(1)
	v_mul_f64 v[164:165], v[154:155], v[0:1]
	v_fma_f64 v[4:5], v[138:139], v[76:77], -v[4:5]
	v_fmac_f64_e32 v[164:165], v[156:157], v[90:91]
	v_add_f64 v[2:3], v[2:3], v[4:5]
	v_mul_f64 v[4:5], v[144:145], v[86:87]
	v_add_f64 v[166:167], v[162:163], v[164:165]
	ds_read_b128 v[162:165], v96 offset:1984
	v_fma_f64 v[4:5], v[142:143], v[88:89], -v[4:5]
	v_add_f64 v[2:3], v[2:3], v[4:5]
	v_mul_f64 v[4:5], v[148:149], v[82:83]
	v_fma_f64 v[4:5], v[146:147], v[84:85], -v[4:5]
	s_waitcnt vmcnt(14) lgkmcnt(1)
	v_mul_f64 v[168:169], v[158:159], v[182:183]
	v_add_f64 v[2:3], v[2:3], v[4:5]
	v_mul_f64 v[4:5], v[152:153], v[92:93]
	s_waitcnt vmcnt(12)
	v_fmac_f64_e32 v[168:169], v[160:161], v[184:185]
	v_fma_f64 v[4:5], v[150:151], v[94:95], -v[4:5]
	v_mul_f64 v[0:1], v[156:157], v[0:1]
	v_add_f64 v[170:171], v[166:167], v[168:169]
	ds_read_b128 v[166:169], v96 offset:2000
	s_waitcnt lgkmcnt(1)
	v_mul_f64 v[172:173], v[162:163], v[178:179]
	v_add_f64 v[2:3], v[2:3], v[4:5]
	v_fma_f64 v[0:1], v[154:155], v[90:91], -v[0:1]
	v_fmac_f64_e32 v[172:173], v[164:165], v[180:181]
	v_add_f64 v[0:1], v[2:3], v[0:1]
	v_mul_f64 v[2:3], v[160:161], v[182:183]
	v_add_f64 v[198:199], v[170:171], v[172:173]
	ds_read_b128 v[170:173], v96 offset:2016
	v_fma_f64 v[2:3], v[158:159], v[184:185], -v[2:3]
	v_add_f64 v[0:1], v[0:1], v[2:3]
	v_mul_f64 v[2:3], v[164:165], v[178:179]
	ds_read_b128 v[174:177], v96 offset:2032
	v_fma_f64 v[2:3], v[162:163], v[180:181], -v[2:3]
	v_add_f64 v[0:1], v[0:1], v[2:3]
	s_waitcnt vmcnt(6) lgkmcnt(2)
	v_mul_f64 v[2:3], v[168:169], v[190:191]
	v_mul_f64 v[200:201], v[166:167], v[190:191]
	s_waitcnt vmcnt(4)
	v_fma_f64 v[2:3], v[166:167], v[192:193], -v[2:3]
	v_fmac_f64_e32 v[200:201], v[168:169], v[192:193]
	v_add_f64 v[0:1], v[0:1], v[2:3]
	s_waitcnt lgkmcnt(1)
	v_mul_f64 v[2:3], v[172:173], v[186:187]
	v_add_f64 v[96:97], v[198:199], v[200:201]
	v_mul_f64 v[198:199], v[170:171], v[186:187]
	v_fma_f64 v[2:3], v[170:171], v[188:189], -v[2:3]
	v_fmac_f64_e32 v[198:199], v[172:173], v[188:189]
	v_add_f64 v[0:1], v[0:1], v[2:3]
	s_waitcnt vmcnt(2) lgkmcnt(0)
	v_mul_f64 v[2:3], v[176:177], v[194:195]
	v_add_f64 v[96:97], v[96:97], v[198:199]
	v_mul_f64 v[198:199], v[174:175], v[194:195]
	s_waitcnt vmcnt(0)
	v_fma_f64 v[2:3], v[174:175], v[196:197], -v[2:3]
	v_fmac_f64_e32 v[198:199], v[176:177], v[196:197]
	v_add_f64 v[0:1], v[0:1], v[2:3]
	v_add_f64 v[96:97], v[96:97], v[198:199]
	v_add_f64 v[0:1], v[20:21], -v[0:1]
	v_add_f64 v[2:3], v[18:19], -v[96:97]
	buffer_store_dword v1, off, s[0:3], 0 offset:644
	buffer_store_dword v0, off, s[0:3], 0 offset:640
	;; [unrolled: 1-line block ×4, first 2 shown]
	s_and_saveexec_b64 s[4:5], vcc
	s_cbranch_execz .LBB127_333
; %bb.332:
	v_accvgpr_read_b32 v3, a153
	buffer_load_dword v0, v3, s[0:3], 0 offen
	buffer_load_dword v1, v3, s[0:3], 0 offen offset:4
	buffer_load_dword v2, v3, s[0:3], 0 offen offset:8
	s_nop 0
	buffer_load_dword v3, v3, s[0:3], 0 offen offset:12
	v_mov_b32_e32 v4, 0
	v_accvgpr_read_b32 v5, a192
	buffer_store_dword v4, off, s[0:3], 0 offset:624
	buffer_store_dword v4, off, s[0:3], 0 offset:628
	;; [unrolled: 1-line block ×4, first 2 shown]
	s_waitcnt vmcnt(4)
	ds_write_b128 v5, v[0:3]
.LBB127_333:
	s_or_b64 exec, exec, s[4:5]
	s_waitcnt lgkmcnt(0)
	; wave barrier
	s_waitcnt lgkmcnt(0)
	buffer_load_dword v22, off, s[0:3], 0 offset:640
	buffer_load_dword v23, off, s[0:3], 0 offset:644
	;; [unrolled: 1-line block ×64, first 2 shown]
	v_mov_b32_e32 v112, 0
	ds_read_b128 v[18:21], v112 offset:1648
	ds_read_b128 v[14:17], v112 offset:1664
	ds_read_b128 v[10:13], v112 offset:1680
	ds_read_b128 v[6:9], v112 offset:1696
	ds_read_b128 v[2:5], v112 offset:1712
	v_cmp_lt_u32_e32 vcc, 37, v254
	s_waitcnt vmcnt(60) lgkmcnt(4)
	v_mul_f64 v[0:1], v[18:19], v[26:27]
	v_fmac_f64_e32 v[0:1], v[20:21], v[22:23]
	v_add_f64 v[0:1], v[0:1], 0
	v_mul_f64 v[20:21], v[20:21], v[26:27]
	s_waitcnt vmcnt(56) lgkmcnt(3)
	v_mul_f64 v[86:87], v[14:15], v[28:29]
	v_fmac_f64_e32 v[86:87], v[16:17], v[24:25]
	s_waitcnt vmcnt(54) lgkmcnt(2)
	v_mul_f64 v[88:89], v[10:11], v[30:31]
	v_add_f64 v[0:1], v[0:1], v[86:87]
	v_fma_f64 v[18:19], v[18:19], v[22:23], -v[20:21]
	v_mul_f64 v[16:17], v[16:17], v[28:29]
	s_waitcnt vmcnt(50) lgkmcnt(1)
	v_mul_f64 v[102:103], v[6:7], v[40:41]
	v_add_f64 v[18:19], v[18:19], 0
	s_waitcnt vmcnt(48)
	v_fmac_f64_e32 v[88:89], v[12:13], v[44:45]
	v_add_f64 v[0:1], v[0:1], v[88:89]
	buffer_load_dword v87, off, s[0:3], 0 offset:908
	buffer_load_dword v86, off, s[0:3], 0 offset:904
	;; [unrolled: 1-line block ×40, first 2 shown]
	s_waitcnt vmcnt(62)
	v_fmac_f64_e32 v[102:103], v[8:9], v[42:43]
	v_add_f64 v[0:1], v[0:1], v[102:103]
	ds_read_b128 v[102:105], v112 offset:1728
	s_waitcnt lgkmcnt(1)
	v_mul_f64 v[106:107], v[2:3], v[36:37]
	v_fmac_f64_e32 v[106:107], v[4:5], v[38:39]
	v_add_f64 v[0:1], v[0:1], v[106:107]
	ds_read_b128 v[106:109], v112 offset:1744
	s_waitcnt lgkmcnt(1)
	v_mul_f64 v[114:115], v[102:103], v[50:51]
	;; [unrolled: 5-line block ×5, first 2 shown]
	v_fmac_f64_e32 v[126:127], v[120:121], v[56:57]
	v_add_f64 v[0:1], v[0:1], v[126:127]
	ds_read_b128 v[126:129], v112 offset:1808
	s_waitcnt vmcnt(58) lgkmcnt(1)
	v_mul_f64 v[130:131], v[122:123], v[66:67]
	s_waitcnt vmcnt(56)
	v_fmac_f64_e32 v[130:131], v[124:125], v[68:69]
	v_add_f64 v[0:1], v[0:1], v[130:131]
	ds_read_b128 v[130:133], v112 offset:1824
	s_waitcnt lgkmcnt(1)
	v_mul_f64 v[134:135], v[126:127], v[62:63]
	v_fmac_f64_e32 v[134:135], v[128:129], v[64:65]
	v_add_f64 v[0:1], v[0:1], v[134:135]
	ds_read_b128 v[134:137], v112 offset:1840
	s_waitcnt vmcnt(50) lgkmcnt(1)
	v_mul_f64 v[138:139], v[130:131], v[74:75]
	s_waitcnt vmcnt(48)
	v_fmac_f64_e32 v[138:139], v[132:133], v[76:77]
	v_add_f64 v[0:1], v[0:1], v[138:139]
	ds_read_b128 v[138:141], v112 offset:1856
	v_fma_f64 v[14:15], v[14:15], v[24:25], -v[16:17]
	v_mul_f64 v[12:13], v[12:13], v[30:31]
	v_add_f64 v[14:15], v[18:19], v[14:15]
	v_fma_f64 v[10:11], v[10:11], v[44:45], -v[12:13]
	v_mul_f64 v[8:9], v[8:9], v[40:41]
	s_waitcnt lgkmcnt(1)
	v_mul_f64 v[142:143], v[134:135], v[70:71]
	v_add_f64 v[10:11], v[14:15], v[10:11]
	v_fma_f64 v[6:7], v[6:7], v[42:43], -v[8:9]
	v_mul_f64 v[4:5], v[4:5], v[36:37]
	v_fmac_f64_e32 v[142:143], v[136:137], v[72:73]
	v_add_f64 v[6:7], v[10:11], v[6:7]
	v_fma_f64 v[2:3], v[2:3], v[38:39], -v[4:5]
	v_mul_f64 v[4:5], v[104:105], v[50:51]
	v_add_f64 v[0:1], v[0:1], v[142:143]
	ds_read_b128 v[142:145], v112 offset:1872
	s_waitcnt vmcnt(42) lgkmcnt(1)
	v_mul_f64 v[146:147], v[138:139], v[82:83]
	v_add_f64 v[2:3], v[6:7], v[2:3]
	v_fma_f64 v[4:5], v[102:103], v[52:53], -v[4:5]
	s_waitcnt vmcnt(40)
	v_fmac_f64_e32 v[146:147], v[140:141], v[84:85]
	v_add_f64 v[2:3], v[2:3], v[4:5]
	v_mul_f64 v[4:5], v[108:109], v[46:47]
	v_add_f64 v[0:1], v[0:1], v[146:147]
	ds_read_b128 v[146:149], v112 offset:1888
	v_fma_f64 v[4:5], v[106:107], v[48:49], -v[4:5]
	v_add_f64 v[2:3], v[2:3], v[4:5]
	v_mul_f64 v[4:5], v[116:117], v[58:59]
	v_fma_f64 v[4:5], v[114:115], v[60:61], -v[4:5]
	s_waitcnt lgkmcnt(1)
	v_mul_f64 v[150:151], v[142:143], v[78:79]
	v_add_f64 v[2:3], v[2:3], v[4:5]
	v_mul_f64 v[4:5], v[120:121], v[54:55]
	v_fmac_f64_e32 v[150:151], v[144:145], v[80:81]
	v_fma_f64 v[4:5], v[118:119], v[56:57], -v[4:5]
	v_add_f64 v[0:1], v[0:1], v[150:151]
	ds_read_b128 v[150:153], v112 offset:1904
	s_waitcnt vmcnt(34) lgkmcnt(1)
	v_mul_f64 v[154:155], v[146:147], v[90:91]
	v_add_f64 v[2:3], v[2:3], v[4:5]
	v_mul_f64 v[4:5], v[124:125], v[66:67]
	s_waitcnt vmcnt(32)
	v_fmac_f64_e32 v[154:155], v[148:149], v[92:93]
	v_fma_f64 v[4:5], v[122:123], v[68:69], -v[4:5]
	v_add_f64 v[0:1], v[0:1], v[154:155]
	ds_read_b128 v[154:157], v112 offset:1920
	v_add_f64 v[2:3], v[2:3], v[4:5]
	v_mul_f64 v[4:5], v[128:129], v[62:63]
	v_fma_f64 v[4:5], v[126:127], v[64:65], -v[4:5]
	v_add_f64 v[2:3], v[2:3], v[4:5]
	v_mul_f64 v[4:5], v[132:133], v[74:75]
	s_waitcnt lgkmcnt(1)
	v_mul_f64 v[158:159], v[150:151], v[86:87]
	v_fma_f64 v[4:5], v[130:131], v[76:77], -v[4:5]
	v_fmac_f64_e32 v[158:159], v[152:153], v[88:89]
	v_add_f64 v[2:3], v[2:3], v[4:5]
	v_mul_f64 v[4:5], v[136:137], v[70:71]
	v_add_f64 v[0:1], v[0:1], v[158:159]
	ds_read_b128 v[158:161], v112 offset:1936
	s_waitcnt vmcnt(26) lgkmcnt(1)
	v_mul_f64 v[162:163], v[154:155], v[98:99]
	v_fma_f64 v[4:5], v[134:135], v[72:73], -v[4:5]
	s_waitcnt vmcnt(24)
	v_fmac_f64_e32 v[162:163], v[156:157], v[100:101]
	v_add_f64 v[2:3], v[2:3], v[4:5]
	v_mul_f64 v[4:5], v[140:141], v[82:83]
	v_add_f64 v[0:1], v[0:1], v[162:163]
	ds_read_b128 v[162:165], v112 offset:1952
	v_fma_f64 v[4:5], v[138:139], v[84:85], -v[4:5]
	v_add_f64 v[2:3], v[2:3], v[4:5]
	v_mul_f64 v[4:5], v[144:145], v[78:79]
	v_fma_f64 v[4:5], v[142:143], v[80:81], -v[4:5]
	s_waitcnt lgkmcnt(1)
	v_mul_f64 v[166:167], v[158:159], v[94:95]
	v_add_f64 v[2:3], v[2:3], v[4:5]
	v_mul_f64 v[4:5], v[148:149], v[90:91]
	v_fmac_f64_e32 v[166:167], v[160:161], v[96:97]
	v_fma_f64 v[4:5], v[146:147], v[92:93], -v[4:5]
	v_add_f64 v[0:1], v[0:1], v[166:167]
	ds_read_b128 v[166:169], v112 offset:1968
	s_waitcnt vmcnt(18) lgkmcnt(1)
	v_mul_f64 v[170:171], v[162:163], v[188:189]
	v_add_f64 v[2:3], v[2:3], v[4:5]
	v_mul_f64 v[4:5], v[152:153], v[86:87]
	s_waitcnt vmcnt(16)
	v_fmac_f64_e32 v[170:171], v[164:165], v[190:191]
	v_fma_f64 v[4:5], v[150:151], v[88:89], -v[4:5]
	v_add_f64 v[0:1], v[0:1], v[170:171]
	ds_read_b128 v[170:173], v112 offset:1984
	v_add_f64 v[2:3], v[2:3], v[4:5]
	v_mul_f64 v[4:5], v[156:157], v[98:99]
	v_fma_f64 v[4:5], v[154:155], v[100:101], -v[4:5]
	v_add_f64 v[2:3], v[2:3], v[4:5]
	v_mul_f64 v[4:5], v[160:161], v[94:95]
	s_waitcnt lgkmcnt(1)
	v_mul_f64 v[174:175], v[166:167], v[110:111]
	v_fma_f64 v[4:5], v[158:159], v[96:97], -v[4:5]
	v_fmac_f64_e32 v[174:175], v[168:169], v[186:187]
	v_add_f64 v[2:3], v[2:3], v[4:5]
	v_mul_f64 v[4:5], v[164:165], v[188:189]
	v_add_f64 v[0:1], v[0:1], v[174:175]
	ds_read_b128 v[174:177], v112 offset:2000
	s_waitcnt vmcnt(10) lgkmcnt(1)
	v_mul_f64 v[178:179], v[170:171], v[196:197]
	v_fma_f64 v[4:5], v[162:163], v[190:191], -v[4:5]
	s_waitcnt vmcnt(8)
	v_fmac_f64_e32 v[178:179], v[172:173], v[198:199]
	v_add_f64 v[2:3], v[2:3], v[4:5]
	v_mul_f64 v[4:5], v[168:169], v[110:111]
	v_add_f64 v[0:1], v[0:1], v[178:179]
	ds_read_b128 v[178:181], v112 offset:2016
	ds_read_b128 v[182:185], v112 offset:2032
	v_fma_f64 v[4:5], v[166:167], v[186:187], -v[4:5]
	v_add_f64 v[2:3], v[2:3], v[4:5]
	v_mul_f64 v[4:5], v[172:173], v[196:197]
	v_fma_f64 v[4:5], v[170:171], v[198:199], -v[4:5]
	v_add_f64 v[2:3], v[2:3], v[4:5]
	s_waitcnt lgkmcnt(2)
	v_mul_f64 v[4:5], v[176:177], v[192:193]
	v_mul_f64 v[208:209], v[174:175], v[192:193]
	v_fma_f64 v[4:5], v[174:175], v[194:195], -v[4:5]
	v_fmac_f64_e32 v[208:209], v[176:177], v[194:195]
	v_add_f64 v[2:3], v[2:3], v[4:5]
	s_waitcnt vmcnt(2) lgkmcnt(1)
	v_mul_f64 v[4:5], v[180:181], v[204:205]
	v_add_f64 v[0:1], v[0:1], v[208:209]
	v_mul_f64 v[208:209], v[178:179], v[204:205]
	s_waitcnt vmcnt(0)
	v_fma_f64 v[4:5], v[178:179], v[206:207], -v[4:5]
	v_fmac_f64_e32 v[208:209], v[180:181], v[206:207]
	v_add_f64 v[2:3], v[2:3], v[4:5]
	s_waitcnt lgkmcnt(0)
	v_mul_f64 v[4:5], v[184:185], v[200:201]
	v_add_f64 v[0:1], v[0:1], v[208:209]
	v_mul_f64 v[208:209], v[182:183], v[200:201]
	v_fma_f64 v[4:5], v[182:183], v[202:203], -v[4:5]
	v_fmac_f64_e32 v[208:209], v[184:185], v[202:203]
	v_add_f64 v[2:3], v[2:3], v[4:5]
	v_add_f64 v[0:1], v[0:1], v[208:209]
	v_add_f64 v[2:3], v[34:35], -v[2:3]
	v_add_f64 v[0:1], v[32:33], -v[0:1]
	buffer_store_dword v3, off, s[0:3], 0 offset:628
	buffer_store_dword v2, off, s[0:3], 0 offset:624
	;; [unrolled: 1-line block ×4, first 2 shown]
	s_and_saveexec_b64 s[4:5], vcc
	s_cbranch_execz .LBB127_335
; %bb.334:
	v_accvgpr_read_b32 v3, a154
	buffer_load_dword v0, v3, s[0:3], 0 offen
	buffer_load_dword v1, v3, s[0:3], 0 offen offset:4
	buffer_load_dword v2, v3, s[0:3], 0 offen offset:8
	s_nop 0
	buffer_load_dword v3, v3, s[0:3], 0 offen offset:12
	v_accvgpr_read_b32 v4, a192
	buffer_store_dword v112, off, s[0:3], 0 offset:608
	buffer_store_dword v112, off, s[0:3], 0 offset:612
	;; [unrolled: 1-line block ×4, first 2 shown]
	s_waitcnt vmcnt(4)
	ds_write_b128 v4, v[0:3]
.LBB127_335:
	s_or_b64 exec, exec, s[4:5]
	s_waitcnt lgkmcnt(0)
	; wave barrier
	s_waitcnt lgkmcnt(0)
	buffer_load_dword v26, off, s[0:3], 0 offset:624
	buffer_load_dword v27, off, s[0:3], 0 offset:628
	;; [unrolled: 1-line block ×24, first 2 shown]
	ds_read_b128 v[22:25], v112 offset:1632
	ds_read_b128 v[18:21], v112 offset:1648
	;; [unrolled: 1-line block ×6, first 2 shown]
	buffer_load_dword v51, off, s[0:3], 0 offset:732
	buffer_load_dword v50, off, s[0:3], 0 offset:728
	;; [unrolled: 1-line block ×40, first 2 shown]
	v_cmp_lt_u32_e32 vcc, 36, v254
	s_waitcnt vmcnt(34) lgkmcnt(0)
	v_mul_f64 v[120:121], v[14:15], v[54:55]
	s_waitcnt vmcnt(32)
	v_fmac_f64_e32 v[120:121], v[16:17], v[56:57]
	v_mul_f64 v[0:1], v[22:23], v[28:29]
	v_fmac_f64_e32 v[0:1], v[24:25], v[26:27]
	v_mul_f64 v[90:91], v[18:19], v[30:31]
	v_add_f64 v[0:1], v[0:1], 0
	v_mul_f64 v[92:93], v[10:11], v[32:33]
	v_mul_f64 v[24:25], v[24:25], v[28:29]
	;; [unrolled: 1-line block ×3, first 2 shown]
	v_fma_f64 v[22:23], v[22:23], v[26:27], -v[24:25]
	v_add_f64 v[22:23], v[22:23], 0
	v_mul_f64 v[94:95], v[6:7], v[42:43]
	v_fmac_f64_e32 v[90:91], v[20:21], v[48:49]
	v_add_f64 v[0:1], v[0:1], v[90:91]
	v_fmac_f64_e32 v[92:93], v[12:13], v[46:47]
	v_add_f64 v[0:1], v[0:1], v[92:93]
	;; [unrolled: 2-line block ×3, first 2 shown]
	buffer_load_dword v91, off, s[0:3], 0 offset:892
	buffer_load_dword v90, off, s[0:3], 0 offset:888
	;; [unrolled: 1-line block ×40, first 2 shown]
	v_fmac_f64_e32 v[114:115], v[4:5], v[40:41]
	v_add_f64 v[118:119], v[116:117], v[114:115]
	ds_read_b128 v[114:117], v112 offset:1728
	buffer_load_dword v211, off, s[0:3], 0 offset:1036
	buffer_load_dword v210, off, s[0:3], 0 offset:1032
	;; [unrolled: 1-line block ×4, first 2 shown]
	v_add_f64 v[122:123], v[118:119], v[120:121]
	ds_read_b128 v[118:121], v112 offset:1744
	v_mul_f64 v[20:21], v[20:21], v[30:31]
	s_waitcnt lgkmcnt(1)
	v_mul_f64 v[124:125], v[114:115], v[50:51]
	v_fmac_f64_e32 v[124:125], v[116:117], v[52:53]
	v_add_f64 v[126:127], v[122:123], v[124:125]
	ds_read_b128 v[122:125], v112 offset:1760
	s_waitcnt vmcnt(62) lgkmcnt(1)
	v_mul_f64 v[128:129], v[118:119], v[62:63]
	v_fmac_f64_e32 v[128:129], v[120:121], v[64:65]
	v_add_f64 v[130:131], v[126:127], v[128:129]
	ds_read_b128 v[126:129], v112 offset:1776
	s_waitcnt lgkmcnt(1)
	v_mul_f64 v[132:133], v[122:123], v[58:59]
	v_fmac_f64_e32 v[132:133], v[124:125], v[60:61]
	v_add_f64 v[134:135], v[130:131], v[132:133]
	ds_read_b128 v[130:133], v112 offset:1792
	s_waitcnt lgkmcnt(1)
	v_mul_f64 v[136:137], v[126:127], v[70:71]
	s_waitcnt vmcnt(60)
	v_fmac_f64_e32 v[136:137], v[128:129], v[72:73]
	v_add_f64 v[138:139], v[134:135], v[136:137]
	ds_read_b128 v[134:137], v112 offset:1808
	s_waitcnt lgkmcnt(1)
	v_mul_f64 v[140:141], v[130:131], v[66:67]
	v_fmac_f64_e32 v[140:141], v[132:133], v[68:69]
	v_add_f64 v[142:143], v[138:139], v[140:141]
	ds_read_b128 v[138:141], v112 offset:1824
	s_waitcnt vmcnt(54) lgkmcnt(1)
	v_mul_f64 v[144:145], v[134:135], v[78:79]
	s_waitcnt vmcnt(52)
	v_fmac_f64_e32 v[144:145], v[136:137], v[80:81]
	v_add_f64 v[146:147], v[142:143], v[144:145]
	ds_read_b128 v[142:145], v112 offset:1840
	s_waitcnt lgkmcnt(1)
	v_mul_f64 v[148:149], v[138:139], v[74:75]
	v_fmac_f64_e32 v[148:149], v[140:141], v[76:77]
	v_add_f64 v[150:151], v[146:147], v[148:149]
	ds_read_b128 v[146:149], v112 offset:1856
	v_fma_f64 v[18:19], v[18:19], v[48:49], -v[20:21]
	v_mul_f64 v[12:13], v[12:13], v[32:33]
	v_add_f64 v[18:19], v[22:23], v[18:19]
	v_fma_f64 v[10:11], v[10:11], v[46:47], -v[12:13]
	v_mul_f64 v[8:9], v[8:9], v[42:43]
	v_add_f64 v[10:11], v[18:19], v[10:11]
	v_fma_f64 v[6:7], v[6:7], v[44:45], -v[8:9]
	v_mul_f64 v[4:5], v[4:5], v[38:39]
	s_waitcnt vmcnt(46) lgkmcnt(1)
	v_mul_f64 v[152:153], v[142:143], v[86:87]
	v_add_f64 v[6:7], v[10:11], v[6:7]
	v_fma_f64 v[2:3], v[2:3], v[40:41], -v[4:5]
	v_mul_f64 v[4:5], v[16:17], v[54:55]
	s_waitcnt vmcnt(44)
	v_fmac_f64_e32 v[152:153], v[144:145], v[88:89]
	v_add_f64 v[2:3], v[6:7], v[2:3]
	v_fma_f64 v[4:5], v[14:15], v[56:57], -v[4:5]
	v_add_f64 v[154:155], v[150:151], v[152:153]
	ds_read_b128 v[150:153], v112 offset:1872
	s_waitcnt lgkmcnt(1)
	v_mul_f64 v[156:157], v[146:147], v[82:83]
	v_add_f64 v[2:3], v[2:3], v[4:5]
	v_mul_f64 v[4:5], v[116:117], v[50:51]
	v_fmac_f64_e32 v[156:157], v[148:149], v[84:85]
	v_fma_f64 v[4:5], v[114:115], v[52:53], -v[4:5]
	v_add_f64 v[158:159], v[154:155], v[156:157]
	ds_read_b128 v[154:157], v112 offset:1888
	v_add_f64 v[2:3], v[2:3], v[4:5]
	v_mul_f64 v[4:5], v[120:121], v[62:63]
	v_fma_f64 v[4:5], v[118:119], v[64:65], -v[4:5]
	v_add_f64 v[2:3], v[2:3], v[4:5]
	v_mul_f64 v[4:5], v[124:125], v[58:59]
	s_waitcnt vmcnt(38) lgkmcnt(1)
	v_mul_f64 v[160:161], v[150:151], v[94:95]
	v_fma_f64 v[4:5], v[122:123], v[60:61], -v[4:5]
	s_waitcnt vmcnt(36)
	v_fmac_f64_e32 v[160:161], v[152:153], v[96:97]
	v_add_f64 v[2:3], v[2:3], v[4:5]
	v_mul_f64 v[4:5], v[128:129], v[70:71]
	v_add_f64 v[162:163], v[158:159], v[160:161]
	ds_read_b128 v[158:161], v112 offset:1904
	s_waitcnt lgkmcnt(1)
	v_mul_f64 v[164:165], v[154:155], v[90:91]
	v_fma_f64 v[4:5], v[126:127], v[72:73], -v[4:5]
	v_fmac_f64_e32 v[164:165], v[156:157], v[92:93]
	v_add_f64 v[2:3], v[2:3], v[4:5]
	v_mul_f64 v[4:5], v[132:133], v[66:67]
	v_add_f64 v[166:167], v[162:163], v[164:165]
	ds_read_b128 v[162:165], v112 offset:1920
	v_fma_f64 v[4:5], v[130:131], v[68:69], -v[4:5]
	v_add_f64 v[2:3], v[2:3], v[4:5]
	v_mul_f64 v[4:5], v[136:137], v[78:79]
	v_fma_f64 v[4:5], v[134:135], v[80:81], -v[4:5]
	s_waitcnt vmcnt(30) lgkmcnt(1)
	v_mul_f64 v[168:169], v[158:159], v[102:103]
	v_add_f64 v[2:3], v[2:3], v[4:5]
	v_mul_f64 v[4:5], v[140:141], v[74:75]
	s_waitcnt vmcnt(28)
	v_fmac_f64_e32 v[168:169], v[160:161], v[104:105]
	v_fma_f64 v[4:5], v[138:139], v[76:77], -v[4:5]
	v_add_f64 v[170:171], v[166:167], v[168:169]
	ds_read_b128 v[166:169], v112 offset:1936
	s_waitcnt lgkmcnt(1)
	v_mul_f64 v[172:173], v[162:163], v[98:99]
	v_add_f64 v[2:3], v[2:3], v[4:5]
	v_mul_f64 v[4:5], v[144:145], v[86:87]
	v_fmac_f64_e32 v[172:173], v[164:165], v[100:101]
	v_fma_f64 v[4:5], v[142:143], v[88:89], -v[4:5]
	v_add_f64 v[174:175], v[170:171], v[172:173]
	ds_read_b128 v[170:173], v112 offset:1952
	v_add_f64 v[2:3], v[2:3], v[4:5]
	v_mul_f64 v[4:5], v[148:149], v[82:83]
	v_fma_f64 v[4:5], v[146:147], v[84:85], -v[4:5]
	v_add_f64 v[2:3], v[2:3], v[4:5]
	v_mul_f64 v[4:5], v[152:153], v[94:95]
	s_waitcnt vmcnt(22) lgkmcnt(1)
	v_mul_f64 v[176:177], v[166:167], v[0:1]
	v_fma_f64 v[4:5], v[150:151], v[96:97], -v[4:5]
	s_waitcnt vmcnt(20)
	v_fmac_f64_e32 v[176:177], v[168:169], v[110:111]
	v_add_f64 v[2:3], v[2:3], v[4:5]
	v_mul_f64 v[4:5], v[156:157], v[90:91]
	v_add_f64 v[178:179], v[174:175], v[176:177]
	ds_read_b128 v[174:177], v112 offset:1968
	s_waitcnt lgkmcnt(1)
	v_mul_f64 v[180:181], v[170:171], v[106:107]
	v_fma_f64 v[4:5], v[154:155], v[92:93], -v[4:5]
	v_fmac_f64_e32 v[180:181], v[172:173], v[108:109]
	v_add_f64 v[2:3], v[2:3], v[4:5]
	v_mul_f64 v[4:5], v[160:161], v[102:103]
	v_add_f64 v[182:183], v[178:179], v[180:181]
	ds_read_b128 v[178:181], v112 offset:1984
	v_fma_f64 v[4:5], v[158:159], v[104:105], -v[4:5]
	v_add_f64 v[2:3], v[2:3], v[4:5]
	v_mul_f64 v[4:5], v[164:165], v[98:99]
	v_fma_f64 v[4:5], v[162:163], v[100:101], -v[4:5]
	v_mul_f64 v[0:1], v[168:169], v[0:1]
	s_waitcnt vmcnt(14) lgkmcnt(1)
	v_mul_f64 v[184:185], v[174:175], v[198:199]
	v_add_f64 v[2:3], v[2:3], v[4:5]
	v_fma_f64 v[0:1], v[166:167], v[110:111], -v[0:1]
	s_waitcnt vmcnt(12)
	v_fmac_f64_e32 v[184:185], v[176:177], v[200:201]
	v_add_f64 v[0:1], v[2:3], v[0:1]
	v_mul_f64 v[2:3], v[172:173], v[106:107]
	v_add_f64 v[186:187], v[182:183], v[184:185]
	ds_read_b128 v[182:185], v112 offset:2000
	s_waitcnt lgkmcnt(1)
	v_mul_f64 v[188:189], v[178:179], v[194:195]
	v_fma_f64 v[2:3], v[170:171], v[108:109], -v[2:3]
	v_fmac_f64_e32 v[188:189], v[180:181], v[196:197]
	v_add_f64 v[0:1], v[0:1], v[2:3]
	v_mul_f64 v[2:3], v[176:177], v[198:199]
	v_add_f64 v[214:215], v[186:187], v[188:189]
	ds_read_b128 v[186:189], v112 offset:2016
	v_fma_f64 v[2:3], v[174:175], v[200:201], -v[2:3]
	v_add_f64 v[0:1], v[0:1], v[2:3]
	v_mul_f64 v[2:3], v[180:181], v[194:195]
	ds_read_b128 v[190:193], v112 offset:2032
	v_fma_f64 v[2:3], v[178:179], v[196:197], -v[2:3]
	v_add_f64 v[0:1], v[0:1], v[2:3]
	s_waitcnt vmcnt(6) lgkmcnt(2)
	v_mul_f64 v[2:3], v[184:185], v[206:207]
	v_mul_f64 v[216:217], v[182:183], v[206:207]
	s_waitcnt vmcnt(4)
	v_fma_f64 v[2:3], v[182:183], v[208:209], -v[2:3]
	v_fmac_f64_e32 v[216:217], v[184:185], v[208:209]
	v_add_f64 v[0:1], v[0:1], v[2:3]
	s_waitcnt lgkmcnt(1)
	v_mul_f64 v[2:3], v[188:189], v[202:203]
	v_add_f64 v[112:113], v[214:215], v[216:217]
	v_mul_f64 v[214:215], v[186:187], v[202:203]
	v_fma_f64 v[2:3], v[186:187], v[204:205], -v[2:3]
	v_fmac_f64_e32 v[214:215], v[188:189], v[204:205]
	v_add_f64 v[0:1], v[0:1], v[2:3]
	s_waitcnt vmcnt(2) lgkmcnt(0)
	v_mul_f64 v[2:3], v[192:193], v[210:211]
	v_add_f64 v[112:113], v[112:113], v[214:215]
	v_mul_f64 v[214:215], v[190:191], v[210:211]
	s_waitcnt vmcnt(0)
	v_fma_f64 v[2:3], v[190:191], v[212:213], -v[2:3]
	v_fmac_f64_e32 v[214:215], v[192:193], v[212:213]
	v_add_f64 v[0:1], v[0:1], v[2:3]
	v_add_f64 v[112:113], v[112:113], v[214:215]
	v_add_f64 v[0:1], v[36:37], -v[0:1]
	v_add_f64 v[2:3], v[34:35], -v[112:113]
	buffer_store_dword v1, off, s[0:3], 0 offset:612
	buffer_store_dword v0, off, s[0:3], 0 offset:608
	;; [unrolled: 1-line block ×4, first 2 shown]
	s_and_saveexec_b64 s[4:5], vcc
	s_cbranch_execz .LBB127_337
; %bb.336:
	v_accvgpr_read_b32 v3, a155
	buffer_load_dword v0, v3, s[0:3], 0 offen
	buffer_load_dword v1, v3, s[0:3], 0 offen offset:4
	buffer_load_dword v2, v3, s[0:3], 0 offen offset:8
	s_nop 0
	buffer_load_dword v3, v3, s[0:3], 0 offen offset:12
	v_mov_b32_e32 v4, 0
	v_accvgpr_read_b32 v5, a192
	buffer_store_dword v4, off, s[0:3], 0 offset:592
	buffer_store_dword v4, off, s[0:3], 0 offset:596
	;; [unrolled: 1-line block ×4, first 2 shown]
	s_waitcnt vmcnt(4)
	ds_write_b128 v5, v[0:3]
.LBB127_337:
	s_or_b64 exec, exec, s[4:5]
	s_waitcnt lgkmcnt(0)
	; wave barrier
	s_waitcnt lgkmcnt(0)
	buffer_load_dword v30, off, s[0:3], 0 offset:608
	buffer_load_dword v31, off, s[0:3], 0 offset:612
	;; [unrolled: 1-line block ×56, first 2 shown]
	v_mov_b32_e32 v134, 0
	ds_read_b128 v[26:29], v134 offset:1616
	ds_read_b128 v[22:25], v134 offset:1632
	;; [unrolled: 1-line block ×7, first 2 shown]
	v_cmp_lt_u32_e32 vcc, 35, v254
	s_waitcnt vmcnt(52) lgkmcnt(6)
	v_mul_f64 v[0:1], v[26:27], v[34:35]
	v_fmac_f64_e32 v[0:1], v[28:29], v[30:31]
	v_add_f64 v[0:1], v[0:1], 0
	v_mul_f64 v[28:29], v[28:29], v[34:35]
	s_waitcnt vmcnt(48) lgkmcnt(5)
	v_mul_f64 v[86:87], v[22:23], v[36:37]
	v_fmac_f64_e32 v[86:87], v[24:25], v[32:33]
	s_waitcnt vmcnt(46) lgkmcnt(4)
	v_mul_f64 v[88:89], v[18:19], v[38:39]
	v_add_f64 v[0:1], v[0:1], v[86:87]
	s_waitcnt vmcnt(44) lgkmcnt(2)
	v_mul_f64 v[92:93], v[10:11], v[40:41]
	v_fma_f64 v[26:27], v[26:27], v[30:31], -v[28:29]
	s_waitcnt vmcnt(42)
	v_fmac_f64_e32 v[92:93], v[12:13], v[42:43]
	v_mul_f64 v[24:25], v[24:25], v[36:37]
	s_waitcnt vmcnt(40)
	v_mul_f64 v[90:91], v[14:15], v[48:49]
	v_add_f64 v[26:27], v[26:27], 0
	v_fma_f64 v[22:23], v[22:23], v[32:33], -v[24:25]
	v_add_f64 v[22:23], v[26:27], v[22:23]
	s_waitcnt vmcnt(36) lgkmcnt(1)
	v_mul_f64 v[110:111], v[6:7], v[54:55]
	v_mul_f64 v[12:13], v[12:13], v[40:41]
	s_waitcnt vmcnt(34)
	v_fmac_f64_e32 v[88:89], v[20:21], v[60:61]
	v_add_f64 v[0:1], v[0:1], v[88:89]
	s_waitcnt vmcnt(32)
	v_fmac_f64_e32 v[90:91], v[16:17], v[58:59]
	v_add_f64 v[0:1], v[0:1], v[90:91]
	v_add_f64 v[116:117], v[0:1], v[92:93]
	buffer_load_dword v87, off, s[0:3], 0 offset:844
	buffer_load_dword v86, off, s[0:3], 0 offset:840
	;; [unrolled: 1-line block ×56, first 2 shown]
	ds_read_b128 v[122:125], v134 offset:1728
	ds_read_b128 v[126:129], v134 offset:1744
	v_mul_f64 v[20:21], v[20:21], v[38:39]
	s_waitcnt vmcnt(62)
	v_fmac_f64_e32 v[110:111], v[8:9], v[56:57]
	v_fma_f64 v[18:19], v[18:19], v[60:61], -v[20:21]
	v_mul_f64 v[16:17], v[16:17], v[48:49]
	v_add_f64 v[110:111], v[116:117], v[110:111]
	s_waitcnt lgkmcnt(2)
	v_mul_f64 v[116:117], v[2:3], v[50:51]
	v_add_f64 v[18:19], v[22:23], v[18:19]
	v_fma_f64 v[14:15], v[14:15], v[58:59], -v[16:17]
	v_fmac_f64_e32 v[116:117], v[4:5], v[52:53]
	ds_read_b128 v[130:133], v134 offset:1760
	ds_read_b128 v[136:139], v134 offset:1776
	v_add_f64 v[14:15], v[18:19], v[14:15]
	v_fma_f64 v[10:11], v[10:11], v[42:43], -v[12:13]
	v_mul_f64 v[8:9], v[8:9], v[54:55]
	v_add_f64 v[110:111], v[110:111], v[116:117]
	s_waitcnt lgkmcnt(3)
	v_mul_f64 v[116:117], v[122:123], v[66:67]
	v_add_f64 v[10:11], v[14:15], v[10:11]
	v_fma_f64 v[6:7], v[6:7], v[56:57], -v[8:9]
	v_mul_f64 v[4:5], v[4:5], v[50:51]
	v_fmac_f64_e32 v[116:117], v[124:125], v[68:69]
	v_add_f64 v[6:7], v[10:11], v[6:7]
	v_fma_f64 v[2:3], v[2:3], v[52:53], -v[4:5]
	v_mul_f64 v[4:5], v[124:125], v[66:67]
	v_add_f64 v[110:111], v[110:111], v[116:117]
	s_waitcnt lgkmcnt(2)
	v_mul_f64 v[116:117], v[126:127], v[62:63]
	v_add_f64 v[2:3], v[6:7], v[2:3]
	v_fma_f64 v[4:5], v[122:123], v[68:69], -v[4:5]
	v_fmac_f64_e32 v[116:117], v[128:129], v[64:65]
	ds_read_b128 v[140:143], v134 offset:1792
	ds_read_b128 v[144:147], v134 offset:1808
	v_add_f64 v[2:3], v[2:3], v[4:5]
	v_mul_f64 v[4:5], v[128:129], v[62:63]
	v_add_f64 v[110:111], v[110:111], v[116:117]
	s_waitcnt lgkmcnt(3)
	v_mul_f64 v[116:117], v[130:131], v[74:75]
	v_fma_f64 v[4:5], v[126:127], v[64:65], -v[4:5]
	v_fmac_f64_e32 v[116:117], v[132:133], v[76:77]
	v_add_f64 v[2:3], v[2:3], v[4:5]
	v_mul_f64 v[4:5], v[132:133], v[74:75]
	v_add_f64 v[110:111], v[110:111], v[116:117]
	s_waitcnt lgkmcnt(2)
	v_mul_f64 v[116:117], v[136:137], v[70:71]
	v_fma_f64 v[4:5], v[130:131], v[76:77], -v[4:5]
	v_fmac_f64_e32 v[116:117], v[138:139], v[72:73]
	ds_read_b128 v[148:151], v134 offset:1824
	ds_read_b128 v[152:155], v134 offset:1840
	v_add_f64 v[2:3], v[2:3], v[4:5]
	v_mul_f64 v[4:5], v[138:139], v[70:71]
	v_add_f64 v[110:111], v[110:111], v[116:117]
	s_waitcnt vmcnt(58) lgkmcnt(3)
	v_mul_f64 v[116:117], v[140:141], v[82:83]
	v_fma_f64 v[4:5], v[136:137], v[72:73], -v[4:5]
	s_waitcnt vmcnt(56)
	v_fmac_f64_e32 v[116:117], v[142:143], v[84:85]
	v_add_f64 v[2:3], v[2:3], v[4:5]
	v_mul_f64 v[4:5], v[142:143], v[82:83]
	v_add_f64 v[110:111], v[110:111], v[116:117]
	s_waitcnt lgkmcnt(2)
	v_mul_f64 v[116:117], v[144:145], v[78:79]
	v_fma_f64 v[4:5], v[140:141], v[84:85], -v[4:5]
	v_fmac_f64_e32 v[116:117], v[146:147], v[80:81]
	ds_read_b128 v[156:159], v134 offset:1856
	ds_read_b128 v[160:163], v134 offset:1872
	v_add_f64 v[2:3], v[2:3], v[4:5]
	v_mul_f64 v[4:5], v[146:147], v[78:79]
	v_add_f64 v[110:111], v[110:111], v[116:117]
	s_waitcnt vmcnt(50) lgkmcnt(3)
	v_mul_f64 v[116:117], v[148:149], v[90:91]
	v_fma_f64 v[4:5], v[144:145], v[80:81], -v[4:5]
	s_waitcnt vmcnt(48)
	;; [unrolled: 17-line block ×6, first 2 shown]
	v_fmac_f64_e32 v[116:117], v[182:183], v[208:209]
	v_add_f64 v[2:3], v[2:3], v[4:5]
	v_mul_f64 v[4:5], v[182:183], v[206:207]
	v_add_f64 v[110:111], v[110:111], v[116:117]
	s_waitcnt lgkmcnt(2)
	v_mul_f64 v[116:117], v[184:185], v[0:1]
	v_fma_f64 v[4:5], v[180:181], v[208:209], -v[4:5]
	v_mul_f64 v[0:1], v[186:187], v[0:1]
	ds_read_b128 v[196:199], v134 offset:2016
	ds_read_b128 v[200:203], v134 offset:2032
	v_add_f64 v[2:3], v[2:3], v[4:5]
	v_fma_f64 v[0:1], v[184:185], v[204:205], -v[0:1]
	v_fmac_f64_e32 v[116:117], v[186:187], v[204:205]
	v_add_f64 v[0:1], v[2:3], v[0:1]
	s_waitcnt vmcnt(10) lgkmcnt(3)
	v_mul_f64 v[2:3], v[190:191], v[214:215]
	v_add_f64 v[110:111], v[110:111], v[116:117]
	v_mul_f64 v[116:117], v[188:189], v[214:215]
	s_waitcnt vmcnt(8)
	v_fma_f64 v[2:3], v[188:189], v[216:217], -v[2:3]
	v_fmac_f64_e32 v[116:117], v[190:191], v[216:217]
	v_add_f64 v[0:1], v[0:1], v[2:3]
	s_waitcnt lgkmcnt(2)
	v_mul_f64 v[2:3], v[194:195], v[210:211]
	v_add_f64 v[110:111], v[110:111], v[116:117]
	v_mul_f64 v[116:117], v[192:193], v[210:211]
	v_fma_f64 v[2:3], v[192:193], v[212:213], -v[2:3]
	v_fmac_f64_e32 v[116:117], v[194:195], v[212:213]
	v_add_f64 v[0:1], v[0:1], v[2:3]
	s_waitcnt vmcnt(2) lgkmcnt(1)
	v_mul_f64 v[2:3], v[198:199], v[222:223]
	v_add_f64 v[110:111], v[110:111], v[116:117]
	v_mul_f64 v[116:117], v[196:197], v[222:223]
	s_waitcnt vmcnt(0)
	v_fma_f64 v[2:3], v[196:197], v[224:225], -v[2:3]
	v_fmac_f64_e32 v[116:117], v[198:199], v[224:225]
	v_add_f64 v[0:1], v[0:1], v[2:3]
	s_waitcnt lgkmcnt(0)
	v_mul_f64 v[2:3], v[202:203], v[218:219]
	v_add_f64 v[110:111], v[110:111], v[116:117]
	v_mul_f64 v[116:117], v[200:201], v[218:219]
	v_fma_f64 v[2:3], v[200:201], v[220:221], -v[2:3]
	v_fmac_f64_e32 v[116:117], v[202:203], v[220:221]
	v_add_f64 v[0:1], v[0:1], v[2:3]
	v_add_f64 v[110:111], v[110:111], v[116:117]
	v_add_f64 v[0:1], v[46:47], -v[0:1]
	v_add_f64 v[2:3], v[44:45], -v[110:111]
	buffer_store_dword v1, off, s[0:3], 0 offset:596
	buffer_store_dword v0, off, s[0:3], 0 offset:592
	;; [unrolled: 1-line block ×4, first 2 shown]
	s_and_saveexec_b64 s[4:5], vcc
	s_cbranch_execz .LBB127_339
; %bb.338:
	v_accvgpr_read_b32 v3, a156
	buffer_load_dword v0, v3, s[0:3], 0 offen
	buffer_load_dword v1, v3, s[0:3], 0 offen offset:4
	buffer_load_dword v2, v3, s[0:3], 0 offen offset:8
	s_nop 0
	buffer_load_dword v3, v3, s[0:3], 0 offen offset:12
	v_accvgpr_read_b32 v4, a192
	buffer_store_dword v134, off, s[0:3], 0 offset:576
	buffer_store_dword v134, off, s[0:3], 0 offset:580
	buffer_store_dword v134, off, s[0:3], 0 offset:584
	buffer_store_dword v134, off, s[0:3], 0 offset:588
	s_waitcnt vmcnt(4)
	ds_write_b128 v4, v[0:3]
.LBB127_339:
	s_or_b64 exec, exec, s[4:5]
	s_waitcnt lgkmcnt(0)
	; wave barrier
	s_waitcnt lgkmcnt(0)
	buffer_load_dword v34, off, s[0:3], 0 offset:592
	buffer_load_dword v35, off, s[0:3], 0 offset:596
	;; [unrolled: 1-line block ×32, first 2 shown]
	ds_read_b128 v[30:33], v134 offset:1600
	ds_read_b128 v[26:29], v134 offset:1616
	;; [unrolled: 1-line block ×8, first 2 shown]
	buffer_load_dword v67, off, s[0:3], 0 offset:732
	buffer_load_dword v66, off, s[0:3], 0 offset:728
	;; [unrolled: 1-line block ×24, first 2 shown]
	v_cmp_lt_u32_e32 vcc, 34, v254
	s_waitcnt vmcnt(52) lgkmcnt(7)
	v_mul_f64 v[0:1], v[30:31], v[38:39]
	v_fmac_f64_e32 v[0:1], v[32:33], v[34:35]
	v_add_f64 v[0:1], v[0:1], 0
	v_mul_f64 v[32:33], v[32:33], v[38:39]
	s_waitcnt vmcnt(48) lgkmcnt(6)
	v_mul_f64 v[90:91], v[26:27], v[40:41]
	v_fmac_f64_e32 v[90:91], v[28:29], v[36:37]
	s_waitcnt vmcnt(46) lgkmcnt(5)
	v_mul_f64 v[92:93], v[22:23], v[42:43]
	v_add_f64 v[0:1], v[0:1], v[90:91]
	s_waitcnt vmcnt(44) lgkmcnt(4)
	v_mul_f64 v[94:95], v[18:19], v[48:49]
	v_fma_f64 v[30:31], v[30:31], v[34:35], -v[32:33]
	s_waitcnt vmcnt(42) lgkmcnt(1)
	v_mul_f64 v[122:123], v[2:3], v[50:51]
	v_mul_f64 v[28:29], v[28:29], v[40:41]
	s_waitcnt vmcnt(18) lgkmcnt(0)
	v_mul_f64 v[138:139], v[14:15], v[70:71]
	v_mul_f64 v[98:99], v[6:7], v[54:55]
	s_waitcnt vmcnt(16)
	v_fmac_f64_e32 v[138:139], v[16:17], v[72:73]
	v_mul_f64 v[96:97], v[10:11], v[56:57]
	v_add_f64 v[30:31], v[30:31], 0
	v_fmac_f64_e32 v[96:97], v[12:13], v[58:59]
	v_fma_f64 v[26:27], v[26:27], v[36:37], -v[28:29]
	v_fmac_f64_e32 v[92:93], v[24:25], v[64:65]
	v_add_f64 v[0:1], v[0:1], v[92:93]
	v_fmac_f64_e32 v[94:95], v[20:21], v[62:63]
	v_add_f64 v[0:1], v[0:1], v[94:95]
	;; [unrolled: 2-line block ×3, first 2 shown]
	v_add_f64 v[124:125], v[0:1], v[98:99]
	buffer_load_dword v91, off, s[0:3], 0 offset:828
	buffer_load_dword v90, off, s[0:3], 0 offset:824
	;; [unrolled: 1-line block ×56, first 2 shown]
	v_fmac_f64_e32 v[122:123], v[4:5], v[52:53]
	v_add_f64 v[136:137], v[124:125], v[122:123]
	ds_read_b128 v[122:125], v134 offset:1728
	buffer_load_dword v227, off, s[0:3], 0 offset:1036
	buffer_load_dword v226, off, s[0:3], 0 offset:1032
	;; [unrolled: 1-line block ×4, first 2 shown]
	v_add_f64 v[140:141], v[136:137], v[138:139]
	ds_read_b128 v[136:139], v134 offset:1744
	v_mul_f64 v[24:25], v[24:25], v[42:43]
	s_waitcnt lgkmcnt(1)
	v_mul_f64 v[142:143], v[122:123], v[66:67]
	v_fmac_f64_e32 v[142:143], v[124:125], v[68:69]
	v_add_f64 v[144:145], v[140:141], v[142:143]
	ds_read_b128 v[140:143], v134 offset:1760
	s_waitcnt vmcnt(62) lgkmcnt(1)
	v_mul_f64 v[146:147], v[136:137], v[78:79]
	v_fmac_f64_e32 v[146:147], v[138:139], v[80:81]
	v_add_f64 v[148:149], v[144:145], v[146:147]
	ds_read_b128 v[144:147], v134 offset:1776
	s_waitcnt lgkmcnt(1)
	v_mul_f64 v[150:151], v[140:141], v[74:75]
	v_fmac_f64_e32 v[150:151], v[142:143], v[76:77]
	v_add_f64 v[152:153], v[148:149], v[150:151]
	ds_read_b128 v[148:151], v134 offset:1792
	s_waitcnt lgkmcnt(1)
	v_mul_f64 v[154:155], v[144:145], v[86:87]
	s_waitcnt vmcnt(60)
	v_fmac_f64_e32 v[154:155], v[146:147], v[88:89]
	v_add_f64 v[156:157], v[152:153], v[154:155]
	ds_read_b128 v[152:155], v134 offset:1808
	s_waitcnt lgkmcnt(1)
	v_mul_f64 v[158:159], v[148:149], v[82:83]
	v_fmac_f64_e32 v[158:159], v[150:151], v[84:85]
	v_add_f64 v[160:161], v[156:157], v[158:159]
	ds_read_b128 v[156:159], v134 offset:1824
	v_add_f64 v[26:27], v[30:31], v[26:27]
	v_fma_f64 v[22:23], v[22:23], v[64:65], -v[24:25]
	s_waitcnt vmcnt(54) lgkmcnt(1)
	v_mul_f64 v[162:163], v[152:153], v[94:95]
	v_mul_f64 v[20:21], v[20:21], v[48:49]
	s_waitcnt vmcnt(52)
	v_fmac_f64_e32 v[162:163], v[154:155], v[96:97]
	v_add_f64 v[164:165], v[160:161], v[162:163]
	ds_read_b128 v[160:163], v134 offset:1840
	s_waitcnt lgkmcnt(1)
	v_mul_f64 v[166:167], v[156:157], v[90:91]
	v_fmac_f64_e32 v[166:167], v[158:159], v[92:93]
	v_add_f64 v[168:169], v[164:165], v[166:167]
	ds_read_b128 v[164:167], v134 offset:1856
	v_add_f64 v[22:23], v[26:27], v[22:23]
	v_fma_f64 v[18:19], v[18:19], v[62:63], -v[20:21]
	v_mul_f64 v[12:13], v[12:13], v[56:57]
	v_add_f64 v[18:19], v[22:23], v[18:19]
	v_fma_f64 v[10:11], v[10:11], v[58:59], -v[12:13]
	v_mul_f64 v[8:9], v[8:9], v[54:55]
	;; [unrolled: 3-line block ×3, first 2 shown]
	s_waitcnt vmcnt(46) lgkmcnt(1)
	v_mul_f64 v[170:171], v[160:161], v[102:103]
	v_add_f64 v[6:7], v[10:11], v[6:7]
	v_fma_f64 v[2:3], v[2:3], v[52:53], -v[4:5]
	v_mul_f64 v[4:5], v[16:17], v[70:71]
	s_waitcnt vmcnt(44)
	v_fmac_f64_e32 v[170:171], v[162:163], v[104:105]
	v_add_f64 v[2:3], v[6:7], v[2:3]
	v_fma_f64 v[4:5], v[14:15], v[72:73], -v[4:5]
	v_add_f64 v[172:173], v[168:169], v[170:171]
	ds_read_b128 v[168:171], v134 offset:1872
	s_waitcnt lgkmcnt(1)
	v_mul_f64 v[174:175], v[164:165], v[98:99]
	v_add_f64 v[2:3], v[2:3], v[4:5]
	v_mul_f64 v[4:5], v[124:125], v[66:67]
	v_fmac_f64_e32 v[174:175], v[166:167], v[100:101]
	v_fma_f64 v[4:5], v[122:123], v[68:69], -v[4:5]
	v_add_f64 v[176:177], v[172:173], v[174:175]
	ds_read_b128 v[172:175], v134 offset:1888
	v_add_f64 v[2:3], v[2:3], v[4:5]
	v_mul_f64 v[4:5], v[138:139], v[78:79]
	v_fma_f64 v[4:5], v[136:137], v[80:81], -v[4:5]
	v_add_f64 v[2:3], v[2:3], v[4:5]
	v_mul_f64 v[4:5], v[142:143], v[74:75]
	s_waitcnt vmcnt(38) lgkmcnt(1)
	v_mul_f64 v[178:179], v[168:169], v[110:111]
	v_fma_f64 v[4:5], v[140:141], v[76:77], -v[4:5]
	s_waitcnt vmcnt(36)
	v_fmac_f64_e32 v[178:179], v[170:171], v[112:113]
	v_add_f64 v[2:3], v[2:3], v[4:5]
	v_mul_f64 v[4:5], v[146:147], v[86:87]
	v_add_f64 v[180:181], v[176:177], v[178:179]
	ds_read_b128 v[176:179], v134 offset:1904
	s_waitcnt lgkmcnt(1)
	v_mul_f64 v[182:183], v[172:173], v[106:107]
	v_fma_f64 v[4:5], v[144:145], v[88:89], -v[4:5]
	v_fmac_f64_e32 v[182:183], v[174:175], v[108:109]
	v_add_f64 v[2:3], v[2:3], v[4:5]
	v_mul_f64 v[4:5], v[150:151], v[82:83]
	v_add_f64 v[184:185], v[180:181], v[182:183]
	ds_read_b128 v[180:183], v134 offset:1920
	v_fma_f64 v[4:5], v[148:149], v[84:85], -v[4:5]
	v_add_f64 v[2:3], v[2:3], v[4:5]
	v_mul_f64 v[4:5], v[154:155], v[94:95]
	v_fma_f64 v[4:5], v[152:153], v[96:97], -v[4:5]
	s_waitcnt vmcnt(30) lgkmcnt(1)
	v_mul_f64 v[186:187], v[176:177], v[118:119]
	v_add_f64 v[2:3], v[2:3], v[4:5]
	v_mul_f64 v[4:5], v[158:159], v[90:91]
	s_waitcnt vmcnt(28)
	v_fmac_f64_e32 v[186:187], v[178:179], v[120:121]
	v_fma_f64 v[4:5], v[156:157], v[92:93], -v[4:5]
	v_add_f64 v[188:189], v[184:185], v[186:187]
	ds_read_b128 v[184:187], v134 offset:1936
	s_waitcnt lgkmcnt(1)
	v_mul_f64 v[190:191], v[180:181], v[114:115]
	v_add_f64 v[2:3], v[2:3], v[4:5]
	v_mul_f64 v[4:5], v[162:163], v[102:103]
	v_fmac_f64_e32 v[190:191], v[182:183], v[116:117]
	v_fma_f64 v[4:5], v[160:161], v[104:105], -v[4:5]
	v_add_f64 v[192:193], v[188:189], v[190:191]
	ds_read_b128 v[188:191], v134 offset:1952
	v_add_f64 v[2:3], v[2:3], v[4:5]
	v_mul_f64 v[4:5], v[166:167], v[98:99]
	v_fma_f64 v[4:5], v[164:165], v[100:101], -v[4:5]
	v_add_f64 v[2:3], v[2:3], v[4:5]
	v_mul_f64 v[4:5], v[170:171], v[110:111]
	s_waitcnt vmcnt(22) lgkmcnt(1)
	v_mul_f64 v[194:195], v[184:185], v[130:131]
	v_fma_f64 v[4:5], v[168:169], v[112:113], -v[4:5]
	s_waitcnt vmcnt(20)
	v_fmac_f64_e32 v[194:195], v[186:187], v[132:133]
	v_add_f64 v[2:3], v[2:3], v[4:5]
	v_mul_f64 v[4:5], v[174:175], v[106:107]
	v_add_f64 v[196:197], v[192:193], v[194:195]
	ds_read_b128 v[192:195], v134 offset:1968
	s_waitcnt lgkmcnt(1)
	v_mul_f64 v[198:199], v[188:189], v[126:127]
	v_fma_f64 v[4:5], v[172:173], v[108:109], -v[4:5]
	v_fmac_f64_e32 v[198:199], v[190:191], v[128:129]
	v_add_f64 v[2:3], v[2:3], v[4:5]
	v_mul_f64 v[4:5], v[178:179], v[118:119]
	v_add_f64 v[200:201], v[196:197], v[198:199]
	ds_read_b128 v[196:199], v134 offset:1984
	v_fma_f64 v[4:5], v[176:177], v[120:121], -v[4:5]
	v_add_f64 v[2:3], v[2:3], v[4:5]
	v_mul_f64 v[4:5], v[182:183], v[114:115]
	v_fma_f64 v[4:5], v[180:181], v[116:117], -v[4:5]
	s_waitcnt vmcnt(14) lgkmcnt(1)
	v_mul_f64 v[202:203], v[192:193], v[214:215]
	v_add_f64 v[2:3], v[2:3], v[4:5]
	v_mul_f64 v[4:5], v[186:187], v[130:131]
	s_waitcnt vmcnt(12)
	v_fmac_f64_e32 v[202:203], v[194:195], v[216:217]
	v_fma_f64 v[4:5], v[184:185], v[132:133], -v[4:5]
	v_add_f64 v[204:205], v[200:201], v[202:203]
	ds_read_b128 v[200:203], v134 offset:2000
	s_waitcnt lgkmcnt(1)
	v_mul_f64 v[206:207], v[196:197], v[0:1]
	v_add_f64 v[2:3], v[2:3], v[4:5]
	v_mul_f64 v[4:5], v[190:191], v[126:127]
	v_fmac_f64_e32 v[206:207], v[198:199], v[212:213]
	v_fma_f64 v[4:5], v[188:189], v[128:129], -v[4:5]
	v_add_f64 v[230:231], v[204:205], v[206:207]
	ds_read_b128 v[204:207], v134 offset:2016
	v_add_f64 v[2:3], v[2:3], v[4:5]
	v_mul_f64 v[4:5], v[194:195], v[214:215]
	v_fma_f64 v[4:5], v[192:193], v[216:217], -v[4:5]
	v_mul_f64 v[0:1], v[198:199], v[0:1]
	ds_read_b128 v[208:211], v134 offset:2032
	v_add_f64 v[2:3], v[2:3], v[4:5]
	v_fma_f64 v[0:1], v[196:197], v[212:213], -v[0:1]
	v_add_f64 v[0:1], v[2:3], v[0:1]
	s_waitcnt vmcnt(6) lgkmcnt(2)
	v_mul_f64 v[2:3], v[202:203], v[222:223]
	v_mul_f64 v[232:233], v[200:201], v[222:223]
	s_waitcnt vmcnt(4)
	v_fma_f64 v[2:3], v[200:201], v[224:225], -v[2:3]
	v_fmac_f64_e32 v[232:233], v[202:203], v[224:225]
	v_add_f64 v[0:1], v[0:1], v[2:3]
	s_waitcnt lgkmcnt(1)
	v_mul_f64 v[2:3], v[206:207], v[218:219]
	v_add_f64 v[134:135], v[230:231], v[232:233]
	v_mul_f64 v[230:231], v[204:205], v[218:219]
	v_fma_f64 v[2:3], v[204:205], v[220:221], -v[2:3]
	v_fmac_f64_e32 v[230:231], v[206:207], v[220:221]
	v_add_f64 v[0:1], v[0:1], v[2:3]
	s_waitcnt vmcnt(2) lgkmcnt(0)
	v_mul_f64 v[2:3], v[210:211], v[226:227]
	v_add_f64 v[134:135], v[134:135], v[230:231]
	v_mul_f64 v[230:231], v[208:209], v[226:227]
	s_waitcnt vmcnt(0)
	v_fma_f64 v[2:3], v[208:209], v[228:229], -v[2:3]
	v_fmac_f64_e32 v[230:231], v[210:211], v[228:229]
	v_add_f64 v[0:1], v[0:1], v[2:3]
	v_add_f64 v[134:135], v[134:135], v[230:231]
	v_add_f64 v[0:1], v[46:47], -v[0:1]
	v_add_f64 v[2:3], v[44:45], -v[134:135]
	buffer_store_dword v1, off, s[0:3], 0 offset:580
	buffer_store_dword v0, off, s[0:3], 0 offset:576
	;; [unrolled: 1-line block ×4, first 2 shown]
	s_and_saveexec_b64 s[4:5], vcc
	s_cbranch_execz .LBB127_341
; %bb.340:
	v_accvgpr_read_b32 v3, a157
	buffer_load_dword v0, v3, s[0:3], 0 offen
	buffer_load_dword v1, v3, s[0:3], 0 offen offset:4
	buffer_load_dword v2, v3, s[0:3], 0 offen offset:8
	s_nop 0
	buffer_load_dword v3, v3, s[0:3], 0 offen offset:12
	v_mov_b32_e32 v4, 0
	v_accvgpr_read_b32 v5, a192
	buffer_store_dword v4, off, s[0:3], 0 offset:560
	buffer_store_dword v4, off, s[0:3], 0 offset:564
	;; [unrolled: 1-line block ×4, first 2 shown]
	s_waitcnt vmcnt(4)
	ds_write_b128 v5, v[0:3]
.LBB127_341:
	s_or_b64 exec, exec, s[4:5]
	s_waitcnt lgkmcnt(0)
	; wave barrier
	s_waitcnt lgkmcnt(0)
	buffer_load_dword v38, off, s[0:3], 0 offset:576
	buffer_load_dword v39, off, s[0:3], 0 offset:580
	;; [unrolled: 1-line block ×48, first 2 shown]
	v_mov_b32_e32 v150, 0
	ds_read_b128 v[34:37], v150 offset:1584
	ds_read_b128 v[30:33], v150 offset:1600
	;; [unrolled: 1-line block ×9, first 2 shown]
	v_cmp_lt_u32_e32 vcc, 33, v254
	s_waitcnt vmcnt(44) lgkmcnt(8)
	v_mul_f64 v[0:1], v[34:35], v[42:43]
	v_fmac_f64_e32 v[0:1], v[36:37], v[38:39]
	v_add_f64 v[0:1], v[0:1], 0
	v_mul_f64 v[36:37], v[36:37], v[42:43]
	s_waitcnt vmcnt(40) lgkmcnt(7)
	v_mul_f64 v[86:87], v[30:31], v[44:45]
	v_fmac_f64_e32 v[86:87], v[32:33], v[40:41]
	s_waitcnt vmcnt(38) lgkmcnt(6)
	v_mul_f64 v[88:89], v[26:27], v[46:47]
	v_add_f64 v[0:1], v[0:1], v[86:87]
	s_waitcnt vmcnt(36) lgkmcnt(4)
	v_mul_f64 v[92:93], v[18:19], v[48:49]
	v_fma_f64 v[34:35], v[34:35], v[38:39], -v[36:37]
	s_waitcnt vmcnt(34)
	v_fmac_f64_e32 v[92:93], v[20:21], v[50:51]
	v_mul_f64 v[32:33], v[32:33], v[44:45]
	s_waitcnt vmcnt(32)
	v_mul_f64 v[90:91], v[22:23], v[52:53]
	v_add_f64 v[34:35], v[34:35], 0
	s_waitcnt vmcnt(30) lgkmcnt(2)
	v_mul_f64 v[96:97], v[10:11], v[54:55]
	v_fma_f64 v[30:31], v[30:31], v[40:41], -v[32:33]
	s_waitcnt vmcnt(28)
	v_fmac_f64_e32 v[96:97], v[12:13], v[56:57]
	v_add_f64 v[30:31], v[34:35], v[30:31]
	s_waitcnt vmcnt(26)
	v_mul_f64 v[94:95], v[14:15], v[58:59]
	v_mul_f64 v[20:21], v[20:21], v[48:49]
	v_fma_f64 v[18:19], v[18:19], v[50:51], -v[20:21]
	v_mul_f64 v[12:13], v[12:13], v[54:55]
	s_waitcnt vmcnt(22) lgkmcnt(1)
	v_mul_f64 v[110:111], v[6:7], v[68:69]
	v_fma_f64 v[10:11], v[10:11], v[56:57], -v[12:13]
	s_waitcnt vmcnt(20)
	v_fmac_f64_e32 v[88:89], v[28:29], v[76:77]
	v_add_f64 v[0:1], v[0:1], v[88:89]
	s_waitcnt vmcnt(18)
	v_fmac_f64_e32 v[90:91], v[24:25], v[74:75]
	v_add_f64 v[0:1], v[0:1], v[90:91]
	;; [unrolled: 3-line block ×3, first 2 shown]
	v_add_f64 v[0:1], v[0:1], v[94:95]
	v_add_f64 v[112:113], v[0:1], v[96:97]
	buffer_load_dword v87, off, s[0:3], 0 offset:780
	buffer_load_dword v86, off, s[0:3], 0 offset:776
	;; [unrolled: 1-line block ×72, first 2 shown]
	s_waitcnt vmcnt(62)
	v_fmac_f64_e32 v[110:111], v[8:9], v[70:71]
	v_add_f64 v[140:141], v[112:113], v[110:111]
	ds_read_b128 v[110:113], v150 offset:1728
	s_waitcnt lgkmcnt(1)
	v_mul_f64 v[142:143], v[2:3], v[64:65]
	v_fmac_f64_e32 v[142:143], v[4:5], v[66:67]
	v_add_f64 v[144:145], v[140:141], v[142:143]
	ds_read_b128 v[140:143], v150 offset:1744
	s_waitcnt lgkmcnt(1)
	v_mul_f64 v[146:147], v[110:111], v[82:83]
	;; [unrolled: 5-line block ×5, first 2 shown]
	v_fmac_f64_e32 v[162:163], v[154:155], v[88:89]
	v_add_f64 v[164:165], v[160:161], v[162:163]
	ds_read_b128 v[160:163], v150 offset:1808
	s_waitcnt vmcnt(58) lgkmcnt(1)
	v_mul_f64 v[166:167], v[156:157], v[98:99]
	s_waitcnt vmcnt(56)
	v_fmac_f64_e32 v[166:167], v[158:159], v[100:101]
	v_add_f64 v[168:169], v[164:165], v[166:167]
	ds_read_b128 v[164:167], v150 offset:1824
	s_waitcnt lgkmcnt(1)
	v_mul_f64 v[170:171], v[160:161], v[94:95]
	v_fmac_f64_e32 v[170:171], v[162:163], v[96:97]
	v_add_f64 v[172:173], v[168:169], v[170:171]
	ds_read_b128 v[168:171], v150 offset:1840
	s_waitcnt vmcnt(50) lgkmcnt(1)
	v_mul_f64 v[174:175], v[164:165], v[106:107]
	v_mul_f64 v[28:29], v[28:29], v[46:47]
	s_waitcnt vmcnt(48)
	v_fmac_f64_e32 v[174:175], v[166:167], v[108:109]
	v_fma_f64 v[26:27], v[26:27], v[76:77], -v[28:29]
	v_mul_f64 v[24:25], v[24:25], v[52:53]
	v_add_f64 v[176:177], v[172:173], v[174:175]
	ds_read_b128 v[172:175], v150 offset:1856
	v_add_f64 v[26:27], v[30:31], v[26:27]
	v_fma_f64 v[22:23], v[22:23], v[74:75], -v[24:25]
	v_add_f64 v[22:23], v[26:27], v[22:23]
	v_mul_f64 v[16:17], v[16:17], v[58:59]
	v_add_f64 v[18:19], v[22:23], v[18:19]
	v_fma_f64 v[14:15], v[14:15], v[72:73], -v[16:17]
	s_waitcnt lgkmcnt(1)
	v_mul_f64 v[178:179], v[168:169], v[102:103]
	v_add_f64 v[14:15], v[18:19], v[14:15]
	v_mul_f64 v[8:9], v[8:9], v[68:69]
	v_fmac_f64_e32 v[178:179], v[170:171], v[104:105]
	v_add_f64 v[10:11], v[14:15], v[10:11]
	v_fma_f64 v[6:7], v[6:7], v[70:71], -v[8:9]
	v_mul_f64 v[4:5], v[4:5], v[64:65]
	v_add_f64 v[180:181], v[176:177], v[178:179]
	ds_read_b128 v[176:179], v150 offset:1872
	s_waitcnt vmcnt(42) lgkmcnt(1)
	v_mul_f64 v[182:183], v[172:173], v[118:119]
	v_add_f64 v[6:7], v[10:11], v[6:7]
	v_fma_f64 v[2:3], v[2:3], v[66:67], -v[4:5]
	v_mul_f64 v[4:5], v[112:113], v[82:83]
	s_waitcnt vmcnt(40)
	v_fmac_f64_e32 v[182:183], v[174:175], v[120:121]
	v_add_f64 v[2:3], v[6:7], v[2:3]
	v_fma_f64 v[4:5], v[110:111], v[84:85], -v[4:5]
	v_add_f64 v[184:185], v[180:181], v[182:183]
	ds_read_b128 v[180:183], v150 offset:1888
	v_add_f64 v[2:3], v[2:3], v[4:5]
	v_mul_f64 v[4:5], v[142:143], v[78:79]
	v_fma_f64 v[4:5], v[140:141], v[80:81], -v[4:5]
	v_add_f64 v[2:3], v[2:3], v[4:5]
	v_mul_f64 v[4:5], v[146:147], v[90:91]
	s_waitcnt lgkmcnt(1)
	v_mul_f64 v[186:187], v[176:177], v[114:115]
	v_fma_f64 v[4:5], v[144:145], v[92:93], -v[4:5]
	v_fmac_f64_e32 v[186:187], v[178:179], v[116:117]
	v_add_f64 v[2:3], v[2:3], v[4:5]
	v_mul_f64 v[4:5], v[154:155], v[86:87]
	v_add_f64 v[188:189], v[184:185], v[186:187]
	ds_read_b128 v[184:187], v150 offset:1904
	s_waitcnt vmcnt(34) lgkmcnt(1)
	v_mul_f64 v[190:191], v[180:181], v[126:127]
	v_fma_f64 v[4:5], v[152:153], v[88:89], -v[4:5]
	s_waitcnt vmcnt(32)
	v_fmac_f64_e32 v[190:191], v[182:183], v[128:129]
	v_add_f64 v[2:3], v[2:3], v[4:5]
	v_mul_f64 v[4:5], v[158:159], v[98:99]
	v_add_f64 v[192:193], v[188:189], v[190:191]
	ds_read_b128 v[188:191], v150 offset:1920
	v_fma_f64 v[4:5], v[156:157], v[100:101], -v[4:5]
	v_add_f64 v[2:3], v[2:3], v[4:5]
	v_mul_f64 v[4:5], v[162:163], v[94:95]
	v_fma_f64 v[4:5], v[160:161], v[96:97], -v[4:5]
	s_waitcnt lgkmcnt(1)
	v_mul_f64 v[194:195], v[184:185], v[122:123]
	v_add_f64 v[2:3], v[2:3], v[4:5]
	v_mul_f64 v[4:5], v[166:167], v[106:107]
	v_fmac_f64_e32 v[194:195], v[186:187], v[124:125]
	v_fma_f64 v[4:5], v[164:165], v[108:109], -v[4:5]
	v_add_f64 v[196:197], v[192:193], v[194:195]
	ds_read_b128 v[192:195], v150 offset:1936
	s_waitcnt vmcnt(26) lgkmcnt(1)
	v_mul_f64 v[198:199], v[188:189], v[134:135]
	v_add_f64 v[2:3], v[2:3], v[4:5]
	v_mul_f64 v[4:5], v[170:171], v[102:103]
	s_waitcnt vmcnt(24)
	v_fmac_f64_e32 v[198:199], v[190:191], v[136:137]
	v_fma_f64 v[4:5], v[168:169], v[104:105], -v[4:5]
	v_add_f64 v[200:201], v[196:197], v[198:199]
	ds_read_b128 v[196:199], v150 offset:1952
	v_add_f64 v[2:3], v[2:3], v[4:5]
	v_mul_f64 v[4:5], v[174:175], v[118:119]
	v_fma_f64 v[4:5], v[172:173], v[120:121], -v[4:5]
	v_add_f64 v[2:3], v[2:3], v[4:5]
	v_mul_f64 v[4:5], v[178:179], v[114:115]
	s_waitcnt lgkmcnt(1)
	v_mul_f64 v[202:203], v[192:193], v[130:131]
	v_fma_f64 v[4:5], v[176:177], v[116:117], -v[4:5]
	v_fmac_f64_e32 v[202:203], v[194:195], v[132:133]
	v_add_f64 v[2:3], v[2:3], v[4:5]
	v_mul_f64 v[4:5], v[182:183], v[126:127]
	v_add_f64 v[204:205], v[200:201], v[202:203]
	ds_read_b128 v[200:203], v150 offset:1968
	s_waitcnt vmcnt(18) lgkmcnt(1)
	v_mul_f64 v[206:207], v[196:197], v[148:149]
	v_fma_f64 v[4:5], v[180:181], v[128:129], -v[4:5]
	s_waitcnt vmcnt(16)
	v_fmac_f64_e32 v[206:207], v[198:199], v[220:221]
	v_add_f64 v[2:3], v[2:3], v[4:5]
	v_mul_f64 v[4:5], v[186:187], v[122:123]
	v_add_f64 v[208:209], v[204:205], v[206:207]
	ds_read_b128 v[204:207], v150 offset:1984
	v_fma_f64 v[4:5], v[184:185], v[124:125], -v[4:5]
	v_add_f64 v[2:3], v[2:3], v[4:5]
	v_mul_f64 v[4:5], v[190:191], v[134:135]
	v_fma_f64 v[4:5], v[188:189], v[136:137], -v[4:5]
	s_waitcnt lgkmcnt(1)
	v_mul_f64 v[210:211], v[200:201], v[0:1]
	v_add_f64 v[2:3], v[2:3], v[4:5]
	v_mul_f64 v[4:5], v[194:195], v[130:131]
	v_fmac_f64_e32 v[210:211], v[202:203], v[138:139]
	v_fma_f64 v[4:5], v[192:193], v[132:133], -v[4:5]
	v_add_f64 v[212:213], v[208:209], v[210:211]
	ds_read_b128 v[208:211], v150 offset:2000
	s_waitcnt vmcnt(10) lgkmcnt(1)
	v_mul_f64 v[214:215], v[204:205], v[226:227]
	v_add_f64 v[2:3], v[2:3], v[4:5]
	v_mul_f64 v[4:5], v[198:199], v[148:149]
	s_waitcnt vmcnt(8)
	v_fmac_f64_e32 v[214:215], v[206:207], v[228:229]
	v_fma_f64 v[4:5], v[196:197], v[220:221], -v[4:5]
	v_mul_f64 v[0:1], v[202:203], v[0:1]
	v_add_f64 v[238:239], v[212:213], v[214:215]
	ds_read_b128 v[212:215], v150 offset:2016
	ds_read_b128 v[216:219], v150 offset:2032
	v_add_f64 v[2:3], v[2:3], v[4:5]
	v_fma_f64 v[0:1], v[200:201], v[138:139], -v[0:1]
	v_add_f64 v[0:1], v[2:3], v[0:1]
	v_mul_f64 v[2:3], v[206:207], v[226:227]
	v_fma_f64 v[2:3], v[204:205], v[228:229], -v[2:3]
	v_add_f64 v[0:1], v[0:1], v[2:3]
	s_waitcnt lgkmcnt(2)
	v_mul_f64 v[2:3], v[210:211], v[222:223]
	v_mul_f64 v[240:241], v[208:209], v[222:223]
	v_fma_f64 v[2:3], v[208:209], v[224:225], -v[2:3]
	v_fmac_f64_e32 v[240:241], v[210:211], v[224:225]
	v_add_f64 v[0:1], v[0:1], v[2:3]
	s_waitcnt vmcnt(2) lgkmcnt(1)
	v_mul_f64 v[2:3], v[214:215], v[234:235]
	v_add_f64 v[238:239], v[238:239], v[240:241]
	v_mul_f64 v[240:241], v[212:213], v[234:235]
	s_waitcnt vmcnt(0)
	v_fma_f64 v[2:3], v[212:213], v[236:237], -v[2:3]
	v_fmac_f64_e32 v[240:241], v[214:215], v[236:237]
	v_add_f64 v[0:1], v[0:1], v[2:3]
	s_waitcnt lgkmcnt(0)
	v_mul_f64 v[2:3], v[218:219], v[230:231]
	v_add_f64 v[238:239], v[238:239], v[240:241]
	v_mul_f64 v[240:241], v[216:217], v[230:231]
	v_fma_f64 v[2:3], v[216:217], v[232:233], -v[2:3]
	v_fmac_f64_e32 v[240:241], v[218:219], v[232:233]
	v_add_f64 v[0:1], v[0:1], v[2:3]
	v_add_f64 v[238:239], v[238:239], v[240:241]
	v_add_f64 v[0:1], v[62:63], -v[0:1]
	v_add_f64 v[2:3], v[60:61], -v[238:239]
	buffer_store_dword v1, off, s[0:3], 0 offset:564
	buffer_store_dword v0, off, s[0:3], 0 offset:560
	;; [unrolled: 1-line block ×4, first 2 shown]
	s_and_saveexec_b64 s[4:5], vcc
	s_cbranch_execz .LBB127_343
; %bb.342:
	v_accvgpr_read_b32 v3, a158
	buffer_load_dword v0, v3, s[0:3], 0 offen
	buffer_load_dword v1, v3, s[0:3], 0 offen offset:4
	buffer_load_dword v2, v3, s[0:3], 0 offen offset:8
	s_nop 0
	buffer_load_dword v3, v3, s[0:3], 0 offen offset:12
	v_accvgpr_read_b32 v4, a192
	buffer_store_dword v150, off, s[0:3], 0 offset:544
	buffer_store_dword v150, off, s[0:3], 0 offset:548
	;; [unrolled: 1-line block ×4, first 2 shown]
	s_waitcnt vmcnt(4)
	ds_write_b128 v4, v[0:3]
.LBB127_343:
	s_or_b64 exec, exec, s[4:5]
	s_waitcnt lgkmcnt(0)
	; wave barrier
	s_waitcnt lgkmcnt(0)
	buffer_load_dword v48, off, s[0:3], 0 offset:560
	buffer_load_dword v49, off, s[0:3], 0 offset:564
	;; [unrolled: 1-line block ×40, first 2 shown]
	ds_read_b128 v[38:41], v150 offset:1568
	ds_read_b128 v[34:37], v150 offset:1584
	;; [unrolled: 1-line block ×10, first 2 shown]
	buffer_load_dword v83, off, s[0:3], 0 offset:732
	buffer_load_dword v82, off, s[0:3], 0 offset:728
	;; [unrolled: 1-line block ×8, first 2 shown]
	v_cmp_lt_u32_e32 vcc, 32, v254
	s_waitcnt vmcnt(44) lgkmcnt(9)
	v_mul_f64 v[0:1], v[38:39], v[50:51]
	v_fmac_f64_e32 v[0:1], v[40:41], v[48:49]
	v_add_f64 v[0:1], v[0:1], 0
	v_mul_f64 v[40:41], v[40:41], v[50:51]
	s_waitcnt vmcnt(40) lgkmcnt(8)
	v_mul_f64 v[90:91], v[34:35], v[44:45]
	v_fmac_f64_e32 v[90:91], v[36:37], v[42:43]
	s_waitcnt vmcnt(38) lgkmcnt(7)
	v_mul_f64 v[92:93], v[30:31], v[46:47]
	v_add_f64 v[0:1], v[0:1], v[90:91]
	s_waitcnt vmcnt(36) lgkmcnt(5)
	v_mul_f64 v[96:97], v[22:23], v[52:53]
	v_mul_f64 v[36:37], v[36:37], v[44:45]
	s_waitcnt vmcnt(34)
	v_fmac_f64_e32 v[96:97], v[24:25], v[54:55]
	v_fma_f64 v[34:35], v[34:35], v[42:43], -v[36:37]
	s_waitcnt vmcnt(32)
	v_mul_f64 v[94:95], v[26:27], v[56:57]
	v_mul_f64 v[24:25], v[24:25], v[52:53]
	s_waitcnt vmcnt(30) lgkmcnt(4)
	v_mul_f64 v[98:99], v[18:19], v[62:63]
	v_fma_f64 v[22:23], v[22:23], v[54:55], -v[24:25]
	s_waitcnt vmcnt(28) lgkmcnt(1)
	v_mul_f64 v[122:123], v[2:3], v[64:65]
	s_waitcnt vmcnt(25)
	v_mul_f64 v[102:103], v[6:7], v[68:69]
	s_waitcnt vmcnt(23)
	;; [unrolled: 2-line block ×3, first 2 shown]
	v_fmac_f64_e32 v[100:101], v[12:13], v[72:73]
	v_mul_f64 v[12:13], v[12:13], v[70:71]
	s_waitcnt vmcnt(19)
	v_fmac_f64_e32 v[92:93], v[32:33], v[80:81]
	v_add_f64 v[0:1], v[0:1], v[92:93]
	s_waitcnt vmcnt(17)
	v_fmac_f64_e32 v[94:95], v[28:29], v[78:79]
	v_add_f64 v[0:1], v[0:1], v[94:95]
	;; [unrolled: 3-line block ×3, first 2 shown]
	v_add_f64 v[0:1], v[0:1], v[98:99]
	s_waitcnt vmcnt(13)
	v_fmac_f64_e32 v[102:103], v[8:9], v[74:75]
	v_add_f64 v[0:1], v[0:1], v[100:101]
	v_add_f64 v[124:125], v[0:1], v[102:103]
	buffer_load_dword v91, off, s[0:3], 0 offset:764
	buffer_load_dword v90, off, s[0:3], 0 offset:760
	;; [unrolled: 1-line block ×72, first 2 shown]
	s_waitcnt vmcnt(62)
	v_fmac_f64_e32 v[122:123], v[4:5], v[66:67]
	v_add_f64 v[152:153], v[124:125], v[122:123]
	ds_read_b128 v[122:125], v150 offset:1728
	buffer_load_dword v235, off, s[0:3], 0 offset:1036
	buffer_load_dword v234, off, s[0:3], 0 offset:1032
	;; [unrolled: 1-line block ×4, first 2 shown]
	s_waitcnt lgkmcnt(1)
	v_mul_f64 v[154:155], v[14:15], v[86:87]
	v_fmac_f64_e32 v[154:155], v[16:17], v[88:89]
	v_add_f64 v[156:157], v[152:153], v[154:155]
	ds_read_b128 v[152:155], v150 offset:1744
	s_waitcnt lgkmcnt(1)
	v_mul_f64 v[158:159], v[122:123], v[82:83]
	v_fmac_f64_e32 v[158:159], v[124:125], v[84:85]
	v_add_f64 v[160:161], v[156:157], v[158:159]
	ds_read_b128 v[156:159], v150 offset:1760
	v_mul_f64 v[32:33], v[32:33], v[46:47]
	s_waitcnt lgkmcnt(1)
	v_mul_f64 v[162:163], v[152:153], v[94:95]
	v_fma_f64 v[30:31], v[30:31], v[80:81], -v[32:33]
	v_fmac_f64_e32 v[162:163], v[154:155], v[96:97]
	v_add_f64 v[164:165], v[160:161], v[162:163]
	ds_read_b128 v[160:163], v150 offset:1776
	s_waitcnt lgkmcnt(1)
	v_mul_f64 v[166:167], v[156:157], v[90:91]
	v_fmac_f64_e32 v[166:167], v[158:159], v[92:93]
	v_add_f64 v[168:169], v[164:165], v[166:167]
	ds_read_b128 v[164:167], v150 offset:1792
	s_waitcnt vmcnt(62) lgkmcnt(1)
	v_mul_f64 v[170:171], v[160:161], v[102:103]
	s_waitcnt vmcnt(60)
	v_fmac_f64_e32 v[170:171], v[162:163], v[104:105]
	v_add_f64 v[172:173], v[168:169], v[170:171]
	ds_read_b128 v[168:171], v150 offset:1808
	s_waitcnt lgkmcnt(1)
	v_mul_f64 v[174:175], v[164:165], v[98:99]
	v_fmac_f64_e32 v[174:175], v[166:167], v[100:101]
	v_add_f64 v[176:177], v[172:173], v[174:175]
	ds_read_b128 v[172:175], v150 offset:1824
	s_waitcnt vmcnt(54) lgkmcnt(1)
	v_mul_f64 v[178:179], v[168:169], v[110:111]
	s_waitcnt vmcnt(52)
	;; [unrolled: 11-line block ×7, first 2 shown]
	v_fmac_f64_e32 v[218:219], v[210:211], v[224:225]
	v_add_f64 v[238:239], v[216:217], v[218:219]
	ds_read_b128 v[216:219], v150 offset:2000
	s_waitcnt lgkmcnt(1)
	v_mul_f64 v[240:241], v[212:213], v[0:1]
	v_fmac_f64_e32 v[240:241], v[214:215], v[220:221]
	v_add_f64 v[238:239], v[238:239], v[240:241]
	v_fma_f64 v[240:241], v[38:39], v[48:49], -v[40:41]
	ds_read_b128 v[38:41], v150 offset:2016
	ds_read_b128 v[48:51], v150 offset:2032
	s_waitcnt vmcnt(6) lgkmcnt(2)
	v_mul_f64 v[242:243], v[216:217], v[230:231]
	s_waitcnt vmcnt(4)
	v_fmac_f64_e32 v[242:243], v[218:219], v[232:233]
	v_add_f64 v[150:151], v[238:239], v[242:243]
	s_waitcnt lgkmcnt(1)
	v_mul_f64 v[238:239], v[38:39], v[226:227]
	v_fmac_f64_e32 v[238:239], v[40:41], v[228:229]
	v_add_f64 v[150:151], v[150:151], v[238:239]
	s_waitcnt vmcnt(2) lgkmcnt(0)
	v_mul_f64 v[238:239], v[48:49], v[234:235]
	s_waitcnt vmcnt(0)
	v_fmac_f64_e32 v[238:239], v[50:51], v[236:237]
	v_add_f64 v[150:151], v[150:151], v[238:239]
	v_add_f64 v[238:239], v[240:241], 0
	;; [unrolled: 1-line block ×3, first 2 shown]
	v_mul_f64 v[28:29], v[28:29], v[56:57]
	v_add_f64 v[30:31], v[34:35], v[30:31]
	v_fma_f64 v[26:27], v[26:27], v[78:79], -v[28:29]
	v_add_f64 v[26:27], v[30:31], v[26:27]
	v_mul_f64 v[20:21], v[20:21], v[62:63]
	v_add_f64 v[22:23], v[26:27], v[22:23]
	v_fma_f64 v[18:19], v[18:19], v[76:77], -v[20:21]
	v_add_f64 v[18:19], v[22:23], v[18:19]
	v_fma_f64 v[10:11], v[10:11], v[72:73], -v[12:13]
	v_mul_f64 v[8:9], v[8:9], v[68:69]
	v_add_f64 v[10:11], v[18:19], v[10:11]
	v_fma_f64 v[6:7], v[6:7], v[74:75], -v[8:9]
	v_mul_f64 v[4:5], v[4:5], v[64:65]
	;; [unrolled: 3-line block ×3, first 2 shown]
	v_add_f64 v[2:3], v[6:7], v[2:3]
	v_fma_f64 v[4:5], v[14:15], v[88:89], -v[4:5]
	v_add_f64 v[2:3], v[2:3], v[4:5]
	v_mul_f64 v[4:5], v[124:125], v[82:83]
	v_fma_f64 v[4:5], v[122:123], v[84:85], -v[4:5]
	v_add_f64 v[2:3], v[2:3], v[4:5]
	v_mul_f64 v[4:5], v[154:155], v[94:95]
	;; [unrolled: 3-line block ×16, first 2 shown]
	v_fma_f64 v[4:5], v[208:209], v[224:225], -v[4:5]
	v_mul_f64 v[0:1], v[214:215], v[0:1]
	v_add_f64 v[2:3], v[2:3], v[4:5]
	v_fma_f64 v[0:1], v[212:213], v[220:221], -v[0:1]
	v_add_f64 v[0:1], v[2:3], v[0:1]
	v_mul_f64 v[2:3], v[218:219], v[230:231]
	v_fma_f64 v[2:3], v[216:217], v[232:233], -v[2:3]
	v_add_f64 v[0:1], v[0:1], v[2:3]
	v_mul_f64 v[2:3], v[40:41], v[226:227]
	;; [unrolled: 3-line block ×3, first 2 shown]
	v_fma_f64 v[2:3], v[48:49], v[236:237], -v[2:3]
	v_add_f64 v[0:1], v[0:1], v[2:3]
	v_add_f64 v[0:1], v[60:61], -v[0:1]
	v_add_f64 v[2:3], v[58:59], -v[150:151]
	buffer_store_dword v1, off, s[0:3], 0 offset:548
	buffer_store_dword v0, off, s[0:3], 0 offset:544
	buffer_store_dword v3, off, s[0:3], 0 offset:556
	buffer_store_dword v2, off, s[0:3], 0 offset:552
	s_and_saveexec_b64 s[4:5], vcc
	s_cbranch_execz .LBB127_345
; %bb.344:
	v_accvgpr_read_b32 v3, a159
	buffer_load_dword v0, v3, s[0:3], 0 offen
	buffer_load_dword v1, v3, s[0:3], 0 offen offset:4
	buffer_load_dword v2, v3, s[0:3], 0 offen offset:8
	s_nop 0
	buffer_load_dword v3, v3, s[0:3], 0 offen offset:12
	v_mov_b32_e32 v4, 0
	v_accvgpr_read_b32 v5, a192
	buffer_store_dword v4, off, s[0:3], 0 offset:528
	buffer_store_dword v4, off, s[0:3], 0 offset:532
	;; [unrolled: 1-line block ×4, first 2 shown]
	s_waitcnt vmcnt(4)
	ds_write_b128 v5, v[0:3]
.LBB127_345:
	s_or_b64 exec, exec, s[4:5]
	s_waitcnt lgkmcnt(0)
	; wave barrier
	s_waitcnt lgkmcnt(0)
	buffer_load_dword v106, off, s[0:3], 0 offset:544
	buffer_load_dword v107, off, s[0:3], 0 offset:548
	;; [unrolled: 1-line block ×49, first 2 shown]
	v_mov_b32_e32 v0, 0
	ds_read_b128 v[110:113], v0 offset:1552
	ds_read_b128 v[238:241], v0 offset:1568
	;; [unrolled: 1-line block ×10, first 2 shown]
	buffer_load_dword v158, off, s[0:3], 0 offset:736
	buffer_load_dword v173, off, s[0:3], 0 offset:732
	;; [unrolled: 1-line block ×69, first 2 shown]
	v_cmp_lt_u32_e32 vcc, 31, v254
	s_waitcnt vmcnt(62) lgkmcnt(9)
	v_mul_f64 v[34:35], v[110:111], v[108:109]
	v_fmac_f64_e32 v[34:35], v[112:113], v[106:107]
	v_add_f64 v[34:35], v[34:35], 0
	v_mul_f64 v[108:109], v[112:113], v[108:109]
	s_waitcnt lgkmcnt(8)
	v_mul_f64 v[36:37], v[238:239], v[116:117]
	v_fmac_f64_e32 v[36:37], v[240:241], v[114:115]
	s_waitcnt lgkmcnt(7)
	v_mul_f64 v[38:39], v[30:31], v[118:119]
	v_add_f64 v[34:35], v[34:35], v[36:37]
	s_waitcnt lgkmcnt(5)
	v_mul_f64 v[42:43], v[22:23], v[120:121]
	v_fma_f64 v[248:249], v[110:111], v[106:107], -v[108:109]
	v_fmac_f64_e32 v[42:43], v[24:25], v[122:123]
	v_mul_f64 v[116:117], v[240:241], v[116:117]
	v_mul_f64 v[40:41], v[26:27], v[124:125]
	v_fma_f64 v[250:251], v[238:239], v[114:115], -v[116:117]
	s_waitcnt lgkmcnt(3)
	v_mul_f64 v[46:47], v[14:15], v[126:127]
	v_mul_f64 v[24:25], v[24:25], v[120:121]
	v_fmac_f64_e32 v[46:47], v[16:17], v[128:129]
	v_fma_f64 v[22:23], v[22:23], v[122:123], -v[24:25]
	v_mul_f64 v[44:45], v[18:19], v[130:131]
	v_mul_f64 v[16:17], v[16:17], v[126:127]
	s_waitcnt lgkmcnt(1)
	v_mul_f64 v[50:51], v[6:7], v[132:133]
	v_fma_f64 v[14:15], v[14:15], v[128:129], -v[16:17]
	v_fmac_f64_e32 v[50:51], v[8:9], v[134:135]
	v_mul_f64 v[8:9], v[8:9], v[132:133]
	v_mul_f64 v[48:49], v[10:11], v[140:141]
	v_fma_f64 v[6:7], v[6:7], v[134:135], -v[8:9]
	s_waitcnt lgkmcnt(0)
	v_mul_f64 v[52:53], v[2:3], v[136:137]
	v_fmac_f64_e32 v[38:39], v[32:33], v[152:153]
	v_add_f64 v[34:35], v[34:35], v[38:39]
	v_fmac_f64_e32 v[40:41], v[28:29], v[150:151]
	v_add_f64 v[34:35], v[34:35], v[40:41]
	;; [unrolled: 2-line block ×3, first 2 shown]
	v_add_f64 v[34:35], v[34:35], v[44:45]
	v_fmac_f64_e32 v[48:49], v[12:13], v[146:147]
	v_add_f64 v[34:35], v[34:35], v[46:47]
	v_add_f64 v[34:35], v[34:35], v[48:49]
	v_fmac_f64_e32 v[52:53], v[4:5], v[144:145]
	v_add_f64 v[34:35], v[34:35], v[50:51]
	v_add_f64 v[42:43], v[34:35], v[52:53]
	ds_read_b128 v[38:41], v0 offset:1712
	ds_read_b128 v[34:37], v0 offset:1728
	buffer_load_dword v223, off, s[0:3], 0 offset:1036
	buffer_load_dword v222, off, s[0:3], 0 offset:1032
	;; [unrolled: 1-line block ×8, first 2 shown]
	ds_read_b128 v[110:113], v0 offset:2000
	ds_read_b128 v[106:109], v0 offset:2016
	s_waitcnt lgkmcnt(3)
	v_mul_f64 v[44:45], v[38:39], v[142:143]
	v_fmac_f64_e32 v[44:45], v[40:41], v[154:155]
	v_add_f64 v[46:47], v[42:43], v[44:45]
	ds_read_b128 v[42:45], v0 offset:1744
	s_waitcnt lgkmcnt(3)
	v_mul_f64 v[48:49], v[34:35], v[172:173]
	v_fmac_f64_e32 v[48:49], v[36:37], v[176:177]
	v_add_f64 v[50:51], v[46:47], v[48:49]
	;; [unrolled: 5-line block ×3, first 2 shown]
	ds_read_b128 v[50:53], v0 offset:1776
	s_waitcnt vmcnt(62) lgkmcnt(1)
	v_mul_f64 v[56:57], v[46:47], v[180:181]
	v_fmac_f64_e32 v[56:57], v[48:49], v[184:185]
	v_add_f64 v[58:59], v[54:55], v[56:57]
	ds_read_b128 v[54:57], v0 offset:1792
	s_waitcnt lgkmcnt(1)
	v_mul_f64 v[60:61], v[50:51], v[160:161]
	v_fmac_f64_e32 v[60:61], v[52:53], v[162:163]
	v_add_f64 v[62:63], v[58:59], v[60:61]
	ds_read_b128 v[58:61], v0 offset:1808
	s_waitcnt vmcnt(58) lgkmcnt(1)
	v_mul_f64 v[64:65], v[54:55], v[188:189]
	s_waitcnt vmcnt(56)
	v_fmac_f64_e32 v[64:65], v[56:57], v[194:195]
	v_add_f64 v[66:67], v[62:63], v[64:65]
	ds_read_b128 v[62:65], v0 offset:1824
	s_waitcnt lgkmcnt(1)
	v_mul_f64 v[68:69], v[58:59], v[164:165]
	v_fmac_f64_e32 v[68:69], v[60:61], v[166:167]
	v_add_f64 v[70:71], v[66:67], v[68:69]
	ds_read_b128 v[66:69], v0 offset:1840
	s_waitcnt vmcnt(50) lgkmcnt(1)
	v_mul_f64 v[72:73], v[62:63], v[198:199]
	s_waitcnt vmcnt(48)
	;; [unrolled: 11-line block ×5, first 2 shown]
	v_fmac_f64_e32 v[96:97], v[88:89], v[220:221]
	v_add_f64 v[98:99], v[94:95], v[96:97]
	ds_read_b128 v[94:97], v0 offset:1952
	s_waitcnt lgkmcnt(1)
	v_mul_f64 v[100:101], v[90:91], v[192:193]
	v_fmac_f64_e32 v[100:101], v[92:93], v[196:197]
	v_add_f64 v[190:191], v[98:99], v[100:101]
	ds_read_b128 v[98:101], v0 offset:1968
	ds_read_b128 v[102:105], v0 offset:1984
	s_waitcnt vmcnt(18) lgkmcnt(2)
	v_mul_f64 v[242:243], v[94:95], v[224:225]
	s_waitcnt vmcnt(16)
	v_fmac_f64_e32 v[242:243], v[96:97], v[228:229]
	v_add_f64 v[190:191], v[190:191], v[242:243]
	s_waitcnt lgkmcnt(1)
	v_mul_f64 v[242:243], v[98:99], v[200:201]
	v_fmac_f64_e32 v[242:243], v[100:101], v[204:205]
	v_add_f64 v[190:191], v[190:191], v[242:243]
	s_waitcnt vmcnt(10) lgkmcnt(0)
	v_mul_f64 v[242:243], v[102:103], v[230:231]
	ds_read_b128 v[114:117], v0 offset:2032
	s_waitcnt vmcnt(8)
	v_fmac_f64_e32 v[242:243], v[104:105], v[232:233]
	v_mul_f64 v[238:239], v[110:111], v[208:209]
	v_add_f64 v[190:191], v[190:191], v[242:243]
	v_fmac_f64_e32 v[238:239], v[112:113], v[212:213]
	v_add_f64 v[190:191], v[190:191], v[238:239]
	v_mul_f64 v[32:33], v[32:33], v[118:119]
	s_waitcnt vmcnt(2)
	v_mul_f64 v[238:239], v[106:107], v[234:235]
	v_fma_f64 v[30:31], v[30:31], v[152:153], -v[32:33]
	s_waitcnt vmcnt(0)
	v_fmac_f64_e32 v[238:239], v[108:109], v[236:237]
	v_add_f64 v[190:191], v[190:191], v[238:239]
	s_waitcnt lgkmcnt(0)
	v_mul_f64 v[238:239], v[114:115], v[222:223]
	v_fmac_f64_e32 v[238:239], v[116:117], v[226:227]
	v_add_f64 v[246:247], v[190:191], v[238:239]
	buffer_load_dword v238, off, s[0:3], 0 offset:536
	buffer_load_dword v239, off, s[0:3], 0 offset:540
	v_add_f64 v[190:191], v[248:249], 0
	v_add_f64 v[190:191], v[190:191], v[250:251]
	v_mul_f64 v[28:29], v[28:29], v[124:125]
	v_add_f64 v[30:31], v[190:191], v[30:31]
	v_fma_f64 v[26:27], v[26:27], v[150:151], -v[28:29]
	v_add_f64 v[26:27], v[30:31], v[26:27]
	v_mul_f64 v[20:21], v[20:21], v[130:131]
	v_add_f64 v[22:23], v[26:27], v[22:23]
	v_fma_f64 v[18:19], v[18:19], v[148:149], -v[20:21]
	v_add_f64 v[18:19], v[22:23], v[18:19]
	v_mul_f64 v[12:13], v[12:13], v[140:141]
	v_add_f64 v[14:15], v[18:19], v[14:15]
	v_fma_f64 v[10:11], v[10:11], v[146:147], -v[12:13]
	v_add_f64 v[10:11], v[14:15], v[10:11]
	v_mul_f64 v[4:5], v[4:5], v[136:137]
	v_add_f64 v[6:7], v[10:11], v[6:7]
	v_fma_f64 v[2:3], v[2:3], v[144:145], -v[4:5]
	v_mul_f64 v[4:5], v[40:41], v[142:143]
	v_add_f64 v[2:3], v[6:7], v[2:3]
	v_fma_f64 v[4:5], v[38:39], v[154:155], -v[4:5]
	v_add_f64 v[2:3], v[2:3], v[4:5]
	v_mul_f64 v[4:5], v[36:37], v[172:173]
	v_fma_f64 v[4:5], v[34:35], v[176:177], -v[4:5]
	v_add_f64 v[2:3], v[2:3], v[4:5]
	v_mul_f64 v[4:5], v[44:45], v[156:157]
	;; [unrolled: 3-line block ×20, first 2 shown]
	v_fma_f64 v[4:5], v[114:115], v[226:227], -v[4:5]
	v_add_f64 v[2:3], v[2:3], v[4:5]
	v_add_f64 v[2:3], v[138:139], -v[2:3]
	s_waitcnt vmcnt(0)
	v_add_f64 v[4:5], v[238:239], -v[246:247]
	buffer_store_dword v3, off, s[0:3], 0 offset:532
	buffer_store_dword v2, off, s[0:3], 0 offset:528
	;; [unrolled: 1-line block ×4, first 2 shown]
	s_and_saveexec_b64 s[4:5], vcc
	s_cbranch_execz .LBB127_347
; %bb.346:
	v_accvgpr_read_b32 v1, a160
	buffer_load_dword v2, v1, s[0:3], 0 offen
	buffer_load_dword v3, v1, s[0:3], 0 offen offset:4
	buffer_load_dword v4, v1, s[0:3], 0 offen offset:8
	;; [unrolled: 1-line block ×3, first 2 shown]
	v_accvgpr_read_b32 v1, a192
	buffer_store_dword v0, off, s[0:3], 0 offset:512
	buffer_store_dword v0, off, s[0:3], 0 offset:516
	;; [unrolled: 1-line block ×4, first 2 shown]
	s_waitcnt vmcnt(4)
	ds_write_b128 v1, v[2:5]
.LBB127_347:
	s_or_b64 exec, exec, s[4:5]
	s_waitcnt lgkmcnt(0)
	; wave barrier
	s_waitcnt lgkmcnt(0)
	buffer_load_dword v112, off, s[0:3], 0 offset:528
	buffer_load_dword v113, off, s[0:3], 0 offset:532
	;; [unrolled: 1-line block ×36, first 2 shown]
	ds_read_b128 v[102:105], v0 offset:1536
	ds_read_b128 v[106:109], v0 offset:1552
	;; [unrolled: 1-line block ×9, first 2 shown]
	buffer_load_dword v143, off, s[0:3], 0 offset:700
	buffer_load_dword v142, off, s[0:3], 0 offset:696
	;; [unrolled: 1-line block ×78, first 2 shown]
	v_cmp_lt_u32_e32 vcc, 30, v254
	s_waitcnt vmcnt(62) lgkmcnt(8)
	v_mul_f64 v[26:27], v[102:103], v[246:247]
	v_fmac_f64_e32 v[26:27], v[104:105], v[112:113]
	v_add_f64 v[26:27], v[26:27], 0
	v_mul_f64 v[104:105], v[104:105], v[246:247]
	s_waitcnt lgkmcnt(7)
	v_mul_f64 v[28:29], v[106:107], v[248:249]
	v_fmac_f64_e32 v[28:29], v[108:109], v[110:111]
	s_waitcnt lgkmcnt(6)
	v_mul_f64 v[30:31], v[114:115], v[236:237]
	v_add_f64 v[26:27], v[26:27], v[28:29]
	s_waitcnt lgkmcnt(4)
	v_mul_f64 v[34:35], v[18:19], v[118:119]
	v_fma_f64 v[246:247], v[102:103], v[112:113], -v[104:105]
	v_fmac_f64_e32 v[34:35], v[20:21], v[120:121]
	v_mul_f64 v[108:109], v[108:109], v[248:249]
	v_mul_f64 v[32:33], v[22:23], v[122:123]
	v_fma_f64 v[248:249], v[106:107], v[110:111], -v[108:109]
	s_waitcnt lgkmcnt(2)
	v_mul_f64 v[38:39], v[10:11], v[124:125]
	v_mul_f64 v[20:21], v[20:21], v[118:119]
	v_fmac_f64_e32 v[38:39], v[12:13], v[126:127]
	v_fma_f64 v[18:19], v[18:19], v[120:121], -v[20:21]
	v_mul_f64 v[36:37], v[14:15], v[130:131]
	v_mul_f64 v[12:13], v[12:13], v[124:125]
	s_waitcnt lgkmcnt(1)
	v_mul_f64 v[40:41], v[6:7], v[128:129]
	v_fma_f64 v[10:11], v[10:11], v[126:127], -v[12:13]
	v_fmac_f64_e32 v[30:31], v[116:117], v[250:251]
	v_add_f64 v[26:27], v[26:27], v[30:31]
	v_fmac_f64_e32 v[32:33], v[24:25], v[138:139]
	v_add_f64 v[26:27], v[26:27], v[32:33]
	;; [unrolled: 2-line block ×3, first 2 shown]
	v_add_f64 v[26:27], v[26:27], v[36:37]
	v_fmac_f64_e32 v[40:41], v[8:9], v[134:135]
	v_add_f64 v[30:31], v[26:27], v[38:39]
	v_add_f64 v[30:31], v[30:31], v[40:41]
	s_waitcnt lgkmcnt(0)
	v_mul_f64 v[32:33], v[2:3], v[132:133]
	v_fmac_f64_e32 v[32:33], v[4:5], v[140:141]
	ds_read_b128 v[26:29], v0 offset:1680
	v_add_f64 v[34:35], v[30:31], v[32:33]
	ds_read_b128 v[30:33], v0 offset:1696
	buffer_load_dword v223, off, s[0:3], 0 offset:964
	buffer_load_dword v222, off, s[0:3], 0 offset:960
	v_mul_f64 v[116:117], v[116:117], v[236:237]
	s_waitcnt lgkmcnt(1)
	v_mul_f64 v[36:37], v[26:27], v[146:147]
	v_fmac_f64_e32 v[36:37], v[28:29], v[148:149]
	v_add_f64 v[38:39], v[34:35], v[36:37]
	ds_read_b128 v[34:37], v0 offset:1712
	s_waitcnt lgkmcnt(1)
	v_mul_f64 v[40:41], v[30:31], v[142:143]
	v_fmac_f64_e32 v[40:41], v[32:33], v[144:145]
	v_add_f64 v[42:43], v[38:39], v[40:41]
	ds_read_b128 v[38:41], v0 offset:1728
	;; [unrolled: 5-line block ×4, first 2 shown]
	buffer_load_dword v225, off, s[0:3], 0 offset:1020
	buffer_load_dword v227, off, s[0:3], 0 offset:1004
	;; [unrolled: 1-line block ×12, first 2 shown]
	s_waitcnt vmcnt(62) lgkmcnt(1)
	v_mul_f64 v[52:53], v[42:43], v[174:175]
	v_fmac_f64_e32 v[52:53], v[44:45], v[178:179]
	v_add_f64 v[54:55], v[50:51], v[52:53]
	ds_read_b128 v[50:53], v0 offset:1776
	s_waitcnt lgkmcnt(1)
	v_mul_f64 v[56:57], v[46:47], v[154:155]
	v_fmac_f64_e32 v[56:57], v[48:49], v[156:157]
	v_add_f64 v[58:59], v[54:55], v[56:57]
	ds_read_b128 v[54:57], v0 offset:1792
	s_waitcnt lgkmcnt(1)
	v_mul_f64 v[60:61], v[50:51], v[182:183]
	s_waitcnt vmcnt(60)
	v_fmac_f64_e32 v[60:61], v[52:53], v[186:187]
	v_add_f64 v[62:63], v[58:59], v[60:61]
	ds_read_b128 v[58:61], v0 offset:1808
	s_waitcnt lgkmcnt(1)
	v_mul_f64 v[64:65], v[54:55], v[162:163]
	v_fmac_f64_e32 v[64:65], v[56:57], v[164:165]
	v_add_f64 v[66:67], v[62:63], v[64:65]
	ds_read_b128 v[62:65], v0 offset:1824
	s_waitcnt vmcnt(54) lgkmcnt(1)
	v_mul_f64 v[68:69], v[58:59], v[192:193]
	s_waitcnt vmcnt(52)
	v_fmac_f64_e32 v[68:69], v[60:61], v[196:197]
	v_add_f64 v[70:71], v[66:67], v[68:69]
	ds_read_b128 v[66:69], v0 offset:1840
	s_waitcnt lgkmcnt(1)
	v_mul_f64 v[72:73], v[62:63], v[166:167]
	v_fmac_f64_e32 v[72:73], v[64:65], v[168:169]
	v_add_f64 v[74:75], v[70:71], v[72:73]
	ds_read_b128 v[70:73], v0 offset:1856
	s_waitcnt vmcnt(46) lgkmcnt(1)
	;; [unrolled: 11-line block ×4, first 2 shown]
	v_mul_f64 v[92:93], v[82:83], v[212:213]
	s_waitcnt vmcnt(28)
	v_fmac_f64_e32 v[92:93], v[84:85], v[214:215]
	v_add_f64 v[98:99], v[90:91], v[92:93]
	ds_read_b128 v[90:93], v0 offset:1936
	ds_read_b128 v[94:97], v0 offset:1952
	s_waitcnt lgkmcnt(2)
	v_mul_f64 v[100:101], v[86:87], v[184:185]
	v_fmac_f64_e32 v[100:101], v[88:89], v[188:189]
	v_add_f64 v[98:99], v[98:99], v[100:101]
	s_waitcnt vmcnt(22) lgkmcnt(1)
	v_mul_f64 v[100:101], v[90:91], v[216:217]
	s_waitcnt vmcnt(20)
	v_fmac_f64_e32 v[100:101], v[92:93], v[218:219]
	v_add_f64 v[98:99], v[98:99], v[100:101]
	s_waitcnt lgkmcnt(0)
	v_mul_f64 v[100:101], v[94:95], v[194:195]
	v_fmac_f64_e32 v[100:101], v[96:97], v[198:199]
	v_add_f64 v[190:191], v[98:99], v[100:101]
	ds_read_b128 v[98:101], v0 offset:1968
	ds_read_b128 v[102:105], v0 offset:1984
	;; [unrolled: 1-line block ×3, first 2 shown]
	v_fma_f64 v[250:251], v[114:115], v[250:251], -v[116:117]
	ds_read_b128 v[114:117], v0 offset:2032
	s_waitcnt vmcnt(14) lgkmcnt(3)
	v_mul_f64 v[112:113], v[98:99], v[220:221]
	s_waitcnt lgkmcnt(2)
	v_mul_f64 v[110:111], v[102:103], v[202:203]
	s_waitcnt vmcnt(12)
	v_fmac_f64_e32 v[112:113], v[100:101], v[222:223]
	v_add_f64 v[112:113], v[190:191], v[112:113]
	v_fmac_f64_e32 v[110:111], v[104:105], v[206:207]
	v_add_f64 v[190:191], v[112:113], v[110:111]
	ds_read_b128 v[110:113], v0 offset:2016
	buffer_load_dword v240, off, s[0:3], 0 offset:512
	buffer_load_dword v241, off, s[0:3], 0 offset:516
	;; [unrolled: 1-line block ×4, first 2 shown]
	v_mul_f64 v[24:25], v[24:25], v[122:123]
	v_fma_f64 v[22:23], v[22:23], v[138:139], -v[24:25]
	v_mul_f64 v[16:17], v[16:17], v[130:131]
	s_waitcnt vmcnt(13) lgkmcnt(2)
	v_mul_f64 v[236:237], v[106:107], v[226:227]
	v_fma_f64 v[14:15], v[14:15], v[136:137], -v[16:17]
	s_waitcnt vmcnt(11)
	v_fmac_f64_e32 v[236:237], v[108:109], v[232:233]
	v_add_f64 v[0:1], v[190:191], v[236:237]
	s_waitcnt vmcnt(10) lgkmcnt(0)
	v_mul_f64 v[190:191], v[110:111], v[224:225]
	s_waitcnt vmcnt(8)
	v_fmac_f64_e32 v[190:191], v[112:113], v[230:231]
	v_add_f64 v[0:1], v[0:1], v[190:191]
	s_waitcnt vmcnt(6)
	v_mul_f64 v[190:191], v[114:115], v[228:229]
	v_mul_f64 v[8:9], v[8:9], v[128:129]
	s_waitcnt vmcnt(4)
	v_fmac_f64_e32 v[190:191], v[116:117], v[234:235]
	v_add_f64 v[236:237], v[0:1], v[190:191]
	v_add_f64 v[0:1], v[246:247], 0
	v_add_f64 v[0:1], v[0:1], v[248:249]
	v_add_f64 v[0:1], v[0:1], v[250:251]
	v_add_f64 v[0:1], v[0:1], v[22:23]
	v_add_f64 v[0:1], v[0:1], v[18:19]
	v_add_f64 v[0:1], v[0:1], v[14:15]
	v_add_f64 v[0:1], v[0:1], v[10:11]
	v_fma_f64 v[6:7], v[6:7], v[134:135], -v[8:9]
	v_mul_f64 v[4:5], v[4:5], v[132:133]
	v_add_f64 v[0:1], v[0:1], v[6:7]
	v_fma_f64 v[2:3], v[2:3], v[140:141], -v[4:5]
	v_add_f64 v[0:1], v[0:1], v[2:3]
	v_mul_f64 v[2:3], v[28:29], v[146:147]
	v_fma_f64 v[2:3], v[26:27], v[148:149], -v[2:3]
	v_add_f64 v[0:1], v[0:1], v[2:3]
	v_mul_f64 v[2:3], v[32:33], v[142:143]
	;; [unrolled: 3-line block ×23, first 2 shown]
	v_fma_f64 v[2:3], v[114:115], v[234:235], -v[2:3]
	v_add_f64 v[0:1], v[0:1], v[2:3]
	s_waitcnt vmcnt(2)
	v_add_f64 v[0:1], v[240:241], -v[0:1]
	s_waitcnt vmcnt(0)
	v_add_f64 v[2:3], v[238:239], -v[236:237]
	buffer_store_dword v1, off, s[0:3], 0 offset:516
	buffer_store_dword v0, off, s[0:3], 0 offset:512
	;; [unrolled: 1-line block ×4, first 2 shown]
	s_and_saveexec_b64 s[4:5], vcc
	s_cbranch_execz .LBB127_349
; %bb.348:
	v_accvgpr_read_b32 v3, a161
	buffer_load_dword v0, v3, s[0:3], 0 offen
	buffer_load_dword v1, v3, s[0:3], 0 offen offset:4
	buffer_load_dword v2, v3, s[0:3], 0 offen offset:8
	s_nop 0
	buffer_load_dword v3, v3, s[0:3], 0 offen offset:12
	v_mov_b32_e32 v4, 0
	v_accvgpr_read_b32 v5, a192
	buffer_store_dword v4, off, s[0:3], 0 offset:496
	buffer_store_dword v4, off, s[0:3], 0 offset:500
	buffer_store_dword v4, off, s[0:3], 0 offset:504
	buffer_store_dword v4, off, s[0:3], 0 offset:508
	s_waitcnt vmcnt(4)
	ds_write_b128 v5, v[0:3]
.LBB127_349:
	s_or_b64 exec, exec, s[4:5]
	s_waitcnt lgkmcnt(0)
	; wave barrier
	s_waitcnt lgkmcnt(0)
	buffer_load_dword v94, off, s[0:3], 0 offset:512
	buffer_load_dword v95, off, s[0:3], 0 offset:516
	;; [unrolled: 1-line block ×52, first 2 shown]
	v_mov_b32_e32 v0, 0
	ds_read_b128 v[102:105], v0 offset:1520
	ds_read_b128 v[114:117], v0 offset:1536
	;; [unrolled: 1-line block ×10, first 2 shown]
	v_accvgpr_write_b32 a191, v254
	v_cmp_lt_u32_e32 vcc, 29, v254
	s_waitcnt vmcnt(48) lgkmcnt(9)
	v_mul_f64 v[26:27], v[102:103], v[96:97]
	v_fmac_f64_e32 v[26:27], v[104:105], v[94:95]
	v_add_f64 v[26:27], v[26:27], 0
	v_mul_f64 v[96:97], v[104:105], v[96:97]
	s_waitcnt vmcnt(44) lgkmcnt(8)
	v_mul_f64 v[28:29], v[114:115], v[100:101]
	v_fmac_f64_e32 v[28:29], v[116:117], v[98:99]
	s_waitcnt vmcnt(42) lgkmcnt(7)
	v_mul_f64 v[30:31], v[236:237], v[106:107]
	v_add_f64 v[26:27], v[26:27], v[28:29]
	s_waitcnt vmcnt(40) lgkmcnt(5)
	v_mul_f64 v[34:35], v[22:23], v[120:121]
	v_fma_f64 v[244:245], v[102:103], v[94:95], -v[96:97]
	s_waitcnt vmcnt(38)
	v_fmac_f64_e32 v[34:35], v[24:25], v[124:125]
	v_mul_f64 v[100:101], v[116:117], v[100:101]
	s_waitcnt vmcnt(36)
	v_mul_f64 v[32:33], v[240:241], v[110:111]
	v_fma_f64 v[250:251], v[114:115], v[98:99], -v[100:101]
	s_waitcnt vmcnt(34) lgkmcnt(3)
	v_mul_f64 v[38:39], v[14:15], v[118:119]
	v_mul_f64 v[106:107], v[238:239], v[106:107]
	s_waitcnt vmcnt(32)
	v_fmac_f64_e32 v[38:39], v[16:17], v[122:123]
	v_mul_f64 v[110:111], v[242:243], v[110:111]
	s_waitcnt vmcnt(30)
	v_mul_f64 v[36:37], v[18:19], v[130:131]
	v_mul_f64 v[24:25], v[24:25], v[120:121]
	v_fma_f64 v[22:23], v[22:23], v[124:125], -v[24:25]
	s_waitcnt vmcnt(27) lgkmcnt(2)
	v_mul_f64 v[40:41], v[10:11], v[128:129]
	s_waitcnt vmcnt(26) lgkmcnt(1)
	v_mul_f64 v[42:43], v[6:7], v[126:127]
	v_mul_f64 v[16:17], v[16:17], v[118:119]
	s_waitcnt vmcnt(24)
	v_fmac_f64_e32 v[30:31], v[238:239], v[108:109]
	v_add_f64 v[26:27], v[26:27], v[30:31]
	s_waitcnt vmcnt(22)
	v_fmac_f64_e32 v[32:33], v[242:243], v[112:113]
	v_add_f64 v[26:27], v[26:27], v[32:33]
	;; [unrolled: 3-line block ×3, first 2 shown]
	v_add_f64 v[26:27], v[26:27], v[36:37]
	s_waitcnt vmcnt(18)
	v_fmac_f64_e32 v[40:41], v[12:13], v[132:133]
	v_add_f64 v[26:27], v[26:27], v[38:39]
	v_add_f64 v[26:27], v[26:27], v[40:41]
	s_waitcnt vmcnt(16)
	v_fmac_f64_e32 v[42:43], v[8:9], v[138:139]
	v_add_f64 v[34:35], v[26:27], v[42:43]
	ds_read_b128 v[26:29], v0 offset:1680
	ds_read_b128 v[30:33], v0 offset:1696
	buffer_load_dword v155, off, s[0:3], 0 offset:748
	buffer_load_dword v154, off, s[0:3], 0 offset:744
	;; [unrolled: 1-line block ×56, first 2 shown]
	s_waitcnt vmcnt(62) lgkmcnt(2)
	v_mul_f64 v[36:37], v[2:3], v[142:143]
	v_fmac_f64_e32 v[36:37], v[4:5], v[144:145]
	v_add_f64 v[34:35], v[34:35], v[36:37]
	s_waitcnt lgkmcnt(1)
	v_mul_f64 v[36:37], v[26:27], v[136:137]
	v_fmac_f64_e32 v[36:37], v[28:29], v[140:141]
	v_add_f64 v[34:35], v[34:35], v[36:37]
	s_waitcnt lgkmcnt(0)
	v_mul_f64 v[36:37], v[30:31], v[146:147]
	s_waitcnt vmcnt(60)
	v_fmac_f64_e32 v[36:37], v[32:33], v[150:151]
	v_add_f64 v[42:43], v[34:35], v[36:37]
	ds_read_b128 v[34:37], v0 offset:1712
	buffer_load_dword v201, off, s[0:3], 0 offset:972
	buffer_load_dword v200, off, s[0:3], 0 offset:968
	;; [unrolled: 1-line block ×16, first 2 shown]
	ds_read_b128 v[38:41], v0 offset:1728
	buffer_load_dword v223, off, s[0:3], 0 offset:1036
	buffer_load_dword v222, off, s[0:3], 0 offset:1032
	;; [unrolled: 1-line block ×8, first 2 shown]
	ds_read_b128 v[98:101], v0 offset:1968
	s_waitcnt vmcnt(62) lgkmcnt(2)
	v_mul_f64 v[44:45], v[34:35], v[148:149]
	v_fmac_f64_e32 v[44:45], v[36:37], v[152:153]
	v_add_f64 v[46:47], v[42:43], v[44:45]
	ds_read_b128 v[42:45], v0 offset:1744
	v_fma_f64 v[248:249], v[236:237], v[108:109], -v[106:107]
	ds_read_b128 v[106:109], v0 offset:2000
	v_fma_f64 v[246:247], v[240:241], v[112:113], -v[110:111]
	v_mul_f64 v[20:21], v[20:21], v[130:131]
	v_fma_f64 v[18:19], v[18:19], v[134:135], -v[20:21]
	v_fma_f64 v[14:15], v[14:15], v[122:123], -v[16:17]
	v_mul_f64 v[12:13], v[12:13], v[128:129]
	v_fma_f64 v[10:11], v[10:11], v[132:133], -v[12:13]
	v_mul_f64 v[8:9], v[8:9], v[126:127]
	;; [unrolled: 2-line block ×3, first 2 shown]
	s_waitcnt lgkmcnt(3)
	v_mul_f64 v[48:49], v[38:39], v[170:171]
	v_fma_f64 v[2:3], v[2:3], v[144:145], -v[4:5]
	v_fmac_f64_e32 v[48:49], v[40:41], v[174:175]
	v_add_f64 v[50:51], v[46:47], v[48:49]
	ds_read_b128 v[46:49], v0 offset:1760
	s_waitcnt lgkmcnt(2)
	v_mul_f64 v[52:53], v[42:43], v[154:155]
	v_fmac_f64_e32 v[52:53], v[44:45], v[156:157]
	v_add_f64 v[54:55], v[50:51], v[52:53]
	ds_read_b128 v[50:53], v0 offset:1776
	s_waitcnt lgkmcnt(1)
	v_mul_f64 v[56:57], v[46:47], v[178:179]
	;; [unrolled: 5-line block ×3, first 2 shown]
	v_fmac_f64_e32 v[60:61], v[52:53], v[160:161]
	v_add_f64 v[62:63], v[58:59], v[60:61]
	ds_read_b128 v[58:61], v0 offset:1808
	s_waitcnt vmcnt(58) lgkmcnt(1)
	v_mul_f64 v[64:65], v[54:55], v[186:187]
	s_waitcnt vmcnt(56)
	v_fmac_f64_e32 v[64:65], v[56:57], v[192:193]
	v_add_f64 v[66:67], v[62:63], v[64:65]
	ds_read_b128 v[62:65], v0 offset:1824
	s_waitcnt lgkmcnt(1)
	v_mul_f64 v[68:69], v[58:59], v[162:163]
	v_fmac_f64_e32 v[68:69], v[60:61], v[164:165]
	v_add_f64 v[70:71], v[66:67], v[68:69]
	ds_read_b128 v[66:69], v0 offset:1840
	s_waitcnt vmcnt(50) lgkmcnt(1)
	v_mul_f64 v[72:73], v[62:63], v[196:197]
	s_waitcnt vmcnt(48)
	v_fmac_f64_e32 v[72:73], v[64:65], v[198:199]
	v_add_f64 v[74:75], v[70:71], v[72:73]
	ds_read_b128 v[70:73], v0 offset:1856
	s_waitcnt lgkmcnt(1)
	v_mul_f64 v[76:77], v[66:67], v[166:167]
	;; [unrolled: 11-line block ×3, first 2 shown]
	v_fmac_f64_e32 v[84:85], v[76:77], v[176:177]
	v_add_f64 v[90:91], v[82:83], v[84:85]
	ds_read_b128 v[82:85], v0 offset:1904
	ds_read_b128 v[86:89], v0 offset:1920
	s_waitcnt vmcnt(34) lgkmcnt(2)
	v_mul_f64 v[92:93], v[78:79], v[210:211]
	s_waitcnt vmcnt(32)
	v_fmac_f64_e32 v[92:93], v[80:81], v[216:217]
	v_add_f64 v[90:91], v[90:91], v[92:93]
	s_waitcnt lgkmcnt(1)
	v_mul_f64 v[92:93], v[82:83], v[180:181]
	v_fmac_f64_e32 v[92:93], v[84:85], v[184:185]
	v_add_f64 v[90:91], v[90:91], v[92:93]
	s_waitcnt vmcnt(27) lgkmcnt(0)
	v_mul_f64 v[92:93], v[86:87], v[214:215]
	s_waitcnt vmcnt(25)
	v_fmac_f64_e32 v[92:93], v[88:89], v[218:219]
	v_add_f64 v[190:191], v[90:91], v[92:93]
	ds_read_b128 v[90:93], v0 offset:1936
	ds_read_b128 v[94:97], v0 offset:1952
	;; [unrolled: 1-line block ×3, first 2 shown]
	v_mul_f64 v[4:5], v[28:29], v[136:137]
	v_fma_f64 v[4:5], v[26:27], v[140:141], -v[4:5]
	s_waitcnt lgkmcnt(2)
	v_mul_f64 v[102:103], v[90:91], v[188:189]
	s_waitcnt vmcnt(24)
	v_fmac_f64_e32 v[102:103], v[92:93], v[194:195]
	s_waitcnt vmcnt(18) lgkmcnt(1)
	v_mul_f64 v[104:105], v[94:95], v[220:221]
	v_add_f64 v[102:103], v[190:191], v[102:103]
	s_waitcnt vmcnt(16)
	v_fmac_f64_e32 v[104:105], v[96:97], v[224:225]
	v_add_f64 v[102:103], v[102:103], v[104:105]
	v_mul_f64 v[104:105], v[98:99], v[200:201]
	v_fmac_f64_e32 v[104:105], v[100:101], v[204:205]
	v_add_f64 v[114:115], v[102:103], v[104:105]
	ds_read_b128 v[102:105], v0 offset:1984
	s_waitcnt vmcnt(10) lgkmcnt(0)
	v_mul_f64 v[116:117], v[102:103], v[228:229]
	s_waitcnt vmcnt(8)
	v_fmac_f64_e32 v[116:117], v[104:105], v[230:231]
	v_add_f64 v[114:115], v[114:115], v[116:117]
	v_mul_f64 v[116:117], v[106:107], v[208:209]
	v_fmac_f64_e32 v[116:117], v[108:109], v[212:213]
	v_add_f64 v[114:115], v[114:115], v[116:117]
	s_waitcnt vmcnt(2)
	v_mul_f64 v[116:117], v[110:111], v[232:233]
	s_waitcnt vmcnt(0)
	v_fmac_f64_e32 v[116:117], v[112:113], v[234:235]
	v_add_f64 v[190:191], v[114:115], v[116:117]
	ds_read_b128 v[114:117], v0 offset:2032
	buffer_load_dword v252, off, s[0:3], 0 offset:496
	buffer_load_dword v253, off, s[0:3], 0 offset:500
	s_waitcnt lgkmcnt(0)
	v_mul_f64 v[236:237], v[114:115], v[222:223]
	v_fmac_f64_e32 v[236:237], v[116:117], v[226:227]
	v_add_f64 v[236:237], v[190:191], v[236:237]
	v_add_f64 v[190:191], v[244:245], 0
	;; [unrolled: 1-line block ×4, first 2 shown]
	buffer_load_dword v248, off, s[0:3], 0 offset:504
	buffer_load_dword v249, off, s[0:3], 0 offset:508
	v_add_f64 v[190:191], v[190:191], v[246:247]
	v_add_f64 v[22:23], v[190:191], v[22:23]
	v_add_f64 v[18:19], v[22:23], v[18:19]
	v_add_f64 v[14:15], v[18:19], v[14:15]
	v_add_f64 v[10:11], v[14:15], v[10:11]
	v_add_f64 v[6:7], v[10:11], v[6:7]
	v_add_f64 v[2:3], v[6:7], v[2:3]
	v_add_f64 v[2:3], v[2:3], v[4:5]
	v_mul_f64 v[4:5], v[32:33], v[146:147]
	v_fma_f64 v[4:5], v[30:31], v[150:151], -v[4:5]
	v_add_f64 v[2:3], v[2:3], v[4:5]
	v_mul_f64 v[4:5], v[36:37], v[148:149]
	v_fma_f64 v[4:5], v[34:35], v[152:153], -v[4:5]
	v_add_f64 v[2:3], v[2:3], v[4:5]
	;; [unrolled: 3-line block ×22, first 2 shown]
	s_waitcnt vmcnt(2)
	v_add_f64 v[2:3], v[252:253], -v[2:3]
	s_waitcnt vmcnt(0)
	v_add_f64 v[4:5], v[248:249], -v[236:237]
	buffer_store_dword v3, off, s[0:3], 0 offset:500
	buffer_store_dword v2, off, s[0:3], 0 offset:496
	;; [unrolled: 1-line block ×4, first 2 shown]
	s_and_saveexec_b64 s[4:5], vcc
	s_cbranch_execz .LBB127_351
; %bb.350:
	v_accvgpr_read_b32 v1, a162
	buffer_load_dword v2, v1, s[0:3], 0 offen
	buffer_load_dword v3, v1, s[0:3], 0 offen offset:4
	buffer_load_dword v4, v1, s[0:3], 0 offen offset:8
	;; [unrolled: 1-line block ×3, first 2 shown]
	v_accvgpr_read_b32 v1, a192
	buffer_store_dword v0, off, s[0:3], 0 offset:480
	buffer_store_dword v0, off, s[0:3], 0 offset:484
	;; [unrolled: 1-line block ×4, first 2 shown]
	s_waitcnt vmcnt(4)
	ds_write_b128 v1, v[2:5]
.LBB127_351:
	s_or_b64 exec, exec, s[4:5]
	s_waitcnt lgkmcnt(0)
	; wave barrier
	s_waitcnt lgkmcnt(0)
	buffer_load_dword v86, off, s[0:3], 0 offset:496
	buffer_load_dword v87, off, s[0:3], 0 offset:500
	buffer_load_dword v88, off, s[0:3], 0 offset:504
	buffer_load_dword v89, off, s[0:3], 0 offset:508
	buffer_load_dword v90, off, s[0:3], 0 offset:512
	buffer_load_dword v91, off, s[0:3], 0 offset:516
	buffer_load_dword v92, off, s[0:3], 0 offset:520
	buffer_load_dword v93, off, s[0:3], 0 offset:524
	buffer_load_dword v98, off, s[0:3], 0 offset:536
	buffer_load_dword v99, off, s[0:3], 0 offset:540
	buffer_load_dword v111, off, s[0:3], 0 offset:572
	buffer_load_dword v110, off, s[0:3], 0 offset:568
	buffer_load_dword v113, off, s[0:3], 0 offset:564
	buffer_load_dword v112, off, s[0:3], 0 offset:560
	buffer_load_dword v103, off, s[0:3], 0 offset:556
	buffer_load_dword v102, off, s[0:3], 0 offset:552
	buffer_load_dword v119, off, s[0:3], 0 offset:604
	buffer_load_dword v118, off, s[0:3], 0 offset:600
	buffer_load_dword v121, off, s[0:3], 0 offset:596
	buffer_load_dword v120, off, s[0:3], 0 offset:592
	buffer_load_dword v123, off, s[0:3], 0 offset:588
	buffer_load_dword v122, off, s[0:3], 0 offset:584
	buffer_load_dword v125, off, s[0:3], 0 offset:636
	buffer_load_dword v124, off, s[0:3], 0 offset:632
	buffer_load_dword v126, off, s[0:3], 0 offset:624
	buffer_load_dword v131, off, s[0:3], 0 offset:620
	buffer_load_dword v130, off, s[0:3], 0 offset:616
	buffer_load_dword v129, off, s[0:3], 0 offset:652
	buffer_load_dword v128, off, s[0:3], 0 offset:648
	buffer_load_dword v100, off, s[0:3], 0 offset:528
	buffer_load_dword v101, off, s[0:3], 0 offset:532
	buffer_load_dword v105, off, s[0:3], 0 offset:548
	buffer_load_dword v104, off, s[0:3], 0 offset:544
	buffer_load_dword v135, off, s[0:3], 0 offset:580
	buffer_load_dword v134, off, s[0:3], 0 offset:576
	buffer_load_dword v133, off, s[0:3], 0 offset:612
	buffer_load_dword v132, off, s[0:3], 0 offset:608
	buffer_load_dword v127, off, s[0:3], 0 offset:628
	buffer_load_dword v136, off, s[0:3], 0 offset:664
	buffer_load_dword v138, off, s[0:3], 0 offset:656
	buffer_load_dword v139, off, s[0:3], 0 offset:660
	buffer_load_dword v137, off, s[0:3], 0 offset:668
	ds_read_b128 v[94:97], v0 offset:1504
	ds_read_b128 v[106:109], v0 offset:1520
	;; [unrolled: 1-line block ×10, first 2 shown]
	buffer_load_dword v145, off, s[0:3], 0 offset:644
	buffer_load_dword v144, off, s[0:3], 0 offset:640
	ds_read_b128 v[6:9], v0 offset:1664
	buffer_load_dword v141, off, s[0:3], 0 offset:700
	buffer_load_dword v140, off, s[0:3], 0 offset:696
	;; [unrolled: 1-line block ×80, first 2 shown]
	s_waitcnt vmcnt(62) lgkmcnt(10)
	v_mul_f64 v[26:27], v[94:95], v[88:89]
	v_fmac_f64_e32 v[26:27], v[96:97], v[86:87]
	v_add_f64 v[26:27], v[26:27], 0
	v_mul_f64 v[88:89], v[96:97], v[88:89]
	s_waitcnt lgkmcnt(9)
	v_mul_f64 v[28:29], v[106:107], v[92:93]
	v_fmac_f64_e32 v[28:29], v[108:109], v[90:91]
	s_waitcnt lgkmcnt(8)
	v_mul_f64 v[30:31], v[114:115], v[98:99]
	v_add_f64 v[26:27], v[26:27], v[28:29]
	s_waitcnt lgkmcnt(6)
	v_mul_f64 v[34:35], v[240:241], v[110:111]
	v_fma_f64 v[244:245], v[94:95], v[86:87], -v[88:89]
	v_fmac_f64_e32 v[34:35], v[242:243], v[112:113]
	v_mul_f64 v[92:93], v[108:109], v[92:93]
	v_mul_f64 v[32:33], v[236:237], v[102:103]
	;; [unrolled: 1-line block ×3, first 2 shown]
	s_waitcnt lgkmcnt(4)
	v_mul_f64 v[38:39], v[18:19], v[118:119]
	v_mul_f64 v[102:103], v[238:239], v[102:103]
	v_fmac_f64_e32 v[38:39], v[20:21], v[120:121]
	v_mul_f64 v[110:111], v[242:243], v[110:111]
	v_mul_f64 v[36:37], v[22:23], v[122:123]
	v_fma_f64 v[248:249], v[240:241], v[112:113], -v[110:111]
	s_waitcnt lgkmcnt(2)
	v_mul_f64 v[42:43], v[10:11], v[124:125]
	v_mul_f64 v[20:21], v[20:21], v[118:119]
	v_fma_f64 v[18:19], v[18:19], v[120:121], -v[20:21]
	v_mul_f64 v[40:41], v[14:15], v[130:131]
	s_waitcnt lgkmcnt(1)
	v_mul_f64 v[44:45], v[2:3], v[128:129]
	v_fmac_f64_e32 v[30:31], v[116:117], v[100:101]
	v_add_f64 v[26:27], v[26:27], v[30:31]
	v_fmac_f64_e32 v[32:33], v[238:239], v[104:105]
	v_add_f64 v[26:27], v[26:27], v[32:33]
	;; [unrolled: 2-line block ×3, first 2 shown]
	v_add_f64 v[26:27], v[26:27], v[36:37]
	v_fmac_f64_e32 v[40:41], v[16:17], v[132:133]
	v_add_f64 v[26:27], v[26:27], v[38:39]
	v_fmac_f64_e32 v[42:43], v[12:13], v[126:127]
	v_add_f64 v[26:27], v[26:27], v[40:41]
	v_add_f64 v[26:27], v[26:27], v[42:43]
	s_waitcnt lgkmcnt(0)
	v_mul_f64 v[32:33], v[6:7], v[136:137]
	v_fmac_f64_e32 v[44:45], v[4:5], v[144:145]
	v_add_f64 v[30:31], v[26:27], v[44:45]
	ds_read_b128 v[26:29], v0 offset:1680
	v_fmac_f64_e32 v[32:33], v[8:9], v[138:139]
	v_add_f64 v[34:35], v[30:31], v[32:33]
	ds_read_b128 v[30:33], v0 offset:1696
	v_fma_f64 v[250:251], v[114:115], v[100:101], -v[98:99]
	s_waitcnt lgkmcnt(1)
	v_mul_f64 v[36:37], v[26:27], v[146:147]
	v_fmac_f64_e32 v[36:37], v[28:29], v[162:163]
	v_add_f64 v[38:39], v[34:35], v[36:37]
	ds_read_b128 v[34:37], v0 offset:1712
	s_waitcnt lgkmcnt(1)
	v_mul_f64 v[40:41], v[30:31], v[140:141]
	v_fmac_f64_e32 v[40:41], v[32:33], v[142:143]
	v_add_f64 v[42:43], v[38:39], v[40:41]
	ds_read_b128 v[38:41], v0 offset:1728
	s_waitcnt lgkmcnt(1)
	v_mul_f64 v[44:45], v[34:35], v[166:167]
	v_fmac_f64_e32 v[44:45], v[36:37], v[170:171]
	v_add_f64 v[46:47], v[42:43], v[44:45]
	ds_read_b128 v[42:45], v0 offset:1744
	s_waitcnt lgkmcnt(1)
	v_mul_f64 v[48:49], v[38:39], v[148:149]
	v_fmac_f64_e32 v[48:49], v[40:41], v[150:151]
	v_add_f64 v[50:51], v[46:47], v[48:49]
	ds_read_b128 v[46:49], v0 offset:1760
	s_waitcnt vmcnt(58) lgkmcnt(1)
	v_mul_f64 v[52:53], v[42:43], v[174:175]
	s_waitcnt vmcnt(56)
	v_fmac_f64_e32 v[52:53], v[44:45], v[178:179]
	v_add_f64 v[54:55], v[50:51], v[52:53]
	ds_read_b128 v[50:53], v0 offset:1776
	buffer_load_dword v224, off, s[0:3], 0 offset:1016
	buffer_load_dword v229, off, s[0:3], 0 offset:1004
	;; [unrolled: 1-line block ×8, first 2 shown]
	s_waitcnt lgkmcnt(1)
	v_mul_f64 v[56:57], v[46:47], v[152:153]
	v_fmac_f64_e32 v[56:57], v[48:49], v[154:155]
	v_add_f64 v[58:59], v[54:55], v[56:57]
	ds_read_b128 v[54:57], v0 offset:1792
	buffer_load_dword v233, off, s[0:3], 0 offset:1036
	buffer_load_dword v232, off, s[0:3], 0 offset:1032
	buffer_load_dword v235, off, s[0:3], 0 offset:1028
	buffer_load_dword v234, off, s[0:3], 0 offset:1024
	s_waitcnt vmcnt(62) lgkmcnt(1)
	v_mul_f64 v[60:61], v[50:51], v[182:183]
	s_waitcnt vmcnt(60)
	v_fmac_f64_e32 v[60:61], v[52:53], v[186:187]
	v_add_f64 v[62:63], v[58:59], v[60:61]
	ds_read_b128 v[58:61], v0 offset:1808
	s_waitcnt lgkmcnt(1)
	v_mul_f64 v[64:65], v[54:55], v[156:157]
	v_fmac_f64_e32 v[64:65], v[56:57], v[158:159]
	v_add_f64 v[66:67], v[62:63], v[64:65]
	ds_read_b128 v[62:65], v0 offset:1824
	s_waitcnt vmcnt(54) lgkmcnt(1)
	v_mul_f64 v[68:69], v[58:59], v[192:193]
	s_waitcnt vmcnt(52)
	v_fmac_f64_e32 v[68:69], v[60:61], v[196:197]
	v_add_f64 v[70:71], v[66:67], v[68:69]
	ds_read_b128 v[66:69], v0 offset:1840
	s_waitcnt lgkmcnt(1)
	v_mul_f64 v[72:73], v[62:63], v[160:161]
	v_fmac_f64_e32 v[72:73], v[64:65], v[164:165]
	v_add_f64 v[74:75], v[70:71], v[72:73]
	ds_read_b128 v[70:73], v0 offset:1856
	s_waitcnt vmcnt(46) lgkmcnt(1)
	v_mul_f64 v[76:77], v[66:67], v[200:201]
	s_waitcnt vmcnt(44)
	v_fmac_f64_e32 v[76:77], v[68:69], v[204:205]
	v_add_f64 v[82:83], v[74:75], v[76:77]
	ds_read_b128 v[74:77], v0 offset:1872
	ds_read_b128 v[78:81], v0 offset:1888
	s_waitcnt lgkmcnt(2)
	v_mul_f64 v[84:85], v[70:71], v[168:169]
	v_fmac_f64_e32 v[84:85], v[72:73], v[172:173]
	v_add_f64 v[82:83], v[82:83], v[84:85]
	s_waitcnt vmcnt(38) lgkmcnt(1)
	v_mul_f64 v[84:85], v[74:75], v[208:209]
	s_waitcnt vmcnt(36)
	v_fmac_f64_e32 v[84:85], v[76:77], v[210:211]
	v_add_f64 v[82:83], v[82:83], v[84:85]
	s_waitcnt lgkmcnt(0)
	v_mul_f64 v[84:85], v[78:79], v[176:177]
	v_fmac_f64_e32 v[84:85], v[80:81], v[180:181]
	v_add_f64 v[190:191], v[82:83], v[84:85]
	ds_read_b128 v[82:85], v0 offset:1904
	ds_read_b128 v[86:89], v0 offset:1920
	;; [unrolled: 1-line block ×3, first 2 shown]
	v_fma_f64 v[246:247], v[236:237], v[104:105], -v[102:103]
	ds_read_b128 v[102:105], v0 offset:2000
	ds_read_b128 v[110:113], v0 offset:2016
	s_waitcnt vmcnt(30) lgkmcnt(4)
	v_mul_f64 v[94:95], v[82:83], v[212:213]
	s_waitcnt vmcnt(28)
	v_fmac_f64_e32 v[94:95], v[84:85], v[214:215]
	v_add_f64 v[94:95], v[190:191], v[94:95]
	v_fma_f64 v[190:191], v[106:107], v[90:91], -v[92:93]
	ds_read_b128 v[90:93], v0 offset:1936
	s_waitcnt lgkmcnt(4)
	v_mul_f64 v[96:97], v[86:87], v[184:185]
	v_fmac_f64_e32 v[96:97], v[88:89], v[188:189]
	v_add_f64 v[106:107], v[94:95], v[96:97]
	ds_read_b128 v[94:97], v0 offset:1952
	s_waitcnt vmcnt(22) lgkmcnt(1)
	v_mul_f64 v[108:109], v[90:91], v[216:217]
	s_waitcnt vmcnt(20)
	v_fmac_f64_e32 v[108:109], v[92:93], v[218:219]
	v_add_f64 v[106:107], v[106:107], v[108:109]
	v_mul_f64 v[24:25], v[24:25], v[122:123]
	s_waitcnt lgkmcnt(0)
	v_mul_f64 v[108:109], v[94:95], v[194:195]
	v_fmac_f64_e32 v[108:109], v[96:97], v[198:199]
	v_add_f64 v[114:115], v[106:107], v[108:109]
	ds_read_b128 v[106:109], v0 offset:1984
	s_waitcnt vmcnt(14)
	v_mul_f64 v[116:117], v[98:99], v[220:221]
	s_waitcnt vmcnt(12)
	v_fmac_f64_e32 v[116:117], v[100:101], v[222:223]
	v_add_f64 v[114:115], v[114:115], v[116:117]
	v_fma_f64 v[22:23], v[22:23], v[134:135], -v[24:25]
	s_waitcnt lgkmcnt(0)
	v_mul_f64 v[116:117], v[106:107], v[202:203]
	v_fmac_f64_e32 v[116:117], v[108:109], v[206:207]
	v_add_f64 v[114:115], v[114:115], v[116:117]
	v_mul_f64 v[16:17], v[16:17], v[130:131]
	v_fma_f64 v[14:15], v[14:15], v[132:133], -v[16:17]
	v_mul_f64 v[12:13], v[12:13], v[124:125]
	v_fma_f64 v[10:11], v[10:11], v[126:127], -v[12:13]
	;; [unrolled: 2-line block ×3, first 2 shown]
	s_waitcnt vmcnt(9)
	v_mul_f64 v[116:117], v[102:103], v[228:229]
	s_waitcnt vmcnt(7)
	v_fmac_f64_e32 v[116:117], v[104:105], v[230:231]
	v_add_f64 v[114:115], v[114:115], v[116:117]
	s_waitcnt vmcnt(5)
	v_mul_f64 v[116:117], v[110:111], v[224:225]
	s_waitcnt vmcnt(4)
	v_fmac_f64_e32 v[116:117], v[112:113], v[226:227]
	v_add_f64 v[236:237], v[114:115], v[116:117]
	ds_read_b128 v[114:117], v0 offset:2032
	buffer_load_dword v254, off, s[0:3], 0 offset:480
	buffer_load_dword v255, off, s[0:3], 0 offset:484
	;; [unrolled: 1-line block ×4, first 2 shown]
	s_waitcnt vmcnt(6) lgkmcnt(0)
	v_mul_f64 v[0:1], v[114:115], v[232:233]
	s_waitcnt vmcnt(4)
	v_fmac_f64_e32 v[0:1], v[116:117], v[234:235]
	v_add_f64 v[236:237], v[236:237], v[0:1]
	v_add_f64 v[0:1], v[244:245], 0
	;; [unrolled: 1-line block ×11, first 2 shown]
	v_mul_f64 v[2:3], v[8:9], v[136:137]
	v_fma_f64 v[2:3], v[6:7], v[138:139], -v[2:3]
	v_add_f64 v[0:1], v[0:1], v[2:3]
	v_mul_f64 v[2:3], v[28:29], v[146:147]
	v_fma_f64 v[2:3], v[26:27], v[162:163], -v[2:3]
	v_add_f64 v[0:1], v[0:1], v[2:3]
	;; [unrolled: 3-line block ×24, first 2 shown]
	s_waitcnt vmcnt(2)
	v_add_f64 v[0:1], v[254:255], -v[0:1]
	v_accvgpr_read_b32 v254, a191
	v_cmp_lt_u32_e32 vcc, 28, v254
	s_waitcnt vmcnt(0)
	v_add_f64 v[2:3], v[252:253], -v[236:237]
	buffer_store_dword v1, off, s[0:3], 0 offset:484
	buffer_store_dword v0, off, s[0:3], 0 offset:480
	;; [unrolled: 1-line block ×4, first 2 shown]
	s_and_saveexec_b64 s[4:5], vcc
	s_cbranch_execz .LBB127_353
; %bb.352:
	v_accvgpr_read_b32 v3, a163
	buffer_load_dword v0, v3, s[0:3], 0 offen
	buffer_load_dword v1, v3, s[0:3], 0 offen offset:4
	buffer_load_dword v2, v3, s[0:3], 0 offen offset:8
	s_nop 0
	buffer_load_dword v3, v3, s[0:3], 0 offen offset:12
	v_mov_b32_e32 v4, 0
	v_accvgpr_read_b32 v5, a192
	buffer_store_dword v4, off, s[0:3], 0 offset:464
	buffer_store_dword v4, off, s[0:3], 0 offset:468
	;; [unrolled: 1-line block ×4, first 2 shown]
	s_waitcnt vmcnt(4)
	ds_write_b128 v5, v[0:3]
.LBB127_353:
	s_or_b64 exec, exec, s[4:5]
	s_waitcnt lgkmcnt(0)
	; wave barrier
	s_waitcnt lgkmcnt(0)
	buffer_load_dword v82, off, s[0:3], 0 offset:480
	buffer_load_dword v83, off, s[0:3], 0 offset:484
	;; [unrolled: 1-line block ×54, first 2 shown]
	v_mov_b32_e32 v0, 0
	ds_read_b128 v[90:93], v0 offset:1488
	ds_read_b128 v[106:109], v0 offset:1504
	;; [unrolled: 1-line block ×9, first 2 shown]
	buffer_load_dword v149, off, s[0:3], 0 offset:708
	buffer_load_dword v148, off, s[0:3], 0 offset:704
	;; [unrolled: 1-line block ×62, first 2 shown]
	v_cmp_lt_u32_e32 vcc, 27, v254
	s_waitcnt vmcnt(62) lgkmcnt(8)
	v_mul_f64 v[14:15], v[90:91], v[84:85]
	v_fmac_f64_e32 v[14:15], v[92:93], v[82:83]
	v_add_f64 v[14:15], v[14:15], 0
	v_mul_f64 v[84:85], v[92:93], v[84:85]
	s_waitcnt lgkmcnt(7)
	v_mul_f64 v[16:17], v[106:107], v[88:89]
	v_fmac_f64_e32 v[16:17], v[108:109], v[86:87]
	s_waitcnt lgkmcnt(6)
	v_mul_f64 v[18:19], v[114:115], v[94:95]
	v_add_f64 v[14:15], v[14:15], v[16:17]
	s_waitcnt lgkmcnt(4)
	v_mul_f64 v[22:23], v[238:239], v[102:103]
	v_fma_f64 v[246:247], v[90:91], v[82:83], -v[84:85]
	v_fmac_f64_e32 v[22:23], v[240:241], v[104:105]
	v_mul_f64 v[88:89], v[108:109], v[88:89]
	v_mul_f64 v[20:21], v[234:235], v[98:99]
	v_fma_f64 v[248:249], v[106:107], v[86:87], -v[88:89]
	s_waitcnt lgkmcnt(2)
	v_mul_f64 v[26:27], v[10:11], v[118:119]
	v_mul_f64 v[94:95], v[116:117], v[94:95]
	v_fmac_f64_e32 v[26:27], v[12:13], v[120:121]
	v_mul_f64 v[98:99], v[236:237], v[98:99]
	v_mul_f64 v[24:25], v[242:243], v[110:111]
	;; [unrolled: 1-line block ×3, first 2 shown]
	s_waitcnt lgkmcnt(1)
	v_mul_f64 v[28:29], v[6:7], v[122:123]
	v_mul_f64 v[110:111], v[244:245], v[110:111]
	v_fmac_f64_e32 v[18:19], v[116:117], v[96:97]
	v_add_f64 v[14:15], v[14:15], v[18:19]
	v_fmac_f64_e32 v[20:21], v[236:237], v[100:101]
	v_add_f64 v[14:15], v[14:15], v[20:21]
	;; [unrolled: 2-line block ×3, first 2 shown]
	v_add_f64 v[14:15], v[14:15], v[24:25]
	v_fmac_f64_e32 v[28:29], v[8:9], v[126:127]
	v_add_f64 v[14:15], v[14:15], v[26:27]
	v_add_f64 v[18:19], v[14:15], v[28:29]
	ds_read_b128 v[14:17], v0 offset:1632
	s_waitcnt lgkmcnt(1)
	v_mul_f64 v[20:21], v[2:3], v[124:125]
	v_fmac_f64_e32 v[20:21], v[4:5], v[128:129]
	v_add_f64 v[22:23], v[18:19], v[20:21]
	ds_read_b128 v[18:21], v0 offset:1648
	s_waitcnt lgkmcnt(1)
	v_mul_f64 v[24:25], v[14:15], v[134:135]
	v_fmac_f64_e32 v[24:25], v[16:17], v[136:137]
	v_add_f64 v[26:27], v[22:23], v[24:25]
	ds_read_b128 v[22:25], v0 offset:1664
	s_waitcnt lgkmcnt(1)
	v_mul_f64 v[28:29], v[18:19], v[130:131]
	v_fmac_f64_e32 v[28:29], v[20:21], v[132:133]
	v_add_f64 v[30:31], v[26:27], v[28:29]
	ds_read_b128 v[26:29], v0 offset:1680
	s_waitcnt lgkmcnt(1)
	v_mul_f64 v[32:33], v[22:23], v[144:145]
	v_fmac_f64_e32 v[32:33], v[24:25], v[146:147]
	v_add_f64 v[34:35], v[30:31], v[32:33]
	ds_read_b128 v[30:33], v0 offset:1696
	s_waitcnt lgkmcnt(1)
	v_mul_f64 v[36:37], v[26:27], v[138:139]
	v_fmac_f64_e32 v[36:37], v[28:29], v[140:141]
	v_add_f64 v[38:39], v[34:35], v[36:37]
	ds_read_b128 v[34:37], v0 offset:1712
	s_waitcnt vmcnt(58) lgkmcnt(1)
	v_mul_f64 v[40:41], v[30:31], v[162:163]
	s_waitcnt vmcnt(56)
	v_fmac_f64_e32 v[40:41], v[32:33], v[166:167]
	v_add_f64 v[42:43], v[38:39], v[40:41]
	ds_read_b128 v[38:41], v0 offset:1728
	s_waitcnt lgkmcnt(1)
	v_mul_f64 v[44:45], v[34:35], v[142:143]
	v_fmac_f64_e32 v[44:45], v[36:37], v[148:149]
	v_add_f64 v[46:47], v[42:43], v[44:45]
	ds_read_b128 v[42:45], v0 offset:1744
	s_waitcnt vmcnt(50) lgkmcnt(1)
	v_mul_f64 v[48:49], v[38:39], v[170:171]
	s_waitcnt vmcnt(48)
	v_fmac_f64_e32 v[48:49], v[40:41], v[174:175]
	v_add_f64 v[50:51], v[46:47], v[48:49]
	ds_read_b128 v[46:49], v0 offset:1760
	buffer_load_dword v213, off, s[0:3], 0 offset:956
	buffer_load_dword v212, off, s[0:3], 0 offset:952
	;; [unrolled: 1-line block ×8, first 2 shown]
	s_waitcnt lgkmcnt(1)
	v_mul_f64 v[52:53], v[42:43], v[150:151]
	v_fmac_f64_e32 v[52:53], v[44:45], v[152:153]
	v_add_f64 v[54:55], v[50:51], v[52:53]
	ds_read_b128 v[50:53], v0 offset:1776
	s_waitcnt vmcnt(50) lgkmcnt(1)
	v_mul_f64 v[56:57], v[46:47], v[178:179]
	s_waitcnt vmcnt(48)
	v_fmac_f64_e32 v[56:57], v[48:49], v[182:183]
	buffer_load_dword v217, off, s[0:3], 0 offset:1004
	buffer_load_dword v223, off, s[0:3], 0 offset:988
	;; [unrolled: 1-line block ×12, first 2 shown]
	v_add_f64 v[58:59], v[54:55], v[56:57]
	ds_read_b128 v[54:57], v0 offset:1792
	s_waitcnt lgkmcnt(1)
	v_mul_f64 v[60:61], v[50:51], v[154:155]
	v_fmac_f64_e32 v[60:61], v[52:53], v[156:157]
	v_add_f64 v[62:63], v[58:59], v[60:61]
	ds_read_b128 v[58:61], v0 offset:1808
	s_waitcnt vmcnt(54) lgkmcnt(1)
	v_mul_f64 v[64:65], v[54:55], v[186:187]
	s_waitcnt vmcnt(52)
	v_fmac_f64_e32 v[64:65], v[56:57], v[192:193]
	v_add_f64 v[66:67], v[62:63], v[64:65]
	ds_read_b128 v[62:65], v0 offset:1824
	s_waitcnt lgkmcnt(1)
	v_mul_f64 v[68:69], v[58:59], v[158:159]
	v_fmac_f64_e32 v[68:69], v[60:61], v[160:161]
	v_add_f64 v[70:71], v[66:67], v[68:69]
	ds_read_b128 v[66:69], v0 offset:1840
	s_waitcnt vmcnt(46) lgkmcnt(1)
	v_mul_f64 v[72:73], v[62:63], v[196:197]
	s_waitcnt vmcnt(44)
	v_fmac_f64_e32 v[72:73], v[64:65], v[198:199]
	v_add_f64 v[78:79], v[70:71], v[72:73]
	ds_read_b128 v[70:73], v0 offset:1856
	ds_read_b128 v[74:77], v0 offset:1872
	s_waitcnt lgkmcnt(2)
	v_mul_f64 v[80:81], v[66:67], v[164:165]
	v_fmac_f64_e32 v[80:81], v[68:69], v[168:169]
	v_add_f64 v[78:79], v[78:79], v[80:81]
	s_waitcnt vmcnt(38) lgkmcnt(1)
	v_mul_f64 v[80:81], v[70:71], v[200:201]
	s_waitcnt vmcnt(36)
	v_fmac_f64_e32 v[80:81], v[72:73], v[202:203]
	v_add_f64 v[78:79], v[78:79], v[80:81]
	s_waitcnt lgkmcnt(0)
	v_mul_f64 v[80:81], v[74:75], v[172:173]
	v_fmac_f64_e32 v[80:81], v[76:77], v[176:177]
	v_add_f64 v[190:191], v[78:79], v[80:81]
	ds_read_b128 v[78:81], v0 offset:1888
	ds_read_b128 v[82:85], v0 offset:1904
	;; [unrolled: 1-line block ×3, first 2 shown]
	v_fma_f64 v[252:253], v[234:235], v[100:101], -v[98:99]
	ds_read_b128 v[98:101], v0 offset:1968
	s_waitcnt vmcnt(30) lgkmcnt(3)
	v_mul_f64 v[90:91], v[78:79], v[204:205]
	s_waitcnt vmcnt(28)
	v_fmac_f64_e32 v[90:91], v[80:81], v[206:207]
	s_waitcnt lgkmcnt(2)
	v_mul_f64 v[92:93], v[82:83], v[180:181]
	v_add_f64 v[90:91], v[190:191], v[90:91]
	v_fmac_f64_e32 v[92:93], v[84:85], v[184:185]
	v_add_f64 v[90:91], v[90:91], v[92:93]
	v_fma_f64 v[190:191], v[114:115], v[96:97], -v[94:95]
	ds_read_b128 v[94:97], v0 offset:1952
	s_waitcnt vmcnt(22) lgkmcnt(2)
	v_mul_f64 v[92:93], v[86:87], v[208:209]
	s_waitcnt vmcnt(20)
	v_fmac_f64_e32 v[92:93], v[88:89], v[210:211]
	v_add_f64 v[106:107], v[90:91], v[92:93]
	ds_read_b128 v[90:93], v0 offset:1936
	buffer_load_dword v232, off, s[0:3], 0 offset:1032
	v_fma_f64 v[238:239], v[238:239], v[104:105], -v[102:103]
	ds_read_b128 v[102:105], v0 offset:1984
	v_fma_f64 v[250:251], v[242:243], v[112:113], -v[110:111]
	s_waitcnt lgkmcnt(1)
	v_mul_f64 v[108:109], v[90:91], v[188:189]
	v_fmac_f64_e32 v[108:109], v[92:93], v[194:195]
	v_add_f64 v[106:107], v[106:107], v[108:109]
	ds_read_b128 v[110:113], v0 offset:2016
	v_mul_f64 v[12:13], v[12:13], v[118:119]
	v_fma_f64 v[10:11], v[10:11], v[120:121], -v[12:13]
	v_mul_f64 v[8:9], v[8:9], v[122:123]
	v_fma_f64 v[6:7], v[6:7], v[126:127], -v[8:9]
	;; [unrolled: 2-line block ×4, first 2 shown]
	s_waitcnt vmcnt(19)
	v_mul_f64 v[108:109], v[94:95], v[212:213]
	s_waitcnt vmcnt(17)
	v_fmac_f64_e32 v[108:109], v[96:97], v[214:215]
	v_add_f64 v[106:107], v[106:107], v[108:109]
	s_waitcnt vmcnt(15)
	v_mul_f64 v[108:109], v[98:99], v[218:219]
	s_waitcnt vmcnt(13)
	v_fmac_f64_e32 v[108:109], v[100:101], v[220:221]
	v_add_f64 v[114:115], v[106:107], v[108:109]
	ds_read_b128 v[106:109], v0 offset:2000
	buffer_load_dword v236, off, s[0:3], 0 offset:1024
	buffer_load_dword v233, off, s[0:3], 0 offset:1036
	;; [unrolled: 1-line block ×3, first 2 shown]
	s_waitcnt vmcnt(13) lgkmcnt(2)
	v_mul_f64 v[116:117], v[102:103], v[222:223]
	s_waitcnt vmcnt(11)
	v_fmac_f64_e32 v[116:117], v[104:105], v[228:229]
	v_add_f64 v[114:115], v[114:115], v[116:117]
	s_waitcnt vmcnt(10) lgkmcnt(0)
	v_mul_f64 v[116:117], v[106:107], v[216:217]
	s_waitcnt vmcnt(8)
	v_fmac_f64_e32 v[116:117], v[108:109], v[226:227]
	v_add_f64 v[114:115], v[114:115], v[116:117]
	s_waitcnt vmcnt(6)
	v_mul_f64 v[116:117], v[110:111], v[224:225]
	s_waitcnt vmcnt(4)
	v_fmac_f64_e32 v[116:117], v[112:113], v[230:231]
	v_add_f64 v[234:235], v[114:115], v[116:117]
	ds_read_b128 v[114:117], v0 offset:2032
	s_waitcnt vmcnt(1) lgkmcnt(0)
	v_mul_f64 v[240:241], v[114:115], v[232:233]
	s_waitcnt vmcnt(0)
	v_fmac_f64_e32 v[240:241], v[116:117], v[236:237]
	v_add_f64 v[234:235], v[234:235], v[240:241]
	v_add_f64 v[240:241], v[246:247], 0
	v_add_f64 v[240:241], v[240:241], v[248:249]
	buffer_load_dword v248, off, s[0:3], 0 offset:464
	buffer_load_dword v249, off, s[0:3], 0 offset:468
	;; [unrolled: 1-line block ×4, first 2 shown]
	v_add_f64 v[190:191], v[240:241], v[190:191]
	v_add_f64 v[190:191], v[190:191], v[252:253]
	;; [unrolled: 1-line block ×8, first 2 shown]
	v_mul_f64 v[4:5], v[20:21], v[130:131]
	v_fma_f64 v[4:5], v[18:19], v[132:133], -v[4:5]
	v_add_f64 v[2:3], v[2:3], v[4:5]
	v_mul_f64 v[4:5], v[24:25], v[144:145]
	v_fma_f64 v[4:5], v[22:23], v[146:147], -v[4:5]
	v_add_f64 v[2:3], v[2:3], v[4:5]
	;; [unrolled: 3-line block ×25, first 2 shown]
	s_waitcnt vmcnt(2)
	v_add_f64 v[2:3], v[248:249], -v[2:3]
	s_waitcnt vmcnt(0)
	v_add_f64 v[4:5], v[246:247], -v[234:235]
	buffer_store_dword v3, off, s[0:3], 0 offset:468
	buffer_store_dword v2, off, s[0:3], 0 offset:464
	;; [unrolled: 1-line block ×4, first 2 shown]
	s_and_saveexec_b64 s[4:5], vcc
	s_cbranch_execz .LBB127_355
; %bb.354:
	v_accvgpr_read_b32 v1, a164
	buffer_load_dword v2, v1, s[0:3], 0 offen
	buffer_load_dword v3, v1, s[0:3], 0 offen offset:4
	buffer_load_dword v4, v1, s[0:3], 0 offen offset:8
	;; [unrolled: 1-line block ×3, first 2 shown]
	v_accvgpr_read_b32 v1, a192
	buffer_store_dword v0, off, s[0:3], 0 offset:448
	buffer_store_dword v0, off, s[0:3], 0 offset:452
	;; [unrolled: 1-line block ×4, first 2 shown]
	s_waitcnt vmcnt(4)
	ds_write_b128 v1, v[2:5]
.LBB127_355:
	s_or_b64 exec, exec, s[4:5]
	s_waitcnt lgkmcnt(0)
	; wave barrier
	s_waitcnt lgkmcnt(0)
	buffer_load_dword v84, off, s[0:3], 0 offset:464
	buffer_load_dword v85, off, s[0:3], 0 offset:468
	;; [unrolled: 1-line block ×34, first 2 shown]
	ds_read_b128 v[74:77], v0 offset:1472
	ds_read_b128 v[78:81], v0 offset:1488
	;; [unrolled: 1-line block ×8, first 2 shown]
	buffer_load_dword v125, off, s[0:3], 0 offset:580
	buffer_load_dword v124, off, s[0:3], 0 offset:576
	ds_read_b128 v[6:9], v0 offset:1600
	buffer_load_dword v127, off, s[0:3], 0 offset:636
	buffer_load_dword v126, off, s[0:3], 0 offset:632
	;; [unrolled: 1-line block ×80, first 2 shown]
	s_waitcnt vmcnt(62) lgkmcnt(8)
	v_mul_f64 v[10:11], v[74:75], v[106:107]
	v_fmac_f64_e32 v[10:11], v[76:77], v[84:85]
	v_add_f64 v[10:11], v[10:11], 0
	v_mul_f64 v[76:77], v[76:77], v[106:107]
	s_waitcnt lgkmcnt(7)
	v_mul_f64 v[12:13], v[78:79], v[96:97]
	v_fmac_f64_e32 v[12:13], v[80:81], v[82:83]
	s_waitcnt lgkmcnt(6)
	v_mul_f64 v[14:15], v[86:87], v[94:95]
	v_add_f64 v[10:11], v[10:11], v[12:13]
	s_waitcnt lgkmcnt(4)
	v_mul_f64 v[18:19], v[98:99], v[108:109]
	v_fma_f64 v[238:239], v[74:75], v[84:85], -v[76:77]
	v_fmac_f64_e32 v[18:19], v[100:101], v[114:115]
	v_mul_f64 v[80:81], v[80:81], v[96:97]
	v_mul_f64 v[16:17], v[90:91], v[116:117]
	v_fma_f64 v[240:241], v[78:79], v[82:83], -v[80:81]
	s_waitcnt lgkmcnt(2)
	v_mul_f64 v[22:23], v[110:111], v[232:233]
	v_mul_f64 v[100:101], v[100:101], v[108:109]
	v_fma_f64 v[244:245], v[98:99], v[114:115], -v[100:101]
	v_mul_f64 v[20:21], v[102:103], v[236:237]
	s_waitcnt lgkmcnt(1)
	v_mul_f64 v[24:25], v[2:3], v[118:119]
	v_fmac_f64_e32 v[14:15], v[88:89], v[250:251]
	v_add_f64 v[10:11], v[10:11], v[14:15]
	v_fmac_f64_e32 v[16:17], v[92:93], v[248:249]
	v_add_f64 v[10:11], v[10:11], v[16:17]
	;; [unrolled: 2-line block ×4, first 2 shown]
	v_add_f64 v[10:11], v[10:11], v[22:23]
	s_waitcnt lgkmcnt(0)
	v_mul_f64 v[16:17], v[6:7], v[120:121]
	v_fmac_f64_e32 v[16:17], v[8:9], v[122:123]
	v_fmac_f64_e32 v[24:25], v[4:5], v[124:125]
	v_add_f64 v[14:15], v[10:11], v[24:25]
	ds_read_b128 v[10:13], v0 offset:1616
	v_add_f64 v[18:19], v[14:15], v[16:17]
	ds_read_b128 v[14:17], v0 offset:1632
	v_mul_f64 v[88:89], v[88:89], v[94:95]
	v_mul_f64 v[92:93], v[92:93], v[116:117]
	s_waitcnt lgkmcnt(1)
	v_mul_f64 v[20:21], v[10:11], v[130:131]
	v_fmac_f64_e32 v[20:21], v[12:13], v[132:133]
	s_waitcnt lgkmcnt(0)
	v_mul_f64 v[24:25], v[14:15], v[126:127]
	v_add_f64 v[22:23], v[18:19], v[20:21]
	ds_read_b128 v[18:21], v0 offset:1648
	v_fmac_f64_e32 v[24:25], v[16:17], v[128:129]
	v_add_f64 v[26:27], v[22:23], v[24:25]
	ds_read_b128 v[22:25], v0 offset:1664
	v_fma_f64 v[242:243], v[90:91], v[248:249], -v[92:93]
	s_waitcnt lgkmcnt(1)
	v_mul_f64 v[28:29], v[18:19], v[142:143]
	v_fmac_f64_e32 v[28:29], v[20:21], v[144:145]
	v_add_f64 v[30:31], v[26:27], v[28:29]
	s_waitcnt lgkmcnt(0)
	v_mul_f64 v[32:33], v[22:23], v[134:135]
	ds_read_b128 v[26:29], v0 offset:1680
	v_fmac_f64_e32 v[32:33], v[24:25], v[136:137]
	v_add_f64 v[34:35], v[30:31], v[32:33]
	ds_read_b128 v[30:33], v0 offset:1696
	v_mul_f64 v[104:105], v[104:105], v[236:237]
	s_waitcnt vmcnt(58) lgkmcnt(1)
	v_mul_f64 v[36:37], v[26:27], v[158:159]
	s_waitcnt vmcnt(56)
	v_fmac_f64_e32 v[36:37], v[28:29], v[162:163]
	v_add_f64 v[38:39], v[34:35], v[36:37]
	s_waitcnt lgkmcnt(0)
	v_mul_f64 v[40:41], v[30:31], v[138:139]
	ds_read_b128 v[34:37], v0 offset:1712
	v_fmac_f64_e32 v[40:41], v[32:33], v[140:141]
	v_add_f64 v[42:43], v[38:39], v[40:41]
	ds_read_b128 v[38:41], v0 offset:1728
	v_mul_f64 v[112:113], v[112:113], v[232:233]
	s_waitcnt vmcnt(50) lgkmcnt(1)
	v_mul_f64 v[44:45], v[34:35], v[166:167]
	s_waitcnt vmcnt(48)
	v_fmac_f64_e32 v[44:45], v[36:37], v[170:171]
	v_add_f64 v[46:47], v[42:43], v[44:45]
	s_waitcnt lgkmcnt(0)
	v_mul_f64 v[48:49], v[38:39], v[146:147]
	v_fmac_f64_e32 v[48:49], v[40:41], v[148:149]
	ds_read_b128 v[42:45], v0 offset:1744
	v_add_f64 v[50:51], v[46:47], v[48:49]
	ds_read_b128 v[46:49], v0 offset:1760
	buffer_load_dword v209, off, s[0:3], 0 offset:956
	buffer_load_dword v211, off, s[0:3], 0 offset:940
	;; [unrolled: 1-line block ×12, first 2 shown]
	v_fma_f64 v[252:253], v[110:111], v[234:235], -v[112:113]
	s_waitcnt vmcnt(54) lgkmcnt(1)
	v_mul_f64 v[52:53], v[42:43], v[174:175]
	s_waitcnt vmcnt(52)
	v_fmac_f64_e32 v[52:53], v[44:45], v[178:179]
	v_add_f64 v[54:55], v[50:51], v[52:53]
	ds_read_b128 v[50:53], v0 offset:1776
	s_waitcnt lgkmcnt(1)
	v_mul_f64 v[56:57], v[46:47], v[150:151]
	v_fmac_f64_e32 v[56:57], v[48:49], v[152:153]
	buffer_load_dword v223, off, s[0:3], 0 offset:988
	buffer_load_dword v222, off, s[0:3], 0 offset:984
	;; [unrolled: 1-line block ×12, first 2 shown]
	v_add_f64 v[58:59], v[54:55], v[56:57]
	ds_read_b128 v[54:57], v0 offset:1792
	s_waitcnt vmcnt(58) lgkmcnt(1)
	v_mul_f64 v[60:61], v[50:51], v[182:183]
	s_waitcnt vmcnt(56)
	v_fmac_f64_e32 v[60:61], v[52:53], v[186:187]
	v_add_f64 v[62:63], v[58:59], v[60:61]
	ds_read_b128 v[58:61], v0 offset:1808
	s_waitcnt lgkmcnt(1)
	v_mul_f64 v[64:65], v[54:55], v[154:155]
	v_fmac_f64_e32 v[64:65], v[56:57], v[156:157]
	v_add_f64 v[70:71], v[62:63], v[64:65]
	ds_read_b128 v[62:65], v0 offset:1824
	ds_read_b128 v[66:69], v0 offset:1840
	s_waitcnt vmcnt(50) lgkmcnt(2)
	v_mul_f64 v[72:73], v[58:59], v[192:193]
	s_waitcnt vmcnt(48)
	v_fmac_f64_e32 v[72:73], v[60:61], v[194:195]
	v_add_f64 v[70:71], v[70:71], v[72:73]
	s_waitcnt lgkmcnt(1)
	v_mul_f64 v[72:73], v[62:63], v[160:161]
	v_fmac_f64_e32 v[72:73], v[64:65], v[164:165]
	v_add_f64 v[70:71], v[70:71], v[72:73]
	s_waitcnt vmcnt(42) lgkmcnt(0)
	v_mul_f64 v[72:73], v[66:67], v[196:197]
	s_waitcnt vmcnt(40)
	v_fmac_f64_e32 v[72:73], v[68:69], v[198:199]
	v_add_f64 v[190:191], v[70:71], v[72:73]
	ds_read_b128 v[70:73], v0 offset:1856
	ds_read_b128 v[74:77], v0 offset:1872
	;; [unrolled: 1-line block ×5, first 2 shown]
	s_waitcnt lgkmcnt(4)
	v_mul_f64 v[84:85], v[70:71], v[168:169]
	v_fmac_f64_e32 v[84:85], v[72:73], v[172:173]
	v_add_f64 v[82:83], v[190:191], v[84:85]
	s_waitcnt vmcnt(34) lgkmcnt(3)
	v_mul_f64 v[84:85], v[74:75], v[200:201]
	s_waitcnt vmcnt(32)
	v_fmac_f64_e32 v[84:85], v[76:77], v[202:203]
	v_add_f64 v[82:83], v[82:83], v[84:85]
	v_fma_f64 v[190:191], v[86:87], v[250:251], -v[88:89]
	ds_read_b128 v[86:89], v0 offset:1920
	s_waitcnt lgkmcnt(3)
	v_mul_f64 v[84:85], v[78:79], v[176:177]
	v_fmac_f64_e32 v[84:85], v[80:81], v[180:181]
	v_add_f64 v[96:97], v[82:83], v[84:85]
	ds_read_b128 v[82:85], v0 offset:1904
	v_fma_f64 v[250:251], v[102:103], v[246:247], -v[104:105]
	ds_read_b128 v[110:113], v0 offset:2016
	v_mul_f64 v[4:5], v[4:5], v[118:119]
	v_fma_f64 v[2:3], v[2:3], v[124:125], -v[4:5]
	s_waitcnt vmcnt(26) lgkmcnt(1)
	v_mul_f64 v[94:95], v[82:83], v[204:205]
	s_waitcnt vmcnt(24)
	v_fmac_f64_e32 v[94:95], v[84:85], v[206:207]
	v_add_f64 v[94:95], v[96:97], v[94:95]
	v_mul_f64 v[96:97], v[86:87], v[184:185]
	v_fmac_f64_e32 v[96:97], v[88:89], v[188:189]
	v_add_f64 v[106:107], v[94:95], v[96:97]
	ds_read_b128 v[94:97], v0 offset:1952
	ds_read_b128 v[102:105], v0 offset:2000
	s_waitcnt vmcnt(21)
	v_mul_f64 v[108:109], v[90:91], v[210:211]
	s_waitcnt vmcnt(19)
	v_fmac_f64_e32 v[108:109], v[92:93], v[216:217]
	v_add_f64 v[106:107], v[106:107], v[108:109]
	s_waitcnt vmcnt(18) lgkmcnt(1)
	v_mul_f64 v[108:109], v[94:95], v[208:209]
	s_waitcnt vmcnt(16)
	v_fmac_f64_e32 v[108:109], v[96:97], v[214:215]
	v_add_f64 v[114:115], v[106:107], v[108:109]
	ds_read_b128 v[106:109], v0 offset:1984
	buffer_load_dword v235, off, s[0:3], 0 offset:1036
	buffer_load_dword v234, off, s[0:3], 0 offset:1032
	;; [unrolled: 1-line block ×4, first 2 shown]
	s_waitcnt vmcnt(18)
	v_mul_f64 v[116:117], v[98:99], v[212:213]
	s_waitcnt vmcnt(16)
	v_fmac_f64_e32 v[116:117], v[100:101], v[218:219]
	v_add_f64 v[114:115], v[114:115], v[116:117]
	s_waitcnt vmcnt(14) lgkmcnt(0)
	v_mul_f64 v[116:117], v[106:107], v[222:223]
	s_waitcnt vmcnt(12)
	v_fmac_f64_e32 v[116:117], v[108:109], v[224:225]
	v_add_f64 v[114:115], v[114:115], v[116:117]
	s_waitcnt vmcnt(9)
	v_mul_f64 v[116:117], v[102:103], v[228:229]
	s_waitcnt vmcnt(7)
	v_fmac_f64_e32 v[116:117], v[104:105], v[230:231]
	v_add_f64 v[114:115], v[114:115], v[116:117]
	s_waitcnt vmcnt(5)
	v_mul_f64 v[116:117], v[110:111], v[220:221]
	s_waitcnt vmcnt(4)
	v_fmac_f64_e32 v[116:117], v[112:113], v[226:227]
	v_add_f64 v[232:233], v[114:115], v[116:117]
	ds_read_b128 v[114:117], v0 offset:2032
	buffer_load_dword v248, off, s[0:3], 0 offset:448
	buffer_load_dword v249, off, s[0:3], 0 offset:452
	;; [unrolled: 1-line block ×4, first 2 shown]
	s_waitcnt vmcnt(6) lgkmcnt(0)
	v_mul_f64 v[0:1], v[114:115], v[234:235]
	s_waitcnt vmcnt(4)
	v_fmac_f64_e32 v[0:1], v[116:117], v[236:237]
	v_add_f64 v[232:233], v[232:233], v[0:1]
	v_add_f64 v[0:1], v[238:239], 0
	;; [unrolled: 1-line block ×9, first 2 shown]
	v_mul_f64 v[2:3], v[8:9], v[120:121]
	v_fma_f64 v[2:3], v[6:7], v[122:123], -v[2:3]
	v_add_f64 v[0:1], v[0:1], v[2:3]
	v_mul_f64 v[2:3], v[12:13], v[130:131]
	v_fma_f64 v[2:3], v[10:11], v[132:133], -v[2:3]
	v_add_f64 v[0:1], v[0:1], v[2:3]
	;; [unrolled: 3-line block ×28, first 2 shown]
	s_waitcnt vmcnt(2)
	v_add_f64 v[0:1], v[248:249], -v[0:1]
	s_waitcnt vmcnt(0)
	v_add_f64 v[2:3], v[246:247], -v[232:233]
	buffer_store_dword v1, off, s[0:3], 0 offset:452
	buffer_store_dword v0, off, s[0:3], 0 offset:448
	;; [unrolled: 1-line block ×4, first 2 shown]
	v_accvgpr_read_b32 v0, a191
	v_cmp_lt_u32_e32 vcc, 26, v0
	s_and_saveexec_b64 s[4:5], vcc
	s_cbranch_execz .LBB127_357
; %bb.356:
	v_accvgpr_read_b32 v3, a165
	buffer_load_dword v0, v3, s[0:3], 0 offen
	buffer_load_dword v1, v3, s[0:3], 0 offen offset:4
	buffer_load_dword v2, v3, s[0:3], 0 offen offset:8
	s_nop 0
	buffer_load_dword v3, v3, s[0:3], 0 offen offset:12
	v_mov_b32_e32 v4, 0
	v_accvgpr_read_b32 v5, a192
	buffer_store_dword v4, off, s[0:3], 0 offset:432
	buffer_store_dword v4, off, s[0:3], 0 offset:436
	;; [unrolled: 1-line block ×4, first 2 shown]
	s_waitcnt vmcnt(4)
	ds_write_b128 v5, v[0:3]
.LBB127_357:
	s_or_b64 exec, exec, s[4:5]
	s_waitcnt lgkmcnt(0)
	; wave barrier
	s_waitcnt lgkmcnt(0)
	buffer_load_dword v66, off, s[0:3], 0 offset:448
	buffer_load_dword v67, off, s[0:3], 0 offset:452
	buffer_load_dword v68, off, s[0:3], 0 offset:456
	buffer_load_dword v69, off, s[0:3], 0 offset:460
	buffer_load_dword v70, off, s[0:3], 0 offset:464
	buffer_load_dword v71, off, s[0:3], 0 offset:468
	buffer_load_dword v72, off, s[0:3], 0 offset:472
	buffer_load_dword v73, off, s[0:3], 0 offset:476
	buffer_load_dword v78, off, s[0:3], 0 offset:488
	buffer_load_dword v79, off, s[0:3], 0 offset:492
	buffer_load_dword v91, off, s[0:3], 0 offset:524
	buffer_load_dword v90, off, s[0:3], 0 offset:520
	buffer_load_dword v93, off, s[0:3], 0 offset:516
	buffer_load_dword v92, off, s[0:3], 0 offset:512
	buffer_load_dword v83, off, s[0:3], 0 offset:508
	buffer_load_dword v82, off, s[0:3], 0 offset:504
	buffer_load_dword v103, off, s[0:3], 0 offset:556
	buffer_load_dword v102, off, s[0:3], 0 offset:552
	buffer_load_dword v104, off, s[0:3], 0 offset:544
	buffer_load_dword v95, off, s[0:3], 0 offset:540
	buffer_load_dword v94, off, s[0:3], 0 offset:536
	buffer_load_dword v107, off, s[0:3], 0 offset:572
	buffer_load_dword v106, off, s[0:3], 0 offset:568
	buffer_load_dword v80, off, s[0:3], 0 offset:480
	buffer_load_dword v81, off, s[0:3], 0 offset:484
	buffer_load_dword v85, off, s[0:3], 0 offset:500
	buffer_load_dword v84, off, s[0:3], 0 offset:496
	buffer_load_dword v97, off, s[0:3], 0 offset:532
	buffer_load_dword v96, off, s[0:3], 0 offset:528
	buffer_load_dword v105, off, s[0:3], 0 offset:548
	buffer_load_dword v118, off, s[0:3], 0 offset:584
	buffer_load_dword v120, off, s[0:3], 0 offset:576
	buffer_load_dword v121, off, s[0:3], 0 offset:580
	buffer_load_dword v119, off, s[0:3], 0 offset:588
	buffer_load_dword v109, off, s[0:3], 0 offset:564
	buffer_load_dword v108, off, s[0:3], 0 offset:560
	buffer_load_dword v123, off, s[0:3], 0 offset:620
	buffer_load_dword v122, off, s[0:3], 0 offset:616
	buffer_load_dword v125, off, s[0:3], 0 offset:612
	buffer_load_dword v124, off, s[0:3], 0 offset:608
	buffer_load_dword v127, off, s[0:3], 0 offset:604
	buffer_load_dword v126, off, s[0:3], 0 offset:600
	buffer_load_dword v129, off, s[0:3], 0 offset:596
	buffer_load_dword v128, off, s[0:3], 0 offset:592
	buffer_load_dword v131, off, s[0:3], 0 offset:652
	buffer_load_dword v130, off, s[0:3], 0 offset:648
	buffer_load_dword v133, off, s[0:3], 0 offset:644
	buffer_load_dword v132, off, s[0:3], 0 offset:640
	buffer_load_dword v139, off, s[0:3], 0 offset:636
	buffer_load_dword v138, off, s[0:3], 0 offset:632
	buffer_load_dword v141, off, s[0:3], 0 offset:628
	buffer_load_dword v140, off, s[0:3], 0 offset:624
	buffer_load_dword v135, off, s[0:3], 0 offset:684
	buffer_load_dword v134, off, s[0:3], 0 offset:680
	buffer_load_dword v137, off, s[0:3], 0 offset:676
	v_mov_b32_e32 v0, 0
	ds_read_b128 v[74:77], v0 offset:1456
	ds_read_b128 v[86:89], v0 offset:1472
	;; [unrolled: 1-line block ×9, first 2 shown]
	buffer_load_dword v136, off, s[0:3], 0 offset:672
	buffer_load_dword v155, off, s[0:3], 0 offset:668
	;; [unrolled: 1-line block ×61, first 2 shown]
	v_accvgpr_read_b32 v1, a191
	v_cmp_lt_u32_e32 vcc, 25, v1
	s_waitcnt vmcnt(62) lgkmcnt(8)
	v_mul_f64 v[6:7], v[74:75], v[68:69]
	v_fmac_f64_e32 v[6:7], v[76:77], v[66:67]
	v_add_f64 v[6:7], v[6:7], 0
	v_mul_f64 v[68:69], v[76:77], v[68:69]
	s_waitcnt lgkmcnt(7)
	v_mul_f64 v[8:9], v[86:87], v[72:73]
	v_fmac_f64_e32 v[8:9], v[88:89], v[70:71]
	s_waitcnt lgkmcnt(6)
	v_mul_f64 v[10:11], v[98:99], v[78:79]
	v_add_f64 v[6:7], v[6:7], v[8:9]
	s_waitcnt lgkmcnt(4)
	v_mul_f64 v[14:15], v[114:115], v[90:91]
	v_fma_f64 v[244:245], v[74:75], v[66:67], -v[68:69]
	v_fmac_f64_e32 v[14:15], v[116:117], v[92:93]
	v_mul_f64 v[72:73], v[88:89], v[72:73]
	v_mul_f64 v[12:13], v[110:111], v[82:83]
	;; [unrolled: 1-line block ×3, first 2 shown]
	s_waitcnt lgkmcnt(2)
	v_mul_f64 v[18:19], v[236:237], v[102:103]
	v_mul_f64 v[82:83], v[112:113], v[82:83]
	;; [unrolled: 1-line block ×4, first 2 shown]
	v_fma_f64 v[252:253], v[114:115], v[92:93], -v[90:91]
	s_waitcnt lgkmcnt(1)
	v_mul_f64 v[20:21], v[240:241], v[106:107]
	v_fmac_f64_e32 v[20:21], v[242:243], v[108:109]
	v_fmac_f64_e32 v[10:11], v[100:101], v[80:81]
	v_add_f64 v[6:7], v[6:7], v[10:11]
	v_fmac_f64_e32 v[12:13], v[112:113], v[84:85]
	v_add_f64 v[6:7], v[6:7], v[12:13]
	v_fmac_f64_e32 v[16:17], v[234:235], v[96:97]
	v_add_f64 v[6:7], v[6:7], v[14:15]
	v_fmac_f64_e32 v[18:19], v[238:239], v[104:105]
	v_add_f64 v[6:7], v[6:7], v[16:17]
	v_add_f64 v[6:7], v[6:7], v[18:19]
	v_add_f64 v[10:11], v[6:7], v[20:21]
	ds_read_b128 v[6:9], v0 offset:1600
	s_waitcnt lgkmcnt(1)
	v_mul_f64 v[12:13], v[2:3], v[118:119]
	v_fmac_f64_e32 v[12:13], v[4:5], v[120:121]
	v_add_f64 v[14:15], v[10:11], v[12:13]
	ds_read_b128 v[10:13], v0 offset:1616
	s_waitcnt lgkmcnt(1)
	v_mul_f64 v[16:17], v[6:7], v[126:127]
	v_fmac_f64_e32 v[16:17], v[8:9], v[128:129]
	;; [unrolled: 5-line block ×5, first 2 shown]
	v_add_f64 v[30:31], v[26:27], v[28:29]
	ds_read_b128 v[26:29], v0 offset:1680
	s_waitcnt vmcnt(58) lgkmcnt(1)
	v_mul_f64 v[32:33], v[22:23], v[154:155]
	s_waitcnt vmcnt(56)
	v_fmac_f64_e32 v[32:33], v[24:25], v[158:159]
	v_add_f64 v[34:35], v[30:31], v[32:33]
	ds_read_b128 v[30:33], v0 offset:1696
	s_waitcnt lgkmcnt(1)
	v_mul_f64 v[36:37], v[26:27], v[134:135]
	v_fmac_f64_e32 v[36:37], v[28:29], v[136:137]
	v_add_f64 v[38:39], v[34:35], v[36:37]
	ds_read_b128 v[34:37], v0 offset:1712
	s_waitcnt vmcnt(50) lgkmcnt(1)
	v_mul_f64 v[40:41], v[30:31], v[162:163]
	s_waitcnt vmcnt(48)
	v_fmac_f64_e32 v[40:41], v[32:33], v[166:167]
	v_add_f64 v[42:43], v[38:39], v[40:41]
	ds_read_b128 v[38:41], v0 offset:1728
	s_waitcnt lgkmcnt(1)
	v_mul_f64 v[44:45], v[34:35], v[142:143]
	v_fmac_f64_e32 v[44:45], v[36:37], v[144:145]
	v_add_f64 v[46:47], v[42:43], v[44:45]
	ds_read_b128 v[42:45], v0 offset:1744
	s_waitcnt vmcnt(42) lgkmcnt(1)
	v_mul_f64 v[48:49], v[38:39], v[170:171]
	s_waitcnt vmcnt(40)
	v_fmac_f64_e32 v[48:49], v[40:41], v[174:175]
	v_add_f64 v[50:51], v[46:47], v[48:49]
	ds_read_b128 v[46:49], v0 offset:1760
	buffer_load_dword v205, off, s[0:3], 0 offset:924
	buffer_load_dword v204, off, s[0:3], 0 offset:920
	buffer_load_dword v207, off, s[0:3], 0 offset:916
	buffer_load_dword v206, off, s[0:3], 0 offset:912
	s_waitcnt lgkmcnt(1)
	v_mul_f64 v[52:53], v[42:43], v[146:147]
	v_fmac_f64_e32 v[52:53], v[44:45], v[148:149]
	v_add_f64 v[54:55], v[50:51], v[52:53]
	ds_read_b128 v[50:53], v0 offset:1776
	buffer_load_dword v209, off, s[0:3], 0 offset:940
	buffer_load_dword v208, off, s[0:3], 0 offset:936
	;; [unrolled: 1-line block ×8, first 2 shown]
	s_waitcnt vmcnt(46) lgkmcnt(1)
	v_mul_f64 v[56:57], v[46:47], v[178:179]
	s_waitcnt vmcnt(44)
	v_fmac_f64_e32 v[56:57], v[48:49], v[182:183]
	v_add_f64 v[58:59], v[54:55], v[56:57]
	ds_read_b128 v[54:57], v0 offset:1792
	buffer_load_dword v219, off, s[0:3], 0 offset:972
	buffer_load_dword v218, off, s[0:3], 0 offset:968
	;; [unrolled: 1-line block ×12, first 2 shown]
	s_waitcnt lgkmcnt(1)
	v_mul_f64 v[60:61], v[50:51], v[150:151]
	v_fmac_f64_e32 v[60:61], v[52:53], v[152:153]
	v_add_f64 v[62:63], v[58:59], v[60:61]
	ds_read_b128 v[58:61], v0 offset:1808
	s_waitcnt vmcnt(50) lgkmcnt(1)
	v_mul_f64 v[64:65], v[54:55], v[186:187]
	s_waitcnt vmcnt(48)
	v_fmac_f64_e32 v[64:65], v[56:57], v[188:189]
	v_add_f64 v[62:63], v[62:63], v[64:65]
	buffer_load_dword v229, off, s[0:3], 0 offset:1020
	buffer_load_dword v228, off, s[0:3], 0 offset:1016
	;; [unrolled: 1-line block ×4, first 2 shown]
	s_waitcnt lgkmcnt(0)
	v_mul_f64 v[64:65], v[58:59], v[156:157]
	v_fmac_f64_e32 v[64:65], v[60:61], v[160:161]
	v_add_f64 v[190:191], v[62:63], v[64:65]
	ds_read_b128 v[62:65], v0 offset:1824
	ds_read_b128 v[66:69], v0 offset:1840
	v_fma_f64 v[246:247], v[98:99], v[80:81], -v[78:79]
	ds_read_b128 v[78:81], v0 offset:1888
	v_fma_f64 v[248:249], v[110:111], v[84:85], -v[82:83]
	ds_read_b128 v[82:85], v0 offset:1904
	s_waitcnt vmcnt(46) lgkmcnt(3)
	v_mul_f64 v[74:75], v[62:63], v[192:193]
	s_waitcnt vmcnt(44)
	v_fmac_f64_e32 v[74:75], v[64:65], v[194:195]
	v_add_f64 v[74:75], v[190:191], v[74:75]
	v_fma_f64 v[190:191], v[86:87], v[70:71], -v[72:73]
	ds_read_b128 v[70:73], v0 offset:1856
	s_waitcnt lgkmcnt(3)
	v_mul_f64 v[76:77], v[66:67], v[164:165]
	v_fmac_f64_e32 v[76:77], v[68:69], v[168:169]
	v_add_f64 v[86:87], v[74:75], v[76:77]
	ds_read_b128 v[74:77], v0 offset:1872
	s_waitcnt vmcnt(38) lgkmcnt(1)
	v_mul_f64 v[88:89], v[70:71], v[196:197]
	s_waitcnt vmcnt(36)
	v_fmac_f64_e32 v[88:89], v[72:73], v[198:199]
	v_add_f64 v[86:87], v[86:87], v[88:89]
	ds_read_b128 v[90:93], v0 offset:1936
	s_waitcnt lgkmcnt(1)
	v_mul_f64 v[88:89], v[74:75], v[172:173]
	v_fmac_f64_e32 v[88:89], v[76:77], v[176:177]
	v_add_f64 v[86:87], v[86:87], v[88:89]
	s_waitcnt vmcnt(30)
	v_mul_f64 v[88:89], v[78:79], v[200:201]
	s_waitcnt vmcnt(28)
	v_fmac_f64_e32 v[88:89], v[80:81], v[202:203]
	v_add_f64 v[86:87], v[86:87], v[88:89]
	v_mul_f64 v[88:89], v[82:83], v[180:181]
	v_fmac_f64_e32 v[88:89], v[84:85], v[184:185]
	v_add_f64 v[98:99], v[86:87], v[88:89]
	ds_read_b128 v[86:89], v0 offset:1920
	v_mul_f64 v[94:95], v[234:235], v[94:95]
	v_fma_f64 v[254:255], v[232:233], v[96:97], -v[94:95]
	ds_read_b128 v[94:97], v0 offset:1952
	v_mul_f64 v[102:103], v[238:239], v[102:103]
	v_fma_f64 v[238:239], v[236:237], v[104:105], -v[102:103]
	;; [unrolled: 3-line block ×3, first 2 shown]
	v_mul_f64 v[4:5], v[4:5], v[118:119]
	v_fma_f64 v[2:3], v[2:3], v[120:121], -v[4:5]
	v_mul_f64 v[4:5], v[8:9], v[126:127]
	v_fma_f64 v[4:5], v[6:7], v[128:129], -v[4:5]
	ds_read_b128 v[106:109], v0 offset:2000
	s_waitcnt vmcnt(26) lgkmcnt(3)
	v_mul_f64 v[100:101], v[86:87], v[204:205]
	s_waitcnt vmcnt(24)
	v_fmac_f64_e32 v[100:101], v[88:89], v[206:207]
	v_add_f64 v[98:99], v[98:99], v[100:101]
	s_waitcnt vmcnt(22)
	v_mul_f64 v[100:101], v[90:91], v[208:209]
	s_waitcnt vmcnt(20)
	v_fmac_f64_e32 v[100:101], v[92:93], v[212:213]
	v_add_f64 v[98:99], v[98:99], v[100:101]
	s_waitcnt vmcnt(18) lgkmcnt(2)
	v_mul_f64 v[100:101], v[94:95], v[210:211]
	s_waitcnt vmcnt(16)
	v_fmac_f64_e32 v[100:101], v[96:97], v[214:215]
	v_add_f64 v[110:111], v[98:99], v[100:101]
	ds_read_b128 v[98:101], v0 offset:1968
	s_waitcnt vmcnt(14) lgkmcnt(0)
	v_mul_f64 v[112:113], v[98:99], v[218:219]
	s_waitcnt vmcnt(12)
	v_fmac_f64_e32 v[112:113], v[100:101], v[220:221]
	v_add_f64 v[110:111], v[110:111], v[112:113]
	s_waitcnt vmcnt(9)
	v_mul_f64 v[112:113], v[102:103], v[224:225]
	s_waitcnt vmcnt(7)
	v_fmac_f64_e32 v[112:113], v[104:105], v[226:227]
	v_add_f64 v[110:111], v[110:111], v[112:113]
	s_waitcnt vmcnt(5)
	v_mul_f64 v[112:113], v[106:107], v[216:217]
	s_waitcnt vmcnt(4)
	v_fmac_f64_e32 v[112:113], v[108:109], v[222:223]
	v_add_f64 v[114:115], v[110:111], v[112:113]
	ds_read_b128 v[110:113], v0 offset:2016
	buffer_load_dword v234, off, s[0:3], 0 offset:1032
	buffer_load_dword v235, off, s[0:3], 0 offset:1036
	;; [unrolled: 1-line block ×4, first 2 shown]
	s_waitcnt vmcnt(6) lgkmcnt(0)
	v_mul_f64 v[116:117], v[110:111], v[228:229]
	s_waitcnt vmcnt(4)
	v_fmac_f64_e32 v[116:117], v[112:113], v[230:231]
	v_add_f64 v[232:233], v[114:115], v[116:117]
	ds_read_b128 v[114:117], v0 offset:2032
	s_waitcnt vmcnt(2) lgkmcnt(0)
	v_mul_f64 v[240:241], v[114:115], v[234:235]
	s_waitcnt vmcnt(0)
	v_fmac_f64_e32 v[240:241], v[116:117], v[236:237]
	v_add_f64 v[232:233], v[232:233], v[240:241]
	v_add_f64 v[240:241], v[244:245], 0
	;; [unrolled: 1-line block ×5, first 2 shown]
	buffer_load_dword v248, off, s[0:3], 0 offset:432
	buffer_load_dword v249, off, s[0:3], 0 offset:436
	;; [unrolled: 1-line block ×4, first 2 shown]
	v_add_f64 v[190:191], v[190:191], v[252:253]
	v_add_f64 v[190:191], v[190:191], v[254:255]
	;; [unrolled: 1-line block ×6, first 2 shown]
	v_mul_f64 v[4:5], v[12:13], v[122:123]
	v_fma_f64 v[4:5], v[10:11], v[124:125], -v[4:5]
	v_add_f64 v[2:3], v[2:3], v[4:5]
	v_mul_f64 v[4:5], v[16:17], v[138:139]
	v_fma_f64 v[4:5], v[14:15], v[140:141], -v[4:5]
	v_add_f64 v[2:3], v[2:3], v[4:5]
	;; [unrolled: 3-line block ×27, first 2 shown]
	s_waitcnt vmcnt(2)
	v_add_f64 v[2:3], v[248:249], -v[2:3]
	s_waitcnt vmcnt(0)
	v_add_f64 v[4:5], v[246:247], -v[232:233]
	buffer_store_dword v3, off, s[0:3], 0 offset:436
	buffer_store_dword v2, off, s[0:3], 0 offset:432
	buffer_store_dword v5, off, s[0:3], 0 offset:444
	buffer_store_dword v4, off, s[0:3], 0 offset:440
	s_and_saveexec_b64 s[4:5], vcc
	s_cbranch_execz .LBB127_359
; %bb.358:
	v_accvgpr_read_b32 v1, a166
	buffer_load_dword v2, v1, s[0:3], 0 offen
	buffer_load_dword v3, v1, s[0:3], 0 offen offset:4
	buffer_load_dword v4, v1, s[0:3], 0 offen offset:8
	;; [unrolled: 1-line block ×3, first 2 shown]
	v_accvgpr_read_b32 v1, a192
	buffer_store_dword v0, off, s[0:3], 0 offset:416
	buffer_store_dword v0, off, s[0:3], 0 offset:420
	;; [unrolled: 1-line block ×4, first 2 shown]
	s_waitcnt vmcnt(4)
	ds_write_b128 v1, v[2:5]
.LBB127_359:
	s_or_b64 exec, exec, s[4:5]
	s_waitcnt lgkmcnt(0)
	; wave barrier
	s_waitcnt lgkmcnt(0)
	buffer_load_dword v66, off, s[0:3], 0 offset:432
	buffer_load_dword v67, off, s[0:3], 0 offset:436
	;; [unrolled: 1-line block ×42, first 2 shown]
	ds_read_b128 v[78:81], v0 offset:1440
	ds_read_b128 v[90:93], v0 offset:1456
	;; [unrolled: 1-line block ×10, first 2 shown]
	buffer_load_dword v129, off, s[0:3], 0 offset:580
	buffer_load_dword v128, off, s[0:3], 0 offset:576
	ds_read_b128 v[6:9], v0 offset:1600
	buffer_load_dword v125, off, s[0:3], 0 offset:636
	buffer_load_dword v124, off, s[0:3], 0 offset:632
	;; [unrolled: 1-line block ×80, first 2 shown]
	s_waitcnt vmcnt(62) lgkmcnt(10)
	v_mul_f64 v[10:11], v[78:79], v[68:69]
	v_fmac_f64_e32 v[10:11], v[80:81], v[66:67]
	v_add_f64 v[10:11], v[10:11], 0
	v_mul_f64 v[68:69], v[80:81], v[68:69]
	s_waitcnt lgkmcnt(9)
	v_mul_f64 v[12:13], v[90:91], v[64:65]
	v_fmac_f64_e32 v[12:13], v[92:93], v[62:63]
	s_waitcnt lgkmcnt(8)
	v_mul_f64 v[14:15], v[102:103], v[70:71]
	v_add_f64 v[10:11], v[10:11], v[12:13]
	s_waitcnt lgkmcnt(6)
	v_mul_f64 v[18:19], v[114:115], v[82:83]
	v_mul_f64 v[64:65], v[92:93], v[64:65]
	v_fmac_f64_e32 v[18:19], v[116:117], v[84:85]
	v_fma_f64 v[254:255], v[90:91], v[62:63], -v[64:65]
	v_mul_f64 v[16:17], v[110:111], v[74:75]
	v_fma_f64 v[248:249], v[78:79], v[66:67], -v[68:69]
	s_waitcnt lgkmcnt(4)
	v_mul_f64 v[22:23], v[236:237], v[94:95]
	v_mul_f64 v[70:71], v[104:105], v[70:71]
	v_fmac_f64_e32 v[22:23], v[238:239], v[96:97]
	v_mul_f64 v[74:75], v[112:113], v[74:75]
	v_mul_f64 v[20:21], v[232:233], v[86:87]
	;; [unrolled: 1-line block ×3, first 2 shown]
	s_waitcnt lgkmcnt(2)
	v_mul_f64 v[26:27], v[244:245], v[106:107]
	v_fma_f64 v[252:253], v[114:115], v[84:85], -v[82:83]
	v_mul_f64 v[86:87], v[234:235], v[86:87]
	v_mul_f64 v[24:25], v[240:241], v[98:99]
	;; [unrolled: 1-line block ×3, first 2 shown]
	s_waitcnt lgkmcnt(1)
	v_mul_f64 v[28:29], v[2:3], v[118:119]
	v_fma_f64 v[238:239], v[236:237], v[96:97], -v[94:95]
	v_fmac_f64_e32 v[14:15], v[104:105], v[72:73]
	v_add_f64 v[10:11], v[10:11], v[14:15]
	v_fmac_f64_e32 v[16:17], v[112:113], v[76:77]
	v_add_f64 v[10:11], v[10:11], v[16:17]
	v_fmac_f64_e32 v[20:21], v[234:235], v[88:89]
	v_add_f64 v[10:11], v[10:11], v[18:19]
	v_add_f64 v[10:11], v[10:11], v[20:21]
	v_fmac_f64_e32 v[24:25], v[242:243], v[100:101]
	v_add_f64 v[10:11], v[10:11], v[22:23]
	v_fmac_f64_e32 v[26:27], v[246:247], v[108:109]
	v_add_f64 v[10:11], v[10:11], v[24:25]
	v_add_f64 v[10:11], v[10:11], v[26:27]
	s_waitcnt lgkmcnt(0)
	v_mul_f64 v[16:17], v[6:7], v[120:121]
	v_fmac_f64_e32 v[28:29], v[4:5], v[128:129]
	v_add_f64 v[14:15], v[10:11], v[28:29]
	ds_read_b128 v[10:13], v0 offset:1616
	v_fmac_f64_e32 v[16:17], v[8:9], v[122:123]
	v_add_f64 v[18:19], v[14:15], v[16:17]
	ds_read_b128 v[14:17], v0 offset:1632
	v_fma_f64 v[250:251], v[110:111], v[76:77], -v[74:75]
	s_waitcnt lgkmcnt(1)
	v_mul_f64 v[20:21], v[10:11], v[130:131]
	v_fmac_f64_e32 v[20:21], v[12:13], v[146:147]
	v_add_f64 v[22:23], v[18:19], v[20:21]
	ds_read_b128 v[18:21], v0 offset:1648
	s_waitcnt lgkmcnt(1)
	v_mul_f64 v[24:25], v[14:15], v[124:125]
	v_fmac_f64_e32 v[24:25], v[16:17], v[126:127]
	v_add_f64 v[26:27], v[22:23], v[24:25]
	ds_read_b128 v[22:25], v0 offset:1664
	;; [unrolled: 5-line block ×4, first 2 shown]
	s_waitcnt vmcnt(58) lgkmcnt(1)
	v_mul_f64 v[36:37], v[26:27], v[158:159]
	s_waitcnt vmcnt(56)
	v_fmac_f64_e32 v[36:37], v[28:29], v[162:163]
	v_add_f64 v[38:39], v[34:35], v[36:37]
	ds_read_b128 v[34:37], v0 offset:1712
	s_waitcnt lgkmcnt(1)
	v_mul_f64 v[40:41], v[30:31], v[136:137]
	v_fmac_f64_e32 v[40:41], v[32:33], v[138:139]
	v_add_f64 v[42:43], v[38:39], v[40:41]
	ds_read_b128 v[38:41], v0 offset:1728
	s_waitcnt vmcnt(50) lgkmcnt(1)
	v_mul_f64 v[44:45], v[34:35], v[166:167]
	s_waitcnt vmcnt(48)
	v_fmac_f64_e32 v[44:45], v[36:37], v[170:171]
	v_add_f64 v[46:47], v[42:43], v[44:45]
	ds_read_b128 v[42:45], v0 offset:1744
	s_waitcnt lgkmcnt(1)
	v_mul_f64 v[48:49], v[38:39], v[140:141]
	v_fmac_f64_e32 v[48:49], v[40:41], v[142:143]
	v_add_f64 v[50:51], v[46:47], v[48:49]
	ds_read_b128 v[46:49], v0 offset:1760
	s_waitcnt vmcnt(42) lgkmcnt(1)
	v_mul_f64 v[52:53], v[42:43], v[174:175]
	s_waitcnt vmcnt(40)
	v_fmac_f64_e32 v[52:53], v[44:45], v[178:179]
	v_add_f64 v[54:55], v[50:51], v[52:53]
	ds_read_b128 v[50:53], v0 offset:1776
	s_waitcnt lgkmcnt(1)
	v_mul_f64 v[56:57], v[46:47], v[144:145]
	buffer_load_dword v209, off, s[0:3], 0 offset:940
	buffer_load_dword v208, off, s[0:3], 0 offset:936
	;; [unrolled: 1-line block ×4, first 2 shown]
	v_fmac_f64_e32 v[56:57], v[48:49], v[148:149]
	v_add_f64 v[58:59], v[54:55], v[56:57]
	ds_read_b128 v[54:57], v0 offset:1792
	buffer_load_dword v214, off, s[0:3], 0 offset:952
	buffer_load_dword v216, off, s[0:3], 0 offset:944
	;; [unrolled: 1-line block ×16, first 2 shown]
	s_waitcnt vmcnt(54) lgkmcnt(1)
	v_mul_f64 v[60:61], v[50:51], v[182:183]
	s_waitcnt vmcnt(52)
	v_fmac_f64_e32 v[60:61], v[52:53], v[186:187]
	v_add_f64 v[190:191], v[58:59], v[60:61]
	ds_read_b128 v[58:61], v0 offset:1808
	buffer_load_dword v228, off, s[0:3], 0 offset:1016
	buffer_load_dword v230, off, s[0:3], 0 offset:1008
	;; [unrolled: 1-line block ×4, first 2 shown]
	ds_read_b128 v[62:65], v0 offset:1824
	s_waitcnt lgkmcnt(2)
	v_mul_f64 v[66:67], v[54:55], v[152:153]
	v_fmac_f64_e32 v[66:67], v[56:57], v[156:157]
	s_waitcnt vmcnt(50) lgkmcnt(1)
	v_mul_f64 v[68:69], v[58:59], v[192:193]
	v_add_f64 v[66:67], v[190:191], v[66:67]
	s_waitcnt vmcnt(48)
	v_fmac_f64_e32 v[68:69], v[60:61], v[194:195]
	v_add_f64 v[66:67], v[66:67], v[68:69]
	v_fma_f64 v[190:191], v[102:103], v[72:73], -v[70:71]
	ds_read_b128 v[70:73], v0 offset:1856
	s_waitcnt lgkmcnt(1)
	v_mul_f64 v[68:69], v[62:63], v[160:161]
	v_fmac_f64_e32 v[68:69], v[64:65], v[164:165]
	v_add_f64 v[78:79], v[66:67], v[68:69]
	ds_read_b128 v[66:69], v0 offset:1840
	ds_read_b128 v[74:77], v0 offset:1872
	;; [unrolled: 1-line block ×3, first 2 shown]
	v_fma_f64 v[232:233], v[232:233], v[88:89], -v[86:87]
	ds_read_b128 v[86:89], v0 offset:1920
	ds_read_b128 v[94:97], v0 offset:1952
	s_waitcnt vmcnt(42) lgkmcnt(4)
	v_mul_f64 v[80:81], v[66:67], v[196:197]
	s_waitcnt vmcnt(40)
	v_fmac_f64_e32 v[80:81], v[68:69], v[198:199]
	v_add_f64 v[78:79], v[78:79], v[80:81]
	v_mul_f64 v[80:81], v[70:71], v[168:169]
	v_fmac_f64_e32 v[80:81], v[72:73], v[172:173]
	v_add_f64 v[90:91], v[78:79], v[80:81]
	ds_read_b128 v[78:81], v0 offset:1888
	s_waitcnt vmcnt(34) lgkmcnt(4)
	v_mul_f64 v[92:93], v[74:75], v[200:201]
	s_waitcnt vmcnt(32)
	v_fmac_f64_e32 v[92:93], v[76:77], v[202:203]
	v_add_f64 v[90:91], v[90:91], v[92:93]
	v_mul_f64 v[98:99], v[242:243], v[98:99]
	s_waitcnt lgkmcnt(0)
	v_mul_f64 v[92:93], v[78:79], v[176:177]
	v_fmac_f64_e32 v[92:93], v[80:81], v[180:181]
	v_add_f64 v[90:91], v[90:91], v[92:93]
	s_waitcnt vmcnt(26)
	v_mul_f64 v[92:93], v[82:83], v[204:205]
	s_waitcnt vmcnt(24)
	v_fmac_f64_e32 v[92:93], v[84:85], v[206:207]
	v_add_f64 v[90:91], v[90:91], v[92:93]
	v_mul_f64 v[92:93], v[86:87], v[184:185]
	v_fmac_f64_e32 v[92:93], v[88:89], v[188:189]
	v_add_f64 v[102:103], v[90:91], v[92:93]
	ds_read_b128 v[90:93], v0 offset:1936
	v_fma_f64 v[242:243], v[240:241], v[100:101], -v[98:99]
	ds_read_b128 v[98:101], v0 offset:1968
	v_mul_f64 v[106:107], v[246:247], v[106:107]
	v_fma_f64 v[240:241], v[244:245], v[108:109], -v[106:107]
	v_mul_f64 v[4:5], v[4:5], v[118:119]
	v_fma_f64 v[2:3], v[2:3], v[128:129], -v[4:5]
	;; [unrolled: 2-line block ×3, first 2 shown]
	ds_read_b128 v[106:109], v0 offset:2000
	s_waitcnt vmcnt(13) lgkmcnt(1)
	v_mul_f64 v[112:113], v[98:99], v[218:219]
	v_mul_f64 v[104:105], v[90:91], v[208:209]
	s_waitcnt vmcnt(11)
	v_fmac_f64_e32 v[112:113], v[100:101], v[224:225]
	v_fmac_f64_e32 v[104:105], v[92:93], v[210:211]
	v_add_f64 v[102:103], v[102:103], v[104:105]
	v_mul_f64 v[104:105], v[94:95], v[214:215]
	v_fmac_f64_e32 v[104:105], v[96:97], v[216:217]
	v_add_f64 v[110:111], v[102:103], v[104:105]
	ds_read_b128 v[102:105], v0 offset:1984
	v_add_f64 v[110:111], v[110:111], v[112:113]
	s_waitcnt vmcnt(10) lgkmcnt(0)
	v_mul_f64 v[112:113], v[102:103], v[212:213]
	s_waitcnt vmcnt(8)
	v_fmac_f64_e32 v[112:113], v[104:105], v[222:223]
	v_add_f64 v[110:111], v[110:111], v[112:113]
	s_waitcnt vmcnt(6)
	v_mul_f64 v[112:113], v[106:107], v[220:221]
	s_waitcnt vmcnt(4)
	v_fmac_f64_e32 v[112:113], v[108:109], v[226:227]
	v_add_f64 v[114:115], v[110:111], v[112:113]
	ds_read_b128 v[110:113], v0 offset:2016
	buffer_load_dword v235, off, s[0:3], 0 offset:1036
	buffer_load_dword v234, off, s[0:3], 0 offset:1032
	;; [unrolled: 1-line block ×4, first 2 shown]
	s_waitcnt vmcnt(5) lgkmcnt(0)
	v_mul_f64 v[116:117], v[110:111], v[228:229]
	s_waitcnt vmcnt(4)
	v_fmac_f64_e32 v[116:117], v[112:113], v[230:231]
	v_add_f64 v[244:245], v[114:115], v[116:117]
	ds_read_b128 v[114:117], v0 offset:2032
	s_waitcnt vmcnt(2) lgkmcnt(0)
	v_mul_f64 v[0:1], v[114:115], v[234:235]
	s_waitcnt vmcnt(0)
	v_fmac_f64_e32 v[0:1], v[116:117], v[236:237]
	v_add_f64 v[0:1], v[244:245], v[0:1]
	v_add_f64 v[244:245], v[248:249], 0
	buffer_load_dword v248, off, s[0:3], 0 offset:416
	buffer_load_dword v249, off, s[0:3], 0 offset:420
	buffer_load_dword v246, off, s[0:3], 0 offset:424
	buffer_load_dword v247, off, s[0:3], 0 offset:428
	v_add_f64 v[244:245], v[244:245], v[254:255]
	v_add_f64 v[190:191], v[244:245], v[190:191]
	;; [unrolled: 1-line block ×10, first 2 shown]
	v_mul_f64 v[4:5], v[12:13], v[130:131]
	v_fma_f64 v[4:5], v[10:11], v[146:147], -v[4:5]
	v_add_f64 v[2:3], v[2:3], v[4:5]
	v_mul_f64 v[4:5], v[16:17], v[124:125]
	v_fma_f64 v[4:5], v[14:15], v[126:127], -v[4:5]
	v_add_f64 v[2:3], v[2:3], v[4:5]
	;; [unrolled: 3-line block ×27, first 2 shown]
	s_waitcnt vmcnt(2)
	v_add_f64 v[2:3], v[248:249], -v[2:3]
	s_waitcnt vmcnt(0)
	v_add_f64 v[0:1], v[246:247], -v[0:1]
	buffer_store_dword v3, off, s[0:3], 0 offset:420
	buffer_store_dword v2, off, s[0:3], 0 offset:416
	;; [unrolled: 1-line block ×4, first 2 shown]
	v_accvgpr_read_b32 v0, a191
	v_cmp_lt_u32_e32 vcc, 24, v0
	s_and_saveexec_b64 s[4:5], vcc
	s_cbranch_execz .LBB127_361
; %bb.360:
	v_accvgpr_read_b32 v3, a167
	buffer_load_dword v0, v3, s[0:3], 0 offen
	buffer_load_dword v1, v3, s[0:3], 0 offen offset:4
	buffer_load_dword v2, v3, s[0:3], 0 offen offset:8
	s_nop 0
	buffer_load_dword v3, v3, s[0:3], 0 offen offset:12
	v_mov_b32_e32 v4, 0
	v_accvgpr_read_b32 v5, a192
	buffer_store_dword v4, off, s[0:3], 0 offset:400
	buffer_store_dword v4, off, s[0:3], 0 offset:404
	;; [unrolled: 1-line block ×4, first 2 shown]
	s_waitcnt vmcnt(4)
	ds_write_b128 v5, v[0:3]
.LBB127_361:
	s_or_b64 exec, exec, s[4:5]
	s_waitcnt lgkmcnt(0)
	; wave barrier
	s_waitcnt lgkmcnt(0)
	buffer_load_dword v54, off, s[0:3], 0 offset:416
	buffer_load_dword v55, off, s[0:3], 0 offset:420
	;; [unrolled: 1-line block ×42, first 2 shown]
	v_mov_b32_e32 v190, 0
	s_waitcnt vmcnt(1)
	v_pk_mov_b32 v[2:3], v[0:1], v[0:1] op_sel:[0,1]
	buffer_load_dword v1, off, s[0:3], 0 offset:564
	buffer_load_dword v0, off, s[0:3], 0 offset:560
	;; [unrolled: 1-line block ×7, first 2 shown]
	ds_read_b128 v[62:65], v190 offset:1424
	ds_read_b128 v[74:77], v190 offset:1440
	;; [unrolled: 1-line block ×11, first 2 shown]
	s_waitcnt lgkmcnt(10)
	v_mul_f64 v[6:7], v[62:63], v[56:57]
	s_waitcnt lgkmcnt(9)
	v_mul_f64 v[8:9], v[74:75], v[60:61]
	v_fmac_f64_e32 v[6:7], v[64:65], v[54:55]
	s_waitcnt lgkmcnt(8)
	v_mul_f64 v[10:11], v[86:87], v[66:67]
	v_fmac_f64_e32 v[8:9], v[76:77], v[58:59]
	v_add_f64 v[6:7], v[6:7], 0
	s_waitcnt lgkmcnt(7)
	v_mul_f64 v[12:13], v[98:99], v[70:71]
	v_fmac_f64_e32 v[10:11], v[88:89], v[68:69]
	v_add_f64 v[6:7], v[6:7], v[8:9]
	;; [unrolled: 4-line block ×4, first 2 shown]
	buffer_load_dword v126, off, s[0:3], 0 offset:600
	buffer_load_dword v143, off, s[0:3], 0 offset:596
	;; [unrolled: 1-line block ×75, first 2 shown]
	s_waitcnt lgkmcnt(4)
	v_mul_f64 v[18:19], v[228:229], v[90:91]
	v_fmac_f64_e32 v[16:17], v[114:115], v[84:85]
	v_add_f64 v[6:7], v[6:7], v[14:15]
	s_waitcnt lgkmcnt(3)
	v_mul_f64 v[20:21], v[232:233], v[94:95]
	v_fmac_f64_e32 v[18:19], v[230:231], v[92:93]
	v_add_f64 v[6:7], v[6:7], v[16:17]
	s_waitcnt lgkmcnt(2)
	v_mul_f64 v[22:23], v[236:237], v[102:103]
	v_fmac_f64_e32 v[20:21], v[234:235], v[96:97]
	v_add_f64 v[6:7], v[6:7], v[18:19]
	s_waitcnt lgkmcnt(1)
	v_mul_f64 v[24:25], v[240:241], v[106:107]
	v_fmac_f64_e32 v[22:23], v[238:239], v[104:105]
	v_add_f64 v[6:7], v[6:7], v[20:21]
	v_add_f64 v[6:7], v[6:7], v[22:23]
	s_waitcnt vmcnt(62) lgkmcnt(0)
	v_mul_f64 v[12:13], v[118:119], v[4:5]
	v_fmac_f64_e32 v[12:13], v[120:121], v[2:3]
	v_mul_f64 v[56:57], v[64:65], v[56:57]
	v_fma_f64 v[244:245], v[62:63], v[54:55], -v[56:57]
	v_mul_f64 v[60:61], v[76:77], v[60:61]
	v_fma_f64 v[246:247], v[74:75], v[58:59], -v[60:61]
	;; [unrolled: 2-line block ×6, first 2 shown]
	v_accvgpr_write_b32 a195, v3
	v_mul_f64 v[90:91], v[230:231], v[90:91]
	v_accvgpr_write_b32 a194, v2
	v_fma_f64 v[2:3], v[228:229], v[92:93], -v[90:91]
	v_mul_f64 v[94:95], v[234:235], v[94:95]
	v_fma_f64 v[232:233], v[232:233], v[96:97], -v[94:95]
	v_mul_f64 v[102:103], v[238:239], v[102:103]
	;; [unrolled: 2-line block ×3, first 2 shown]
	v_fmac_f64_e32 v[24:25], v[242:243], v[0:1]
	v_add_f64 v[10:11], v[6:7], v[24:25]
	ds_read_b128 v[6:9], v190 offset:1600
	v_add_f64 v[14:15], v[10:11], v[12:13]
	ds_read_b128 v[10:13], v190 offset:1616
	v_fma_f64 v[0:1], v[240:241], v[0:1], -v[106:107]
	s_waitcnt lgkmcnt(1)
	v_mul_f64 v[16:17], v[6:7], v[126:127]
	v_fmac_f64_e32 v[16:17], v[8:9], v[142:143]
	v_add_f64 v[18:19], v[14:15], v[16:17]
	ds_read_b128 v[14:17], v190 offset:1632
	s_waitcnt lgkmcnt(1)
	v_mul_f64 v[20:21], v[10:11], v[122:123]
	v_fmac_f64_e32 v[20:21], v[12:13], v[124:125]
	v_add_f64 v[22:23], v[18:19], v[20:21]
	ds_read_b128 v[18:21], v190 offset:1648
	;; [unrolled: 5-line block ×4, first 2 shown]
	s_waitcnt vmcnt(58) lgkmcnt(1)
	v_mul_f64 v[32:33], v[22:23], v[154:155]
	s_waitcnt vmcnt(56)
	v_fmac_f64_e32 v[32:33], v[24:25], v[158:159]
	v_add_f64 v[34:35], v[30:31], v[32:33]
	ds_read_b128 v[30:33], v190 offset:1696
	s_waitcnt lgkmcnt(1)
	v_mul_f64 v[36:37], v[26:27], v[132:133]
	v_fmac_f64_e32 v[36:37], v[28:29], v[134:135]
	v_add_f64 v[38:39], v[34:35], v[36:37]
	ds_read_b128 v[34:37], v190 offset:1712
	s_waitcnt vmcnt(50) lgkmcnt(1)
	v_mul_f64 v[40:41], v[30:31], v[162:163]
	s_waitcnt vmcnt(48)
	v_fmac_f64_e32 v[40:41], v[32:33], v[166:167]
	v_add_f64 v[42:43], v[38:39], v[40:41]
	ds_read_b128 v[38:41], v190 offset:1728
	s_waitcnt lgkmcnt(1)
	v_mul_f64 v[44:45], v[34:35], v[136:137]
	v_fmac_f64_e32 v[44:45], v[36:37], v[138:139]
	v_add_f64 v[46:47], v[42:43], v[44:45]
	ds_read_b128 v[42:45], v190 offset:1744
	s_waitcnt vmcnt(42) lgkmcnt(1)
	v_mul_f64 v[48:49], v[38:39], v[170:171]
	s_waitcnt vmcnt(40)
	v_fmac_f64_e32 v[48:49], v[40:41], v[174:175]
	v_add_f64 v[50:51], v[46:47], v[48:49]
	ds_read_b128 v[46:49], v190 offset:1760
	s_waitcnt lgkmcnt(1)
	v_mul_f64 v[52:53], v[42:43], v[140:141]
	buffer_load_dword v205, off, s[0:3], 0 offset:924
	buffer_load_dword v204, off, s[0:3], 0 offset:920
	;; [unrolled: 1-line block ×4, first 2 shown]
	v_fmac_f64_e32 v[52:53], v[44:45], v[144:145]
	v_add_f64 v[116:117], v[50:51], v[52:53]
	ds_read_b128 v[50:53], v190 offset:1776
	buffer_load_dword v208, off, s[0:3], 0 offset:936
	buffer_load_dword v210, off, s[0:3], 0 offset:928
	;; [unrolled: 1-line block ×12, first 2 shown]
	s_waitcnt vmcnt(50) lgkmcnt(1)
	v_mul_f64 v[212:213], v[46:47], v[178:179]
	s_waitcnt vmcnt(48)
	v_fmac_f64_e32 v[212:213], v[48:49], v[182:183]
	v_add_f64 v[116:117], v[116:117], v[212:213]
	buffer_load_dword v212, off, s[0:3], 0 offset:1000
	buffer_load_dword v225, off, s[0:3], 0 offset:988
	;; [unrolled: 1-line block ×8, first 2 shown]
	ds_read_b128 v[54:57], v190 offset:1792
	ds_read_b128 v[58:61], v190 offset:1808
	s_waitcnt lgkmcnt(2)
	v_mul_f64 v[62:63], v[50:51], v[148:149]
	v_fmac_f64_e32 v[62:63], v[52:53], v[152:153]
	v_add_f64 v[62:63], v[116:117], v[62:63]
	s_waitcnt vmcnt(50) lgkmcnt(1)
	v_mul_f64 v[64:65], v[54:55], v[186:187]
	s_waitcnt vmcnt(48)
	v_fmac_f64_e32 v[64:65], v[56:57], v[188:189]
	v_add_f64 v[62:63], v[62:63], v[64:65]
	s_waitcnt lgkmcnt(0)
	v_mul_f64 v[64:65], v[58:59], v[156:157]
	v_fmac_f64_e32 v[64:65], v[60:61], v[160:161]
	v_add_f64 v[74:75], v[62:63], v[64:65]
	ds_read_b128 v[62:65], v190 offset:1824
	ds_read_b128 v[66:69], v190 offset:1840
	;; [unrolled: 1-line block ×5, first 2 shown]
	s_waitcnt vmcnt(42) lgkmcnt(4)
	v_mul_f64 v[76:77], v[62:63], v[192:193]
	s_waitcnt vmcnt(40)
	v_fmac_f64_e32 v[76:77], v[64:65], v[194:195]
	v_add_f64 v[74:75], v[74:75], v[76:77]
	s_waitcnt lgkmcnt(3)
	v_mul_f64 v[76:77], v[66:67], v[164:165]
	v_fmac_f64_e32 v[76:77], v[68:69], v[168:169]
	v_add_f64 v[86:87], v[74:75], v[76:77]
	ds_read_b128 v[74:77], v190 offset:1872
	s_waitcnt vmcnt(34) lgkmcnt(3)
	v_mul_f64 v[88:89], v[70:71], v[196:197]
	s_waitcnt vmcnt(32)
	v_fmac_f64_e32 v[88:89], v[72:73], v[198:199]
	v_add_f64 v[86:87], v[86:87], v[88:89]
	ds_read_b128 v[90:93], v190 offset:1936
	s_waitcnt lgkmcnt(1)
	v_mul_f64 v[88:89], v[74:75], v[172:173]
	v_fmac_f64_e32 v[88:89], v[76:77], v[176:177]
	v_add_f64 v[86:87], v[86:87], v[88:89]
	s_waitcnt vmcnt(26)
	v_mul_f64 v[88:89], v[78:79], v[200:201]
	s_waitcnt vmcnt(24)
	v_fmac_f64_e32 v[88:89], v[80:81], v[202:203]
	v_add_f64 v[86:87], v[86:87], v[88:89]
	v_mul_f64 v[88:89], v[82:83], v[180:181]
	v_fmac_f64_e32 v[88:89], v[84:85], v[184:185]
	v_add_f64 v[98:99], v[86:87], v[88:89]
	ds_read_b128 v[86:89], v190 offset:1920
	ds_read_b128 v[94:97], v190 offset:1952
	;; [unrolled: 1-line block ×3, first 2 shown]
	s_waitcnt vmcnt(22) lgkmcnt(2)
	v_mul_f64 v[100:101], v[86:87], v[204:205]
	s_waitcnt vmcnt(20)
	v_fmac_f64_e32 v[100:101], v[88:89], v[206:207]
	v_add_f64 v[98:99], v[98:99], v[100:101]
	s_waitcnt vmcnt(17)
	v_mul_f64 v[100:101], v[90:91], v[208:209]
	s_waitcnt vmcnt(16)
	v_fmac_f64_e32 v[100:101], v[92:93], v[210:211]
	v_add_f64 v[108:109], v[98:99], v[100:101]
	ds_read_b128 v[98:101], v190 offset:1968
	s_waitcnt vmcnt(14) lgkmcnt(2)
	v_mul_f64 v[110:111], v[94:95], v[214:215]
	s_waitcnt vmcnt(12)
	v_fmac_f64_e32 v[110:111], v[96:97], v[218:219]
	v_add_f64 v[110:111], v[108:109], v[110:111]
	ds_read_b128 v[106:109], v190 offset:2000
	buffer_load_dword v229, off, s[0:3], 0 offset:1020
	buffer_load_dword v228, off, s[0:3], 0 offset:1016
	;; [unrolled: 1-line block ×4, first 2 shown]
	s_waitcnt vmcnt(14) lgkmcnt(1)
	v_mul_f64 v[112:113], v[98:99], v[216:217]
	s_waitcnt vmcnt(12)
	v_fmac_f64_e32 v[112:113], v[100:101], v[220:221]
	v_add_f64 v[110:111], v[110:111], v[112:113]
	s_waitcnt vmcnt(9)
	v_mul_f64 v[112:113], v[102:103], v[224:225]
	s_waitcnt vmcnt(7)
	v_fmac_f64_e32 v[112:113], v[104:105], v[226:227]
	v_add_f64 v[110:111], v[110:111], v[112:113]
	s_waitcnt vmcnt(5) lgkmcnt(0)
	v_mul_f64 v[112:113], v[106:107], v[212:213]
	s_waitcnt vmcnt(4)
	v_fmac_f64_e32 v[112:113], v[108:109], v[222:223]
	v_add_f64 v[114:115], v[110:111], v[112:113]
	ds_read_b128 v[110:113], v190 offset:2016
	buffer_load_dword v234, off, s[0:3], 0 offset:1032
	buffer_load_dword v235, off, s[0:3], 0 offset:1036
	;; [unrolled: 1-line block ×4, first 2 shown]
	s_waitcnt vmcnt(6) lgkmcnt(0)
	v_mul_f64 v[116:117], v[110:111], v[228:229]
	s_waitcnt vmcnt(4)
	v_fmac_f64_e32 v[116:117], v[112:113], v[230:231]
	v_add_f64 v[240:241], v[114:115], v[116:117]
	ds_read_b128 v[114:117], v190 offset:2032
	s_waitcnt vmcnt(2) lgkmcnt(0)
	v_mul_f64 v[242:243], v[114:115], v[234:235]
	s_waitcnt vmcnt(0)
	v_fmac_f64_e32 v[242:243], v[116:117], v[236:237]
	v_add_f64 v[240:241], v[240:241], v[242:243]
	v_add_f64 v[242:243], v[244:245], 0
	;; [unrolled: 1-line block ×4, first 2 shown]
	buffer_load_dword v248, off, s[0:3], 0 offset:400
	buffer_load_dword v249, off, s[0:3], 0 offset:404
	;; [unrolled: 1-line block ×4, first 2 shown]
	v_add_f64 v[242:243], v[242:243], v[252:253]
	v_add_f64 v[242:243], v[242:243], v[254:255]
	;; [unrolled: 1-line block ×6, first 2 shown]
	v_mul_f64 v[2:3], v[120:121], v[4:5]
	v_accvgpr_read_b32 v4, a194
	v_accvgpr_read_b32 v5, a195
	v_add_f64 v[0:1], v[252:253], v[0:1]
	v_fma_f64 v[2:3], v[118:119], v[4:5], -v[2:3]
	v_add_f64 v[0:1], v[0:1], v[2:3]
	v_mul_f64 v[2:3], v[8:9], v[126:127]
	v_fma_f64 v[2:3], v[6:7], v[142:143], -v[2:3]
	v_add_f64 v[0:1], v[0:1], v[2:3]
	v_mul_f64 v[2:3], v[12:13], v[122:123]
	;; [unrolled: 3-line block ×28, first 2 shown]
	v_fma_f64 v[2:3], v[114:115], v[236:237], -v[2:3]
	v_add_f64 v[0:1], v[0:1], v[2:3]
	s_waitcnt vmcnt(2)
	v_add_f64 v[0:1], v[248:249], -v[0:1]
	s_waitcnt vmcnt(0)
	v_add_f64 v[2:3], v[246:247], -v[240:241]
	buffer_store_dword v1, off, s[0:3], 0 offset:404
	buffer_store_dword v0, off, s[0:3], 0 offset:400
	;; [unrolled: 1-line block ×4, first 2 shown]
	v_accvgpr_read_b32 v0, a191
	v_cmp_lt_u32_e32 vcc, 23, v0
	s_and_saveexec_b64 s[4:5], vcc
	s_cbranch_execz .LBB127_363
; %bb.362:
	v_accvgpr_read_b32 v3, a168
	buffer_load_dword v0, v3, s[0:3], 0 offen
	buffer_load_dword v1, v3, s[0:3], 0 offen offset:4
	buffer_load_dword v2, v3, s[0:3], 0 offen offset:8
	s_nop 0
	buffer_load_dword v3, v3, s[0:3], 0 offen offset:12
	v_accvgpr_read_b32 v4, a192
	buffer_store_dword v190, off, s[0:3], 0 offset:384
	buffer_store_dword v190, off, s[0:3], 0 offset:388
	;; [unrolled: 1-line block ×4, first 2 shown]
	s_waitcnt vmcnt(4)
	ds_write_b128 v4, v[0:3]
.LBB127_363:
	s_or_b64 exec, exec, s[4:5]
	s_waitcnt lgkmcnt(0)
	; wave barrier
	s_waitcnt lgkmcnt(0)
	buffer_load_dword v56, off, s[0:3], 0 offset:400
	buffer_load_dword v57, off, s[0:3], 0 offset:404
	;; [unrolled: 1-line block ×42, first 2 shown]
	ds_read_b128 v[78:81], v190 offset:1408
	ds_read_b128 v[90:93], v190 offset:1424
	;; [unrolled: 1-line block ×10, first 2 shown]
	buffer_load_dword v1, off, s[0:3], 0 offset:548
	buffer_load_dword v0, off, s[0:3], 0 offset:544
	ds_read_b128 v[106:109], v190 offset:1568
	buffer_load_dword v3, off, s[0:3], 0 offset:604
	buffer_load_dword v2, off, s[0:3], 0 offset:600
	s_waitcnt vmcnt(38) lgkmcnt(9)
	v_mul_f64 v[4:5], v[90:91], v[62:63]
	v_fmac_f64_e32 v[4:5], v[92:93], v[54:55]
	s_waitcnt vmcnt(36) lgkmcnt(8)
	v_mul_f64 v[6:7], v[114:115], v[58:59]
	v_mul_f64 v[58:59], v[116:117], v[58:59]
	s_waitcnt vmcnt(34) lgkmcnt(6)
	v_mul_f64 v[10:11], v[232:233], v[70:71]
	v_mul_f64 v[70:71], v[234:235], v[70:71]
	s_waitcnt vmcnt(32)
	v_fmac_f64_e32 v[10:11], v[234:235], v[72:73]
	s_waitcnt vmcnt(30)
	v_mul_f64 v[8:9], v[228:229], v[64:65]
	s_waitcnt vmcnt(28) lgkmcnt(4)
	v_mul_f64 v[14:15], v[240:241], v[82:83]
	v_mul_f64 v[82:83], v[242:243], v[82:83]
	s_waitcnt vmcnt(26)
	v_fmac_f64_e32 v[14:15], v[242:243], v[84:85]
	v_fma_f64 v[242:243], v[240:241], v[84:85], -v[82:83]
	s_waitcnt vmcnt(24)
	v_mul_f64 v[12:13], v[236:237], v[74:75]
	v_mul_f64 v[74:75], v[238:239], v[74:75]
	s_waitcnt vmcnt(22) lgkmcnt(2)
	v_mul_f64 v[18:19], v[248:249], v[94:95]
	v_mul_f64 v[94:95], v[250:251], v[94:95]
	s_waitcnt vmcnt(19)
	v_mul_f64 v[16:17], v[244:245], v[86:87]
	v_mul_f64 v[86:87], v[246:247], v[86:87]
	s_waitcnt vmcnt(17) lgkmcnt(1)
	v_mul_f64 v[20:21], v[98:99], v[102:103]
	s_waitcnt vmcnt(15)
	v_fmac_f64_e32 v[6:7], v[116:117], v[68:69]
	s_waitcnt vmcnt(13)
	v_fmac_f64_e32 v[8:9], v[230:231], v[66:67]
	;; [unrolled: 2-line block ×5, first 2 shown]
	v_fma_f64 v[244:245], v[244:245], v[88:89], -v[86:87]
	v_fma_f64 v[246:247], v[248:249], v[96:97], -v[94:95]
	s_waitcnt vmcnt(2)
	v_fmac_f64_e32 v[20:21], v[100:101], v[0:1]
	v_mul_f64 v[100:101], v[100:101], v[102:103]
	s_waitcnt vmcnt(0)
	v_pk_mov_b32 v[22:23], v[2:3], v[2:3] op_sel:[0,1]
	buffer_load_dword v3, off, s[0:3], 0 offset:596
	buffer_load_dword v2, off, s[0:3], 0 offset:592
	;; [unrolled: 1-line block ×78, first 2 shown]
	ds_read_b128 v[118:121], v190 offset:1584
	v_accvgpr_write_b32 a195, v23
	v_accvgpr_write_b32 a194, v22
	v_fma_f64 v[250:251], v[98:99], v[0:1], -v[100:101]
	s_waitcnt vmcnt(62)
	v_pk_mov_b32 v[24:25], v[2:3], v[2:3] op_sel:[0,1]
	v_mul_f64 v[2:3], v[78:79], v[60:61]
	v_fmac_f64_e32 v[2:3], v[80:81], v[56:57]
	v_add_f64 v[2:3], v[2:3], 0
	v_add_f64 v[2:3], v[2:3], v[4:5]
	;; [unrolled: 1-line block ×9, first 2 shown]
	s_waitcnt lgkmcnt(1)
	v_mul_f64 v[8:9], v[106:107], v[110:111]
	v_add_f64 v[6:7], v[2:3], v[20:21]
	v_fmac_f64_e32 v[8:9], v[108:109], v[112:113]
	v_add_f64 v[10:11], v[6:7], v[8:9]
	ds_read_b128 v[6:9], v190 offset:1600
	s_waitcnt lgkmcnt(1)
	v_mul_f64 v[12:13], v[118:119], v[122:123]
	v_fmac_f64_e32 v[12:13], v[120:121], v[138:139]
	v_add_f64 v[14:15], v[10:11], v[12:13]
	ds_read_b128 v[10:13], v190 offset:1616
	s_waitcnt lgkmcnt(1)
	v_mul_f64 v[16:17], v[6:7], v[22:23]
	;; [unrolled: 5-line block ×3, first 2 shown]
	v_accvgpr_write_b32 a197, v25
	v_fmac_f64_e32 v[20:21], v[12:13], v[146:147]
	v_accvgpr_write_b32 a196, v24
	v_add_f64 v[22:23], v[18:19], v[20:21]
	ds_read_b128 v[18:21], v190 offset:1648
	s_waitcnt lgkmcnt(1)
	v_mul_f64 v[24:25], v[14:15], v[124:125]
	v_fmac_f64_e32 v[24:25], v[16:17], v[126:127]
	v_add_f64 v[26:27], v[22:23], v[24:25]
	ds_read_b128 v[22:25], v190 offset:1664
	s_waitcnt vmcnt(58) lgkmcnt(1)
	v_mul_f64 v[28:29], v[18:19], v[150:151]
	s_waitcnt vmcnt(56)
	v_fmac_f64_e32 v[28:29], v[20:21], v[154:155]
	v_add_f64 v[30:31], v[26:27], v[28:29]
	ds_read_b128 v[26:29], v190 offset:1680
	s_waitcnt lgkmcnt(1)
	v_mul_f64 v[32:33], v[22:23], v[128:129]
	v_fmac_f64_e32 v[32:33], v[24:25], v[130:131]
	v_add_f64 v[34:35], v[30:31], v[32:33]
	ds_read_b128 v[30:33], v190 offset:1696
	s_waitcnt vmcnt(50) lgkmcnt(1)
	v_mul_f64 v[36:37], v[26:27], v[158:159]
	s_waitcnt vmcnt(48)
	v_fmac_f64_e32 v[36:37], v[28:29], v[162:163]
	;; [unrolled: 11-line block ×4, first 2 shown]
	v_add_f64 v[104:105], v[50:51], v[52:53]
	ds_read_b128 v[50:53], v190 offset:1776
	buffer_load_dword v200, off, s[0:3], 0 offset:920
	buffer_load_dword v205, off, s[0:3], 0 offset:908
	;; [unrolled: 1-line block ×8, first 2 shown]
	s_waitcnt lgkmcnt(1)
	v_mul_f64 v[208:209], v[46:47], v[144:145]
	v_fmac_f64_e32 v[208:209], v[48:49], v[148:149]
	v_add_f64 v[104:105], v[104:105], v[208:209]
	buffer_load_dword v209, off, s[0:3], 0 offset:940
	buffer_load_dword v208, off, s[0:3], 0 offset:936
	;; [unrolled: 1-line block ×20, first 2 shown]
	v_mul_f64 v[60:61], v[80:81], v[60:61]
	s_waitcnt vmcnt(54) lgkmcnt(0)
	v_mul_f64 v[252:253], v[50:51], v[182:183]
	v_fma_f64 v[254:255], v[78:79], v[56:57], -v[60:61]
	v_mul_f64 v[56:57], v[92:93], v[62:63]
	v_fma_f64 v[2:3], v[90:91], v[54:55], -v[56:57]
	s_waitcnt vmcnt(52)
	v_fmac_f64_e32 v[252:253], v[52:53], v[184:185]
	ds_read_b128 v[54:57], v190 offset:1792
	v_add_f64 v[4:5], v[104:105], v[252:253]
	v_fma_f64 v[252:253], v[114:115], v[68:69], -v[58:59]
	ds_read_b128 v[58:61], v190 offset:1808
	v_mul_f64 v[62:63], v[230:231], v[64:65]
	v_fma_f64 v[90:91], v[228:229], v[66:67], -v[62:63]
	ds_read_b128 v[62:65], v190 offset:1824
	s_waitcnt lgkmcnt(2)
	v_mul_f64 v[68:69], v[54:55], v[152:153]
	v_fmac_f64_e32 v[68:69], v[56:57], v[156:157]
	s_waitcnt vmcnt(46) lgkmcnt(1)
	v_mul_f64 v[66:67], v[58:59], v[186:187]
	v_add_f64 v[4:5], v[4:5], v[68:69]
	s_waitcnt vmcnt(44)
	v_fmac_f64_e32 v[66:67], v[60:61], v[188:189]
	v_add_f64 v[4:5], v[4:5], v[66:67]
	v_fma_f64 v[92:93], v[232:233], v[72:73], -v[70:71]
	ds_read_b128 v[70:73], v190 offset:1856
	s_waitcnt lgkmcnt(1)
	v_mul_f64 v[66:67], v[62:63], v[160:161]
	v_fmac_f64_e32 v[66:67], v[64:65], v[164:165]
	v_add_f64 v[4:5], v[4:5], v[66:67]
	ds_read_b128 v[66:69], v190 offset:1840
	v_fma_f64 v[232:233], v[236:237], v[76:77], -v[74:75]
	ds_read_b128 v[74:77], v190 offset:1872
	ds_read_b128 v[82:85], v190 offset:1904
	;; [unrolled: 1-line block ×4, first 2 shown]
	s_waitcnt vmcnt(38) lgkmcnt(4)
	v_mul_f64 v[78:79], v[66:67], v[192:193]
	s_waitcnt vmcnt(36)
	v_fmac_f64_e32 v[78:79], v[68:69], v[194:195]
	v_add_f64 v[4:5], v[4:5], v[78:79]
	v_mul_f64 v[78:79], v[70:71], v[168:169]
	v_fmac_f64_e32 v[78:79], v[72:73], v[172:173]
	v_add_f64 v[4:5], v[4:5], v[78:79]
	s_waitcnt vmcnt(30) lgkmcnt(3)
	v_mul_f64 v[78:79], v[74:75], v[196:197]
	s_waitcnt vmcnt(28)
	v_fmac_f64_e32 v[78:79], v[76:77], v[198:199]
	v_add_f64 v[4:5], v[4:5], v[78:79]
	ds_read_b128 v[78:81], v190 offset:1888
	ds_read_b128 v[94:97], v190 offset:1952
	;; [unrolled: 1-line block ×3, first 2 shown]
	s_waitcnt lgkmcnt(2)
	v_mul_f64 v[104:105], v[78:79], v[176:177]
	v_fmac_f64_e32 v[104:105], v[80:81], v[180:181]
	v_add_f64 v[4:5], v[4:5], v[104:105]
	s_waitcnt vmcnt(25)
	v_mul_f64 v[104:105], v[82:83], v[204:205]
	s_waitcnt vmcnt(23)
	v_fmac_f64_e32 v[104:105], v[84:85], v[206:207]
	v_add_f64 v[4:5], v[4:5], v[104:105]
	s_waitcnt vmcnt(21)
	v_mul_f64 v[104:105], v[86:87], v[200:201]
	s_waitcnt vmcnt(20)
	;; [unrolled: 5-line block ×3, first 2 shown]
	v_fmac_f64_e32 v[104:105], v[240:241], v[210:211]
	v_add_f64 v[0:1], v[4:5], v[104:105]
	s_waitcnt vmcnt(14) lgkmcnt(1)
	v_mul_f64 v[4:5], v[94:95], v[214:215]
	s_waitcnt vmcnt(12)
	v_fmac_f64_e32 v[4:5], v[96:97], v[216:217]
	ds_read_b128 v[102:105], v190 offset:1984
	v_add_f64 v[4:5], v[0:1], v[4:5]
	v_mul_f64 v[0:1], v[108:109], v[110:111]
	v_fma_f64 v[0:1], v[106:107], v[112:113], -v[0:1]
	ds_read_b128 v[106:109], v190 offset:2000
	buffer_load_dword v228, off, s[0:3], 0 offset:1016
	buffer_load_dword v229, off, s[0:3], 0 offset:1020
	;; [unrolled: 1-line block ×4, first 2 shown]
	s_waitcnt vmcnt(13) lgkmcnt(2)
	v_mul_f64 v[110:111], v[98:99], v[220:221]
	s_waitcnt vmcnt(11)
	v_fmac_f64_e32 v[110:111], v[100:101], v[224:225]
	v_add_f64 v[4:5], v[4:5], v[110:111]
	s_waitcnt vmcnt(9) lgkmcnt(1)
	v_mul_f64 v[110:111], v[102:103], v[212:213]
	s_waitcnt vmcnt(8)
	v_fmac_f64_e32 v[110:111], v[104:105], v[218:219]
	v_add_f64 v[4:5], v[4:5], v[110:111]
	;; [unrolled: 5-line block ×3, first 2 shown]
	ds_read_b128 v[110:113], v190 offset:2016
	buffer_load_dword v235, off, s[0:3], 0 offset:1036
	buffer_load_dword v234, off, s[0:3], 0 offset:1032
	;; [unrolled: 1-line block ×4, first 2 shown]
	s_waitcnt vmcnt(6) lgkmcnt(0)
	v_mul_f64 v[114:115], v[110:111], v[228:229]
	s_waitcnt vmcnt(4)
	v_fmac_f64_e32 v[114:115], v[112:113], v[230:231]
	v_add_f64 v[4:5], v[4:5], v[114:115]
	ds_read_b128 v[114:117], v190 offset:2032
	s_waitcnt vmcnt(2) lgkmcnt(0)
	v_mul_f64 v[190:191], v[114:115], v[234:235]
	s_waitcnt vmcnt(0)
	v_fmac_f64_e32 v[190:191], v[116:117], v[236:237]
	v_add_f64 v[4:5], v[4:5], v[190:191]
	v_add_f64 v[190:191], v[254:255], 0
	;; [unrolled: 1-line block ×10, first 2 shown]
	buffer_load_dword v248, off, s[0:3], 0 offset:384
	buffer_load_dword v249, off, s[0:3], 0 offset:388
	;; [unrolled: 1-line block ×4, first 2 shown]
	v_add_f64 v[2:3], v[254:255], v[250:251]
	v_add_f64 v[0:1], v[2:3], v[0:1]
	v_mul_f64 v[2:3], v[120:121], v[122:123]
	v_fma_f64 v[2:3], v[118:119], v[138:139], -v[2:3]
	v_add_f64 v[0:1], v[0:1], v[2:3]
	v_accvgpr_read_b32 v2, a194
	v_accvgpr_read_b32 v3, a195
	v_mul_f64 v[2:3], v[8:9], v[2:3]
	v_accvgpr_read_b32 v8, a196
	v_accvgpr_read_b32 v9, a197
	v_fma_f64 v[2:3], v[6:7], v[8:9], -v[2:3]
	v_add_f64 v[0:1], v[0:1], v[2:3]
	v_mul_f64 v[2:3], v[12:13], v[142:143]
	v_fma_f64 v[2:3], v[10:11], v[146:147], -v[2:3]
	v_add_f64 v[0:1], v[0:1], v[2:3]
	v_mul_f64 v[2:3], v[16:17], v[124:125]
	;; [unrolled: 3-line block ×27, first 2 shown]
	v_fma_f64 v[2:3], v[114:115], v[236:237], -v[2:3]
	v_add_f64 v[0:1], v[0:1], v[2:3]
	s_waitcnt vmcnt(2)
	v_add_f64 v[0:1], v[248:249], -v[0:1]
	s_waitcnt vmcnt(0)
	v_add_f64 v[2:3], v[246:247], -v[4:5]
	buffer_store_dword v1, off, s[0:3], 0 offset:388
	buffer_store_dword v0, off, s[0:3], 0 offset:384
	;; [unrolled: 1-line block ×4, first 2 shown]
	v_accvgpr_read_b32 v0, a191
	v_cmp_lt_u32_e32 vcc, 22, v0
	s_and_saveexec_b64 s[4:5], vcc
	s_cbranch_execz .LBB127_365
; %bb.364:
	v_accvgpr_read_b32 v3, a169
	buffer_load_dword v0, v3, s[0:3], 0 offen
	buffer_load_dword v1, v3, s[0:3], 0 offen offset:4
	buffer_load_dword v2, v3, s[0:3], 0 offen offset:8
	s_nop 0
	buffer_load_dword v3, v3, s[0:3], 0 offen offset:12
	v_mov_b32_e32 v4, 0
	v_accvgpr_read_b32 v5, a192
	buffer_store_dword v4, off, s[0:3], 0 offset:368
	buffer_store_dword v4, off, s[0:3], 0 offset:372
	;; [unrolled: 1-line block ×4, first 2 shown]
	s_waitcnt vmcnt(4)
	ds_write_b128 v5, v[0:3]
.LBB127_365:
	s_or_b64 exec, exec, s[4:5]
	s_waitcnt lgkmcnt(0)
	; wave barrier
	s_waitcnt lgkmcnt(0)
	buffer_load_dword v54, off, s[0:3], 0 offset:384
	buffer_load_dword v55, off, s[0:3], 0 offset:388
	;; [unrolled: 1-line block ×46, first 2 shown]
	v_mov_b32_e32 v190, 0
	s_waitcnt vmcnt(0)
	v_pk_mov_b32 v[22:23], v[2:3], v[2:3] op_sel:[0,1]
	buffer_load_dword v3, off, s[0:3], 0 offset:580
	buffer_load_dword v2, off, s[0:3], 0 offset:576
	;; [unrolled: 1-line block ×3, first 2 shown]
	ds_read_b128 v[92:95], v190 offset:1392
	ds_read_b128 v[108:111], v190 offset:1408
	;; [unrolled: 1-line block ×11, first 2 shown]
	s_waitcnt lgkmcnt(9)
	v_mul_f64 v[4:5], v[108:109], v[62:63]
	v_fmac_f64_e32 v[4:5], v[110:111], v[58:59]
	s_waitcnt lgkmcnt(8)
	v_mul_f64 v[6:7], v[112:113], v[60:61]
	s_waitcnt lgkmcnt(7)
	v_mul_f64 v[8:9], v[224:225], v[68:69]
	v_fmac_f64_e32 v[6:7], v[114:115], v[84:85]
	s_waitcnt lgkmcnt(6)
	v_mul_f64 v[10:11], v[228:229], v[64:65]
	v_fmac_f64_e32 v[8:9], v[226:227], v[82:83]
	;; [unrolled: 3-line block ×7, first 2 shown]
	v_fmac_f64_e32 v[20:21], v[250:251], v[0:1]
	v_accvgpr_write_b32 a195, v23
	v_accvgpr_write_b32 a194, v22
	v_mul_f64 v[62:63], v[110:111], v[62:63]
	v_mul_f64 v[74:75], v[238:239], v[74:75]
	;; [unrolled: 1-line block ×4, first 2 shown]
	v_fma_f64 v[246:247], v[244:245], v[88:89], -v[86:87]
	v_mul_f64 v[90:91], v[250:251], v[90:91]
	v_fma_f64 v[248:249], v[248:249], v[0:1], -v[90:91]
	s_waitcnt vmcnt(1)
	v_pk_mov_b32 v[24:25], v[2:3], v[2:3] op_sel:[0,1]
	v_mul_f64 v[2:3], v[92:93], v[56:57]
	v_fmac_f64_e32 v[2:3], v[94:95], v[54:55]
	v_add_f64 v[2:3], v[2:3], 0
	v_add_f64 v[2:3], v[2:3], v[4:5]
	buffer_load_dword v106, off, s[0:3], 0 offset:568
	buffer_load_dword v117, off, s[0:3], 0 offset:564
	buffer_load_dword v116, off, s[0:3], 0 offset:560
	buffer_load_dword v5, off, s[0:3], 0 offset:620
	buffer_load_dword v4, off, s[0:3], 0 offset:616
	buffer_load_dword v125, off, s[0:3], 0 offset:612
	buffer_load_dword v124, off, s[0:3], 0 offset:608
	buffer_load_dword v139, off, s[0:3], 0 offset:604
	buffer_load_dword v138, off, s[0:3], 0 offset:600
	buffer_load_dword v143, off, s[0:3], 0 offset:596
	buffer_load_dword v142, off, s[0:3], 0 offset:592
	buffer_load_dword v127, off, s[0:3], 0 offset:652
	buffer_load_dword v126, off, s[0:3], 0 offset:648
	buffer_load_dword v129, off, s[0:3], 0 offset:644
	buffer_load_dword v128, off, s[0:3], 0 offset:640
	buffer_load_dword v147, off, s[0:3], 0 offset:636
	buffer_load_dword v146, off, s[0:3], 0 offset:632
	buffer_load_dword v151, off, s[0:3], 0 offset:628
	buffer_load_dword v150, off, s[0:3], 0 offset:624
	buffer_load_dword v131, off, s[0:3], 0 offset:684
	buffer_load_dword v130, off, s[0:3], 0 offset:680
	buffer_load_dword v133, off, s[0:3], 0 offset:676
	buffer_load_dword v132, off, s[0:3], 0 offset:672
	buffer_load_dword v155, off, s[0:3], 0 offset:668
	buffer_load_dword v154, off, s[0:3], 0 offset:664
	buffer_load_dword v159, off, s[0:3], 0 offset:660
	buffer_load_dword v158, off, s[0:3], 0 offset:656
	buffer_load_dword v135, off, s[0:3], 0 offset:716
	buffer_load_dword v134, off, s[0:3], 0 offset:712
	buffer_load_dword v137, off, s[0:3], 0 offset:708
	buffer_load_dword v136, off, s[0:3], 0 offset:704
	buffer_load_dword v163, off, s[0:3], 0 offset:700
	buffer_load_dword v162, off, s[0:3], 0 offset:696
	buffer_load_dword v167, off, s[0:3], 0 offset:692
	buffer_load_dword v166, off, s[0:3], 0 offset:688
	buffer_load_dword v141, off, s[0:3], 0 offset:748
	buffer_load_dword v140, off, s[0:3], 0 offset:744
	buffer_load_dword v145, off, s[0:3], 0 offset:740
	buffer_load_dword v144, off, s[0:3], 0 offset:736
	buffer_load_dword v171, off, s[0:3], 0 offset:732
	buffer_load_dword v170, off, s[0:3], 0 offset:728
	buffer_load_dword v175, off, s[0:3], 0 offset:724
	buffer_load_dword v174, off, s[0:3], 0 offset:720
	buffer_load_dword v149, off, s[0:3], 0 offset:780
	buffer_load_dword v148, off, s[0:3], 0 offset:776
	buffer_load_dword v153, off, s[0:3], 0 offset:772
	buffer_load_dword v152, off, s[0:3], 0 offset:768
	buffer_load_dword v179, off, s[0:3], 0 offset:764
	buffer_load_dword v178, off, s[0:3], 0 offset:760
	buffer_load_dword v181, off, s[0:3], 0 offset:756
	buffer_load_dword v180, off, s[0:3], 0 offset:752
	buffer_load_dword v157, off, s[0:3], 0 offset:812
	buffer_load_dword v156, off, s[0:3], 0 offset:808
	buffer_load_dword v161, off, s[0:3], 0 offset:804
	buffer_load_dword v160, off, s[0:3], 0 offset:800
	buffer_load_dword v183, off, s[0:3], 0 offset:796
	buffer_load_dword v182, off, s[0:3], 0 offset:792
	buffer_load_dword v185, off, s[0:3], 0 offset:788
	buffer_load_dword v184, off, s[0:3], 0 offset:784
	buffer_load_dword v165, off, s[0:3], 0 offset:844
	buffer_load_dword v164, off, s[0:3], 0 offset:840
	buffer_load_dword v169, off, s[0:3], 0 offset:836
	buffer_load_dword v168, off, s[0:3], 0 offset:832
	buffer_load_dword v187, off, s[0:3], 0 offset:828
	buffer_load_dword v186, off, s[0:3], 0 offset:824
	buffer_load_dword v189, off, s[0:3], 0 offset:820
	buffer_load_dword v188, off, s[0:3], 0 offset:816
	buffer_load_dword v173, off, s[0:3], 0 offset:876
	buffer_load_dword v172, off, s[0:3], 0 offset:872
	buffer_load_dword v177, off, s[0:3], 0 offset:868
	buffer_load_dword v176, off, s[0:3], 0 offset:864
	buffer_load_dword v193, off, s[0:3], 0 offset:860
	buffer_load_dword v192, off, s[0:3], 0 offset:856
	buffer_load_dword v195, off, s[0:3], 0 offset:852
	buffer_load_dword v194, off, s[0:3], 0 offset:848
	v_add_f64 v[2:3], v[2:3], v[6:7]
	v_add_f64 v[2:3], v[2:3], v[8:9]
	;; [unrolled: 1-line block ×3, first 2 shown]
	ds_read_b128 v[252:255], v190 offset:1568
	ds_read_b128 v[118:121], v190 offset:1584
	v_add_f64 v[2:3], v[2:3], v[12:13]
	v_add_f64 v[2:3], v[2:3], v[14:15]
	;; [unrolled: 1-line block ×5, first 2 shown]
	s_waitcnt lgkmcnt(0)
	v_mul_f64 v[12:13], v[118:119], v[22:23]
	ds_read_b128 v[196:199], v190 offset:1600
	v_fmac_f64_e32 v[12:13], v[120:121], v[24:25]
	v_accvgpr_write_b32 a197, v25
	v_accvgpr_write_b32 a196, v24
	v_mul_f64 v[56:57], v[94:95], v[56:57]
	s_waitcnt vmcnt(62)
	v_mul_f64 v[8:9], v[252:253], v[106:107]
	v_mul_f64 v[90:91], v[254:255], v[106:107]
	v_fmac_f64_e32 v[8:9], v[254:255], v[116:117]
	v_fma_f64 v[250:251], v[252:253], v[116:117], -v[90:91]
	v_pk_mov_b32 v[26:27], v[4:5], v[4:5] op_sel:[0,1]
	v_mul_f64 v[4:5], v[98:99], v[102:103]
	v_fmac_f64_e32 v[4:5], v[100:101], v[104:105]
	v_add_f64 v[6:7], v[2:3], v[4:5]
	v_add_f64 v[10:11], v[6:7], v[8:9]
	;; [unrolled: 1-line block ×3, first 2 shown]
	ds_read_b128 v[10:13], v190 offset:1616
	s_waitcnt lgkmcnt(1)
	v_mul_f64 v[16:17], v[196:197], v[138:139]
	v_fmac_f64_e32 v[16:17], v[198:199], v[142:143]
	v_add_f64 v[18:19], v[14:15], v[16:17]
	ds_read_b128 v[14:17], v190 offset:1632
	s_waitcnt lgkmcnt(1)
	v_mul_f64 v[20:21], v[10:11], v[26:27]
	v_fmac_f64_e32 v[20:21], v[12:13], v[124:125]
	v_add_f64 v[22:23], v[18:19], v[20:21]
	ds_read_b128 v[18:21], v190 offset:1648
	s_waitcnt vmcnt(58) lgkmcnt(1)
	v_mul_f64 v[24:25], v[14:15], v[146:147]
	v_accvgpr_write_b32 a199, v27
	s_waitcnt vmcnt(56)
	v_fmac_f64_e32 v[24:25], v[16:17], v[150:151]
	v_accvgpr_write_b32 a198, v26
	s_waitcnt lgkmcnt(0)
	v_mul_f64 v[28:29], v[18:19], v[126:127]
	v_add_f64 v[26:27], v[22:23], v[24:25]
	ds_read_b128 v[22:25], v190 offset:1664
	v_fmac_f64_e32 v[28:29], v[20:21], v[128:129]
	v_add_f64 v[30:31], v[26:27], v[28:29]
	ds_read_b128 v[26:29], v190 offset:1680
	v_fma_f64 v[6:7], v[92:93], v[54:55], -v[56:57]
	s_waitcnt vmcnt(50) lgkmcnt(1)
	v_mul_f64 v[32:33], v[22:23], v[154:155]
	s_waitcnt vmcnt(48)
	v_fmac_f64_e32 v[32:33], v[24:25], v[158:159]
	v_add_f64 v[34:35], v[30:31], v[32:33]
	s_waitcnt lgkmcnt(0)
	v_mul_f64 v[36:37], v[26:27], v[130:131]
	ds_read_b128 v[30:33], v190 offset:1696
	v_fmac_f64_e32 v[36:37], v[28:29], v[132:133]
	v_add_f64 v[38:39], v[34:35], v[36:37]
	ds_read_b128 v[34:37], v190 offset:1712
	v_fma_f64 v[92:93], v[108:109], v[58:59], -v[62:63]
	s_waitcnt vmcnt(42) lgkmcnt(1)
	v_mul_f64 v[40:41], v[30:31], v[162:163]
	s_waitcnt vmcnt(40)
	v_fmac_f64_e32 v[40:41], v[32:33], v[166:167]
	v_add_f64 v[42:43], v[38:39], v[40:41]
	s_waitcnt lgkmcnt(0)
	v_mul_f64 v[44:45], v[34:35], v[134:135]
	ds_read_b128 v[38:41], v190 offset:1728
	v_fmac_f64_e32 v[44:45], v[36:37], v[136:137]
	v_add_f64 v[46:47], v[42:43], v[44:45]
	ds_read_b128 v[42:45], v190 offset:1744
	v_mul_f64 v[58:59], v[114:115], v[60:61]
	s_waitcnt vmcnt(34) lgkmcnt(1)
	v_mul_f64 v[48:49], v[38:39], v[170:171]
	s_waitcnt vmcnt(32)
	v_fmac_f64_e32 v[48:49], v[40:41], v[174:175]
	v_add_f64 v[50:51], v[46:47], v[48:49]
	s_waitcnt lgkmcnt(0)
	v_mul_f64 v[52:53], v[42:43], v[140:141]
	v_fmac_f64_e32 v[52:53], v[44:45], v[144:145]
	ds_read_b128 v[46:49], v190 offset:1760
	v_add_f64 v[96:97], v[50:51], v[52:53]
	ds_read_b128 v[50:53], v190 offset:1776
	buffer_load_dword v9, off, s[0:3], 0 offset:892
	buffer_load_dword v8, off, s[0:3], 0 offset:888
	buffer_load_dword v123, off, s[0:3], 0 offset:884
	buffer_load_dword v122, off, s[0:3], 0 offset:880
	buffer_load_dword v202, off, s[0:3], 0 offset:904
	buffer_load_dword v204, off, s[0:3], 0 offset:896
	buffer_load_dword v203, off, s[0:3], 0 offset:908
	buffer_load_dword v205, off, s[0:3], 0 offset:900
	s_waitcnt vmcnt(34) lgkmcnt(1)
	v_mul_f64 v[200:201], v[46:47], v[178:179]
	s_waitcnt vmcnt(32)
	v_fmac_f64_e32 v[200:201], v[48:49], v[180:181]
	v_add_f64 v[96:97], v[96:97], v[200:201]
	buffer_load_dword v201, off, s[0:3], 0 offset:940
	buffer_load_dword v207, off, s[0:3], 0 offset:924
	;; [unrolled: 1-line block ×8, first 2 shown]
	ds_read_b128 v[54:57], v190 offset:1792
	buffer_load_dword v213, off, s[0:3], 0 offset:956
	buffer_load_dword v212, off, s[0:3], 0 offset:952
	;; [unrolled: 1-line block ×4, first 2 shown]
	s_waitcnt lgkmcnt(1)
	v_mul_f64 v[4:5], v[50:51], v[148:149]
	buffer_load_dword v216, off, s[0:3], 0 offset:968
	buffer_load_dword v218, off, s[0:3], 0 offset:960
	;; [unrolled: 1-line block ×8, first 2 shown]
	v_fma_f64 v[94:95], v[112:113], v[84:85], -v[58:59]
	v_fmac_f64_e32 v[4:5], v[52:53], v[152:153]
	v_mul_f64 v[58:59], v[226:227], v[68:69]
	v_add_f64 v[4:5], v[96:97], v[4:5]
	v_fma_f64 v[96:97], v[224:225], v[82:83], -v[58:59]
	buffer_load_dword v224, off, s[0:3], 0 offset:1000
	buffer_load_dword v226, off, s[0:3], 0 offset:992
	;; [unrolled: 1-line block ×4, first 2 shown]
	s_waitcnt vmcnt(50) lgkmcnt(0)
	v_mul_f64 v[58:59], v[54:55], v[182:183]
	s_waitcnt vmcnt(48)
	v_fmac_f64_e32 v[58:59], v[56:57], v[184:185]
	v_add_f64 v[4:5], v[4:5], v[58:59]
	ds_read_b128 v[58:61], v190 offset:1808
	v_mul_f64 v[62:63], v[230:231], v[64:65]
	v_fma_f64 v[228:229], v[228:229], v[66:67], -v[62:63]
	ds_read_b128 v[62:65], v190 offset:1824
	v_mul_f64 v[66:67], v[234:235], v[70:71]
	v_fma_f64 v[232:233], v[232:233], v[72:73], -v[66:67]
	ds_read_b128 v[66:69], v190 offset:1840
	s_waitcnt lgkmcnt(2)
	v_mul_f64 v[82:83], v[58:59], v[156:157]
	v_fmac_f64_e32 v[82:83], v[60:61], v[160:161]
	s_waitcnt vmcnt(42) lgkmcnt(1)
	v_mul_f64 v[70:71], v[62:63], v[186:187]
	v_add_f64 v[4:5], v[4:5], v[82:83]
	s_waitcnt vmcnt(40)
	v_fmac_f64_e32 v[70:71], v[64:65], v[188:189]
	v_add_f64 v[4:5], v[4:5], v[70:71]
	v_fma_f64 v[230:231], v[236:237], v[76:77], -v[74:75]
	ds_read_b128 v[74:77], v190 offset:1872
	s_waitcnt lgkmcnt(1)
	v_mul_f64 v[70:71], v[66:67], v[164:165]
	v_fmac_f64_e32 v[70:71], v[68:69], v[168:169]
	v_add_f64 v[4:5], v[4:5], v[70:71]
	ds_read_b128 v[70:73], v190 offset:1856
	v_fma_f64 v[234:235], v[240:241], v[80:81], -v[78:79]
	ds_read_b128 v[78:81], v190 offset:1888
	ds_read_b128 v[238:241], v190 offset:1936
	ds_read_b128 v[242:245], v190 offset:1952
	s_waitcnt vmcnt(34) lgkmcnt(3)
	v_mul_f64 v[82:83], v[70:71], v[192:193]
	s_waitcnt vmcnt(32)
	v_fmac_f64_e32 v[82:83], v[72:73], v[194:195]
	v_add_f64 v[4:5], v[4:5], v[82:83]
	v_mul_f64 v[82:83], v[74:75], v[172:173]
	v_fmac_f64_e32 v[82:83], v[76:77], v[176:177]
	v_add_f64 v[4:5], v[4:5], v[82:83]
	v_add_f64 v[6:7], v[6:7], 0
	v_add_f64 v[6:7], v[6:7], v[92:93]
	v_add_f64 v[6:7], v[6:7], v[94:95]
	v_add_f64 v[6:7], v[6:7], v[96:97]
	v_add_f64 v[6:7], v[6:7], v[228:229]
	v_add_f64 v[6:7], v[6:7], v[232:233]
	v_add_f64 v[6:7], v[6:7], v[230:231]
	v_add_f64 v[6:7], v[6:7], v[234:235]
	v_add_f64 v[6:7], v[6:7], v[246:247]
	v_add_f64 v[6:7], v[6:7], v[248:249]
	v_accvgpr_read_b32 v92, a196
	v_accvgpr_read_b32 v93, a197
	ds_read_b128 v[86:89], v190 offset:1920
	s_waitcnt vmcnt(30) lgkmcnt(3)
	v_mul_f64 v[82:83], v[78:79], v[8:9]
	s_waitcnt vmcnt(28)
	v_fmac_f64_e32 v[82:83], v[80:81], v[122:123]
	v_add_f64 v[4:5], v[4:5], v[82:83]
	ds_read_b128 v[82:85], v190 offset:1904
	s_waitcnt vmcnt(25) lgkmcnt(0)
	v_mul_f64 v[108:109], v[82:83], v[202:203]
	s_waitcnt vmcnt(24)
	v_fmac_f64_e32 v[108:109], v[84:85], v[204:205]
	v_add_f64 v[0:1], v[4:5], v[108:109]
	s_waitcnt vmcnt(21)
	v_mul_f64 v[4:5], v[86:87], v[206:207]
	s_waitcnt vmcnt(19)
	v_fmac_f64_e32 v[4:5], v[88:89], v[210:211]
	v_add_f64 v[0:1], v[0:1], v[4:5]
	s_waitcnt vmcnt(18)
	v_mul_f64 v[4:5], v[238:239], v[200:201]
	s_waitcnt vmcnt(16)
	v_fmac_f64_e32 v[4:5], v[240:241], v[208:209]
	v_add_f64 v[0:1], v[0:1], v[4:5]
	v_mul_f64 v[4:5], v[100:101], v[102:103]
	v_fma_f64 v[2:3], v[98:99], v[104:105], -v[4:5]
	ds_read_b128 v[98:101], v190 offset:1968
	ds_read_b128 v[102:105], v190 offset:1984
	s_waitcnt vmcnt(14)
	v_mul_f64 v[4:5], v[242:243], v[212:213]
	s_waitcnt vmcnt(12)
	v_fmac_f64_e32 v[4:5], v[244:245], v[214:215]
	ds_read_b128 v[106:109], v190 offset:2000
	v_add_f64 v[0:1], v[0:1], v[4:5]
	s_waitcnt vmcnt(9) lgkmcnt(2)
	v_mul_f64 v[4:5], v[98:99], v[216:217]
	s_waitcnt vmcnt(8)
	v_fmac_f64_e32 v[4:5], v[100:101], v[218:219]
	v_add_f64 v[0:1], v[0:1], v[4:5]
	s_waitcnt vmcnt(6) lgkmcnt(1)
	v_mul_f64 v[4:5], v[102:103], v[220:221]
	s_waitcnt vmcnt(4)
	v_fmac_f64_e32 v[4:5], v[104:105], v[222:223]
	;; [unrolled: 5-line block ×3, first 2 shown]
	v_add_f64 v[4:5], v[0:1], v[4:5]
	buffer_load_dword v1, off, s[0:3], 0 offset:1020
	buffer_load_dword v0, off, s[0:3], 0 offset:1016
	;; [unrolled: 1-line block ×4, first 2 shown]
	ds_read_b128 v[110:113], v190 offset:2016
	buffer_load_dword v254, off, s[0:3], 0 offset:1032
	buffer_load_dword v255, off, s[0:3], 0 offset:1036
	;; [unrolled: 1-line block ×4, first 2 shown]
	s_waitcnt vmcnt(6) lgkmcnt(0)
	v_mul_f64 v[114:115], v[110:111], v[0:1]
	v_mul_f64 v[0:1], v[112:113], v[0:1]
	s_waitcnt vmcnt(4)
	v_fmac_f64_e32 v[114:115], v[112:113], v[90:91]
	v_add_f64 v[4:5], v[4:5], v[114:115]
	ds_read_b128 v[114:117], v190 offset:2032
	buffer_load_dword v248, off, s[0:3], 0 offset:368
	buffer_load_dword v249, off, s[0:3], 0 offset:372
	;; [unrolled: 1-line block ×4, first 2 shown]
	v_fma_f64 v[0:1], v[110:111], v[90:91], -v[0:1]
	s_waitcnt vmcnt(6) lgkmcnt(0)
	v_mul_f64 v[252:253], v[114:115], v[254:255]
	s_waitcnt vmcnt(4)
	v_fmac_f64_e32 v[252:253], v[116:117], v[236:237]
	v_add_f64 v[4:5], v[4:5], v[252:253]
	v_add_f64 v[252:253], v[6:7], v[2:3]
	v_accvgpr_read_b32 v6, a194
	v_accvgpr_read_b32 v7, a195
	v_mul_f64 v[6:7], v[120:121], v[6:7]
	v_add_f64 v[2:3], v[252:253], v[250:251]
	v_fma_f64 v[6:7], v[118:119], v[92:93], -v[6:7]
	v_add_f64 v[2:3], v[2:3], v[6:7]
	v_mul_f64 v[6:7], v[198:199], v[138:139]
	v_fma_f64 v[6:7], v[196:197], v[142:143], -v[6:7]
	v_add_f64 v[2:3], v[2:3], v[6:7]
	v_accvgpr_read_b32 v6, a198
	v_accvgpr_read_b32 v7, a199
	v_mul_f64 v[6:7], v[12:13], v[6:7]
	v_fma_f64 v[6:7], v[10:11], v[124:125], -v[6:7]
	v_add_f64 v[2:3], v[2:3], v[6:7]
	v_mul_f64 v[6:7], v[16:17], v[146:147]
	v_fma_f64 v[6:7], v[14:15], v[150:151], -v[6:7]
	v_add_f64 v[2:3], v[2:3], v[6:7]
	;; [unrolled: 3-line block ×25, first 2 shown]
	v_add_f64 v[0:1], v[2:3], v[0:1]
	v_mul_f64 v[2:3], v[116:117], v[254:255]
	v_fma_f64 v[2:3], v[114:115], v[236:237], -v[2:3]
	v_add_f64 v[0:1], v[0:1], v[2:3]
	s_waitcnt vmcnt(2)
	v_add_f64 v[0:1], v[248:249], -v[0:1]
	s_waitcnt vmcnt(0)
	v_add_f64 v[2:3], v[246:247], -v[4:5]
	buffer_store_dword v1, off, s[0:3], 0 offset:372
	buffer_store_dword v0, off, s[0:3], 0 offset:368
	;; [unrolled: 1-line block ×4, first 2 shown]
	v_accvgpr_read_b32 v0, a191
	v_cmp_lt_u32_e32 vcc, 21, v0
	s_and_saveexec_b64 s[4:5], vcc
	s_cbranch_execz .LBB127_367
; %bb.366:
	v_accvgpr_read_b32 v3, a170
	buffer_load_dword v0, v3, s[0:3], 0 offen
	buffer_load_dword v1, v3, s[0:3], 0 offen offset:4
	buffer_load_dword v2, v3, s[0:3], 0 offen offset:8
	s_nop 0
	buffer_load_dword v3, v3, s[0:3], 0 offen offset:12
	v_accvgpr_read_b32 v4, a192
	buffer_store_dword v190, off, s[0:3], 0 offset:352
	buffer_store_dword v190, off, s[0:3], 0 offset:356
	;; [unrolled: 1-line block ×4, first 2 shown]
	s_waitcnt vmcnt(4)
	ds_write_b128 v4, v[0:3]
.LBB127_367:
	s_or_b64 exec, exec, s[4:5]
	s_waitcnt lgkmcnt(0)
	; wave barrier
	s_waitcnt lgkmcnt(0)
	buffer_load_dword v58, off, s[0:3], 0 offset:368
	buffer_load_dword v59, off, s[0:3], 0 offset:372
	;; [unrolled: 1-line block ×42, first 2 shown]
	ds_read_b128 v[108:111], v190 offset:1376
	ds_read_b128 v[112:115], v190 offset:1392
	;; [unrolled: 1-line block ×10, first 2 shown]
	buffer_load_dword v117, off, s[0:3], 0 offset:516
	buffer_load_dword v116, off, s[0:3], 0 offset:512
	ds_read_b128 v[90:93], v190 offset:1536
	buffer_load_dword v105, off, s[0:3], 0 offset:572
	buffer_load_dword v104, off, s[0:3], 0 offset:568
	;; [unrolled: 1-line block ×6, first 2 shown]
	s_waitcnt vmcnt(46) lgkmcnt(10)
	v_mul_f64 v[2:3], v[108:109], v[60:61]
	v_fmac_f64_e32 v[2:3], v[110:111], v[58:59]
	v_add_f64 v[2:3], v[2:3], 0
	v_mul_f64 v[60:61], v[110:111], v[60:61]
	s_waitcnt vmcnt(42) lgkmcnt(9)
	v_mul_f64 v[4:5], v[112:113], v[62:63]
	v_fmac_f64_e32 v[4:5], v[114:115], v[56:57]
	v_add_f64 v[2:3], v[2:3], v[4:5]
	buffer_load_dword v249, off, s[0:3], 0 offset:548
	buffer_load_dword v248, off, s[0:3], 0 offset:544
	;; [unrolled: 1-line block ×4, first 2 shown]
	s_waitcnt vmcnt(44) lgkmcnt(8)
	v_mul_f64 v[6:7], v[212:213], v[220:221]
	s_waitcnt vmcnt(42) lgkmcnt(6)
	v_mul_f64 v[10:11], v[224:225], v[64:65]
	s_waitcnt vmcnt(40)
	v_fmac_f64_e32 v[10:11], v[226:227], v[66:67]
	s_waitcnt vmcnt(38)
	v_mul_f64 v[8:9], v[216:217], v[68:69]
	s_waitcnt vmcnt(36) lgkmcnt(4)
	v_mul_f64 v[14:15], v[232:233], v[70:71]
	s_waitcnt vmcnt(34)
	v_fmac_f64_e32 v[14:15], v[234:235], v[72:73]
	s_waitcnt vmcnt(32)
	v_mul_f64 v[12:13], v[228:229], v[74:75]
	s_waitcnt vmcnt(30) lgkmcnt(2)
	v_mul_f64 v[18:19], v[240:241], v[78:79]
	v_mul_f64 v[78:79], v[242:243], v[78:79]
	s_waitcnt vmcnt(27)
	v_mul_f64 v[16:17], v[236:237], v[76:77]
	s_waitcnt vmcnt(25) lgkmcnt(1)
	v_mul_f64 v[20:21], v[82:83], v[86:87]
	s_waitcnt vmcnt(23)
	v_fmac_f64_e32 v[6:7], v[214:215], v[100:101]
	v_add_f64 v[2:3], v[2:3], v[6:7]
	s_waitcnt vmcnt(21)
	v_fmac_f64_e32 v[8:9], v[218:219], v[98:99]
	v_add_f64 v[2:3], v[2:3], v[8:9]
	;; [unrolled: 3-line block ×3, first 2 shown]
	v_add_f64 v[2:3], v[2:3], v[12:13]
	s_waitcnt vmcnt(17)
	v_fmac_f64_e32 v[16:17], v[238:239], v[88:89]
	v_add_f64 v[2:3], v[2:3], v[14:15]
	s_waitcnt vmcnt(16)
	v_fmac_f64_e32 v[18:19], v[242:243], v[80:81]
	v_add_f64 v[2:3], v[2:3], v[16:17]
	v_add_f64 v[2:3], v[2:3], v[18:19]
	s_waitcnt vmcnt(10)
	v_fmac_f64_e32 v[20:21], v[84:85], v[116:117]
	v_add_f64 v[2:3], v[2:3], v[20:21]
	v_mul_f64 v[84:85], v[84:85], v[86:87]
	s_waitcnt vmcnt(0)
	v_pk_mov_b32 v[18:19], v[4:5], v[4:5] op_sel:[0,1]
	buffer_load_dword v5, off, s[0:3], 0 offset:596
	buffer_load_dword v4, off, s[0:3], 0 offset:592
	v_accvgpr_write_b32 a195, v19
	v_accvgpr_write_b32 a194, v18
	s_waitcnt vmcnt(0)
	v_pk_mov_b32 v[22:23], v[4:5], v[4:5] op_sel:[0,1]
	buffer_load_dword v135, off, s[0:3], 0 offset:588
	buffer_load_dword v134, off, s[0:3], 0 offset:584
	;; [unrolled: 1-line block ×6, first 2 shown]
	v_accvgpr_write_b32 a197, v23
	v_accvgpr_write_b32 a196, v22
	s_waitcnt vmcnt(0)
	v_pk_mov_b32 v[26:27], v[4:5], v[4:5] op_sel:[0,1]
	buffer_load_dword v5, off, s[0:3], 0 offset:628
	buffer_load_dword v4, off, s[0:3], 0 offset:624
	v_accvgpr_write_b32 a199, v27
	v_accvgpr_write_b32 a198, v26
	s_waitcnt vmcnt(0)
	v_pk_mov_b32 v[28:29], v[4:5], v[4:5] op_sel:[0,1]
	buffer_load_dword v143, off, s[0:3], 0 offset:620
	buffer_load_dword v142, off, s[0:3], 0 offset:616
	;; [unrolled: 1-line block ×60, first 2 shown]
	ds_read_b128 v[244:247], v190 offset:1552
	ds_read_b128 v[252:255], v190 offset:1568
	;; [unrolled: 1-line block ×5, first 2 shown]
	v_accvgpr_write_b32 a201, v29
	s_waitcnt lgkmcnt(3)
	v_mul_f64 v[8:9], v[252:253], v[104:105]
	v_fmac_f64_e32 v[8:9], v[254:255], v[106:107]
	s_waitcnt lgkmcnt(2)
	v_mul_f64 v[12:13], v[118:119], v[134:135]
	v_fmac_f64_e32 v[12:13], v[120:121], v[138:139]
	;; [unrolled: 3-line block ×3, first 2 shown]
	v_accvgpr_write_b32 a200, v28
	s_waitcnt vmcnt(54)
	v_pk_mov_b32 v[34:35], v[4:5], v[4:5] op_sel:[0,1]
	v_mul_f64 v[4:5], v[90:91], v[96:97]
	v_fmac_f64_e32 v[4:5], v[92:93], v[102:103]
	v_add_f64 v[2:3], v[2:3], v[4:5]
	v_mul_f64 v[4:5], v[244:245], v[0:1]
	v_fmac_f64_e32 v[4:5], v[246:247], v[248:249]
	v_add_f64 v[6:7], v[2:3], v[4:5]
	v_add_f64 v[10:11], v[6:7], v[8:9]
	;; [unrolled: 1-line block ×4, first 2 shown]
	ds_read_b128 v[14:17], v190 offset:1632
	s_waitcnt lgkmcnt(1)
	v_mul_f64 v[20:21], v[122:123], v[142:143]
	v_fmac_f64_e32 v[20:21], v[124:125], v[146:147]
	v_add_f64 v[22:23], v[18:19], v[20:21]
	ds_read_b128 v[18:21], v190 offset:1648
	s_waitcnt lgkmcnt(1)
	v_mul_f64 v[24:25], v[14:15], v[26:27]
	v_fmac_f64_e32 v[24:25], v[16:17], v[28:29]
	v_add_f64 v[26:27], v[22:23], v[24:25]
	ds_read_b128 v[22:25], v190 offset:1664
	s_waitcnt vmcnt(50) lgkmcnt(1)
	v_mul_f64 v[28:29], v[18:19], v[150:151]
	s_waitcnt vmcnt(48)
	v_fmac_f64_e32 v[28:29], v[20:21], v[154:155]
	v_add_f64 v[30:31], v[26:27], v[28:29]
	ds_read_b128 v[26:29], v190 offset:1680
	s_waitcnt lgkmcnt(1)
	v_mul_f64 v[32:33], v[22:23], v[34:35]
	v_accvgpr_write_b32 a203, v35
	v_fmac_f64_e32 v[32:33], v[24:25], v[128:129]
	v_accvgpr_write_b32 a202, v34
	v_add_f64 v[34:35], v[30:31], v[32:33]
	ds_read_b128 v[30:33], v190 offset:1696
	s_waitcnt vmcnt(42) lgkmcnt(1)
	v_mul_f64 v[36:37], v[26:27], v[158:159]
	s_waitcnt vmcnt(40)
	v_fmac_f64_e32 v[36:37], v[28:29], v[162:163]
	v_add_f64 v[38:39], v[34:35], v[36:37]
	ds_read_b128 v[34:37], v190 offset:1712
	s_waitcnt lgkmcnt(1)
	v_mul_f64 v[40:41], v[30:31], v[130:131]
	v_fmac_f64_e32 v[40:41], v[32:33], v[132:133]
	v_add_f64 v[42:43], v[38:39], v[40:41]
	ds_read_b128 v[38:41], v190 offset:1728
	s_waitcnt vmcnt(34) lgkmcnt(1)
	v_mul_f64 v[44:45], v[34:35], v[166:167]
	s_waitcnt vmcnt(32)
	v_fmac_f64_e32 v[44:45], v[36:37], v[170:171]
	v_add_f64 v[46:47], v[42:43], v[44:45]
	ds_read_b128 v[42:45], v190 offset:1744
	s_waitcnt lgkmcnt(1)
	v_mul_f64 v[48:49], v[38:39], v[136:137]
	v_fmac_f64_e32 v[48:49], v[40:41], v[140:141]
	v_add_f64 v[50:51], v[46:47], v[48:49]
	ds_read_b128 v[46:49], v190 offset:1760
	s_waitcnt vmcnt(26) lgkmcnt(1)
	v_mul_f64 v[52:53], v[42:43], v[174:175]
	s_waitcnt vmcnt(24)
	v_fmac_f64_e32 v[52:53], v[44:45], v[176:177]
	v_add_f64 v[250:251], v[50:51], v[52:53]
	ds_read_b128 v[50:53], v190 offset:1776
	buffer_load_dword v13, off, s[0:3], 0 offset:876
	buffer_load_dword v12, off, s[0:3], 0 offset:872
	;; [unrolled: 1-line block ×20, first 2 shown]
	v_mul_f64 v[4:5], v[114:115], v[62:63]
	v_fma_f64 v[8:9], v[112:113], v[56:57], -v[4:5]
	v_mul_f64 v[56:57], v[214:215], v[220:221]
	v_fma_f64 v[100:101], v[212:213], v[100:101], -v[56:57]
	;; [unrolled: 2-line block ×3, first 2 shown]
	buffer_load_dword v214, off, s[0:3], 0 offset:952
	buffer_load_dword v216, off, s[0:3], 0 offset:944
	;; [unrolled: 1-line block ×12, first 2 shown]
	s_waitcnt lgkmcnt(1)
	v_mul_f64 v[54:55], v[46:47], v[144:145]
	v_fmac_f64_e32 v[54:55], v[48:49], v[148:149]
	v_fma_f64 v[10:11], v[108:109], v[58:59], -v[60:61]
	v_add_f64 v[58:59], v[250:251], v[54:55]
	v_mul_f64 v[54:55], v[226:227], v[64:65]
	v_fma_f64 v[250:251], v[224:225], v[66:67], -v[54:55]
	buffer_load_dword v225, off, s[0:3], 0 offset:1004
	buffer_load_dword v224, off, s[0:3], 0 offset:1000
	buffer_load_dword v227, off, s[0:3], 0 offset:996
	buffer_load_dword v226, off, s[0:3], 0 offset:992
	s_waitcnt vmcnt(54) lgkmcnt(0)
	v_mul_f64 v[60:61], v[50:51], v[178:179]
	ds_read_b128 v[54:57], v190 offset:1792
	s_waitcnt vmcnt(52)
	v_fmac_f64_e32 v[60:61], v[52:53], v[180:181]
	v_add_f64 v[62:63], v[58:59], v[60:61]
	v_mul_f64 v[58:59], v[230:231], v[74:75]
	v_fma_f64 v[94:95], v[228:229], v[94:95], -v[58:59]
	ds_read_b128 v[58:61], v190 offset:1808
	s_waitcnt lgkmcnt(1)
	v_mul_f64 v[64:65], v[54:55], v[152:153]
	v_fmac_f64_e32 v[64:65], v[56:57], v[156:157]
	v_add_f64 v[74:75], v[62:63], v[64:65]
	ds_read_b128 v[62:65], v190 offset:1824
	v_mul_f64 v[66:67], v[234:235], v[70:71]
	s_waitcnt vmcnt(46) lgkmcnt(1)
	v_mul_f64 v[70:71], v[58:59], v[182:183]
	v_fma_f64 v[232:233], v[232:233], v[72:73], -v[66:67]
	ds_read_b128 v[66:69], v190 offset:1840
	s_waitcnt vmcnt(44)
	v_fmac_f64_e32 v[70:71], v[60:61], v[184:185]
	v_add_f64 v[74:75], v[74:75], v[70:71]
	v_mul_f64 v[70:71], v[238:239], v[76:77]
	v_fma_f64 v[6:7], v[236:237], v[88:89], -v[70:71]
	ds_read_b128 v[70:73], v190 offset:1856
	s_waitcnt lgkmcnt(2)
	v_mul_f64 v[108:109], v[62:63], v[160:161]
	v_fmac_f64_e32 v[108:109], v[64:65], v[164:165]
	s_waitcnt vmcnt(38) lgkmcnt(1)
	v_mul_f64 v[76:77], v[66:67], v[186:187]
	v_add_f64 v[74:75], v[74:75], v[108:109]
	s_waitcnt vmcnt(36)
	v_fmac_f64_e32 v[76:77], v[68:69], v[188:189]
	v_add_f64 v[74:75], v[74:75], v[76:77]
	v_fma_f64 v[4:5], v[240:241], v[80:81], -v[78:79]
	ds_read_b128 v[78:81], v190 offset:1888
	s_waitcnt lgkmcnt(1)
	v_mul_f64 v[76:77], v[70:71], v[168:169]
	v_fmac_f64_e32 v[76:77], v[72:73], v[172:173]
	v_add_f64 v[88:89], v[74:75], v[76:77]
	ds_read_b128 v[74:77], v190 offset:1872
	v_fma_f64 v[2:3], v[82:83], v[116:117], -v[84:85]
	ds_read_b128 v[82:85], v190 offset:1904
	v_mul_f64 v[92:93], v[92:93], v[96:97]
	v_fma_f64 v[96:97], v[90:91], v[102:103], -v[92:93]
	ds_read_b128 v[238:241], v190 offset:1952
	v_mul_f64 v[0:1], v[246:247], v[0:1]
	v_fma_f64 v[0:1], v[244:245], v[248:249], -v[0:1]
	ds_read_b128 v[242:245], v190 offset:1968
	v_add_f64 v[10:11], v[10:11], 0
	v_add_f64 v[8:9], v[10:11], v[8:9]
	;; [unrolled: 1-line block ×5, first 2 shown]
	ds_read_b128 v[90:93], v190 offset:1936
	v_add_f64 v[8:9], v[8:9], v[94:95]
	v_add_f64 v[8:9], v[8:9], v[232:233]
	;; [unrolled: 1-line block ×5, first 2 shown]
	v_accvgpr_read_b32 v4, a196
	v_accvgpr_read_b32 v5, a197
	s_waitcnt vmcnt(25) lgkmcnt(3)
	v_mul_f64 v[102:103], v[82:83], v[202:203]
	s_waitcnt vmcnt(23)
	v_fmac_f64_e32 v[102:103], v[84:85], v[208:209]
	v_mul_f64 v[108:109], v[74:75], v[12:13]
	v_fmac_f64_e32 v[108:109], v[76:77], v[126:127]
	v_mul_f64 v[86:87], v[78:79], v[198:199]
	v_add_f64 v[88:89], v[88:89], v[108:109]
	v_fmac_f64_e32 v[86:87], v[80:81], v[200:201]
	v_add_f64 v[108:109], v[88:89], v[86:87]
	ds_read_b128 v[86:89], v190 offset:1920
	v_add_f64 v[102:103], v[108:109], v[102:103]
	s_waitcnt vmcnt(22) lgkmcnt(0)
	v_mul_f64 v[108:109], v[86:87], v[196:197]
	s_waitcnt vmcnt(20)
	v_fmac_f64_e32 v[108:109], v[88:89], v[206:207]
	v_add_f64 v[102:103], v[102:103], v[108:109]
	s_waitcnt vmcnt(18)
	v_mul_f64 v[108:109], v[90:91], v[204:205]
	s_waitcnt vmcnt(16)
	v_fmac_f64_e32 v[108:109], v[92:93], v[210:211]
	v_add_f64 v[108:109], v[102:103], v[108:109]
	v_mul_f64 v[102:103], v[254:255], v[104:105]
	v_fma_f64 v[252:253], v[252:253], v[106:107], -v[102:103]
	ds_read_b128 v[102:105], v190 offset:1984
	s_waitcnt vmcnt(13)
	v_mul_f64 v[106:107], v[238:239], v[214:215]
	s_waitcnt vmcnt(12)
	v_fmac_f64_e32 v[106:107], v[240:241], v[216:217]
	v_add_f64 v[106:107], v[108:109], v[106:107]
	s_waitcnt vmcnt(9)
	v_mul_f64 v[108:109], v[242:243], v[220:221]
	s_waitcnt vmcnt(7)
	v_fmac_f64_e32 v[108:109], v[244:245], v[222:223]
	v_add_f64 v[106:107], v[106:107], v[108:109]
	s_waitcnt vmcnt(5) lgkmcnt(0)
	v_mul_f64 v[108:109], v[102:103], v[212:213]
	s_waitcnt vmcnt(4)
	v_fmac_f64_e32 v[108:109], v[104:105], v[218:219]
	v_add_f64 v[110:111], v[106:107], v[108:109]
	ds_read_b128 v[106:109], v190 offset:2000
	buffer_load_dword v228, off, s[0:3], 0 offset:1016
	buffer_load_dword v229, off, s[0:3], 0 offset:1020
	;; [unrolled: 1-line block ×4, first 2 shown]
	v_add_f64 v[254:255], v[2:3], v[96:97]
	v_add_f64 v[0:1], v[254:255], v[0:1]
	v_mul_f64 v[2:3], v[120:121], v[134:135]
	s_waitcnt vmcnt(6) lgkmcnt(0)
	v_mul_f64 v[112:113], v[106:107], v[224:225]
	s_waitcnt vmcnt(4)
	v_fmac_f64_e32 v[112:113], v[108:109], v[226:227]
	v_add_f64 v[114:115], v[110:111], v[112:113]
	ds_read_b128 v[110:113], v190 offset:2016
	buffer_load_dword v235, off, s[0:3], 0 offset:1036
	buffer_load_dword v234, off, s[0:3], 0 offset:1032
	;; [unrolled: 1-line block ×4, first 2 shown]
	v_add_f64 v[0:1], v[0:1], v[252:253]
	v_fma_f64 v[2:3], v[118:119], v[138:139], -v[2:3]
	v_add_f64 v[0:1], v[0:1], v[2:3]
	v_accvgpr_read_b32 v2, a194
	v_accvgpr_read_b32 v3, a195
	v_mul_f64 v[2:3], v[194:195], v[2:3]
	v_fma_f64 v[2:3], v[192:193], v[4:5], -v[2:3]
	v_add_f64 v[0:1], v[0:1], v[2:3]
	v_mul_f64 v[2:3], v[124:125], v[142:143]
	v_fma_f64 v[2:3], v[122:123], v[146:147], -v[2:3]
	v_add_f64 v[0:1], v[0:1], v[2:3]
	v_accvgpr_read_b32 v2, a198
	v_accvgpr_read_b32 v3, a199
	v_accvgpr_read_b32 v4, a200
	v_mul_f64 v[2:3], v[16:17], v[2:3]
	v_accvgpr_read_b32 v5, a201
	v_fma_f64 v[2:3], v[14:15], v[4:5], -v[2:3]
	v_add_f64 v[0:1], v[0:1], v[2:3]
	v_mul_f64 v[2:3], v[20:21], v[150:151]
	v_fma_f64 v[2:3], v[18:19], v[154:155], -v[2:3]
	v_add_f64 v[0:1], v[0:1], v[2:3]
	v_accvgpr_read_b32 v2, a202
	v_accvgpr_read_b32 v3, a203
	v_mul_f64 v[2:3], v[24:25], v[2:3]
	v_fma_f64 v[2:3], v[22:23], v[128:129], -v[2:3]
	v_add_f64 v[0:1], v[0:1], v[2:3]
	v_mul_f64 v[2:3], v[28:29], v[158:159]
	v_fma_f64 v[2:3], v[26:27], v[162:163], -v[2:3]
	v_add_f64 v[0:1], v[0:1], v[2:3]
	v_mul_f64 v[2:3], v[32:33], v[130:131]
	v_fma_f64 v[2:3], v[30:31], v[132:133], -v[2:3]
	v_add_f64 v[0:1], v[0:1], v[2:3]
	v_mul_f64 v[2:3], v[36:37], v[166:167]
	v_fma_f64 v[2:3], v[34:35], v[170:171], -v[2:3]
	v_add_f64 v[0:1], v[0:1], v[2:3]
	v_mul_f64 v[2:3], v[40:41], v[136:137]
	v_fma_f64 v[2:3], v[38:39], v[140:141], -v[2:3]
	v_add_f64 v[0:1], v[0:1], v[2:3]
	v_mul_f64 v[2:3], v[44:45], v[174:175]
	v_fma_f64 v[2:3], v[42:43], v[176:177], -v[2:3]
	v_add_f64 v[0:1], v[0:1], v[2:3]
	v_mul_f64 v[2:3], v[48:49], v[144:145]
	v_fma_f64 v[2:3], v[46:47], v[148:149], -v[2:3]
	v_add_f64 v[0:1], v[0:1], v[2:3]
	v_mul_f64 v[2:3], v[52:53], v[178:179]
	v_fma_f64 v[2:3], v[50:51], v[180:181], -v[2:3]
	v_add_f64 v[0:1], v[0:1], v[2:3]
	v_mul_f64 v[2:3], v[56:57], v[152:153]
	v_fma_f64 v[2:3], v[54:55], v[156:157], -v[2:3]
	v_add_f64 v[0:1], v[0:1], v[2:3]
	v_mul_f64 v[2:3], v[60:61], v[182:183]
	v_fma_f64 v[2:3], v[58:59], v[184:185], -v[2:3]
	v_add_f64 v[0:1], v[0:1], v[2:3]
	v_mul_f64 v[2:3], v[64:65], v[160:161]
	v_fma_f64 v[2:3], v[62:63], v[164:165], -v[2:3]
	v_add_f64 v[0:1], v[0:1], v[2:3]
	v_mul_f64 v[2:3], v[68:69], v[186:187]
	v_fma_f64 v[2:3], v[66:67], v[188:189], -v[2:3]
	v_add_f64 v[0:1], v[0:1], v[2:3]
	v_mul_f64 v[2:3], v[72:73], v[168:169]
	v_fma_f64 v[2:3], v[70:71], v[172:173], -v[2:3]
	v_add_f64 v[0:1], v[0:1], v[2:3]
	v_mul_f64 v[2:3], v[76:77], v[12:13]
	v_fma_f64 v[2:3], v[74:75], v[126:127], -v[2:3]
	v_add_f64 v[0:1], v[0:1], v[2:3]
	v_mul_f64 v[2:3], v[80:81], v[198:199]
	v_fma_f64 v[2:3], v[78:79], v[200:201], -v[2:3]
	v_add_f64 v[0:1], v[0:1], v[2:3]
	v_mul_f64 v[2:3], v[84:85], v[202:203]
	s_waitcnt vmcnt(6) lgkmcnt(0)
	v_mul_f64 v[116:117], v[110:111], v[228:229]
	v_fma_f64 v[2:3], v[82:83], v[208:209], -v[2:3]
	s_waitcnt vmcnt(4)
	v_fmac_f64_e32 v[116:117], v[112:113], v[230:231]
	v_add_f64 v[246:247], v[114:115], v[116:117]
	ds_read_b128 v[114:117], v190 offset:2032
	v_add_f64 v[0:1], v[0:1], v[2:3]
	v_mul_f64 v[2:3], v[88:89], v[196:197]
	v_fma_f64 v[2:3], v[86:87], v[206:207], -v[2:3]
	v_add_f64 v[0:1], v[0:1], v[2:3]
	s_waitcnt vmcnt(2) lgkmcnt(0)
	v_mul_f64 v[190:191], v[114:115], v[234:235]
	s_waitcnt vmcnt(0)
	v_fmac_f64_e32 v[190:191], v[116:117], v[236:237]
	v_add_f64 v[190:191], v[246:247], v[190:191]
	buffer_load_dword v248, off, s[0:3], 0 offset:352
	buffer_load_dword v249, off, s[0:3], 0 offset:356
	;; [unrolled: 1-line block ×4, first 2 shown]
	v_mul_f64 v[2:3], v[92:93], v[204:205]
	v_fma_f64 v[2:3], v[90:91], v[210:211], -v[2:3]
	v_add_f64 v[0:1], v[0:1], v[2:3]
	v_mul_f64 v[2:3], v[240:241], v[214:215]
	v_fma_f64 v[2:3], v[238:239], v[216:217], -v[2:3]
	v_add_f64 v[0:1], v[0:1], v[2:3]
	v_mul_f64 v[2:3], v[244:245], v[220:221]
	v_fma_f64 v[2:3], v[242:243], v[222:223], -v[2:3]
	v_add_f64 v[0:1], v[0:1], v[2:3]
	v_mul_f64 v[2:3], v[104:105], v[212:213]
	v_fma_f64 v[2:3], v[102:103], v[218:219], -v[2:3]
	v_add_f64 v[0:1], v[0:1], v[2:3]
	v_mul_f64 v[2:3], v[108:109], v[224:225]
	v_fma_f64 v[2:3], v[106:107], v[226:227], -v[2:3]
	v_add_f64 v[0:1], v[0:1], v[2:3]
	v_mul_f64 v[2:3], v[112:113], v[228:229]
	v_fma_f64 v[2:3], v[110:111], v[230:231], -v[2:3]
	v_add_f64 v[0:1], v[0:1], v[2:3]
	v_mul_f64 v[2:3], v[116:117], v[234:235]
	v_fma_f64 v[2:3], v[114:115], v[236:237], -v[2:3]
	v_add_f64 v[0:1], v[0:1], v[2:3]
	s_waitcnt vmcnt(2)
	v_add_f64 v[0:1], v[248:249], -v[0:1]
	s_waitcnt vmcnt(0)
	v_add_f64 v[2:3], v[246:247], -v[190:191]
	buffer_store_dword v1, off, s[0:3], 0 offset:356
	buffer_store_dword v0, off, s[0:3], 0 offset:352
	;; [unrolled: 1-line block ×4, first 2 shown]
	v_accvgpr_read_b32 v0, a191
	v_cmp_lt_u32_e32 vcc, 20, v0
	s_and_saveexec_b64 s[4:5], vcc
	s_cbranch_execz .LBB127_369
; %bb.368:
	v_accvgpr_read_b32 v3, a171
	buffer_load_dword v0, v3, s[0:3], 0 offen
	buffer_load_dword v1, v3, s[0:3], 0 offen offset:4
	buffer_load_dword v2, v3, s[0:3], 0 offen offset:8
	s_nop 0
	buffer_load_dword v3, v3, s[0:3], 0 offen offset:12
	v_mov_b32_e32 v4, 0
	v_accvgpr_read_b32 v5, a192
	buffer_store_dword v4, off, s[0:3], 0 offset:336
	buffer_store_dword v4, off, s[0:3], 0 offset:340
	;; [unrolled: 1-line block ×4, first 2 shown]
	s_waitcnt vmcnt(4)
	ds_write_b128 v5, v[0:3]
.LBB127_369:
	s_or_b64 exec, exec, s[4:5]
	s_waitcnt lgkmcnt(0)
	; wave barrier
	s_waitcnt lgkmcnt(0)
	buffer_load_dword v50, off, s[0:3], 0 offset:352
	buffer_load_dword v51, off, s[0:3], 0 offset:356
	;; [unrolled: 1-line block ×54, first 2 shown]
	v_mov_b32_e32 v126, 0
	ds_read_b128 v[102:105], v126 offset:1360
	ds_read_b128 v[106:109], v126 offset:1376
	;; [unrolled: 1-line block ×9, first 2 shown]
	s_waitcnt vmcnt(46) lgkmcnt(7)
	v_mul_f64 v[2:3], v[106:107], v[58:59]
	v_fmac_f64_e32 v[2:3], v[108:109], v[52:53]
	s_waitcnt vmcnt(44) lgkmcnt(6)
	v_mul_f64 v[4:5], v[110:111], v[54:55]
	s_waitcnt vmcnt(42) lgkmcnt(4)
	v_mul_f64 v[8:9], v[208:209], v[62:63]
	s_waitcnt vmcnt(40)
	v_fmac_f64_e32 v[8:9], v[210:211], v[60:61]
	s_waitcnt vmcnt(38)
	v_mul_f64 v[6:7], v[114:115], v[64:65]
	s_waitcnt vmcnt(36) lgkmcnt(2)
	v_mul_f64 v[12:13], v[228:229], v[66:67]
	s_waitcnt vmcnt(34)
	v_fmac_f64_e32 v[12:13], v[230:231], v[70:71]
	s_waitcnt vmcnt(32)
	;; [unrolled: 6-line block ×3, first 2 shown]
	v_fmac_f64_e32 v[6:7], v[116:117], v[80:81]
	s_waitcnt vmcnt(24)
	v_fmac_f64_e32 v[10:11], v[226:227], v[78:79]
	s_waitcnt vmcnt(22)
	;; [unrolled: 2-line block ×3, first 2 shown]
	v_pk_mov_b32 v[16:17], v[0:1], v[0:1] op_sel:[0,1]
	v_mul_f64 v[0:1], v[102:103], v[56:57]
	v_fmac_f64_e32 v[0:1], v[104:105], v[50:51]
	v_add_f64 v[0:1], v[0:1], 0
	v_add_f64 v[0:1], v[0:1], v[2:3]
	;; [unrolled: 1-line block ×7, first 2 shown]
	buffer_load_dword v1, off, s[0:3], 0 offset:580
	buffer_load_dword v0, off, s[0:3], 0 offset:576
	v_add_f64 v[2:3], v[2:3], v[14:15]
	v_accvgpr_write_b32 a195, v17
	v_accvgpr_write_b32 a194, v16
	s_waitcnt vmcnt(0)
	v_pk_mov_b32 v[18:19], v[0:1], v[0:1] op_sel:[0,1]
	buffer_load_dword v1, off, s[0:3], 0 offset:572
	buffer_load_dword v0, off, s[0:3], 0 offset:568
	;; [unrolled: 1-line block ×6, first 2 shown]
	v_accvgpr_write_b32 a197, v19
	v_accvgpr_write_b32 a196, v18
	s_waitcnt vmcnt(0)
	v_pk_mov_b32 v[22:23], v[4:5], v[4:5] op_sel:[0,1]
	buffer_load_dword v5, off, s[0:3], 0 offset:612
	buffer_load_dword v4, off, s[0:3], 0 offset:608
	v_accvgpr_write_b32 a199, v23
	v_accvgpr_write_b32 a198, v22
	s_waitcnt vmcnt(0)
	v_pk_mov_b32 v[24:25], v[4:5], v[4:5] op_sel:[0,1]
	buffer_load_dword v139, off, s[0:3], 0 offset:604
	buffer_load_dword v138, off, s[0:3], 0 offset:600
	;; [unrolled: 1-line block ×52, first 2 shown]
	ds_read_b128 v[244:247], v126 offset:1504
	ds_read_b128 v[248:251], v126 offset:1520
	;; [unrolled: 1-line block ×6, first 2 shown]
	v_accvgpr_write_b32 a201, v25
	v_accvgpr_write_b32 a200, v24
	s_waitcnt lgkmcnt(1)
	v_mul_f64 v[8:9], v[122:123], v[0:1]
	v_fmac_f64_e32 v[8:9], v[124:125], v[242:243]
	s_waitcnt lgkmcnt(0)
	v_mul_f64 v[12:13], v[128:129], v[16:17]
	v_fmac_f64_e32 v[12:13], v[130:131], v[18:19]
	v_mul_f64 v[0:1], v[124:125], v[0:1]
	s_waitcnt vmcnt(38)
	v_pk_mov_b32 v[38:39], v[4:5], v[4:5] op_sel:[0,1]
	v_mul_f64 v[4:5], v[236:237], v[74:75]
	v_fmac_f64_e32 v[4:5], v[238:239], v[84:85]
	v_add_f64 v[2:3], v[2:3], v[4:5]
	v_mul_f64 v[4:5], v[244:245], v[90:91]
	v_fmac_f64_e32 v[4:5], v[246:247], v[92:93]
	v_add_f64 v[2:3], v[2:3], v[4:5]
	;; [unrolled: 3-line block ×5, first 2 shown]
	v_add_f64 v[10:11], v[6:7], v[8:9]
	ds_read_b128 v[6:9], v126 offset:1600
	v_add_f64 v[14:15], v[10:11], v[12:13]
	ds_read_b128 v[10:13], v126 offset:1616
	v_accvgpr_write_b32 a203, v39
	v_accvgpr_write_b32 a202, v38
	s_waitcnt lgkmcnt(1)
	v_mul_f64 v[16:17], v[6:7], v[138:139]
	v_fmac_f64_e32 v[16:17], v[8:9], v[142:143]
	s_waitcnt lgkmcnt(0)
	v_mul_f64 v[20:21], v[10:11], v[22:23]
	v_add_f64 v[18:19], v[14:15], v[16:17]
	ds_read_b128 v[14:17], v126 offset:1632
	v_fmac_f64_e32 v[20:21], v[12:13], v[24:25]
	v_add_f64 v[22:23], v[18:19], v[20:21]
	ds_read_b128 v[18:21], v126 offset:1648
	v_mul_f64 v[4:5], v[104:105], v[56:57]
	s_waitcnt lgkmcnt(1)
	v_mul_f64 v[24:25], v[14:15], v[146:147]
	v_fmac_f64_e32 v[24:25], v[16:17], v[150:151]
	v_add_f64 v[26:27], v[22:23], v[24:25]
	s_waitcnt lgkmcnt(0)
	v_mul_f64 v[28:29], v[18:19], v[240:241]
	ds_read_b128 v[22:25], v126 offset:1664
	v_fmac_f64_e32 v[28:29], v[20:21], v[190:191]
	v_add_f64 v[30:31], v[26:27], v[28:29]
	ds_read_b128 v[26:29], v126 offset:1680
	v_fma_f64 v[4:5], v[102:103], v[50:51], -v[4:5]
	s_waitcnt vmcnt(34) lgkmcnt(1)
	v_mul_f64 v[32:33], v[22:23], v[154:155]
	s_waitcnt vmcnt(32)
	v_fmac_f64_e32 v[32:33], v[24:25], v[158:159]
	v_add_f64 v[34:35], v[30:31], v[32:33]
	s_waitcnt lgkmcnt(0)
	v_mul_f64 v[36:37], v[26:27], v[38:39]
	ds_read_b128 v[30:33], v126 offset:1696
	v_fmac_f64_e32 v[36:37], v[28:29], v[132:133]
	v_add_f64 v[38:39], v[34:35], v[36:37]
	ds_read_b128 v[34:37], v126 offset:1712
	v_mul_f64 v[50:51], v[108:109], v[58:59]
	s_waitcnt vmcnt(26) lgkmcnt(1)
	v_mul_f64 v[40:41], v[30:31], v[162:163]
	s_waitcnt vmcnt(24)
	v_fmac_f64_e32 v[40:41], v[32:33], v[164:165]
	v_add_f64 v[42:43], v[38:39], v[40:41]
	s_waitcnt lgkmcnt(0)
	v_mul_f64 v[44:45], v[34:35], v[134:135]
	v_fmac_f64_e32 v[44:45], v[36:37], v[136:137]
	ds_read_b128 v[38:41], v126 offset:1728
	v_add_f64 v[46:47], v[42:43], v[44:45]
	ds_read_b128 v[42:45], v126 offset:1744
	buffer_load_dword v179, off, s[0:3], 0 offset:844
	buffer_load_dword v181, off, s[0:3], 0 offset:828
	;; [unrolled: 1-line block ×8, first 2 shown]
	v_fma_f64 v[102:103], v[106:107], v[52:53], -v[50:51]
	s_waitcnt vmcnt(26) lgkmcnt(1)
	v_mul_f64 v[48:49], v[38:39], v[166:167]
	s_waitcnt vmcnt(24)
	v_fmac_f64_e32 v[48:49], v[40:41], v[168:169]
	v_add_f64 v[192:193], v[46:47], v[48:49]
	ds_read_b128 v[46:49], v126 offset:1760
	buffer_load_dword v187, off, s[0:3], 0 offset:860
	buffer_load_dword v186, off, s[0:3], 0 offset:856
	;; [unrolled: 1-line block ×4, first 2 shown]
	s_waitcnt lgkmcnt(1)
	v_mul_f64 v[194:195], v[42:43], v[140:141]
	v_fmac_f64_e32 v[194:195], v[44:45], v[144:145]
	v_add_f64 v[2:3], v[192:193], v[194:195]
	buffer_load_dword v193, off, s[0:3], 0 offset:876
	buffer_load_dword v192, off, s[0:3], 0 offset:872
	buffer_load_dword v197, off, s[0:3], 0 offset:868
	buffer_load_dword v196, off, s[0:3], 0 offset:864
	buffer_load_dword v195, off, s[0:3], 0 offset:892
	buffer_load_dword v194, off, s[0:3], 0 offset:888
	buffer_load_dword v199, off, s[0:3], 0 offset:884
	buffer_load_dword v198, off, s[0:3], 0 offset:880
	buffer_load_dword v200, off, s[0:3], 0 offset:904
	buffer_load_dword v202, off, s[0:3], 0 offset:896
	buffer_load_dword v201, off, s[0:3], 0 offset:908
	buffer_load_dword v203, off, s[0:3], 0 offset:900
	v_mul_f64 v[50:51], v[112:113], v[54:55]
	buffer_load_dword v205, off, s[0:3], 0 offset:924
	buffer_load_dword v204, off, s[0:3], 0 offset:920
	;; [unrolled: 1-line block ×4, first 2 shown]
	v_fma_f64 v[104:105], v[110:111], v[82:83], -v[50:51]
	v_mul_f64 v[50:51], v[116:117], v[64:65]
	v_fma_f64 v[106:107], v[114:115], v[80:81], -v[50:51]
	v_mul_f64 v[50:51], v[210:211], v[62:63]
	buffer_load_dword v211, off, s[0:3], 0 offset:940
	buffer_load_dword v210, off, s[0:3], 0 offset:936
	;; [unrolled: 1-line block ×4, first 2 shown]
	v_fma_f64 v[108:109], v[208:209], v[60:61], -v[50:51]
	buffer_load_dword v209, off, s[0:3], 0 offset:972
	buffer_load_dword v215, off, s[0:3], 0 offset:956
	;; [unrolled: 1-line block ×12, first 2 shown]
	ds_read_b128 v[50:53], v126 offset:1776
	v_mul_f64 v[54:55], v[226:227], v[76:77]
	v_fma_f64 v[224:225], v[224:225], v[78:79], -v[54:55]
	ds_read_b128 v[54:57], v126 offset:1792
	s_waitcnt vmcnt(54) lgkmcnt(2)
	v_mul_f64 v[58:59], v[46:47], v[170:171]
	s_waitcnt vmcnt(52)
	v_fmac_f64_e32 v[58:59], v[48:49], v[172:173]
	v_add_f64 v[2:3], v[2:3], v[58:59]
	s_waitcnt lgkmcnt(1)
	v_mul_f64 v[58:59], v[50:51], v[148:149]
	v_fmac_f64_e32 v[58:59], v[52:53], v[152:153]
	v_add_f64 v[2:3], v[2:3], v[58:59]
	s_waitcnt vmcnt(46) lgkmcnt(0)
	v_mul_f64 v[58:59], v[54:55], v[174:175]
	s_waitcnt vmcnt(44)
	v_fmac_f64_e32 v[58:59], v[56:57], v[176:177]
	v_add_f64 v[2:3], v[2:3], v[58:59]
	ds_read_b128 v[58:61], v126 offset:1808
	v_mul_f64 v[62:63], v[230:231], v[66:67]
	v_fma_f64 v[226:227], v[228:229], v[70:71], -v[62:63]
	ds_read_b128 v[62:65], v126 offset:1824
	v_mul_f64 v[66:67], v[234:235], v[68:69]
	v_fma_f64 v[232:233], v[232:233], v[72:73], -v[66:67]
	ds_read_b128 v[66:69], v126 offset:1840
	s_waitcnt lgkmcnt(2)
	v_mul_f64 v[70:71], v[58:59], v[156:157]
	v_fmac_f64_e32 v[70:71], v[60:61], v[160:161]
	v_add_f64 v[2:3], v[2:3], v[70:71]
	v_mul_f64 v[74:75], v[238:239], v[74:75]
	v_fma_f64 v[238:239], v[236:237], v[84:85], -v[74:75]
	ds_read_b128 v[74:77], v126 offset:1872
	v_mul_f64 v[78:79], v[246:247], v[90:91]
	v_fma_f64 v[246:247], v[244:245], v[92:93], -v[78:79]
	v_mul_f64 v[86:87], v[250:251], v[86:87]
	v_fma_f64 v[248:249], v[248:249], v[88:89], -v[86:87]
	v_mul_f64 v[94:95], v[120:121], v[94:95]
	buffer_load_dword v244, off, s[0:3], 0 offset:1000
	v_fma_f64 v[250:251], v[122:123], v[242:243], -v[0:1]
	v_add_f64 v[4:5], v[4:5], 0
	ds_read_b128 v[78:81], v126 offset:1888
	v_add_f64 v[4:5], v[4:5], v[102:103]
	v_add_f64 v[4:5], v[4:5], v[104:105]
	;; [unrolled: 1-line block ×10, first 2 shown]
	ds_read_b128 v[86:89], v126 offset:1920
	v_accvgpr_read_b32 v102, a194
	v_accvgpr_read_b32 v103, a195
	;; [unrolled: 1-line block ×3, first 2 shown]
	v_mul_f64 v[102:103], v[130:131], v[102:103]
	v_accvgpr_read_b32 v105, a197
	v_fma_f64 v[102:103], v[128:129], v[104:105], -v[102:103]
	v_mul_f64 v[8:9], v[8:9], v[138:139]
	s_waitcnt vmcnt(42) lgkmcnt(4)
	v_mul_f64 v[70:71], v[62:63], v[180:181]
	v_fma_f64 v[6:7], v[6:7], v[142:143], -v[8:9]
	s_waitcnt vmcnt(40)
	v_fmac_f64_e32 v[70:71], v[64:65], v[184:185]
	v_add_f64 v[2:3], v[2:3], v[70:71]
	s_waitcnt vmcnt(39) lgkmcnt(3)
	v_mul_f64 v[70:71], v[66:67], v[178:179]
	s_waitcnt vmcnt(37)
	v_fmac_f64_e32 v[70:71], v[68:69], v[182:183]
	v_add_f64 v[2:3], v[2:3], v[70:71]
	ds_read_b128 v[70:73], v126 offset:1856
	v_accvgpr_read_b32 v8, a200
	v_accvgpr_read_b32 v9, a201
	s_waitcnt vmcnt(35) lgkmcnt(0)
	v_mul_f64 v[82:83], v[70:71], v[186:187]
	s_waitcnt vmcnt(33)
	v_fmac_f64_e32 v[82:83], v[72:73], v[188:189]
	v_add_f64 v[2:3], v[2:3], v[82:83]
	s_waitcnt vmcnt(31)
	v_mul_f64 v[82:83], v[74:75], v[192:193]
	s_waitcnt vmcnt(29)
	v_fmac_f64_e32 v[82:83], v[76:77], v[196:197]
	v_add_f64 v[2:3], v[2:3], v[82:83]
	s_waitcnt vmcnt(27)
	v_mul_f64 v[82:83], v[78:79], v[194:195]
	s_waitcnt vmcnt(25)
	v_fmac_f64_e32 v[82:83], v[80:81], v[198:199]
	v_add_f64 v[2:3], v[2:3], v[82:83]
	ds_read_b128 v[82:85], v126 offset:1904
	s_waitcnt vmcnt(22) lgkmcnt(0)
	v_mul_f64 v[90:91], v[82:83], v[200:201]
	s_waitcnt vmcnt(21)
	v_fmac_f64_e32 v[90:91], v[84:85], v[202:203]
	v_add_f64 v[2:3], v[2:3], v[90:91]
	v_mul_f64 v[90:91], v[254:255], v[98:99]
	v_fma_f64 v[252:253], v[252:253], v[100:101], -v[90:91]
	ds_read_b128 v[90:93], v126 offset:1936
	s_waitcnt vmcnt(19)
	v_mul_f64 v[98:99], v[86:87], v[204:205]
	s_waitcnt vmcnt(17)
	v_fmac_f64_e32 v[98:99], v[88:89], v[206:207]
	v_add_f64 v[2:3], v[2:3], v[98:99]
	v_fma_f64 v[254:255], v[118:119], v[96:97], -v[94:95]
	ds_read_b128 v[94:97], v126 offset:1952
	s_waitcnt vmcnt(15) lgkmcnt(1)
	v_mul_f64 v[98:99], v[90:91], v[210:211]
	s_waitcnt vmcnt(13)
	v_fmac_f64_e32 v[98:99], v[92:93], v[212:213]
	v_add_f64 v[110:111], v[2:3], v[98:99]
	ds_read_b128 v[98:101], v126 offset:1968
	ds_read_b128 v[0:3], v126 offset:1984
	buffer_load_dword v122, off, s[0:3], 0 offset:992
	buffer_load_dword v245, off, s[0:3], 0 offset:1004
	;; [unrolled: 1-line block ×3, first 2 shown]
	ds_read_b128 v[118:121], v126 offset:2000
	buffer_load_dword v229, off, s[0:3], 0 offset:1020
	buffer_load_dword v228, off, s[0:3], 0 offset:1016
	;; [unrolled: 1-line block ×4, first 2 shown]
	s_waitcnt vmcnt(17) lgkmcnt(3)
	v_mul_f64 v[112:113], v[94:95], v[214:215]
	s_waitcnt vmcnt(15)
	v_fmac_f64_e32 v[112:113], v[96:97], v[220:221]
	v_add_f64 v[110:111], v[110:111], v[112:113]
	s_waitcnt vmcnt(14) lgkmcnt(2)
	v_mul_f64 v[112:113], v[98:99], v[208:209]
	s_waitcnt vmcnt(12)
	v_fmac_f64_e32 v[112:113], v[100:101], v[218:219]
	v_add_f64 v[110:111], v[110:111], v[112:113]
	;; [unrolled: 5-line block ×3, first 2 shown]
	v_add_f64 v[4:5], v[4:5], v[252:253]
	v_add_f64 v[252:253], v[4:5], v[254:255]
	v_add_f64 v[4:5], v[252:253], v[250:251]
	v_add_f64 v[4:5], v[4:5], v[102:103]
	v_add_f64 v[4:5], v[4:5], v[6:7]
	v_accvgpr_read_b32 v6, a198
	v_accvgpr_read_b32 v7, a199
	v_mul_f64 v[6:7], v[12:13], v[6:7]
	v_fma_f64 v[6:7], v[10:11], v[8:9], -v[6:7]
	v_add_f64 v[4:5], v[4:5], v[6:7]
	v_mul_f64 v[6:7], v[16:17], v[146:147]
	v_fma_f64 v[6:7], v[14:15], v[150:151], -v[6:7]
	v_add_f64 v[4:5], v[4:5], v[6:7]
	;; [unrolled: 3-line block ×4, first 2 shown]
	v_accvgpr_read_b32 v6, a202
	v_accvgpr_read_b32 v7, a203
	v_mul_f64 v[6:7], v[28:29], v[6:7]
	v_fma_f64 v[6:7], v[26:27], v[132:133], -v[6:7]
	v_add_f64 v[4:5], v[4:5], v[6:7]
	v_mul_f64 v[6:7], v[32:33], v[162:163]
	v_fma_f64 v[6:7], v[30:31], v[164:165], -v[6:7]
	v_add_f64 v[4:5], v[4:5], v[6:7]
	;; [unrolled: 3-line block ×15, first 2 shown]
	v_mul_f64 v[6:7], v[88:89], v[204:205]
	s_waitcnt vmcnt(5) lgkmcnt(0)
	v_mul_f64 v[112:113], v[118:119], v[244:245]
	s_waitcnt vmcnt(4)
	v_fmac_f64_e32 v[112:113], v[120:121], v[122:123]
	v_add_f64 v[114:115], v[110:111], v[112:113]
	ds_read_b128 v[110:113], v126 offset:2016
	buffer_load_dword v234, off, s[0:3], 0 offset:1032
	buffer_load_dword v235, off, s[0:3], 0 offset:1036
	;; [unrolled: 1-line block ×4, first 2 shown]
	v_fma_f64 v[6:7], v[86:87], v[206:207], -v[6:7]
	v_add_f64 v[4:5], v[4:5], v[6:7]
	v_mul_f64 v[6:7], v[92:93], v[210:211]
	s_waitcnt vmcnt(6) lgkmcnt(0)
	v_mul_f64 v[116:117], v[110:111], v[228:229]
	s_waitcnt vmcnt(4)
	v_fmac_f64_e32 v[116:117], v[112:113], v[230:231]
	v_add_f64 v[124:125], v[114:115], v[116:117]
	ds_read_b128 v[114:117], v126 offset:2032
	buffer_load_dword v248, off, s[0:3], 0 offset:336
	buffer_load_dword v249, off, s[0:3], 0 offset:340
	;; [unrolled: 1-line block ×4, first 2 shown]
	v_fma_f64 v[6:7], v[90:91], v[212:213], -v[6:7]
	v_add_f64 v[4:5], v[4:5], v[6:7]
	v_mul_f64 v[6:7], v[96:97], v[214:215]
	v_fma_f64 v[6:7], v[94:95], v[220:221], -v[6:7]
	v_add_f64 v[4:5], v[4:5], v[6:7]
	v_mul_f64 v[6:7], v[100:101], v[208:209]
	v_fma_f64 v[6:7], v[98:99], v[218:219], -v[6:7]
	v_mul_f64 v[2:3], v[2:3], v[216:217]
	v_add_f64 v[4:5], v[4:5], v[6:7]
	v_fma_f64 v[0:1], v[0:1], v[222:223], -v[2:3]
	v_mul_f64 v[2:3], v[120:121], v[244:245]
	v_add_f64 v[0:1], v[4:5], v[0:1]
	v_fma_f64 v[2:3], v[118:119], v[122:123], -v[2:3]
	v_add_f64 v[0:1], v[0:1], v[2:3]
	v_mul_f64 v[2:3], v[112:113], v[228:229]
	v_fma_f64 v[2:3], v[110:111], v[230:231], -v[2:3]
	v_add_f64 v[0:1], v[0:1], v[2:3]
	s_waitcnt vmcnt(6) lgkmcnt(0)
	v_mul_f64 v[2:3], v[116:117], v[234:235]
	v_mul_f64 v[242:243], v[114:115], v[234:235]
	s_waitcnt vmcnt(4)
	v_fma_f64 v[2:3], v[114:115], v[236:237], -v[2:3]
	v_fmac_f64_e32 v[242:243], v[116:117], v[236:237]
	v_add_f64 v[0:1], v[0:1], v[2:3]
	v_add_f64 v[124:125], v[124:125], v[242:243]
	s_waitcnt vmcnt(2)
	v_add_f64 v[0:1], v[248:249], -v[0:1]
	s_waitcnt vmcnt(0)
	v_add_f64 v[2:3], v[246:247], -v[124:125]
	buffer_store_dword v1, off, s[0:3], 0 offset:340
	buffer_store_dword v0, off, s[0:3], 0 offset:336
	;; [unrolled: 1-line block ×4, first 2 shown]
	v_accvgpr_read_b32 v0, a191
	v_cmp_lt_u32_e32 vcc, 19, v0
	s_and_saveexec_b64 s[4:5], vcc
	s_cbranch_execz .LBB127_371
; %bb.370:
	v_accvgpr_read_b32 v3, a172
	buffer_load_dword v0, v3, s[0:3], 0 offen
	buffer_load_dword v1, v3, s[0:3], 0 offen offset:4
	buffer_load_dword v2, v3, s[0:3], 0 offen offset:8
	s_nop 0
	buffer_load_dword v3, v3, s[0:3], 0 offen offset:12
	v_accvgpr_read_b32 v4, a192
	buffer_store_dword v126, off, s[0:3], 0 offset:320
	buffer_store_dword v126, off, s[0:3], 0 offset:324
	buffer_store_dword v126, off, s[0:3], 0 offset:328
	buffer_store_dword v126, off, s[0:3], 0 offset:332
	s_waitcnt vmcnt(4)
	ds_write_b128 v4, v[0:3]
.LBB127_371:
	s_or_b64 exec, exec, s[4:5]
	s_waitcnt lgkmcnt(0)
	; wave barrier
	s_waitcnt lgkmcnt(0)
	buffer_load_dword v184, off, s[0:3], 0 offset:336
	buffer_load_dword v185, off, s[0:3], 0 offset:340
	;; [unrolled: 1-line block ×36, first 2 shown]
	ds_read_b128 v[82:85], v126 offset:1344
	ds_read_b128 v[78:81], v126 offset:1360
	;; [unrolled: 1-line block ×9, first 2 shown]
	buffer_load_dword v227, off, s[0:3], 0 offset:508
	buffer_load_dword v226, off, s[0:3], 0 offset:504
	;; [unrolled: 1-line block ×19, first 2 shown]
	s_waitcnt vmcnt(51) lgkmcnt(8)
	v_mul_f64 v[2:3], v[82:83], v[194:195]
	v_fmac_f64_e32 v[2:3], v[84:85], v[184:185]
	v_add_f64 v[2:3], v[2:3], 0
	s_waitcnt vmcnt(47) lgkmcnt(7)
	v_mul_f64 v[4:5], v[78:79], v[196:197]
	v_fmac_f64_e32 v[4:5], v[80:81], v[86:87]
	v_add_f64 v[2:3], v[2:3], v[4:5]
	buffer_load_dword v236, off, s[0:3], 0 offset:560
	buffer_load_dword v113, off, s[0:3], 0 offset:556
	;; [unrolled: 1-line block ×7, first 2 shown]
	s_waitcnt vmcnt(52) lgkmcnt(6)
	v_mul_f64 v[6:7], v[74:75], v[88:89]
	s_waitcnt vmcnt(50) lgkmcnt(4)
	v_mul_f64 v[10:11], v[62:63], v[212:213]
	s_waitcnt vmcnt(48)
	v_fmac_f64_e32 v[10:11], v[64:65], v[214:215]
	v_mul_f64 v[80:81], v[80:81], v[196:197]
	s_waitcnt vmcnt(46)
	v_mul_f64 v[8:9], v[70:71], v[202:203]
	v_mul_f64 v[64:65], v[64:65], v[212:213]
	s_waitcnt vmcnt(44) lgkmcnt(2)
	v_mul_f64 v[14:15], v[54:55], v[104:105]
	s_waitcnt vmcnt(42)
	v_fmac_f64_e32 v[14:15], v[56:57], v[108:109]
	v_mul_f64 v[56:57], v[56:57], v[104:105]
	s_waitcnt vmcnt(40)
	v_mul_f64 v[12:13], v[50:51], v[216:217]
	s_waitcnt vmcnt(38) lgkmcnt(1)
	v_mul_f64 v[16:17], v[58:59], v[106:107]
	s_waitcnt vmcnt(36)
	v_fmac_f64_e32 v[6:7], v[76:77], v[200:201]
	v_add_f64 v[2:3], v[2:3], v[6:7]
	s_waitcnt vmcnt(34)
	v_fmac_f64_e32 v[8:9], v[72:73], v[116:117]
	v_add_f64 v[2:3], v[2:3], v[8:9]
	s_waitcnt vmcnt(32)
	v_fmac_f64_e32 v[12:13], v[52:53], v[218:219]
	v_add_f64 v[2:3], v[2:3], v[10:11]
	v_add_f64 v[2:3], v[2:3], v[12:13]
	v_add_f64 v[2:3], v[2:3], v[14:15]
	s_waitcnt vmcnt(30)
	v_fmac_f64_e32 v[16:17], v[60:61], v[110:111]
	v_add_f64 v[2:3], v[2:3], v[16:17]
	v_mul_f64 v[76:77], v[76:77], v[88:89]
	v_mul_f64 v[72:73], v[72:73], v[202:203]
	;; [unrolled: 1-line block ×3, first 2 shown]
	v_fma_f64 v[116:117], v[70:71], v[116:117], -v[72:73]
	s_waitcnt vmcnt(0)
	v_pk_mov_b32 v[18:19], v[4:5], v[4:5] op_sel:[0,1]
	buffer_load_dword v5, off, s[0:3], 0 offset:596
	buffer_load_dword v4, off, s[0:3], 0 offset:592
	v_accvgpr_write_b32 a197, v19
	v_accvgpr_write_b32 a196, v18
	s_waitcnt vmcnt(0)
	v_pk_mov_b32 v[20:21], v[4:5], v[4:5] op_sel:[0,1]
	buffer_load_dword v5, off, s[0:3], 0 offset:588
	buffer_load_dword v4, off, s[0:3], 0 offset:584
	v_accvgpr_write_b32 a199, v21
	v_accvgpr_write_b32 a198, v20
	s_waitcnt vmcnt(0)
	v_pk_mov_b32 v[14:15], v[4:5], v[4:5] op_sel:[0,1]
	buffer_load_dword v139, off, s[0:3], 0 offset:580
	buffer_load_dword v138, off, s[0:3], 0 offset:576
	;; [unrolled: 1-line block ×4, first 2 shown]
	v_accvgpr_write_b32 a195, v15
	v_accvgpr_write_b32 a194, v14
	s_waitcnt vmcnt(0)
	v_pk_mov_b32 v[26:27], v[4:5], v[4:5] op_sel:[0,1]
	buffer_load_dword v5, off, s[0:3], 0 offset:628
	buffer_load_dword v4, off, s[0:3], 0 offset:624
	v_accvgpr_write_b32 a201, v27
	v_accvgpr_write_b32 a200, v26
	s_waitcnt vmcnt(0)
	v_pk_mov_b32 v[28:29], v[4:5], v[4:5] op_sel:[0,1]
	buffer_load_dword v143, off, s[0:3], 0 offset:620
	buffer_load_dword v142, off, s[0:3], 0 offset:616
	;; [unrolled: 1-line block ×6, first 2 shown]
	v_accvgpr_write_b32 a203, v29
	v_accvgpr_write_b32 a202, v28
	s_waitcnt vmcnt(0)
	v_pk_mov_b32 v[34:35], v[4:5], v[4:5] op_sel:[0,1]
	buffer_load_dword v5, off, s[0:3], 0 offset:660
	buffer_load_dword v4, off, s[0:3], 0 offset:656
	v_accvgpr_write_b32 a205, v35
	v_accvgpr_write_b32 a204, v34
	s_waitcnt vmcnt(0)
	v_pk_mov_b32 v[36:37], v[4:5], v[4:5] op_sel:[0,1]
	buffer_load_dword v151, off, s[0:3], 0 offset:652
	buffer_load_dword v150, off, s[0:3], 0 offset:648
	;; [unrolled: 1-line block ×36, first 2 shown]
	ds_read_b128 v[244:247], v126 offset:1488
	ds_read_b128 v[248:251], v126 offset:1504
	;; [unrolled: 1-line block ×10, first 2 shown]
	s_waitcnt lgkmcnt(4)
	v_mul_f64 v[8:9], v[98:99], v[234:235]
	v_fmac_f64_e32 v[8:9], v[100:101], v[236:237]
	s_waitcnt lgkmcnt(3)
	v_mul_f64 v[12:13], v[132:133], v[14:15]
	v_fmac_f64_e32 v[12:13], v[134:135], v[138:139]
	;; [unrolled: 3-line block ×5, first 2 shown]
	v_accvgpr_write_b32 a207, v37
	v_accvgpr_write_b32 a206, v36
	v_mul_f64 v[70:71], v[246:247], v[230:231]
	v_mul_f64 v[100:101], v[100:101], v[234:235]
	s_waitcnt vmcnt(30)
	v_pk_mov_b32 v[42:43], v[4:5], v[4:5] op_sel:[0,1]
	v_mul_f64 v[4:5], v[66:67], v[102:103]
	v_fmac_f64_e32 v[4:5], v[68:69], v[224:225]
	v_add_f64 v[2:3], v[2:3], v[4:5]
	v_mul_f64 v[4:5], v[244:245], v[230:231]
	v_fmac_f64_e32 v[4:5], v[246:247], v[232:233]
	v_add_f64 v[2:3], v[2:3], v[4:5]
	;; [unrolled: 3-line block ×6, first 2 shown]
	v_add_f64 v[10:11], v[6:7], v[8:9]
	v_add_f64 v[14:15], v[10:11], v[12:13]
	;; [unrolled: 1-line block ×4, first 2 shown]
	ds_read_b128 v[18:21], v126 offset:1648
	v_add_f64 v[26:27], v[22:23], v[24:25]
	ds_read_b128 v[22:25], v126 offset:1664
	v_accvgpr_write_b32 a209, v43
	v_accvgpr_write_b32 a208, v42
	s_waitcnt lgkmcnt(1)
	v_mul_f64 v[28:29], v[18:19], v[150:151]
	v_fmac_f64_e32 v[28:29], v[20:21], v[154:155]
	v_add_f64 v[30:31], v[26:27], v[28:29]
	ds_read_b128 v[26:29], v126 offset:1680
	s_waitcnt lgkmcnt(1)
	v_mul_f64 v[32:33], v[22:23], v[34:35]
	v_fmac_f64_e32 v[32:33], v[24:25], v[36:37]
	v_add_f64 v[34:35], v[30:31], v[32:33]
	ds_read_b128 v[30:33], v126 offset:1696
	s_waitcnt vmcnt(26) lgkmcnt(1)
	v_mul_f64 v[36:37], v[26:27], v[158:159]
	s_waitcnt vmcnt(24)
	v_fmac_f64_e32 v[36:37], v[28:29], v[160:161]
	v_add_f64 v[38:39], v[34:35], v[36:37]
	ds_read_b128 v[34:37], v126 offset:1712
	s_waitcnt lgkmcnt(1)
	v_mul_f64 v[40:41], v[30:31], v[42:43]
	v_fmac_f64_e32 v[40:41], v[32:33], v[242:243]
	v_add_f64 v[42:43], v[38:39], v[40:41]
	ds_read_b128 v[38:41], v126 offset:1728
	s_waitcnt vmcnt(18) lgkmcnt(1)
	v_mul_f64 v[44:45], v[34:35], v[162:163]
	s_waitcnt vmcnt(16)
	v_fmac_f64_e32 v[44:45], v[36:37], v[164:165]
	v_add_f64 v[46:47], v[42:43], v[44:45]
	ds_read_b128 v[42:45], v126 offset:1744
	buffer_load_dword v175, off, s[0:3], 0 offset:812
	buffer_load_dword v174, off, s[0:3], 0 offset:808
	buffer_load_dword v177, off, s[0:3], 0 offset:804
	buffer_load_dword v176, off, s[0:3], 0 offset:800
	s_waitcnt lgkmcnt(1)
	v_mul_f64 v[48:49], v[38:39], v[136:137]
	v_fmac_f64_e32 v[48:49], v[40:41], v[140:141]
	v_add_f64 v[178:179], v[46:47], v[48:49]
	ds_read_b128 v[46:49], v126 offset:1760
	buffer_load_dword v181, off, s[0:3], 0 offset:828
	buffer_load_dword v180, off, s[0:3], 0 offset:824
	;; [unrolled: 1-line block ×4, first 2 shown]
	s_waitcnt vmcnt(18) lgkmcnt(1)
	v_mul_f64 v[186:187], v[42:43], v[166:167]
	s_waitcnt vmcnt(16)
	v_fmac_f64_e32 v[186:187], v[44:45], v[168:169]
	v_add_f64 v[2:3], v[178:179], v[186:187]
	buffer_load_dword v179, off, s[0:3], 0 offset:860
	buffer_load_dword v187, off, s[0:3], 0 offset:844
	;; [unrolled: 1-line block ×8, first 2 shown]
	v_mul_f64 v[4:5], v[84:85], v[194:195]
	v_fma_f64 v[14:15], v[82:83], v[184:185], -v[4:5]
	buffer_load_dword v184, off, s[0:3], 0 offset:888
	buffer_load_dword v195, off, s[0:3], 0 offset:876
	;; [unrolled: 1-line block ×8, first 2 shown]
	v_fma_f64 v[84:85], v[74:75], v[200:201], -v[76:77]
	buffer_load_dword v201, off, s[0:3], 0 offset:924
	buffer_load_dword v203, off, s[0:3], 0 offset:908
	;; [unrolled: 1-line block ×12, first 2 shown]
	v_mul_f64 v[8:9], v[52:53], v[216:217]
	v_fma_f64 v[10:11], v[62:63], v[214:215], -v[64:65]
	v_fma_f64 v[8:9], v[50:51], v[218:219], -v[8:9]
	buffer_load_dword v215, off, s[0:3], 0 offset:956
	buffer_load_dword v214, off, s[0:3], 0 offset:952
	;; [unrolled: 1-line block ×12, first 2 shown]
	s_waitcnt lgkmcnt(0)
	v_mul_f64 v[50:51], v[46:47], v[144:145]
	v_fmac_f64_e32 v[50:51], v[48:49], v[148:149]
	v_add_f64 v[2:3], v[2:3], v[50:51]
	ds_read_b128 v[50:53], v126 offset:1776
	v_fma_f64 v[6:7], v[54:55], v[108:109], -v[56:57]
	ds_read_b128 v[54:57], v126 offset:1792
	v_fma_f64 v[4:5], v[58:59], v[110:111], -v[60:61]
	ds_read_b128 v[58:61], v126 offset:1808
	ds_read_b128 v[62:65], v126 offset:1824
	s_waitcnt vmcnt(50) lgkmcnt(3)
	v_mul_f64 v[12:13], v[50:51], v[170:171]
	s_waitcnt vmcnt(48)
	v_fmac_f64_e32 v[12:13], v[52:53], v[172:173]
	v_add_f64 v[2:3], v[2:3], v[12:13]
	s_waitcnt lgkmcnt(2)
	v_mul_f64 v[12:13], v[54:55], v[152:153]
	v_fmac_f64_e32 v[12:13], v[56:57], v[156:157]
	v_add_f64 v[2:3], v[2:3], v[12:13]
	v_fma_f64 v[244:245], v[244:245], v[232:233], -v[70:71]
	ds_read_b128 v[74:77], v126 offset:1872
	v_fma_f64 v[82:83], v[78:79], v[86:87], -v[80:81]
	ds_read_b128 v[78:81], v126 offset:1888
	v_mul_f64 v[0:1], v[254:255], v[0:1]
	v_fma_f64 v[246:247], v[252:253], v[240:241], -v[0:1]
	v_mul_f64 v[92:93], v[92:93], v[190:191]
	v_fma_f64 v[190:191], v[90:91], v[238:239], -v[92:93]
	ds_read_b128 v[90:93], v126 offset:1936
	ds_read_b128 v[238:241], v126 offset:1952
	v_mul_f64 v[96:97], v[96:97], v[112:113]
	v_fma_f64 v[252:253], v[98:99], v[236:237], -v[100:101]
	v_add_f64 v[14:15], v[14:15], 0
	v_add_f64 v[14:15], v[14:15], v[82:83]
	;; [unrolled: 1-line block ×8, first 2 shown]
	v_accvgpr_read_b32 v6, a194
	v_accvgpr_read_b32 v7, a195
	v_mul_f64 v[6:7], v[134:135], v[6:7]
	v_fma_f64 v[6:7], v[132:133], v[138:139], -v[6:7]
	v_accvgpr_read_b32 v8, a198
	ds_read_b128 v[70:73], v126 offset:1856
	v_accvgpr_read_b32 v9, a199
	s_waitcnt vmcnt(46) lgkmcnt(6)
	v_mul_f64 v[12:13], v[58:59], v[174:175]
	s_waitcnt vmcnt(44)
	v_fmac_f64_e32 v[12:13], v[60:61], v[176:177]
	v_add_f64 v[2:3], v[2:3], v[12:13]
	v_mul_f64 v[12:13], v[68:69], v[102:103]
	v_fma_f64 v[12:13], v[66:67], v[224:225], -v[12:13]
	ds_read_b128 v[66:69], v126 offset:1840
	s_waitcnt vmcnt(42) lgkmcnt(6)
	v_mul_f64 v[16:17], v[62:63], v[180:181]
	s_waitcnt vmcnt(40)
	v_fmac_f64_e32 v[16:17], v[64:65], v[182:183]
	v_add_f64 v[2:3], v[2:3], v[16:17]
	v_add_f64 v[4:5], v[4:5], v[12:13]
	s_waitcnt vmcnt(37) lgkmcnt(0)
	v_mul_f64 v[16:17], v[66:67], v[186:187]
	s_waitcnt vmcnt(35)
	v_fmac_f64_e32 v[16:17], v[68:69], v[192:193]
	v_add_f64 v[2:3], v[2:3], v[16:17]
	s_waitcnt vmcnt(34)
	v_mul_f64 v[16:17], v[70:71], v[178:179]
	s_waitcnt vmcnt(32)
	v_fmac_f64_e32 v[16:17], v[72:73], v[188:189]
	s_waitcnt vmcnt(29)
	v_mul_f64 v[86:87], v[74:75], v[194:195]
	v_add_f64 v[2:3], v[2:3], v[16:17]
	s_waitcnt vmcnt(27)
	v_fmac_f64_e32 v[86:87], v[76:77], v[198:199]
	v_add_f64 v[86:87], v[2:3], v[86:87]
	ds_read_b128 v[0:3], v126 offset:1904
	s_waitcnt vmcnt(25)
	v_mul_f64 v[88:89], v[78:79], v[184:185]
	s_waitcnt vmcnt(24)
	v_fmac_f64_e32 v[88:89], v[80:81], v[196:197]
	v_add_f64 v[102:103], v[86:87], v[88:89]
	ds_read_b128 v[86:89], v126 offset:1920
	s_waitcnt vmcnt(21) lgkmcnt(1)
	v_mul_f64 v[104:105], v[0:1], v[202:203]
	s_waitcnt vmcnt(19)
	v_fmac_f64_e32 v[104:105], v[2:3], v[208:209]
	v_add_f64 v[102:103], v[102:103], v[104:105]
	v_mul_f64 v[16:17], v[250:251], v[226:227]
	s_waitcnt vmcnt(18) lgkmcnt(0)
	v_mul_f64 v[104:105], v[86:87], v[200:201]
	s_waitcnt vmcnt(16)
	v_fmac_f64_e32 v[104:105], v[88:89], v[206:207]
	v_add_f64 v[102:103], v[102:103], v[104:105]
	s_waitcnt vmcnt(14)
	v_mul_f64 v[104:105], v[90:91], v[204:205]
	s_waitcnt vmcnt(12)
	v_fmac_f64_e32 v[104:105], v[92:93], v[210:211]
	v_fma_f64 v[250:251], v[94:95], v[114:115], -v[96:97]
	v_add_f64 v[106:107], v[102:103], v[104:105]
	ds_read_b128 v[94:97], v126 offset:1968
	ds_read_b128 v[102:105], v126 offset:1984
	s_waitcnt vmcnt(10)
	v_mul_f64 v[98:99], v[238:239], v[214:215]
	buffer_load_dword v225, off, s[0:3], 0 offset:1004
	buffer_load_dword v224, off, s[0:3], 0 offset:1000
	;; [unrolled: 1-line block ×4, first 2 shown]
	s_waitcnt vmcnt(12)
	v_fmac_f64_e32 v[98:99], v[240:241], v[216:217]
	v_fma_f64 v[16:17], v[248:249], v[228:229], -v[16:17]
	v_add_f64 v[98:99], v[106:107], v[98:99]
	ds_read_b128 v[106:109], v126 offset:2000
	buffer_load_dword v228, off, s[0:3], 0 offset:1016
	buffer_load_dword v229, off, s[0:3], 0 offset:1020
	;; [unrolled: 1-line block ×4, first 2 shown]
	s_waitcnt vmcnt(13) lgkmcnt(2)
	v_mul_f64 v[100:101], v[94:95], v[220:221]
	s_waitcnt vmcnt(11)
	v_fmac_f64_e32 v[100:101], v[96:97], v[222:223]
	ds_read_b128 v[110:113], v126 offset:2016
	v_add_f64 v[98:99], v[98:99], v[100:101]
	s_waitcnt vmcnt(9) lgkmcnt(2)
	v_mul_f64 v[100:101], v[102:103], v[212:213]
	s_waitcnt vmcnt(8)
	v_fmac_f64_e32 v[100:101], v[104:105], v[218:219]
	v_add_f64 v[98:99], v[98:99], v[100:101]
	buffer_load_dword v235, off, s[0:3], 0 offset:1036
	buffer_load_dword v234, off, s[0:3], 0 offset:1032
	;; [unrolled: 1-line block ×4, first 2 shown]
	v_add_f64 v[4:5], v[4:5], v[244:245]
	v_add_f64 v[4:5], v[4:5], v[16:17]
	;; [unrolled: 1-line block ×7, first 2 shown]
	v_accvgpr_read_b32 v6, a196
	v_accvgpr_read_b32 v7, a197
	v_mul_f64 v[6:7], v[130:131], v[6:7]
	v_fma_f64 v[6:7], v[128:129], v[8:9], -v[6:7]
	v_add_f64 v[4:5], v[4:5], v[6:7]
	v_mul_f64 v[6:7], v[124:125], v[142:143]
	v_fma_f64 v[6:7], v[122:123], v[146:147], -v[6:7]
	v_add_f64 v[4:5], v[4:5], v[6:7]
	v_accvgpr_read_b32 v6, a200
	v_accvgpr_read_b32 v7, a201
	v_accvgpr_read_b32 v8, a202
	v_mul_f64 v[6:7], v[120:121], v[6:7]
	v_accvgpr_read_b32 v9, a203
	v_fma_f64 v[6:7], v[118:119], v[8:9], -v[6:7]
	v_add_f64 v[4:5], v[4:5], v[6:7]
	v_mul_f64 v[6:7], v[20:21], v[150:151]
	v_fma_f64 v[6:7], v[18:19], v[154:155], -v[6:7]
	v_add_f64 v[4:5], v[4:5], v[6:7]
	v_accvgpr_read_b32 v6, a204
	v_accvgpr_read_b32 v7, a205
	;; [unrolled: 1-line block ×3, first 2 shown]
	v_mul_f64 v[6:7], v[24:25], v[6:7]
	v_accvgpr_read_b32 v9, a207
	v_fma_f64 v[6:7], v[22:23], v[8:9], -v[6:7]
	v_add_f64 v[4:5], v[4:5], v[6:7]
	v_mul_f64 v[6:7], v[28:29], v[158:159]
	v_fma_f64 v[6:7], v[26:27], v[160:161], -v[6:7]
	v_add_f64 v[4:5], v[4:5], v[6:7]
	v_accvgpr_read_b32 v6, a208
	v_accvgpr_read_b32 v7, a209
	v_mul_f64 v[6:7], v[32:33], v[6:7]
	v_fma_f64 v[6:7], v[30:31], v[242:243], -v[6:7]
	v_add_f64 v[4:5], v[4:5], v[6:7]
	v_mul_f64 v[6:7], v[36:37], v[162:163]
	v_fma_f64 v[6:7], v[34:35], v[164:165], -v[6:7]
	v_add_f64 v[4:5], v[4:5], v[6:7]
	;; [unrolled: 3-line block ×9, first 2 shown]
	s_waitcnt vmcnt(10) lgkmcnt(1)
	v_mul_f64 v[100:101], v[106:107], v[224:225]
	v_mul_f64 v[6:7], v[68:69], v[186:187]
	s_waitcnt vmcnt(8)
	v_fmac_f64_e32 v[100:101], v[108:109], v[226:227]
	v_add_f64 v[98:99], v[98:99], v[100:101]
	v_fma_f64 v[6:7], v[66:67], v[192:193], -v[6:7]
	s_waitcnt vmcnt(6) lgkmcnt(0)
	v_mul_f64 v[100:101], v[110:111], v[228:229]
	v_add_f64 v[4:5], v[4:5], v[6:7]
	s_waitcnt vmcnt(4)
	v_fmac_f64_e32 v[100:101], v[112:113], v[230:231]
	v_add_f64 v[114:115], v[98:99], v[100:101]
	ds_read_b128 v[98:101], v126 offset:2032
	buffer_load_dword v248, off, s[0:3], 0 offset:320
	buffer_load_dword v249, off, s[0:3], 0 offset:324
	;; [unrolled: 1-line block ×4, first 2 shown]
	v_mul_f64 v[6:7], v[72:73], v[178:179]
	v_fma_f64 v[6:7], v[70:71], v[188:189], -v[6:7]
	v_add_f64 v[4:5], v[4:5], v[6:7]
	v_mul_f64 v[6:7], v[76:77], v[194:195]
	v_fma_f64 v[6:7], v[74:75], v[198:199], -v[6:7]
	v_add_f64 v[4:5], v[4:5], v[6:7]
	v_mul_f64 v[6:7], v[80:81], v[184:185]
	v_fma_f64 v[6:7], v[78:79], v[196:197], -v[6:7]
	v_mul_f64 v[2:3], v[2:3], v[202:203]
	v_add_f64 v[4:5], v[4:5], v[6:7]
	v_fma_f64 v[0:1], v[0:1], v[208:209], -v[2:3]
	v_mul_f64 v[2:3], v[88:89], v[200:201]
	v_add_f64 v[0:1], v[4:5], v[0:1]
	v_fma_f64 v[2:3], v[86:87], v[206:207], -v[2:3]
	v_add_f64 v[0:1], v[0:1], v[2:3]
	v_mul_f64 v[2:3], v[92:93], v[204:205]
	v_fma_f64 v[2:3], v[90:91], v[210:211], -v[2:3]
	v_add_f64 v[0:1], v[0:1], v[2:3]
	v_mul_f64 v[2:3], v[240:241], v[214:215]
	;; [unrolled: 3-line block ×6, first 2 shown]
	v_fma_f64 v[2:3], v[110:111], v[230:231], -v[2:3]
	v_add_f64 v[0:1], v[0:1], v[2:3]
	s_waitcnt vmcnt(6) lgkmcnt(0)
	v_mul_f64 v[2:3], v[100:101], v[234:235]
	v_mul_f64 v[126:127], v[98:99], v[234:235]
	s_waitcnt vmcnt(4)
	v_fma_f64 v[2:3], v[98:99], v[236:237], -v[2:3]
	v_fmac_f64_e32 v[126:127], v[100:101], v[236:237]
	v_add_f64 v[0:1], v[0:1], v[2:3]
	v_add_f64 v[232:233], v[114:115], v[126:127]
	s_waitcnt vmcnt(2)
	v_add_f64 v[0:1], v[248:249], -v[0:1]
	s_waitcnt vmcnt(0)
	v_add_f64 v[2:3], v[246:247], -v[232:233]
	buffer_store_dword v1, off, s[0:3], 0 offset:324
	buffer_store_dword v0, off, s[0:3], 0 offset:320
	;; [unrolled: 1-line block ×4, first 2 shown]
	v_accvgpr_read_b32 v0, a191
	v_cmp_lt_u32_e32 vcc, 18, v0
	s_and_saveexec_b64 s[4:5], vcc
	s_cbranch_execz .LBB127_373
; %bb.372:
	v_accvgpr_read_b32 v3, a173
	buffer_load_dword v0, v3, s[0:3], 0 offen
	buffer_load_dword v1, v3, s[0:3], 0 offen offset:4
	buffer_load_dword v2, v3, s[0:3], 0 offen offset:8
	s_nop 0
	buffer_load_dword v3, v3, s[0:3], 0 offen offset:12
	v_mov_b32_e32 v4, 0
	v_accvgpr_read_b32 v5, a192
	buffer_store_dword v4, off, s[0:3], 0 offset:304
	buffer_store_dword v4, off, s[0:3], 0 offset:308
	;; [unrolled: 1-line block ×4, first 2 shown]
	s_waitcnt vmcnt(4)
	ds_write_b128 v5, v[0:3]
.LBB127_373:
	s_or_b64 exec, exec, s[4:5]
	s_waitcnt lgkmcnt(0)
	; wave barrier
	s_waitcnt lgkmcnt(0)
	buffer_load_dword v56, off, s[0:3], 0 offset:320
	buffer_load_dword v57, off, s[0:3], 0 offset:324
	;; [unrolled: 1-line block ×36, first 2 shown]
	v_mov_b32_e32 v190, 0
	buffer_load_dword v87, off, s[0:3], 0 offset:492
	buffer_load_dword v86, off, s[0:3], 0 offset:488
	;; [unrolled: 1-line block ×18, first 2 shown]
	ds_read_b128 v[108:111], v190 offset:1328
	ds_read_b128 v[112:115], v190 offset:1344
	;; [unrolled: 1-line block ×9, first 2 shown]
	s_waitcnt vmcnt(50) lgkmcnt(8)
	v_mul_f64 v[0:1], v[108:109], v[58:59]
	v_fmac_f64_e32 v[0:1], v[110:111], v[56:57]
	v_add_f64 v[0:1], v[0:1], 0
	s_waitcnt vmcnt(46) lgkmcnt(7)
	v_mul_f64 v[2:3], v[112:113], v[54:55]
	v_fmac_f64_e32 v[2:3], v[114:115], v[52:53]
	s_waitcnt vmcnt(44) lgkmcnt(6)
	v_mul_f64 v[4:5], v[196:197], v[50:51]
	v_add_f64 v[0:1], v[0:1], v[2:3]
	s_waitcnt vmcnt(42) lgkmcnt(4)
	v_mul_f64 v[8:9], v[204:205], v[60:61]
	v_mul_f64 v[50:51], v[198:199], v[50:51]
	s_waitcnt vmcnt(40)
	v_fmac_f64_e32 v[8:9], v[206:207], v[62:63]
	v_mul_f64 v[54:55], v[114:115], v[54:55]
	s_waitcnt vmcnt(38)
	v_mul_f64 v[6:7], v[200:201], v[64:65]
	s_waitcnt vmcnt(36) lgkmcnt(2)
	v_mul_f64 v[12:13], v[214:215], v[74:75]
	s_waitcnt vmcnt(34)
	v_fmac_f64_e32 v[12:13], v[216:217], v[72:73]
	s_waitcnt vmcnt(32)
	v_mul_f64 v[10:11], v[208:209], v[76:77]
	s_waitcnt vmcnt(30) lgkmcnt(1)
	v_mul_f64 v[14:15], v[220:221], v[68:69]
	s_waitcnt vmcnt(28)
	v_fmac_f64_e32 v[4:5], v[198:199], v[212:213]
	v_add_f64 v[0:1], v[0:1], v[4:5]
	s_waitcnt vmcnt(26)
	v_fmac_f64_e32 v[6:7], v[202:203], v[80:81]
	v_add_f64 v[0:1], v[0:1], v[6:7]
	;; [unrolled: 3-line block ×3, first 2 shown]
	v_add_f64 v[0:1], v[0:1], v[10:11]
	v_add_f64 v[2:3], v[0:1], v[12:13]
	buffer_load_dword v1, off, s[0:3], 0 offset:548
	buffer_load_dword v0, off, s[0:3], 0 offset:544
	;; [unrolled: 1-line block ×8, first 2 shown]
	s_waitcnt vmcnt(30)
	v_fmac_f64_e32 v[14:15], v[222:223], v[70:71]
	v_add_f64 v[2:3], v[2:3], v[14:15]
	s_waitcnt vmcnt(0)
	v_pk_mov_b32 v[16:17], v[4:5], v[4:5] op_sel:[0,1]
	buffer_load_dword v5, off, s[0:3], 0 offset:580
	buffer_load_dword v4, off, s[0:3], 0 offset:576
	v_accvgpr_write_b32 a195, v17
	v_accvgpr_write_b32 a194, v16
	s_waitcnt vmcnt(0)
	v_pk_mov_b32 v[18:19], v[4:5], v[4:5] op_sel:[0,1]
	buffer_load_dword v105, off, s[0:3], 0 offset:572
	buffer_load_dword v104, off, s[0:3], 0 offset:568
	buffer_load_dword v107, off, s[0:3], 0 offset:564
	buffer_load_dword v106, off, s[0:3], 0 offset:560
	buffer_load_dword v5, off, s[0:3], 0 offset:620
	buffer_load_dword v4, off, s[0:3], 0 offset:616
	v_accvgpr_write_b32 a197, v19
	v_accvgpr_write_b32 a196, v18
	s_waitcnt vmcnt(0)
	v_pk_mov_b32 v[22:23], v[4:5], v[4:5] op_sel:[0,1]
	buffer_load_dword v5, off, s[0:3], 0 offset:612
	buffer_load_dword v4, off, s[0:3], 0 offset:608
	v_accvgpr_write_b32 a199, v23
	v_accvgpr_write_b32 a198, v22
	s_waitcnt vmcnt(0)
	v_pk_mov_b32 v[24:25], v[4:5], v[4:5] op_sel:[0,1]
	buffer_load_dword v139, off, s[0:3], 0 offset:604
	buffer_load_dword v138, off, s[0:3], 0 offset:600
	buffer_load_dword v143, off, s[0:3], 0 offset:596
	buffer_load_dword v142, off, s[0:3], 0 offset:592
	buffer_load_dword v5, off, s[0:3], 0 offset:652
	buffer_load_dword v4, off, s[0:3], 0 offset:648
	v_accvgpr_write_b32 a201, v25
	v_accvgpr_write_b32 a200, v24
	s_waitcnt vmcnt(0)
	v_pk_mov_b32 v[30:31], v[4:5], v[4:5] op_sel:[0,1]
	buffer_load_dword v5, off, s[0:3], 0 offset:644
	buffer_load_dword v4, off, s[0:3], 0 offset:640
	v_accvgpr_write_b32 a203, v31
	v_accvgpr_write_b32 a202, v30
	s_waitcnt vmcnt(0)
	v_pk_mov_b32 v[32:33], v[4:5], v[4:5] op_sel:[0,1]
	buffer_load_dword v147, off, s[0:3], 0 offset:636
	buffer_load_dword v146, off, s[0:3], 0 offset:632
	buffer_load_dword v151, off, s[0:3], 0 offset:628
	buffer_load_dword v150, off, s[0:3], 0 offset:624
	buffer_load_dword v5, off, s[0:3], 0 offset:684
	buffer_load_dword v4, off, s[0:3], 0 offset:680
	v_accvgpr_write_b32 a205, v33
	v_accvgpr_write_b32 a204, v32
	s_waitcnt vmcnt(0)
	v_pk_mov_b32 v[38:39], v[4:5], v[4:5] op_sel:[0,1]
	buffer_load_dword v5, off, s[0:3], 0 offset:676
	buffer_load_dword v4, off, s[0:3], 0 offset:672
	;; [unrolled: 1-line block ×30, first 2 shown]
	ds_read_b128 v[228:231], v190 offset:1472
	ds_read_b128 v[232:235], v190 offset:1488
	;; [unrolled: 1-line block ×11, first 2 shown]
	s_waitcnt lgkmcnt(4)
	v_mul_f64 v[8:9], v[252:253], v[104:105]
	v_fmac_f64_e32 v[8:9], v[254:255], v[106:107]
	s_waitcnt lgkmcnt(3)
	v_mul_f64 v[12:13], v[130:131], v[16:17]
	v_fmac_f64_e32 v[12:13], v[132:133], v[18:19]
	;; [unrolled: 3-line block ×4, first 2 shown]
	v_accvgpr_write_b32 a207, v39
	v_accvgpr_write_b32 a206, v38
	s_waitcnt vmcnt(28)
	v_pk_mov_b32 v[40:41], v[4:5], v[4:5] op_sel:[0,1]
	v_mul_f64 v[4:5], v[224:225], v[66:67]
	v_fmac_f64_e32 v[4:5], v[226:227], v[84:85]
	v_add_f64 v[2:3], v[2:3], v[4:5]
	v_mul_f64 v[4:5], v[228:229], v[90:91]
	v_fmac_f64_e32 v[4:5], v[230:231], v[92:93]
	v_add_f64 v[2:3], v[2:3], v[4:5]
	;; [unrolled: 3-line block ×7, first 2 shown]
	v_add_f64 v[10:11], v[6:7], v[8:9]
	v_add_f64 v[14:15], v[10:11], v[12:13]
	;; [unrolled: 1-line block ×4, first 2 shown]
	ds_read_b128 v[18:21], v190 offset:1648
	s_waitcnt lgkmcnt(1)
	v_mul_f64 v[24:25], v[118:119], v[146:147]
	v_fmac_f64_e32 v[24:25], v[120:121], v[150:151]
	v_add_f64 v[26:27], v[22:23], v[24:25]
	ds_read_b128 v[22:25], v190 offset:1664
	s_waitcnt lgkmcnt(1)
	v_mul_f64 v[28:29], v[18:19], v[30:31]
	v_fmac_f64_e32 v[28:29], v[20:21], v[32:33]
	v_add_f64 v[30:31], v[26:27], v[28:29]
	ds_read_b128 v[26:29], v190 offset:1680
	s_waitcnt vmcnt(26) lgkmcnt(1)
	v_mul_f64 v[32:33], v[22:23], v[154:155]
	s_waitcnt vmcnt(24)
	v_fmac_f64_e32 v[32:33], v[24:25], v[156:157]
	v_add_f64 v[34:35], v[30:31], v[32:33]
	ds_read_b128 v[30:33], v190 offset:1696
	s_waitcnt lgkmcnt(1)
	v_mul_f64 v[36:37], v[26:27], v[38:39]
	v_fmac_f64_e32 v[36:37], v[28:29], v[40:41]
	v_accvgpr_write_b32 a209, v41
	v_accvgpr_write_b32 a208, v40
	v_add_f64 v[38:39], v[34:35], v[36:37]
	ds_read_b128 v[34:37], v190 offset:1712
	s_waitcnt vmcnt(18) lgkmcnt(1)
	v_mul_f64 v[40:41], v[30:31], v[158:159]
	s_waitcnt vmcnt(16)
	v_fmac_f64_e32 v[40:41], v[32:33], v[160:161]
	v_add_f64 v[42:43], v[38:39], v[40:41]
	ds_read_b128 v[38:41], v190 offset:1728
	s_waitcnt lgkmcnt(1)
	v_mul_f64 v[44:45], v[34:35], v[134:135]
	v_fmac_f64_e32 v[44:45], v[36:37], v[136:137]
	v_add_f64 v[46:47], v[42:43], v[44:45]
	ds_read_b128 v[42:45], v190 offset:1744
	s_waitcnt vmcnt(10) lgkmcnt(1)
	v_mul_f64 v[48:49], v[38:39], v[162:163]
	s_waitcnt vmcnt(8)
	v_fmac_f64_e32 v[48:49], v[40:41], v[164:165]
	v_add_f64 v[172:173], v[46:47], v[48:49]
	ds_read_b128 v[46:49], v190 offset:1760
	buffer_load_dword v171, off, s[0:3], 0 offset:796
	buffer_load_dword v170, off, s[0:3], 0 offset:792
	;; [unrolled: 1-line block ×4, first 2 shown]
	s_waitcnt lgkmcnt(1)
	v_mul_f64 v[176:177], v[42:43], v[140:141]
	v_fmac_f64_e32 v[176:177], v[44:45], v[144:145]
	v_add_f64 v[2:3], v[172:173], v[176:177]
	buffer_load_dword v177, off, s[0:3], 0 offset:812
	buffer_load_dword v176, off, s[0:3], 0 offset:808
	;; [unrolled: 1-line block ×20, first 2 shown]
	v_mul_f64 v[4:5], v[110:111], v[58:59]
	v_fma_f64 v[110:111], v[196:197], v[212:213], -v[50:51]
	buffer_load_dword v197, off, s[0:3], 0 offset:892
	buffer_load_dword v196, off, s[0:3], 0 offset:888
	;; [unrolled: 1-line block ×4, first 2 shown]
	v_mul_f64 v[50:51], v[202:203], v[64:65]
	v_fma_f64 v[14:15], v[108:109], v[56:57], -v[4:5]
	v_fma_f64 v[108:109], v[112:113], v[52:53], -v[54:55]
	;; [unrolled: 1-line block ×3, first 2 shown]
	v_mul_f64 v[50:51], v[206:207], v[60:61]
	v_fma_f64 v[114:115], v[204:205], v[62:63], -v[50:51]
	buffer_load_dword v201, off, s[0:3], 0 offset:908
	buffer_load_dword v200, off, s[0:3], 0 offset:904
	;; [unrolled: 1-line block ×8, first 2 shown]
	ds_read_b128 v[50:53], v190 offset:1776
	v_mul_f64 v[54:55], v[210:211], v[76:77]
	buffer_load_dword v211, off, s[0:3], 0 offset:940
	buffer_load_dword v210, off, s[0:3], 0 offset:936
	;; [unrolled: 1-line block ×4, first 2 shown]
	v_mul_f64 v[8:9], v[216:217], v[74:75]
	v_fma_f64 v[10:11], v[208:209], v[78:79], -v[54:55]
	v_fma_f64 v[8:9], v[214:215], v[72:73], -v[8:9]
	buffer_load_dword v208, off, s[0:3], 0 offset:968
	buffer_load_dword v217, off, s[0:3], 0 offset:956
	;; [unrolled: 1-line block ×8, first 2 shown]
	v_mul_f64 v[56:57], v[222:223], v[68:69]
	v_fma_f64 v[6:7], v[220:221], v[70:71], -v[56:57]
	buffer_load_dword v221, off, s[0:3], 0 offset:988
	buffer_load_dword v220, off, s[0:3], 0 offset:984
	;; [unrolled: 1-line block ×4, first 2 shown]
	s_waitcnt vmcnt(54) lgkmcnt(1)
	v_mul_f64 v[54:55], v[46:47], v[166:167]
	s_waitcnt vmcnt(52)
	v_fmac_f64_e32 v[54:55], v[48:49], v[168:169]
	v_add_f64 v[2:3], v[2:3], v[54:55]
	ds_read_b128 v[54:57], v190 offset:1792
	ds_read_b128 v[58:61], v190 offset:1808
	s_waitcnt lgkmcnt(2)
	v_mul_f64 v[12:13], v[50:51], v[148:149]
	v_fmac_f64_e32 v[12:13], v[52:53], v[152:153]
	v_add_f64 v[2:3], v[2:3], v[12:13]
	v_mul_f64 v[12:13], v[226:227], v[66:67]
	v_fma_f64 v[12:13], v[224:225], v[84:85], -v[12:13]
	v_mul_f64 v[70:71], v[234:235], v[86:87]
	v_fma_f64 v[232:233], v[232:233], v[88:89], -v[70:71]
	ds_read_b128 v[70:73], v190 offset:1856
	v_mul_f64 v[84:85], v[242:243], v[96:97]
	v_fma_f64 v[4:5], v[240:241], v[98:99], -v[84:85]
	ds_read_b128 v[86:89], v190 offset:1920
	v_mul_f64 v[84:85], v[246:247], v[116:117]
	v_fma_f64 v[246:247], v[244:245], v[82:83], -v[84:85]
	v_mul_f64 v[82:83], v[254:255], v[104:105]
	v_add_f64 v[14:15], v[14:15], 0
	v_add_f64 v[14:15], v[14:15], v[108:109]
	;; [unrolled: 1-line block ×9, first 2 shown]
	v_accvgpr_read_b32 v8, a196
	v_accvgpr_read_b32 v9, a197
	s_waitcnt vmcnt(50) lgkmcnt(3)
	v_mul_f64 v[62:63], v[54:55], v[170:171]
	s_waitcnt vmcnt(48)
	v_fmac_f64_e32 v[62:63], v[56:57], v[174:175]
	v_add_f64 v[2:3], v[2:3], v[62:63]
	v_mul_f64 v[62:63], v[230:231], v[90:91]
	v_fma_f64 v[224:225], v[228:229], v[92:93], -v[62:63]
	ds_read_b128 v[90:93], v190 offset:1936
	ds_read_b128 v[62:65], v190 offset:1824
	s_waitcnt vmcnt(46) lgkmcnt(4)
	v_mul_f64 v[66:67], v[58:59], v[176:177]
	s_waitcnt vmcnt(44)
	v_fmac_f64_e32 v[66:67], v[60:61], v[178:179]
	v_add_f64 v[2:3], v[2:3], v[66:67]
	ds_read_b128 v[66:69], v190 offset:1840
	s_waitcnt vmcnt(41) lgkmcnt(1)
	v_mul_f64 v[74:75], v[62:63], v[182:183]
	s_waitcnt vmcnt(39)
	v_fmac_f64_e32 v[74:75], v[64:65], v[186:187]
	v_add_f64 v[2:3], v[2:3], v[74:75]
	v_mul_f64 v[74:75], v[238:239], v[100:101]
	v_fma_f64 v[226:227], v[236:237], v[102:103], -v[74:75]
	ds_read_b128 v[74:77], v190 offset:1872
	s_waitcnt vmcnt(38) lgkmcnt(1)
	v_mul_f64 v[78:79], v[66:67], v[172:173]
	s_waitcnt vmcnt(36)
	v_fmac_f64_e32 v[78:79], v[68:69], v[184:185]
	v_add_f64 v[2:3], v[2:3], v[78:79]
	s_waitcnt vmcnt(33)
	v_mul_f64 v[78:79], v[70:71], v[192:193]
	s_waitcnt vmcnt(31)
	v_fmac_f64_e32 v[78:79], v[72:73], v[194:195]
	v_add_f64 v[2:3], v[2:3], v[78:79]
	s_waitcnt vmcnt(29) lgkmcnt(0)
	v_mul_f64 v[78:79], v[74:75], v[180:181]
	s_waitcnt vmcnt(28)
	v_fmac_f64_e32 v[78:79], v[76:77], v[188:189]
	v_add_f64 v[2:3], v[2:3], v[78:79]
	ds_read_b128 v[78:81], v190 offset:1888
	ds_read_b128 v[238:241], v190 offset:1904
	;; [unrolled: 1-line block ×4, first 2 shown]
	v_add_f64 v[6:7], v[6:7], v[224:225]
	s_waitcnt vmcnt(26) lgkmcnt(3)
	v_mul_f64 v[16:17], v[78:79], v[196:197]
	s_waitcnt vmcnt(24)
	v_fmac_f64_e32 v[16:17], v[80:81], v[198:199]
	v_add_f64 v[2:3], v[2:3], v[16:17]
	s_waitcnt vmcnt(22) lgkmcnt(2)
	v_mul_f64 v[16:17], v[238:239], v[200:201]
	s_waitcnt vmcnt(20)
	v_fmac_f64_e32 v[16:17], v[240:241], v[204:205]
	v_add_f64 v[2:3], v[2:3], v[16:17]
	s_waitcnt vmcnt(18)
	v_mul_f64 v[16:17], v[86:87], v[202:203]
	s_waitcnt vmcnt(16)
	v_fmac_f64_e32 v[16:17], v[88:89], v[206:207]
	v_add_f64 v[2:3], v[2:3], v[16:17]
	v_mul_f64 v[16:17], v[250:251], v[94:95]
	ds_read_b128 v[94:97], v190 offset:1952
	v_fma_f64 v[16:17], v[248:249], v[0:1], -v[16:17]
	s_waitcnt vmcnt(14)
	v_mul_f64 v[0:1], v[90:91], v[210:211]
	s_waitcnt vmcnt(12)
	v_fmac_f64_e32 v[0:1], v[92:93], v[212:213]
	v_fma_f64 v[250:251], v[252:253], v[106:107], -v[82:83]
	buffer_load_dword v106, off, s[0:3], 0 offset:1000
	buffer_load_dword v107, off, s[0:3], 0 offset:1004
	;; [unrolled: 1-line block ×4, first 2 shown]
	v_add_f64 v[0:1], v[2:3], v[0:1]
	s_waitcnt vmcnt(13) lgkmcnt(0)
	v_mul_f64 v[2:3], v[94:95], v[216:217]
	s_waitcnt vmcnt(11)
	v_fmac_f64_e32 v[2:3], v[96:97], v[218:219]
	v_add_f64 v[0:1], v[0:1], v[2:3]
	s_waitcnt vmcnt(9)
	v_mul_f64 v[2:3], v[98:99], v[208:209]
	s_waitcnt vmcnt(8)
	v_fmac_f64_e32 v[2:3], v[100:101], v[214:215]
	v_add_f64 v[0:1], v[0:1], v[2:3]
	s_waitcnt vmcnt(6)
	v_mul_f64 v[2:3], v[102:103], v[220:221]
	s_waitcnt vmcnt(4)
	v_fmac_f64_e32 v[2:3], v[104:105], v[222:223]
	v_add_f64 v[82:83], v[0:1], v[2:3]
	ds_read_b128 v[0:3], v190 offset:2000
	buffer_load_dword v229, off, s[0:3], 0 offset:1020
	buffer_load_dword v228, off, s[0:3], 0 offset:1016
	;; [unrolled: 1-line block ×4, first 2 shown]
	v_add_f64 v[6:7], v[6:7], v[232:233]
	v_add_f64 v[6:7], v[6:7], v[226:227]
	;; [unrolled: 1-line block ×4, first 2 shown]
	v_accvgpr_read_b32 v6, a194
	v_accvgpr_read_b32 v7, a195
	v_add_f64 v[252:253], v[4:5], v[16:17]
	v_mul_f64 v[6:7], v[132:133], v[6:7]
	v_add_f64 v[4:5], v[252:253], v[250:251]
	v_fma_f64 v[6:7], v[130:131], v[8:9], -v[6:7]
	v_add_f64 v[4:5], v[4:5], v[6:7]
	v_mul_f64 v[6:7], v[128:129], v[138:139]
	v_fma_f64 v[6:7], v[126:127], v[142:143], -v[6:7]
	v_add_f64 v[4:5], v[4:5], v[6:7]
	v_accvgpr_read_b32 v6, a198
	v_accvgpr_read_b32 v7, a199
	v_accvgpr_read_b32 v8, a200
	v_mul_f64 v[6:7], v[124:125], v[6:7]
	v_accvgpr_read_b32 v9, a201
	v_fma_f64 v[6:7], v[122:123], v[8:9], -v[6:7]
	v_add_f64 v[4:5], v[4:5], v[6:7]
	v_mul_f64 v[6:7], v[120:121], v[146:147]
	v_fma_f64 v[6:7], v[118:119], v[150:151], -v[6:7]
	v_add_f64 v[4:5], v[4:5], v[6:7]
	v_accvgpr_read_b32 v6, a202
	v_accvgpr_read_b32 v7, a203
	v_accvgpr_read_b32 v8, a204
	v_mul_f64 v[6:7], v[20:21], v[6:7]
	v_accvgpr_read_b32 v9, a205
	;; [unrolled: 10-line block ×3, first 2 shown]
	v_fma_f64 v[6:7], v[26:27], v[8:9], -v[6:7]
	v_add_f64 v[4:5], v[4:5], v[6:7]
	v_mul_f64 v[6:7], v[32:33], v[158:159]
	v_fma_f64 v[6:7], v[30:31], v[160:161], -v[6:7]
	v_add_f64 v[4:5], v[4:5], v[6:7]
	v_mul_f64 v[6:7], v[36:37], v[134:135]
	;; [unrolled: 3-line block ×8, first 2 shown]
	v_fma_f64 v[6:7], v[58:59], v[178:179], -v[6:7]
	v_add_f64 v[4:5], v[4:5], v[6:7]
	s_waitcnt vmcnt(6) lgkmcnt(0)
	v_mul_f64 v[84:85], v[0:1], v[106:107]
	v_mul_f64 v[6:7], v[64:65], v[182:183]
	s_waitcnt vmcnt(4)
	v_fmac_f64_e32 v[84:85], v[2:3], v[254:255]
	v_add_f64 v[116:117], v[82:83], v[84:85]
	ds_read_b128 v[82:85], v190 offset:2016
	v_fma_f64 v[6:7], v[62:63], v[186:187], -v[6:7]
	v_add_f64 v[4:5], v[4:5], v[6:7]
	v_mul_f64 v[6:7], v[68:69], v[172:173]
	v_fma_f64 v[6:7], v[66:67], v[184:185], -v[6:7]
	v_add_f64 v[4:5], v[4:5], v[6:7]
	v_mul_f64 v[6:7], v[72:73], v[192:193]
	v_fma_f64 v[6:7], v[70:71], v[194:195], -v[6:7]
	s_waitcnt vmcnt(2) lgkmcnt(0)
	v_mul_f64 v[234:235], v[82:83], v[228:229]
	v_add_f64 v[4:5], v[4:5], v[6:7]
	s_waitcnt vmcnt(0)
	v_fmac_f64_e32 v[234:235], v[84:85], v[230:231]
	v_add_f64 v[116:117], v[116:117], v[234:235]
	buffer_load_dword v234, off, s[0:3], 0 offset:1032
	buffer_load_dword v235, off, s[0:3], 0 offset:1036
	buffer_load_dword v236, off, s[0:3], 0 offset:1024
	buffer_load_dword v237, off, s[0:3], 0 offset:1028
	ds_read_b128 v[242:245], v190 offset:2032
	v_mul_f64 v[6:7], v[76:77], v[180:181]
	v_fma_f64 v[6:7], v[74:75], v[188:189], -v[6:7]
	v_add_f64 v[4:5], v[4:5], v[6:7]
	v_mul_f64 v[6:7], v[80:81], v[196:197]
	v_fma_f64 v[6:7], v[78:79], v[198:199], -v[6:7]
	v_add_f64 v[4:5], v[4:5], v[6:7]
	;; [unrolled: 3-line block ×7, first 2 shown]
	v_mul_f64 v[6:7], v[104:105], v[220:221]
	v_fma_f64 v[6:7], v[102:103], v[222:223], -v[6:7]
	v_mul_f64 v[2:3], v[2:3], v[106:107]
	v_add_f64 v[4:5], v[4:5], v[6:7]
	v_fma_f64 v[0:1], v[0:1], v[254:255], -v[2:3]
	v_mul_f64 v[2:3], v[84:85], v[228:229]
	v_add_f64 v[0:1], v[4:5], v[0:1]
	v_fma_f64 v[2:3], v[82:83], v[230:231], -v[2:3]
	v_add_f64 v[0:1], v[0:1], v[2:3]
	s_waitcnt vmcnt(2) lgkmcnt(0)
	v_mul_f64 v[248:249], v[242:243], v[234:235]
	v_mul_f64 v[2:3], v[244:245], v[234:235]
	s_waitcnt vmcnt(0)
	v_fmac_f64_e32 v[248:249], v[244:245], v[236:237]
	v_add_f64 v[116:117], v[116:117], v[248:249]
	buffer_load_dword v248, off, s[0:3], 0 offset:304
	buffer_load_dword v249, off, s[0:3], 0 offset:308
	;; [unrolled: 1-line block ×4, first 2 shown]
	v_fma_f64 v[2:3], v[242:243], v[236:237], -v[2:3]
	v_add_f64 v[0:1], v[0:1], v[2:3]
	s_waitcnt vmcnt(2)
	v_add_f64 v[0:1], v[248:249], -v[0:1]
	s_waitcnt vmcnt(0)
	v_add_f64 v[2:3], v[246:247], -v[116:117]
	buffer_store_dword v1, off, s[0:3], 0 offset:308
	buffer_store_dword v0, off, s[0:3], 0 offset:304
	;; [unrolled: 1-line block ×4, first 2 shown]
	v_accvgpr_read_b32 v0, a191
	v_cmp_lt_u32_e32 vcc, 17, v0
	s_and_saveexec_b64 s[4:5], vcc
	s_cbranch_execz .LBB127_375
; %bb.374:
	v_accvgpr_read_b32 v3, a174
	buffer_load_dword v0, v3, s[0:3], 0 offen
	buffer_load_dword v1, v3, s[0:3], 0 offen offset:4
	buffer_load_dword v2, v3, s[0:3], 0 offen offset:8
	s_nop 0
	buffer_load_dword v3, v3, s[0:3], 0 offen offset:12
	v_accvgpr_read_b32 v4, a192
	buffer_store_dword v190, off, s[0:3], 0 offset:288
	buffer_store_dword v190, off, s[0:3], 0 offset:292
	;; [unrolled: 1-line block ×4, first 2 shown]
	s_waitcnt vmcnt(4)
	ds_write_b128 v4, v[0:3]
.LBB127_375:
	s_or_b64 exec, exec, s[4:5]
	s_waitcnt lgkmcnt(0)
	; wave barrier
	s_waitcnt lgkmcnt(0)
	buffer_load_dword v60, off, s[0:3], 0 offset:304
	buffer_load_dword v61, off, s[0:3], 0 offset:308
	buffer_load_dword v66, off, s[0:3], 0 offset:312
	buffer_load_dword v67, off, s[0:3], 0 offset:316
	buffer_load_dword v50, off, s[0:3], 0 offset:320
	buffer_load_dword v51, off, s[0:3], 0 offset:324
	buffer_load_dword v58, off, s[0:3], 0 offset:328
	buffer_load_dword v59, off, s[0:3], 0 offset:332
	buffer_load_dword v52, off, s[0:3], 0 offset:344
	buffer_load_dword v53, off, s[0:3], 0 offset:348
	buffer_load_dword v69, off, s[0:3], 0 offset:380
	buffer_load_dword v68, off, s[0:3], 0 offset:376
	buffer_load_dword v71, off, s[0:3], 0 offset:372
	buffer_load_dword v70, off, s[0:3], 0 offset:368
	buffer_load_dword v73, off, s[0:3], 0 offset:364
	buffer_load_dword v72, off, s[0:3], 0 offset:360
	buffer_load_dword v75, off, s[0:3], 0 offset:412
	buffer_load_dword v74, off, s[0:3], 0 offset:408
	buffer_load_dword v77, off, s[0:3], 0 offset:404
	buffer_load_dword v76, off, s[0:3], 0 offset:400
	buffer_load_dword v79, off, s[0:3], 0 offset:396
	buffer_load_dword v78, off, s[0:3], 0 offset:392
	buffer_load_dword v83, off, s[0:3], 0 offset:444
	buffer_load_dword v82, off, s[0:3], 0 offset:440
	buffer_load_dword v84, off, s[0:3], 0 offset:432
	buffer_load_dword v87, off, s[0:3], 0 offset:428
	buffer_load_dword v86, off, s[0:3], 0 offset:424
	buffer_load_dword v81, off, s[0:3], 0 offset:460
	buffer_load_dword v80, off, s[0:3], 0 offset:456
	buffer_load_dword v96, off, s[0:3], 0 offset:336
	buffer_load_dword v97, off, s[0:3], 0 offset:340
	buffer_load_dword v93, off, s[0:3], 0 offset:356
	buffer_load_dword v92, off, s[0:3], 0 offset:352
	buffer_load_dword v217, off, s[0:3], 0 offset:388
	buffer_load_dword v216, off, s[0:3], 0 offset:384
	buffer_load_dword v89, off, s[0:3], 0 offset:420
	buffer_load_dword v88, off, s[0:3], 0 offset:416
	buffer_load_dword v85, off, s[0:3], 0 offset:436
	buffer_load_dword v94, off, s[0:3], 0 offset:472
	buffer_load_dword v98, off, s[0:3], 0 offset:464
	buffer_load_dword v99, off, s[0:3], 0 offset:468
	buffer_load_dword v95, off, s[0:3], 0 offset:476
	ds_read_b128 v[112:115], v190 offset:1312
	ds_read_b128 v[180:183], v190 offset:1328
	;; [unrolled: 1-line block ×10, first 2 shown]
	buffer_load_dword v117, off, s[0:3], 0 offset:452
	buffer_load_dword v116, off, s[0:3], 0 offset:448
	ds_read_b128 v[62:65], v190 offset:1472
	buffer_load_dword v101, off, s[0:3], 0 offset:508
	buffer_load_dword v100, off, s[0:3], 0 offset:504
	;; [unrolled: 1-line block ×6, first 2 shown]
	s_waitcnt vmcnt(46) lgkmcnt(10)
	v_mul_f64 v[2:3], v[112:113], v[66:67]
	v_fmac_f64_e32 v[2:3], v[114:115], v[60:61]
	v_add_f64 v[2:3], v[2:3], 0
	s_waitcnt vmcnt(42) lgkmcnt(9)
	v_mul_f64 v[4:5], v[180:181], v[58:59]
	v_fmac_f64_e32 v[4:5], v[182:183], v[50:51]
	v_add_f64 v[2:3], v[2:3], v[4:5]
	buffer_load_dword v249, off, s[0:3], 0 offset:484
	buffer_load_dword v248, off, s[0:3], 0 offset:480
	;; [unrolled: 1-line block ×20, first 2 shown]
	s_waitcnt vmcnt(60) lgkmcnt(8)
	v_mul_f64 v[6:7], v[184:185], v[52:53]
	s_waitcnt vmcnt(58) lgkmcnt(6)
	v_mul_f64 v[10:11], v[200:201], v[68:69]
	s_waitcnt vmcnt(56)
	v_fmac_f64_e32 v[10:11], v[202:203], v[70:71]
	v_mul_f64 v[58:59], v[182:183], v[58:59]
	s_waitcnt vmcnt(54)
	v_mul_f64 v[8:9], v[194:195], v[72:73]
	s_waitcnt vmcnt(52) lgkmcnt(4)
	v_mul_f64 v[14:15], v[208:209], v[74:75]
	s_waitcnt vmcnt(50)
	v_fmac_f64_e32 v[14:15], v[210:211], v[76:77]
	s_waitcnt vmcnt(48)
	v_mul_f64 v[12:13], v[204:205], v[78:79]
	s_waitcnt vmcnt(46) lgkmcnt(2)
	v_mul_f64 v[18:19], v[220:221], v[82:83]
	s_waitcnt vmcnt(43)
	v_mul_f64 v[16:17], v[212:213], v[86:87]
	s_waitcnt vmcnt(41) lgkmcnt(1)
	v_mul_f64 v[20:21], v[54:55], v[80:81]
	s_waitcnt vmcnt(39)
	v_fmac_f64_e32 v[6:7], v[186:187], v[96:97]
	v_add_f64 v[2:3], v[2:3], v[6:7]
	s_waitcnt vmcnt(37)
	v_fmac_f64_e32 v[8:9], v[196:197], v[92:93]
	v_add_f64 v[2:3], v[2:3], v[8:9]
	;; [unrolled: 3-line block ×3, first 2 shown]
	v_add_f64 v[2:3], v[2:3], v[12:13]
	s_waitcnt vmcnt(33)
	v_fmac_f64_e32 v[16:17], v[214:215], v[88:89]
	v_add_f64 v[2:3], v[2:3], v[14:15]
	s_waitcnt vmcnt(32)
	v_fmac_f64_e32 v[18:19], v[222:223], v[84:85]
	v_add_f64 v[2:3], v[2:3], v[16:17]
	v_add_f64 v[2:3], v[2:3], v[18:19]
	s_waitcnt vmcnt(26)
	v_fmac_f64_e32 v[20:21], v[56:57], v[116:117]
	v_add_f64 v[2:3], v[2:3], v[20:21]
	v_mul_f64 v[56:57], v[56:57], v[80:81]
	s_waitcnt vmcnt(0)
	v_pk_mov_b32 v[18:19], v[4:5], v[4:5] op_sel:[0,1]
	buffer_load_dword v5, off, s[0:3], 0 offset:596
	buffer_load_dword v4, off, s[0:3], 0 offset:592
	v_accvgpr_write_b32 a197, v19
	v_accvgpr_write_b32 a196, v18
	s_waitcnt vmcnt(0)
	v_pk_mov_b32 v[22:23], v[4:5], v[4:5] op_sel:[0,1]
	buffer_load_dword v5, off, s[0:3], 0 offset:588
	buffer_load_dword v4, off, s[0:3], 0 offset:584
	v_accvgpr_write_b32 a199, v23
	v_accvgpr_write_b32 a198, v22
	s_waitcnt vmcnt(0)
	v_pk_mov_b32 v[14:15], v[4:5], v[4:5] op_sel:[0,1]
	buffer_load_dword v139, off, s[0:3], 0 offset:580
	buffer_load_dword v138, off, s[0:3], 0 offset:576
	buffer_load_dword v5, off, s[0:3], 0 offset:636
	buffer_load_dword v4, off, s[0:3], 0 offset:632
	v_accvgpr_write_b32 a195, v15
	v_accvgpr_write_b32 a194, v14
	s_waitcnt vmcnt(0)
	v_pk_mov_b32 v[26:27], v[4:5], v[4:5] op_sel:[0,1]
	buffer_load_dword v5, off, s[0:3], 0 offset:628
	buffer_load_dword v4, off, s[0:3], 0 offset:624
	v_accvgpr_write_b32 a201, v27
	v_accvgpr_write_b32 a200, v26
	s_waitcnt vmcnt(0)
	v_pk_mov_b32 v[28:29], v[4:5], v[4:5] op_sel:[0,1]
	buffer_load_dword v143, off, s[0:3], 0 offset:620
	buffer_load_dword v142, off, s[0:3], 0 offset:616
	buffer_load_dword v147, off, s[0:3], 0 offset:612
	buffer_load_dword v146, off, s[0:3], 0 offset:608
	buffer_load_dword v5, off, s[0:3], 0 offset:668
	buffer_load_dword v4, off, s[0:3], 0 offset:664
	v_accvgpr_write_b32 a203, v29
	v_accvgpr_write_b32 a202, v28
	s_waitcnt vmcnt(0)
	v_pk_mov_b32 v[34:35], v[4:5], v[4:5] op_sel:[0,1]
	buffer_load_dword v5, off, s[0:3], 0 offset:660
	buffer_load_dword v4, off, s[0:3], 0 offset:656
	v_accvgpr_write_b32 a205, v35
	v_accvgpr_write_b32 a204, v34
	s_waitcnt vmcnt(0)
	v_pk_mov_b32 v[36:37], v[4:5], v[4:5] op_sel:[0,1]
	buffer_load_dword v151, off, s[0:3], 0 offset:652
	buffer_load_dword v150, off, s[0:3], 0 offset:648
	;; [unrolled: 16-line block ×3, first 2 shown]
	buffer_load_dword v161, off, s[0:3], 0 offset:676
	buffer_load_dword v160, off, s[0:3], 0 offset:672
	;; [unrolled: 1-line block ×26, first 2 shown]
	ds_read_b128 v[224:227], v190 offset:1488
	ds_read_b128 v[228:231], v190 offset:1504
	;; [unrolled: 1-line block ×10, first 2 shown]
	s_waitcnt lgkmcnt(4)
	v_mul_f64 v[8:9], v[244:245], v[104:105]
	v_fmac_f64_e32 v[8:9], v[246:247], v[106:107]
	s_waitcnt lgkmcnt(3)
	v_mul_f64 v[12:13], v[134:135], v[14:15]
	v_fmac_f64_e32 v[12:13], v[136:137], v[138:139]
	;; [unrolled: 3-line block ×4, first 2 shown]
	ds_read_b128 v[118:121], v190 offset:1648
	s_waitcnt lgkmcnt(1)
	v_mul_f64 v[24:25], v[122:123], v[26:27]
	v_fmac_f64_e32 v[24:25], v[124:125], v[28:29]
	v_accvgpr_write_b32 a211, v45
	v_accvgpr_write_b32 a210, v44
	s_waitcnt vmcnt(22)
	v_pk_mov_b32 v[174:175], v[4:5], v[4:5] op_sel:[0,1]
	v_mul_f64 v[4:5], v[62:63], v[94:95]
	v_fmac_f64_e32 v[4:5], v[64:65], v[98:99]
	v_add_f64 v[2:3], v[2:3], v[4:5]
	v_mul_f64 v[4:5], v[224:225], v[0:1]
	v_fmac_f64_e32 v[4:5], v[226:227], v[248:249]
	v_add_f64 v[2:3], v[2:3], v[4:5]
	;; [unrolled: 3-line block ×6, first 2 shown]
	v_add_f64 v[10:11], v[6:7], v[8:9]
	v_add_f64 v[14:15], v[10:11], v[12:13]
	;; [unrolled: 1-line block ×5, first 2 shown]
	ds_read_b128 v[22:25], v190 offset:1664
	s_waitcnt lgkmcnt(1)
	v_mul_f64 v[28:29], v[118:119], v[150:151]
	v_fmac_f64_e32 v[28:29], v[120:121], v[154:155]
	v_add_f64 v[30:31], v[26:27], v[28:29]
	ds_read_b128 v[26:29], v190 offset:1680
	s_waitcnt lgkmcnt(1)
	v_mul_f64 v[32:33], v[22:23], v[34:35]
	v_fmac_f64_e32 v[32:33], v[24:25], v[36:37]
	v_add_f64 v[34:35], v[30:31], v[32:33]
	;; [unrolled: 5-line block ×4, first 2 shown]
	ds_read_b128 v[38:41], v190 offset:1728
	ds_read_b128 v[42:45], v190 offset:1744
	s_waitcnt vmcnt(18) lgkmcnt(2)
	v_mul_f64 v[48:49], v[34:35], v[162:163]
	s_waitcnt vmcnt(16)
	v_fmac_f64_e32 v[48:49], v[36:37], v[164:165]
	v_add_f64 v[46:47], v[46:47], v[48:49]
	s_waitcnt lgkmcnt(1)
	v_mul_f64 v[48:49], v[38:39], v[174:175]
	v_fmac_f64_e32 v[48:49], v[40:41], v[140:141]
	v_add_f64 v[46:47], v[46:47], v[48:49]
	s_waitcnt vmcnt(10) lgkmcnt(0)
	v_mul_f64 v[48:49], v[42:43], v[166:167]
	v_accvgpr_write_b32 a213, v175
	s_waitcnt vmcnt(8)
	v_fmac_f64_e32 v[48:49], v[44:45], v[168:169]
	v_accvgpr_write_b32 a212, v174
	v_add_f64 v[2:3], v[46:47], v[48:49]
	ds_read_b128 v[46:49], v190 offset:1760
	buffer_load_dword v175, off, s[0:3], 0 offset:812
	buffer_load_dword v174, off, s[0:3], 0 offset:808
	buffer_load_dword v179, off, s[0:3], 0 offset:804
	buffer_load_dword v178, off, s[0:3], 0 offset:800
	buffer_load_dword v176, off, s[0:3], 0 offset:824
	v_mul_f64 v[4:5], v[114:115], v[66:67]
	v_fma_f64 v[66:67], v[180:181], v[50:51], -v[58:59]
	buffer_load_dword v180, off, s[0:3], 0 offset:816
	buffer_load_dword v177, off, s[0:3], 0 offset:828
	buffer_load_dword v181, off, s[0:3], 0 offset:820
	v_mul_f64 v[50:51], v[186:187], v[52:53]
	v_fma_f64 v[218:219], v[184:185], v[96:97], -v[50:51]
	buffer_load_dword v185, off, s[0:3], 0 offset:844
	buffer_load_dword v184, off, s[0:3], 0 offset:840
	;; [unrolled: 1-line block ×8, first 2 shown]
	v_mul_f64 v[50:51], v[196:197], v[72:73]
	v_fma_f64 v[92:93], v[194:195], v[92:93], -v[50:51]
	buffer_load_dword v182, off, s[0:3], 0 offset:888
	buffer_load_dword v197, off, s[0:3], 0 offset:876
	buffer_load_dword v196, off, s[0:3], 0 offset:872
	buffer_load_dword v199, off, s[0:3], 0 offset:868
	buffer_load_dword v198, off, s[0:3], 0 offset:864
	buffer_load_dword v194, off, s[0:3], 0 offset:880
	buffer_load_dword v183, off, s[0:3], 0 offset:892
	buffer_load_dword v195, off, s[0:3], 0 offset:884
	v_mul_f64 v[50:51], v[202:203], v[68:69]
	v_fma_f64 v[14:15], v[112:113], v[60:61], -v[4:5]
	v_fma_f64 v[112:113], v[200:201], v[70:71], -v[50:51]
	buffer_load_dword v201, off, s[0:3], 0 offset:908
	buffer_load_dword v200, off, s[0:3], 0 offset:904
	;; [unrolled: 1-line block ×4, first 2 shown]
	v_mul_f64 v[8:9], v[210:211], v[74:75]
	v_mul_f64 v[50:51], v[206:207], v[78:79]
	v_fma_f64 v[8:9], v[208:209], v[76:77], -v[8:9]
	buffer_load_dword v206, off, s[0:3], 0 offset:920
	buffer_load_dword v208, off, s[0:3], 0 offset:912
	;; [unrolled: 1-line block ×4, first 2 shown]
	v_fma_f64 v[10:11], v[204:205], v[216:217], -v[50:51]
	v_mul_f64 v[50:51], v[214:215], v[86:87]
	v_fma_f64 v[6:7], v[212:213], v[88:89], -v[50:51]
	buffer_load_dword v205, off, s[0:3], 0 offset:956
	buffer_load_dword v211, off, s[0:3], 0 offset:940
	;; [unrolled: 1-line block ×12, first 2 shown]
	ds_read_b128 v[50:53], v190 offset:1776
	v_mul_f64 v[12:13], v[222:223], v[82:83]
	v_fma_f64 v[12:13], v[220:221], v[84:85], -v[12:13]
	buffer_load_dword v220, off, s[0:3], 0 offset:984
	buffer_load_dword v222, off, s[0:3], 0 offset:976
	;; [unrolled: 1-line block ×4, first 2 shown]
	v_fma_f64 v[4:5], v[54:55], v[116:117], -v[56:57]
	ds_read_b128 v[54:57], v190 offset:1792
	s_waitcnt lgkmcnt(2)
	v_mul_f64 v[58:59], v[46:47], v[144:145]
	v_fmac_f64_e32 v[58:59], v[48:49], v[148:149]
	s_waitcnt vmcnt(50) lgkmcnt(1)
	v_mul_f64 v[16:17], v[50:51], v[170:171]
	v_add_f64 v[2:3], v[2:3], v[58:59]
	ds_read_b128 v[58:61], v190 offset:1808
	s_waitcnt vmcnt(48)
	v_fmac_f64_e32 v[16:17], v[52:53], v[172:173]
	v_add_f64 v[2:3], v[2:3], v[16:17]
	s_waitcnt lgkmcnt(1)
	v_mul_f64 v[16:17], v[54:55], v[152:153]
	v_fmac_f64_e32 v[16:17], v[56:57], v[156:157]
	v_add_f64 v[2:3], v[2:3], v[16:17]
	v_mul_f64 v[16:17], v[64:65], v[94:95]
	v_fma_f64 v[16:17], v[62:63], v[98:99], -v[16:17]
	ds_read_b128 v[62:65], v190 offset:1824
	ds_read_b128 v[18:21], v190 offset:1840
	v_mul_f64 v[0:1], v[226:227], v[0:1]
	v_mul_f64 v[74:75], v[230:231], v[100:101]
	v_fma_f64 v[248:249], v[224:225], v[248:249], -v[0:1]
	v_fma_f64 v[0:1], v[228:229], v[102:103], -v[74:75]
	v_mul_f64 v[86:87], v[238:239], v[108:109]
	v_fma_f64 v[110:111], v[236:237], v[110:111], -v[86:87]
	v_add_f64 v[14:15], v[14:15], 0
	v_add_f64 v[14:15], v[14:15], v[66:67]
	;; [unrolled: 1-line block ×8, first 2 shown]
	ds_read_b128 v[74:77], v190 offset:1872
	v_add_f64 v[6:7], v[6:7], v[12:13]
	ds_read_b128 v[86:89], v190 offset:1920
	v_add_f64 v[4:5], v[6:7], v[4:5]
	v_add_f64 v[4:5], v[4:5], v[16:17]
	;; [unrolled: 1-line block ×4, first 2 shown]
	v_accvgpr_read_b32 v4, a194
	v_accvgpr_read_b32 v5, a195
	v_mul_f64 v[4:5], v[136:137], v[4:5]
	v_fma_f64 v[4:5], v[134:135], v[138:139], -v[4:5]
	ds_read_b128 v[98:101], v190 offset:1968
	v_accvgpr_read_b32 v6, a198
	v_accvgpr_read_b32 v7, a199
	s_waitcnt vmcnt(46) lgkmcnt(5)
	v_mul_f64 v[70:71], v[58:59], v[174:175]
	s_waitcnt vmcnt(44)
	v_fmac_f64_e32 v[70:71], v[60:61], v[178:179]
	v_add_f64 v[70:71], v[2:3], v[70:71]
	s_waitcnt vmcnt(38) lgkmcnt(3)
	v_mul_f64 v[2:3], v[18:19], v[184:185]
	v_mul_f64 v[72:73], v[62:63], v[176:177]
	v_fmac_f64_e32 v[72:73], v[64:65], v[180:181]
	v_add_f64 v[78:79], v[70:71], v[72:73]
	ds_read_b128 v[70:73], v190 offset:1856
	s_waitcnt vmcnt(36)
	v_fmac_f64_e32 v[2:3], v[20:21], v[188:189]
	v_add_f64 v[2:3], v[78:79], v[2:3]
	v_mul_f64 v[78:79], v[234:235], v[250:251]
	v_fma_f64 v[232:233], v[232:233], v[252:253], -v[78:79]
	ds_read_b128 v[78:81], v190 offset:1888
	s_waitcnt vmcnt(34) lgkmcnt(1)
	v_mul_f64 v[82:83], v[70:71], v[186:187]
	s_waitcnt vmcnt(32)
	v_fmac_f64_e32 v[82:83], v[72:73], v[192:193]
	v_add_f64 v[2:3], v[2:3], v[82:83]
	s_waitcnt vmcnt(29)
	v_mul_f64 v[82:83], v[74:75], v[196:197]
	s_waitcnt vmcnt(27)
	v_fmac_f64_e32 v[82:83], v[76:77], v[198:199]
	v_add_f64 v[2:3], v[2:3], v[82:83]
	s_waitcnt vmcnt(25) lgkmcnt(0)
	v_mul_f64 v[82:83], v[78:79], v[182:183]
	s_waitcnt vmcnt(24)
	v_fmac_f64_e32 v[82:83], v[80:81], v[194:195]
	v_add_f64 v[2:3], v[2:3], v[82:83]
	ds_read_b128 v[82:85], v190 offset:1904
	v_add_f64 v[0:1], v[0:1], v[232:233]
	s_waitcnt vmcnt(22) lgkmcnt(0)
	v_mul_f64 v[94:95], v[82:83], v[200:201]
	s_waitcnt vmcnt(20)
	v_fmac_f64_e32 v[94:95], v[84:85], v[202:203]
	v_add_f64 v[2:3], v[2:3], v[94:95]
	v_mul_f64 v[94:95], v[242:243], v[254:255]
	v_fma_f64 v[250:251], v[240:241], v[90:91], -v[94:95]
	s_waitcnt vmcnt(17)
	v_mul_f64 v[90:91], v[86:87], v[206:207]
	s_waitcnt vmcnt(16)
	v_fmac_f64_e32 v[90:91], v[88:89], v[208:209]
	ds_read_b128 v[238:241], v190 offset:1936
	ds_read_b128 v[94:97], v190 offset:1952
	v_add_f64 v[2:3], v[2:3], v[90:91]
	v_mul_f64 v[90:91], v[246:247], v[104:105]
	ds_read_b128 v[102:105], v190 offset:1984
	buffer_load_dword v225, off, s[0:3], 0 offset:1004
	buffer_load_dword v224, off, s[0:3], 0 offset:1000
	;; [unrolled: 1-line block ×4, first 2 shown]
	v_fma_f64 v[252:253], v[244:245], v[106:107], -v[90:91]
	ds_read_b128 v[106:109], v190 offset:2000
	buffer_load_dword v228, off, s[0:3], 0 offset:1016
	buffer_load_dword v229, off, s[0:3], 0 offset:1020
	buffer_load_dword v230, off, s[0:3], 0 offset:1008
	buffer_load_dword v231, off, s[0:3], 0 offset:1012
	ds_read_b128 v[242:245], v190 offset:2016
	buffer_load_dword v235, off, s[0:3], 0 offset:1036
	buffer_load_dword v234, off, s[0:3], 0 offset:1032
	buffer_load_dword v237, off, s[0:3], 0 offset:1028
	buffer_load_dword v236, off, s[0:3], 0 offset:1024
	;; [unrolled: 5-line block ×3, first 2 shown]
	v_add_f64 v[254:255], v[0:1], v[110:111]
	v_add_f64 v[0:1], v[254:255], v[250:251]
	;; [unrolled: 1-line block ×4, first 2 shown]
	v_accvgpr_read_b32 v4, a196
	v_accvgpr_read_b32 v5, a197
	v_mul_f64 v[4:5], v[132:133], v[4:5]
	v_fma_f64 v[4:5], v[130:131], v[6:7], -v[4:5]
	v_add_f64 v[0:1], v[0:1], v[4:5]
	v_mul_f64 v[4:5], v[128:129], v[142:143]
	v_fma_f64 v[4:5], v[126:127], v[146:147], -v[4:5]
	v_add_f64 v[0:1], v[0:1], v[4:5]
	v_accvgpr_read_b32 v4, a200
	v_accvgpr_read_b32 v5, a201
	v_accvgpr_read_b32 v6, a202
	v_mul_f64 v[4:5], v[124:125], v[4:5]
	v_accvgpr_read_b32 v7, a203
	v_fma_f64 v[4:5], v[122:123], v[6:7], -v[4:5]
	v_add_f64 v[0:1], v[0:1], v[4:5]
	v_mul_f64 v[4:5], v[120:121], v[150:151]
	v_fma_f64 v[4:5], v[118:119], v[154:155], -v[4:5]
	v_add_f64 v[0:1], v[0:1], v[4:5]
	v_accvgpr_read_b32 v4, a204
	v_accvgpr_read_b32 v5, a205
	v_accvgpr_read_b32 v6, a206
	v_mul_f64 v[4:5], v[24:25], v[4:5]
	v_accvgpr_read_b32 v7, a207
	;; [unrolled: 10-line block ×3, first 2 shown]
	v_fma_f64 v[4:5], v[30:31], v[6:7], -v[4:5]
	v_add_f64 v[0:1], v[0:1], v[4:5]
	v_mul_f64 v[4:5], v[36:37], v[162:163]
	v_fma_f64 v[4:5], v[34:35], v[164:165], -v[4:5]
	v_add_f64 v[0:1], v[0:1], v[4:5]
	v_accvgpr_read_b32 v4, a212
	v_accvgpr_read_b32 v5, a213
	v_mul_f64 v[4:5], v[40:41], v[4:5]
	v_fma_f64 v[4:5], v[38:39], v[140:141], -v[4:5]
	v_add_f64 v[0:1], v[0:1], v[4:5]
	v_mul_f64 v[4:5], v[44:45], v[166:167]
	v_fma_f64 v[4:5], v[42:43], v[168:169], -v[4:5]
	v_add_f64 v[0:1], v[0:1], v[4:5]
	;; [unrolled: 3-line block ×13, first 2 shown]
	s_waitcnt vmcnt(29) lgkmcnt(5)
	v_mul_f64 v[4:5], v[240:241], v[210:211]
	v_mul_f64 v[90:91], v[238:239], v[210:211]
	s_waitcnt vmcnt(27)
	v_fma_f64 v[4:5], v[238:239], v[216:217], -v[4:5]
	v_fmac_f64_e32 v[90:91], v[240:241], v[216:217]
	v_add_f64 v[0:1], v[0:1], v[4:5]
	s_waitcnt vmcnt(26) lgkmcnt(4)
	v_mul_f64 v[4:5], v[96:97], v[204:205]
	v_add_f64 v[2:3], v[2:3], v[90:91]
	v_mul_f64 v[90:91], v[94:95], v[204:205]
	s_waitcnt vmcnt(24)
	v_fma_f64 v[4:5], v[94:95], v[214:215], -v[4:5]
	v_fmac_f64_e32 v[90:91], v[96:97], v[214:215]
	v_add_f64 v[0:1], v[0:1], v[4:5]
	s_waitcnt vmcnt(22)
	v_mul_f64 v[4:5], v[100:101], v[212:213]
	v_add_f64 v[2:3], v[2:3], v[90:91]
	v_mul_f64 v[90:91], v[98:99], v[212:213]
	s_waitcnt vmcnt(20)
	v_fma_f64 v[4:5], v[98:99], v[68:69], -v[4:5]
	v_fmac_f64_e32 v[90:91], v[100:101], v[68:69]
	v_add_f64 v[0:1], v[0:1], v[4:5]
	s_waitcnt vmcnt(17) lgkmcnt(3)
	v_mul_f64 v[4:5], v[104:105], v[220:221]
	v_add_f64 v[2:3], v[2:3], v[90:91]
	v_mul_f64 v[90:91], v[102:103], v[220:221]
	s_waitcnt vmcnt(16)
	v_fma_f64 v[4:5], v[102:103], v[222:223], -v[4:5]
	v_fmac_f64_e32 v[90:91], v[104:105], v[222:223]
	v_add_f64 v[0:1], v[0:1], v[4:5]
	s_waitcnt vmcnt(14) lgkmcnt(2)
	;; [unrolled: 8-line block ×4, first 2 shown]
	v_mul_f64 v[4:5], v[116:117], v[234:235]
	v_add_f64 v[2:3], v[2:3], v[90:91]
	v_mul_f64 v[90:91], v[114:115], v[234:235]
	s_waitcnt vmcnt(4)
	v_fma_f64 v[4:5], v[114:115], v[236:237], -v[4:5]
	v_fmac_f64_e32 v[90:91], v[116:117], v[236:237]
	v_add_f64 v[0:1], v[0:1], v[4:5]
	v_add_f64 v[2:3], v[2:3], v[90:91]
	s_waitcnt vmcnt(2)
	v_add_f64 v[0:1], v[248:249], -v[0:1]
	s_waitcnt vmcnt(0)
	v_add_f64 v[2:3], v[246:247], -v[2:3]
	buffer_store_dword v1, off, s[0:3], 0 offset:292
	buffer_store_dword v0, off, s[0:3], 0 offset:288
	;; [unrolled: 1-line block ×4, first 2 shown]
	v_accvgpr_read_b32 v0, a191
	v_cmp_lt_u32_e32 vcc, 16, v0
	s_and_saveexec_b64 s[4:5], vcc
	s_cbranch_execz .LBB127_377
; %bb.376:
	v_accvgpr_read_b32 v3, a175
	buffer_load_dword v0, v3, s[0:3], 0 offen
	buffer_load_dword v1, v3, s[0:3], 0 offen offset:4
	buffer_load_dword v2, v3, s[0:3], 0 offen offset:8
	s_nop 0
	buffer_load_dword v3, v3, s[0:3], 0 offen offset:12
	v_mov_b32_e32 v4, 0
	v_accvgpr_read_b32 v5, a192
	buffer_store_dword v4, off, s[0:3], 0 offset:272
	buffer_store_dword v4, off, s[0:3], 0 offset:276
	;; [unrolled: 1-line block ×4, first 2 shown]
	s_waitcnt vmcnt(4)
	ds_write_b128 v5, v[0:3]
.LBB127_377:
	s_or_b64 exec, exec, s[4:5]
	s_waitcnt lgkmcnt(0)
	; wave barrier
	s_waitcnt lgkmcnt(0)
	buffer_load_dword v48, off, s[0:3], 0 offset:288
	buffer_load_dword v49, off, s[0:3], 0 offset:292
	;; [unrolled: 1-line block ×42, first 2 shown]
	v_mov_b32_e32 v190, 0
	buffer_load_dword v1, off, s[0:3], 0 offset:436
	buffer_load_dword v0, off, s[0:3], 0 offset:432
	;; [unrolled: 1-line block ×7, first 2 shown]
	ds_read_b128 v[110:113], v190 offset:1296
	ds_read_b128 v[114:117], v190 offset:1312
	;; [unrolled: 1-line block ×11, first 2 shown]
	s_waitcnt vmcnt(45) lgkmcnt(10)
	v_mul_f64 v[2:3], v[110:111], v[52:53]
	v_fmac_f64_e32 v[2:3], v[112:113], v[48:49]
	v_add_f64 v[2:3], v[2:3], 0
	s_waitcnt vmcnt(41) lgkmcnt(9)
	v_mul_f64 v[4:5], v[114:115], v[54:55]
	v_fmac_f64_e32 v[4:5], v[116:117], v[50:51]
	v_add_f64 v[2:3], v[2:3], v[4:5]
	buffer_load_dword v96, off, s[0:3], 0 offset:472
	buffer_load_dword v253, off, s[0:3], 0 offset:468
	;; [unrolled: 1-line block ×21, first 2 shown]
	s_waitcnt vmcnt(60) lgkmcnt(8)
	v_mul_f64 v[6:7], v[178:179], v[46:47]
	s_waitcnt vmcnt(58) lgkmcnt(6)
	v_mul_f64 v[10:11], v[192:193], v[62:63]
	s_waitcnt vmcnt(56)
	v_fmac_f64_e32 v[10:11], v[194:195], v[56:57]
	v_mul_f64 v[46:47], v[180:181], v[46:47]
	s_waitcnt vmcnt(54)
	v_mul_f64 v[8:9], v[182:183], v[64:65]
	s_waitcnt vmcnt(52) lgkmcnt(4)
	v_mul_f64 v[14:15], v[200:201], v[66:67]
	s_waitcnt vmcnt(50)
	v_fmac_f64_e32 v[14:15], v[202:203], v[68:69]
	s_waitcnt vmcnt(48)
	v_mul_f64 v[12:13], v[196:197], v[70:71]
	s_waitcnt vmcnt(46) lgkmcnt(2)
	v_mul_f64 v[18:19], v[214:215], v[76:77]
	s_waitcnt vmcnt(43)
	v_mul_f64 v[16:17], v[204:205], v[78:79]
	s_waitcnt vmcnt(41) lgkmcnt(1)
	v_mul_f64 v[20:21], v[220:221], v[72:73]
	s_waitcnt vmcnt(39)
	v_fmac_f64_e32 v[6:7], v[180:181], v[188:189]
	v_add_f64 v[2:3], v[2:3], v[6:7]
	s_waitcnt vmcnt(37)
	v_fmac_f64_e32 v[8:9], v[184:185], v[186:187]
	v_add_f64 v[2:3], v[2:3], v[8:9]
	;; [unrolled: 3-line block ×3, first 2 shown]
	v_add_f64 v[2:3], v[2:3], v[12:13]
	v_add_f64 v[2:3], v[2:3], v[14:15]
	s_waitcnt vmcnt(33)
	v_fmac_f64_e32 v[16:17], v[206:207], v[80:81]
	v_add_f64 v[2:3], v[2:3], v[16:17]
	s_waitcnt vmcnt(32)
	v_fmac_f64_e32 v[18:19], v[216:217], v[218:219]
	;; [unrolled: 3-line block ×3, first 2 shown]
	v_add_f64 v[2:3], v[2:3], v[20:21]
	s_waitcnt vmcnt(0)
	v_pk_mov_b32 v[14:15], v[4:5], v[4:5] op_sel:[0,1]
	buffer_load_dword v5, off, s[0:3], 0 offset:580
	buffer_load_dword v4, off, s[0:3], 0 offset:576
	v_accvgpr_write_b32 a195, v15
	v_accvgpr_write_b32 a194, v14
	s_waitcnt vmcnt(0)
	v_pk_mov_b32 v[16:17], v[4:5], v[4:5] op_sel:[0,1]
	buffer_load_dword v103, off, s[0:3], 0 offset:572
	buffer_load_dword v102, off, s[0:3], 0 offset:568
	buffer_load_dword v105, off, s[0:3], 0 offset:564
	buffer_load_dword v104, off, s[0:3], 0 offset:560
	buffer_load_dword v5, off, s[0:3], 0 offset:620
	buffer_load_dword v4, off, s[0:3], 0 offset:616
	v_accvgpr_write_b32 a197, v17
	v_accvgpr_write_b32 a196, v16
	s_waitcnt vmcnt(0)
	v_pk_mov_b32 v[22:23], v[4:5], v[4:5] op_sel:[0,1]
	buffer_load_dword v5, off, s[0:3], 0 offset:612
	buffer_load_dword v4, off, s[0:3], 0 offset:608
	v_accvgpr_write_b32 a199, v23
	v_accvgpr_write_b32 a198, v22
	s_waitcnt vmcnt(0)
	v_pk_mov_b32 v[24:25], v[4:5], v[4:5] op_sel:[0,1]
	buffer_load_dword v139, off, s[0:3], 0 offset:604
	buffer_load_dword v138, off, s[0:3], 0 offset:600
	buffer_load_dword v143, off, s[0:3], 0 offset:596
	buffer_load_dword v142, off, s[0:3], 0 offset:592
	buffer_load_dword v5, off, s[0:3], 0 offset:652
	buffer_load_dword v4, off, s[0:3], 0 offset:648
	v_accvgpr_write_b32 a201, v25
	v_accvgpr_write_b32 a200, v24
	;; [unrolled: 16-line block ×4, first 2 shown]
	s_waitcnt vmcnt(0)
	v_pk_mov_b32 v[170:171], v[4:5], v[4:5] op_sel:[0,1]
	buffer_load_dword v5, off, s[0:3], 0 offset:708
	buffer_load_dword v4, off, s[0:3], 0 offset:704
	;; [unrolled: 1-line block ×22, first 2 shown]
	ds_read_b128 v[224:227], v190 offset:1472
	ds_read_b128 v[228:231], v190 offset:1488
	;; [unrolled: 1-line block ×12, first 2 shown]
	s_waitcnt lgkmcnt(5)
	v_mul_f64 v[8:9], v[248:249], v[102:103]
	v_fmac_f64_e32 v[8:9], v[250:251], v[104:105]
	s_waitcnt lgkmcnt(4)
	v_mul_f64 v[12:13], v[134:135], v[14:15]
	v_fmac_f64_e32 v[12:13], v[136:137], v[16:17]
	s_waitcnt lgkmcnt(3)
	v_mul_f64 v[16:17], v[130:131], v[138:139]
	v_fmac_f64_e32 v[16:17], v[132:133], v[142:143]
	s_waitcnt lgkmcnt(2)
	v_mul_f64 v[20:21], v[126:127], v[22:23]
	v_fmac_f64_e32 v[20:21], v[128:129], v[24:25]
	s_waitcnt lgkmcnt(1)
	v_mul_f64 v[24:25], v[122:123], v[146:147]
	v_fmac_f64_e32 v[24:25], v[124:125], v[150:151]
	s_waitcnt lgkmcnt(0)
	v_mul_f64 v[28:29], v[118:119], v[30:31]
	v_fmac_f64_e32 v[28:29], v[120:121], v[32:33]
	v_accvgpr_write_b32 a211, v171
	v_accvgpr_write_b32 a210, v170
	s_waitcnt vmcnt(20)
	v_pk_mov_b32 v[172:173], v[4:5], v[4:5] op_sel:[0,1]
	v_mul_f64 v[4:5], v[58:59], v[84:85]
	v_fmac_f64_e32 v[4:5], v[60:61], v[86:87]
	v_add_f64 v[2:3], v[2:3], v[4:5]
	v_mul_f64 v[4:5], v[224:225], v[96:97]
	v_fmac_f64_e32 v[4:5], v[226:227], v[252:253]
	v_add_f64 v[2:3], v[2:3], v[4:5]
	v_mul_f64 v[4:5], v[228:229], v[92:93]
	v_fmac_f64_e32 v[4:5], v[230:231], v[94:95]
	v_add_f64 v[2:3], v[2:3], v[4:5]
	v_mul_f64 v[4:5], v[232:233], v[254:255]
	v_fmac_f64_e32 v[4:5], v[234:235], v[74:75]
	v_add_f64 v[2:3], v[2:3], v[4:5]
	v_mul_f64 v[4:5], v[236:237], v[106:107]
	v_fmac_f64_e32 v[4:5], v[238:239], v[108:109]
	v_add_f64 v[2:3], v[2:3], v[4:5]
	v_mul_f64 v[4:5], v[240:241], v[88:89]
	v_fmac_f64_e32 v[4:5], v[242:243], v[90:91]
	v_add_f64 v[2:3], v[2:3], v[4:5]
	v_mul_f64 v[4:5], v[244:245], v[98:99]
	v_fmac_f64_e32 v[4:5], v[246:247], v[100:101]
	v_add_f64 v[6:7], v[2:3], v[4:5]
	v_add_f64 v[10:11], v[6:7], v[8:9]
	v_add_f64 v[14:15], v[10:11], v[12:13]
	;; [unrolled: 1-line block ×5, first 2 shown]
	ds_read_b128 v[22:25], v190 offset:1664
	v_add_f64 v[30:31], v[26:27], v[28:29]
	ds_read_b128 v[26:29], v190 offset:1680
	v_accvgpr_write_b32 a213, v173
	v_accvgpr_write_b32 a212, v172
	s_waitcnt lgkmcnt(1)
	v_mul_f64 v[32:33], v[22:23], v[154:155]
	v_fmac_f64_e32 v[32:33], v[24:25], v[156:157]
	s_waitcnt lgkmcnt(0)
	v_mul_f64 v[36:37], v[26:27], v[38:39]
	v_add_f64 v[34:35], v[30:31], v[32:33]
	ds_read_b128 v[30:33], v190 offset:1696
	v_fmac_f64_e32 v[36:37], v[28:29], v[40:41]
	v_add_f64 v[38:39], v[34:35], v[36:37]
	ds_read_b128 v[34:37], v190 offset:1712
	v_mul_f64 v[4:5], v[112:113], v[52:53]
	s_waitcnt vmcnt(18) lgkmcnt(1)
	v_mul_f64 v[40:41], v[30:31], v[158:159]
	s_waitcnt vmcnt(16)
	v_fmac_f64_e32 v[40:41], v[32:33], v[160:161]
	v_add_f64 v[42:43], v[38:39], v[40:41]
	s_waitcnt lgkmcnt(0)
	v_mul_f64 v[44:45], v[34:35], v[170:171]
	v_fmac_f64_e32 v[44:45], v[36:37], v[172:173]
	ds_read_b128 v[38:41], v190 offset:1728
	v_add_f64 v[2:3], v[42:43], v[44:45]
	ds_read_b128 v[42:45], v190 offset:1744
	buffer_load_dword v171, off, s[0:3], 0 offset:796
	buffer_load_dword v170, off, s[0:3], 0 offset:792
	;; [unrolled: 1-line block ×8, first 2 shown]
	v_fma_f64 v[14:15], v[110:111], v[48:49], -v[4:5]
	v_fma_f64 v[110:111], v[178:179], v[188:189], -v[46:47]
	v_mul_f64 v[46:47], v[184:185], v[64:65]
	v_fma_f64 v[112:113], v[182:183], v[186:187], -v[46:47]
	buffer_load_dword v179, off, s[0:3], 0 offset:844
	buffer_load_dword v183, off, s[0:3], 0 offset:828
	buffer_load_dword v182, off, s[0:3], 0 offset:824
	buffer_load_dword v185, off, s[0:3], 0 offset:820
	buffer_load_dword v184, off, s[0:3], 0 offset:816
	buffer_load_dword v178, off, s[0:3], 0 offset:840
	buffer_load_dword v187, off, s[0:3], 0 offset:836
	buffer_load_dword v186, off, s[0:3], 0 offset:832
	v_mul_f64 v[48:49], v[116:117], v[54:55]
	v_mul_f64 v[46:47], v[194:195], v[62:63]
	v_fma_f64 v[50:51], v[114:115], v[50:51], -v[48:49]
	v_fma_f64 v[114:115], v[192:193], v[56:57], -v[46:47]
	buffer_load_dword v180, off, s[0:3], 0 offset:872
	buffer_load_dword v193, off, s[0:3], 0 offset:860
	;; [unrolled: 1-line block ×8, first 2 shown]
	v_mul_f64 v[54:55], v[198:199], v[70:71]
	ds_read_b128 v[46:49], v190 offset:1760
	v_fma_f64 v[116:117], v[196:197], v[82:83], -v[54:55]
	buffer_load_dword v197, off, s[0:3], 0 offset:892
	buffer_load_dword v196, off, s[0:3], 0 offset:888
	;; [unrolled: 1-line block ×4, first 2 shown]
	v_mul_f64 v[54:55], v[202:203], v[66:67]
	v_fma_f64 v[10:11], v[200:201], v[68:69], -v[54:55]
	buffer_load_dword v200, off, s[0:3], 0 offset:904
	buffer_load_dword v202, off, s[0:3], 0 offset:896
	;; [unrolled: 1-line block ×4, first 2 shown]
	v_mul_f64 v[8:9], v[206:207], v[78:79]
	buffer_load_dword v207, off, s[0:3], 0 offset:924
	buffer_load_dword v206, off, s[0:3], 0 offset:920
	;; [unrolled: 1-line block ×8, first 2 shown]
	v_mul_f64 v[54:55], v[216:217], v[76:77]
	v_fma_f64 v[8:9], v[204:205], v[80:81], -v[8:9]
	v_fma_f64 v[6:7], v[214:215], v[218:219], -v[54:55]
	buffer_load_dword v204, off, s[0:3], 0 offset:968
	buffer_load_dword v217, off, s[0:3], 0 offset:956
	;; [unrolled: 1-line block ×8, first 2 shown]
	s_waitcnt vmcnt(58) lgkmcnt(2)
	v_mul_f64 v[52:53], v[38:39], v[162:163]
	s_waitcnt vmcnt(56)
	v_fmac_f64_e32 v[52:53], v[40:41], v[164:165]
	ds_read_b128 v[16:19], v190 offset:1776
	ds_read_b128 v[54:57], v190 offset:1792
	v_add_f64 v[12:13], v[2:3], v[52:53]
	s_waitcnt lgkmcnt(3)
	v_mul_f64 v[52:53], v[42:43], v[140:141]
	v_fmac_f64_e32 v[52:53], v[44:45], v[144:145]
	v_mul_f64 v[2:3], v[222:223], v[72:73]
	v_fma_f64 v[4:5], v[220:221], v[0:1], -v[2:3]
	v_add_f64 v[2:3], v[12:13], v[52:53]
	s_waitcnt vmcnt(50) lgkmcnt(2)
	v_mul_f64 v[12:13], v[46:47], v[166:167]
	s_waitcnt vmcnt(48)
	v_fmac_f64_e32 v[12:13], v[48:49], v[168:169]
	v_add_f64 v[2:3], v[2:3], v[12:13]
	s_waitcnt lgkmcnt(1)
	v_mul_f64 v[12:13], v[16:17], v[148:149]
	v_fmac_f64_e32 v[12:13], v[18:19], v[152:153]
	v_add_f64 v[2:3], v[2:3], v[12:13]
	v_mul_f64 v[12:13], v[60:61], v[84:85]
	v_fma_f64 v[12:13], v[58:59], v[86:87], -v[12:13]
	ds_read_b128 v[58:61], v190 offset:1808
	ds_read_b128 v[62:65], v190 offset:1824
	v_mul_f64 v[70:71], v[230:231], v[92:93]
	v_mul_f64 v[82:83], v[238:239], v[106:107]
	v_add_f64 v[14:15], v[14:15], 0
	v_add_f64 v[14:15], v[14:15], v[50:51]
	;; [unrolled: 1-line block ×11, first 2 shown]
	v_accvgpr_read_b32 v6, a196
	v_accvgpr_read_b32 v7, a197
	s_waitcnt vmcnt(46) lgkmcnt(2)
	v_mul_f64 v[52:53], v[54:55], v[170:171]
	s_waitcnt vmcnt(44)
	v_fmac_f64_e32 v[52:53], v[56:57], v[176:177]
	v_add_f64 v[2:3], v[2:3], v[52:53]
	v_mul_f64 v[52:53], v[226:227], v[96:97]
	s_waitcnt vmcnt(41) lgkmcnt(1)
	v_mul_f64 v[66:67], v[58:59], v[172:173]
	s_waitcnt vmcnt(40)
	v_fmac_f64_e32 v[66:67], v[60:61], v[174:175]
	v_add_f64 v[2:3], v[2:3], v[66:67]
	ds_read_b128 v[66:69], v190 offset:1840
	s_waitcnt vmcnt(37) lgkmcnt(1)
	v_mul_f64 v[76:77], v[62:63], v[182:183]
	v_fma_f64 v[52:53], v[224:225], v[252:253], -v[52:53]
	v_fma_f64 v[252:253], v[228:229], v[94:95], -v[70:71]
	ds_read_b128 v[70:73], v190 offset:1856
	s_waitcnt vmcnt(35)
	v_fmac_f64_e32 v[76:77], v[64:65], v[184:185]
	v_add_f64 v[2:3], v[2:3], v[76:77]
	v_mul_f64 v[76:77], v[234:235], v[254:255]
	v_fma_f64 v[254:255], v[232:233], v[74:75], -v[76:77]
	ds_read_b128 v[74:77], v190 offset:1872
	s_waitcnt vmcnt(34) lgkmcnt(2)
	v_mul_f64 v[78:79], v[66:67], v[178:179]
	s_waitcnt vmcnt(32)
	v_fmac_f64_e32 v[78:79], v[68:69], v[186:187]
	v_add_f64 v[2:3], v[2:3], v[78:79]
	s_waitcnt vmcnt(29) lgkmcnt(1)
	v_mul_f64 v[78:79], v[70:71], v[192:193]
	s_waitcnt vmcnt(27)
	v_fmac_f64_e32 v[78:79], v[72:73], v[194:195]
	v_add_f64 v[2:3], v[2:3], v[78:79]
	v_fma_f64 v[232:233], v[236:237], v[108:109], -v[82:83]
	ds_read_b128 v[82:85], v190 offset:1904
	s_waitcnt vmcnt(25) lgkmcnt(1)
	v_mul_f64 v[78:79], v[74:75], v[180:181]
	s_waitcnt vmcnt(24)
	v_fmac_f64_e32 v[78:79], v[76:77], v[188:189]
	v_add_f64 v[2:3], v[2:3], v[78:79]
	ds_read_b128 v[78:81], v190 offset:1888
	ds_read_b128 v[94:97], v190 offset:1952
	s_waitcnt vmcnt(17) lgkmcnt(2)
	v_mul_f64 v[20:21], v[82:83], v[200:201]
	s_waitcnt vmcnt(16)
	v_fmac_f64_e32 v[20:21], v[84:85], v[202:203]
	v_add_f64 v[4:5], v[4:5], v[52:53]
	s_waitcnt lgkmcnt(1)
	v_mul_f64 v[86:87], v[78:79], v[196:197]
	v_fmac_f64_e32 v[86:87], v[80:81], v[198:199]
	v_add_f64 v[2:3], v[2:3], v[86:87]
	v_mul_f64 v[86:87], v[242:243], v[88:89]
	v_fma_f64 v[0:1], v[240:241], v[90:91], -v[86:87]
	ds_read_b128 v[86:89], v190 offset:1920
	ds_read_b128 v[90:93], v190 offset:1936
	v_add_f64 v[2:3], v[2:3], v[20:21]
	v_mul_f64 v[20:21], v[246:247], v[98:99]
	v_fma_f64 v[20:21], v[244:245], v[100:101], -v[20:21]
	s_waitcnt vmcnt(14) lgkmcnt(1)
	v_mul_f64 v[98:99], v[86:87], v[206:207]
	s_waitcnt vmcnt(12)
	v_fmac_f64_e32 v[98:99], v[88:89], v[210:211]
	v_add_f64 v[2:3], v[2:3], v[98:99]
	v_mul_f64 v[98:99], v[250:251], v[102:103]
	v_fma_f64 v[250:251], v[248:249], v[104:105], -v[98:99]
	ds_read_b128 v[98:101], v190 offset:1968
	buffer_load_dword v221, off, s[0:3], 0 offset:988
	buffer_load_dword v220, off, s[0:3], 0 offset:984
	;; [unrolled: 1-line block ×4, first 2 shown]
	s_waitcnt vmcnt(14) lgkmcnt(1)
	v_mul_f64 v[106:107], v[90:91], v[208:209]
	s_waitcnt vmcnt(12)
	v_fmac_f64_e32 v[106:107], v[92:93], v[212:213]
	s_waitcnt vmcnt(9)
	v_mul_f64 v[102:103], v[94:95], v[216:217]
	v_add_f64 v[2:3], v[2:3], v[106:107]
	s_waitcnt vmcnt(7)
	v_fmac_f64_e32 v[102:103], v[96:97], v[218:219]
	v_add_f64 v[2:3], v[2:3], v[102:103]
	s_waitcnt vmcnt(5) lgkmcnt(0)
	v_mul_f64 v[102:103], v[98:99], v[204:205]
	s_waitcnt vmcnt(4)
	v_fmac_f64_e32 v[102:103], v[100:101], v[214:215]
	v_add_f64 v[2:3], v[2:3], v[102:103]
	ds_read_b128 v[102:105], v190 offset:1984
	buffer_load_dword v224, off, s[0:3], 0 offset:1000
	buffer_load_dword v225, off, s[0:3], 0 offset:1004
	;; [unrolled: 1-line block ×4, first 2 shown]
	v_add_f64 v[4:5], v[4:5], v[252:253]
	v_add_f64 v[4:5], v[4:5], v[254:255]
	;; [unrolled: 1-line block ×4, first 2 shown]
	v_accvgpr_read_b32 v4, a194
	v_accvgpr_read_b32 v5, a195
	v_add_f64 v[252:253], v[0:1], v[20:21]
	v_mul_f64 v[4:5], v[136:137], v[4:5]
	v_add_f64 v[0:1], v[252:253], v[250:251]
	v_fma_f64 v[4:5], v[134:135], v[6:7], -v[4:5]
	v_add_f64 v[0:1], v[0:1], v[4:5]
	v_mul_f64 v[4:5], v[132:133], v[138:139]
	v_fma_f64 v[4:5], v[130:131], v[142:143], -v[4:5]
	v_add_f64 v[0:1], v[0:1], v[4:5]
	v_accvgpr_read_b32 v4, a198
	v_accvgpr_read_b32 v5, a199
	v_accvgpr_read_b32 v6, a200
	v_mul_f64 v[4:5], v[128:129], v[4:5]
	v_accvgpr_read_b32 v7, a201
	v_fma_f64 v[4:5], v[126:127], v[6:7], -v[4:5]
	v_add_f64 v[0:1], v[0:1], v[4:5]
	v_mul_f64 v[4:5], v[124:125], v[146:147]
	v_fma_f64 v[4:5], v[122:123], v[150:151], -v[4:5]
	v_add_f64 v[0:1], v[0:1], v[4:5]
	v_accvgpr_read_b32 v4, a202
	v_accvgpr_read_b32 v5, a203
	v_accvgpr_read_b32 v6, a204
	v_mul_f64 v[4:5], v[120:121], v[4:5]
	v_accvgpr_read_b32 v7, a205
	v_fma_f64 v[4:5], v[118:119], v[6:7], -v[4:5]
	v_add_f64 v[0:1], v[0:1], v[4:5]
	v_mul_f64 v[4:5], v[24:25], v[154:155]
	v_fma_f64 v[4:5], v[22:23], v[156:157], -v[4:5]
	v_add_f64 v[0:1], v[0:1], v[4:5]
	v_accvgpr_read_b32 v4, a206
	v_accvgpr_read_b32 v5, a207
	v_accvgpr_read_b32 v6, a208
	v_mul_f64 v[4:5], v[28:29], v[4:5]
	v_accvgpr_read_b32 v7, a209
	v_fma_f64 v[4:5], v[26:27], v[6:7], -v[4:5]
	v_add_f64 v[0:1], v[0:1], v[4:5]
	v_mul_f64 v[4:5], v[32:33], v[158:159]
	v_fma_f64 v[4:5], v[30:31], v[160:161], -v[4:5]
	v_add_f64 v[0:1], v[0:1], v[4:5]
	v_accvgpr_read_b32 v4, a210
	v_accvgpr_read_b32 v5, a211
	v_accvgpr_read_b32 v6, a212
	v_mul_f64 v[4:5], v[36:37], v[4:5]
	v_accvgpr_read_b32 v7, a213
	v_fma_f64 v[4:5], v[34:35], v[6:7], -v[4:5]
	v_add_f64 v[0:1], v[0:1], v[4:5]
	v_mul_f64 v[4:5], v[40:41], v[162:163]
	v_fma_f64 v[4:5], v[38:39], v[164:165], -v[4:5]
	v_add_f64 v[0:1], v[0:1], v[4:5]
	v_mul_f64 v[4:5], v[44:45], v[140:141]
	;; [unrolled: 3-line block ×5, first 2 shown]
	v_fma_f64 v[4:5], v[54:55], v[176:177], -v[4:5]
	v_add_f64 v[0:1], v[0:1], v[4:5]
	s_waitcnt vmcnt(6) lgkmcnt(0)
	v_mul_f64 v[106:107], v[102:103], v[220:221]
	v_mul_f64 v[4:5], v[60:61], v[172:173]
	s_waitcnt vmcnt(4)
	v_fmac_f64_e32 v[106:107], v[104:105], v[222:223]
	v_add_f64 v[2:3], v[2:3], v[106:107]
	ds_read_b128 v[106:109], v190 offset:2000
	v_fma_f64 v[4:5], v[58:59], v[174:175], -v[4:5]
	v_add_f64 v[0:1], v[0:1], v[4:5]
	v_mul_f64 v[4:5], v[64:65], v[182:183]
	v_fma_f64 v[4:5], v[62:63], v[184:185], -v[4:5]
	v_add_f64 v[0:1], v[0:1], v[4:5]
	v_mul_f64 v[4:5], v[68:69], v[178:179]
	s_waitcnt vmcnt(2) lgkmcnt(0)
	v_mul_f64 v[228:229], v[106:107], v[224:225]
	v_fma_f64 v[4:5], v[66:67], v[186:187], -v[4:5]
	s_waitcnt vmcnt(0)
	v_fmac_f64_e32 v[228:229], v[108:109], v[226:227]
	v_add_f64 v[2:3], v[2:3], v[228:229]
	buffer_load_dword v229, off, s[0:3], 0 offset:1020
	buffer_load_dword v228, off, s[0:3], 0 offset:1016
	;; [unrolled: 1-line block ×4, first 2 shown]
	ds_read_b128 v[238:241], v190 offset:2016
	v_add_f64 v[0:1], v[0:1], v[4:5]
	v_mul_f64 v[4:5], v[72:73], v[192:193]
	v_fma_f64 v[4:5], v[70:71], v[194:195], -v[4:5]
	v_add_f64 v[0:1], v[0:1], v[4:5]
	v_mul_f64 v[4:5], v[76:77], v[180:181]
	v_fma_f64 v[4:5], v[74:75], v[188:189], -v[4:5]
	;; [unrolled: 3-line block ×10, first 2 shown]
	v_add_f64 v[0:1], v[0:1], v[4:5]
	s_waitcnt vmcnt(2) lgkmcnt(0)
	v_mul_f64 v[234:235], v[238:239], v[228:229]
	v_mul_f64 v[4:5], v[240:241], v[228:229]
	s_waitcnt vmcnt(0)
	v_fmac_f64_e32 v[234:235], v[240:241], v[230:231]
	v_add_f64 v[2:3], v[2:3], v[234:235]
	buffer_load_dword v234, off, s[0:3], 0 offset:1032
	buffer_load_dword v235, off, s[0:3], 0 offset:1036
	;; [unrolled: 1-line block ×4, first 2 shown]
	ds_read_b128 v[242:245], v190 offset:2032
	buffer_load_dword v248, off, s[0:3], 0 offset:272
	buffer_load_dword v249, off, s[0:3], 0 offset:276
	v_fma_f64 v[4:5], v[238:239], v[230:231], -v[4:5]
	v_add_f64 v[0:1], v[0:1], v[4:5]
	s_waitcnt vmcnt(4) lgkmcnt(0)
	v_mul_f64 v[246:247], v[242:243], v[234:235]
	v_mul_f64 v[4:5], v[244:245], v[234:235]
	s_waitcnt vmcnt(2)
	v_fmac_f64_e32 v[246:247], v[244:245], v[236:237]
	v_add_f64 v[2:3], v[2:3], v[246:247]
	buffer_load_dword v246, off, s[0:3], 0 offset:280
	buffer_load_dword v247, off, s[0:3], 0 offset:284
	v_fma_f64 v[4:5], v[242:243], v[236:237], -v[4:5]
	v_add_f64 v[0:1], v[0:1], v[4:5]
	s_waitcnt vmcnt(2)
	v_add_f64 v[0:1], v[248:249], -v[0:1]
	s_waitcnt vmcnt(0)
	v_add_f64 v[2:3], v[246:247], -v[2:3]
	buffer_store_dword v1, off, s[0:3], 0 offset:276
	buffer_store_dword v0, off, s[0:3], 0 offset:272
	;; [unrolled: 1-line block ×4, first 2 shown]
	v_accvgpr_read_b32 v0, a191
	v_cmp_lt_u32_e32 vcc, 15, v0
	s_and_saveexec_b64 s[4:5], vcc
	s_cbranch_execz .LBB127_379
; %bb.378:
	v_accvgpr_read_b32 v3, a176
	buffer_load_dword v0, v3, s[0:3], 0 offen
	buffer_load_dword v1, v3, s[0:3], 0 offen offset:4
	buffer_load_dword v2, v3, s[0:3], 0 offen offset:8
	s_nop 0
	buffer_load_dword v3, v3, s[0:3], 0 offen offset:12
	v_accvgpr_read_b32 v4, a192
	buffer_store_dword v190, off, s[0:3], 0 offset:256
	buffer_store_dword v190, off, s[0:3], 0 offset:260
	;; [unrolled: 1-line block ×4, first 2 shown]
	s_waitcnt vmcnt(4)
	ds_write_b128 v4, v[0:3]
.LBB127_379:
	s_or_b64 exec, exec, s[4:5]
	s_waitcnt lgkmcnt(0)
	; wave barrier
	s_waitcnt lgkmcnt(0)
	buffer_load_dword v42, off, s[0:3], 0 offset:272
	buffer_load_dword v43, off, s[0:3], 0 offset:276
	;; [unrolled: 1-line block ×42, first 2 shown]
	ds_read_b128 v[108:111], v190 offset:1280
	ds_read_b128 v[112:115], v190 offset:1296
	;; [unrolled: 1-line block ×10, first 2 shown]
	buffer_load_dword v117, off, s[0:3], 0 offset:420
	buffer_load_dword v116, off, s[0:3], 0 offset:416
	ds_read_b128 v[50:53], v190 offset:1440
	buffer_load_dword v89, off, s[0:3], 0 offset:476
	buffer_load_dword v88, off, s[0:3], 0 offset:472
	;; [unrolled: 1-line block ×8, first 2 shown]
	s_waitcnt vmcnt(48) lgkmcnt(10)
	v_mul_f64 v[0:1], v[108:109], v[48:49]
	v_fmac_f64_e32 v[0:1], v[110:111], v[42:43]
	v_add_f64 v[0:1], v[0:1], 0
	s_waitcnt vmcnt(44) lgkmcnt(9)
	v_mul_f64 v[2:3], v[112:113], v[54:55]
	v_fmac_f64_e32 v[2:3], v[114:115], v[44:45]
	s_waitcnt vmcnt(42) lgkmcnt(8)
	v_mul_f64 v[4:5], v[174:175], v[46:47]
	v_add_f64 v[0:1], v[0:1], v[2:3]
	s_waitcnt vmcnt(40) lgkmcnt(6)
	v_mul_f64 v[8:9], v[186:187], v[58:59]
	v_mul_f64 v[46:47], v[176:177], v[46:47]
	s_waitcnt vmcnt(38)
	v_fmac_f64_e32 v[8:9], v[188:189], v[56:57]
	s_waitcnt vmcnt(36)
	v_mul_f64 v[6:7], v[178:179], v[60:61]
	s_waitcnt vmcnt(34) lgkmcnt(4)
	v_mul_f64 v[12:13], v[196:197], v[62:63]
	s_waitcnt vmcnt(32)
	v_fmac_f64_e32 v[12:13], v[198:199], v[64:65]
	s_waitcnt vmcnt(30)
	v_mul_f64 v[10:11], v[192:193], v[208:209]
	s_waitcnt vmcnt(28) lgkmcnt(2)
	v_mul_f64 v[16:17], v[204:205], v[68:69]
	s_waitcnt vmcnt(25)
	v_mul_f64 v[14:15], v[200:201], v[74:75]
	s_waitcnt vmcnt(23) lgkmcnt(1)
	v_mul_f64 v[18:19], v[210:211], v[72:73]
	s_waitcnt vmcnt(21)
	v_fmac_f64_e32 v[4:5], v[176:177], v[82:83]
	v_add_f64 v[0:1], v[0:1], v[4:5]
	s_waitcnt vmcnt(19)
	v_fmac_f64_e32 v[6:7], v[180:181], v[182:183]
	v_add_f64 v[0:1], v[0:1], v[6:7]
	;; [unrolled: 3-line block ×3, first 2 shown]
	v_add_f64 v[0:1], v[0:1], v[10:11]
	s_waitcnt vmcnt(15)
	v_fmac_f64_e32 v[14:15], v[202:203], v[76:77]
	v_add_f64 v[0:1], v[0:1], v[12:13]
	s_waitcnt vmcnt(14)
	v_fmac_f64_e32 v[16:17], v[206:207], v[70:71]
	v_add_f64 v[0:1], v[0:1], v[14:15]
	v_add_f64 v[2:3], v[0:1], v[16:17]
	buffer_load_dword v105, off, s[0:3], 0 offset:508
	buffer_load_dword v104, off, s[0:3], 0 offset:504
	;; [unrolled: 1-line block ×26, first 2 shown]
	s_waitcnt vmcnt(34)
	v_fmac_f64_e32 v[18:19], v[212:213], v[116:117]
	v_add_f64 v[2:3], v[2:3], v[18:19]
	s_waitcnt vmcnt(0)
	v_pk_mov_b32 v[20:21], v[4:5], v[4:5] op_sel:[0,1]
	buffer_load_dword v5, off, s[0:3], 0 offset:596
	buffer_load_dword v7, off, s[0:3], 0 offset:588
	;; [unrolled: 1-line block ×3, first 2 shown]
	v_accvgpr_write_b32 a199, v21
	v_accvgpr_write_b32 a198, v20
	s_waitcnt vmcnt(0)
	v_pk_mov_b32 v[14:15], v[6:7], v[6:7] op_sel:[0,1]
	buffer_load_dword v7, off, s[0:3], 0 offset:580
	buffer_load_dword v6, off, s[0:3], 0 offset:576
	;; [unrolled: 1-line block ×3, first 2 shown]
	v_accvgpr_write_b32 a195, v15
	v_accvgpr_write_b32 a194, v14
	s_waitcnt vmcnt(1)
	v_pk_mov_b32 v[16:17], v[6:7], v[6:7] op_sel:[0,1]
	s_waitcnt vmcnt(0)
	v_pk_mov_b32 v[22:23], v[4:5], v[4:5] op_sel:[0,1]
	buffer_load_dword v5, off, s[0:3], 0 offset:636
	buffer_load_dword v4, off, s[0:3], 0 offset:632
	v_accvgpr_write_b32 a197, v17
	v_accvgpr_write_b32 a196, v16
	;; [unrolled: 1-line block ×4, first 2 shown]
	s_waitcnt vmcnt(0)
	v_pk_mov_b32 v[26:27], v[4:5], v[4:5] op_sel:[0,1]
	buffer_load_dword v5, off, s[0:3], 0 offset:628
	buffer_load_dword v141, off, s[0:3], 0 offset:620
	;; [unrolled: 1-line block ×6, first 2 shown]
	v_accvgpr_write_b32 a203, v27
	v_accvgpr_write_b32 a202, v26
	s_waitcnt vmcnt(0)
	v_pk_mov_b32 v[28:29], v[4:5], v[4:5] op_sel:[0,1]
	buffer_load_dword v5, off, s[0:3], 0 offset:668
	buffer_load_dword v4, off, s[0:3], 0 offset:664
	v_accvgpr_write_b32 a205, v29
	v_accvgpr_write_b32 a204, v28
	s_waitcnt vmcnt(0)
	v_pk_mov_b32 v[34:35], v[4:5], v[4:5] op_sel:[0,1]
	buffer_load_dword v5, off, s[0:3], 0 offset:660
	buffer_load_dword v149, off, s[0:3], 0 offset:652
	;; [unrolled: 1-line block ×6, first 2 shown]
	v_accvgpr_write_b32 a207, v35
	v_accvgpr_write_b32 a206, v34
	s_waitcnt vmcnt(0)
	v_pk_mov_b32 v[36:37], v[4:5], v[4:5] op_sel:[0,1]
	buffer_load_dword v5, off, s[0:3], 0 offset:700
	buffer_load_dword v4, off, s[0:3], 0 offset:696
	v_accvgpr_write_b32 a209, v37
	v_accvgpr_write_b32 a208, v36
	s_waitcnt vmcnt(0)
	v_pk_mov_b32 v[38:39], v[4:5], v[4:5] op_sel:[0,1]
	buffer_load_dword v5, off, s[0:3], 0 offset:692
	buffer_load_dword v153, off, s[0:3], 0 offset:684
	;; [unrolled: 1-line block ×20, first 2 shown]
	ds_read_b128 v[220:223], v190 offset:1456
	ds_read_b128 v[224:227], v190 offset:1472
	;; [unrolled: 1-line block ×12, first 2 shown]
	s_waitcnt lgkmcnt(4)
	v_mul_f64 v[8:9], v[252:253], v[98:99]
	v_fmac_f64_e32 v[8:9], v[254:255], v[100:101]
	s_waitcnt lgkmcnt(3)
	v_mul_f64 v[12:13], v[134:135], v[14:15]
	v_fmac_f64_e32 v[12:13], v[136:137], v[16:17]
	;; [unrolled: 3-line block ×3, first 2 shown]
	s_waitcnt lgkmcnt(1)
	v_mul_f64 v[20:21], v[126:127], v[140:141]
	ds_read_b128 v[118:121], v190 offset:1648
	v_fmac_f64_e32 v[20:21], v[128:129], v[144:145]
	s_waitcnt lgkmcnt(1)
	v_mul_f64 v[24:25], v[122:123], v[26:27]
	v_fmac_f64_e32 v[24:25], v[124:125], v[28:29]
	v_accvgpr_write_b32 a211, v39
	v_accvgpr_write_b32 a210, v38
	s_waitcnt vmcnt(14)
	v_pk_mov_b32 v[40:41], v[4:5], v[4:5] op_sel:[0,1]
	v_mul_f64 v[4:5], v[50:51], v[84:85]
	v_fmac_f64_e32 v[4:5], v[52:53], v[86:87]
	v_add_f64 v[2:3], v[2:3], v[4:5]
	v_mul_f64 v[4:5], v[220:221], v[94:95]
	v_fmac_f64_e32 v[4:5], v[222:223], v[248:249]
	v_add_f64 v[2:3], v[2:3], v[4:5]
	;; [unrolled: 3-line block ×8, first 2 shown]
	v_add_f64 v[10:11], v[6:7], v[8:9]
	v_add_f64 v[14:15], v[10:11], v[12:13]
	v_add_f64 v[18:19], v[14:15], v[16:17]
	v_add_f64 v[22:23], v[18:19], v[20:21]
	v_add_f64 v[26:27], v[22:23], v[24:25]
	ds_read_b128 v[22:25], v190 offset:1664
	s_waitcnt lgkmcnt(1)
	v_mul_f64 v[28:29], v[118:119], v[148:149]
	v_fmac_f64_e32 v[28:29], v[120:121], v[150:151]
	v_add_f64 v[30:31], v[26:27], v[28:29]
	ds_read_b128 v[26:29], v190 offset:1680
	s_waitcnt lgkmcnt(1)
	v_mul_f64 v[32:33], v[22:23], v[34:35]
	v_fmac_f64_e32 v[32:33], v[24:25], v[36:37]
	v_add_f64 v[34:35], v[30:31], v[32:33]
	;; [unrolled: 5-line block ×3, first 2 shown]
	ds_read_b128 v[34:37], v190 offset:1712
	s_waitcnt lgkmcnt(1)
	v_mul_f64 v[166:167], v[30:31], v[38:39]
	v_accvgpr_write_b32 a213, v41
	v_fmac_f64_e32 v[166:167], v[32:33], v[40:41]
	v_accvgpr_write_b32 a212, v40
	ds_read_b128 v[38:41], v190 offset:1728
	v_add_f64 v[164:165], v[164:165], v[166:167]
	s_waitcnt vmcnt(9) lgkmcnt(1)
	v_mul_f64 v[166:167], v[34:35], v[156:157]
	s_waitcnt vmcnt(7)
	v_fmac_f64_e32 v[166:167], v[36:37], v[160:161]
	v_add_f64 v[164:165], v[164:165], v[166:167]
	s_waitcnt lgkmcnt(0)
	v_mul_f64 v[166:167], v[38:39], v[138:139]
	s_waitcnt vmcnt(6)
	v_fmac_f64_e32 v[166:167], v[40:41], v[142:143]
	v_add_f64 v[2:3], v[164:165], v[166:167]
	buffer_load_dword v167, off, s[0:3], 0 offset:756
	buffer_load_dword v166, off, s[0:3], 0 offset:752
	v_mul_f64 v[4:5], v[110:111], v[48:49]
	buffer_load_dword v164, off, s[0:3], 0 offset:792
	v_fma_f64 v[18:19], v[108:109], v[42:43], -v[4:5]
	v_mul_f64 v[42:43], v[114:115], v[54:55]
	buffer_load_dword v171, off, s[0:3], 0 offset:780
	buffer_load_dword v170, off, s[0:3], 0 offset:776
	;; [unrolled: 1-line block ×7, first 2 shown]
	v_fma_f64 v[108:109], v[112:113], v[44:45], -v[42:43]
	ds_read_b128 v[42:45], v190 offset:1744
	v_fma_f64 v[110:111], v[174:175], v[82:83], -v[46:47]
	v_mul_f64 v[46:47], v[180:181], v[60:61]
	buffer_load_dword v175, off, s[0:3], 0 offset:812
	buffer_load_dword v174, off, s[0:3], 0 offset:808
	;; [unrolled: 1-line block ×4, first 2 shown]
	v_fma_f64 v[112:113], v[178:179], v[182:183], -v[46:47]
	buffer_load_dword v179, off, s[0:3], 0 offset:828
	buffer_load_dword v178, off, s[0:3], 0 offset:824
	;; [unrolled: 1-line block ×8, first 2 shown]
	v_mul_f64 v[46:47], v[188:189], v[58:59]
	v_fma_f64 v[114:115], v[186:187], v[56:57], -v[46:47]
	buffer_load_dword v186, off, s[0:3], 0 offset:856
	v_mul_f64 v[46:47], v[194:195], v[208:209]
	v_fma_f64 v[214:215], v[192:193], v[214:215], -v[46:47]
	buffer_load_dword v192, off, s[0:3], 0 offset:848
	buffer_load_dword v187, off, s[0:3], 0 offset:860
	;; [unrolled: 1-line block ×3, first 2 shown]
	v_mul_f64 v[46:47], v[198:199], v[62:63]
	v_fma_f64 v[14:15], v[196:197], v[64:65], -v[46:47]
	buffer_load_dword v188, off, s[0:3], 0 offset:888
	buffer_load_dword v197, off, s[0:3], 0 offset:876
	;; [unrolled: 1-line block ×8, first 2 shown]
	v_mul_f64 v[46:47], v[202:203], v[74:75]
	v_fma_f64 v[10:11], v[200:201], v[76:77], -v[46:47]
	buffer_load_dword v201, off, s[0:3], 0 offset:908
	buffer_load_dword v200, off, s[0:3], 0 offset:904
	;; [unrolled: 1-line block ×4, first 2 shown]
	v_mul_f64 v[12:13], v[206:207], v[68:69]
	buffer_load_dword v207, off, s[0:3], 0 offset:924
	buffer_load_dword v206, off, s[0:3], 0 offset:920
	;; [unrolled: 1-line block ×4, first 2 shown]
	s_waitcnt vmcnt(44) lgkmcnt(0)
	v_mul_f64 v[8:9], v[42:43], v[158:159]
	v_mul_f64 v[46:47], v[212:213], v[72:73]
	s_waitcnt vmcnt(42)
	v_fmac_f64_e32 v[8:9], v[44:45], v[162:163]
	v_fma_f64 v[12:13], v[204:205], v[70:71], -v[12:13]
	v_fma_f64 v[6:7], v[210:211], v[116:117], -v[46:47]
	buffer_load_dword v204, off, s[0:3], 0 offset:952
	buffer_load_dword v213, off, s[0:3], 0 offset:940
	;; [unrolled: 1-line block ×12, first 2 shown]
	ds_read_b128 v[46:49], v190 offset:1760
	v_add_f64 v[2:3], v[2:3], v[8:9]
	v_mul_f64 v[8:9], v[52:53], v[84:85]
	v_fma_f64 v[8:9], v[50:51], v[86:87], -v[8:9]
	ds_read_b128 v[50:53], v190 offset:1776
	v_mul_f64 v[54:55], v[222:223], v[94:95]
	v_fma_f64 v[248:249], v[220:221], v[248:249], -v[54:55]
	ds_read_b128 v[54:57], v190 offset:1792
	ds_read_b128 v[58:61], v190 offset:1808
	s_waitcnt lgkmcnt(3)
	v_mul_f64 v[16:17], v[46:47], v[146:147]
	ds_read_b128 v[62:65], v190 offset:1824
	v_mul_f64 v[68:69], v[230:231], v[250:251]
	v_fma_f64 v[250:251], v[228:229], v[66:67], -v[68:69]
	ds_read_b128 v[66:69], v190 offset:1840
	v_mul_f64 v[74:75], v[234:235], v[104:105]
	v_fma_f64 v[232:233], v[232:233], v[106:107], -v[74:75]
	v_mul_f64 v[78:79], v[238:239], v[78:79]
	v_fma_f64 v[4:5], v[236:237], v[80:81], -v[78:79]
	ds_read_b128 v[78:81], v190 offset:1888
	v_mul_f64 v[0:1], v[242:243], v[0:1]
	v_add_f64 v[18:19], v[18:19], 0
	v_add_f64 v[18:19], v[18:19], v[108:109]
	;; [unrolled: 1-line block ×7, first 2 shown]
	ds_read_b128 v[74:77], v190 offset:1872
	v_add_f64 v[10:11], v[14:15], v[10:11]
	v_add_f64 v[10:11], v[10:11], v[12:13]
	;; [unrolled: 1-line block ×5, first 2 shown]
	v_accvgpr_read_b32 v8, a196
	v_accvgpr_read_b32 v9, a197
	s_waitcnt vmcnt(52)
	v_fmac_f64_e32 v[16:17], v[48:49], v[166:167]
	v_add_f64 v[2:3], v[2:3], v[16:17]
	s_waitcnt vmcnt(49) lgkmcnt(6)
	v_mul_f64 v[16:17], v[50:51], v[170:171]
	s_waitcnt vmcnt(47)
	v_fmac_f64_e32 v[16:17], v[52:53], v[172:173]
	v_add_f64 v[2:3], v[2:3], v[16:17]
	s_waitcnt vmcnt(45) lgkmcnt(5)
	v_mul_f64 v[16:17], v[54:55], v[164:165]
	;; [unrolled: 5-line block ×3, first 2 shown]
	v_mul_f64 v[16:17], v[226:227], v[88:89]
	s_waitcnt vmcnt(40)
	v_fmac_f64_e32 v[70:71], v[60:61], v[176:177]
	v_add_f64 v[2:3], v[2:3], v[70:71]
	s_waitcnt vmcnt(38) lgkmcnt(3)
	v_mul_f64 v[70:71], v[62:63], v[178:179]
	s_waitcnt vmcnt(36)
	v_fmac_f64_e32 v[70:71], v[64:65], v[182:183]
	v_add_f64 v[2:3], v[2:3], v[70:71]
	s_waitcnt vmcnt(34) lgkmcnt(2)
	v_mul_f64 v[70:71], v[66:67], v[180:181]
	s_waitcnt vmcnt(32)
	v_fmac_f64_e32 v[70:71], v[68:69], v[184:185]
	v_add_f64 v[2:3], v[2:3], v[70:71]
	ds_read_b128 v[70:73], v190 offset:1856
	s_waitcnt vmcnt(25) lgkmcnt(1)
	v_mul_f64 v[20:21], v[74:75], v[196:197]
	s_waitcnt vmcnt(23)
	v_fmac_f64_e32 v[20:21], v[76:77], v[198:199]
	ds_read_b128 v[86:89], v190 offset:1920
	v_fma_f64 v[16:17], v[224:225], v[90:91], -v[16:17]
	s_waitcnt lgkmcnt(1)
	v_mul_f64 v[82:83], v[70:71], v[186:187]
	v_fmac_f64_e32 v[82:83], v[72:73], v[192:193]
	v_add_f64 v[2:3], v[2:3], v[82:83]
	ds_read_b128 v[82:85], v190 offset:1904
	v_add_f64 v[2:3], v[2:3], v[20:21]
	s_waitcnt vmcnt(21)
	v_mul_f64 v[20:21], v[78:79], v[188:189]
	s_waitcnt vmcnt(20)
	v_fmac_f64_e32 v[20:21], v[80:81], v[194:195]
	v_add_f64 v[2:3], v[2:3], v[20:21]
	v_fma_f64 v[20:21], v[240:241], v[92:93], -v[0:1]
	s_waitcnt vmcnt(18) lgkmcnt(0)
	v_mul_f64 v[0:1], v[82:83], v[200:201]
	s_waitcnt vmcnt(16)
	v_fmac_f64_e32 v[0:1], v[84:85], v[202:203]
	v_mul_f64 v[90:91], v[246:247], v[96:97]
	v_fma_f64 v[106:107], v[244:245], v[102:103], -v[90:91]
	ds_read_b128 v[90:93], v190 offset:1936
	v_add_f64 v[0:1], v[2:3], v[0:1]
	s_waitcnt vmcnt(14)
	v_mul_f64 v[2:3], v[86:87], v[206:207]
	s_waitcnt vmcnt(12)
	v_fmac_f64_e32 v[2:3], v[88:89], v[208:209]
	v_add_f64 v[0:1], v[0:1], v[2:3]
	v_mul_f64 v[2:3], v[254:255], v[98:99]
	ds_read_b128 v[94:97], v190 offset:1952
	v_fma_f64 v[252:253], v[252:253], v[100:101], -v[2:3]
	ds_read_b128 v[98:101], v190 offset:1968
	buffer_load_dword v220, off, s[0:3], 0 offset:984
	buffer_load_dword v221, off, s[0:3], 0 offset:988
	;; [unrolled: 1-line block ×4, first 2 shown]
	ds_read_b128 v[102:105], v190 offset:1984
	buffer_load_dword v225, off, s[0:3], 0 offset:1004
	buffer_load_dword v224, off, s[0:3], 0 offset:1000
	;; [unrolled: 1-line block ×4, first 2 shown]
	s_waitcnt vmcnt(17) lgkmcnt(3)
	v_mul_f64 v[2:3], v[90:91], v[212:213]
	s_waitcnt vmcnt(15)
	v_fmac_f64_e32 v[2:3], v[92:93], v[216:217]
	v_add_f64 v[0:1], v[0:1], v[2:3]
	s_waitcnt vmcnt(13) lgkmcnt(2)
	v_mul_f64 v[2:3], v[94:95], v[204:205]
	s_waitcnt vmcnt(12)
	v_fmac_f64_e32 v[2:3], v[96:97], v[210:211]
	v_add_f64 v[0:1], v[0:1], v[2:3]
	;; [unrolled: 5-line block ×3, first 2 shown]
	v_add_f64 v[6:7], v[6:7], v[16:17]
	v_add_f64 v[6:7], v[6:7], v[250:251]
	;; [unrolled: 1-line block ×4, first 2 shown]
	v_accvgpr_read_b32 v6, a194
	v_add_f64 v[254:255], v[4:5], v[20:21]
	v_accvgpr_read_b32 v7, a195
	v_add_f64 v[4:5], v[254:255], v[106:107]
	v_mul_f64 v[6:7], v[136:137], v[6:7]
	v_add_f64 v[4:5], v[4:5], v[252:253]
	v_fma_f64 v[6:7], v[134:135], v[8:9], -v[6:7]
	v_add_f64 v[4:5], v[4:5], v[6:7]
	v_accvgpr_read_b32 v6, a198
	v_accvgpr_read_b32 v7, a199
	v_accvgpr_read_b32 v8, a200
	v_mul_f64 v[6:7], v[132:133], v[6:7]
	v_accvgpr_read_b32 v9, a201
	v_fma_f64 v[6:7], v[130:131], v[8:9], -v[6:7]
	v_add_f64 v[4:5], v[4:5], v[6:7]
	v_mul_f64 v[6:7], v[128:129], v[140:141]
	v_fma_f64 v[6:7], v[126:127], v[144:145], -v[6:7]
	v_add_f64 v[4:5], v[4:5], v[6:7]
	v_accvgpr_read_b32 v6, a202
	v_accvgpr_read_b32 v7, a203
	v_accvgpr_read_b32 v8, a204
	v_mul_f64 v[6:7], v[124:125], v[6:7]
	v_accvgpr_read_b32 v9, a205
	v_fma_f64 v[6:7], v[122:123], v[8:9], -v[6:7]
	v_add_f64 v[4:5], v[4:5], v[6:7]
	v_mul_f64 v[6:7], v[120:121], v[148:149]
	v_fma_f64 v[6:7], v[118:119], v[150:151], -v[6:7]
	v_add_f64 v[4:5], v[4:5], v[6:7]
	v_accvgpr_read_b32 v6, a206
	v_accvgpr_read_b32 v7, a207
	v_accvgpr_read_b32 v8, a208
	v_mul_f64 v[6:7], v[24:25], v[6:7]
	v_accvgpr_read_b32 v9, a209
	v_fma_f64 v[6:7], v[22:23], v[8:9], -v[6:7]
	v_add_f64 v[4:5], v[4:5], v[6:7]
	v_mul_f64 v[6:7], v[28:29], v[152:153]
	v_fma_f64 v[6:7], v[26:27], v[154:155], -v[6:7]
	v_add_f64 v[4:5], v[4:5], v[6:7]
	v_accvgpr_read_b32 v6, a210
	v_accvgpr_read_b32 v7, a211
	v_accvgpr_read_b32 v8, a212
	v_mul_f64 v[6:7], v[32:33], v[6:7]
	v_accvgpr_read_b32 v9, a213
	v_fma_f64 v[6:7], v[30:31], v[8:9], -v[6:7]
	v_add_f64 v[4:5], v[4:5], v[6:7]
	v_mul_f64 v[6:7], v[36:37], v[156:157]
	v_fma_f64 v[6:7], v[34:35], v[160:161], -v[6:7]
	v_add_f64 v[4:5], v[4:5], v[6:7]
	v_mul_f64 v[6:7], v[40:41], v[138:139]
	v_fma_f64 v[6:7], v[38:39], v[142:143], -v[6:7]
	v_add_f64 v[4:5], v[4:5], v[6:7]
	v_mul_f64 v[6:7], v[44:45], v[158:159]
	;; [unrolled: 3-line block ×5, first 2 shown]
	v_fma_f64 v[6:7], v[54:55], v[168:169], -v[6:7]
	s_waitcnt vmcnt(6) lgkmcnt(0)
	v_mul_f64 v[2:3], v[102:103], v[220:221]
	v_add_f64 v[4:5], v[4:5], v[6:7]
	s_waitcnt vmcnt(4)
	v_fmac_f64_e32 v[2:3], v[104:105], v[222:223]
	v_add_f64 v[228:229], v[0:1], v[2:3]
	ds_read_b128 v[0:3], v190 offset:2000
	v_mul_f64 v[6:7], v[60:61], v[174:175]
	v_fma_f64 v[6:7], v[58:59], v[176:177], -v[6:7]
	v_add_f64 v[4:5], v[4:5], v[6:7]
	v_mul_f64 v[6:7], v[64:65], v[178:179]
	s_waitcnt vmcnt(2) lgkmcnt(0)
	v_mul_f64 v[230:231], v[0:1], v[224:225]
	s_waitcnt vmcnt(0)
	v_fmac_f64_e32 v[230:231], v[2:3], v[226:227]
	v_add_f64 v[234:235], v[228:229], v[230:231]
	buffer_load_dword v228, off, s[0:3], 0 offset:1016
	buffer_load_dword v229, off, s[0:3], 0 offset:1020
	;; [unrolled: 1-line block ×4, first 2 shown]
	ds_read_b128 v[238:241], v190 offset:2016
	v_fma_f64 v[6:7], v[62:63], v[182:183], -v[6:7]
	v_add_f64 v[4:5], v[4:5], v[6:7]
	v_mul_f64 v[6:7], v[68:69], v[180:181]
	v_fma_f64 v[6:7], v[66:67], v[184:185], -v[6:7]
	v_add_f64 v[4:5], v[4:5], v[6:7]
	v_mul_f64 v[6:7], v[72:73], v[186:187]
	;; [unrolled: 3-line block ×10, first 2 shown]
	v_fma_f64 v[6:7], v[102:103], v[222:223], -v[6:7]
	v_mul_f64 v[2:3], v[2:3], v[224:225]
	v_add_f64 v[4:5], v[4:5], v[6:7]
	v_fma_f64 v[0:1], v[0:1], v[226:227], -v[2:3]
	v_add_f64 v[0:1], v[4:5], v[0:1]
	s_waitcnt vmcnt(2) lgkmcnt(0)
	v_mul_f64 v[236:237], v[238:239], v[228:229]
	v_mul_f64 v[2:3], v[240:241], v[228:229]
	s_waitcnt vmcnt(0)
	v_fmac_f64_e32 v[236:237], v[240:241], v[230:231]
	v_add_f64 v[246:247], v[234:235], v[236:237]
	buffer_load_dword v235, off, s[0:3], 0 offset:1036
	buffer_load_dword v234, off, s[0:3], 0 offset:1032
	;; [unrolled: 1-line block ×4, first 2 shown]
	ds_read_b128 v[242:245], v190 offset:2032
	v_fma_f64 v[2:3], v[238:239], v[230:231], -v[2:3]
	v_add_f64 v[0:1], v[0:1], v[2:3]
	s_waitcnt vmcnt(2) lgkmcnt(0)
	v_mul_f64 v[190:191], v[242:243], v[234:235]
	v_mul_f64 v[2:3], v[244:245], v[234:235]
	s_waitcnt vmcnt(0)
	v_fmac_f64_e32 v[190:191], v[244:245], v[236:237]
	v_add_f64 v[190:191], v[246:247], v[190:191]
	buffer_load_dword v248, off, s[0:3], 0 offset:256
	buffer_load_dword v249, off, s[0:3], 0 offset:260
	;; [unrolled: 1-line block ×4, first 2 shown]
	v_fma_f64 v[2:3], v[242:243], v[236:237], -v[2:3]
	v_add_f64 v[0:1], v[0:1], v[2:3]
	s_waitcnt vmcnt(2)
	v_add_f64 v[0:1], v[248:249], -v[0:1]
	s_waitcnt vmcnt(0)
	v_add_f64 v[2:3], v[246:247], -v[190:191]
	buffer_store_dword v1, off, s[0:3], 0 offset:260
	buffer_store_dword v0, off, s[0:3], 0 offset:256
	;; [unrolled: 1-line block ×4, first 2 shown]
	v_accvgpr_read_b32 v0, a191
	v_cmp_lt_u32_e32 vcc, 14, v0
	s_and_saveexec_b64 s[4:5], vcc
	s_cbranch_execz .LBB127_381
; %bb.380:
	v_accvgpr_read_b32 v3, a177
	buffer_load_dword v0, v3, s[0:3], 0 offen
	buffer_load_dword v1, v3, s[0:3], 0 offen offset:4
	buffer_load_dword v2, v3, s[0:3], 0 offen offset:8
	s_nop 0
	buffer_load_dword v3, v3, s[0:3], 0 offen offset:12
	v_mov_b32_e32 v4, 0
	v_accvgpr_read_b32 v5, a192
	buffer_store_dword v4, off, s[0:3], 0 offset:240
	buffer_store_dword v4, off, s[0:3], 0 offset:244
	;; [unrolled: 1-line block ×4, first 2 shown]
	s_waitcnt vmcnt(4)
	ds_write_b128 v5, v[0:3]
.LBB127_381:
	s_or_b64 exec, exec, s[4:5]
	s_waitcnt lgkmcnt(0)
	; wave barrier
	s_waitcnt lgkmcnt(0)
	buffer_load_dword v38, off, s[0:3], 0 offset:256
	buffer_load_dword v39, off, s[0:3], 0 offset:260
	;; [unrolled: 1-line block ×42, first 2 shown]
	v_mov_b32_e32 v190, 0
	buffer_load_dword v97, off, s[0:3], 0 offset:404
	buffer_load_dword v96, off, s[0:3], 0 offset:400
	buffer_load_dword v79, off, s[0:3], 0 offset:460
	buffer_load_dword v78, off, s[0:3], 0 offset:456
	buffer_load_dword v81, off, s[0:3], 0 offset:452
	buffer_load_dword v80, off, s[0:3], 0 offset:448
	buffer_load_dword v85, off, s[0:3], 0 offset:444
	ds_read_b128 v[106:109], v190 offset:1264
	ds_read_b128 v[110:113], v190 offset:1280
	;; [unrolled: 1-line block ×11, first 2 shown]
	s_waitcnt vmcnt(45) lgkmcnt(10)
	v_mul_f64 v[0:1], v[106:107], v[40:41]
	v_fmac_f64_e32 v[0:1], v[108:109], v[38:39]
	v_add_f64 v[0:1], v[0:1], 0
	v_mul_f64 v[40:41], v[108:109], v[40:41]
	s_waitcnt vmcnt(41) lgkmcnt(9)
	v_mul_f64 v[2:3], v[110:111], v[46:47]
	v_fmac_f64_e32 v[2:3], v[112:113], v[44:45]
	s_waitcnt vmcnt(39) lgkmcnt(8)
	v_mul_f64 v[4:5], v[114:115], v[42:43]
	v_add_f64 v[0:1], v[0:1], v[2:3]
	s_waitcnt vmcnt(37) lgkmcnt(6)
	v_mul_f64 v[8:9], v[180:181], v[48:49]
	v_mul_f64 v[42:43], v[116:117], v[42:43]
	s_waitcnt vmcnt(35)
	v_fmac_f64_e32 v[8:9], v[182:183], v[50:51]
	v_mul_f64 v[46:47], v[112:113], v[46:47]
	s_waitcnt vmcnt(33)
	v_mul_f64 v[6:7], v[170:171], v[52:53]
	s_waitcnt vmcnt(31) lgkmcnt(4)
	v_mul_f64 v[12:13], v[192:193], v[56:57]
	s_waitcnt vmcnt(29)
	v_fmac_f64_e32 v[12:13], v[194:195], v[54:55]
	s_waitcnt vmcnt(27)
	v_mul_f64 v[10:11], v[184:185], v[188:189]
	s_waitcnt vmcnt(25) lgkmcnt(2)
	v_mul_f64 v[16:17], v[200:201], v[64:65]
	s_waitcnt vmcnt(22)
	v_mul_f64 v[14:15], v[196:197], v[66:67]
	s_waitcnt vmcnt(20) lgkmcnt(1)
	v_mul_f64 v[18:19], v[204:205], v[60:61]
	s_waitcnt vmcnt(18)
	v_fmac_f64_e32 v[4:5], v[116:117], v[74:75]
	v_add_f64 v[0:1], v[0:1], v[4:5]
	s_waitcnt vmcnt(16)
	v_fmac_f64_e32 v[6:7], v[172:173], v[174:175]
	v_add_f64 v[0:1], v[0:1], v[6:7]
	;; [unrolled: 3-line block ×3, first 2 shown]
	v_add_f64 v[0:1], v[0:1], v[10:11]
	s_waitcnt vmcnt(12)
	v_fmac_f64_e32 v[14:15], v[198:199], v[68:69]
	v_add_f64 v[0:1], v[0:1], v[12:13]
	s_waitcnt vmcnt(11)
	v_fmac_f64_e32 v[16:17], v[202:203], v[62:63]
	v_add_f64 v[0:1], v[0:1], v[14:15]
	v_add_f64 v[2:3], v[0:1], v[16:17]
	buffer_load_dword v84, off, s[0:3], 0 offset:440
	buffer_load_dword v253, off, s[0:3], 0 offset:436
	;; [unrolled: 1-line block ×29, first 2 shown]
	s_waitcnt vmcnt(34)
	v_fmac_f64_e32 v[18:19], v[206:207], v[96:97]
	v_add_f64 v[2:3], v[2:3], v[18:19]
	v_fma_f64 v[108:109], v[114:115], v[74:75], -v[42:43]
	v_mul_f64 v[42:43], v[172:173], v[52:53]
	v_mul_f64 v[52:53], v[206:207], v[60:61]
	s_waitcnt vmcnt(0)
	v_pk_mov_b32 v[14:15], v[0:1], v[0:1] op_sel:[0,1]
	buffer_load_dword v1, off, s[0:3], 0 offset:580
	buffer_load_dword v0, off, s[0:3], 0 offset:576
	v_accvgpr_write_b32 a195, v15
	v_accvgpr_write_b32 a194, v14
	s_waitcnt vmcnt(0)
	v_pk_mov_b32 v[16:17], v[0:1], v[0:1] op_sel:[0,1]
	buffer_load_dword v1, off, s[0:3], 0 offset:572
	buffer_load_dword v0, off, s[0:3], 0 offset:568
	;; [unrolled: 1-line block ×6, first 2 shown]
	v_accvgpr_write_b32 a197, v17
	v_accvgpr_write_b32 a196, v16
	s_waitcnt vmcnt(0)
	v_pk_mov_b32 v[22:23], v[4:5], v[4:5] op_sel:[0,1]
	buffer_load_dword v5, off, s[0:3], 0 offset:612
	buffer_load_dword v4, off, s[0:3], 0 offset:608
	v_accvgpr_write_b32 a201, v23
	v_accvgpr_write_b32 a200, v22
	s_waitcnt vmcnt(0)
	v_pk_mov_b32 v[24:25], v[4:5], v[4:5] op_sel:[0,1]
	buffer_load_dword v5, off, s[0:3], 0 offset:604
	buffer_load_dword v4, off, s[0:3], 0 offset:600
	;; [unrolled: 6-line block ×3, first 2 shown]
	buffer_load_dword v5, off, s[0:3], 0 offset:652
	buffer_load_dword v4, off, s[0:3], 0 offset:648
	v_accvgpr_write_b32 a199, v21
	v_accvgpr_write_b32 a198, v20
	s_waitcnt vmcnt(0)
	v_pk_mov_b32 v[30:31], v[4:5], v[4:5] op_sel:[0,1]
	buffer_load_dword v5, off, s[0:3], 0 offset:644
	buffer_load_dword v4, off, s[0:3], 0 offset:640
	v_accvgpr_write_b32 a205, v31
	v_accvgpr_write_b32 a204, v30
	s_waitcnt vmcnt(0)
	v_pk_mov_b32 v[32:33], v[4:5], v[4:5] op_sel:[0,1]
	buffer_load_dword v147, off, s[0:3], 0 offset:636
	buffer_load_dword v146, off, s[0:3], 0 offset:632
	buffer_load_dword v149, off, s[0:3], 0 offset:628
	buffer_load_dword v148, off, s[0:3], 0 offset:624
	buffer_load_dword v5, off, s[0:3], 0 offset:684
	buffer_load_dword v4, off, s[0:3], 0 offset:680
	v_accvgpr_write_b32 a207, v33
	v_accvgpr_write_b32 a206, v32
	s_waitcnt vmcnt(0)
	v_pk_mov_b32 v[162:163], v[4:5], v[4:5] op_sel:[0,1]
	buffer_load_dword v5, off, s[0:3], 0 offset:676
	buffer_load_dword v4, off, s[0:3], 0 offset:672
	v_accvgpr_write_b32 a209, v163
	v_accvgpr_write_b32 a208, v162
	s_waitcnt vmcnt(0)
	v_pk_mov_b32 v[164:165], v[4:5], v[4:5] op_sel:[0,1]
	buffer_load_dword v151, off, s[0:3], 0 offset:668
	buffer_load_dword v150, off, s[0:3], 0 offset:664
	buffer_load_dword v153, off, s[0:3], 0 offset:660
	buffer_load_dword v152, off, s[0:3], 0 offset:656
	buffer_load_dword v5, off, s[0:3], 0 offset:716
	buffer_load_dword v4, off, s[0:3], 0 offset:712
	v_accvgpr_write_b32 a211, v165
	v_accvgpr_write_b32 a210, v164
	s_waitcnt vmcnt(0)
	v_pk_mov_b32 v[166:167], v[4:5], v[4:5] op_sel:[0,1]
	buffer_load_dword v5, off, s[0:3], 0 offset:708
	buffer_load_dword v4, off, s[0:3], 0 offset:704
	v_accvgpr_write_b32 a213, v167
	v_accvgpr_write_b32 a212, v166
	s_waitcnt vmcnt(0)
	v_pk_mov_b32 v[168:169], v[4:5], v[4:5] op_sel:[0,1]
	buffer_load_dword v155, off, s[0:3], 0 offset:700
	buffer_load_dword v154, off, s[0:3], 0 offset:696
	buffer_load_dword v157, off, s[0:3], 0 offset:692
	buffer_load_dword v156, off, s[0:3], 0 offset:688
	buffer_load_dword v5, off, s[0:3], 0 offset:748
	buffer_load_dword v4, off, s[0:3], 0 offset:744
	;; [unrolled: 1-line block ×8, first 2 shown]
	ds_read_b128 v[216:219], v190 offset:1440
	ds_read_b128 v[220:223], v190 offset:1456
	;; [unrolled: 1-line block ×14, first 2 shown]
	s_waitcnt lgkmcnt(5)
	v_mul_f64 v[8:9], v[248:249], v[0:1]
	v_fmac_f64_e32 v[8:9], v[250:251], v[94:95]
	s_waitcnt lgkmcnt(4)
	v_mul_f64 v[12:13], v[138:139], v[14:15]
	v_fmac_f64_e32 v[12:13], v[140:141], v[16:17]
	s_waitcnt lgkmcnt(3)
	v_mul_f64 v[16:17], v[134:135], v[20:21]
	ds_read_b128 v[118:121], v190 offset:1664
	v_fmac_f64_e32 v[16:17], v[136:137], v[142:143]
	s_waitcnt lgkmcnt(3)
	v_mul_f64 v[20:21], v[130:131], v[22:23]
	v_fmac_f64_e32 v[20:21], v[132:133], v[24:25]
	s_waitcnt lgkmcnt(2)
	v_mul_f64 v[24:25], v[126:127], v[146:147]
	;; [unrolled: 3-line block ×3, first 2 shown]
	v_fmac_f64_e32 v[28:29], v[124:125], v[32:33]
	v_accvgpr_write_b32 a215, v169
	v_accvgpr_write_b32 a214, v168
	v_mul_f64 v[60:61], v[226:227], v[254:255]
	v_mul_f64 v[0:1], v[250:251], v[0:1]
	v_fma_f64 v[250:251], v[248:249], v[94:95], -v[0:1]
	s_waitcnt vmcnt(6)
	v_pk_mov_b32 v[214:215], v[4:5], v[4:5] op_sel:[0,1]
	v_mul_f64 v[4:5], v[208:209], v[76:77]
	v_fmac_f64_e32 v[4:5], v[210:211], v[82:83]
	v_add_f64 v[2:3], v[2:3], v[4:5]
	v_mul_f64 v[4:5], v[216:217], v[84:85]
	v_fmac_f64_e32 v[4:5], v[218:219], v[252:253]
	v_add_f64 v[2:3], v[2:3], v[4:5]
	;; [unrolled: 3-line block ×9, first 2 shown]
	v_add_f64 v[10:11], v[6:7], v[8:9]
	v_add_f64 v[14:15], v[10:11], v[12:13]
	;; [unrolled: 1-line block ×6, first 2 shown]
	ds_read_b128 v[26:29], v190 offset:1680
	s_waitcnt lgkmcnt(1)
	v_mul_f64 v[32:33], v[118:119], v[150:151]
	v_fmac_f64_e32 v[32:33], v[120:121], v[152:153]
	v_add_f64 v[34:35], v[30:31], v[32:33]
	ds_read_b128 v[30:33], v190 offset:1696
	s_waitcnt lgkmcnt(1)
	v_mul_f64 v[36:37], v[26:27], v[162:163]
	v_fmac_f64_e32 v[36:37], v[28:29], v[164:165]
	v_add_f64 v[162:163], v[34:35], v[36:37]
	ds_read_b128 v[34:37], v190 offset:1712
	s_waitcnt lgkmcnt(1)
	v_mul_f64 v[4:5], v[30:31], v[154:155]
	v_fmac_f64_e32 v[4:5], v[32:33], v[156:157]
	v_fma_f64 v[18:19], v[106:107], v[38:39], -v[40:41]
	ds_read_b128 v[38:41], v190 offset:1728
	v_add_f64 v[4:5], v[162:163], v[4:5]
	buffer_load_dword v163, off, s[0:3], 0 offset:764
	buffer_load_dword v162, off, s[0:3], 0 offset:760
	;; [unrolled: 1-line block ×4, first 2 shown]
	s_waitcnt lgkmcnt(1)
	v_mul_f64 v[106:107], v[34:35], v[166:167]
	v_fmac_f64_e32 v[106:107], v[36:37], v[168:169]
	buffer_load_dword v22, off, s[0:3], 0 offset:776
	buffer_load_dword v168, off, s[0:3], 0 offset:768
	;; [unrolled: 1-line block ×4, first 2 shown]
	v_fma_f64 v[166:167], v[110:111], v[44:45], -v[46:47]
	v_fma_f64 v[110:111], v[170:171], v[174:175], -v[42:43]
	buffer_load_dword v171, off, s[0:3], 0 offset:812
	buffer_load_dword v173, off, s[0:3], 0 offset:796
	;; [unrolled: 1-line block ×8, first 2 shown]
	v_mul_f64 v[46:47], v[182:183], v[48:49]
	ds_read_b128 v[42:45], v190 offset:1744
	v_fma_f64 v[112:113], v[180:181], v[50:51], -v[46:47]
	buffer_load_dword v174, off, s[0:3], 0 offset:840
	buffer_load_dword v181, off, s[0:3], 0 offset:828
	;; [unrolled: 1-line block ×5, first 2 shown]
	v_mul_f64 v[46:47], v[186:187], v[188:189]
	v_fma_f64 v[14:15], v[184:185], v[212:213], -v[46:47]
	buffer_load_dword v184, off, s[0:3], 0 offset:832
	buffer_load_dword v175, off, s[0:3], 0 offset:844
	;; [unrolled: 1-line block ×7, first 2 shown]
	v_mul_f64 v[8:9], v[194:195], v[56:57]
	v_mul_f64 v[46:47], v[198:199], v[66:67]
	v_fma_f64 v[10:11], v[192:193], v[54:55], -v[8:9]
	v_fma_f64 v[8:9], v[196:197], v[68:69], -v[46:47]
	buffer_load_dword v194, off, s[0:3], 0 offset:872
	buffer_load_dword v196, off, s[0:3], 0 offset:864
	;; [unrolled: 1-line block ×4, first 2 shown]
	v_mul_f64 v[12:13], v[202:203], v[64:65]
	v_fma_f64 v[12:13], v[200:201], v[62:63], -v[12:13]
	buffer_load_dword v193, off, s[0:3], 0 offset:908
	buffer_load_dword v199, off, s[0:3], 0 offset:892
	;; [unrolled: 1-line block ×8, first 2 shown]
	ds_read_b128 v[46:49], v190 offset:1760
	v_fma_f64 v[6:7], v[204:205], v[96:97], -v[52:53]
	buffer_load_dword v205, off, s[0:3], 0 offset:924
	buffer_load_dword v204, off, s[0:3], 0 offset:920
	;; [unrolled: 1-line block ×4, first 2 shown]
	v_add_f64 v[4:5], v[4:5], v[106:107]
	s_waitcnt vmcnt(46) lgkmcnt(2)
	v_mul_f64 v[106:107], v[38:39], v[158:159]
	v_accvgpr_write_b32 a217, v215
	v_mul_f64 v[16:17], v[210:211], v[76:77]
	s_waitcnt vmcnt(44)
	v_fmac_f64_e32 v[106:107], v[40:41], v[160:161]
	s_waitcnt lgkmcnt(1)
	v_mul_f64 v[50:51], v[42:43], v[214:215]
	v_accvgpr_write_b32 a216, v214
	v_fma_f64 v[16:17], v[208:209], v[82:83], -v[16:17]
	buffer_load_dword v208, off, s[0:3], 0 offset:936
	buffer_load_dword v210, off, s[0:3], 0 offset:928
	;; [unrolled: 1-line block ×8, first 2 shown]
	v_add_f64 v[106:107], v[4:5], v[106:107]
	v_fmac_f64_e32 v[50:51], v[44:45], v[144:145]
	v_mul_f64 v[52:53], v[218:219], v[84:85]
	v_add_f64 v[50:51], v[106:107], v[50:51]
	v_fma_f64 v[106:107], v[216:217], v[252:253], -v[52:53]
	buffer_load_dword v216, off, s[0:3], 0 offset:968
	buffer_load_dword v218, off, s[0:3], 0 offset:960
	;; [unrolled: 1-line block ×4, first 2 shown]
	v_mul_f64 v[54:55], v[222:223], v[78:79]
	v_fma_f64 v[252:253], v[220:221], v[80:81], -v[54:55]
	v_fma_f64 v[254:255], v[224:225], v[58:59], -v[60:61]
	ds_read_b128 v[58:61], v190 offset:1808
	v_mul_f64 v[66:67], v[230:231], v[102:103]
	v_fma_f64 v[220:221], v[228:229], v[104:105], -v[66:67]
	ds_read_b128 v[66:69], v190 offset:1840
	v_mul_f64 v[70:71], v[234:235], v[70:71]
	ds_read_b128 v[54:57], v190 offset:1792
	v_fma_f64 v[4:5], v[232:233], v[72:73], -v[70:71]
	v_mul_f64 v[78:79], v[238:239], v[86:87]
	v_fma_f64 v[232:233], v[236:237], v[88:89], -v[78:79]
	v_mul_f64 v[82:83], v[242:243], v[98:99]
	v_fma_f64 v[2:3], v[240:241], v[100:101], -v[82:83]
	ds_read_b128 v[82:85], v190 offset:1904
	v_add_f64 v[18:19], v[18:19], 0
	v_add_f64 v[18:19], v[18:19], v[166:167]
	;; [unrolled: 1-line block ×4, first 2 shown]
	ds_read_b128 v[70:73], v190 offset:1856
	v_add_f64 v[18:19], v[18:19], v[112:113]
	v_add_f64 v[14:15], v[18:19], v[14:15]
	;; [unrolled: 1-line block ×10, first 2 shown]
	ds_read_b128 v[78:81], v190 offset:1888
	v_add_f64 v[6:7], v[6:7], v[220:221]
	v_add_f64 v[4:5], v[6:7], v[4:5]
	;; [unrolled: 1-line block ×4, first 2 shown]
	v_accvgpr_read_b32 v4, a194
	v_accvgpr_read_b32 v5, a195
	s_waitcnt vmcnt(54) lgkmcnt(6)
	v_mul_f64 v[52:53], v[46:47], v[162:163]
	v_accvgpr_read_b32 v6, a196
	s_waitcnt vmcnt(52)
	v_fmac_f64_e32 v[52:53], v[48:49], v[164:165]
	v_add_f64 v[62:63], v[50:51], v[52:53]
	ds_read_b128 v[50:53], v190 offset:1776
	ds_read_b128 v[94:97], v190 offset:1952
	v_mul_f64 v[4:5], v[140:141], v[4:5]
	v_accvgpr_read_b32 v7, a197
	v_fma_f64 v[4:5], v[138:139], v[6:7], -v[4:5]
	s_waitcnt vmcnt(49) lgkmcnt(1)
	v_mul_f64 v[64:65], v[50:51], v[22:23]
	s_waitcnt vmcnt(48)
	v_fmac_f64_e32 v[64:65], v[52:53], v[168:169]
	v_add_f64 v[62:63], v[62:63], v[64:65]
	s_waitcnt vmcnt(45)
	v_mul_f64 v[64:65], v[54:55], v[172:173]
	s_waitcnt vmcnt(43)
	v_fmac_f64_e32 v[64:65], v[56:57], v[178:179]
	v_add_f64 v[62:63], v[62:63], v[64:65]
	s_waitcnt vmcnt(42)
	v_mul_f64 v[64:65], v[58:59], v[170:171]
	s_waitcnt vmcnt(40)
	v_fmac_f64_e32 v[64:65], v[60:61], v[176:177]
	v_add_f64 v[74:75], v[62:63], v[64:65]
	ds_read_b128 v[62:65], v190 offset:1824
	s_waitcnt vmcnt(21)
	v_mul_f64 v[24:25], v[78:79], v[198:199]
	v_accvgpr_read_b32 v6, a202
	s_waitcnt vmcnt(19)
	v_fmac_f64_e32 v[24:25], v[80:81], v[202:203]
	v_accvgpr_read_b32 v7, a203
	s_waitcnt lgkmcnt(0)
	v_mul_f64 v[76:77], v[62:63], v[180:181]
	v_fmac_f64_e32 v[76:77], v[64:65], v[182:183]
	v_add_f64 v[20:21], v[74:75], v[76:77]
	v_mul_f64 v[74:75], v[66:67], v[174:175]
	v_fmac_f64_e32 v[74:75], v[68:69], v[184:185]
	v_add_f64 v[20:21], v[20:21], v[74:75]
	;; [unrolled: 3-line block ×3, first 2 shown]
	ds_read_b128 v[74:77], v190 offset:1872
	s_waitcnt lgkmcnt(0)
	v_mul_f64 v[86:87], v[74:75], v[194:195]
	v_fmac_f64_e32 v[86:87], v[76:77], v[196:197]
	v_add_f64 v[20:21], v[20:21], v[86:87]
	v_add_f64 v[20:21], v[20:21], v[24:25]
	ds_read_b128 v[86:89], v190 offset:1920
	s_waitcnt vmcnt(18)
	v_mul_f64 v[24:25], v[82:83], v[192:193]
	s_waitcnt vmcnt(16)
	v_fmac_f64_e32 v[24:25], v[84:85], v[200:201]
	v_add_f64 v[20:21], v[20:21], v[24:25]
	v_mul_f64 v[24:25], v[246:247], v[90:91]
	v_fma_f64 v[24:25], v[244:245], v[92:93], -v[24:25]
	ds_read_b128 v[90:93], v190 offset:1936
	s_waitcnt vmcnt(14) lgkmcnt(1)
	v_mul_f64 v[98:99], v[86:87], v[204:205]
	s_waitcnt vmcnt(12)
	v_fmac_f64_e32 v[98:99], v[88:89], v[206:207]
	v_add_f64 v[0:1], v[20:21], v[98:99]
	ds_read_b128 v[98:101], v190 offset:1968
	s_waitcnt vmcnt(9) lgkmcnt(1)
	v_mul_f64 v[20:21], v[90:91], v[208:209]
	s_waitcnt vmcnt(8)
	v_fmac_f64_e32 v[20:21], v[92:93], v[210:211]
	v_add_f64 v[0:1], v[0:1], v[20:21]
	s_waitcnt vmcnt(6)
	v_mul_f64 v[20:21], v[94:95], v[212:213]
	s_waitcnt vmcnt(4)
	v_fmac_f64_e32 v[20:21], v[96:97], v[214:215]
	v_add_f64 v[0:1], v[0:1], v[20:21]
	s_waitcnt vmcnt(1) lgkmcnt(0)
	v_mul_f64 v[20:21], v[98:99], v[216:217]
	s_waitcnt vmcnt(0)
	v_fmac_f64_e32 v[20:21], v[100:101], v[218:219]
	v_add_f64 v[20:21], v[0:1], v[20:21]
	buffer_load_dword v1, off, s[0:3], 0 offset:988
	buffer_load_dword v0, off, s[0:3], 0 offset:984
	buffer_load_dword v223, off, s[0:3], 0 offset:980
	buffer_load_dword v222, off, s[0:3], 0 offset:976
	ds_read_b128 v[102:105], v190 offset:1984
	buffer_load_dword v224, off, s[0:3], 0 offset:1000
	buffer_load_dword v225, off, s[0:3], 0 offset:1004
	buffer_load_dword v226, off, s[0:3], 0 offset:992
	buffer_load_dword v227, off, s[0:3], 0 offset:996
	ds_read_b128 v[238:241], v190 offset:2000
	;; [unrolled: 5-line block ×3, first 2 shown]
	buffer_load_dword v234, off, s[0:3], 0 offset:1032
	buffer_load_dword v235, off, s[0:3], 0 offset:1036
	;; [unrolled: 1-line block ×4, first 2 shown]
	v_add_f64 v[252:253], v[2:3], v[24:25]
	v_add_f64 v[2:3], v[252:253], v[250:251]
	;; [unrolled: 1-line block ×3, first 2 shown]
	v_accvgpr_read_b32 v4, a198
	v_accvgpr_read_b32 v5, a199
	v_mul_f64 v[4:5], v[136:137], v[4:5]
	v_fma_f64 v[4:5], v[134:135], v[142:143], -v[4:5]
	v_add_f64 v[2:3], v[2:3], v[4:5]
	v_accvgpr_read_b32 v4, a200
	v_accvgpr_read_b32 v5, a201
	v_mul_f64 v[4:5], v[132:133], v[4:5]
	v_fma_f64 v[4:5], v[130:131], v[6:7], -v[4:5]
	v_add_f64 v[2:3], v[2:3], v[4:5]
	v_mul_f64 v[4:5], v[128:129], v[146:147]
	v_fma_f64 v[4:5], v[126:127], v[148:149], -v[4:5]
	v_add_f64 v[2:3], v[2:3], v[4:5]
	v_accvgpr_read_b32 v4, a204
	v_accvgpr_read_b32 v5, a205
	v_accvgpr_read_b32 v6, a206
	v_mul_f64 v[4:5], v[124:125], v[4:5]
	v_accvgpr_read_b32 v7, a207
	v_fma_f64 v[4:5], v[122:123], v[6:7], -v[4:5]
	v_add_f64 v[2:3], v[2:3], v[4:5]
	v_mul_f64 v[4:5], v[120:121], v[150:151]
	v_fma_f64 v[4:5], v[118:119], v[152:153], -v[4:5]
	v_add_f64 v[2:3], v[2:3], v[4:5]
	v_accvgpr_read_b32 v4, a208
	v_accvgpr_read_b32 v5, a209
	v_accvgpr_read_b32 v6, a210
	v_mul_f64 v[4:5], v[28:29], v[4:5]
	v_accvgpr_read_b32 v7, a211
	;; [unrolled: 10-line block ×3, first 2 shown]
	v_fma_f64 v[4:5], v[34:35], v[6:7], -v[4:5]
	v_add_f64 v[2:3], v[2:3], v[4:5]
	v_mul_f64 v[4:5], v[40:41], v[158:159]
	v_fma_f64 v[4:5], v[38:39], v[160:161], -v[4:5]
	v_add_f64 v[2:3], v[2:3], v[4:5]
	v_accvgpr_read_b32 v4, a216
	v_accvgpr_read_b32 v5, a217
	v_mul_f64 v[4:5], v[44:45], v[4:5]
	v_fma_f64 v[4:5], v[42:43], v[144:145], -v[4:5]
	v_add_f64 v[2:3], v[2:3], v[4:5]
	v_mul_f64 v[4:5], v[48:49], v[162:163]
	v_fma_f64 v[4:5], v[46:47], v[164:165], -v[4:5]
	v_add_f64 v[2:3], v[2:3], v[4:5]
	;; [unrolled: 3-line block ×7, first 2 shown]
	v_mul_f64 v[4:5], v[72:73], v[186:187]
	v_fma_f64 v[4:5], v[70:71], v[188:189], -v[4:5]
	s_waitcnt vmcnt(14) lgkmcnt(2)
	v_mul_f64 v[114:115], v[102:103], v[0:1]
	v_add_f64 v[2:3], v[2:3], v[4:5]
	s_waitcnt vmcnt(12)
	v_fmac_f64_e32 v[114:115], v[104:105], v[222:223]
	v_add_f64 v[20:21], v[20:21], v[114:115]
	s_waitcnt vmcnt(10) lgkmcnt(1)
	v_mul_f64 v[114:115], v[238:239], v[224:225]
	s_waitcnt vmcnt(8)
	v_fmac_f64_e32 v[114:115], v[240:241], v[226:227]
	v_add_f64 v[20:21], v[20:21], v[114:115]
	s_waitcnt vmcnt(6) lgkmcnt(0)
	v_mul_f64 v[114:115], v[242:243], v[228:229]
	s_waitcnt vmcnt(4)
	v_fmac_f64_e32 v[114:115], v[244:245], v[230:231]
	v_add_f64 v[20:21], v[20:21], v[114:115]
	ds_read_b128 v[114:117], v190 offset:2032
	buffer_load_dword v248, off, s[0:3], 0 offset:240
	buffer_load_dword v249, off, s[0:3], 0 offset:244
	v_mul_f64 v[4:5], v[76:77], v[194:195]
	v_fma_f64 v[4:5], v[74:75], v[196:197], -v[4:5]
	v_add_f64 v[2:3], v[2:3], v[4:5]
	s_waitcnt vmcnt(4) lgkmcnt(0)
	v_mul_f64 v[246:247], v[114:115], v[234:235]
	s_waitcnt vmcnt(2)
	v_fmac_f64_e32 v[246:247], v[116:117], v[236:237]
	v_add_f64 v[20:21], v[20:21], v[246:247]
	buffer_load_dword v246, off, s[0:3], 0 offset:248
	buffer_load_dword v247, off, s[0:3], 0 offset:252
	v_mul_f64 v[4:5], v[80:81], v[198:199]
	v_fma_f64 v[4:5], v[78:79], v[202:203], -v[4:5]
	v_add_f64 v[2:3], v[2:3], v[4:5]
	v_mul_f64 v[4:5], v[84:85], v[192:193]
	v_fma_f64 v[4:5], v[82:83], v[200:201], -v[4:5]
	v_add_f64 v[2:3], v[2:3], v[4:5]
	;; [unrolled: 3-line block ×5, first 2 shown]
	v_mul_f64 v[4:5], v[100:101], v[216:217]
	v_fma_f64 v[4:5], v[98:99], v[218:219], -v[4:5]
	v_mul_f64 v[0:1], v[104:105], v[0:1]
	v_add_f64 v[2:3], v[2:3], v[4:5]
	v_fma_f64 v[0:1], v[102:103], v[222:223], -v[0:1]
	v_add_f64 v[0:1], v[2:3], v[0:1]
	v_mul_f64 v[2:3], v[240:241], v[224:225]
	v_fma_f64 v[2:3], v[238:239], v[226:227], -v[2:3]
	v_add_f64 v[0:1], v[0:1], v[2:3]
	v_mul_f64 v[2:3], v[244:245], v[228:229]
	;; [unrolled: 3-line block ×3, first 2 shown]
	v_fma_f64 v[2:3], v[114:115], v[236:237], -v[2:3]
	v_add_f64 v[0:1], v[0:1], v[2:3]
	s_waitcnt vmcnt(2)
	v_add_f64 v[0:1], v[248:249], -v[0:1]
	s_waitcnt vmcnt(0)
	v_add_f64 v[2:3], v[246:247], -v[20:21]
	buffer_store_dword v1, off, s[0:3], 0 offset:244
	buffer_store_dword v0, off, s[0:3], 0 offset:240
	;; [unrolled: 1-line block ×4, first 2 shown]
	v_accvgpr_read_b32 v0, a191
	v_cmp_lt_u32_e32 vcc, 13, v0
	s_and_saveexec_b64 s[4:5], vcc
	s_cbranch_execz .LBB127_383
; %bb.382:
	v_accvgpr_read_b32 v3, a178
	buffer_load_dword v0, v3, s[0:3], 0 offen
	buffer_load_dword v1, v3, s[0:3], 0 offen offset:4
	buffer_load_dword v2, v3, s[0:3], 0 offen offset:8
	s_nop 0
	buffer_load_dword v3, v3, s[0:3], 0 offen offset:12
	v_accvgpr_read_b32 v4, a192
	buffer_store_dword v190, off, s[0:3], 0 offset:224
	buffer_store_dword v190, off, s[0:3], 0 offset:228
	;; [unrolled: 1-line block ×4, first 2 shown]
	s_waitcnt vmcnt(4)
	ds_write_b128 v4, v[0:3]
.LBB127_383:
	s_or_b64 exec, exec, s[4:5]
	s_waitcnt lgkmcnt(0)
	; wave barrier
	s_waitcnt lgkmcnt(0)
	buffer_load_dword v174, off, s[0:3], 0 offset:240
	buffer_load_dword v175, off, s[0:3], 0 offset:244
	;; [unrolled: 1-line block ×42, first 2 shown]
	ds_read_b128 v[42:45], v190 offset:1248
	ds_read_b128 v[106:109], v190 offset:1264
	;; [unrolled: 1-line block ×10, first 2 shown]
	buffer_load_dword v201, off, s[0:3], 0 offset:388
	buffer_load_dword v200, off, s[0:3], 0 offset:384
	ds_read_b128 v[46:49], v190 offset:1408
	buffer_load_dword v85, off, s[0:3], 0 offset:444
	buffer_load_dword v84, off, s[0:3], 0 offset:440
	;; [unrolled: 1-line block ×6, first 2 shown]
	s_waitcnt vmcnt(46) lgkmcnt(10)
	v_mul_f64 v[0:1], v[42:43], v[36:37]
	v_fmac_f64_e32 v[0:1], v[44:45], v[174:175]
	v_add_f64 v[0:1], v[0:1], 0
	v_mul_f64 v[36:37], v[44:45], v[36:37]
	s_waitcnt vmcnt(42) lgkmcnt(9)
	v_mul_f64 v[2:3], v[106:107], v[40:41]
	v_fmac_f64_e32 v[2:3], v[108:109], v[38:39]
	s_waitcnt vmcnt(40) lgkmcnt(8)
	v_mul_f64 v[4:5], v[110:111], v[158:159]
	v_add_f64 v[0:1], v[0:1], v[2:3]
	s_waitcnt vmcnt(38) lgkmcnt(6)
	v_mul_f64 v[8:9], v[168:169], v[172:173]
	v_mul_f64 v[40:41], v[108:109], v[40:41]
	s_waitcnt vmcnt(36)
	v_fmac_f64_e32 v[8:9], v[170:171], v[54:55]
	v_fma_f64 v[106:107], v[106:107], v[38:39], -v[40:41]
	s_waitcnt vmcnt(34)
	v_mul_f64 v[6:7], v[114:115], v[56:57]
	v_mul_f64 v[108:109], v[112:113], v[158:159]
	s_waitcnt vmcnt(32) lgkmcnt(4)
	v_mul_f64 v[12:13], v[182:183], v[58:59]
	v_mul_f64 v[56:57], v[116:117], v[56:57]
	s_waitcnt vmcnt(30)
	v_fmac_f64_e32 v[12:13], v[184:185], v[60:61]
	s_waitcnt vmcnt(28)
	v_mul_f64 v[10:11], v[178:179], v[202:203]
	s_waitcnt vmcnt(26) lgkmcnt(2)
	v_mul_f64 v[16:17], v[192:193], v[212:213]
	s_waitcnt vmcnt(23)
	v_mul_f64 v[14:15], v[186:187], v[70:71]
	s_waitcnt vmcnt(21) lgkmcnt(1)
	v_mul_f64 v[18:19], v[196:197], v[68:69]
	s_waitcnt vmcnt(19)
	v_fmac_f64_e32 v[4:5], v[112:113], v[78:79]
	v_add_f64 v[0:1], v[0:1], v[4:5]
	s_waitcnt vmcnt(17)
	v_fmac_f64_e32 v[6:7], v[116:117], v[76:77]
	v_add_f64 v[0:1], v[0:1], v[6:7]
	;; [unrolled: 3-line block ×3, first 2 shown]
	v_add_f64 v[0:1], v[0:1], v[10:11]
	s_waitcnt vmcnt(13)
	v_fmac_f64_e32 v[14:15], v[188:189], v[72:73]
	v_add_f64 v[0:1], v[0:1], v[12:13]
	s_waitcnt vmcnt(12)
	v_fmac_f64_e32 v[16:17], v[194:195], v[66:67]
	v_add_f64 v[0:1], v[0:1], v[14:15]
	v_add_f64 v[2:3], v[0:1], v[16:17]
	buffer_load_dword v211, off, s[0:3], 0 offset:420
	buffer_load_dword v210, off, s[0:3], 0 offset:416
	;; [unrolled: 1-line block ×36, first 2 shown]
	s_waitcnt vmcnt(42)
	v_fmac_f64_e32 v[18:19], v[198:199], v[200:201]
	v_add_f64 v[2:3], v[2:3], v[18:19]
	v_fma_f64 v[108:109], v[110:111], v[78:79], -v[108:109]
	v_fma_f64 v[110:111], v[114:115], v[76:77], -v[56:57]
	v_mul_f64 v[56:57], v[170:171], v[172:173]
	v_fma_f64 v[112:113], v[168:169], v[54:55], -v[56:57]
	v_mul_f64 v[54:55], v[180:181], v[202:203]
	v_mul_f64 v[56:57], v[188:189], v[70:71]
	s_waitcnt vmcnt(0)
	v_pk_mov_b32 v[20:21], v[4:5], v[4:5] op_sel:[0,1]
	buffer_load_dword v5, off, s[0:3], 0 offset:596
	buffer_load_dword v4, off, s[0:3], 0 offset:592
	v_accvgpr_write_b32 a199, v21
	v_accvgpr_write_b32 a198, v20
	s_waitcnt vmcnt(0)
	v_pk_mov_b32 v[22:23], v[4:5], v[4:5] op_sel:[0,1]
	buffer_load_dword v5, off, s[0:3], 0 offset:588
	buffer_load_dword v4, off, s[0:3], 0 offset:584
	v_accvgpr_write_b32 a201, v23
	v_accvgpr_write_b32 a200, v22
	;; [unrolled: 6-line block ×9, first 2 shown]
	s_waitcnt vmcnt(0)
	v_pk_mov_b32 v[162:163], v[4:5], v[4:5] op_sel:[0,1]
	buffer_load_dword v147, off, s[0:3], 0 offset:652
	buffer_load_dword v146, off, s[0:3], 0 offset:648
	;; [unrolled: 1-line block ×6, first 2 shown]
	v_accvgpr_write_b32 a213, v163
	v_accvgpr_write_b32 a212, v162
	s_waitcnt vmcnt(0)
	v_pk_mov_b32 v[164:165], v[4:5], v[4:5] op_sel:[0,1]
	buffer_load_dword v5, off, s[0:3], 0 offset:692
	buffer_load_dword v4, off, s[0:3], 0 offset:688
	s_waitcnt vmcnt(0)
	v_pk_mov_b32 v[166:167], v[4:5], v[4:5] op_sel:[0,1]
	buffer_load_dword v151, off, s[0:3], 0 offset:684
	buffer_load_dword v150, off, s[0:3], 0 offset:680
	;; [unrolled: 1-line block ×12, first 2 shown]
	ds_read_b128 v[204:207], v190 offset:1424
	ds_read_b128 v[216:219], v190 offset:1440
	;; [unrolled: 1-line block ×14, first 2 shown]
	s_waitcnt lgkmcnt(4)
	v_mul_f64 v[8:9], v[252:253], v[94:95]
	ds_read_b128 v[126:129], v190 offset:1648
	ds_read_b128 v[122:125], v190 offset:1664
	v_fmac_f64_e32 v[8:9], v[254:255], v[96:97]
	s_waitcnt lgkmcnt(5)
	v_mul_f64 v[12:13], v[142:143], v[14:15]
	v_fmac_f64_e32 v[12:13], v[144:145], v[16:17]
	s_waitcnt lgkmcnt(4)
	v_mul_f64 v[16:17], v[138:139], v[20:21]
	;; [unrolled: 3-line block ×6, first 2 shown]
	ds_read_b128 v[118:121], v190 offset:1680
	v_fmac_f64_e32 v[32:33], v[124:125], v[162:163]
	v_accvgpr_write_b32 a215, v167
	v_accvgpr_write_b32 a214, v166
	v_mul_f64 v[94:95], v[254:255], v[94:95]
	v_fma_f64 v[252:253], v[252:253], v[96:97], -v[94:95]
	s_waitcnt vmcnt(6)
	v_pk_mov_b32 v[214:215], v[4:5], v[4:5] op_sel:[0,1]
	v_mul_f64 v[4:5], v[46:47], v[80:81]
	v_fmac_f64_e32 v[4:5], v[48:49], v[82:83]
	v_add_f64 v[2:3], v[2:3], v[4:5]
	v_mul_f64 v[4:5], v[204:205], v[208:209]
	v_fmac_f64_e32 v[4:5], v[206:207], v[210:211]
	v_add_f64 v[2:3], v[2:3], v[4:5]
	;; [unrolled: 3-line block ×10, first 2 shown]
	v_add_f64 v[10:11], v[6:7], v[8:9]
	v_add_f64 v[14:15], v[10:11], v[12:13]
	;; [unrolled: 1-line block ×7, first 2 shown]
	ds_read_b128 v[30:33], v190 offset:1696
	ds_read_b128 v[26:29], v190 offset:1712
	s_waitcnt lgkmcnt(2)
	v_mul_f64 v[4:5], v[118:119], v[150:151]
	v_fma_f64 v[22:23], v[42:43], v[174:175], -v[36:37]
	v_fmac_f64_e32 v[4:5], v[120:121], v[152:153]
	s_waitcnt lgkmcnt(1)
	v_mul_f64 v[42:43], v[30:31], v[164:165]
	v_add_f64 v[4:5], v[160:161], v[4:5]
	v_fmac_f64_e32 v[42:43], v[32:33], v[166:167]
	v_add_f64 v[4:5], v[4:5], v[42:43]
	s_waitcnt vmcnt(2) lgkmcnt(0)
	v_mul_f64 v[42:43], v[26:27], v[154:155]
	s_waitcnt vmcnt(0)
	v_fmac_f64_e32 v[42:43], v[28:29], v[156:157]
	v_pk_mov_b32 v[36:37], v[164:165], v[164:165] op_sel:[0,1]
	v_add_f64 v[4:5], v[4:5], v[42:43]
	ds_read_b128 v[42:45], v190 offset:1728
	ds_read_b128 v[38:41], v190 offset:1744
	buffer_load_dword v158, off, s[0:3], 0 offset:760
	buffer_load_dword v163, off, s[0:3], 0 offset:748
	buffer_load_dword v162, off, s[0:3], 0 offset:744
	buffer_load_dword v165, off, s[0:3], 0 offset:740
	buffer_load_dword v164, off, s[0:3], 0 offset:736
	buffer_load_dword v166, off, s[0:3], 0 offset:752
	buffer_load_dword v159, off, s[0:3], 0 offset:764
	buffer_load_dword v167, off, s[0:3], 0 offset:756
	buffer_load_dword v161, off, s[0:3], 0 offset:796
	buffer_load_dword v160, off, s[0:3], 0 offset:792
	buffer_load_dword v175, off, s[0:3], 0 offset:780
	buffer_load_dword v174, off, s[0:3], 0 offset:776
	buffer_load_dword v177, off, s[0:3], 0 offset:772
	buffer_load_dword v176, off, s[0:3], 0 offset:768
	buffer_load_dword v173, off, s[0:3], 0 offset:788
	buffer_load_dword v172, off, s[0:3], 0 offset:784
	buffer_load_dword v168, off, s[0:3], 0 offset:824
	v_fma_f64 v[18:19], v[178:179], v[74:75], -v[54:55]
	buffer_load_dword v170, off, s[0:3], 0 offset:816
	buffer_load_dword v179, off, s[0:3], 0 offset:812
	;; [unrolled: 1-line block ×7, first 2 shown]
	v_mul_f64 v[8:9], v[184:185], v[58:59]
	v_fma_f64 v[14:15], v[182:183], v[60:61], -v[8:9]
	buffer_load_dword v183, off, s[0:3], 0 offset:844
	buffer_load_dword v182, off, s[0:3], 0 offset:840
	;; [unrolled: 1-line block ×4, first 2 shown]
	v_mul_f64 v[12:13], v[194:195], v[212:213]
	buffer_load_dword v188, off, s[0:3], 0 offset:856
	v_fma_f64 v[12:13], v[192:193], v[66:67], -v[12:13]
	buffer_load_dword v192, off, s[0:3], 0 offset:848
	buffer_load_dword v189, off, s[0:3], 0 offset:860
	;; [unrolled: 1-line block ×3, first 2 shown]
	v_fma_f64 v[10:11], v[186:187], v[72:73], -v[56:57]
	v_mul_f64 v[56:57], v[198:199], v[68:69]
	v_fma_f64 v[8:9], v[196:197], v[200:201], -v[56:57]
	buffer_load_dword v187, off, s[0:3], 0 offset:892
	buffer_load_dword v195, off, s[0:3], 0 offset:876
	buffer_load_dword v194, off, s[0:3], 0 offset:872
	buffer_load_dword v201, off, s[0:3], 0 offset:868
	buffer_load_dword v200, off, s[0:3], 0 offset:864
	buffer_load_dword v186, off, s[0:3], 0 offset:888
	buffer_load_dword v199, off, s[0:3], 0 offset:884
	buffer_load_dword v198, off, s[0:3], 0 offset:880
	buffer_load_dword v197, off, s[0:3], 0 offset:908
	buffer_load_dword v196, off, s[0:3], 0 offset:904
	buffer_load_dword v203, off, s[0:3], 0 offset:900
	buffer_load_dword v202, off, s[0:3], 0 offset:896
	v_mul_f64 v[16:17], v[48:49], v[80:81]
	v_accvgpr_write_b32 a217, v215
	v_fma_f64 v[16:17], v[46:47], v[82:83], -v[16:17]
	v_mul_f64 v[46:47], v[206:207], v[208:209]
	s_waitcnt lgkmcnt(1)
	v_mul_f64 v[54:55], v[42:43], v[214:215]
	v_accvgpr_write_b32 a216, v214
	v_fma_f64 v[6:7], v[204:205], v[210:211], -v[46:47]
	buffer_load_dword v206, off, s[0:3], 0 offset:920
	buffer_load_dword v208, off, s[0:3], 0 offset:912
	;; [unrolled: 1-line block ×12, first 2 shown]
	v_mul_f64 v[20:21], v[218:219], v[84:85]
	v_fma_f64 v[20:21], v[216:217], v[86:87], -v[20:21]
	buffer_load_dword v217, off, s[0:3], 0 offset:972
	buffer_load_dword v216, off, s[0:3], 0 offset:968
	buffer_load_dword v219, off, s[0:3], 0 offset:964
	buffer_load_dword v218, off, s[0:3], 0 offset:960
	ds_read_b128 v[46:49], v190 offset:1760
	v_fmac_f64_e32 v[54:55], v[44:45], v[34:35]
	v_add_f64 v[4:5], v[4:5], v[54:55]
	v_mul_f64 v[50:51], v[222:223], v[50:51]
	v_fma_f64 v[220:221], v[220:221], v[52:53], -v[50:51]
	ds_read_b128 v[50:53], v190 offset:1776
	v_mul_f64 v[58:59], v[226:227], v[248:249]
	v_fma_f64 v[248:249], v[224:225], v[250:251], -v[58:59]
	v_mul_f64 v[62:63], v[230:231], v[62:63]
	v_fma_f64 v[250:251], v[228:229], v[64:65], -v[62:63]
	ds_read_b128 v[62:65], v190 offset:1824
	ds_read_b128 v[70:73], v190 offset:1856
	v_mul_f64 v[0:1], v[234:235], v[0:1]
	v_fma_f64 v[232:233], v[232:233], v[100:101], -v[0:1]
	ds_read_b128 v[78:81], v190 offset:1888
	ds_read_b128 v[82:85], v190 offset:1904
	;; [unrolled: 1-line block ×3, first 2 shown]
	v_add_f64 v[22:23], v[22:23], 0
	v_add_f64 v[22:23], v[22:23], v[106:107]
	;; [unrolled: 1-line block ×5, first 2 shown]
	ds_read_b128 v[58:61], v190 offset:1808
	v_add_f64 v[18:19], v[22:23], v[18:19]
	v_add_f64 v[14:15], v[18:19], v[14:15]
	;; [unrolled: 1-line block ×10, first 2 shown]
	ds_read_b128 v[74:77], v190 offset:1872
	v_add_f64 v[6:7], v[6:7], v[250:251]
	v_add_f64 v[6:7], v[6:7], v[232:233]
	s_waitcnt vmcnt(48) lgkmcnt(7)
	v_mul_f64 v[66:67], v[50:51], v[174:175]
	v_mul_f64 v[54:55], v[38:39], v[162:163]
	s_waitcnt vmcnt(46)
	v_fmac_f64_e32 v[66:67], v[52:53], v[176:177]
	v_fmac_f64_e32 v[54:55], v[40:41], v[164:165]
	v_add_f64 v[4:5], v[4:5], v[54:55]
	v_mul_f64 v[54:55], v[46:47], v[158:159]
	v_fmac_f64_e32 v[54:55], v[48:49], v[166:167]
	v_add_f64 v[4:5], v[4:5], v[54:55]
	ds_read_b128 v[54:57], v190 offset:1792
	v_add_f64 v[4:5], v[4:5], v[66:67]
	s_waitcnt lgkmcnt(0)
	v_mul_f64 v[66:67], v[54:55], v[160:161]
	s_waitcnt vmcnt(44)
	v_fmac_f64_e32 v[66:67], v[56:57], v[172:173]
	v_add_f64 v[4:5], v[4:5], v[66:67]
	s_waitcnt vmcnt(40)
	v_mul_f64 v[66:67], v[58:59], v[178:179]
	s_waitcnt vmcnt(38)
	v_fmac_f64_e32 v[66:67], v[60:61], v[180:181]
	v_add_f64 v[4:5], v[4:5], v[66:67]
	s_waitcnt vmcnt(37)
	v_mul_f64 v[66:67], v[62:63], v[168:169]
	s_waitcnt vmcnt(36)
	v_fmac_f64_e32 v[66:67], v[64:65], v[170:171]
	v_add_f64 v[4:5], v[4:5], v[66:67]
	ds_read_b128 v[66:69], v190 offset:1840
	s_waitcnt vmcnt(18)
	v_mul_f64 v[86:87], v[82:83], v[196:197]
	s_waitcnt vmcnt(16)
	v_fmac_f64_e32 v[86:87], v[84:85], v[202:203]
	s_waitcnt lgkmcnt(0)
	v_mul_f64 v[0:1], v[66:67], v[182:183]
	v_fmac_f64_e32 v[0:1], v[68:69], v[184:185]
	v_add_f64 v[0:1], v[4:5], v[0:1]
	v_mul_f64 v[4:5], v[238:239], v[102:103]
	v_fma_f64 v[2:3], v[236:237], v[104:105], -v[4:5]
	v_mul_f64 v[4:5], v[70:71], v[188:189]
	v_fmac_f64_e32 v[4:5], v[72:73], v[192:193]
	v_add_f64 v[0:1], v[0:1], v[4:5]
	v_mul_f64 v[4:5], v[242:243], v[88:89]
	v_fma_f64 v[24:25], v[240:241], v[92:93], -v[4:5]
	v_mul_f64 v[4:5], v[74:75], v[194:195]
	v_fmac_f64_e32 v[4:5], v[76:77], v[200:201]
	v_add_f64 v[0:1], v[0:1], v[4:5]
	v_mul_f64 v[4:5], v[78:79], v[186:187]
	v_fmac_f64_e32 v[4:5], v[80:81], v[198:199]
	v_add_f64 v[0:1], v[0:1], v[4:5]
	v_mul_f64 v[4:5], v[246:247], v[90:91]
	ds_read_b128 v[90:93], v190 offset:1920
	v_add_f64 v[0:1], v[0:1], v[86:87]
	ds_read_b128 v[86:89], v190 offset:1936
	v_fma_f64 v[4:5], v[244:245], v[98:99], -v[4:5]
	v_add_f64 v[2:3], v[6:7], v[2:3]
	s_waitcnt vmcnt(13) lgkmcnt(1)
	v_mul_f64 v[98:99], v[90:91], v[206:207]
	s_waitcnt vmcnt(12)
	v_fmac_f64_e32 v[98:99], v[92:93], v[208:209]
	v_add_f64 v[0:1], v[0:1], v[98:99]
	s_waitcnt vmcnt(9) lgkmcnt(0)
	v_mul_f64 v[98:99], v[86:87], v[212:213]
	s_waitcnt vmcnt(7)
	v_fmac_f64_e32 v[98:99], v[88:89], v[214:215]
	v_add_f64 v[0:1], v[0:1], v[98:99]
	s_waitcnt vmcnt(5)
	v_mul_f64 v[98:99], v[94:95], v[204:205]
	s_waitcnt vmcnt(4)
	v_fmac_f64_e32 v[98:99], v[96:97], v[210:211]
	v_add_f64 v[0:1], v[0:1], v[98:99]
	ds_read_b128 v[98:101], v190 offset:1968
	v_add_f64 v[254:255], v[2:3], v[24:25]
	v_add_f64 v[2:3], v[254:255], v[4:5]
	v_accvgpr_read_b32 v4, a194
	v_accvgpr_read_b32 v5, a195
	s_waitcnt vmcnt(2) lgkmcnt(0)
	v_mul_f64 v[102:103], v[98:99], v[216:217]
	s_waitcnt vmcnt(0)
	v_fmac_f64_e32 v[102:103], v[100:101], v[218:219]
	v_add_f64 v[114:115], v[0:1], v[102:103]
	buffer_load_dword v0, off, s[0:3], 0 offset:984
	buffer_load_dword v1, off, s[0:3], 0 offset:988
	buffer_load_dword v222, off, s[0:3], 0 offset:976
	buffer_load_dword v223, off, s[0:3], 0 offset:980
	ds_read_b128 v[102:105], v190 offset:1984
	buffer_load_dword v225, off, s[0:3], 0 offset:1004
	buffer_load_dword v224, off, s[0:3], 0 offset:1000
	buffer_load_dword v227, off, s[0:3], 0 offset:996
	buffer_load_dword v226, off, s[0:3], 0 offset:992
	ds_read_b128 v[238:241], v190 offset:2000
	;; [unrolled: 5-line block ×3, first 2 shown]
	buffer_load_dword v235, off, s[0:3], 0 offset:1036
	buffer_load_dword v234, off, s[0:3], 0 offset:1032
	;; [unrolled: 1-line block ×4, first 2 shown]
	v_accvgpr_read_b32 v6, a196
	v_mul_f64 v[4:5], v[144:145], v[4:5]
	v_accvgpr_read_b32 v7, a197
	v_add_f64 v[2:3], v[2:3], v[252:253]
	v_fma_f64 v[4:5], v[142:143], v[6:7], -v[4:5]
	v_add_f64 v[2:3], v[2:3], v[4:5]
	v_accvgpr_read_b32 v4, a198
	v_accvgpr_read_b32 v5, a199
	v_accvgpr_read_b32 v6, a200
	v_mul_f64 v[4:5], v[140:141], v[4:5]
	v_accvgpr_read_b32 v7, a201
	v_fma_f64 v[4:5], v[138:139], v[6:7], -v[4:5]
	v_add_f64 v[2:3], v[2:3], v[4:5]
	v_accvgpr_read_b32 v4, a202
	v_accvgpr_read_b32 v5, a203
	v_accvgpr_read_b32 v6, a204
	v_mul_f64 v[4:5], v[136:137], v[4:5]
	v_accvgpr_read_b32 v7, a205
	v_fma_f64 v[4:5], v[134:135], v[6:7], -v[4:5]
	v_add_f64 v[2:3], v[2:3], v[4:5]
	v_accvgpr_read_b32 v4, a206
	v_accvgpr_read_b32 v5, a207
	v_accvgpr_read_b32 v6, a208
	v_mul_f64 v[4:5], v[132:133], v[4:5]
	v_accvgpr_read_b32 v7, a209
	v_fma_f64 v[4:5], v[130:131], v[6:7], -v[4:5]
	v_add_f64 v[2:3], v[2:3], v[4:5]
	v_mul_f64 v[4:5], v[128:129], v[146:147]
	v_fma_f64 v[4:5], v[126:127], v[148:149], -v[4:5]
	v_add_f64 v[2:3], v[2:3], v[4:5]
	v_accvgpr_read_b32 v4, a210
	v_accvgpr_read_b32 v5, a211
	v_accvgpr_read_b32 v6, a212
	v_mul_f64 v[4:5], v[124:125], v[4:5]
	v_accvgpr_read_b32 v7, a213
	v_fma_f64 v[4:5], v[122:123], v[6:7], -v[4:5]
	v_add_f64 v[2:3], v[2:3], v[4:5]
	v_mul_f64 v[4:5], v[120:121], v[150:151]
	v_fma_f64 v[4:5], v[118:119], v[152:153], -v[4:5]
	v_accvgpr_read_b32 v6, a214
	v_add_f64 v[2:3], v[2:3], v[4:5]
	v_mul_f64 v[4:5], v[32:33], v[36:37]
	v_accvgpr_read_b32 v7, a215
	v_fma_f64 v[4:5], v[30:31], v[6:7], -v[4:5]
	v_add_f64 v[2:3], v[2:3], v[4:5]
	v_mul_f64 v[4:5], v[28:29], v[154:155]
	v_fma_f64 v[4:5], v[26:27], v[156:157], -v[4:5]
	v_add_f64 v[2:3], v[2:3], v[4:5]
	v_accvgpr_read_b32 v4, a216
	v_accvgpr_read_b32 v5, a217
	v_mul_f64 v[4:5], v[44:45], v[4:5]
	v_fma_f64 v[4:5], v[42:43], v[34:35], -v[4:5]
	v_add_f64 v[2:3], v[2:3], v[4:5]
	v_mul_f64 v[4:5], v[40:41], v[162:163]
	v_fma_f64 v[4:5], v[38:39], v[164:165], -v[4:5]
	v_add_f64 v[2:3], v[2:3], v[4:5]
	;; [unrolled: 3-line block ×7, first 2 shown]
	s_waitcnt vmcnt(14) lgkmcnt(2)
	v_mul_f64 v[116:117], v[102:103], v[0:1]
	v_mul_f64 v[4:5], v[68:69], v[182:183]
	s_waitcnt vmcnt(12)
	v_fmac_f64_e32 v[116:117], v[104:105], v[222:223]
	v_add_f64 v[114:115], v[114:115], v[116:117]
	s_waitcnt vmcnt(10) lgkmcnt(1)
	v_mul_f64 v[116:117], v[238:239], v[224:225]
	s_waitcnt vmcnt(8)
	v_fmac_f64_e32 v[116:117], v[240:241], v[226:227]
	v_add_f64 v[114:115], v[114:115], v[116:117]
	s_waitcnt vmcnt(6) lgkmcnt(0)
	v_mul_f64 v[116:117], v[242:243], v[228:229]
	s_waitcnt vmcnt(4)
	v_fmac_f64_e32 v[116:117], v[244:245], v[230:231]
	v_add_f64 v[246:247], v[114:115], v[116:117]
	ds_read_b128 v[114:117], v190 offset:2032
	v_fma_f64 v[4:5], v[66:67], v[184:185], -v[4:5]
	v_add_f64 v[2:3], v[2:3], v[4:5]
	v_mul_f64 v[4:5], v[72:73], v[188:189]
	v_fma_f64 v[4:5], v[70:71], v[192:193], -v[4:5]
	s_waitcnt vmcnt(2) lgkmcnt(0)
	v_mul_f64 v[190:191], v[114:115], v[234:235]
	s_waitcnt vmcnt(0)
	v_fmac_f64_e32 v[190:191], v[116:117], v[236:237]
	v_add_f64 v[190:191], v[246:247], v[190:191]
	buffer_load_dword v248, off, s[0:3], 0 offset:224
	buffer_load_dword v249, off, s[0:3], 0 offset:228
	;; [unrolled: 1-line block ×4, first 2 shown]
	v_add_f64 v[2:3], v[2:3], v[4:5]
	v_mul_f64 v[4:5], v[76:77], v[194:195]
	v_fma_f64 v[4:5], v[74:75], v[200:201], -v[4:5]
	v_add_f64 v[2:3], v[2:3], v[4:5]
	v_mul_f64 v[4:5], v[80:81], v[186:187]
	v_fma_f64 v[4:5], v[78:79], v[198:199], -v[4:5]
	;; [unrolled: 3-line block ×7, first 2 shown]
	v_mul_f64 v[0:1], v[104:105], v[0:1]
	v_add_f64 v[2:3], v[2:3], v[4:5]
	v_fma_f64 v[0:1], v[102:103], v[222:223], -v[0:1]
	v_add_f64 v[0:1], v[2:3], v[0:1]
	v_mul_f64 v[2:3], v[240:241], v[224:225]
	v_fma_f64 v[2:3], v[238:239], v[226:227], -v[2:3]
	v_add_f64 v[0:1], v[0:1], v[2:3]
	v_mul_f64 v[2:3], v[244:245], v[228:229]
	;; [unrolled: 3-line block ×3, first 2 shown]
	v_fma_f64 v[2:3], v[114:115], v[236:237], -v[2:3]
	v_add_f64 v[0:1], v[0:1], v[2:3]
	s_waitcnt vmcnt(2)
	v_add_f64 v[0:1], v[248:249], -v[0:1]
	s_waitcnt vmcnt(0)
	v_add_f64 v[2:3], v[246:247], -v[190:191]
	buffer_store_dword v1, off, s[0:3], 0 offset:228
	buffer_store_dword v0, off, s[0:3], 0 offset:224
	buffer_store_dword v3, off, s[0:3], 0 offset:236
	buffer_store_dword v2, off, s[0:3], 0 offset:232
	v_accvgpr_read_b32 v0, a191
	v_cmp_lt_u32_e32 vcc, 12, v0
	s_and_saveexec_b64 s[4:5], vcc
	s_cbranch_execz .LBB127_385
; %bb.384:
	v_accvgpr_read_b32 v3, a179
	buffer_load_dword v0, v3, s[0:3], 0 offen
	buffer_load_dword v1, v3, s[0:3], 0 offen offset:4
	buffer_load_dword v2, v3, s[0:3], 0 offen offset:8
	s_nop 0
	buffer_load_dword v3, v3, s[0:3], 0 offen offset:12
	v_mov_b32_e32 v4, 0
	v_accvgpr_read_b32 v5, a192
	buffer_store_dword v4, off, s[0:3], 0 offset:208
	buffer_store_dword v4, off, s[0:3], 0 offset:212
	;; [unrolled: 1-line block ×4, first 2 shown]
	s_waitcnt vmcnt(4)
	ds_write_b128 v5, v[0:3]
.LBB127_385:
	s_or_b64 exec, exec, s[4:5]
	s_waitcnt lgkmcnt(0)
	; wave barrier
	s_waitcnt lgkmcnt(0)
	buffer_load_dword v30, off, s[0:3], 0 offset:224
	buffer_load_dword v31, off, s[0:3], 0 offset:228
	;; [unrolled: 1-line block ×36, first 2 shown]
	v_mov_b32_e32 v142, 0
	buffer_load_dword v67, off, s[0:3], 0 offset:396
	buffer_load_dword v66, off, s[0:3], 0 offset:392
	;; [unrolled: 1-line block ×18, first 2 shown]
	ds_read_b128 v[112:115], v142 offset:1232
	ds_read_b128 v[156:159], v142 offset:1248
	;; [unrolled: 1-line block ×9, first 2 shown]
	s_waitcnt vmcnt(50) lgkmcnt(8)
	v_mul_f64 v[2:3], v[112:113], v[32:33]
	v_fmac_f64_e32 v[2:3], v[114:115], v[30:31]
	v_add_f64 v[2:3], v[2:3], 0
	v_mul_f64 v[32:33], v[114:115], v[32:33]
	s_waitcnt vmcnt(46) lgkmcnt(7)
	v_mul_f64 v[4:5], v[156:157], v[38:39]
	v_fmac_f64_e32 v[4:5], v[158:159], v[36:37]
	v_add_f64 v[2:3], v[2:3], v[4:5]
	buffer_load_dword v107, off, s[0:3], 0 offset:452
	buffer_load_dword v106, off, s[0:3], 0 offset:448
	;; [unrolled: 1-line block ×32, first 2 shown]
	s_waitcnt vmcnt(62) lgkmcnt(6)
	v_mul_f64 v[6:7], v[166:167], v[34:35]
	s_waitcnt lgkmcnt(4)
	v_mul_f64 v[10:11], v[174:175], v[40:41]
	v_fmac_f64_e32 v[10:11], v[176:177], v[42:43]
	v_mul_f64 v[38:39], v[158:159], v[38:39]
	v_mul_f64 v[8:9], v[170:171], v[44:45]
	v_fma_f64 v[210:211], v[156:157], v[36:37], -v[38:39]
	s_waitcnt lgkmcnt(2)
	v_mul_f64 v[14:15], v[182:183], v[48:49]
	v_mul_f64 v[34:35], v[168:169], v[34:35]
	v_fmac_f64_e32 v[14:15], v[184:185], v[50:51]
	v_mul_f64 v[12:13], v[178:179], v[56:57]
	s_waitcnt lgkmcnt(1)
	v_mul_f64 v[16:17], v[186:187], v[52:53]
	s_waitcnt vmcnt(60)
	v_fmac_f64_e32 v[6:7], v[168:169], v[62:63]
	v_add_f64 v[2:3], v[2:3], v[6:7]
	s_waitcnt vmcnt(58)
	v_fmac_f64_e32 v[8:9], v[172:173], v[60:61]
	v_add_f64 v[2:3], v[2:3], v[8:9]
	s_waitcnt vmcnt(56)
	v_fmac_f64_e32 v[12:13], v[180:181], v[58:59]
	v_add_f64 v[2:3], v[2:3], v[10:11]
	v_add_f64 v[2:3], v[2:3], v[12:13]
	v_add_f64 v[2:3], v[2:3], v[14:15]
	s_waitcnt vmcnt(54)
	v_fmac_f64_e32 v[16:17], v[188:189], v[54:55]
	v_add_f64 v[2:3], v[2:3], v[16:17]
	v_fma_f64 v[168:169], v[166:167], v[62:63], -v[34:35]
	v_mul_f64 v[34:35], v[172:173], v[44:45]
	v_fma_f64 v[212:213], v[170:171], v[60:61], -v[34:35]
	s_waitcnt vmcnt(0)
	v_pk_mov_b32 v[14:15], v[4:5], v[4:5] op_sel:[0,1]
	buffer_load_dword v5, off, s[0:3], 0 offset:580
	buffer_load_dword v4, off, s[0:3], 0 offset:576
	v_accvgpr_write_b32 a195, v15
	v_accvgpr_write_b32 a194, v14
	s_waitcnt vmcnt(0)
	v_pk_mov_b32 v[18:19], v[4:5], v[4:5] op_sel:[0,1]
	buffer_load_dword v95, off, s[0:3], 0 offset:572
	buffer_load_dword v94, off, s[0:3], 0 offset:568
	;; [unrolled: 1-line block ×6, first 2 shown]
	v_accvgpr_write_b32 a197, v19
	v_accvgpr_write_b32 a196, v18
	s_waitcnt vmcnt(0)
	v_pk_mov_b32 v[22:23], v[4:5], v[4:5] op_sel:[0,1]
	buffer_load_dword v5, off, s[0:3], 0 offset:612
	buffer_load_dword v4, off, s[0:3], 0 offset:608
	v_accvgpr_write_b32 a203, v23
	v_accvgpr_write_b32 a202, v22
	s_waitcnt vmcnt(0)
	v_pk_mov_b32 v[24:25], v[4:5], v[4:5] op_sel:[0,1]
	buffer_load_dword v5, off, s[0:3], 0 offset:604
	buffer_load_dword v4, off, s[0:3], 0 offset:600
	;; [unrolled: 6-line block ×11, first 2 shown]
	ds_read_b128 v[194:197], v142 offset:1376
	ds_read_b128 v[198:201], v142 offset:1392
	;; [unrolled: 1-line block ×8, first 2 shown]
	buffer_load_dword v239, off, s[0:3], 0 offset:716
	buffer_load_dword v153, off, s[0:3], 0 offset:700
	;; [unrolled: 1-line block ×8, first 2 shown]
	ds_read_b128 v[232:235], v142 offset:1504
	ds_read_b128 v[240:243], v142 offset:1520
	;; [unrolled: 1-line block ×10, first 2 shown]
	s_waitcnt lgkmcnt(5)
	v_mul_f64 v[8:9], v[252:253], v[94:95]
	v_fmac_f64_e32 v[8:9], v[254:255], v[96:97]
	s_waitcnt lgkmcnt(4)
	v_mul_f64 v[12:13], v[144:145], v[14:15]
	v_fmac_f64_e32 v[12:13], v[146:147], v[18:19]
	;; [unrolled: 3-line block ×5, first 2 shown]
	ds_read_b128 v[138:141], v142 offset:1664
	v_accvgpr_write_b32 a215, v155
	v_accvgpr_write_b32 a214, v154
	v_fma_f64 v[24:25], v[112:113], v[30:31], -v[32:33]
	ds_read_b128 v[30:33], v142 offset:1696
	v_mul_f64 v[94:95], v[254:255], v[94:95]
	v_add_f64 v[24:25], v[24:25], 0
	v_add_f64 v[24:25], v[24:25], v[210:211]
	;; [unrolled: 1-line block ×4, first 2 shown]
	s_waitcnt vmcnt(8)
	v_pk_mov_b32 v[164:165], v[4:5], v[4:5] op_sel:[0,1]
	v_mul_f64 v[4:5], v[190:191], v[46:47]
	v_fmac_f64_e32 v[4:5], v[192:193], v[64:65]
	v_add_f64 v[2:3], v[2:3], v[4:5]
	v_mul_f64 v[4:5], v[194:195], v[70:71]
	v_fmac_f64_e32 v[4:5], v[196:197], v[72:73]
	v_add_f64 v[2:3], v[2:3], v[4:5]
	;; [unrolled: 3-line block ×13, first 2 shown]
	v_add_f64 v[10:11], v[6:7], v[8:9]
	v_add_f64 v[14:15], v[10:11], v[12:13]
	;; [unrolled: 1-line block ×5, first 2 shown]
	s_waitcnt lgkmcnt(2)
	v_mul_f64 v[28:29], v[122:123], v[118:119]
	v_fmac_f64_e32 v[28:29], v[124:125], v[120:121]
	ds_read_b128 v[118:121], v142 offset:1680
	v_add_f64 v[26:27], v[26:27], v[28:29]
	s_waitcnt lgkmcnt(2)
	v_mul_f64 v[28:29], v[138:139], v[154:155]
	v_fmac_f64_e32 v[28:29], v[140:141], v[164:165]
	v_accvgpr_write_b32 a217, v165
	s_waitcnt lgkmcnt(0)
	v_mul_f64 v[4:5], v[118:119], v[160:161]
	v_add_f64 v[154:155], v[26:27], v[28:29]
	v_fmac_f64_e32 v[4:5], v[120:121], v[162:163]
	v_accvgpr_write_b32 a216, v164
	v_add_f64 v[4:5], v[154:155], v[4:5]
	buffer_load_dword v155, off, s[0:3], 0 offset:748
	buffer_load_dword v154, off, s[0:3], 0 offset:744
	;; [unrolled: 1-line block ×13, first 2 shown]
	ds_read_b128 v[34:37], v142 offset:1712
	s_waitcnt vmcnt(18)
	v_mul_f64 v[38:39], v[30:31], v[152:153]
	s_waitcnt vmcnt(16)
	v_fmac_f64_e32 v[38:39], v[32:33], v[150:151]
	buffer_load_dword v26, off, s[0:3], 0 offset:768
	buffer_load_dword v159, off, s[0:3], 0 offset:780
	;; [unrolled: 1-line block ×3, first 2 shown]
	v_add_f64 v[4:5], v[4:5], v[38:39]
	s_waitcnt vmcnt(18) lgkmcnt(0)
	v_mul_f64 v[38:39], v[34:35], v[238:239]
	s_waitcnt vmcnt(16)
	v_fmac_f64_e32 v[38:39], v[36:37], v[148:149]
	v_add_f64 v[60:61], v[4:5], v[38:39]
	v_mul_f64 v[38:39], v[176:177], v[40:41]
	v_fma_f64 v[112:113], v[174:175], v[42:43], -v[38:39]
	buffer_load_dword v171, off, s[0:3], 0 offset:812
	buffer_load_dword v173, off, s[0:3], 0 offset:796
	;; [unrolled: 1-line block ×8, first 2 shown]
	v_mul_f64 v[38:39], v[180:181], v[56:57]
	v_fma_f64 v[22:23], v[178:179], v[58:59], -v[38:39]
	ds_read_b128 v[38:41], v142 offset:1728
	buffer_load_dword v179, off, s[0:3], 0 offset:828
	buffer_load_dword v178, off, s[0:3], 0 offset:824
	;; [unrolled: 1-line block ×4, first 2 shown]
	v_mul_f64 v[8:9], v[184:185], v[48:49]
	v_mul_f64 v[42:43], v[188:189], v[52:53]
	v_fma_f64 v[18:19], v[182:183], v[50:51], -v[8:9]
	v_fma_f64 v[10:11], v[186:187], v[54:55], -v[42:43]
	buffer_load_dword v183, off, s[0:3], 0 offset:844
	buffer_load_dword v182, off, s[0:3], 0 offset:840
	;; [unrolled: 1-line block ×8, first 2 shown]
	v_mul_f64 v[12:13], v[192:193], v[46:47]
	buffer_load_dword v192, off, s[0:3], 0 offset:872
	v_mul_f64 v[42:43], v[196:197], v[70:71]
	v_fma_f64 v[8:9], v[194:195], v[72:73], -v[42:43]
	buffer_load_dword v194, off, s[0:3], 0 offset:864
	buffer_load_dword v193, off, s[0:3], 0 offset:876
	buffer_load_dword v195, off, s[0:3], 0 offset:868
	v_mul_f64 v[16:17], v[200:201], v[66:67]
	v_fma_f64 v[16:17], v[198:199], v[68:69], -v[16:17]
	buffer_load_dword v197, off, s[0:3], 0 offset:892
	buffer_load_dword v196, off, s[0:3], 0 offset:888
	buffer_load_dword v199, off, s[0:3], 0 offset:884
	buffer_load_dword v198, off, s[0:3], 0 offset:880
	v_mul_f64 v[0:1], v[204:205], v[0:1]
	v_fma_f64 v[6:7], v[202:203], v[102:103], -v[0:1]
	buffer_load_dword v203, off, s[0:3], 0 offset:908
	buffer_load_dword v202, off, s[0:3], 0 offset:904
	;; [unrolled: 1-line block ×4, first 2 shown]
	v_mul_f64 v[14:15], v[208:209], v[92:93]
	v_fma_f64 v[12:13], v[190:191], v[64:65], -v[12:13]
	v_fma_f64 v[20:21], v[206:207], v[76:77], -v[14:15]
	buffer_load_dword v201, off, s[0:3], 0 offset:940
	buffer_load_dword v207, off, s[0:3], 0 offset:924
	;; [unrolled: 1-line block ×12, first 2 shown]
	ds_read_b128 v[42:45], v142 offset:1744
	v_mul_f64 v[46:47], v[218:219], v[116:117]
	v_fma_f64 v[216:217], v[216:217], v[236:237], -v[46:47]
	ds_read_b128 v[46:49], v142 offset:1760
	v_mul_f64 v[54:55], v[222:223], v[74:75]
	v_fma_f64 v[218:219], v[220:221], v[106:107], -v[54:55]
	v_mul_f64 v[58:59], v[226:227], v[108:109]
	v_fma_f64 v[220:221], v[224:225], v[110:111], -v[58:59]
	;; [unrolled: 2-line block ×3, first 2 shown]
	ds_read_b128 v[66:69], v142 offset:1840
	ds_read_b128 v[54:57], v142 offset:1792
	v_mul_f64 v[70:71], v[234:235], v[100:101]
	v_fma_f64 v[2:3], v[232:233], v[104:105], -v[70:71]
	v_mul_f64 v[78:79], v[242:243], v[78:79]
	v_fma_f64 v[0:1], v[240:241], v[80:81], -v[78:79]
	;; [unrolled: 2-line block ×3, first 2 shown]
	ds_read_b128 v[82:85], v142 offset:1904
	v_mul_f64 v[86:87], v[250:251], v[86:87]
	v_fma_f64 v[232:233], v[248:249], v[88:89], -v[86:87]
	ds_read_b128 v[86:89], v142 offset:1920
	ds_read_b128 v[70:73], v142 offset:1856
	buffer_load_dword v110, off, s[0:3], 0 offset:968
	v_fma_f64 v[250:251], v[252:253], v[96:97], -v[94:95]
	v_add_f64 v[24:25], v[24:25], v[112:113]
	v_add_f64 v[22:23], v[24:25], v[22:23]
	;; [unrolled: 1-line block ×8, first 2 shown]
	ds_read_b128 v[78:81], v142 offset:1888
	v_add_f64 v[6:7], v[6:7], v[20:21]
	v_add_f64 v[6:7], v[6:7], v[216:217]
	v_add_f64 v[6:7], v[6:7], v[218:219]
	v_add_f64 v[6:7], v[6:7], v[220:221]
	v_add_f64 v[4:5], v[6:7], v[4:5]
	v_add_f64 v[2:3], v[4:5], v[2:3]
	s_waitcnt vmcnt(55) lgkmcnt(8)
	v_mul_f64 v[50:51], v[38:39], v[160:161]
	s_waitcnt lgkmcnt(7)
	v_mul_f64 v[52:53], v[42:43], v[154:155]
	s_waitcnt vmcnt(53)
	v_fmac_f64_e32 v[50:51], v[40:41], v[164:165]
	v_add_f64 v[50:51], v[60:61], v[50:51]
	v_fmac_f64_e32 v[52:53], v[44:45], v[156:157]
	v_add_f64 v[50:51], v[50:51], v[52:53]
	s_waitcnt vmcnt(50) lgkmcnt(6)
	v_mul_f64 v[52:53], v[46:47], v[162:163]
	s_waitcnt vmcnt(48)
	v_fmac_f64_e32 v[52:53], v[48:49], v[166:167]
	v_add_f64 v[62:63], v[50:51], v[52:53]
	ds_read_b128 v[50:53], v142 offset:1776
	ds_read_b128 v[58:61], v142 offset:1808
	;; [unrolled: 1-line block ×3, first 2 shown]
	v_add_f64 v[0:1], v[2:3], v[0:1]
	v_add_f64 v[0:1], v[0:1], v[246:247]
	s_waitcnt vmcnt(46) lgkmcnt(2)
	v_mul_f64 v[64:65], v[50:51], v[158:159]
	s_waitcnt vmcnt(45)
	v_fmac_f64_e32 v[64:65], v[52:53], v[26:27]
	v_add_f64 v[62:63], v[62:63], v[64:65]
	s_waitcnt vmcnt(42)
	v_mul_f64 v[64:65], v[54:55], v[172:173]
	s_waitcnt vmcnt(40)
	v_fmac_f64_e32 v[64:65], v[56:57], v[176:177]
	v_add_f64 v[62:63], v[62:63], v[64:65]
	s_waitcnt vmcnt(39) lgkmcnt(1)
	v_mul_f64 v[64:65], v[58:59], v[170:171]
	s_waitcnt vmcnt(37)
	v_fmac_f64_e32 v[64:65], v[60:61], v[174:175]
	v_add_f64 v[74:75], v[62:63], v[64:65]
	ds_read_b128 v[62:65], v142 offset:1824
	v_accvgpr_read_b32 v2, a194
	v_accvgpr_read_b32 v3, a195
	;; [unrolled: 1-line block ×3, first 2 shown]
	v_add_f64 v[252:253], v[0:1], v[232:233]
	s_waitcnt vmcnt(35) lgkmcnt(0)
	v_mul_f64 v[76:77], v[62:63], v[178:179]
	s_waitcnt vmcnt(33)
	v_fmac_f64_e32 v[76:77], v[64:65], v[180:181]
	v_add_f64 v[74:75], v[74:75], v[76:77]
	s_waitcnt vmcnt(31)
	v_mul_f64 v[76:77], v[66:67], v[182:183]
	s_waitcnt vmcnt(29)
	v_fmac_f64_e32 v[76:77], v[68:69], v[186:187]
	v_add_f64 v[74:75], v[74:75], v[76:77]
	s_waitcnt vmcnt(27)
	v_mul_f64 v[76:77], v[70:71], v[184:185]
	s_waitcnt vmcnt(25)
	v_fmac_f64_e32 v[76:77], v[72:73], v[188:189]
	v_add_f64 v[90:91], v[74:75], v[76:77]
	ds_read_b128 v[74:77], v142 offset:1872
	s_waitcnt vmcnt(10)
	v_mul_f64 v[98:99], v[86:87], v[206:207]
	s_waitcnt vmcnt(8)
	v_fmac_f64_e32 v[98:99], v[88:89], v[190:191]
	v_mul_f64 v[2:3], v[146:147], v[2:3]
	v_accvgpr_read_b32 v5, a197
	s_waitcnt lgkmcnt(0)
	v_mul_f64 v[28:29], v[74:75], v[192:193]
	v_fmac_f64_e32 v[28:29], v[76:77], v[194:195]
	v_add_f64 v[28:29], v[90:91], v[28:29]
	v_mul_f64 v[90:91], v[78:79], v[196:197]
	v_fmac_f64_e32 v[90:91], v[80:81], v[198:199]
	v_add_f64 v[28:29], v[28:29], v[90:91]
	;; [unrolled: 3-line block ×3, first 2 shown]
	ds_read_b128 v[90:93], v142 offset:1936
	buffer_load_dword v244, off, s[0:3], 0 offset:960
	buffer_load_dword v111, off, s[0:3], 0 offset:972
	;; [unrolled: 1-line block ×3, first 2 shown]
	v_add_f64 v[28:29], v[28:29], v[98:99]
	v_add_f64 v[0:1], v[252:253], v[250:251]
	v_fma_f64 v[2:3], v[144:145], v[4:5], -v[2:3]
	s_waitcnt vmcnt(10) lgkmcnt(0)
	v_mul_f64 v[98:99], v[90:91], v[200:201]
	s_waitcnt vmcnt(8)
	v_fmac_f64_e32 v[98:99], v[92:93], v[14:15]
	v_add_f64 v[28:29], v[28:29], v[98:99]
	s_waitcnt vmcnt(6)
	v_mul_f64 v[98:99], v[94:95], v[208:209]
	s_waitcnt vmcnt(4)
	v_fmac_f64_e32 v[98:99], v[96:97], v[214:215]
	v_add_f64 v[28:29], v[28:29], v[98:99]
	ds_read_b128 v[98:101], v142 offset:1968
	buffer_load_dword v255, off, s[0:3], 0 offset:988
	buffer_load_dword v254, off, s[0:3], 0 offset:984
	;; [unrolled: 1-line block ×4, first 2 shown]
	v_add_f64 v[0:1], v[0:1], v[2:3]
	v_accvgpr_read_b32 v2, a198
	v_accvgpr_read_b32 v3, a199
	v_accvgpr_read_b32 v4, a200
	v_mul_f64 v[2:3], v[136:137], v[2:3]
	v_accvgpr_read_b32 v5, a201
	v_fma_f64 v[2:3], v[134:135], v[4:5], -v[2:3]
	v_add_f64 v[0:1], v[0:1], v[2:3]
	v_accvgpr_read_b32 v2, a202
	v_accvgpr_read_b32 v3, a203
	v_accvgpr_read_b32 v4, a204
	v_mul_f64 v[2:3], v[132:133], v[2:3]
	v_accvgpr_read_b32 v5, a205
	v_fma_f64 v[2:3], v[130:131], v[4:5], -v[2:3]
	;; [unrolled: 7-line block ×6, first 2 shown]
	v_add_f64 v[0:1], v[0:1], v[2:3]
	v_mul_f64 v[2:3], v[32:33], v[152:153]
	v_fma_f64 v[2:3], v[30:31], v[150:151], -v[2:3]
	v_add_f64 v[0:1], v[0:1], v[2:3]
	v_mul_f64 v[2:3], v[36:37], v[238:239]
	v_fma_f64 v[2:3], v[34:35], v[148:149], -v[2:3]
	;; [unrolled: 3-line block ×8, first 2 shown]
	v_add_f64 v[0:1], v[0:1], v[2:3]
	s_waitcnt vmcnt(5) lgkmcnt(0)
	v_mul_f64 v[102:103], v[98:99], v[110:111]
	s_waitcnt vmcnt(4)
	v_fmac_f64_e32 v[102:103], v[100:101], v[244:245]
	v_add_f64 v[28:29], v[28:29], v[102:103]
	ds_read_b128 v[102:105], v142 offset:1984
	buffer_load_dword v224, off, s[0:3], 0 offset:1000
	buffer_load_dword v225, off, s[0:3], 0 offset:1004
	buffer_load_dword v226, off, s[0:3], 0 offset:992
	buffer_load_dword v227, off, s[0:3], 0 offset:996
	v_mul_f64 v[2:3], v[64:65], v[178:179]
	v_fma_f64 v[2:3], v[62:63], v[180:181], -v[2:3]
	v_add_f64 v[0:1], v[0:1], v[2:3]
	v_mul_f64 v[2:3], v[68:69], v[182:183]
	v_fma_f64 v[2:3], v[66:67], v[186:187], -v[2:3]
	s_waitcnt vmcnt(6) lgkmcnt(0)
	v_mul_f64 v[106:107], v[102:103], v[254:255]
	v_add_f64 v[0:1], v[0:1], v[2:3]
	s_waitcnt vmcnt(4)
	v_fmac_f64_e32 v[106:107], v[104:105], v[222:223]
	v_add_f64 v[28:29], v[28:29], v[106:107]
	ds_read_b128 v[106:109], v142 offset:2000
	buffer_load_dword v229, off, s[0:3], 0 offset:1020
	buffer_load_dword v228, off, s[0:3], 0 offset:1016
	;; [unrolled: 1-line block ×4, first 2 shown]
	ds_read_b128 v[240:243], v142 offset:2016
	buffer_load_dword v234, off, s[0:3], 0 offset:1032
	buffer_load_dword v235, off, s[0:3], 0 offset:1036
	;; [unrolled: 1-line block ×4, first 2 shown]
	v_mul_f64 v[2:3], v[72:73], v[184:185]
	v_fma_f64 v[2:3], v[70:71], v[188:189], -v[2:3]
	v_add_f64 v[0:1], v[0:1], v[2:3]
	v_mul_f64 v[2:3], v[76:77], v[192:193]
	v_fma_f64 v[2:3], v[74:75], v[194:195], -v[2:3]
	v_add_f64 v[0:1], v[0:1], v[2:3]
	;; [unrolled: 3-line block ×9, first 2 shown]
	s_waitcnt vmcnt(10) lgkmcnt(1)
	v_mul_f64 v[114:115], v[106:107], v[224:225]
	v_mul_f64 v[2:3], v[108:109], v[224:225]
	s_waitcnt vmcnt(8)
	v_fmac_f64_e32 v[114:115], v[108:109], v[226:227]
	v_add_f64 v[28:29], v[28:29], v[114:115]
	v_fma_f64 v[2:3], v[106:107], v[226:227], -v[2:3]
	v_add_f64 v[0:1], v[0:1], v[2:3]
	s_waitcnt vmcnt(6) lgkmcnt(0)
	v_mul_f64 v[114:115], v[240:241], v[228:229]
	v_mul_f64 v[2:3], v[242:243], v[228:229]
	s_waitcnt vmcnt(4)
	v_fmac_f64_e32 v[114:115], v[242:243], v[230:231]
	v_add_f64 v[28:29], v[28:29], v[114:115]
	ds_read_b128 v[114:117], v142 offset:2032
	v_fma_f64 v[2:3], v[240:241], v[230:231], -v[2:3]
	v_add_f64 v[0:1], v[0:1], v[2:3]
	s_waitcnt vmcnt(2) lgkmcnt(0)
	v_mul_f64 v[248:249], v[114:115], v[234:235]
	s_waitcnt vmcnt(0)
	v_fmac_f64_e32 v[248:249], v[116:117], v[236:237]
	v_add_f64 v[28:29], v[28:29], v[248:249]
	buffer_load_dword v248, off, s[0:3], 0 offset:208
	buffer_load_dword v249, off, s[0:3], 0 offset:212
	buffer_load_dword v246, off, s[0:3], 0 offset:216
	buffer_load_dword v247, off, s[0:3], 0 offset:220
	v_mul_f64 v[2:3], v[116:117], v[234:235]
	v_fma_f64 v[2:3], v[114:115], v[236:237], -v[2:3]
	v_add_f64 v[0:1], v[0:1], v[2:3]
	s_waitcnt vmcnt(2)
	v_add_f64 v[0:1], v[248:249], -v[0:1]
	s_waitcnt vmcnt(0)
	v_add_f64 v[2:3], v[246:247], -v[28:29]
	buffer_store_dword v1, off, s[0:3], 0 offset:212
	buffer_store_dword v0, off, s[0:3], 0 offset:208
	;; [unrolled: 1-line block ×4, first 2 shown]
	v_accvgpr_read_b32 v0, a191
	v_cmp_lt_u32_e32 vcc, 11, v0
	s_and_saveexec_b64 s[4:5], vcc
	s_cbranch_execz .LBB127_387
; %bb.386:
	v_accvgpr_read_b32 v3, a180
	buffer_load_dword v0, v3, s[0:3], 0 offen
	buffer_load_dword v1, v3, s[0:3], 0 offen offset:4
	buffer_load_dword v2, v3, s[0:3], 0 offen offset:8
	s_nop 0
	buffer_load_dword v3, v3, s[0:3], 0 offen offset:12
	v_accvgpr_read_b32 v4, a192
	buffer_store_dword v142, off, s[0:3], 0 offset:192
	buffer_store_dword v142, off, s[0:3], 0 offset:196
	;; [unrolled: 1-line block ×4, first 2 shown]
	s_waitcnt vmcnt(4)
	ds_write_b128 v4, v[0:3]
.LBB127_387:
	s_or_b64 exec, exec, s[4:5]
	s_waitcnt lgkmcnt(0)
	; wave barrier
	s_waitcnt lgkmcnt(0)
	buffer_load_dword v22, off, s[0:3], 0 offset:208
	buffer_load_dword v23, off, s[0:3], 0 offset:212
	;; [unrolled: 1-line block ×36, first 2 shown]
	ds_read_b128 v[18:21], v142 offset:1216
	ds_read_b128 v[26:29], v142 offset:1232
	;; [unrolled: 1-line block ×9, first 2 shown]
	buffer_load_dword v91, off, s[0:3], 0 offset:380
	buffer_load_dword v90, off, s[0:3], 0 offset:376
	;; [unrolled: 1-line block ×19, first 2 shown]
	s_waitcnt vmcnt(51) lgkmcnt(8)
	v_mul_f64 v[0:1], v[18:19], v[24:25]
	v_fmac_f64_e32 v[0:1], v[20:21], v[22:23]
	v_add_f64 v[0:1], v[0:1], 0
	v_mul_f64 v[20:21], v[20:21], v[24:25]
	s_waitcnt vmcnt(47) lgkmcnt(7)
	v_mul_f64 v[2:3], v[26:27], v[160:161]
	v_fmac_f64_e32 v[2:3], v[28:29], v[158:159]
	s_waitcnt vmcnt(45) lgkmcnt(6)
	v_mul_f64 v[4:5], v[54:55], v[156:157]
	v_add_f64 v[0:1], v[0:1], v[2:3]
	s_waitcnt vmcnt(43) lgkmcnt(4)
	v_mul_f64 v[8:9], v[34:35], v[64:65]
	v_fma_f64 v[24:25], v[18:19], v[22:23], -v[20:21]
	s_waitcnt vmcnt(41)
	v_fmac_f64_e32 v[8:9], v[36:37], v[66:67]
	v_mul_f64 v[28:29], v[28:29], v[160:161]
	s_waitcnt vmcnt(39)
	v_mul_f64 v[6:7], v[30:31], v[68:69]
	v_fma_f64 v[158:159], v[26:27], v[158:159], -v[28:29]
	s_waitcnt vmcnt(37) lgkmcnt(2)
	v_mul_f64 v[12:13], v[50:51], v[74:75]
	v_mul_f64 v[36:37], v[36:37], v[64:65]
	s_waitcnt vmcnt(35)
	v_fmac_f64_e32 v[12:13], v[52:53], v[76:77]
	v_mul_f64 v[52:53], v[52:53], v[74:75]
	s_waitcnt vmcnt(33)
	v_mul_f64 v[10:11], v[38:39], v[80:81]
	v_add_f64 v[24:25], v[24:25], 0
	s_waitcnt vmcnt(31) lgkmcnt(1)
	v_mul_f64 v[14:15], v[46:47], v[72:73]
	v_add_f64 v[24:25], v[24:25], v[158:159]
	s_waitcnt vmcnt(29)
	v_fmac_f64_e32 v[4:5], v[56:57], v[162:163]
	v_add_f64 v[0:1], v[0:1], v[4:5]
	s_waitcnt vmcnt(27)
	v_fmac_f64_e32 v[6:7], v[32:33], v[164:165]
	;; [unrolled: 3-line block ×3, first 2 shown]
	v_add_f64 v[0:1], v[0:1], v[8:9]
	v_add_f64 v[0:1], v[0:1], v[10:11]
	;; [unrolled: 1-line block ×3, first 2 shown]
	buffer_load_dword v104, off, s[0:3], 0 offset:432
	buffer_load_dword v215, off, s[0:3], 0 offset:428
	;; [unrolled: 1-line block ×39, first 2 shown]
	s_waitcnt vmcnt(62)
	v_fmac_f64_e32 v[14:15], v[48:49], v[78:79]
	v_add_f64 v[2:3], v[2:3], v[14:15]
	v_mul_f64 v[40:41], v[40:41], v[80:81]
	v_fma_f64 v[166:167], v[38:39], v[166:167], -v[40:41]
	s_waitcnt vmcnt(0)
	v_pk_mov_b32 v[118:119], v[4:5], v[4:5] op_sel:[0,1]
	buffer_load_dword v5, off, s[0:3], 0 offset:596
	buffer_load_dword v4, off, s[0:3], 0 offset:592
	v_accvgpr_write_b32 a201, v119
	v_accvgpr_write_b32 a200, v118
	s_waitcnt vmcnt(0)
	v_pk_mov_b32 v[120:121], v[4:5], v[4:5] op_sel:[0,1]
	buffer_load_dword v5, off, s[0:3], 0 offset:588
	buffer_load_dword v4, off, s[0:3], 0 offset:584
	v_accvgpr_write_b32 a203, v121
	v_accvgpr_write_b32 a202, v120
	s_waitcnt vmcnt(0)
	v_pk_mov_b32 v[16:17], v[4:5], v[4:5] op_sel:[0,1]
	buffer_load_dword v5, off, s[0:3], 0 offset:580
	buffer_load_dword v4, off, s[0:3], 0 offset:576
	v_pk_mov_b32 v[144:145], v[16:17], v[16:17] op_sel:[0,1]
	s_waitcnt vmcnt(0)
	v_pk_mov_b32 v[122:123], v[4:5], v[4:5] op_sel:[0,1]
	buffer_load_dword v5, off, s[0:3], 0 offset:636
	buffer_load_dword v4, off, s[0:3], 0 offset:632
	v_accvgpr_write_b32 a199, v123
	v_accvgpr_write_b32 a198, v122
	s_waitcnt vmcnt(0)
	v_pk_mov_b32 v[126:127], v[4:5], v[4:5] op_sel:[0,1]
	buffer_load_dword v5, off, s[0:3], 0 offset:628
	buffer_load_dword v4, off, s[0:3], 0 offset:624
	v_accvgpr_write_b32 a209, v127
	v_accvgpr_write_b32 a208, v126
	;; [unrolled: 6-line block ×7, first 2 shown]
	s_waitcnt vmcnt(0)
	v_pk_mov_b32 v[180:181], v[4:5], v[4:5] op_sel:[0,1]
	buffer_load_dword v5, off, s[0:3], 0 offset:644
	buffer_load_dword v4, off, s[0:3], 0 offset:640
	ds_read_b128 v[182:185], v142 offset:1360
	ds_read_b128 v[196:199], v142 offset:1376
	;; [unrolled: 1-line block ×9, first 2 shown]
	buffer_load_dword v147, off, s[0:3], 0 offset:684
	buffer_load_dword v146, off, s[0:3], 0 offset:680
	;; [unrolled: 1-line block ×4, first 2 shown]
	ds_read_b128 v[248:251], v142 offset:1504
	buffer_load_dword v149, off, s[0:3], 0 offset:700
	buffer_load_dword v148, off, s[0:3], 0 offset:696
	;; [unrolled: 1-line block ×8, first 2 shown]
	ds_read_b128 v[252:255], v142 offset:1520
	ds_read_b128 v[58:61], v142 offset:1536
	;; [unrolled: 1-line block ×4, first 2 shown]
	v_accvgpr_write_b32 a213, v181
	v_accvgpr_write_b32 a212, v180
	ds_read_b128 v[128:131], v142 offset:1600
	s_waitcnt lgkmcnt(1)
	v_mul_f64 v[8:9], v[86:87], v[96:97]
	v_fmac_f64_e32 v[8:9], v[88:89], v[100:101]
	v_mul_f64 v[88:89], v[88:89], v[96:97]
	s_waitcnt vmcnt(12)
	v_pk_mov_b32 v[188:189], v[4:5], v[4:5] op_sel:[0,1]
	v_mul_f64 v[4:5], v[42:43], v[70:71]
	v_fmac_f64_e32 v[4:5], v[44:45], v[186:187]
	v_add_f64 v[2:3], v[2:3], v[4:5]
	v_mul_f64 v[4:5], v[182:183], v[94:95]
	v_fmac_f64_e32 v[4:5], v[184:185], v[98:99]
	v_add_f64 v[2:3], v[2:3], v[4:5]
	;; [unrolled: 3-line block ×14, first 2 shown]
	ds_read_b128 v[2:5], v142 offset:1584
	buffer_load_dword v155, off, s[0:3], 0 offset:732
	buffer_load_dword v154, off, s[0:3], 0 offset:728
	ds_read_b128 v[138:141], v142 offset:1616
	ds_read_b128 v[134:137], v142 offset:1632
	v_add_f64 v[10:11], v[6:7], v[8:9]
	s_waitcnt lgkmcnt(2)
	v_mul_f64 v[12:13], v[2:3], v[16:17]
	v_fmac_f64_e32 v[12:13], v[4:5], v[122:123]
	v_mul_f64 v[16:17], v[128:129], v[118:119]
	s_waitcnt lgkmcnt(1)
	v_mul_f64 v[170:171], v[138:139], v[124:125]
	ds_read_b128 v[122:125], v142 offset:1648
	v_fmac_f64_e32 v[16:17], v[130:131], v[120:121]
	ds_read_b128 v[118:121], v142 offset:1664
	v_add_f64 v[14:15], v[10:11], v[12:13]
	v_accvgpr_write_b32 a197, v5
	v_add_f64 v[168:169], v[14:15], v[16:17]
	v_fmac_f64_e32 v[170:171], v[140:141], v[178:179]
	s_waitcnt lgkmcnt(2)
	v_mul_f64 v[22:23], v[134:135], v[126:127]
	v_accvgpr_write_b32 a196, v4
	v_accvgpr_write_b32 a195, v3
	;; [unrolled: 1-line block ×3, first 2 shown]
	v_add_f64 v[4:5], v[168:169], v[170:171]
	v_fmac_f64_e32 v[22:23], v[136:137], v[172:173]
	v_add_f64 v[4:5], v[4:5], v[22:23]
	s_waitcnt lgkmcnt(1)
	v_mul_f64 v[22:23], v[122:123], v[180:181]
	v_fmac_f64_e32 v[22:23], v[124:125], v[188:189]
	s_waitcnt lgkmcnt(0)
	v_mul_f64 v[160:161], v[118:119], v[174:175]
	v_add_f64 v[4:5], v[4:5], v[22:23]
	v_fmac_f64_e32 v[160:161], v[120:121], v[176:177]
	ds_read_b128 v[26:29], v142 offset:1680
	v_add_f64 v[168:169], v[4:5], v[160:161]
	buffer_load_dword v161, off, s[0:3], 0 offset:724
	buffer_load_dword v160, off, s[0:3], 0 offset:720
	v_mul_f64 v[4:5], v[56:57], v[156:157]
	v_fma_f64 v[20:21], v[54:55], v[162:163], -v[4:5]
	buffer_load_dword v156, off, s[0:3], 0 offset:760
	buffer_load_dword v126, off, s[0:3], 0 offset:752
	;; [unrolled: 1-line block ×4, first 2 shown]
	v_mul_f64 v[8:9], v[32:33], v[68:69]
	v_fma_f64 v[18:19], v[30:31], v[164:165], -v[8:9]
	buffer_load_dword v165, off, s[0:3], 0 offset:740
	buffer_load_dword v164, off, s[0:3], 0 offset:736
	;; [unrolled: 1-line block ×3, first 2 shown]
	s_waitcnt vmcnt(21) lgkmcnt(0)
	v_mul_f64 v[30:31], v[26:27], v[146:147]
	buffer_load_dword v127, off, s[0:3], 0 offset:756
	s_waitcnt vmcnt(20)
	v_fmac_f64_e32 v[30:31], v[28:29], v[238:239]
	v_add_f64 v[54:55], v[168:169], v[30:31]
	ds_read_b128 v[30:33], v142 offset:1696
	v_fma_f64 v[14:15], v[34:35], v[66:67], -v[36:37]
	ds_read_b128 v[34:37], v142 offset:1712
	ds_read_b128 v[38:41], v142 offset:1728
	buffer_load_dword v23, off, s[0:3], 0 offset:780
	buffer_load_dword v22, off, s[0:3], 0 offset:776
	;; [unrolled: 1-line block ×16, first 2 shown]
	v_mul_f64 v[44:45], v[44:45], v[70:71]
	v_accvgpr_write_b32 a215, v189
	v_fma_f64 v[10:11], v[42:43], v[186:187], -v[44:45]
	v_mul_f64 v[44:45], v[184:185], v[94:95]
	v_accvgpr_write_b32 a214, v188
	v_fma_f64 v[94:95], v[182:183], v[98:99], -v[44:45]
	buffer_load_dword v183, off, s[0:3], 0 offset:844
	buffer_load_dword v182, off, s[0:3], 0 offset:840
	;; [unrolled: 1-line block ×8, first 2 shown]
	v_mul_f64 v[44:45], v[198:199], v[90:91]
	v_fma_f64 v[8:9], v[196:197], v[92:93], -v[44:45]
	v_mul_f64 v[44:45], v[202:203], v[192:193]
	v_fma_f64 v[6:7], v[200:201], v[194:195], -v[44:45]
	buffer_load_dword v193, off, s[0:3], 0 offset:892
	buffer_load_dword v195, off, s[0:3], 0 offset:876
	;; [unrolled: 1-line block ×12, first 2 shown]
	s_waitcnt vmcnt(54) lgkmcnt(2)
	v_mul_f64 v[12:13], v[30:31], v[148:149]
	s_waitcnt vmcnt(52)
	v_fmac_f64_e32 v[12:13], v[32:33], v[150:151]
	v_add_f64 v[12:13], v[54:55], v[12:13]
	s_waitcnt vmcnt(50) lgkmcnt(1)
	v_mul_f64 v[54:55], v[34:35], v[152:153]
	s_waitcnt vmcnt(48)
	v_fmac_f64_e32 v[54:55], v[36:37], v[132:133]
	v_mul_f64 v[44:45], v[208:209], v[190:191]
	v_add_f64 v[54:55], v[12:13], v[54:55]
	v_fma_f64 v[190:191], v[206:207], v[204:205], -v[44:45]
	v_mul_f64 v[44:45], v[212:213], v[214:215]
	v_mul_f64 v[16:17], v[48:49], v[72:73]
	v_fma_f64 v[4:5], v[210:211], v[62:63], -v[44:45]
	buffer_load_dword v207, off, s[0:3], 0 offset:924
	buffer_load_dword v206, off, s[0:3], 0 offset:920
	;; [unrolled: 1-line block ×12, first 2 shown]
	v_fma_f64 v[16:17], v[46:47], v[78:79], -v[16:17]
	v_mul_f64 v[46:47], v[232:233], v[102:103]
	v_fma_f64 v[232:233], v[230:231], v[104:105], -v[46:47]
	ds_read_b128 v[46:49], v142 offset:1760
	v_fma_f64 v[12:13], v[50:51], v[76:77], -v[52:53]
	v_mul_f64 v[50:51], v[236:237], v[226:227]
	v_fma_f64 v[226:227], v[234:235], v[228:229], -v[50:51]
	ds_read_b128 v[50:53], v142 offset:1776
	v_mul_f64 v[62:63], v[242:243], v[220:221]
	s_waitcnt vmcnt(58) lgkmcnt(2)
	v_mul_f64 v[42:43], v[38:39], v[154:155]
	v_fma_f64 v[220:221], v[240:241], v[222:223], -v[62:63]
	ds_read_b128 v[240:243], v142 offset:1808
	ds_read_b128 v[62:65], v142 offset:1824
	v_mul_f64 v[0:1], v[246:247], v[0:1]
	v_fma_f64 v[246:247], v[244:245], v[224:225], -v[0:1]
	v_mul_f64 v[70:71], v[250:251], v[114:115]
	v_fma_f64 v[248:249], v[248:249], v[116:117], -v[70:71]
	ds_read_b128 v[70:73], v142 offset:1856
	v_mul_f64 v[60:61], v[60:61], v[106:107]
	v_fma_f64 v[2:3], v[58:59], v[110:111], -v[60:61]
	ds_read_b128 v[58:61], v142 offset:1904
	;; [unrolled: 3-line block ×3, first 2 shown]
	v_add_f64 v[20:21], v[24:25], v[20:21]
	v_add_f64 v[18:19], v[20:21], v[18:19]
	;; [unrolled: 1-line block ×14, first 2 shown]
	s_waitcnt vmcnt(56)
	v_fmac_f64_e32 v[42:43], v[40:41], v[160:161]
	v_add_f64 v[54:55], v[54:55], v[42:43]
	ds_read_b128 v[42:45], v142 offset:1744
	v_add_f64 v[4:5], v[4:5], v[220:221]
	v_add_f64 v[4:5], v[4:5], v[246:247]
	v_add_f64 v[4:5], v[4:5], v[248:249]
	v_accvgpr_read_b32 v6, a194
	s_waitcnt vmcnt(52) lgkmcnt(0)
	v_mul_f64 v[56:57], v[42:43], v[162:163]
	s_waitcnt vmcnt(50)
	v_fmac_f64_e32 v[56:57], v[44:45], v[164:165]
	v_add_f64 v[54:55], v[54:55], v[56:57]
	s_waitcnt vmcnt(49)
	v_mul_f64 v[56:57], v[46:47], v[156:157]
	s_waitcnt vmcnt(48)
	v_fmac_f64_e32 v[56:57], v[48:49], v[126:127]
	v_add_f64 v[54:55], v[54:55], v[56:57]
	s_waitcnt vmcnt(46)
	v_mul_f64 v[56:57], v[50:51], v[22:23]
	v_accvgpr_read_b32 v8, a196
	s_waitcnt vmcnt(44)
	v_fmac_f64_e32 v[56:57], v[52:53], v[168:169]
	v_add_f64 v[66:67], v[54:55], v[56:57]
	ds_read_b128 v[54:57], v142 offset:1792
	v_accvgpr_read_b32 v9, a197
	v_accvgpr_read_b32 v7, a195
	v_accvgpr_write_b32 a220, v238
	v_accvgpr_write_b32 a221, v239
	s_waitcnt vmcnt(42) lgkmcnt(0)
	v_mul_f64 v[68:69], v[54:55], v[172:173]
	s_waitcnt vmcnt(40)
	v_fmac_f64_e32 v[68:69], v[56:57], v[174:175]
	v_add_f64 v[0:1], v[66:67], v[68:69]
	s_waitcnt vmcnt(36)
	v_mul_f64 v[66:67], v[240:241], v[178:179]
	s_waitcnt vmcnt(34)
	v_fmac_f64_e32 v[66:67], v[242:243], v[180:181]
	v_add_f64 v[0:1], v[0:1], v[66:67]
	v_mul_f64 v[66:67], v[62:63], v[170:171]
	s_waitcnt vmcnt(32)
	v_fmac_f64_e32 v[66:67], v[64:65], v[176:177]
	v_add_f64 v[0:1], v[0:1], v[66:67]
	ds_read_b128 v[66:69], v142 offset:1840
	s_waitcnt vmcnt(25)
	v_mul_f64 v[78:79], v[70:71], v[184:185]
	s_waitcnt vmcnt(24)
	v_fmac_f64_e32 v[78:79], v[72:73], v[186:187]
	s_waitcnt lgkmcnt(0)
	v_mul_f64 v[74:75], v[66:67], v[182:183]
	v_fmac_f64_e32 v[74:75], v[68:69], v[188:189]
	v_add_f64 v[0:1], v[0:1], v[74:75]
	v_mul_f64 v[74:75], v[254:255], v[216:217]
	v_fma_f64 v[254:255], v[252:253], v[218:219], -v[74:75]
	ds_read_b128 v[74:77], v142 offset:1872
	v_add_f64 v[0:1], v[0:1], v[78:79]
	ds_read_b128 v[78:81], v142 offset:1888
	v_fma_f64 v[252:253], v[86:87], v[100:101], -v[88:89]
	ds_read_b128 v[86:89], v142 offset:1952
	s_waitcnt vmcnt(21) lgkmcnt(2)
	v_mul_f64 v[90:91], v[74:75], v[194:195]
	s_waitcnt vmcnt(19)
	v_fmac_f64_e32 v[90:91], v[76:77], v[200:201]
	v_add_f64 v[0:1], v[0:1], v[90:91]
	s_waitcnt vmcnt(18) lgkmcnt(1)
	v_mul_f64 v[90:91], v[78:79], v[192:193]
	s_waitcnt vmcnt(16)
	v_fmac_f64_e32 v[90:91], v[80:81], v[198:199]
	v_add_f64 v[0:1], v[0:1], v[90:91]
	ds_read_b128 v[90:93], v142 offset:1920
	s_waitcnt vmcnt(14)
	v_mul_f64 v[98:99], v[58:59], v[196:197]
	buffer_load_dword v217, off, s[0:3], 0 offset:972
	buffer_load_dword v216, off, s[0:3], 0 offset:968
	;; [unrolled: 1-line block ×4, first 2 shown]
	s_waitcnt vmcnt(16)
	v_fmac_f64_e32 v[98:99], v[60:61], v[202:203]
	v_add_f64 v[0:1], v[0:1], v[98:99]
	ds_read_b128 v[98:101], v142 offset:1968
	buffer_load_dword v244, off, s[0:3], 0 offset:984
	buffer_load_dword v245, off, s[0:3], 0 offset:988
	;; [unrolled: 1-line block ×4, first 2 shown]
	s_waitcnt vmcnt(18) lgkmcnt(1)
	v_mul_f64 v[96:97], v[90:91], v[206:207]
	s_waitcnt vmcnt(16)
	v_fmac_f64_e32 v[96:97], v[92:93], v[208:209]
	v_add_f64 v[0:1], v[0:1], v[96:97]
	s_waitcnt vmcnt(13)
	v_mul_f64 v[96:97], v[82:83], v[212:213]
	s_waitcnt vmcnt(11)
	v_fmac_f64_e32 v[96:97], v[84:85], v[214:215]
	ds_read_b128 v[102:105], v142 offset:1984
	v_add_f64 v[0:1], v[0:1], v[96:97]
	s_waitcnt vmcnt(9)
	v_mul_f64 v[96:97], v[86:87], v[204:205]
	s_waitcnt vmcnt(8)
	v_fmac_f64_e32 v[96:97], v[88:89], v[210:211]
	v_add_f64 v[0:1], v[0:1], v[96:97]
	v_add_f64 v[4:5], v[4:5], v[254:255]
	;; [unrolled: 1-line block ×3, first 2 shown]
	v_mul_f64 v[4:5], v[8:9], v[144:145]
	v_accvgpr_read_b32 v8, a198
	v_add_f64 v[2:3], v[254:255], v[250:251]
	v_accvgpr_read_b32 v9, a199
	v_add_f64 v[2:3], v[2:3], v[252:253]
	v_fma_f64 v[4:5], v[6:7], v[8:9], -v[4:5]
	v_add_f64 v[2:3], v[2:3], v[4:5]
	v_accvgpr_read_b32 v4, a200
	v_accvgpr_read_b32 v5, a201
	v_accvgpr_read_b32 v6, a202
	v_mul_f64 v[4:5], v[130:131], v[4:5]
	v_accvgpr_read_b32 v7, a203
	v_fma_f64 v[4:5], v[128:129], v[6:7], -v[4:5]
	v_add_f64 v[2:3], v[2:3], v[4:5]
	v_accvgpr_read_b32 v4, a204
	v_accvgpr_read_b32 v5, a205
	v_accvgpr_read_b32 v6, a206
	v_mul_f64 v[4:5], v[140:141], v[4:5]
	v_accvgpr_read_b32 v7, a207
	;; [unrolled: 7-line block ×5, first 2 shown]
	v_fma_f64 v[4:5], v[118:119], v[6:7], -v[4:5]
	v_accvgpr_read_b32 v6, a220
	v_add_f64 v[2:3], v[2:3], v[4:5]
	v_mul_f64 v[4:5], v[28:29], v[146:147]
	v_accvgpr_read_b32 v7, a221
	v_fma_f64 v[4:5], v[26:27], v[6:7], -v[4:5]
	v_add_f64 v[2:3], v[2:3], v[4:5]
	v_mul_f64 v[4:5], v[32:33], v[148:149]
	v_fma_f64 v[4:5], v[30:31], v[150:151], -v[4:5]
	v_add_f64 v[2:3], v[2:3], v[4:5]
	v_mul_f64 v[4:5], v[36:37], v[152:153]
	;; [unrolled: 3-line block ×5, first 2 shown]
	v_fma_f64 v[4:5], v[46:47], v[126:127], -v[4:5]
	s_waitcnt vmcnt(6) lgkmcnt(1)
	v_mul_f64 v[96:97], v[98:99], v[216:217]
	v_add_f64 v[2:3], v[2:3], v[4:5]
	s_waitcnt vmcnt(4)
	v_fmac_f64_e32 v[96:97], v[100:101], v[218:219]
	v_add_f64 v[0:1], v[0:1], v[96:97]
	s_waitcnt vmcnt(2) lgkmcnt(0)
	v_mul_f64 v[96:97], v[102:103], v[244:245]
	v_mul_f64 v[4:5], v[52:53], v[22:23]
	s_waitcnt vmcnt(0)
	v_fmac_f64_e32 v[96:97], v[104:105], v[222:223]
	v_add_f64 v[0:1], v[0:1], v[96:97]
	buffer_load_dword v225, off, s[0:3], 0 offset:1004
	buffer_load_dword v224, off, s[0:3], 0 offset:1000
	;; [unrolled: 1-line block ×4, first 2 shown]
	ds_read_b128 v[106:109], v142 offset:2000
	buffer_load_dword v228, off, s[0:3], 0 offset:1016
	buffer_load_dword v229, off, s[0:3], 0 offset:1020
	;; [unrolled: 1-line block ×4, first 2 shown]
	v_fma_f64 v[4:5], v[50:51], v[168:169], -v[4:5]
	v_add_f64 v[2:3], v[2:3], v[4:5]
	v_mul_f64 v[4:5], v[56:57], v[172:173]
	v_fma_f64 v[4:5], v[54:55], v[174:175], -v[4:5]
	v_add_f64 v[2:3], v[2:3], v[4:5]
	v_mul_f64 v[4:5], v[242:243], v[178:179]
	;; [unrolled: 3-line block ×13, first 2 shown]
	v_fma_f64 v[4:5], v[102:103], v[222:223], -v[4:5]
	v_add_f64 v[2:3], v[2:3], v[4:5]
	s_waitcnt vmcnt(6) lgkmcnt(0)
	v_mul_f64 v[110:111], v[106:107], v[224:225]
	v_mul_f64 v[4:5], v[108:109], v[224:225]
	s_waitcnt vmcnt(4)
	v_fmac_f64_e32 v[110:111], v[108:109], v[96:97]
	v_add_f64 v[0:1], v[0:1], v[110:111]
	ds_read_b128 v[110:113], v142 offset:2016
	buffer_load_dword v235, off, s[0:3], 0 offset:1036
	buffer_load_dword v234, off, s[0:3], 0 offset:1032
	;; [unrolled: 1-line block ×4, first 2 shown]
	v_fma_f64 v[4:5], v[106:107], v[96:97], -v[4:5]
	v_add_f64 v[2:3], v[2:3], v[4:5]
	s_waitcnt vmcnt(6) lgkmcnt(0)
	v_mul_f64 v[114:115], v[110:111], v[228:229]
	s_waitcnt vmcnt(4)
	v_fmac_f64_e32 v[114:115], v[112:113], v[230:231]
	v_add_f64 v[0:1], v[0:1], v[114:115]
	ds_read_b128 v[114:117], v142 offset:2032
	buffer_load_dword v248, off, s[0:3], 0 offset:192
	buffer_load_dword v249, off, s[0:3], 0 offset:196
	;; [unrolled: 1-line block ×4, first 2 shown]
	v_mul_f64 v[4:5], v[112:113], v[228:229]
	v_fma_f64 v[4:5], v[110:111], v[230:231], -v[4:5]
	v_add_f64 v[2:3], v[2:3], v[4:5]
	s_waitcnt vmcnt(6) lgkmcnt(0)
	v_mul_f64 v[238:239], v[114:115], v[234:235]
	v_mul_f64 v[4:5], v[116:117], v[234:235]
	s_waitcnt vmcnt(4)
	v_fmac_f64_e32 v[238:239], v[116:117], v[236:237]
	v_fma_f64 v[4:5], v[114:115], v[236:237], -v[4:5]
	v_add_f64 v[0:1], v[0:1], v[238:239]
	v_add_f64 v[2:3], v[2:3], v[4:5]
	s_waitcnt vmcnt(2)
	v_add_f64 v[2:3], v[248:249], -v[2:3]
	s_waitcnt vmcnt(0)
	v_add_f64 v[0:1], v[246:247], -v[0:1]
	buffer_store_dword v3, off, s[0:3], 0 offset:196
	buffer_store_dword v2, off, s[0:3], 0 offset:192
	;; [unrolled: 1-line block ×4, first 2 shown]
	v_accvgpr_read_b32 v0, a191
	v_cmp_lt_u32_e32 vcc, 10, v0
	s_and_saveexec_b64 s[4:5], vcc
	s_cbranch_execz .LBB127_389
; %bb.388:
	v_accvgpr_read_b32 v3, a181
	buffer_load_dword v0, v3, s[0:3], 0 offen
	buffer_load_dword v1, v3, s[0:3], 0 offen offset:4
	buffer_load_dword v2, v3, s[0:3], 0 offen offset:8
	s_nop 0
	buffer_load_dword v3, v3, s[0:3], 0 offen offset:12
	v_mov_b32_e32 v4, 0
	v_accvgpr_read_b32 v5, a192
	buffer_store_dword v4, off, s[0:3], 0 offset:176
	buffer_store_dword v4, off, s[0:3], 0 offset:180
	;; [unrolled: 1-line block ×4, first 2 shown]
	s_waitcnt vmcnt(4)
	ds_write_b128 v5, v[0:3]
.LBB127_389:
	s_or_b64 exec, exec, s[4:5]
	s_waitcnt lgkmcnt(0)
	; wave barrier
	s_waitcnt lgkmcnt(0)
	buffer_load_dword v156, off, s[0:3], 0 offset:192
	buffer_load_dword v157, off, s[0:3], 0 offset:196
	;; [unrolled: 1-line block ×36, first 2 shown]
	v_mov_b32_e32 v150, 0
	buffer_load_dword v55, off, s[0:3], 0 offset:364
	buffer_load_dword v54, off, s[0:3], 0 offset:360
	;; [unrolled: 1-line block ×18, first 2 shown]
	ds_read_b128 v[22:25], v150 offset:1200
	ds_read_b128 v[108:111], v150 offset:1216
	;; [unrolled: 1-line block ×9, first 2 shown]
	s_waitcnt vmcnt(50) lgkmcnt(8)
	v_mul_f64 v[0:1], v[22:23], v[16:17]
	v_fmac_f64_e32 v[0:1], v[24:25], v[156:157]
	v_add_f64 v[0:1], v[0:1], 0
	v_mul_f64 v[16:17], v[24:25], v[16:17]
	s_waitcnt vmcnt(46) lgkmcnt(7)
	v_mul_f64 v[2:3], v[108:109], v[20:21]
	v_fmac_f64_e32 v[2:3], v[110:111], v[154:155]
	s_waitcnt vmcnt(44) lgkmcnt(6)
	v_mul_f64 v[4:5], v[112:113], v[26:27]
	v_add_f64 v[0:1], v[0:1], v[2:3]
	s_waitcnt vmcnt(42) lgkmcnt(4)
	v_mul_f64 v[8:9], v[164:165], v[30:31]
	v_mul_f64 v[20:21], v[110:111], v[20:21]
	s_waitcnt vmcnt(40)
	v_fmac_f64_e32 v[8:9], v[166:167], v[32:33]
	v_fma_f64 v[252:253], v[22:23], v[156:157], -v[16:17]
	s_waitcnt vmcnt(38)
	v_mul_f64 v[6:7], v[160:161], v[28:29]
	v_fma_f64 v[254:255], v[108:109], v[154:155], -v[20:21]
	s_waitcnt vmcnt(36) lgkmcnt(2)
	v_mul_f64 v[12:13], v[172:173], v[44:45]
	v_mul_f64 v[26:27], v[114:115], v[26:27]
	s_waitcnt vmcnt(34)
	v_fmac_f64_e32 v[12:13], v[174:175], v[46:47]
	v_mul_f64 v[30:31], v[166:167], v[30:31]
	s_waitcnt vmcnt(32)
	v_mul_f64 v[10:11], v[168:169], v[34:35]
	v_mul_f64 v[34:35], v[170:171], v[34:35]
	s_waitcnt vmcnt(30) lgkmcnt(1)
	v_mul_f64 v[116:117], v[176:177], v[42:43]
	v_mul_f64 v[42:43], v[178:179], v[42:43]
	s_waitcnt vmcnt(28)
	v_fmac_f64_e32 v[4:5], v[114:115], v[158:159]
	v_add_f64 v[0:1], v[0:1], v[4:5]
	s_waitcnt vmcnt(26)
	v_fmac_f64_e32 v[6:7], v[162:163], v[38:39]
	v_add_f64 v[0:1], v[0:1], v[6:7]
	;; [unrolled: 3-line block ×3, first 2 shown]
	v_add_f64 v[0:1], v[0:1], v[10:11]
	v_add_f64 v[2:3], v[0:1], v[12:13]
	buffer_load_dword v107, off, s[0:3], 0 offset:420
	buffer_load_dword v106, off, s[0:3], 0 offset:416
	;; [unrolled: 1-line block ×40, first 2 shown]
	s_waitcnt vmcnt(62)
	v_fmac_f64_e32 v[116:117], v[178:179], v[50:51]
	v_add_f64 v[2:3], v[2:3], v[116:117]
	v_fma_f64 v[110:111], v[168:169], v[36:37], -v[34:35]
	v_fma_f64 v[20:21], v[176:177], v[50:51], -v[42:43]
	s_waitcnt vmcnt(58) lgkmcnt(0)
	v_mul_f64 v[42:43], v[182:183], v[48:49]
	s_waitcnt vmcnt(0)
	v_pk_mov_b32 v[6:7], v[4:5], v[4:5] op_sel:[0,1]
	buffer_load_dword v5, off, s[0:3], 0 offset:580
	buffer_load_dword v4, off, s[0:3], 0 offset:576
	v_accvgpr_write_b32 a195, v7
	v_accvgpr_write_b32 a194, v6
	s_waitcnt vmcnt(0)
	v_pk_mov_b32 v[8:9], v[4:5], v[4:5] op_sel:[0,1]
	buffer_load_dword v91, off, s[0:3], 0 offset:572
	buffer_load_dword v90, off, s[0:3], 0 offset:568
	;; [unrolled: 1-line block ×6, first 2 shown]
	v_accvgpr_write_b32 a197, v9
	v_accvgpr_write_b32 a196, v8
	s_waitcnt vmcnt(0)
	v_pk_mov_b32 v[118:119], v[4:5], v[4:5] op_sel:[0,1]
	buffer_load_dword v5, off, s[0:3], 0 offset:612
	buffer_load_dword v4, off, s[0:3], 0 offset:608
	v_accvgpr_write_b32 a203, v119
	v_accvgpr_write_b32 a202, v118
	s_waitcnt vmcnt(0)
	v_pk_mov_b32 v[120:121], v[4:5], v[4:5] op_sel:[0,1]
	buffer_load_dword v5, off, s[0:3], 0 offset:604
	buffer_load_dword v4, off, s[0:3], 0 offset:600
	;; [unrolled: 6-line block ×7, first 2 shown]
	ds_read_b128 v[184:187], v150 offset:1344
	ds_read_b128 v[192:195], v150 offset:1360
	;; [unrolled: 1-line block ×9, first 2 shown]
	buffer_load_dword v11, off, s[0:3], 0 offset:668
	buffer_load_dword v10, off, s[0:3], 0 offset:664
	;; [unrolled: 1-line block ×4, first 2 shown]
	ds_read_b128 v[224:227], v150 offset:1488
	buffer_load_dword v15, off, s[0:3], 0 offset:684
	buffer_load_dword v14, off, s[0:3], 0 offset:680
	;; [unrolled: 1-line block ×12, first 2 shown]
	ds_read_b128 v[228:231], v150 offset:1504
	ds_read_b128 v[232:235], v150 offset:1520
	;; [unrolled: 1-line block ×8, first 2 shown]
	v_accvgpr_write_b32 a207, v127
	s_waitcnt lgkmcnt(3)
	v_mul_f64 v[12:13], v[244:245], v[90:91]
	v_fmac_f64_e32 v[12:13], v[246:247], v[92:93]
	v_accvgpr_write_b32 a206, v126
	s_waitcnt lgkmcnt(0)
	v_mul_f64 v[22:23], v[130:131], v[118:119]
	v_fmac_f64_e32 v[22:23], v[132:133], v[120:121]
	v_mul_f64 v[16:17], v[198:199], v[96:97]
	v_fma_f64 v[16:17], v[196:197], v[98:99], -v[16:17]
	v_mul_f64 v[50:51], v[218:219], v[84:85]
	v_mul_f64 v[90:91], v[246:247], v[90:91]
	v_fma_f64 v[90:91], v[244:245], v[92:93], -v[90:91]
	v_accvgpr_write_b32 a225, v91
	v_accvgpr_write_b32 a224, v90
	ds_read_b128 v[154:157], v150 offset:1648
	s_waitcnt vmcnt(16)
	v_pk_mov_b32 v[128:129], v[4:5], v[4:5] op_sel:[0,1]
	v_mul_f64 v[4:5], v[180:181], v[48:49]
	v_fmac_f64_e32 v[4:5], v[182:183], v[52:53]
	v_add_f64 v[2:3], v[2:3], v[4:5]
	v_mul_f64 v[4:5], v[184:185], v[58:59]
	v_fmac_f64_e32 v[4:5], v[186:187], v[60:61]
	v_add_f64 v[2:3], v[2:3], v[4:5]
	;; [unrolled: 3-line block ×14, first 2 shown]
	v_mul_f64 v[4:5], v[240:241], v[86:87]
	v_fmac_f64_e32 v[4:5], v[242:243], v[88:89]
	s_waitcnt vmcnt(14)
	v_pk_mov_b32 v[188:189], v[10:11], v[10:11] op_sel:[0,1]
	v_add_f64 v[10:11], v[2:3], v[4:5]
	v_add_f64 v[10:11], v[10:11], v[12:13]
	v_mul_f64 v[12:13], v[142:143], v[6:7]
	v_fmac_f64_e32 v[12:13], v[144:145], v[8:9]
	v_add_f64 v[10:11], v[10:11], v[12:13]
	v_mul_f64 v[12:13], v[146:147], v[122:123]
	v_fmac_f64_e32 v[12:13], v[148:149], v[124:125]
	ds_read_b128 v[122:125], v150 offset:1632
	v_add_f64 v[116:117], v[10:11], v[12:13]
	v_add_f64 v[22:23], v[116:117], v[22:23]
	v_accvgpr_write_b32 a209, v129
	v_accvgpr_write_b32 a208, v128
	s_waitcnt lgkmcnt(0)
	v_mul_f64 v[24:25], v[122:123], v[126:127]
	v_fmac_f64_e32 v[24:25], v[124:125], v[128:129]
	v_add_f64 v[108:109], v[22:23], v[24:25]
	ds_read_b128 v[126:129], v150 offset:1664
	v_fma_f64 v[24:25], v[112:113], v[158:159], -v[26:27]
	v_mul_f64 v[4:5], v[154:155], v[134:135]
	v_mul_f64 v[26:27], v[162:163], v[28:29]
	v_fmac_f64_e32 v[4:5], v[156:157], v[138:139]
	buffer_load_dword v159, off, s[0:3], 0 offset:732
	buffer_load_dword v158, off, s[0:3], 0 offset:728
	;; [unrolled: 1-line block ×4, first 2 shown]
	v_fma_f64 v[162:163], v[160:161], v[38:39], -v[26:27]
	buffer_load_dword v161, off, s[0:3], 0 offset:724
	buffer_load_dword v160, off, s[0:3], 0 offset:720
	;; [unrolled: 1-line block ×3, first 2 shown]
	ds_read_b128 v[118:121], v150 offset:1680
	v_add_f64 v[4:5], v[108:109], v[4:5]
	buffer_load_dword v139, off, s[0:3], 0 offset:740
	v_fma_f64 v[108:109], v[164:165], v[32:33], -v[30:31]
	ds_read_b128 v[30:33], v150 offset:1696
	s_waitcnt lgkmcnt(2)
	v_mul_f64 v[26:27], v[126:127], v[188:189]
	ds_read_b128 v[34:37], v150 offset:1712
	s_waitcnt vmcnt(20)
	v_fmac_f64_e32 v[26:27], v[128:129], v[18:19]
	s_waitcnt vmcnt(18) lgkmcnt(2)
	v_mul_f64 v[38:39], v[118:119], v[14:15]
	v_add_f64 v[4:5], v[4:5], v[26:27]
	s_waitcnt vmcnt(16)
	v_fmac_f64_e32 v[38:39], v[120:121], v[140:141]
	v_add_f64 v[4:5], v[4:5], v[38:39]
	s_waitcnt vmcnt(13) lgkmcnt(1)
	v_mul_f64 v[38:39], v[30:31], v[40:41]
	s_waitcnt vmcnt(11)
	v_fmac_f64_e32 v[38:39], v[32:33], v[152:153]
	v_add_f64 v[4:5], v[4:5], v[38:39]
	s_waitcnt vmcnt(10) lgkmcnt(0)
	v_mul_f64 v[38:39], v[34:35], v[190:191]
	v_accvgpr_write_b32 a221, v41
	s_waitcnt vmcnt(8)
	v_fmac_f64_e32 v[38:39], v[36:37], v[136:137]
	v_accvgpr_write_b32 a220, v40
	v_add_f64 v[112:113], v[4:5], v[38:39]
	ds_read_b128 v[38:41], v150 offset:1728
	buffer_load_dword v27, off, s[0:3], 0 offset:764
	buffer_load_dword v26, off, s[0:3], 0 offset:760
	;; [unrolled: 1-line block ×9, first 2 shown]
	v_mul_f64 v[4:5], v[174:175], v[44:45]
	v_fma_f64 v[22:23], v[172:173], v[46:47], -v[4:5]
	buffer_load_dword v175, off, s[0:3], 0 offset:796
	buffer_load_dword v174, off, s[0:3], 0 offset:792
	buffer_load_dword v179, off, s[0:3], 0 offset:788
	buffer_load_dword v178, off, s[0:3], 0 offset:784
	buffer_load_dword v164, off, s[0:3], 0 offset:808
	buffer_load_dword v177, off, s[0:3], 0 offset:804
	buffer_load_dword v176, off, s[0:3], 0 offset:800
	buffer_load_dword v172, off, s[0:3], 0 offset:840
	v_accvgpr_write_b32 a217, v19
	v_accvgpr_write_b32 a219, v15
	v_mul_f64 v[12:13], v[186:187], v[58:59]
	v_accvgpr_write_b32 a216, v18
	v_accvgpr_write_b32 a218, v14
	v_fma_f64 v[18:19], v[180:181], v[52:53], -v[42:43]
	v_fma_f64 v[14:15], v[184:185], v[60:61], -v[12:13]
	buffer_load_dword v183, off, s[0:3], 0 offset:828
	buffer_load_dword v182, off, s[0:3], 0 offset:824
	;; [unrolled: 1-line block ×7, first 2 shown]
	v_accvgpr_write_b32 a215, v189
	v_accvgpr_write_b32 a214, v188
	buffer_load_dword v187, off, s[0:3], 0 offset:860
	buffer_load_dword v186, off, s[0:3], 0 offset:856
	;; [unrolled: 1-line block ×4, first 2 shown]
	v_mul_f64 v[42:43], v[194:195], v[54:55]
	v_fma_f64 v[12:13], v[192:193], v[56:57], -v[42:43]
	buffer_load_dword v193, off, s[0:3], 0 offset:876
	buffer_load_dword v192, off, s[0:3], 0 offset:872
	;; [unrolled: 1-line block ×8, first 2 shown]
	v_mul_f64 v[42:43], v[202:203], v[64:65]
	v_fma_f64 v[200:201], v[200:201], v[66:67], -v[42:43]
	v_mul_f64 v[42:43], v[206:207], v[248:249]
	v_fma_f64 v[248:249], v[204:205], v[250:251], -v[42:43]
	buffer_load_dword v203, off, s[0:3], 0 offset:908
	buffer_load_dword v202, off, s[0:3], 0 offset:904
	;; [unrolled: 1-line block ×4, first 2 shown]
	v_mul_f64 v[42:43], v[210:211], v[62:63]
	v_fma_f64 v[250:251], v[208:209], v[106:107], -v[42:43]
	buffer_load_dword v106, off, s[0:3], 0 offset:936
	buffer_load_dword v209, off, s[0:3], 0 offset:924
	;; [unrolled: 1-line block ×8, first 2 shown]
	v_mul_f64 v[48:49], v[214:215], v[102:103]
	ds_read_b128 v[42:45], v150 offset:1744
	v_fma_f64 v[10:11], v[212:213], v[104:105], -v[48:49]
	buffer_load_dword v213, off, s[0:3], 0 offset:956
	buffer_load_dword v212, off, s[0:3], 0 offset:952
	;; [unrolled: 1-line block ×4, first 2 shown]
	v_mul_f64 v[62:63], v[226:227], v[68:69]
	v_fma_f64 v[6:7], v[224:225], v[70:71], -v[62:63]
	ds_read_b128 v[62:65], v150 offset:1824
	v_mul_f64 v[74:75], v[234:235], v[74:75]
	v_fma_f64 v[2:3], v[232:233], v[76:77], -v[74:75]
	v_mul_f64 v[0:1], v[222:223], v[0:1]
	v_mul_f64 v[78:79], v[238:239], v[78:79]
	v_fma_f64 v[8:9], v[220:221], v[100:101], -v[0:1]
	v_fma_f64 v[0:1], v[236:237], v[80:81], -v[78:79]
	ds_read_b128 v[78:81], v150 offset:1888
	v_mul_f64 v[86:87], v[242:243], v[86:87]
	ds_read_b128 v[74:77], v150 offset:1872
	ds_read_b128 v[90:93], v150 offset:1936
	s_waitcnt vmcnt(58) lgkmcnt(5)
	v_mul_f64 v[46:47], v[38:39], v[158:159]
	s_waitcnt vmcnt(54)
	v_fmac_f64_e32 v[46:47], v[40:41], v[160:161]
	s_waitcnt vmcnt(53) lgkmcnt(4)
	v_mul_f64 v[48:49], v[42:43], v[134:135]
	v_add_f64 v[46:47], v[112:113], v[46:47]
	v_fma_f64 v[112:113], v[216:217], v[94:95], -v[50:51]
	s_waitcnt vmcnt(52)
	v_fmac_f64_e32 v[48:49], v[44:45], v[138:139]
	v_add_f64 v[54:55], v[46:47], v[48:49]
	ds_read_b128 v[46:49], v150 offset:1760
	ds_read_b128 v[50:53], v150 offset:1776
	v_fma_f64 v[216:217], v[240:241], v[88:89], -v[86:87]
	ds_read_b128 v[86:89], v150 offset:1920
	s_waitcnt vmcnt(50) lgkmcnt(2)
	v_mul_f64 v[56:57], v[46:47], v[26:27]
	s_waitcnt vmcnt(48)
	v_fmac_f64_e32 v[56:57], v[48:49], v[168:169]
	v_add_f64 v[58:59], v[54:55], v[56:57]
	ds_read_b128 v[54:57], v150 offset:1792
	s_waitcnt vmcnt(46) lgkmcnt(2)
	v_mul_f64 v[60:61], v[50:51], v[166:167]
	s_waitcnt vmcnt(44)
	v_fmac_f64_e32 v[60:61], v[52:53], v[170:171]
	v_add_f64 v[66:67], v[58:59], v[60:61]
	;; [unrolled: 6-line block ×3, first 2 shown]
	v_mul_f64 v[66:67], v[230:231], v[72:73]
	v_fma_f64 v[4:5], v[228:229], v[82:83], -v[66:67]
	ds_read_b128 v[66:69], v150 offset:1840
	s_waitcnt vmcnt(38) lgkmcnt(1)
	v_mul_f64 v[84:85], v[58:59], v[164:165]
	s_waitcnt vmcnt(36)
	v_fmac_f64_e32 v[84:85], v[60:61], v[176:177]
	s_waitcnt vmcnt(33)
	v_mul_f64 v[72:73], v[62:63], v[182:183]
	v_add_f64 v[70:71], v[70:71], v[84:85]
	s_waitcnt vmcnt(31)
	v_fmac_f64_e32 v[72:73], v[64:65], v[184:185]
	v_add_f64 v[70:71], v[70:71], v[72:73]
	s_waitcnt vmcnt(29) lgkmcnt(0)
	v_mul_f64 v[72:73], v[66:67], v[172:173]
	s_waitcnt vmcnt(28)
	v_fmac_f64_e32 v[72:73], v[68:69], v[180:181]
	v_add_f64 v[82:83], v[70:71], v[72:73]
	ds_read_b128 v[70:73], v150 offset:1856
	s_waitcnt vmcnt(26) lgkmcnt(0)
	v_mul_f64 v[84:85], v[70:71], v[186:187]
	s_waitcnt vmcnt(24)
	v_fmac_f64_e32 v[84:85], v[72:73], v[188:189]
	v_add_f64 v[28:29], v[82:83], v[84:85]
	s_waitcnt vmcnt(22)
	v_mul_f64 v[82:83], v[74:75], v[192:193]
	s_waitcnt vmcnt(20)
	v_fmac_f64_e32 v[82:83], v[76:77], v[196:197]
	v_add_f64 v[28:29], v[28:29], v[82:83]
	s_waitcnt vmcnt(18)
	v_mul_f64 v[82:83], v[78:79], v[194:195]
	s_waitcnt vmcnt(16)
	v_fmac_f64_e32 v[82:83], v[80:81], v[198:199]
	v_add_f64 v[28:29], v[28:29], v[82:83]
	ds_read_b128 v[82:85], v150 offset:1904
	s_waitcnt vmcnt(14) lgkmcnt(0)
	v_mul_f64 v[94:95], v[82:83], v[202:203]
	s_waitcnt vmcnt(12)
	v_fmac_f64_e32 v[94:95], v[84:85], v[204:205]
	v_add_f64 v[28:29], v[28:29], v[94:95]
	s_waitcnt vmcnt(9)
	v_mul_f64 v[94:95], v[86:87], v[208:209]
	s_waitcnt vmcnt(7)
	v_fmac_f64_e32 v[94:95], v[88:89], v[210:211]
	v_add_f64 v[28:29], v[28:29], v[94:95]
	s_waitcnt vmcnt(5)
	v_mul_f64 v[94:95], v[90:91], v[106:107]
	s_waitcnt vmcnt(4)
	v_fmac_f64_e32 v[94:95], v[92:93], v[206:207]
	v_add_f64 v[28:29], v[28:29], v[94:95]
	ds_read_b128 v[94:97], v150 offset:1952
	s_waitcnt vmcnt(2) lgkmcnt(0)
	v_mul_f64 v[98:99], v[94:95], v[212:213]
	s_waitcnt vmcnt(0)
	v_fmac_f64_e32 v[98:99], v[96:97], v[214:215]
	v_add_f64 v[102:103], v[28:29], v[98:99]
	buffer_load_dword v28, off, s[0:3], 0 offset:968
	buffer_load_dword v29, off, s[0:3], 0 offset:972
	;; [unrolled: 1-line block ×4, first 2 shown]
	ds_read_b128 v[98:101], v150 offset:1968
	buffer_load_dword v221, off, s[0:3], 0 offset:988
	buffer_load_dword v220, off, s[0:3], 0 offset:984
	;; [unrolled: 1-line block ×4, first 2 shown]
	s_waitcnt vmcnt(6) lgkmcnt(0)
	v_mul_f64 v[104:105], v[98:99], v[28:29]
	s_waitcnt vmcnt(4)
	v_fmac_f64_e32 v[104:105], v[100:101], v[218:219]
	v_add_f64 v[114:115], v[102:103], v[104:105]
	ds_read_b128 v[102:105], v150 offset:1984
	buffer_load_dword v224, off, s[0:3], 0 offset:1000
	buffer_load_dword v225, off, s[0:3], 0 offset:1004
	buffer_load_dword v226, off, s[0:3], 0 offset:992
	buffer_load_dword v227, off, s[0:3], 0 offset:996
	ds_read_b128 v[238:241], v150 offset:2000
	buffer_load_dword v229, off, s[0:3], 0 offset:1020
	buffer_load_dword v228, off, s[0:3], 0 offset:1016
	buffer_load_dword v231, off, s[0:3], 0 offset:1012
	buffer_load_dword v230, off, s[0:3], 0 offset:1008
	;; [unrolled: 5-line block ×3, first 2 shown]
	s_waitcnt vmcnt(14) lgkmcnt(2)
	v_mul_f64 v[116:117], v[102:103], v[220:221]
	s_waitcnt vmcnt(12)
	v_fmac_f64_e32 v[116:117], v[104:105], v[222:223]
	v_add_f64 v[114:115], v[114:115], v[116:117]
	s_waitcnt vmcnt(10) lgkmcnt(1)
	v_mul_f64 v[116:117], v[238:239], v[224:225]
	s_waitcnt vmcnt(8)
	v_fmac_f64_e32 v[116:117], v[240:241], v[226:227]
	v_add_f64 v[114:115], v[114:115], v[116:117]
	;; [unrolled: 5-line block ×3, first 2 shown]
	ds_read_b128 v[114:117], v150 offset:2032
	s_waitcnt vmcnt(2) lgkmcnt(0)
	v_mul_f64 v[232:233], v[114:115], v[234:235]
	s_waitcnt vmcnt(0)
	v_fmac_f64_e32 v[232:233], v[116:117], v[236:237]
	v_add_f64 v[232:233], v[246:247], v[232:233]
	v_accvgpr_write_b32 a222, v232
	v_accvgpr_write_b32 a223, v233
	v_add_f64 v[232:233], v[252:253], 0
	v_add_f64 v[232:233], v[232:233], v[254:255]
	;; [unrolled: 1-line block ×17, first 2 shown]
	buffer_load_dword v248, off, s[0:3], 0 offset:176
	buffer_load_dword v249, off, s[0:3], 0 offset:180
	v_add_f64 v[8:9], v[10:11], v[8:9]
	buffer_load_dword v246, off, s[0:3], 0 offset:184
	buffer_load_dword v247, off, s[0:3], 0 offset:188
	v_add_f64 v[6:7], v[8:9], v[6:7]
	v_add_f64 v[4:5], v[6:7], v[4:5]
	;; [unrolled: 1-line block ×4, first 2 shown]
	v_accvgpr_read_b32 v2, a194
	v_add_f64 v[252:253], v[0:1], v[216:217]
	v_accvgpr_read_b32 v0, a224
	v_accvgpr_read_b32 v3, a195
	;; [unrolled: 1-line block ×4, first 2 shown]
	v_mul_f64 v[2:3], v[144:145], v[2:3]
	v_accvgpr_read_b32 v5, a197
	v_add_f64 v[0:1], v[252:253], v[0:1]
	v_fma_f64 v[2:3], v[142:143], v[4:5], -v[2:3]
	v_add_f64 v[0:1], v[0:1], v[2:3]
	v_accvgpr_read_b32 v2, a198
	v_accvgpr_read_b32 v3, a199
	v_accvgpr_read_b32 v4, a200
	v_mul_f64 v[2:3], v[148:149], v[2:3]
	v_accvgpr_read_b32 v5, a201
	v_fma_f64 v[2:3], v[146:147], v[4:5], -v[2:3]
	v_add_f64 v[0:1], v[0:1], v[2:3]
	v_accvgpr_read_b32 v2, a202
	v_accvgpr_read_b32 v3, a203
	v_accvgpr_read_b32 v4, a204
	v_mul_f64 v[2:3], v[132:133], v[2:3]
	v_accvgpr_read_b32 v5, a205
	;; [unrolled: 7-line block ×5, first 2 shown]
	v_fma_f64 v[2:3], v[126:127], v[4:5], -v[2:3]
	v_add_f64 v[0:1], v[0:1], v[2:3]
	v_accvgpr_read_b32 v2, a218
	v_accvgpr_read_b32 v3, a219
	v_mul_f64 v[2:3], v[120:121], v[2:3]
	v_fma_f64 v[2:3], v[118:119], v[140:141], -v[2:3]
	v_add_f64 v[0:1], v[0:1], v[2:3]
	v_accvgpr_read_b32 v2, a220
	v_accvgpr_read_b32 v3, a221
	v_mul_f64 v[2:3], v[32:33], v[2:3]
	v_fma_f64 v[2:3], v[30:31], v[152:153], -v[2:3]
	v_add_f64 v[0:1], v[0:1], v[2:3]
	v_mul_f64 v[2:3], v[36:37], v[190:191]
	v_fma_f64 v[2:3], v[34:35], v[136:137], -v[2:3]
	v_add_f64 v[0:1], v[0:1], v[2:3]
	;; [unrolled: 3-line block ×22, first 2 shown]
	v_accvgpr_read_b32 v2, a222
	s_waitcnt vmcnt(2)
	v_add_f64 v[0:1], v[248:249], -v[0:1]
	v_accvgpr_read_b32 v3, a223
	s_waitcnt vmcnt(0)
	v_add_f64 v[2:3], v[246:247], -v[2:3]
	buffer_store_dword v1, off, s[0:3], 0 offset:180
	buffer_store_dword v0, off, s[0:3], 0 offset:176
	;; [unrolled: 1-line block ×4, first 2 shown]
	v_accvgpr_read_b32 v0, a191
	v_cmp_lt_u32_e32 vcc, 9, v0
	s_and_saveexec_b64 s[4:5], vcc
	s_cbranch_execz .LBB127_391
; %bb.390:
	v_accvgpr_read_b32 v3, a182
	buffer_load_dword v0, v3, s[0:3], 0 offen
	buffer_load_dword v1, v3, s[0:3], 0 offen offset:4
	buffer_load_dword v2, v3, s[0:3], 0 offen offset:8
	s_nop 0
	buffer_load_dword v3, v3, s[0:3], 0 offen offset:12
	v_accvgpr_read_b32 v4, a192
	buffer_store_dword v150, off, s[0:3], 0 offset:160
	buffer_store_dword v150, off, s[0:3], 0 offset:164
	;; [unrolled: 1-line block ×4, first 2 shown]
	s_waitcnt vmcnt(4)
	ds_write_b128 v4, v[0:3]
.LBB127_391:
	s_or_b64 exec, exec, s[4:5]
	s_waitcnt lgkmcnt(0)
	; wave barrier
	s_waitcnt lgkmcnt(0)
	buffer_load_dword v130, off, s[0:3], 0 offset:176
	buffer_load_dword v131, off, s[0:3], 0 offset:180
	;; [unrolled: 1-line block ×42, first 2 shown]
	ds_read_b128 v[14:17], v150 offset:1184
	ds_read_b128 v[26:29], v150 offset:1200
	;; [unrolled: 1-line block ×10, first 2 shown]
	buffer_load_dword v103, off, s[0:3], 0 offset:324
	buffer_load_dword v102, off, s[0:3], 0 offset:320
	ds_read_b128 v[42:45], v150 offset:1344
	buffer_load_dword v65, off, s[0:3], 0 offset:380
	buffer_load_dword v64, off, s[0:3], 0 offset:376
	;; [unrolled: 1-line block ×6, first 2 shown]
	s_waitcnt vmcnt(46) lgkmcnt(10)
	v_mul_f64 v[0:1], v[14:15], v[8:9]
	v_fmac_f64_e32 v[0:1], v[16:17], v[130:131]
	v_add_f64 v[0:1], v[0:1], 0
	v_mul_f64 v[8:9], v[16:17], v[8:9]
	s_waitcnt vmcnt(42) lgkmcnt(9)
	v_mul_f64 v[2:3], v[26:27], v[12:13]
	v_fmac_f64_e32 v[2:3], v[28:29], v[144:145]
	s_waitcnt vmcnt(40) lgkmcnt(8)
	v_mul_f64 v[4:5], v[104:105], v[18:19]
	v_add_f64 v[0:1], v[0:1], v[2:3]
	s_waitcnt vmcnt(38) lgkmcnt(6)
	v_mul_f64 v[68:69], v[112:113], v[30:31]
	v_fma_f64 v[130:131], v[14:15], v[130:131], -v[8:9]
	s_waitcnt vmcnt(36)
	v_fmac_f64_e32 v[68:69], v[114:115], v[32:33]
	v_mul_f64 v[12:13], v[28:29], v[12:13]
	s_waitcnt vmcnt(34)
	v_mul_f64 v[66:67], v[108:109], v[22:23]
	v_mul_f64 v[30:31], v[114:115], v[30:31]
	s_waitcnt vmcnt(32) lgkmcnt(4)
	v_mul_f64 v[74:75], v[162:163], v[38:39]
	v_mul_f64 v[18:19], v[106:107], v[18:19]
	s_waitcnt vmcnt(30)
	v_fmac_f64_e32 v[74:75], v[164:165], v[40:41]
	v_mul_f64 v[22:23], v[110:111], v[22:23]
	s_waitcnt vmcnt(28)
	v_mul_f64 v[72:73], v[154:155], v[34:35]
	v_mul_f64 v[34:35], v[156:157], v[34:35]
	s_waitcnt vmcnt(26) lgkmcnt(2)
	v_mul_f64 v[78:79], v[170:171], v[52:53]
	v_mul_f64 v[52:53], v[172:173], v[52:53]
	s_waitcnt vmcnt(23)
	v_mul_f64 v[76:77], v[166:167], v[56:57]
	v_mul_f64 v[8:9], v[168:169], v[56:57]
	s_waitcnt vmcnt(21) lgkmcnt(1)
	v_mul_f64 v[142:143], v[46:47], v[50:51]
	s_waitcnt vmcnt(19)
	v_fmac_f64_e32 v[4:5], v[106:107], v[20:21]
	v_add_f64 v[0:1], v[0:1], v[4:5]
	s_waitcnt vmcnt(17)
	v_fmac_f64_e32 v[66:67], v[110:111], v[24:25]
	v_add_f64 v[0:1], v[0:1], v[66:67]
	;; [unrolled: 3-line block ×3, first 2 shown]
	v_add_f64 v[0:1], v[0:1], v[72:73]
	s_waitcnt vmcnt(13)
	v_fmac_f64_e32 v[76:77], v[168:169], v[58:59]
	v_add_f64 v[0:1], v[0:1], v[74:75]
	s_waitcnt vmcnt(12)
	v_fmac_f64_e32 v[78:79], v[172:173], v[54:55]
	v_add_f64 v[0:1], v[0:1], v[76:77]
	v_add_f64 v[2:3], v[0:1], v[78:79]
	buffer_load_dword v185, off, s[0:3], 0 offset:356
	buffer_load_dword v184, off, s[0:3], 0 offset:352
	;; [unrolled: 1-line block ×52, first 2 shown]
	s_waitcnt vmcnt(58)
	v_fmac_f64_e32 v[142:143], v[48:49], v[102:103]
	v_add_f64 v[2:3], v[2:3], v[142:143]
	v_fma_f64 v[106:107], v[112:113], v[32:33], -v[30:31]
	v_fma_f64 v[104:105], v[104:105], v[20:21], -v[18:19]
	;; [unrolled: 1-line block ×3, first 2 shown]
	s_waitcnt vmcnt(0)
	v_pk_mov_b32 v[120:121], v[4:5], v[4:5] op_sel:[0,1]
	buffer_load_dword v5, off, s[0:3], 0 offset:596
	buffer_load_dword v4, off, s[0:3], 0 offset:592
	v_accvgpr_write_b32 a201, v121
	v_accvgpr_write_b32 a200, v120
	s_waitcnt vmcnt(0)
	v_pk_mov_b32 v[122:123], v[4:5], v[4:5] op_sel:[0,1]
	buffer_load_dword v5, off, s[0:3], 0 offset:588
	buffer_load_dword v4, off, s[0:3], 0 offset:584
	v_accvgpr_write_b32 a203, v123
	v_accvgpr_write_b32 a202, v122
	s_waitcnt vmcnt(0)
	v_pk_mov_b32 v[138:139], v[4:5], v[4:5] op_sel:[0,1]
	buffer_load_dword v5, off, s[0:3], 0 offset:580
	buffer_load_dword v4, off, s[0:3], 0 offset:576
	v_pk_mov_b32 v[152:153], v[138:139], v[138:139] op_sel:[0,1]
	s_waitcnt vmcnt(0)
	v_pk_mov_b32 v[140:141], v[4:5], v[4:5] op_sel:[0,1]
	buffer_load_dword v5, off, s[0:3], 0 offset:636
	buffer_load_dword v4, off, s[0:3], 0 offset:632
	v_accvgpr_write_b32 a195, v141
	v_accvgpr_write_b32 a194, v140
	s_waitcnt vmcnt(0)
	v_pk_mov_b32 v[124:125], v[4:5], v[4:5] op_sel:[0,1]
	buffer_load_dword v5, off, s[0:3], 0 offset:628
	buffer_load_dword v4, off, s[0:3], 0 offset:624
	v_accvgpr_write_b32 a209, v125
	v_accvgpr_write_b32 a208, v124
	;; [unrolled: 6-line block ×6, first 2 shown]
	s_waitcnt vmcnt(0)
	v_pk_mov_b32 v[180:181], v[4:5], v[4:5] op_sel:[0,1]
	buffer_load_dword v11, off, s[0:3], 0 offset:652
	buffer_load_dword v10, off, s[0:3], 0 offset:648
	buffer_load_dword v5, off, s[0:3], 0 offset:644
	buffer_load_dword v4, off, s[0:3], 0 offset:640
	ds_read_b128 v[174:177], v150 offset:1360
	ds_read_b128 v[192:195], v150 offset:1376
	;; [unrolled: 1-line block ×7, first 2 shown]
	buffer_load_dword v119, off, s[0:3], 0 offset:684
	buffer_load_dword v118, off, s[0:3], 0 offset:680
	v_accvgpr_write_b32 a215, v181
	v_accvgpr_write_b32 a214, v180
	s_waitcnt lgkmcnt(4)
	v_mul_f64 v[20:21], v[198:199], v[248:249]
	v_fma_f64 v[20:21], v[196:197], v[250:251], -v[20:21]
	s_waitcnt vmcnt(4)
	v_accvgpr_write_b32 a219, v11
	v_accvgpr_write_b32 a218, v10
	s_waitcnt vmcnt(2)
	v_pk_mov_b32 v[186:187], v[4:5], v[4:5] op_sel:[0,1]
	v_mul_f64 v[4:5], v[42:43], v[60:61]
	v_fmac_f64_e32 v[4:5], v[44:45], v[62:63]
	v_add_f64 v[2:3], v[2:3], v[4:5]
	v_mul_f64 v[4:5], v[174:175], v[116:117]
	v_fmac_f64_e32 v[4:5], v[176:177], v[184:185]
	v_add_f64 v[2:3], v[2:3], v[4:5]
	v_mul_f64 v[4:5], v[192:193], v[64:65]
	s_waitcnt vmcnt(0)
	v_pk_mov_b32 v[188:189], v[118:119], v[118:119] op_sel:[0,1]
	buffer_load_dword v119, off, s[0:3], 0 offset:676
	buffer_load_dword v118, off, s[0:3], 0 offset:672
	ds_read_b128 v[220:223], v150 offset:1472
	buffer_load_dword v128, off, s[0:3], 0 offset:696
	buffer_load_dword v129, off, s[0:3], 0 offset:700
	;; [unrolled: 1-line block ×4, first 2 shown]
	ds_read_b128 v[224:227], v150 offset:1488
	ds_read_b128 v[228:231], v150 offset:1504
	;; [unrolled: 1-line block ×4, first 2 shown]
	buffer_load_dword v137, off, s[0:3], 0 offset:716
	buffer_load_dword v136, off, s[0:3], 0 offset:712
	;; [unrolled: 1-line block ×4, first 2 shown]
	v_fmac_f64_e32 v[4:5], v[194:195], v[70:71]
	v_add_f64 v[2:3], v[2:3], v[4:5]
	v_mul_f64 v[4:5], v[196:197], v[248:249]
	v_fmac_f64_e32 v[4:5], v[198:199], v[250:251]
	v_add_f64 v[2:3], v[2:3], v[4:5]
	s_waitcnt lgkmcnt(8)
	v_mul_f64 v[4:5], v[200:201], v[208:209]
	v_fmac_f64_e32 v[4:5], v[202:203], v[210:211]
	v_add_f64 v[2:3], v[2:3], v[4:5]
	s_waitcnt lgkmcnt(7)
	;; [unrolled: 4-line block ×7, first 2 shown]
	v_mul_f64 v[4:5], v[228:229], v[66:67]
	v_fmac_f64_e32 v[4:5], v[230:231], v[68:69]
	ds_read_b128 v[240:243], v150 offset:1552
	ds_read_b128 v[244:247], v150 offset:1568
	v_add_f64 v[2:3], v[2:3], v[4:5]
	s_waitcnt lgkmcnt(3)
	v_mul_f64 v[4:5], v[232:233], v[72:73]
	v_fmac_f64_e32 v[4:5], v[234:235], v[74:75]
	v_add_f64 v[2:3], v[2:3], v[4:5]
	s_waitcnt lgkmcnt(2)
	v_mul_f64 v[4:5], v[236:237], v[78:79]
	v_fmac_f64_e32 v[4:5], v[238:239], v[80:81]
	ds_read_b128 v[132:135], v150 offset:1584
	ds_read_b128 v[14:17], v150 offset:1600
	v_add_f64 v[2:3], v[2:3], v[4:5]
	s_waitcnt lgkmcnt(3)
	v_mul_f64 v[4:5], v[240:241], v[82:83]
	v_fmac_f64_e32 v[4:5], v[242:243], v[84:85]
	v_add_f64 v[2:3], v[2:3], v[4:5]
	s_waitcnt lgkmcnt(2)
	v_mul_f64 v[4:5], v[244:245], v[90:91]
	v_fmac_f64_e32 v[4:5], v[246:247], v[92:93]
	v_add_f64 v[158:159], v[2:3], v[4:5]
	s_waitcnt lgkmcnt(1)
	v_mul_f64 v[4:5], v[132:133], v[138:139]
	ds_read_b128 v[146:149], v150 offset:1616
	v_fmac_f64_e32 v[4:5], v[134:135], v[140:141]
	v_add_f64 v[4:5], v[158:159], v[4:5]
	v_fma_f64 v[158:159], v[26:27], v[144:145], -v[12:13]
	ds_read_b128 v[142:145], v150 offset:1632
	s_waitcnt lgkmcnt(2)
	v_pk_mov_b32 v[28:29], v[16:17], v[16:17] op_sel:[0,1]
	v_pk_mov_b32 v[26:27], v[14:15], v[14:15] op_sel:[0,1]
	v_mul_f64 v[14:15], v[26:27], v[120:121]
	v_accvgpr_write_b32 a199, v29
	v_fmac_f64_e32 v[14:15], v[28:29], v[122:123]
	v_accvgpr_write_b32 a198, v28
	v_accvgpr_write_b32 a197, v27
	;; [unrolled: 1-line block ×3, first 2 shown]
	s_waitcnt lgkmcnt(1)
	v_mul_f64 v[26:27], v[146:147], v[178:179]
	v_add_f64 v[4:5], v[4:5], v[14:15]
	v_fmac_f64_e32 v[26:27], v[148:149], v[182:183]
	ds_read_b128 v[138:141], v150 offset:1648
	v_add_f64 v[4:5], v[4:5], v[26:27]
	s_waitcnt lgkmcnt(1)
	v_mul_f64 v[26:27], v[142:143], v[124:125]
	v_fmac_f64_e32 v[26:27], v[144:145], v[126:127]
	ds_read_b128 v[124:127], v150 offset:1664
	ds_read_b128 v[120:123], v150 offset:1680
	;; [unrolled: 1-line block ×3, first 2 shown]
	v_add_f64 v[4:5], v[4:5], v[26:27]
	s_waitcnt lgkmcnt(3)
	v_mul_f64 v[26:27], v[138:139], v[10:11]
	v_fmac_f64_e32 v[26:27], v[140:141], v[186:187]
	v_add_f64 v[4:5], v[4:5], v[26:27]
	s_waitcnt lgkmcnt(2)
	v_mul_f64 v[26:27], v[124:125], v[160:161]
	v_fma_f64 v[178:179], v[108:109], v[24:25], -v[22:23]
	v_fmac_f64_e32 v[26:27], v[126:127], v[180:181]
	s_waitcnt lgkmcnt(1)
	v_mul_f64 v[108:109], v[120:121], v[188:189]
	v_add_f64 v[4:5], v[4:5], v[26:27]
	s_waitcnt vmcnt(8)
	v_fmac_f64_e32 v[108:109], v[122:123], v[118:119]
	s_waitcnt vmcnt(6) lgkmcnt(0)
	v_mul_f64 v[110:111], v[30:31], v[128:129]
	v_add_f64 v[4:5], v[4:5], v[108:109]
	s_waitcnt vmcnt(4)
	v_fmac_f64_e32 v[110:111], v[32:33], v[6:7]
	v_fma_f64 v[108:109], v[154:155], v[36:37], -v[34:35]
	ds_read_b128 v[34:37], v150 offset:1712
	buffer_load_dword v155, off, s[0:3], 0 offset:732
	buffer_load_dword v154, off, s[0:3], 0 offset:728
	v_add_f64 v[110:111], v[4:5], v[110:111]
	v_mul_f64 v[4:5], v[164:165], v[38:39]
	buffer_load_dword v161, off, s[0:3], 0 offset:724
	buffer_load_dword v160, off, s[0:3], 0 offset:720
	v_fma_f64 v[22:23], v[162:163], v[40:41], -v[4:5]
	buffer_load_dword v156, off, s[0:3], 0 offset:760
	buffer_load_dword v26, off, s[0:3], 0 offset:752
	;; [unrolled: 1-line block ×8, first 2 shown]
	s_waitcnt vmcnt(14) lgkmcnt(0)
	v_mul_f64 v[38:39], v[34:35], v[136:137]
	s_waitcnt vmcnt(12)
	v_fmac_f64_e32 v[38:39], v[36:37], v[190:191]
	v_add_f64 v[56:57], v[110:111], v[38:39]
	ds_read_b128 v[38:41], v150 offset:1728
	v_fma_f64 v[16:17], v[170:171], v[54:55], -v[52:53]
	buffer_load_dword v167, off, s[0:3], 0 offset:780
	buffer_load_dword v166, off, s[0:3], 0 offset:776
	;; [unrolled: 1-line block ×8, first 2 shown]
	v_mul_f64 v[12:13], v[48:49], v[50:51]
	v_fma_f64 v[12:13], v[46:47], v[102:103], -v[12:13]
	v_mul_f64 v[14:15], v[176:177], v[116:117]
	buffer_load_dword v177, off, s[0:3], 0 offset:812
	buffer_load_dword v176, off, s[0:3], 0 offset:808
	;; [unrolled: 1-line block ×8, first 2 shown]
	v_accvgpr_write_b32 a217, v187
	v_accvgpr_write_b32 a221, v189
	;; [unrolled: 1-line block ×4, first 2 shown]
	v_fma_f64 v[14:15], v[174:175], v[184:185], -v[14:15]
	buffer_load_dword v174, off, s[0:3], 0 offset:856
	buffer_load_dword v187, off, s[0:3], 0 offset:844
	;; [unrolled: 1-line block ×8, first 2 shown]
	v_mul_f64 v[44:45], v[44:45], v[60:61]
	v_fma_f64 v[10:11], v[42:43], v[62:63], -v[44:45]
	v_mul_f64 v[42:43], v[194:195], v[64:65]
	v_fma_f64 v[8:9], v[192:193], v[70:71], -v[42:43]
	buffer_load_dword v193, off, s[0:3], 0 offset:876
	buffer_load_dword v192, off, s[0:3], 0 offset:872
	buffer_load_dword v195, off, s[0:3], 0 offset:868
	buffer_load_dword v194, off, s[0:3], 0 offset:864
	v_mul_f64 v[42:43], v[202:203], v[208:209]
	v_fma_f64 v[248:249], v[200:201], v[210:211], -v[42:43]
	buffer_load_dword v198, off, s[0:3], 0 offset:888
	buffer_load_dword v200, off, s[0:3], 0 offset:880
	buffer_load_dword v199, off, s[0:3], 0 offset:892
	buffer_load_dword v201, off, s[0:3], 0 offset:884
	;; [unrolled: 6-line block ×3, first 2 shown]
	buffer_load_dword v208, off, s[0:3], 0 offset:896
	buffer_load_dword v196, off, s[0:3], 0 offset:920
	;; [unrolled: 1-line block ×8, first 2 shown]
	v_mul_f64 v[46:47], v[214:215], v[94:95]
	ds_read_b128 v[42:45], v150 offset:1744
	v_fma_f64 v[250:251], v[212:213], v[96:97], -v[46:47]
	buffer_load_dword v212, off, s[0:3], 0 offset:952
	buffer_load_dword v214, off, s[0:3], 0 offset:944
	;; [unrolled: 1-line block ×4, first 2 shown]
	v_accvgpr_write_b32 a227, v7
	v_mul_f64 v[46:47], v[218:219], v[98:99]
	v_accvgpr_write_b32 a226, v6
	v_fma_f64 v[6:7], v[216:217], v[100:101], -v[46:47]
	ds_read_b128 v[46:49], v150 offset:1760
	v_mul_f64 v[54:55], v[222:223], v[76:77]
	v_fma_f64 v[4:5], v[220:221], v[86:87], -v[54:55]
	v_mul_f64 v[0:1], v[226:227], v[0:1]
	v_mul_f64 v[66:67], v[230:231], v[66:67]
	v_fma_f64 v[2:3], v[224:225], v[88:89], -v[0:1]
	v_fma_f64 v[0:1], v[228:229], v[68:69], -v[66:67]
	v_mul_f64 v[70:71], v[234:235], v[72:73]
	v_fma_f64 v[232:233], v[232:233], v[74:75], -v[70:71]
	ds_read_b128 v[66:69], v150 offset:1840
	ds_read_b128 v[70:73], v150 offset:1856
	;; [unrolled: 1-line block ×3, first 2 shown]
	v_mul_f64 v[90:91], v[246:247], v[90:91]
	v_fma_f64 v[252:253], v[244:245], v[92:93], -v[90:91]
	v_accvgpr_write_b32 a223, v119
	v_accvgpr_write_b32 a222, v118
	v_add_f64 v[118:119], v[130:131], 0
	v_add_f64 v[118:119], v[118:119], v[158:159]
	;; [unrolled: 1-line block ×15, first 2 shown]
	v_accvgpr_write_b32 a225, v129
	v_add_f64 v[8:9], v[8:9], v[254:255]
	v_accvgpr_write_b32 a224, v128
	v_pk_mov_b32 v[128:129], v[190:191], v[190:191] op_sel:[0,1]
	v_add_f64 v[8:9], v[8:9], v[250:251]
	v_add_f64 v[6:7], v[8:9], v[6:7]
	s_waitcnt vmcnt(58) lgkmcnt(5)
	v_mul_f64 v[50:51], v[38:39], v[154:155]
	ds_read_b128 v[90:93], v150 offset:1936
	v_add_f64 v[4:5], v[6:7], v[4:5]
	s_waitcnt vmcnt(56)
	v_fmac_f64_e32 v[50:51], v[40:41], v[160:161]
	v_add_f64 v[50:51], v[56:57], v[50:51]
	s_waitcnt vmcnt(52) lgkmcnt(5)
	v_mul_f64 v[52:53], v[42:43], v[162:163]
	s_waitcnt vmcnt(50)
	v_fmac_f64_e32 v[52:53], v[44:45], v[164:165]
	v_add_f64 v[50:51], v[50:51], v[52:53]
	ds_read_b128 v[54:57], v150 offset:1792
	s_waitcnt vmcnt(49) lgkmcnt(5)
	v_mul_f64 v[52:53], v[46:47], v[156:157]
	s_waitcnt vmcnt(48)
	v_fmac_f64_e32 v[52:53], v[48:49], v[26:27]
	v_add_f64 v[58:59], v[50:51], v[52:53]
	ds_read_b128 v[50:53], v150 offset:1776
	s_waitcnt vmcnt(41) lgkmcnt(1)
	v_mul_f64 v[62:63], v[54:55], v[168:169]
	s_waitcnt vmcnt(40)
	v_fmac_f64_e32 v[62:63], v[56:57], v[172:173]
	v_add_f64 v[2:3], v[4:5], v[2:3]
	v_add_f64 v[0:1], v[2:3], v[0:1]
	s_waitcnt lgkmcnt(0)
	v_mul_f64 v[24:25], v[50:51], v[166:167]
	v_fmac_f64_e32 v[24:25], v[52:53], v[170:171]
	v_add_f64 v[24:25], v[58:59], v[24:25]
	ds_read_b128 v[58:61], v150 offset:1808
	v_add_f64 v[24:25], v[24:25], v[62:63]
	ds_read_b128 v[62:65], v150 offset:1824
	v_add_f64 v[0:1], v[0:1], v[232:233]
	v_accvgpr_read_b32 v4, a194
	s_waitcnt vmcnt(38) lgkmcnt(1)
	v_mul_f64 v[28:29], v[58:59], v[176:177]
	s_waitcnt vmcnt(36)
	v_fmac_f64_e32 v[28:29], v[60:61], v[180:181]
	v_add_f64 v[24:25], v[24:25], v[28:29]
	s_waitcnt vmcnt(34) lgkmcnt(0)
	v_mul_f64 v[28:29], v[62:63], v[102:103]
	s_waitcnt vmcnt(32)
	v_fmac_f64_e32 v[28:29], v[64:65], v[182:183]
	v_add_f64 v[24:25], v[24:25], v[28:29]
	s_waitcnt vmcnt(29)
	v_mul_f64 v[28:29], v[66:67], v[186:187]
	s_waitcnt vmcnt(27)
	v_fmac_f64_e32 v[28:29], v[68:69], v[188:189]
	v_add_f64 v[24:25], v[24:25], v[28:29]
	s_waitcnt vmcnt(25)
	v_mul_f64 v[28:29], v[70:71], v[174:175]
	s_waitcnt vmcnt(24)
	v_fmac_f64_e32 v[28:29], v[72:73], v[184:185]
	v_add_f64 v[24:25], v[24:25], v[28:29]
	v_mul_f64 v[28:29], v[238:239], v[78:79]
	v_fma_f64 v[28:29], v[236:237], v[80:81], -v[28:29]
	ds_read_b128 v[78:81], v150 offset:1888
	s_waitcnt vmcnt(22)
	v_mul_f64 v[86:87], v[74:75], v[192:193]
	s_waitcnt vmcnt(20)
	v_fmac_f64_e32 v[86:87], v[76:77], v[194:195]
	v_add_f64 v[86:87], v[24:25], v[86:87]
	v_mul_f64 v[24:25], v[242:243], v[82:83]
	v_fma_f64 v[24:25], v[240:241], v[84:85], -v[24:25]
	ds_read_b128 v[82:85], v150 offset:1904
	s_waitcnt vmcnt(17) lgkmcnt(1)
	v_mul_f64 v[88:89], v[78:79], v[198:199]
	s_waitcnt vmcnt(16)
	v_fmac_f64_e32 v[88:89], v[80:81], v[200:201]
	v_add_f64 v[94:95], v[86:87], v[88:89]
	ds_read_b128 v[86:89], v150 offset:1920
	s_waitcnt vmcnt(13) lgkmcnt(1)
	v_mul_f64 v[96:97], v[82:83], v[202:203]
	s_waitcnt vmcnt(11)
	v_fmac_f64_e32 v[96:97], v[84:85], v[208:209]
	v_add_f64 v[94:95], v[94:95], v[96:97]
	v_add_f64 v[254:255], v[0:1], v[28:29]
	s_waitcnt vmcnt(10) lgkmcnt(0)
	v_mul_f64 v[96:97], v[86:87], v[196:197]
	s_waitcnt vmcnt(8)
	v_fmac_f64_e32 v[96:97], v[88:89], v[206:207]
	v_add_f64 v[94:95], v[94:95], v[96:97]
	s_waitcnt vmcnt(6)
	v_mul_f64 v[96:97], v[90:91], v[204:205]
	s_waitcnt vmcnt(4)
	v_fmac_f64_e32 v[96:97], v[92:93], v[210:211]
	v_add_f64 v[98:99], v[94:95], v[96:97]
	ds_read_b128 v[94:97], v150 offset:1952
	buffer_load_dword v217, off, s[0:3], 0 offset:972
	buffer_load_dword v216, off, s[0:3], 0 offset:968
	;; [unrolled: 1-line block ×4, first 2 shown]
	v_add_f64 v[0:1], v[254:255], v[24:25]
	v_mul_f64 v[2:3], v[134:135], v[152:153]
	v_accvgpr_read_b32 v5, a195
	s_waitcnt vmcnt(5) lgkmcnt(0)
	v_mul_f64 v[100:101], v[94:95], v[212:213]
	s_waitcnt vmcnt(4)
	v_fmac_f64_e32 v[100:101], v[96:97], v[214:215]
	v_add_f64 v[110:111], v[98:99], v[100:101]
	ds_read_b128 v[98:101], v150 offset:1968
	buffer_load_dword v220, off, s[0:3], 0 offset:984
	buffer_load_dword v221, off, s[0:3], 0 offset:988
	buffer_load_dword v222, off, s[0:3], 0 offset:976
	buffer_load_dword v223, off, s[0:3], 0 offset:980
	ds_read_b128 v[238:241], v150 offset:1984
	buffer_load_dword v225, off, s[0:3], 0 offset:1004
	buffer_load_dword v224, off, s[0:3], 0 offset:1000
	buffer_load_dword v227, off, s[0:3], 0 offset:996
	buffer_load_dword v226, off, s[0:3], 0 offset:992
	ds_read_b128 v[242:245], v150 offset:2000
	buffer_load_dword v228, off, s[0:3], 0 offset:1016
	buffer_load_dword v229, off, s[0:3], 0 offset:1020
	buffer_load_dword v230, off, s[0:3], 0 offset:1008
	buffer_load_dword v231, off, s[0:3], 0 offset:1012
	v_add_f64 v[0:1], v[0:1], v[252:253]
	v_fma_f64 v[2:3], v[132:133], v[4:5], -v[2:3]
	v_add_f64 v[0:1], v[0:1], v[2:3]
	v_accvgpr_read_b32 v4, a196
	v_accvgpr_read_b32 v2, a200
	;; [unrolled: 1-line block ×5, first 2 shown]
	v_mul_f64 v[2:3], v[6:7], v[2:3]
	v_accvgpr_read_b32 v6, a202
	v_accvgpr_read_b32 v5, a197
	;; [unrolled: 1-line block ×3, first 2 shown]
	v_fma_f64 v[2:3], v[4:5], v[6:7], -v[2:3]
	v_add_f64 v[0:1], v[0:1], v[2:3]
	v_accvgpr_read_b32 v2, a204
	v_accvgpr_read_b32 v3, a205
	v_accvgpr_read_b32 v4, a206
	v_mul_f64 v[2:3], v[148:149], v[2:3]
	v_accvgpr_read_b32 v5, a207
	v_fma_f64 v[2:3], v[146:147], v[4:5], -v[2:3]
	v_add_f64 v[0:1], v[0:1], v[2:3]
	v_accvgpr_read_b32 v2, a208
	v_accvgpr_read_b32 v3, a209
	v_accvgpr_read_b32 v4, a210
	v_mul_f64 v[2:3], v[144:145], v[2:3]
	v_accvgpr_read_b32 v5, a211
	;; [unrolled: 7-line block ×6, first 2 shown]
	v_fma_f64 v[2:3], v[30:31], v[4:5], -v[2:3]
	v_add_f64 v[0:1], v[0:1], v[2:3]
	v_mul_f64 v[2:3], v[36:37], v[136:137]
	v_fma_f64 v[2:3], v[34:35], v[128:129], -v[2:3]
	v_add_f64 v[0:1], v[0:1], v[2:3]
	v_mul_f64 v[2:3], v[40:41], v[154:155]
	;; [unrolled: 3-line block ×3, first 2 shown]
	v_fma_f64 v[2:3], v[42:43], v[164:165], -v[2:3]
	v_add_f64 v[0:1], v[0:1], v[2:3]
	s_waitcnt vmcnt(14) lgkmcnt(2)
	v_mul_f64 v[112:113], v[98:99], v[216:217]
	v_mul_f64 v[2:3], v[48:49], v[156:157]
	s_waitcnt vmcnt(12)
	v_fmac_f64_e32 v[112:113], v[100:101], v[218:219]
	v_add_f64 v[110:111], v[110:111], v[112:113]
	v_fma_f64 v[2:3], v[46:47], v[26:27], -v[2:3]
	v_add_f64 v[0:1], v[0:1], v[2:3]
	v_mul_f64 v[2:3], v[52:53], v[166:167]
	v_fma_f64 v[2:3], v[50:51], v[170:171], -v[2:3]
	s_waitcnt vmcnt(10) lgkmcnt(1)
	v_mul_f64 v[112:113], v[238:239], v[220:221]
	v_add_f64 v[0:1], v[0:1], v[2:3]
	s_waitcnt vmcnt(8)
	v_fmac_f64_e32 v[112:113], v[240:241], v[222:223]
	v_add_f64 v[110:111], v[110:111], v[112:113]
	s_waitcnt vmcnt(6) lgkmcnt(0)
	v_mul_f64 v[112:113], v[242:243], v[224:225]
	s_waitcnt vmcnt(4)
	v_fmac_f64_e32 v[112:113], v[244:245], v[226:227]
	v_add_f64 v[114:115], v[110:111], v[112:113]
	ds_read_b128 v[110:113], v150 offset:2016
	buffer_load_dword v235, off, s[0:3], 0 offset:1036
	buffer_load_dword v234, off, s[0:3], 0 offset:1032
	;; [unrolled: 1-line block ×4, first 2 shown]
	v_mul_f64 v[2:3], v[56:57], v[168:169]
	v_fma_f64 v[2:3], v[54:55], v[172:173], -v[2:3]
	v_add_f64 v[0:1], v[0:1], v[2:3]
	s_waitcnt vmcnt(6) lgkmcnt(0)
	v_mul_f64 v[116:117], v[110:111], v[228:229]
	s_waitcnt vmcnt(4)
	v_fmac_f64_e32 v[116:117], v[112:113], v[230:231]
	v_add_f64 v[246:247], v[114:115], v[116:117]
	ds_read_b128 v[114:117], v150 offset:2032
	v_mul_f64 v[2:3], v[60:61], v[176:177]
	v_fma_f64 v[2:3], v[58:59], v[180:181], -v[2:3]
	v_add_f64 v[0:1], v[0:1], v[2:3]
	v_mul_f64 v[2:3], v[64:65], v[102:103]
	v_fma_f64 v[2:3], v[62:63], v[182:183], -v[2:3]
	v_add_f64 v[0:1], v[0:1], v[2:3]
	;; [unrolled: 3-line block ×14, first 2 shown]
	s_waitcnt vmcnt(2) lgkmcnt(0)
	v_mul_f64 v[190:191], v[114:115], v[234:235]
	v_mul_f64 v[2:3], v[116:117], v[234:235]
	s_waitcnt vmcnt(0)
	v_fmac_f64_e32 v[190:191], v[116:117], v[236:237]
	v_add_f64 v[190:191], v[246:247], v[190:191]
	buffer_load_dword v248, off, s[0:3], 0 offset:160
	buffer_load_dword v249, off, s[0:3], 0 offset:164
	;; [unrolled: 1-line block ×4, first 2 shown]
	v_fma_f64 v[2:3], v[114:115], v[236:237], -v[2:3]
	v_add_f64 v[0:1], v[0:1], v[2:3]
	s_waitcnt vmcnt(2)
	v_add_f64 v[0:1], v[248:249], -v[0:1]
	s_waitcnt vmcnt(0)
	v_add_f64 v[2:3], v[246:247], -v[190:191]
	buffer_store_dword v1, off, s[0:3], 0 offset:164
	buffer_store_dword v0, off, s[0:3], 0 offset:160
	;; [unrolled: 1-line block ×4, first 2 shown]
	v_accvgpr_read_b32 v0, a191
	v_cmp_lt_u32_e32 vcc, 8, v0
	s_and_saveexec_b64 s[4:5], vcc
	s_cbranch_execz .LBB127_393
; %bb.392:
	v_accvgpr_read_b32 v3, a183
	buffer_load_dword v0, v3, s[0:3], 0 offen
	buffer_load_dword v1, v3, s[0:3], 0 offen offset:4
	buffer_load_dword v2, v3, s[0:3], 0 offen offset:8
	s_nop 0
	buffer_load_dword v3, v3, s[0:3], 0 offen offset:12
	v_mov_b32_e32 v4, 0
	v_accvgpr_read_b32 v5, a192
	buffer_store_dword v4, off, s[0:3], 0 offset:144
	buffer_store_dword v4, off, s[0:3], 0 offset:148
	buffer_store_dword v4, off, s[0:3], 0 offset:152
	buffer_store_dword v4, off, s[0:3], 0 offset:156
	s_waitcnt vmcnt(4)
	ds_write_b128 v5, v[0:3]
.LBB127_393:
	s_or_b64 exec, exec, s[4:5]
	s_waitcnt lgkmcnt(0)
	; wave barrier
	s_waitcnt lgkmcnt(0)
	buffer_load_dword v2, off, s[0:3], 0 offset:160
	buffer_load_dword v3, off, s[0:3], 0 offset:164
	;; [unrolled: 1-line block ×42, first 2 shown]
	v_mov_b32_e32 v32, 0
	buffer_load_dword v73, off, s[0:3], 0 offset:308
	buffer_load_dword v72, off, s[0:3], 0 offset:304
	;; [unrolled: 1-line block ×7, first 2 shown]
	ds_read_b128 v[10:13], v32 offset:1168
	ds_read_b128 v[22:25], v32 offset:1184
	;; [unrolled: 1-line block ×11, first 2 shown]
	s_waitcnt vmcnt(45) lgkmcnt(10)
	v_mul_f64 v[0:1], v[10:11], v[4:5]
	v_fmac_f64_e32 v[0:1], v[12:13], v[2:3]
	v_add_f64 v[0:1], v[0:1], 0
	v_mul_f64 v[4:5], v[12:13], v[4:5]
	s_waitcnt vmcnt(41) lgkmcnt(9)
	v_mul_f64 v[56:57], v[22:23], v[8:9]
	v_fmac_f64_e32 v[56:57], v[24:25], v[136:137]
	s_waitcnt vmcnt(39) lgkmcnt(8)
	v_mul_f64 v[58:59], v[96:97], v[14:15]
	v_add_f64 v[0:1], v[0:1], v[56:57]
	s_waitcnt vmcnt(37) lgkmcnt(6)
	v_mul_f64 v[62:63], v[104:105], v[26:27]
	v_mul_f64 v[8:9], v[24:25], v[8:9]
	s_waitcnt vmcnt(35)
	v_fmac_f64_e32 v[62:63], v[106:107], v[28:29]
	v_mul_f64 v[14:15], v[98:99], v[14:15]
	s_waitcnt vmcnt(33)
	v_mul_f64 v[60:61], v[100:101], v[18:19]
	v_mul_f64 v[18:19], v[102:103], v[18:19]
	s_waitcnt vmcnt(31) lgkmcnt(4)
	v_mul_f64 v[66:67], v[112:113], v[34:35]
	v_mul_f64 v[34:35], v[114:115], v[34:35]
	s_waitcnt vmcnt(29)
	v_fmac_f64_e32 v[66:67], v[114:115], v[36:37]
	s_waitcnt vmcnt(27)
	v_mul_f64 v[64:65], v[108:109], v[30:31]
	s_waitcnt vmcnt(25) lgkmcnt(2)
	v_mul_f64 v[74:75], v[164:165], v[38:39]
	s_waitcnt vmcnt(22)
	v_mul_f64 v[68:69], v[160:161], v[44:45]
	s_waitcnt vmcnt(20) lgkmcnt(1)
	v_mul_f64 v[116:117], v[170:171], v[42:43]
	s_waitcnt vmcnt(18)
	v_fmac_f64_e32 v[58:59], v[98:99], v[16:17]
	v_add_f64 v[0:1], v[0:1], v[58:59]
	s_waitcnt vmcnt(16)
	v_fmac_f64_e32 v[60:61], v[102:103], v[20:21]
	v_add_f64 v[0:1], v[0:1], v[60:61]
	s_waitcnt vmcnt(14)
	v_fmac_f64_e32 v[64:65], v[110:111], v[148:149]
	v_add_f64 v[0:1], v[0:1], v[62:63]
	v_add_f64 v[0:1], v[0:1], v[64:65]
	s_waitcnt vmcnt(12)
	v_fmac_f64_e32 v[68:69], v[162:163], v[46:47]
	v_add_f64 v[0:1], v[0:1], v[66:67]
	s_waitcnt vmcnt(11)
	v_fmac_f64_e32 v[74:75], v[166:167], v[40:41]
	v_add_f64 v[0:1], v[0:1], v[68:69]
	v_add_f64 v[138:139], v[0:1], v[74:75]
	buffer_load_dword v70, off, s[0:3], 0 offset:344
	buffer_load_dword v195, off, s[0:3], 0 offset:340
	;; [unrolled: 1-line block ×53, first 2 shown]
	s_waitcnt vmcnt(58)
	v_fmac_f64_e32 v[116:117], v[172:173], v[72:73]
	v_add_f64 v[116:117], v[138:139], v[116:117]
	s_waitcnt lgkmcnt(0)
	v_mul_f64 v[138:139], v[174:175], v[48:49]
	v_fmac_f64_e32 v[138:139], v[176:177], v[50:51]
	v_add_f64 v[116:117], v[116:117], v[138:139]
	s_waitcnt vmcnt(0)
	v_pk_mov_b32 v[120:121], v[90:91], v[90:91] op_sel:[0,1]
	buffer_load_dword v91, off, s[0:3], 0 offset:580
	buffer_load_dword v90, off, s[0:3], 0 offset:576
	s_waitcnt vmcnt(0)
	v_pk_mov_b32 v[122:123], v[90:91], v[90:91] op_sel:[0,1]
	buffer_load_dword v91, off, s[0:3], 0 offset:572
	buffer_load_dword v90, off, s[0:3], 0 offset:568
	;; [unrolled: 1-line block ×6, first 2 shown]
	v_accvgpr_write_b32 a199, v123
	v_accvgpr_write_b32 a198, v122
	s_waitcnt vmcnt(0)
	v_pk_mov_b32 v[124:125], v[118:119], v[118:119] op_sel:[0,1]
	buffer_load_dword v119, off, s[0:3], 0 offset:612
	buffer_load_dword v118, off, s[0:3], 0 offset:608
	v_accvgpr_write_b32 a213, v125
	v_accvgpr_write_b32 a212, v124
	s_waitcnt vmcnt(0)
	v_pk_mov_b32 v[126:127], v[118:119], v[118:119] op_sel:[0,1]
	buffer_load_dword v119, off, s[0:3], 0 offset:604
	buffer_load_dword v118, off, s[0:3], 0 offset:600
	;; [unrolled: 6-line block ×7, first 2 shown]
	ds_read_b128 v[178:181], v32 offset:1344
	ds_read_b128 v[182:185], v32 offset:1360
	;; [unrolled: 1-line block ×7, first 2 shown]
	s_waitcnt lgkmcnt(6)
	v_mul_f64 v[138:139], v[178:179], v[70:71]
	v_fmac_f64_e32 v[138:139], v[180:181], v[194:195]
	v_add_f64 v[116:117], v[116:117], v[138:139]
	s_waitcnt lgkmcnt(5)
	v_mul_f64 v[138:139], v[182:183], v[54:55]
	v_fmac_f64_e32 v[138:139], v[184:185], v[52:53]
	v_add_f64 v[116:117], v[116:117], v[138:139]
	;; [unrolled: 4-line block ×4, first 2 shown]
	s_waitcnt lgkmcnt(2)
	v_mul_f64 v[138:139], v[196:197], v[252:253]
	v_fmac_f64_e32 v[138:139], v[198:199], v[254:255]
	s_waitcnt lgkmcnt(1)
	v_mul_f64 v[142:143], v[206:207], v[250:251]
	v_add_f64 v[116:117], v[116:117], v[138:139]
	v_fmac_f64_e32 v[142:143], v[208:209], v[94:95]
	s_waitcnt lgkmcnt(0)
	v_mul_f64 v[144:145], v[212:213], v[82:83]
	v_add_f64 v[116:117], v[116:117], v[142:143]
	v_fmac_f64_e32 v[144:145], v[214:215], v[84:85]
	v_add_f64 v[116:117], v[116:117], v[144:145]
	v_fma_f64 v[138:139], v[10:11], v[2:3], -v[4:5]
	v_accvgpr_write_b32 a221, v155
	v_accvgpr_write_b32 a220, v154
	s_waitcnt vmcnt(0)
	v_pk_mov_b32 v[156:157], v[118:119], v[118:119] op_sel:[0,1]
	buffer_load_dword v119, off, s[0:3], 0 offset:668
	buffer_load_dword v118, off, s[0:3], 0 offset:664
	v_accvgpr_write_b32 a223, v157
	v_accvgpr_write_b32 a222, v156
	s_waitcnt vmcnt(0)
	v_pk_mov_b32 v[158:159], v[118:119], v[118:119] op_sel:[0,1]
	buffer_load_dword v119, off, s[0:3], 0 offset:660
	buffer_load_dword v118, off, s[0:3], 0 offset:656
	ds_read_b128 v[216:219], v32 offset:1456
	v_accvgpr_write_b32 a225, v159
	v_accvgpr_write_b32 a224, v158
	s_waitcnt lgkmcnt(0)
	v_mul_f64 v[146:147], v[216:217], v[56:57]
	v_fmac_f64_e32 v[146:147], v[218:219], v[58:59]
	v_add_f64 v[116:117], v[116:117], v[146:147]
	s_waitcnt vmcnt(0)
	v_pk_mov_b32 v[168:169], v[118:119], v[118:119] op_sel:[0,1]
	buffer_load_dword v118, off, s[0:3], 0 offset:680
	buffer_load_dword v119, off, s[0:3], 0 offset:684
	;; [unrolled: 1-line block ×4, first 2 shown]
	ds_read_b128 v[220:223], v32 offset:1472
	ds_read_b128 v[224:227], v32 offset:1488
	ds_read_b128 v[228:231], v32 offset:1504
	ds_read_b128 v[232:235], v32 offset:1520
	buffer_load_dword v7, off, s[0:3], 0 offset:700
	buffer_load_dword v6, off, s[0:3], 0 offset:696
	;; [unrolled: 1-line block ×4, first 2 shown]
	s_waitcnt lgkmcnt(3)
	v_mul_f64 v[146:147], v[220:221], v[0:1]
	v_fmac_f64_e32 v[146:147], v[222:223], v[60:61]
	v_add_f64 v[116:117], v[116:117], v[146:147]
	s_waitcnt lgkmcnt(2)
	v_mul_f64 v[146:147], v[224:225], v[62:63]
	ds_read_b128 v[236:239], v32 offset:1536
	ds_read_b128 v[242:245], v32 offset:1552
	v_fmac_f64_e32 v[146:147], v[226:227], v[64:65]
	s_waitcnt lgkmcnt(3)
	v_mul_f64 v[150:151], v[228:229], v[66:67]
	v_add_f64 v[116:117], v[116:117], v[146:147]
	v_fmac_f64_e32 v[150:151], v[230:231], v[68:69]
	v_add_f64 v[116:117], v[116:117], v[150:151]
	s_waitcnt lgkmcnt(2)
	v_mul_f64 v[150:151], v[232:233], v[74:75]
	v_fmac_f64_e32 v[150:151], v[234:235], v[76:77]
	v_add_f64 v[116:117], v[116:117], v[150:151]
	s_waitcnt lgkmcnt(1)
	v_mul_f64 v[150:151], v[236:237], v[78:79]
	v_fmac_f64_e32 v[150:151], v[238:239], v[80:81]
	ds_read_b128 v[246:249], v32 offset:1568
	ds_read_b128 v[140:143], v32 offset:1584
	v_add_f64 v[116:117], v[116:117], v[150:151]
	s_waitcnt lgkmcnt(2)
	v_mul_f64 v[150:151], v[242:243], v[86:87]
	v_fmac_f64_e32 v[150:151], v[244:245], v[88:89]
	v_add_f64 v[116:117], v[116:117], v[150:151]
	v_fma_f64 v[150:151], v[22:23], v[136:137], -v[8:9]
	ds_read_b128 v[22:25], v32 offset:1600
	s_waitcnt lgkmcnt(2)
	v_mul_f64 v[4:5], v[246:247], v[90:91]
	s_waitcnt lgkmcnt(1)
	v_mul_f64 v[10:11], v[140:141], v[120:121]
	v_fmac_f64_e32 v[4:5], v[248:249], v[92:93]
	v_pk_mov_b32 v[136:137], v[120:121], v[120:121] op_sel:[0,1]
	v_fmac_f64_e32 v[10:11], v[142:143], v[122:123]
	ds_read_b128 v[120:123], v32 offset:1616
	v_add_f64 v[4:5], v[116:117], v[4:5]
	ds_read_b128 v[144:147], v32 offset:1632
	v_accvgpr_write_b32 a197, v143
	v_add_f64 v[4:5], v[4:5], v[10:11]
	s_waitcnt lgkmcnt(2)
	v_pk_mov_b32 v[8:9], v[22:23], v[22:23] op_sel:[0,1]
	v_accvgpr_write_b32 a196, v142
	v_accvgpr_write_b32 a195, v141
	;; [unrolled: 1-line block ×3, first 2 shown]
	ds_read_b128 v[140:143], v32 offset:1648
	v_pk_mov_b32 v[10:11], v[24:25], v[24:25] op_sel:[0,1]
	v_mul_f64 v[22:23], v[8:9], v[130:131]
	v_fmac_f64_e32 v[22:23], v[10:11], v[132:133]
	v_accvgpr_write_b32 a203, v11
	v_add_f64 v[4:5], v[4:5], v[22:23]
	s_waitcnt lgkmcnt(2)
	v_mul_f64 v[22:23], v[120:121], v[124:125]
	ds_read_b128 v[130:133], v32 offset:1664
	v_accvgpr_write_b32 a202, v10
	v_accvgpr_write_b32 a201, v9
	;; [unrolled: 1-line block ×3, first 2 shown]
	v_fmac_f64_e32 v[22:23], v[122:123], v[126:127]
	s_waitcnt lgkmcnt(2)
	v_mul_f64 v[10:11], v[144:145], v[154:155]
	v_accvgpr_write_b32 a211, v123
	v_add_f64 v[4:5], v[4:5], v[22:23]
	v_fmac_f64_e32 v[10:11], v[146:147], v[156:157]
	v_accvgpr_write_b32 a210, v122
	v_accvgpr_write_b32 a209, v121
	;; [unrolled: 1-line block ×3, first 2 shown]
	v_add_f64 v[4:5], v[4:5], v[10:11]
	s_waitcnt lgkmcnt(1)
	v_mul_f64 v[10:11], v[140:141], v[128:129]
	ds_read_b128 v[126:129], v32 offset:1680
	ds_read_b128 v[122:125], v32 offset:1696
	buffer_load_dword v121, off, s[0:3], 0 offset:716
	buffer_load_dword v120, off, s[0:3], 0 offset:712
	buffer_load_dword v157, off, s[0:3], 0 offset:708
	buffer_load_dword v156, off, s[0:3], 0 offset:704
	v_fmac_f64_e32 v[10:11], v[142:143], v[152:153]
	s_waitcnt lgkmcnt(2)
	v_mul_f64 v[98:99], v[130:131], v[158:159]
	buffer_load_dword v152, off, s[0:3], 0 offset:744
	buffer_load_dword v154, off, s[0:3], 0 offset:736
	;; [unrolled: 1-line block ×4, first 2 shown]
	v_fma_f64 v[116:117], v[96:97], v[16:17], -v[14:15]
	v_mul_f64 v[16:17], v[162:163], v[44:45]
	buffer_load_dword v163, off, s[0:3], 0 offset:724
	buffer_load_dword v162, off, s[0:3], 0 offset:720
	;; [unrolled: 1-line block ×4, first 2 shown]
	v_fma_f64 v[96:97], v[100:101], v[20:21], -v[18:19]
	v_accvgpr_write_b32 a227, v169
	v_fma_f64 v[18:19], v[112:113], v[36:37], -v[34:35]
	v_mul_f64 v[34:35], v[166:167], v[38:39]
	v_fmac_f64_e32 v[98:99], v[132:133], v[168:169]
	v_accvgpr_write_b32 a226, v168
	v_fma_f64 v[16:17], v[160:161], v[46:47], -v[16:17]
	v_fma_f64 v[14:15], v[164:165], v[40:41], -v[34:35]
	buffer_load_dword v160, off, s[0:3], 0 offset:776
	buffer_load_dword v165, off, s[0:3], 0 offset:764
	;; [unrolled: 1-line block ×8, first 2 shown]
	v_mul_f64 v[34:35], v[172:173], v[42:43]
	v_mul_f64 v[20:21], v[176:177], v[48:49]
	v_fma_f64 v[12:13], v[170:171], v[72:73], -v[34:35]
	v_fma_f64 v[20:21], v[174:175], v[50:51], -v[20:21]
	v_mul_f64 v[34:35], v[180:181], v[70:71]
	buffer_load_dword v171, off, s[0:3], 0 offset:812
	buffer_load_dword v175, off, s[0:3], 0 offset:796
	buffer_load_dword v174, off, s[0:3], 0 offset:792
	buffer_load_dword v177, off, s[0:3], 0 offset:788
	buffer_load_dword v176, off, s[0:3], 0 offset:784
	buffer_load_dword v170, off, s[0:3], 0 offset:808
	v_fma_f64 v[194:195], v[178:179], v[194:195], -v[34:35]
	buffer_load_dword v179, off, s[0:3], 0 offset:804
	buffer_load_dword v178, off, s[0:3], 0 offset:800
	v_add_f64 v[4:5], v[4:5], v[10:11]
	v_mul_f64 v[10:11], v[106:107], v[26:27]
	v_mul_f64 v[34:35], v[184:185], v[54:55]
	v_fma_f64 v[26:27], v[104:105], v[28:29], -v[10:11]
	v_fma_f64 v[10:11], v[182:183], v[52:53], -v[34:35]
	buffer_load_dword v172, off, s[0:3], 0 offset:840
	buffer_load_dword v183, off, s[0:3], 0 offset:828
	;; [unrolled: 1-line block ×8, first 2 shown]
	v_mul_f64 v[24:25], v[188:189], v[204:205]
	ds_read_b128 v[38:41], v32 offset:1712
	ds_read_b128 v[34:37], v32 offset:1728
	v_fma_f64 v[24:25], v[186:187], v[210:211], -v[24:25]
	buffer_load_dword v187, off, s[0:3], 0 offset:860
	buffer_load_dword v186, off, s[0:3], 0 offset:856
	;; [unrolled: 1-line block ×4, first 2 shown]
	v_mul_f64 v[42:43], v[192:193], v[200:201]
	v_fma_f64 v[200:201], v[190:191], v[202:203], -v[42:43]
	buffer_load_dword v192, off, s[0:3], 0 offset:872
	buffer_load_dword v190, off, s[0:3], 0 offset:864
	;; [unrolled: 1-line block ×4, first 2 shown]
	v_mul_f64 v[42:43], v[198:199], v[252:253]
	v_fma_f64 v[252:253], v[196:197], v[254:255], -v[42:43]
	buffer_load_dword v199, off, s[0:3], 0 offset:892
	buffer_load_dword v198, off, s[0:3], 0 offset:888
	buffer_load_dword v203, off, s[0:3], 0 offset:884
	buffer_load_dword v202, off, s[0:3], 0 offset:880
	buffer_load_dword v255, off, s[0:3], 0 offset:908
	buffer_load_dword v254, off, s[0:3], 0 offset:904
	buffer_load_dword v205, off, s[0:3], 0 offset:900
	buffer_load_dword v204, off, s[0:3], 0 offset:896
	v_mul_f64 v[42:43], v[208:209], v[250:251]
	v_fma_f64 v[94:95], v[206:207], v[94:95], -v[42:43]
	buffer_load_dword v196, off, s[0:3], 0 offset:936
	buffer_load_dword v209, off, s[0:3], 0 offset:924
	;; [unrolled: 1-line block ×8, first 2 shown]
	s_waitcnt vmcnt(62) lgkmcnt(3)
	v_mul_f64 v[8:9], v[126:127], v[118:119]
	v_add_f64 v[98:99], v[4:5], v[98:99]
	v_fmac_f64_e32 v[8:9], v[128:129], v[240:241]
	s_waitcnt lgkmcnt(2)
	v_mul_f64 v[44:45], v[122:123], v[6:7]
	v_add_f64 v[8:9], v[98:99], v[8:9]
	s_waitcnt vmcnt(60)
	v_fmac_f64_e32 v[44:45], v[124:125], v[134:135]
	v_mul_f64 v[42:43], v[214:215], v[82:83]
	v_add_f64 v[8:9], v[8:9], v[44:45]
	v_fma_f64 v[250:251], v[212:213], v[84:85], -v[42:43]
	ds_read_b128 v[42:45], v32 offset:1744
	v_mul_f64 v[50:51], v[218:219], v[56:57]
	v_fma_f64 v[212:213], v[216:217], v[58:59], -v[50:51]
	ds_read_b128 v[50:53], v32 offset:1776
	v_mul_f64 v[4:5], v[110:111], v[30:31]
	v_mul_f64 v[62:63], v[226:227], v[62:63]
	v_fma_f64 v[22:23], v[108:109], v[148:149], -v[4:5]
	v_fma_f64 v[4:5], v[224:225], v[64:65], -v[62:63]
	ds_read_b128 v[62:65], v32 offset:1824
	v_mul_f64 v[0:1], v[222:223], v[0:1]
	v_pk_mov_b32 v[148:149], v[6:7], v[6:7] op_sel:[0,1]
	v_fma_f64 v[6:7], v[220:221], v[60:61], -v[0:1]
	v_mul_f64 v[66:67], v[230:231], v[66:67]
	v_fma_f64 v[114:115], v[228:229], v[68:69], -v[66:67]
	ds_read_b128 v[66:69], v32 offset:1840
	v_mul_f64 v[74:75], v[234:235], v[74:75]
	v_fma_f64 v[2:3], v[232:233], v[76:77], -v[74:75]
	ds_read_b128 v[74:77], v32 offset:1872
	v_mul_f64 v[86:87], v[244:245], v[86:87]
	v_fma_f64 v[0:1], v[242:243], v[88:89], -v[86:87]
	ds_read_b128 v[86:89], v32 offset:1920
	v_mul_f64 v[90:91], v[248:249], v[90:91]
	v_fma_f64 v[90:91], v[246:247], v[92:93], -v[90:91]
	v_accvgpr_write_b32 a229, v91
	v_accvgpr_write_b32 a228, v90
	s_waitcnt vmcnt(58) lgkmcnt(7)
	v_mul_f64 v[46:47], v[38:39], v[120:121]
	s_waitcnt vmcnt(56)
	v_fmac_f64_e32 v[46:47], v[40:41], v[156:157]
	v_add_f64 v[8:9], v[8:9], v[46:47]
	ds_read_b128 v[90:93], v32 offset:1936
	s_waitcnt vmcnt(52) lgkmcnt(7)
	v_mul_f64 v[46:47], v[34:35], v[158:159]
	s_waitcnt vmcnt(50)
	v_fmac_f64_e32 v[46:47], v[36:37], v[162:163]
	v_add_f64 v[8:9], v[8:9], v[46:47]
	s_waitcnt vmcnt(49) lgkmcnt(6)
	v_mul_f64 v[46:47], v[42:43], v[152:153]
	s_waitcnt vmcnt(48)
	v_fmac_f64_e32 v[46:47], v[44:45], v[154:155]
	v_add_f64 v[8:9], v[8:9], v[46:47]
	ds_read_b128 v[46:49], v32 offset:1760
	v_pk_mov_b32 v[30:31], v[118:119], v[118:119] op_sel:[0,1]
	v_add_f64 v[118:119], v[138:139], 0
	v_add_f64 v[118:119], v[118:119], v[150:151]
	v_add_f64 v[116:117], v[118:119], v[116:117]
	s_waitcnt vmcnt(45) lgkmcnt(0)
	v_mul_f64 v[54:55], v[46:47], v[164:165]
	v_add_f64 v[96:97], v[116:117], v[96:97]
	s_waitcnt vmcnt(43)
	v_fmac_f64_e32 v[54:55], v[48:49], v[168:169]
	v_add_f64 v[8:9], v[8:9], v[54:55]
	ds_read_b128 v[54:57], v32 offset:1792
	s_waitcnt vmcnt(41)
	v_mul_f64 v[58:59], v[50:51], v[160:161]
	s_waitcnt vmcnt(40)
	v_fmac_f64_e32 v[58:59], v[52:53], v[166:167]
	v_add_f64 v[8:9], v[8:9], v[58:59]
	ds_read_b128 v[58:61], v32 offset:1808
	s_waitcnt vmcnt(37) lgkmcnt(1)
	v_mul_f64 v[70:71], v[54:55], v[174:175]
	s_waitcnt vmcnt(35)
	v_fmac_f64_e32 v[70:71], v[56:57], v[176:177]
	v_add_f64 v[8:9], v[8:9], v[70:71]
	v_add_f64 v[26:27], v[96:97], v[26:27]
	s_waitcnt vmcnt(34) lgkmcnt(0)
	v_mul_f64 v[70:71], v[58:59], v[170:171]
	s_waitcnt vmcnt(32)
	v_fmac_f64_e32 v[70:71], v[60:61], v[178:179]
	v_add_f64 v[8:9], v[8:9], v[70:71]
	s_waitcnt vmcnt(29)
	v_mul_f64 v[70:71], v[62:63], v[182:183]
	s_waitcnt vmcnt(27)
	v_fmac_f64_e32 v[70:71], v[64:65], v[184:185]
	v_add_f64 v[8:9], v[8:9], v[70:71]
	s_waitcnt vmcnt(25)
	v_mul_f64 v[70:71], v[66:67], v[172:173]
	s_waitcnt vmcnt(24)
	v_fmac_f64_e32 v[70:71], v[68:69], v[180:181]
	v_add_f64 v[8:9], v[8:9], v[70:71]
	ds_read_b128 v[70:73], v32 offset:1856
	s_waitcnt vmcnt(17)
	v_mul_f64 v[82:83], v[74:75], v[192:193]
	s_waitcnt vmcnt(16)
	v_fmac_f64_e32 v[82:83], v[76:77], v[190:191]
	v_add_f64 v[22:23], v[26:27], v[22:23]
	v_add_f64 v[18:19], v[22:23], v[18:19]
	s_waitcnt lgkmcnt(0)
	v_mul_f64 v[28:29], v[70:71], v[186:187]
	v_fmac_f64_e32 v[28:29], v[72:73], v[188:189]
	v_add_f64 v[8:9], v[8:9], v[28:29]
	v_mul_f64 v[28:29], v[238:239], v[78:79]
	v_fma_f64 v[28:29], v[236:237], v[80:81], -v[28:29]
	ds_read_b128 v[78:81], v32 offset:1888
	v_add_f64 v[8:9], v[8:9], v[82:83]
	ds_read_b128 v[82:85], v32 offset:1904
	v_add_f64 v[16:17], v[18:19], v[16:17]
	v_add_f64 v[14:15], v[16:17], v[14:15]
	s_waitcnt vmcnt(14) lgkmcnt(1)
	v_mul_f64 v[98:99], v[78:79], v[198:199]
	s_waitcnt vmcnt(12)
	v_fmac_f64_e32 v[98:99], v[80:81], v[202:203]
	v_add_f64 v[8:9], v[8:9], v[98:99]
	s_waitcnt vmcnt(10) lgkmcnt(0)
	v_mul_f64 v[98:99], v[82:83], v[254:255]
	s_waitcnt vmcnt(8)
	v_fmac_f64_e32 v[98:99], v[84:85], v[204:205]
	v_add_f64 v[8:9], v[8:9], v[98:99]
	s_waitcnt vmcnt(5)
	v_mul_f64 v[98:99], v[86:87], v[208:209]
	s_waitcnt vmcnt(3)
	v_fmac_f64_e32 v[98:99], v[88:89], v[210:211]
	v_add_f64 v[8:9], v[8:9], v[98:99]
	s_waitcnt vmcnt(1)
	v_mul_f64 v[98:99], v[90:91], v[196:197]
	s_waitcnt vmcnt(0)
	v_fmac_f64_e32 v[98:99], v[92:93], v[206:207]
	v_add_f64 v[98:99], v[8:9], v[98:99]
	buffer_load_dword v9, off, s[0:3], 0 offset:956
	buffer_load_dword v8, off, s[0:3], 0 offset:952
	;; [unrolled: 1-line block ×4, first 2 shown]
	ds_read_b128 v[242:245], v32 offset:1952
	buffer_load_dword v216, off, s[0:3], 0 offset:968
	buffer_load_dword v217, off, s[0:3], 0 offset:972
	;; [unrolled: 1-line block ×4, first 2 shown]
	v_add_f64 v[12:13], v[14:15], v[12:13]
	v_add_f64 v[12:13], v[12:13], v[20:21]
	;; [unrolled: 1-line block ×16, first 2 shown]
	v_accvgpr_read_b32 v10, a194
	v_accvgpr_read_b32 v12, a196
	v_accvgpr_read_b32 v13, a197
	v_accvgpr_read_b32 v4, a228
	v_mul_f64 v[6:7], v[12:13], v[136:137]
	v_accvgpr_read_b32 v12, a198
	v_accvgpr_read_b32 v5, a229
	;; [unrolled: 1-line block ×4, first 2 shown]
	v_add_f64 v[4:5], v[252:253], v[4:5]
	v_fma_f64 v[6:7], v[10:11], v[12:13], -v[6:7]
	v_add_f64 v[4:5], v[4:5], v[6:7]
	v_accvgpr_read_b32 v10, a200
	v_accvgpr_read_b32 v6, a204
	;; [unrolled: 1-line block ×5, first 2 shown]
	v_mul_f64 v[6:7], v[12:13], v[6:7]
	v_accvgpr_read_b32 v12, a206
	v_accvgpr_read_b32 v11, a201
	;; [unrolled: 1-line block ×3, first 2 shown]
	v_fma_f64 v[6:7], v[10:11], v[12:13], -v[6:7]
	v_add_f64 v[4:5], v[4:5], v[6:7]
	v_accvgpr_read_b32 v10, a208
	v_accvgpr_read_b32 v6, a212
	;; [unrolled: 1-line block ×5, first 2 shown]
	v_mul_f64 v[6:7], v[12:13], v[6:7]
	v_accvgpr_read_b32 v12, a214
	v_accvgpr_read_b32 v11, a209
	;; [unrolled: 1-line block ×3, first 2 shown]
	v_fma_f64 v[6:7], v[10:11], v[12:13], -v[6:7]
	v_add_f64 v[4:5], v[4:5], v[6:7]
	v_accvgpr_read_b32 v6, a220
	v_accvgpr_read_b32 v7, a221
	v_accvgpr_read_b32 v10, a222
	v_mul_f64 v[6:7], v[146:147], v[6:7]
	v_accvgpr_read_b32 v11, a223
	v_fma_f64 v[6:7], v[144:145], v[10:11], -v[6:7]
	v_add_f64 v[4:5], v[4:5], v[6:7]
	v_accvgpr_read_b32 v6, a216
	v_accvgpr_read_b32 v7, a217
	v_accvgpr_read_b32 v10, a218
	v_mul_f64 v[6:7], v[142:143], v[6:7]
	v_accvgpr_read_b32 v11, a219
	;; [unrolled: 7-line block ×3, first 2 shown]
	v_fma_f64 v[6:7], v[130:131], v[10:11], -v[6:7]
	v_add_f64 v[4:5], v[4:5], v[6:7]
	v_mul_f64 v[6:7], v[128:129], v[30:31]
	v_fma_f64 v[6:7], v[126:127], v[240:241], -v[6:7]
	v_add_f64 v[4:5], v[4:5], v[6:7]
	v_mul_f64 v[6:7], v[124:125], v[148:149]
	s_waitcnt vmcnt(6) lgkmcnt(0)
	v_mul_f64 v[100:101], v[242:243], v[8:9]
	v_fma_f64 v[6:7], v[122:123], v[134:135], -v[6:7]
	s_waitcnt vmcnt(4)
	v_fmac_f64_e32 v[100:101], v[244:245], v[214:215]
	v_add_f64 v[102:103], v[98:99], v[100:101]
	ds_read_b128 v[98:101], v32 offset:1968
	buffer_load_dword v221, off, s[0:3], 0 offset:988
	buffer_load_dword v220, off, s[0:3], 0 offset:984
	;; [unrolled: 1-line block ×4, first 2 shown]
	v_add_f64 v[4:5], v[4:5], v[6:7]
	v_mul_f64 v[6:7], v[40:41], v[120:121]
	v_fma_f64 v[6:7], v[38:39], v[156:157], -v[6:7]
	s_waitcnt vmcnt(6) lgkmcnt(0)
	v_mul_f64 v[104:105], v[98:99], v[216:217]
	s_waitcnt vmcnt(4)
	v_fmac_f64_e32 v[104:105], v[100:101], v[218:219]
	v_add_f64 v[106:107], v[102:103], v[104:105]
	ds_read_b128 v[102:105], v32 offset:1984
	buffer_load_dword v224, off, s[0:3], 0 offset:1000
	buffer_load_dword v225, off, s[0:3], 0 offset:1004
	;; [unrolled: 1-line block ×4, first 2 shown]
	v_add_f64 v[4:5], v[4:5], v[6:7]
	v_mul_f64 v[6:7], v[36:37], v[158:159]
	v_fma_f64 v[6:7], v[34:35], v[162:163], -v[6:7]
	v_add_f64 v[4:5], v[4:5], v[6:7]
	v_mul_f64 v[6:7], v[44:45], v[152:153]
	v_fma_f64 v[6:7], v[42:43], v[154:155], -v[6:7]
	;; [unrolled: 3-line block ×16, first 2 shown]
	v_add_f64 v[4:5], v[4:5], v[6:7]
	s_waitcnt vmcnt(6) lgkmcnt(0)
	v_mul_f64 v[108:109], v[102:103], v[220:221]
	v_mul_f64 v[6:7], v[104:105], v[220:221]
	s_waitcnt vmcnt(4)
	v_fmac_f64_e32 v[108:109], v[104:105], v[222:223]
	v_add_f64 v[110:111], v[106:107], v[108:109]
	ds_read_b128 v[106:109], v32 offset:2000
	buffer_load_dword v229, off, s[0:3], 0 offset:1020
	buffer_load_dword v228, off, s[0:3], 0 offset:1016
	;; [unrolled: 1-line block ×4, first 2 shown]
	v_fma_f64 v[6:7], v[102:103], v[222:223], -v[6:7]
	v_add_f64 v[4:5], v[4:5], v[6:7]
	s_waitcnt vmcnt(6) lgkmcnt(0)
	v_mul_f64 v[112:113], v[106:107], v[224:225]
	s_waitcnt vmcnt(4)
	v_fmac_f64_e32 v[112:113], v[108:109], v[226:227]
	v_add_f64 v[232:233], v[110:111], v[112:113]
	ds_read_b128 v[110:113], v32 offset:2016
	v_mul_f64 v[6:7], v[108:109], v[224:225]
	v_fma_f64 v[6:7], v[106:107], v[226:227], -v[6:7]
	v_add_f64 v[4:5], v[4:5], v[6:7]
	s_waitcnt vmcnt(2) lgkmcnt(0)
	v_mul_f64 v[234:235], v[110:111], v[228:229]
	v_mul_f64 v[6:7], v[112:113], v[228:229]
	s_waitcnt vmcnt(0)
	v_fmac_f64_e32 v[234:235], v[112:113], v[230:231]
	v_add_f64 v[232:233], v[232:233], v[234:235]
	buffer_load_dword v234, off, s[0:3], 0 offset:1032
	buffer_load_dword v235, off, s[0:3], 0 offset:1036
	;; [unrolled: 1-line block ×4, first 2 shown]
	ds_read_b128 v[246:249], v32 offset:2032
	buffer_load_dword v2, off, s[0:3], 0 offset:144
	buffer_load_dword v3, off, s[0:3], 0 offset:148
	;; [unrolled: 1-line block ×4, first 2 shown]
	v_fma_f64 v[6:7], v[110:111], v[230:231], -v[6:7]
	v_add_f64 v[4:5], v[4:5], v[6:7]
	s_waitcnt vmcnt(6) lgkmcnt(0)
	v_mul_f64 v[238:239], v[246:247], v[234:235]
	v_mul_f64 v[6:7], v[248:249], v[234:235]
	s_waitcnt vmcnt(4)
	v_fmac_f64_e32 v[238:239], v[248:249], v[236:237]
	v_fma_f64 v[6:7], v[246:247], v[236:237], -v[6:7]
	v_add_f64 v[232:233], v[232:233], v[238:239]
	v_add_f64 v[4:5], v[4:5], v[6:7]
	s_waitcnt vmcnt(2)
	v_add_f64 v[2:3], v[2:3], -v[4:5]
	s_waitcnt vmcnt(0)
	v_add_f64 v[0:1], v[0:1], -v[232:233]
	buffer_store_dword v3, off, s[0:3], 0 offset:148
	buffer_store_dword v2, off, s[0:3], 0 offset:144
	;; [unrolled: 1-line block ×4, first 2 shown]
	v_accvgpr_read_b32 v0, a191
	v_cmp_lt_u32_e32 vcc, 7, v0
	s_and_saveexec_b64 s[4:5], vcc
	s_cbranch_execz .LBB127_395
; %bb.394:
	v_accvgpr_read_b32 v3, a184
	buffer_load_dword v0, v3, s[0:3], 0 offen
	buffer_load_dword v1, v3, s[0:3], 0 offen offset:4
	buffer_load_dword v2, v3, s[0:3], 0 offen offset:8
	s_nop 0
	buffer_load_dword v3, v3, s[0:3], 0 offen offset:12
	v_accvgpr_read_b32 v4, a192
	buffer_store_dword v32, off, s[0:3], 0 offset:128
	buffer_store_dword v32, off, s[0:3], 0 offset:132
	;; [unrolled: 1-line block ×4, first 2 shown]
	s_waitcnt vmcnt(4)
	ds_write_b128 v4, v[0:3]
.LBB127_395:
	s_or_b64 exec, exec, s[4:5]
	s_waitcnt lgkmcnt(0)
	; wave barrier
	s_waitcnt lgkmcnt(0)
	buffer_load_dword v4, off, s[0:3], 0 offset:144
	buffer_load_dword v5, off, s[0:3], 0 offset:148
	;; [unrolled: 1-line block ×42, first 2 shown]
	ds_read_b128 v[100:103], v32 offset:1152
	ds_read_b128 v[104:107], v32 offset:1168
	;; [unrolled: 1-line block ×10, first 2 shown]
	buffer_load_dword v117, off, s[0:3], 0 offset:292
	buffer_load_dword v116, off, s[0:3], 0 offset:288
	ds_read_b128 v[38:41], v32 offset:1312
	buffer_load_dword v87, off, s[0:3], 0 offset:348
	buffer_load_dword v86, off, s[0:3], 0 offset:344
	;; [unrolled: 1-line block ×6, first 2 shown]
	s_waitcnt vmcnt(46) lgkmcnt(10)
	v_mul_f64 v[0:1], v[100:101], v[10:11]
	v_fmac_f64_e32 v[0:1], v[102:103], v[4:5]
	v_add_f64 v[0:1], v[0:1], 0
	v_mul_f64 v[10:11], v[102:103], v[10:11]
	s_waitcnt vmcnt(42) lgkmcnt(9)
	v_mul_f64 v[56:57], v[104:105], v[8:9]
	v_fmac_f64_e32 v[56:57], v[106:107], v[2:3]
	s_waitcnt vmcnt(40) lgkmcnt(8)
	v_mul_f64 v[58:59], v[108:109], v[6:7]
	v_add_f64 v[0:1], v[0:1], v[56:57]
	s_waitcnt vmcnt(38) lgkmcnt(6)
	v_mul_f64 v[64:65], v[150:151], v[14:15]
	v_fma_f64 v[190:191], v[100:101], v[4:5], -v[10:11]
	s_waitcnt vmcnt(36)
	v_fmac_f64_e32 v[64:65], v[152:153], v[144:145]
	v_mul_f64 v[8:9], v[106:107], v[8:9]
	s_waitcnt vmcnt(34)
	v_mul_f64 v[62:63], v[112:113], v[142:143]
	v_fma_f64 v[238:239], v[104:105], v[2:3], -v[8:9]
	s_waitcnt vmcnt(32) lgkmcnt(4)
	v_mul_f64 v[68:69], v[158:159], v[26:27]
	v_mul_f64 v[6:7], v[110:111], v[6:7]
	s_waitcnt vmcnt(30)
	v_fmac_f64_e32 v[68:69], v[160:161], v[28:29]
	v_mul_f64 v[10:11], v[114:115], v[142:143]
	s_waitcnt vmcnt(28)
	v_mul_f64 v[66:67], v[154:155], v[18:19]
	v_mul_f64 v[14:15], v[152:153], v[14:15]
	s_waitcnt vmcnt(26) lgkmcnt(2)
	v_mul_f64 v[72:73], v[42:43], v[46:47]
	v_mul_f64 v[26:27], v[160:161], v[26:27]
	s_waitcnt vmcnt(23)
	v_mul_f64 v[70:71], v[162:163], v[30:31]
	v_mul_f64 v[30:31], v[164:165], v[30:31]
	s_waitcnt vmcnt(21) lgkmcnt(1)
	v_mul_f64 v[134:135], v[34:35], v[50:51]
	s_waitcnt vmcnt(19)
	v_fmac_f64_e32 v[58:59], v[110:111], v[24:25]
	v_add_f64 v[0:1], v[0:1], v[58:59]
	s_waitcnt vmcnt(17)
	v_fmac_f64_e32 v[62:63], v[114:115], v[22:23]
	v_add_f64 v[0:1], v[0:1], v[62:63]
	;; [unrolled: 3-line block ×3, first 2 shown]
	v_add_f64 v[0:1], v[0:1], v[66:67]
	s_waitcnt vmcnt(13)
	v_fmac_f64_e32 v[70:71], v[164:165], v[16:17]
	v_add_f64 v[0:1], v[0:1], v[68:69]
	s_waitcnt vmcnt(12)
	v_fmac_f64_e32 v[72:73], v[44:45], v[48:49]
	v_add_f64 v[0:1], v[0:1], v[70:71]
	v_add_f64 v[136:137], v[0:1], v[72:73]
	buffer_load_dword v175, off, s[0:3], 0 offset:324
	buffer_load_dword v174, off, s[0:3], 0 offset:320
	;; [unrolled: 1-line block ×60, first 2 shown]
	s_waitcnt vmcnt(62)
	v_fmac_f64_e32 v[134:135], v[36:37], v[116:117]
	v_add_f64 v[134:135], v[136:137], v[134:135]
	s_waitcnt lgkmcnt(0)
	v_mul_f64 v[136:137], v[38:39], v[52:53]
	v_fmac_f64_e32 v[136:137], v[40:41], v[54:55]
	v_add_f64 v[134:135], v[134:135], v[136:137]
	v_fma_f64 v[254:255], v[108:109], v[24:25], -v[6:7]
	v_fma_f64 v[252:253], v[112:113], v[22:23], -v[10:11]
	;; [unrolled: 1-line block ×3, first 2 shown]
	v_mul_f64 v[40:41], v[40:41], v[52:53]
	v_mul_f64 v[44:45], v[44:45], v[46:47]
	s_waitcnt vmcnt(0)
	v_pk_mov_b32 v[120:121], v[118:119], v[118:119] op_sel:[0,1]
	buffer_load_dword v119, off, s[0:3], 0 offset:596
	buffer_load_dword v118, off, s[0:3], 0 offset:592
	v_accvgpr_write_b32 a211, v121
	v_accvgpr_write_b32 a210, v120
	s_waitcnt vmcnt(0)
	v_pk_mov_b32 v[122:123], v[118:119], v[118:119] op_sel:[0,1]
	buffer_load_dword v119, off, s[0:3], 0 offset:588
	buffer_load_dword v118, off, s[0:3], 0 offset:584
	v_accvgpr_write_b32 a213, v123
	v_accvgpr_write_b32 a212, v122
	s_waitcnt vmcnt(0)
	v_pk_mov_b32 v[128:129], v[118:119], v[118:119] op_sel:[0,1]
	buffer_load_dword v119, off, s[0:3], 0 offset:580
	buffer_load_dword v118, off, s[0:3], 0 offset:576
	v_accvgpr_write_b32 a199, v129
	v_accvgpr_write_b32 a198, v128
	s_waitcnt vmcnt(0)
	v_pk_mov_b32 v[130:131], v[118:119], v[118:119] op_sel:[0,1]
	buffer_load_dword v119, off, s[0:3], 0 offset:636
	buffer_load_dword v118, off, s[0:3], 0 offset:632
	v_accvgpr_write_b32 a201, v131
	v_accvgpr_write_b32 a200, v130
	s_waitcnt vmcnt(0)
	v_pk_mov_b32 v[124:125], v[118:119], v[118:119] op_sel:[0,1]
	buffer_load_dword v119, off, s[0:3], 0 offset:628
	buffer_load_dword v118, off, s[0:3], 0 offset:624
	v_accvgpr_write_b32 a219, v125
	v_accvgpr_write_b32 a218, v124
	s_waitcnt vmcnt(0)
	v_pk_mov_b32 v[126:127], v[118:119], v[118:119] op_sel:[0,1]
	buffer_load_dword v119, off, s[0:3], 0 offset:620
	buffer_load_dword v118, off, s[0:3], 0 offset:616
	v_accvgpr_write_b32 a221, v127
	v_accvgpr_write_b32 a220, v126
	s_waitcnt vmcnt(0)
	v_pk_mov_b32 v[132:133], v[118:119], v[118:119] op_sel:[0,1]
	buffer_load_dword v119, off, s[0:3], 0 offset:612
	buffer_load_dword v118, off, s[0:3], 0 offset:608
	ds_read_b128 v[170:173], v32 offset:1328
	ds_read_b128 v[178:181], v32 offset:1344
	;; [unrolled: 1-line block ×6, first 2 shown]
	s_waitcnt lgkmcnt(5)
	v_mul_f64 v[136:137], v[170:171], v[96:97]
	v_fmac_f64_e32 v[136:137], v[172:173], v[174:175]
	v_add_f64 v[134:135], v[134:135], v[136:137]
	s_waitcnt lgkmcnt(4)
	v_mul_f64 v[136:137], v[178:179], v[86:87]
	v_fmac_f64_e32 v[136:137], v[180:181], v[60:61]
	v_add_f64 v[134:135], v[134:135], v[136:137]
	;; [unrolled: 4-line block ×3, first 2 shown]
	s_waitcnt lgkmcnt(2)
	v_mul_f64 v[136:137], v[186:187], v[200:201]
	v_fmac_f64_e32 v[136:137], v[188:189], v[206:207]
	ds_read_b128 v[202:205], v32 offset:1424
	ds_read_b128 v[212:215], v32 offset:1440
	v_add_f64 v[134:135], v[134:135], v[136:137]
	s_waitcnt lgkmcnt(3)
	v_mul_f64 v[136:137], v[192:193], v[236:237]
	v_fmac_f64_e32 v[136:137], v[194:195], v[246:247]
	v_add_f64 v[134:135], v[134:135], v[136:137]
	s_waitcnt lgkmcnt(2)
	v_mul_f64 v[136:137], v[196:197], v[94:95]
	v_fmac_f64_e32 v[136:137], v[198:199], v[98:99]
	;; [unrolled: 4-line block ×4, first 2 shown]
	ds_read_b128 v[216:219], v32 offset:1456
	v_add_f64 v[138:139], v[134:135], v[136:137]
	buffer_load_dword v135, off, s[0:3], 0 offset:652
	buffer_load_dword v134, off, s[0:3], 0 offset:648
	v_accvgpr_write_b32 a215, v133
	v_accvgpr_write_b32 a214, v132
	s_waitcnt lgkmcnt(0)
	v_mul_f64 v[140:141], v[216:217], v[0:1]
	v_fmac_f64_e32 v[140:141], v[218:219], v[88:89]
	v_add_f64 v[166:167], v[138:139], v[140:141]
	v_mul_f64 v[0:1], v[218:219], v[0:1]
	s_waitcnt vmcnt(2)
	v_accvgpr_write_b32 a217, v119
	v_accvgpr_write_b32 a216, v118
	s_waitcnt vmcnt(0)
	v_pk_mov_b32 v[176:177], v[134:135], v[134:135] op_sel:[0,1]
	buffer_load_dword v135, off, s[0:3], 0 offset:644
	buffer_load_dword v134, off, s[0:3], 0 offset:640
	ds_read_b128 v[220:223], v32 offset:1472
	buffer_load_dword v136, off, s[0:3], 0 offset:664
	buffer_load_dword v12, off, s[0:3], 0 offset:656
	;; [unrolled: 1-line block ×4, first 2 shown]
	ds_read_b128 v[224:227], v32 offset:1488
	buffer_load_dword v241, off, s[0:3], 0 offset:700
	buffer_load_dword v149, off, s[0:3], 0 offset:684
	;; [unrolled: 1-line block ×8, first 2 shown]
	ds_read_b128 v[228:231], v32 offset:1504
	ds_read_b128 v[232:235], v32 offset:1520
	s_waitcnt lgkmcnt(3)
	v_mul_f64 v[168:169], v[220:221], v[56:57]
	v_fmac_f64_e32 v[168:169], v[222:223], v[58:59]
	v_add_f64 v[166:167], v[166:167], v[168:169]
	s_waitcnt lgkmcnt(2)
	v_mul_f64 v[168:169], v[224:225], v[62:63]
	ds_read_b128 v[242:245], v32 offset:1536
	ds_read_b128 v[100:103], v32 offset:1552
	v_fmac_f64_e32 v[168:169], v[226:227], v[64:65]
	v_add_f64 v[166:167], v[166:167], v[168:169]
	s_waitcnt lgkmcnt(3)
	v_mul_f64 v[168:169], v[228:229], v[66:67]
	v_fmac_f64_e32 v[168:169], v[230:231], v[68:69]
	v_add_f64 v[166:167], v[166:167], v[168:169]
	s_waitcnt lgkmcnt(2)
	v_mul_f64 v[168:169], v[232:233], v[70:71]
	ds_read_b128 v[104:107], v32 offset:1568
	ds_read_b128 v[6:9], v32 offset:1600
	v_fmac_f64_e32 v[168:169], v[234:235], v[72:73]
	s_waitcnt lgkmcnt(3)
	v_mul_f64 v[4:5], v[242:243], v[78:79]
	v_add_f64 v[166:167], v[166:167], v[168:169]
	v_fmac_f64_e32 v[4:5], v[244:245], v[80:81]
	v_add_f64 v[2:3], v[166:167], v[4:5]
	s_waitcnt lgkmcnt(2)
	v_mul_f64 v[4:5], v[100:101], v[82:83]
	v_fmac_f64_e32 v[4:5], v[102:103], v[84:85]
	v_add_f64 v[2:3], v[2:3], v[4:5]
	s_waitcnt lgkmcnt(1)
	v_mul_f64 v[4:5], v[104:105], v[90:91]
	v_fmac_f64_e32 v[4:5], v[106:107], v[92:93]
	v_add_f64 v[166:167], v[2:3], v[4:5]
	ds_read_b128 v[2:5], v32 offset:1584
	s_waitcnt lgkmcnt(1)
	v_accvgpr_write_b32 a205, v9
	v_accvgpr_write_b32 a204, v8
	;; [unrolled: 1-line block ×4, first 2 shown]
	s_waitcnt lgkmcnt(0)
	v_mul_f64 v[24:25], v[2:3], v[128:129]
	v_accvgpr_write_b32 a197, v5
	v_fmac_f64_e32 v[24:25], v[4:5], v[130:131]
	v_accvgpr_write_b32 a196, v4
	v_accvgpr_write_b32 a195, v3
	;; [unrolled: 1-line block ×3, first 2 shown]
	ds_read_b128 v[2:5], v32 offset:1616
	v_add_f64 v[22:23], v[166:167], v[24:25]
	v_mul_f64 v[24:25], v[6:7], v[120:121]
	v_fmac_f64_e32 v[24:25], v[8:9], v[122:123]
	v_fma_f64 v[120:121], v[150:151], v[144:145], -v[14:15]
	ds_read_b128 v[150:153], v32 offset:1632
	s_waitcnt lgkmcnt(1)
	v_accvgpr_write_b32 a209, v5
	v_add_f64 v[22:23], v[22:23], v[24:25]
	v_mul_f64 v[24:25], v[2:3], v[132:133]
	v_accvgpr_write_b32 a208, v4
	v_accvgpr_write_b32 a207, v3
	;; [unrolled: 1-line block ×3, first 2 shown]
	buffer_load_dword v3, off, s[0:3], 0 offset:716
	buffer_load_dword v2, off, s[0:3], 0 offset:712
	;; [unrolled: 1-line block ×4, first 2 shown]
	ds_read_b128 v[142:145], v32 offset:1648
	ds_read_b128 v[130:133], v32 offset:1664
	v_fmac_f64_e32 v[24:25], v[4:5], v[118:119]
	v_mul_f64 v[4:5], v[156:157], v[18:19]
	v_fma_f64 v[118:119], v[154:155], v[20:21], -v[4:5]
	v_add_f64 v[22:23], v[22:23], v[24:25]
	s_waitcnt lgkmcnt(2)
	v_mul_f64 v[24:25], v[150:151], v[124:125]
	buffer_load_dword v154, off, s[0:3], 0 offset:728
	v_fmac_f64_e32 v[24:25], v[152:153], v[126:127]
	ds_read_b128 v[126:129], v32 offset:1680
	ds_read_b128 v[122:125], v32 offset:1696
	buffer_load_dword v158, off, s[0:3], 0 offset:720
	buffer_load_dword v155, off, s[0:3], 0 offset:732
	;; [unrolled: 1-line block ×3, first 2 shown]
	v_add_f64 v[22:23], v[22:23], v[24:25]
	s_waitcnt lgkmcnt(3)
	v_mul_f64 v[24:25], v[142:143], v[176:177]
	buffer_load_dword v156, off, s[0:3], 0 offset:760
	v_mul_f64 v[8:9], v[36:37], v[50:51]
	v_fma_f64 v[26:27], v[34:35], v[116:117], -v[8:9]
	v_accvgpr_write_b32 a223, v177
	v_accvgpr_write_b32 a222, v176
	v_mul_f64 v[20:21], v[198:199], v[94:95]
	v_fma_f64 v[20:21], v[196:197], v[98:99], -v[20:21]
	v_mul_f64 v[66:67], v[230:231], v[66:67]
	v_mul_f64 v[70:71], v[234:235], v[70:71]
	s_waitcnt vmcnt(14) lgkmcnt(1)
	v_mul_f64 v[114:115], v[126:127], v[148:149]
	v_fmac_f64_e32 v[24:25], v[144:145], v[134:135]
	v_mul_f64 v[112:113], v[130:131], v[136:137]
	v_add_f64 v[108:109], v[22:23], v[24:25]
	v_fmac_f64_e32 v[112:113], v[132:133], v[12:13]
	v_add_f64 v[108:109], v[108:109], v[112:113]
	v_fma_f64 v[112:113], v[162:163], v[16:17], -v[30:31]
	buffer_load_dword v163, off, s[0:3], 0 offset:748
	buffer_load_dword v162, off, s[0:3], 0 offset:744
	;; [unrolled: 1-line block ×7, first 2 shown]
	v_accvgpr_write_b32 a227, v13
	v_accvgpr_write_b32 a226, v12
	v_mul_f64 v[12:13], v[172:173], v[96:97]
	ds_read_b128 v[34:37], v32 offset:1712
	buffer_load_dword v167, off, s[0:3], 0 offset:780
	buffer_load_dword v166, off, s[0:3], 0 offset:776
	;; [unrolled: 1-line block ×4, first 2 shown]
	v_fma_f64 v[18:19], v[170:171], v[174:175], -v[12:13]
	buffer_load_dword v171, off, s[0:3], 0 offset:796
	buffer_load_dword v170, off, s[0:3], 0 offset:792
	;; [unrolled: 1-line block ×8, first 2 shown]
	v_fma_f64 v[22:23], v[38:39], v[54:55], -v[40:41]
	v_mul_f64 v[38:39], v[180:181], v[86:87]
	v_fma_f64 v[16:17], v[178:179], v[60:61], -v[38:39]
	buffer_load_dword v178, off, s[0:3], 0 offset:824
	v_mul_f64 v[38:39], v[184:185], v[208:209]
	v_fma_f64 v[14:15], v[182:183], v[210:211], -v[38:39]
	buffer_load_dword v182, off, s[0:3], 0 offset:816
	buffer_load_dword v179, off, s[0:3], 0 offset:828
	;; [unrolled: 1-line block ×3, first 2 shown]
	v_mul_f64 v[38:39], v[188:189], v[200:201]
	v_fma_f64 v[12:13], v[186:187], v[206:207], -v[38:39]
	buffer_load_dword v180, off, s[0:3], 0 offset:856
	buffer_load_dword v187, off, s[0:3], 0 offset:844
	;; [unrolled: 1-line block ×8, first 2 shown]
	v_mul_f64 v[40:41], v[194:195], v[236:237]
	v_fma_f64 v[10:11], v[192:193], v[246:247], -v[40:41]
	buffer_load_dword v193, off, s[0:3], 0 offset:876
	buffer_load_dword v192, off, s[0:3], 0 offset:872
	;; [unrolled: 1-line block ×8, first 2 shown]
	s_waitcnt vmcnt(51)
	v_fmac_f64_e32 v[114:115], v[128:129], v[140:141]
	v_add_f64 v[108:109], v[108:109], v[114:115]
	s_waitcnt vmcnt(50) lgkmcnt(1)
	v_mul_f64 v[114:115], v[122:123], v[240:241]
	s_waitcnt vmcnt(48)
	v_fmac_f64_e32 v[114:115], v[124:125], v[138:139]
	v_add_f64 v[108:109], v[108:109], v[114:115]
	v_mul_f64 v[40:41], v[204:205], v[248:249]
	v_fma_f64 v[248:249], v[202:203], v[250:251], -v[40:41]
	buffer_load_dword v196, off, s[0:3], 0 offset:920
	buffer_load_dword v205, off, s[0:3], 0 offset:908
	;; [unrolled: 1-line block ×12, first 2 shown]
	v_fma_f64 v[30:31], v[42:43], v[48:49], -v[44:45]
	v_mul_f64 v[42:43], v[214:215], v[74:75]
	v_fma_f64 v[250:251], v[212:213], v[76:77], -v[42:43]
	ds_read_b128 v[42:45], v32 offset:1744
	ds_read_b128 v[46:49], v32 offset:1760
	v_mul_f64 v[54:55], v[222:223], v[56:57]
	v_fma_f64 v[6:7], v[220:221], v[58:59], -v[54:55]
	ds_read_b128 v[54:57], v32 offset:1792
	v_mul_f64 v[58:59], v[226:227], v[62:63]
	v_fma_f64 v[4:5], v[224:225], v[64:65], -v[58:59]
	v_fma_f64 v[246:247], v[228:229], v[68:69], -v[66:67]
	v_accvgpr_write_b32 a225, v135
	v_accvgpr_write_b32 a224, v134
	v_fma_f64 v[8:9], v[216:217], v[88:89], -v[0:1]
	ds_read_b128 v[58:61], v32 offset:1808
	ds_read_b128 v[66:69], v32 offset:1840
	s_waitcnt vmcnt(58) lgkmcnt(5)
	v_mul_f64 v[38:39], v[34:35], v[2:3]
	v_pk_mov_b32 v[134:135], v[2:3], v[2:3] op_sel:[0,1]
	s_waitcnt vmcnt(56)
	v_fmac_f64_e32 v[38:39], v[36:37], v[146:147]
	v_add_f64 v[50:51], v[108:109], v[38:39]
	ds_read_b128 v[38:41], v32 offset:1728
	v_fma_f64 v[2:3], v[232:233], v[72:73], -v[70:71]
	ds_read_b128 v[70:73], v32 offset:1856
	s_waitcnt vmcnt(53) lgkmcnt(1)
	v_mul_f64 v[52:53], v[38:39], v[154:155]
	s_waitcnt vmcnt(52)
	v_fmac_f64_e32 v[52:53], v[40:41], v[158:159]
	v_add_f64 v[50:51], v[50:51], v[52:53]
	s_waitcnt vmcnt(49)
	v_mul_f64 v[52:53], v[42:43], v[162:163]
	s_waitcnt vmcnt(47)
	v_fmac_f64_e32 v[52:53], v[44:45], v[164:165]
	v_add_f64 v[50:51], v[50:51], v[52:53]
	s_waitcnt vmcnt(45)
	v_mul_f64 v[52:53], v[46:47], v[156:157]
	s_waitcnt vmcnt(44)
	v_fmac_f64_e32 v[52:53], v[48:49], v[160:161]
	v_add_f64 v[74:75], v[50:51], v[52:53]
	ds_read_b128 v[50:53], v32 offset:1776
	s_waitcnt vmcnt(42) lgkmcnt(0)
	v_mul_f64 v[76:77], v[50:51], v[166:167]
	s_waitcnt vmcnt(40)
	v_fmac_f64_e32 v[76:77], v[52:53], v[168:169]
	s_waitcnt vmcnt(38)
	v_mul_f64 v[62:63], v[54:55], v[170:171]
	v_add_f64 v[24:25], v[74:75], v[76:77]
	s_waitcnt vmcnt(36)
	v_fmac_f64_e32 v[62:63], v[56:57], v[174:175]
	v_add_f64 v[24:25], v[24:25], v[62:63]
	s_waitcnt vmcnt(34)
	v_mul_f64 v[62:63], v[58:59], v[172:173]
	s_waitcnt vmcnt(32)
	v_fmac_f64_e32 v[62:63], v[60:61], v[176:177]
	v_add_f64 v[24:25], v[24:25], v[62:63]
	ds_read_b128 v[62:65], v32 offset:1824
	s_waitcnt vmcnt(25)
	v_mul_f64 v[28:29], v[66:67], v[186:187]
	s_waitcnt vmcnt(23)
	v_fmac_f64_e32 v[28:29], v[68:69], v[188:189]
	s_waitcnt lgkmcnt(0)
	v_mul_f64 v[74:75], v[62:63], v[178:179]
	v_fmac_f64_e32 v[74:75], v[64:65], v[182:183]
	v_add_f64 v[24:25], v[24:25], v[74:75]
	v_add_f64 v[24:25], v[24:25], v[28:29]
	ds_read_b128 v[74:77], v32 offset:1872
	s_waitcnt vmcnt(21)
	v_mul_f64 v[28:29], v[70:71], v[180:181]
	s_waitcnt vmcnt(20)
	v_fmac_f64_e32 v[28:29], v[72:73], v[184:185]
	v_add_f64 v[28:29], v[24:25], v[28:29]
	v_mul_f64 v[24:25], v[244:245], v[78:79]
	v_fma_f64 v[232:233], v[242:243], v[80:81], -v[24:25]
	ds_read_b128 v[78:81], v32 offset:1888
	s_waitcnt vmcnt(18) lgkmcnt(1)
	v_mul_f64 v[86:87], v[74:75], v[192:193]
	s_waitcnt vmcnt(16)
	v_fmac_f64_e32 v[86:87], v[76:77], v[194:195]
	v_mul_f64 v[24:25], v[102:103], v[82:83]
	v_fma_f64 v[24:25], v[100:101], v[84:85], -v[24:25]
	ds_read_b128 v[82:85], v32 offset:1904
	v_add_f64 v[28:29], v[28:29], v[86:87]
	s_waitcnt vmcnt(14) lgkmcnt(1)
	v_mul_f64 v[86:87], v[78:79], v[198:199]
	s_waitcnt vmcnt(12)
	v_fmac_f64_e32 v[86:87], v[80:81], v[200:201]
	v_add_f64 v[94:95], v[28:29], v[86:87]
	v_mul_f64 v[28:29], v[106:107], v[90:91]
	ds_read_b128 v[86:89], v32 offset:1920
	v_fma_f64 v[28:29], v[104:105], v[92:93], -v[28:29]
	ds_read_b128 v[90:93], v32 offset:1936
	buffer_load_dword v212, off, s[0:3], 0 offset:952
	buffer_load_dword v213, off, s[0:3], 0 offset:956
	;; [unrolled: 1-line block ×4, first 2 shown]
	s_waitcnt vmcnt(13) lgkmcnt(2)
	v_mul_f64 v[96:97], v[82:83], v[204:205]
	s_waitcnt vmcnt(11)
	v_fmac_f64_e32 v[96:97], v[84:85], v[208:209]
	v_add_f64 v[94:95], v[94:95], v[96:97]
	s_waitcnt vmcnt(9) lgkmcnt(1)
	v_mul_f64 v[96:97], v[86:87], v[196:197]
	s_waitcnt vmcnt(8)
	v_fmac_f64_e32 v[96:97], v[88:89], v[202:203]
	v_add_f64 v[94:95], v[94:95], v[96:97]
	;; [unrolled: 5-line block ×3, first 2 shown]
	ds_read_b128 v[94:97], v32 offset:1952
	buffer_load_dword v217, off, s[0:3], 0 offset:972
	buffer_load_dword v216, off, s[0:3], 0 offset:968
	buffer_load_dword v219, off, s[0:3], 0 offset:964
	buffer_load_dword v218, off, s[0:3], 0 offset:960
	s_waitcnt vmcnt(6) lgkmcnt(0)
	v_mul_f64 v[100:101], v[94:95], v[212:213]
	s_waitcnt vmcnt(4)
	v_fmac_f64_e32 v[100:101], v[96:97], v[214:215]
	v_add_f64 v[102:103], v[98:99], v[100:101]
	ds_read_b128 v[98:101], v32 offset:1968
	buffer_load_dword v220, off, s[0:3], 0 offset:984
	buffer_load_dword v221, off, s[0:3], 0 offset:988
	buffer_load_dword v222, off, s[0:3], 0 offset:976
	buffer_load_dword v223, off, s[0:3], 0 offset:980
	s_waitcnt vmcnt(6) lgkmcnt(0)
	v_mul_f64 v[104:105], v[98:99], v[216:217]
	s_waitcnt vmcnt(4)
	v_fmac_f64_e32 v[104:105], v[100:101], v[218:219]
	v_add_f64 v[106:107], v[102:103], v[104:105]
	;; [unrolled: 10-line block ×3, first 2 shown]
	ds_read_b128 v[106:109], v32 offset:2000
	buffer_load_dword v228, off, s[0:3], 0 offset:1016
	buffer_load_dword v229, off, s[0:3], 0 offset:1020
	;; [unrolled: 1-line block ×4, first 2 shown]
	ds_read_b128 v[242:245], v32 offset:2016
	buffer_load_dword v235, off, s[0:3], 0 offset:1036
	buffer_load_dword v234, off, s[0:3], 0 offset:1032
	;; [unrolled: 1-line block ×4, first 2 shown]
	s_waitcnt vmcnt(10) lgkmcnt(1)
	v_mul_f64 v[116:117], v[106:107], v[224:225]
	s_waitcnt vmcnt(8)
	v_fmac_f64_e32 v[116:117], v[108:109], v[226:227]
	v_add_f64 v[114:115], v[114:115], v[116:117]
	s_waitcnt vmcnt(6) lgkmcnt(0)
	v_mul_f64 v[116:117], v[242:243], v[228:229]
	s_waitcnt vmcnt(4)
	v_fmac_f64_e32 v[116:117], v[244:245], v[230:231]
	v_add_f64 v[0:1], v[114:115], v[116:117]
	ds_read_b128 v[114:117], v32 offset:2032
	s_waitcnt vmcnt(2) lgkmcnt(0)
	v_mul_f64 v[32:33], v[114:115], v[234:235]
	s_waitcnt vmcnt(0)
	v_fmac_f64_e32 v[32:33], v[116:117], v[236:237]
	v_add_f64 v[32:33], v[0:1], v[32:33]
	v_add_f64 v[0:1], v[190:191], 0
	;; [unrolled: 1-line block ×20, first 2 shown]
	buffer_load_dword v250, off, s[0:3], 0 offset:128
	buffer_load_dword v251, off, s[0:3], 0 offset:132
	buffer_load_dword v248, off, s[0:3], 0 offset:136
	buffer_load_dword v249, off, s[0:3], 0 offset:140
	v_add_f64 v[0:1], v[0:1], v[8:9]
	v_add_f64 v[0:1], v[0:1], v[6:7]
	;; [unrolled: 1-line block ×5, first 2 shown]
	v_accvgpr_read_b32 v4, a194
	v_accvgpr_read_b32 v2, a198
	;; [unrolled: 1-line block ×5, first 2 shown]
	v_add_f64 v[254:255], v[0:1], v[232:233]
	v_mul_f64 v[2:3], v[6:7], v[2:3]
	v_accvgpr_read_b32 v6, a200
	v_add_f64 v[0:1], v[254:255], v[24:25]
	v_accvgpr_read_b32 v5, a195
	v_accvgpr_read_b32 v7, a201
	v_add_f64 v[0:1], v[0:1], v[28:29]
	v_fma_f64 v[2:3], v[4:5], v[6:7], -v[2:3]
	v_add_f64 v[0:1], v[0:1], v[2:3]
	v_accvgpr_read_b32 v4, a202
	v_accvgpr_read_b32 v2, a210
	;; [unrolled: 1-line block ×5, first 2 shown]
	v_mul_f64 v[2:3], v[6:7], v[2:3]
	v_accvgpr_read_b32 v6, a212
	v_accvgpr_read_b32 v5, a203
	;; [unrolled: 1-line block ×3, first 2 shown]
	v_fma_f64 v[2:3], v[4:5], v[6:7], -v[2:3]
	v_add_f64 v[0:1], v[0:1], v[2:3]
	v_accvgpr_read_b32 v4, a206
	v_accvgpr_read_b32 v2, a214
	;; [unrolled: 1-line block ×5, first 2 shown]
	v_mul_f64 v[2:3], v[6:7], v[2:3]
	v_accvgpr_read_b32 v6, a216
	v_accvgpr_read_b32 v5, a207
	;; [unrolled: 1-line block ×3, first 2 shown]
	v_fma_f64 v[2:3], v[4:5], v[6:7], -v[2:3]
	v_add_f64 v[0:1], v[0:1], v[2:3]
	v_accvgpr_read_b32 v2, a218
	v_accvgpr_read_b32 v3, a219
	;; [unrolled: 1-line block ×3, first 2 shown]
	v_mul_f64 v[2:3], v[152:153], v[2:3]
	v_accvgpr_read_b32 v5, a221
	v_fma_f64 v[2:3], v[150:151], v[4:5], -v[2:3]
	v_add_f64 v[0:1], v[0:1], v[2:3]
	v_accvgpr_read_b32 v2, a222
	v_accvgpr_read_b32 v3, a223
	;; [unrolled: 1-line block ×3, first 2 shown]
	v_mul_f64 v[2:3], v[144:145], v[2:3]
	v_accvgpr_read_b32 v5, a225
	v_fma_f64 v[2:3], v[142:143], v[4:5], -v[2:3]
	v_accvgpr_read_b32 v4, a226
	v_add_f64 v[0:1], v[0:1], v[2:3]
	v_mul_f64 v[2:3], v[132:133], v[136:137]
	v_accvgpr_read_b32 v5, a227
	v_fma_f64 v[2:3], v[130:131], v[4:5], -v[2:3]
	v_add_f64 v[0:1], v[0:1], v[2:3]
	v_mul_f64 v[2:3], v[128:129], v[148:149]
	v_fma_f64 v[2:3], v[126:127], v[140:141], -v[2:3]
	v_add_f64 v[0:1], v[0:1], v[2:3]
	v_mul_f64 v[2:3], v[124:125], v[240:241]
	;; [unrolled: 3-line block ×23, first 2 shown]
	v_fma_f64 v[2:3], v[114:115], v[236:237], -v[2:3]
	v_add_f64 v[0:1], v[0:1], v[2:3]
	v_accvgpr_read_b32 v239, a191
	s_waitcnt vmcnt(2)
	v_add_f64 v[0:1], v[250:251], -v[0:1]
	v_cmp_lt_u32_e32 vcc, 6, v239
	s_waitcnt vmcnt(0)
	v_add_f64 v[2:3], v[248:249], -v[32:33]
	buffer_store_dword v1, off, s[0:3], 0 offset:132
	buffer_store_dword v0, off, s[0:3], 0 offset:128
	;; [unrolled: 1-line block ×4, first 2 shown]
	s_and_saveexec_b64 s[4:5], vcc
	s_cbranch_execz .LBB127_397
; %bb.396:
	v_accvgpr_read_b32 v3, a185
	buffer_load_dword v0, v3, s[0:3], 0 offen
	buffer_load_dword v1, v3, s[0:3], 0 offen offset:4
	buffer_load_dword v2, v3, s[0:3], 0 offen offset:8
	s_nop 0
	buffer_load_dword v3, v3, s[0:3], 0 offen offset:12
	v_mov_b32_e32 v4, 0
	v_accvgpr_read_b32 v5, a192
	buffer_store_dword v4, off, s[0:3], 0 offset:112
	buffer_store_dword v4, off, s[0:3], 0 offset:116
	;; [unrolled: 1-line block ×4, first 2 shown]
	s_waitcnt vmcnt(4)
	ds_write_b128 v5, v[0:3]
.LBB127_397:
	s_or_b64 exec, exec, s[4:5]
	s_waitcnt lgkmcnt(0)
	; wave barrier
	s_waitcnt lgkmcnt(0)
	buffer_load_dword v6, off, s[0:3], 0 offset:128
	buffer_load_dword v7, off, s[0:3], 0 offset:132
	;; [unrolled: 1-line block ×42, first 2 shown]
	v_mov_b32_e32 v238, 0
	buffer_load_dword v81, off, s[0:3], 0 offset:276
	buffer_load_dword v80, off, s[0:3], 0 offset:272
	;; [unrolled: 1-line block ×7, first 2 shown]
	ds_read_b128 v[102:105], v238 offset:1136
	ds_read_b128 v[106:109], v238 offset:1152
	;; [unrolled: 1-line block ×11, first 2 shown]
	v_cmp_lt_u32_e32 vcc, 5, v239
	s_waitcnt vmcnt(45) lgkmcnt(10)
	v_mul_f64 v[0:1], v[102:103], v[10:11]
	v_fmac_f64_e32 v[0:1], v[104:105], v[6:7]
	v_add_f64 v[0:1], v[0:1], 0
	v_mul_f64 v[10:11], v[104:105], v[10:11]
	s_waitcnt vmcnt(41) lgkmcnt(9)
	v_mul_f64 v[52:53], v[106:107], v[8:9]
	v_fmac_f64_e32 v[52:53], v[108:109], v[4:5]
	s_waitcnt vmcnt(39) lgkmcnt(8)
	v_mul_f64 v[54:55], v[110:111], v[2:3]
	v_add_f64 v[0:1], v[0:1], v[52:53]
	s_waitcnt vmcnt(37) lgkmcnt(6)
	v_mul_f64 v[58:59], v[150:151], v[142:143]
	v_mul_f64 v[8:9], v[108:109], v[8:9]
	s_waitcnt vmcnt(35)
	v_fmac_f64_e32 v[58:59], v[152:153], v[14:15]
	v_fma_f64 v[148:149], v[106:107], v[4:5], -v[8:9]
	s_waitcnt vmcnt(33)
	v_mul_f64 v[56:57], v[114:115], v[144:145]
	v_mul_f64 v[2:3], v[112:113], v[2:3]
	s_waitcnt vmcnt(31) lgkmcnt(4)
	v_mul_f64 v[62:63], v[158:159], v[22:23]
	v_mul_f64 v[22:23], v[160:161], v[22:23]
	s_waitcnt vmcnt(29)
	v_fmac_f64_e32 v[62:63], v[160:161], v[24:25]
	s_waitcnt vmcnt(27)
	v_mul_f64 v[60:61], v[154:155], v[18:19]
	s_waitcnt vmcnt(25) lgkmcnt(2)
	v_mul_f64 v[66:67], v[166:167], v[30:31]
	v_mul_f64 v[30:31], v[168:169], v[30:31]
	s_waitcnt vmcnt(22)
	v_mul_f64 v[64:65], v[162:163], v[26:27]
	s_waitcnt vmcnt(20) lgkmcnt(1)
	v_mul_f64 v[130:131], v[170:171], v[38:39]
	v_mul_f64 v[38:39], v[172:173], v[38:39]
	s_waitcnt vmcnt(18)
	v_fmac_f64_e32 v[54:55], v[112:113], v[44:45]
	v_add_f64 v[0:1], v[0:1], v[54:55]
	s_waitcnt vmcnt(16)
	v_fmac_f64_e32 v[56:57], v[116:117], v[40:41]
	v_add_f64 v[0:1], v[0:1], v[56:57]
	;; [unrolled: 3-line block ×3, first 2 shown]
	v_add_f64 v[0:1], v[0:1], v[60:61]
	s_waitcnt vmcnt(12)
	v_fmac_f64_e32 v[64:65], v[164:165], v[28:29]
	v_add_f64 v[0:1], v[0:1], v[62:63]
	s_waitcnt vmcnt(11)
	v_fmac_f64_e32 v[66:67], v[168:169], v[32:33]
	v_add_f64 v[0:1], v[0:1], v[64:65]
	v_add_f64 v[132:133], v[0:1], v[66:67]
	buffer_load_dword v68, off, s[0:3], 0 offset:312
	buffer_load_dword v233, off, s[0:3], 0 offset:308
	;; [unrolled: 1-line block ×61, first 2 shown]
	s_waitcnt vmcnt(62)
	v_fmac_f64_e32 v[130:131], v[172:173], v[80:81]
	v_add_f64 v[130:131], v[132:133], v[130:131]
	s_waitcnt lgkmcnt(0)
	v_mul_f64 v[132:133], v[34:35], v[42:43]
	v_fmac_f64_e32 v[132:133], v[36:37], v[46:47]
	v_add_f64 v[130:131], v[130:131], v[132:133]
	v_fma_f64 v[240:241], v[110:111], v[44:45], -v[2:3]
	v_mul_f64 v[2:3], v[116:117], v[144:145]
	v_fma_f64 v[252:253], v[114:115], v[40:41], -v[2:3]
	v_mul_f64 v[36:37], v[36:37], v[42:43]
	s_waitcnt vmcnt(0)
	v_pk_mov_b32 v[118:119], v[86:87], v[86:87] op_sel:[0,1]
	buffer_load_dword v87, off, s[0:3], 0 offset:580
	buffer_load_dword v86, off, s[0:3], 0 offset:576
	v_accvgpr_write_b32 a199, v119
	v_accvgpr_write_b32 a198, v118
	s_waitcnt vmcnt(0)
	v_pk_mov_b32 v[122:123], v[86:87], v[86:87] op_sel:[0,1]
	buffer_load_dword v87, off, s[0:3], 0 offset:572
	buffer_load_dword v86, off, s[0:3], 0 offset:568
	;; [unrolled: 1-line block ×6, first 2 shown]
	v_accvgpr_write_b32 a201, v123
	v_accvgpr_write_b32 a200, v122
	s_waitcnt vmcnt(0)
	v_pk_mov_b32 v[124:125], v[120:121], v[120:121] op_sel:[0,1]
	buffer_load_dword v121, off, s[0:3], 0 offset:612
	buffer_load_dword v120, off, s[0:3], 0 offset:608
	;; [unrolled: 1-line block ×4, first 2 shown]
	s_waitcnt vmcnt(2)
	v_accvgpr_write_b32 a215, v121
	v_accvgpr_write_b32 a214, v120
	s_waitcnt vmcnt(0)
	v_pk_mov_b32 v[128:129], v[126:127], v[126:127] op_sel:[0,1]
	buffer_load_dword v127, off, s[0:3], 0 offset:596
	buffer_load_dword v126, off, s[0:3], 0 offset:592
	ds_read_b128 v[174:177], v238 offset:1312
	ds_read_b128 v[178:181], v238 offset:1328
	;; [unrolled: 1-line block ×6, first 2 shown]
	s_waitcnt lgkmcnt(5)
	v_mul_f64 v[132:133], v[174:175], v[68:69]
	v_fmac_f64_e32 v[132:133], v[176:177], v[232:233]
	v_add_f64 v[130:131], v[130:131], v[132:133]
	s_waitcnt lgkmcnt(4)
	v_mul_f64 v[132:133], v[178:179], v[48:49]
	v_fmac_f64_e32 v[132:133], v[180:181], v[50:51]
	v_add_f64 v[130:131], v[130:131], v[132:133]
	;; [unrolled: 4-line block ×3, first 2 shown]
	s_waitcnt lgkmcnt(2)
	v_mul_f64 v[132:133], v[186:187], v[234:235]
	v_fmac_f64_e32 v[132:133], v[188:189], v[100:101]
	ds_read_b128 v[200:203], v238 offset:1408
	ds_read_b128 v[204:207], v238 offset:1424
	v_add_f64 v[130:131], v[130:131], v[132:133]
	s_waitcnt lgkmcnt(3)
	v_mul_f64 v[132:133], v[192:193], v[246:247]
	v_fmac_f64_e32 v[132:133], v[194:195], v[248:249]
	v_add_f64 v[130:131], v[130:131], v[132:133]
	s_waitcnt lgkmcnt(2)
	v_mul_f64 v[132:133], v[196:197], v[244:245]
	v_fmac_f64_e32 v[132:133], v[198:199], v[98:99]
	v_add_f64 v[130:131], v[130:131], v[132:133]
	s_waitcnt lgkmcnt(1)
	v_mul_f64 v[132:133], v[200:201], v[94:95]
	v_fmac_f64_e32 v[132:133], v[202:203], v[96:97]
	v_add_f64 v[130:131], v[130:131], v[132:133]
	s_waitcnt lgkmcnt(0)
	v_mul_f64 v[132:133], v[204:205], v[78:79]
	v_fmac_f64_e32 v[132:133], v[206:207], v[92:93]
	ds_read_b128 v[208:211], v238 offset:1440
	ds_read_b128 v[212:215], v238 offset:1456
	v_add_f64 v[134:135], v[130:131], v[132:133]
	buffer_load_dword v131, off, s[0:3], 0 offset:636
	buffer_load_dword v130, off, s[0:3], 0 offset:632
	v_accvgpr_write_b32 a207, v129
	s_waitcnt lgkmcnt(1)
	v_mul_f64 v[136:137], v[208:209], v[0:1]
	v_fmac_f64_e32 v[136:137], v[210:211], v[90:91]
	v_add_f64 v[138:139], v[134:135], v[136:137]
	s_waitcnt lgkmcnt(0)
	v_mul_f64 v[140:141], v[212:213], v[52:53]
	v_fmac_f64_e32 v[140:141], v[214:215], v[54:55]
	v_add_f64 v[138:139], v[138:139], v[140:141]
	v_accvgpr_write_b32 a206, v128
	v_mul_f64 v[0:1], v[210:211], v[0:1]
	s_waitcnt vmcnt(2)
	v_accvgpr_write_b32 a209, v127
	v_accvgpr_write_b32 a208, v126
	s_waitcnt vmcnt(0)
	v_pk_mov_b32 v[132:133], v[130:131], v[130:131] op_sel:[0,1]
	buffer_load_dword v131, off, s[0:3], 0 offset:628
	buffer_load_dword v130, off, s[0:3], 0 offset:624
	ds_read_b128 v[216:219], v238 offset:1472
	buffer_load_dword v134, off, s[0:3], 0 offset:648
	buffer_load_dword v136, off, s[0:3], 0 offset:640
	;; [unrolled: 1-line block ×4, first 2 shown]
	ds_read_b128 v[220:223], v238 offset:1488
	v_accvgpr_write_b32 a217, v133
	v_accvgpr_write_b32 a216, v132
	s_waitcnt lgkmcnt(1)
	v_mul_f64 v[140:141], v[216:217], v[56:57]
	v_fmac_f64_e32 v[140:141], v[218:219], v[66:67]
	v_add_f64 v[190:191], v[138:139], v[140:141]
	buffer_load_dword v13, off, s[0:3], 0 offset:684
	buffer_load_dword v17, off, s[0:3], 0 offset:668
	;; [unrolled: 1-line block ×12, first 2 shown]
	s_waitcnt lgkmcnt(0)
	v_mul_f64 v[224:225], v[220:221], v[58:59]
	v_fmac_f64_e32 v[224:225], v[222:223], v[60:61]
	v_add_f64 v[228:229], v[190:191], v[224:225]
	ds_read_b128 v[224:227], v238 offset:1504
	v_fma_f64 v[190:191], v[102:103], v[6:7], -v[10:11]
	ds_read_b128 v[102:105], v238 offset:1520
	ds_read_b128 v[106:109], v238 offset:1536
	;; [unrolled: 1-line block ×3, first 2 shown]
	s_waitcnt lgkmcnt(3)
	v_mul_f64 v[6:7], v[224:225], v[62:63]
	v_fmac_f64_e32 v[6:7], v[226:227], v[64:65]
	v_add_f64 v[4:5], v[228:229], v[6:7]
	s_waitcnt lgkmcnt(2)
	v_mul_f64 v[6:7], v[102:103], v[70:71]
	ds_read_b128 v[228:231], v238 offset:1552
	v_fmac_f64_e32 v[6:7], v[104:105], v[72:73]
	v_add_f64 v[4:5], v[4:5], v[6:7]
	s_waitcnt lgkmcnt(2)
	v_mul_f64 v[6:7], v[106:107], v[74:75]
	v_fmac_f64_e32 v[6:7], v[108:109], v[76:77]
	v_add_f64 v[6:7], v[4:5], v[6:7]
	ds_read_b128 v[2:5], v238 offset:1584
	s_waitcnt lgkmcnt(1)
	v_mul_f64 v[8:9], v[228:229], v[82:83]
	v_fmac_f64_e32 v[8:9], v[230:231], v[84:85]
	v_add_f64 v[6:7], v[6:7], v[8:9]
	v_mul_f64 v[8:9], v[110:111], v[86:87]
	v_fmac_f64_e32 v[8:9], v[112:113], v[88:89]
	v_add_f64 v[6:7], v[6:7], v[8:9]
	s_waitcnt lgkmcnt(0)
	v_mul_f64 v[8:9], v[2:3], v[118:119]
	v_accvgpr_write_b32 a197, v5
	v_fmac_f64_e32 v[8:9], v[4:5], v[122:123]
	v_accvgpr_write_b32 a196, v4
	v_accvgpr_write_b32 a195, v3
	v_accvgpr_write_b32 a194, v2
	ds_read_b128 v[2:5], v238 offset:1600
	v_mul_f64 v[10:11], v[152:153], v[142:143]
	ds_read_b128 v[142:145], v238 offset:1616
	v_add_f64 v[40:41], v[6:7], v[8:9]
	ds_read_b128 v[6:9], v238 offset:1632
	s_waitcnt lgkmcnt(2)
	v_mul_f64 v[44:45], v[2:3], v[128:129]
	v_fma_f64 v[250:251], v[150:151], v[14:15], -v[10:11]
	v_fmac_f64_e32 v[44:45], v[4:5], v[126:127]
	v_accvgpr_write_b32 a205, v5
	v_mul_f64 v[14:15], v[156:157], v[18:19]
	s_waitcnt lgkmcnt(1)
	v_mul_f64 v[18:19], v[142:143], v[124:125]
	v_accvgpr_write_b32 a204, v4
	v_accvgpr_write_b32 a203, v3
	;; [unrolled: 1-line block ×3, first 2 shown]
	v_add_f64 v[4:5], v[40:41], v[44:45]
	v_fmac_f64_e32 v[18:19], v[144:145], v[120:121]
	v_add_f64 v[4:5], v[4:5], v[18:19]
	s_waitcnt lgkmcnt(0)
	v_mul_f64 v[18:19], v[6:7], v[132:133]
	v_fma_f64 v[152:153], v[158:159], v[24:25], -v[22:23]
	v_fma_f64 v[116:117], v[154:155], v[146:147], -v[14:15]
	v_pk_mov_b32 v[146:147], v[124:125], v[124:125] op_sel:[0,1]
	v_accvgpr_write_b32 a213, v9
	v_accvgpr_write_b32 a212, v8
	;; [unrolled: 1-line block ×4, first 2 shown]
	v_mul_f64 v[24:25], v[226:227], v[62:63]
	s_waitcnt vmcnt(16)
	v_accvgpr_write_b32 a219, v131
	v_fmac_f64_e32 v[18:19], v[8:9], v[130:131]
	v_accvgpr_write_b32 a218, v130
	ds_read_b128 v[130:133], v238 offset:1648
	buffer_load_dword v150, off, s[0:3], 0 offset:712
	buffer_load_dword v151, off, s[0:3], 0 offset:716
	s_waitcnt vmcnt(15)
	v_accvgpr_write_b32 a221, v135
	v_accvgpr_write_b32 a220, v134
	ds_read_b128 v[126:129], v238 offset:1664
	s_waitcnt lgkmcnt(1)
	v_mul_f64 v[22:23], v[130:131], v[134:135]
	buffer_load_dword v134, off, s[0:3], 0 offset:704
	buffer_load_dword v135, off, s[0:3], 0 offset:708
	ds_read_b128 v[122:125], v238 offset:1680
	ds_read_b128 v[118:121], v238 offset:1696
	buffer_load_dword v155, off, s[0:3], 0 offset:732
	buffer_load_dword v154, off, s[0:3], 0 offset:728
	buffer_load_dword v157, off, s[0:3], 0 offset:724
	buffer_load_dword v156, off, s[0:3], 0 offset:720
	buffer_load_dword v158, off, s[0:3], 0 offset:744
	buffer_load_dword v160, off, s[0:3], 0 offset:736
	buffer_load_dword v159, off, s[0:3], 0 offset:748
	buffer_load_dword v161, off, s[0:3], 0 offset:740
	v_add_f64 v[4:5], v[4:5], v[18:19]
	s_waitcnt vmcnt(24)
	v_fmac_f64_e32 v[22:23], v[132:133], v[136:137]
	v_add_f64 v[40:41], v[4:5], v[22:23]
	v_mul_f64 v[4:5], v[164:165], v[26:27]
	v_fma_f64 v[44:45], v[162:163], v[28:29], -v[4:5]
	v_fma_f64 v[162:163], v[166:167], v[32:33], -v[30:31]
	;; [unrolled: 1-line block ×3, first 2 shown]
	buffer_load_dword v43, off, s[0:3], 0 offset:780
	buffer_load_dword v165, off, s[0:3], 0 offset:764
	;; [unrolled: 1-line block ×8, first 2 shown]
	s_waitcnt vmcnt(29) lgkmcnt(2)
	v_mul_f64 v[114:115], v[126:127], v[16:17]
	s_waitcnt vmcnt(27)
	v_fmac_f64_e32 v[114:115], v[128:129], v[140:141]
	s_waitcnt vmcnt(26)
	v_accvgpr_write_b32 a229, v13
	v_add_f64 v[40:41], v[40:41], v[114:115]
	s_waitcnt lgkmcnt(1)
	v_mul_f64 v[114:115], v[122:123], v[12:13]
	v_accvgpr_write_b32 a228, v12
	v_mul_f64 v[12:13], v[176:177], v[68:69]
	v_fma_f64 v[28:29], v[34:35], v[46:47], -v[36:37]
	v_fma_f64 v[26:27], v[174:175], v[232:233], -v[12:13]
	ds_read_b128 v[34:37], v238 offset:1712
	buffer_load_dword v166, off, s[0:3], 0 offset:808
	buffer_load_dword v173, off, s[0:3], 0 offset:796
	;; [unrolled: 1-line block ×8, first 2 shown]
	v_mul_f64 v[38:39], v[180:181], v[48:49]
	v_fma_f64 v[232:233], v[178:179], v[50:51], -v[38:39]
	buffer_load_dword v179, off, s[0:3], 0 offset:828
	buffer_load_dword v178, off, s[0:3], 0 offset:824
	buffer_load_dword v181, off, s[0:3], 0 offset:820
	buffer_load_dword v180, off, s[0:3], 0 offset:816
	v_accvgpr_write_b32 a225, v17
	v_accvgpr_write_b32 a224, v16
	v_mul_f64 v[16:17], v[188:189], v[234:235]
	v_mul_f64 v[38:39], v[184:185], v[236:237]
	v_fma_f64 v[18:19], v[186:187], v[100:101], -v[16:17]
	buffer_load_dword v184, off, s[0:3], 0 offset:840
	buffer_load_dword v186, off, s[0:3], 0 offset:832
	;; [unrolled: 1-line block ×4, first 2 shown]
	v_accvgpr_write_b32 a227, v141
	v_accvgpr_write_b32 a226, v140
	s_waitcnt vmcnt(40)
	v_fmac_f64_e32 v[114:115], v[124:125], v[20:21]
	v_pk_mov_b32 v[140:141], v[20:21], v[20:21] op_sel:[0,1]
	v_fma_f64 v[20:21], v[182:183], v[242:243], -v[38:39]
	v_mul_f64 v[38:39], v[194:195], v[246:247]
	v_fma_f64 v[246:247], v[192:193], v[248:249], -v[38:39]
	buffer_load_dword v183, off, s[0:3], 0 offset:876
	buffer_load_dword v189, off, s[0:3], 0 offset:860
	;; [unrolled: 1-line block ×8, first 2 shown]
	v_add_f64 v[40:41], v[40:41], v[114:115]
	s_waitcnt vmcnt(46) lgkmcnt(1)
	v_mul_f64 v[114:115], v[118:119], v[254:255]
	s_waitcnt vmcnt(44)
	v_fmac_f64_e32 v[114:115], v[120:121], v[138:139]
	v_mul_f64 v[38:39], v[198:199], v[244:245]
	v_add_f64 v[8:9], v[40:41], v[114:115]
	v_fma_f64 v[248:249], v[196:197], v[98:99], -v[38:39]
	ds_read_b128 v[38:41], v238 offset:1728
	v_mul_f64 v[48:49], v[202:203], v[94:95]
	v_fma_f64 v[16:17], v[200:201], v[96:97], -v[48:49]
	v_mul_f64 v[48:49], v[206:207], v[78:79]
	buffer_load_dword v197, off, s[0:3], 0 offset:892
	buffer_load_dword v196, off, s[0:3], 0 offset:888
	buffer_load_dword v199, off, s[0:3], 0 offset:884
	buffer_load_dword v198, off, s[0:3], 0 offset:880
	v_fma_f64 v[14:15], v[204:205], v[92:93], -v[48:49]
	buffer_load_dword v200, off, s[0:3], 0 offset:904
	buffer_load_dword v202, off, s[0:3], 0 offset:896
	;; [unrolled: 1-line block ×8, first 2 shown]
	v_fma_f64 v[12:13], v[208:209], v[90:91], -v[0:1]
	buffer_load_dword v208, off, s[0:3], 0 offset:936
	buffer_load_dword v210, off, s[0:3], 0 offset:928
	;; [unrolled: 1-line block ×4, first 2 shown]
	ds_read_b128 v[242:245], v238 offset:1744
	v_mul_f64 v[50:51], v[218:219], v[56:57]
	v_fma_f64 v[6:7], v[216:217], v[66:67], -v[50:51]
	v_fma_f64 v[4:5], v[224:225], v[64:65], -v[24:25]
	ds_read_b128 v[66:69], v238 offset:1840
	v_mul_f64 v[24:25], v[108:109], v[74:75]
	v_fma_f64 v[0:1], v[106:107], v[76:77], -v[24:25]
	ds_read_b128 v[74:77], v238 offset:1872
	ds_read_b128 v[78:81], v238 offset:1888
	;; [unrolled: 1-line block ×4, first 2 shown]
	v_accvgpr_write_b32 a223, v137
	v_accvgpr_write_b32 a222, v136
	s_waitcnt vmcnt(58) lgkmcnt(7)
	v_mul_f64 v[46:47], v[34:35], v[150:151]
	s_waitcnt vmcnt(56)
	v_fmac_f64_e32 v[46:47], v[36:37], v[134:135]
	v_add_f64 v[8:9], v[8:9], v[46:47]
	s_waitcnt vmcnt(54) lgkmcnt(6)
	v_mul_f64 v[46:47], v[38:39], v[154:155]
	s_waitcnt vmcnt(52)
	v_fmac_f64_e32 v[46:47], v[40:41], v[156:157]
	v_add_f64 v[8:9], v[8:9], v[46:47]
	v_mul_f64 v[46:47], v[214:215], v[52:53]
	v_fma_f64 v[10:11], v[212:213], v[54:55], -v[46:47]
	ds_read_b128 v[46:49], v238 offset:1760
	ds_read_b128 v[50:53], v238 offset:1776
	s_waitcnt vmcnt(49) lgkmcnt(7)
	v_mul_f64 v[54:55], v[242:243], v[158:159]
	s_waitcnt vmcnt(48)
	v_fmac_f64_e32 v[54:55], v[244:245], v[160:161]
	v_add_f64 v[8:9], v[8:9], v[54:55]
	ds_read_b128 v[54:57], v238 offset:1792
	s_waitcnt vmcnt(45) lgkmcnt(2)
	v_mul_f64 v[22:23], v[46:47], v[164:165]
	s_waitcnt vmcnt(43)
	v_fmac_f64_e32 v[22:23], v[48:49], v[170:171]
	v_add_f64 v[8:9], v[8:9], v[22:23]
	s_waitcnt vmcnt(42) lgkmcnt(1)
	v_mul_f64 v[22:23], v[50:51], v[42:43]
	s_waitcnt vmcnt(40)
	v_fmac_f64_e32 v[22:23], v[52:53], v[168:169]
	v_add_f64 v[8:9], v[8:9], v[22:23]
	v_mul_f64 v[22:23], v[222:223], v[58:59]
	v_fma_f64 v[114:115], v[220:221], v[60:61], -v[22:23]
	ds_read_b128 v[58:61], v238 offset:1808
	s_waitcnt vmcnt(37) lgkmcnt(1)
	v_mul_f64 v[22:23], v[54:55], v[172:173]
	s_waitcnt vmcnt(35)
	v_fmac_f64_e32 v[22:23], v[56:57], v[174:175]
	v_add_f64 v[8:9], v[8:9], v[22:23]
	s_waitcnt vmcnt(33) lgkmcnt(0)
	v_mul_f64 v[22:23], v[58:59], v[166:167]
	s_waitcnt vmcnt(32)
	v_fmac_f64_e32 v[22:23], v[60:61], v[176:177]
	v_add_f64 v[8:9], v[8:9], v[22:23]
	s_waitcnt vmcnt(30)
	v_mul_f64 v[22:23], v[62:63], v[178:179]
	s_waitcnt vmcnt(28)
	v_fmac_f64_e32 v[22:23], v[64:65], v[180:181]
	v_add_f64 v[8:9], v[8:9], v[22:23]
	v_mul_f64 v[22:23], v[104:105], v[70:71]
	v_fma_f64 v[2:3], v[102:103], v[72:73], -v[22:23]
	ds_read_b128 v[70:73], v238 offset:1856
	s_waitcnt vmcnt(25)
	v_mul_f64 v[22:23], v[66:67], v[184:185]
	s_waitcnt vmcnt(24)
	v_fmac_f64_e32 v[22:23], v[68:69], v[186:187]
	v_add_f64 v[8:9], v[8:9], v[22:23]
	s_waitcnt vmcnt(21) lgkmcnt(0)
	v_mul_f64 v[22:23], v[70:71], v[188:189]
	s_waitcnt vmcnt(19)
	v_fmac_f64_e32 v[22:23], v[72:73], v[194:195]
	v_add_f64 v[8:9], v[8:9], v[22:23]
	s_waitcnt vmcnt(18)
	v_mul_f64 v[22:23], v[74:75], v[182:183]
	s_waitcnt vmcnt(16)
	v_fmac_f64_e32 v[22:23], v[76:77], v[192:193]
	v_add_f64 v[22:23], v[8:9], v[22:23]
	v_mul_f64 v[8:9], v[230:231], v[82:83]
	v_fma_f64 v[32:33], v[228:229], v[84:85], -v[8:9]
	v_mul_f64 v[8:9], v[112:113], v[86:87]
	ds_read_b128 v[82:85], v238 offset:1904
	v_fma_f64 v[8:9], v[110:111], v[88:89], -v[8:9]
	ds_read_b128 v[86:89], v238 offset:1920
	buffer_load_dword v213, off, s[0:3], 0 offset:956
	buffer_load_dword v212, off, s[0:3], 0 offset:952
	buffer_load_dword v215, off, s[0:3], 0 offset:948
	buffer_load_dword v214, off, s[0:3], 0 offset:944
	ds_read_b128 v[94:97], v238 offset:1952
	buffer_load_dword v216, off, s[0:3], 0 offset:968
	buffer_load_dword v217, off, s[0:3], 0 offset:972
	buffer_load_dword v218, off, s[0:3], 0 offset:960
	buffer_load_dword v219, off, s[0:3], 0 offset:964
	ds_read_b128 v[98:101], v238 offset:1968
	buffer_load_dword v221, off, s[0:3], 0 offset:988
	buffer_load_dword v220, off, s[0:3], 0 offset:984
	buffer_load_dword v223, off, s[0:3], 0 offset:980
	buffer_load_dword v222, off, s[0:3], 0 offset:976
	ds_read_b128 v[102:105], v238 offset:1984
	buffer_load_dword v224, off, s[0:3], 0 offset:1000
	buffer_load_dword v225, off, s[0:3], 0 offset:1004
	buffer_load_dword v226, off, s[0:3], 0 offset:992
	buffer_load_dword v227, off, s[0:3], 0 offset:996
	ds_read_b128 v[106:109], v238 offset:2000
	buffer_load_dword v229, off, s[0:3], 0 offset:1020
	buffer_load_dword v228, off, s[0:3], 0 offset:1016
	buffer_load_dword v231, off, s[0:3], 0 offset:1012
	buffer_load_dword v230, off, s[0:3], 0 offset:1008
	ds_read_b128 v[110:113], v238 offset:2016
	buffer_load_dword v234, off, s[0:3], 0 offset:1032
	buffer_load_dword v235, off, s[0:3], 0 offset:1036
	buffer_load_dword v236, off, s[0:3], 0 offset:1024
	buffer_load_dword v237, off, s[0:3], 0 offset:1028
	s_waitcnt vmcnt(38)
	v_mul_f64 v[24:25], v[78:79], v[196:197]
	s_waitcnt vmcnt(36)
	v_fmac_f64_e32 v[24:25], v[80:81], v[198:199]
	v_add_f64 v[22:23], v[22:23], v[24:25]
	s_waitcnt vmcnt(33) lgkmcnt(6)
	v_mul_f64 v[24:25], v[82:83], v[200:201]
	s_waitcnt vmcnt(32)
	v_fmac_f64_e32 v[24:25], v[84:85], v[202:203]
	v_add_f64 v[22:23], v[22:23], v[24:25]
	s_waitcnt vmcnt(30) lgkmcnt(5)
	v_mul_f64 v[24:25], v[86:87], v[204:205]
	s_waitcnt vmcnt(28)
	v_fmac_f64_e32 v[24:25], v[88:89], v[206:207]
	v_add_f64 v[22:23], v[22:23], v[24:25]
	s_waitcnt vmcnt(25)
	v_mul_f64 v[24:25], v[90:91], v[208:209]
	s_waitcnt vmcnt(24)
	v_fmac_f64_e32 v[24:25], v[92:93], v[210:211]
	v_add_f64 v[22:23], v[22:23], v[24:25]
	v_accvgpr_write_b32 a231, v9
	v_accvgpr_write_b32 a230, v8
	s_waitcnt vmcnt(22) lgkmcnt(4)
	v_mul_f64 v[24:25], v[94:95], v[212:213]
	s_waitcnt vmcnt(20)
	v_fmac_f64_e32 v[24:25], v[96:97], v[214:215]
	v_add_f64 v[22:23], v[22:23], v[24:25]
	s_waitcnt vmcnt(18) lgkmcnt(3)
	v_mul_f64 v[24:25], v[98:99], v[216:217]
	s_waitcnt vmcnt(16)
	v_fmac_f64_e32 v[24:25], v[100:101], v[218:219]
	v_add_f64 v[22:23], v[22:23], v[24:25]
	;; [unrolled: 5-line block ×5, first 2 shown]
	ds_read_b128 v[22:25], v238 offset:2032
	s_waitcnt vmcnt(2) lgkmcnt(0)
	v_mul_f64 v[8:9], v[22:23], v[234:235]
	s_waitcnt vmcnt(0)
	v_fmac_f64_e32 v[8:9], v[24:25], v[236:237]
	v_add_f64 v[136:137], v[136:137], v[8:9]
	v_add_f64 v[8:9], v[190:191], 0
	;; [unrolled: 1-line block ×21, first 2 shown]
	buffer_load_dword v248, off, s[0:3], 0 offset:112
	buffer_load_dword v249, off, s[0:3], 0 offset:116
	v_add_f64 v[8:9], v[8:9], v[10:11]
	buffer_load_dword v246, off, s[0:3], 0 offset:120
	buffer_load_dword v247, off, s[0:3], 0 offset:124
	v_add_f64 v[6:7], v[8:9], v[6:7]
	v_add_f64 v[6:7], v[6:7], v[114:115]
	v_add_f64 v[4:5], v[6:7], v[4:5]
	v_add_f64 v[2:3], v[4:5], v[2:3]
	v_add_f64 v[0:1], v[2:3], v[0:1]
	v_accvgpr_read_b32 v4, a194
	v_accvgpr_read_b32 v2, a198
	;; [unrolled: 1-line block ×5, first 2 shown]
	v_add_f64 v[252:253], v[0:1], v[32:33]
	v_accvgpr_read_b32 v0, a230
	v_mul_f64 v[2:3], v[6:7], v[2:3]
	v_accvgpr_read_b32 v6, a200
	v_accvgpr_read_b32 v1, a231
	;; [unrolled: 1-line block ×4, first 2 shown]
	v_add_f64 v[0:1], v[252:253], v[0:1]
	v_fma_f64 v[2:3], v[4:5], v[6:7], -v[2:3]
	v_add_f64 v[0:1], v[0:1], v[2:3]
	v_accvgpr_read_b32 v4, a202
	v_accvgpr_read_b32 v2, a206
	;; [unrolled: 1-line block ×5, first 2 shown]
	v_mul_f64 v[2:3], v[6:7], v[2:3]
	v_accvgpr_read_b32 v6, a208
	v_accvgpr_read_b32 v5, a203
	;; [unrolled: 1-line block ×3, first 2 shown]
	v_fma_f64 v[2:3], v[4:5], v[6:7], -v[2:3]
	v_accvgpr_read_b32 v4, a214
	v_add_f64 v[0:1], v[0:1], v[2:3]
	v_mul_f64 v[2:3], v[144:145], v[146:147]
	v_accvgpr_read_b32 v5, a215
	v_fma_f64 v[2:3], v[142:143], v[4:5], -v[2:3]
	v_add_f64 v[0:1], v[0:1], v[2:3]
	v_accvgpr_read_b32 v4, a210
	v_accvgpr_read_b32 v2, a216
	;; [unrolled: 1-line block ×5, first 2 shown]
	v_mul_f64 v[2:3], v[6:7], v[2:3]
	v_accvgpr_read_b32 v6, a218
	v_accvgpr_read_b32 v5, a211
	;; [unrolled: 1-line block ×3, first 2 shown]
	v_fma_f64 v[2:3], v[4:5], v[6:7], -v[2:3]
	v_add_f64 v[0:1], v[0:1], v[2:3]
	v_accvgpr_read_b32 v2, a220
	v_accvgpr_read_b32 v3, a221
	;; [unrolled: 1-line block ×3, first 2 shown]
	v_mul_f64 v[2:3], v[132:133], v[2:3]
	v_accvgpr_read_b32 v5, a223
	v_fma_f64 v[2:3], v[130:131], v[4:5], -v[2:3]
	v_add_f64 v[0:1], v[0:1], v[2:3]
	v_accvgpr_read_b32 v2, a224
	v_accvgpr_read_b32 v3, a225
	;; [unrolled: 1-line block ×3, first 2 shown]
	v_mul_f64 v[2:3], v[128:129], v[2:3]
	v_accvgpr_read_b32 v5, a227
	v_fma_f64 v[2:3], v[126:127], v[4:5], -v[2:3]
	v_add_f64 v[0:1], v[0:1], v[2:3]
	v_accvgpr_read_b32 v2, a228
	v_accvgpr_read_b32 v3, a229
	v_mul_f64 v[2:3], v[124:125], v[2:3]
	v_fma_f64 v[2:3], v[122:123], v[140:141], -v[2:3]
	v_add_f64 v[0:1], v[0:1], v[2:3]
	v_mul_f64 v[2:3], v[120:121], v[254:255]
	v_fma_f64 v[2:3], v[118:119], v[138:139], -v[2:3]
	v_add_f64 v[0:1], v[0:1], v[2:3]
	;; [unrolled: 3-line block ×23, first 2 shown]
	s_waitcnt vmcnt(2)
	v_add_f64 v[0:1], v[248:249], -v[0:1]
	s_waitcnt vmcnt(0)
	v_add_f64 v[2:3], v[246:247], -v[136:137]
	buffer_store_dword v1, off, s[0:3], 0 offset:116
	buffer_store_dword v0, off, s[0:3], 0 offset:112
	;; [unrolled: 1-line block ×4, first 2 shown]
	s_and_saveexec_b64 s[4:5], vcc
	s_cbranch_execz .LBB127_399
; %bb.398:
	v_accvgpr_read_b32 v3, a186
	buffer_load_dword v0, v3, s[0:3], 0 offen
	buffer_load_dword v1, v3, s[0:3], 0 offen offset:4
	buffer_load_dword v2, v3, s[0:3], 0 offen offset:8
	s_nop 0
	buffer_load_dword v3, v3, s[0:3], 0 offen offset:12
	v_accvgpr_read_b32 v4, a192
	buffer_store_dword v238, off, s[0:3], 0 offset:96
	buffer_store_dword v238, off, s[0:3], 0 offset:100
	;; [unrolled: 1-line block ×4, first 2 shown]
	s_waitcnt vmcnt(4)
	ds_write_b128 v4, v[0:3]
.LBB127_399:
	s_or_b64 exec, exec, s[4:5]
	s_waitcnt lgkmcnt(0)
	; wave barrier
	s_waitcnt lgkmcnt(0)
	buffer_load_dword v6, off, s[0:3], 0 offset:112
	buffer_load_dword v7, off, s[0:3], 0 offset:116
	buffer_load_dword v10, off, s[0:3], 0 offset:120
	buffer_load_dword v11, off, s[0:3], 0 offset:124
	buffer_load_dword v4, off, s[0:3], 0 offset:128
	buffer_load_dword v5, off, s[0:3], 0 offset:132
	buffer_load_dword v8, off, s[0:3], 0 offset:136
	buffer_load_dword v9, off, s[0:3], 0 offset:140
	buffer_load_dword v2, off, s[0:3], 0 offset:152
	buffer_load_dword v3, off, s[0:3], 0 offset:156
	buffer_load_dword v141, off, s[0:3], 0 offset:188
	buffer_load_dword v140, off, s[0:3], 0 offset:184
	buffer_load_dword v15, off, s[0:3], 0 offset:180
	buffer_load_dword v14, off, s[0:3], 0 offset:176
	buffer_load_dword v143, off, s[0:3], 0 offset:172
	buffer_load_dword v142, off, s[0:3], 0 offset:168
	buffer_load_dword v19, off, s[0:3], 0 offset:220
	buffer_load_dword v18, off, s[0:3], 0 offset:216
	buffer_load_dword v21, off, s[0:3], 0 offset:212
	buffer_load_dword v20, off, s[0:3], 0 offset:208
	buffer_load_dword v23, off, s[0:3], 0 offset:204
	buffer_load_dword v22, off, s[0:3], 0 offset:200
	buffer_load_dword v27, off, s[0:3], 0 offset:252
	buffer_load_dword v26, off, s[0:3], 0 offset:248
	buffer_load_dword v28, off, s[0:3], 0 offset:240
	buffer_load_dword v25, off, s[0:3], 0 offset:236
	buffer_load_dword v24, off, s[0:3], 0 offset:232
	buffer_load_dword v35, off, s[0:3], 0 offset:268
	buffer_load_dword v34, off, s[0:3], 0 offset:264
	buffer_load_dword v46, off, s[0:3], 0 offset:144
	buffer_load_dword v47, off, s[0:3], 0 offset:148
	buffer_load_dword v45, off, s[0:3], 0 offset:164
	buffer_load_dword v44, off, s[0:3], 0 offset:160
	buffer_load_dword v43, off, s[0:3], 0 offset:196
	buffer_load_dword v42, off, s[0:3], 0 offset:192
	buffer_load_dword v37, off, s[0:3], 0 offset:228
	buffer_load_dword v36, off, s[0:3], 0 offset:224
	buffer_load_dword v29, off, s[0:3], 0 offset:244
	buffer_load_dword v48, off, s[0:3], 0 offset:280
	buffer_load_dword v50, off, s[0:3], 0 offset:272
	buffer_load_dword v51, off, s[0:3], 0 offset:276
	buffer_load_dword v49, off, s[0:3], 0 offset:284
	ds_read_b128 v[102:105], v238 offset:1120
	ds_read_b128 v[106:109], v238 offset:1136
	;; [unrolled: 1-line block ×10, first 2 shown]
	buffer_load_dword v97, off, s[0:3], 0 offset:260
	buffer_load_dword v96, off, s[0:3], 0 offset:256
	ds_read_b128 v[38:41], v238 offset:1280
	buffer_load_dword v85, off, s[0:3], 0 offset:316
	buffer_load_dword v84, off, s[0:3], 0 offset:312
	;; [unrolled: 1-line block ×6, first 2 shown]
	s_waitcnt vmcnt(46) lgkmcnt(10)
	v_mul_f64 v[0:1], v[102:103], v[10:11]
	v_fmac_f64_e32 v[0:1], v[104:105], v[6:7]
	v_add_f64 v[0:1], v[0:1], 0
	v_mul_f64 v[10:11], v[104:105], v[10:11]
	s_waitcnt vmcnt(42) lgkmcnt(9)
	v_mul_f64 v[52:53], v[106:107], v[8:9]
	v_fmac_f64_e32 v[52:53], v[108:109], v[4:5]
	s_waitcnt vmcnt(40) lgkmcnt(8)
	v_mul_f64 v[54:55], v[110:111], v[2:3]
	v_add_f64 v[0:1], v[0:1], v[52:53]
	s_waitcnt vmcnt(38) lgkmcnt(6)
	v_mul_f64 v[58:59], v[146:147], v[140:141]
	v_fma_f64 v[144:145], v[102:103], v[6:7], -v[10:11]
	s_waitcnt vmcnt(36)
	v_fmac_f64_e32 v[58:59], v[148:149], v[14:15]
	v_mul_f64 v[8:9], v[108:109], v[8:9]
	s_waitcnt vmcnt(34)
	v_mul_f64 v[56:57], v[114:115], v[142:143]
	v_fma_f64 v[240:241], v[106:107], v[4:5], -v[8:9]
	s_waitcnt vmcnt(32) lgkmcnt(4)
	v_mul_f64 v[62:63], v[154:155], v[18:19]
	v_mul_f64 v[2:3], v[112:113], v[2:3]
	s_waitcnt vmcnt(30)
	v_fmac_f64_e32 v[62:63], v[156:157], v[20:21]
	v_mul_f64 v[8:9], v[148:149], v[140:141]
	s_waitcnt vmcnt(28)
	v_mul_f64 v[60:61], v[150:151], v[22:23]
	v_fma_f64 v[244:245], v[146:147], v[14:15], -v[8:9]
	s_waitcnt vmcnt(26) lgkmcnt(2)
	v_mul_f64 v[66:67], v[162:163], v[26:27]
	v_mul_f64 v[10:11], v[152:153], v[22:23]
	v_mul_f64 v[14:15], v[156:157], v[18:19]
	s_waitcnt vmcnt(23)
	v_mul_f64 v[64:65], v[158:159], v[24:25]
	v_fma_f64 v[148:149], v[154:155], v[20:21], -v[14:15]
	s_waitcnt vmcnt(21) lgkmcnt(1)
	v_mul_f64 v[126:127], v[30:31], v[34:35]
	s_waitcnt vmcnt(19)
	v_fmac_f64_e32 v[54:55], v[112:113], v[46:47]
	v_add_f64 v[0:1], v[0:1], v[54:55]
	s_waitcnt vmcnt(17)
	v_fmac_f64_e32 v[56:57], v[116:117], v[44:45]
	v_add_f64 v[0:1], v[0:1], v[56:57]
	;; [unrolled: 3-line block ×3, first 2 shown]
	v_add_f64 v[0:1], v[0:1], v[60:61]
	s_waitcnt vmcnt(13)
	v_fmac_f64_e32 v[64:65], v[160:161], v[36:37]
	v_add_f64 v[0:1], v[0:1], v[62:63]
	s_waitcnt vmcnt(12)
	v_fmac_f64_e32 v[66:67], v[164:165], v[28:29]
	v_add_f64 v[0:1], v[0:1], v[64:65]
	v_add_f64 v[128:129], v[0:1], v[66:67]
	buffer_load_dword v205, off, s[0:3], 0 offset:292
	buffer_load_dword v204, off, s[0:3], 0 offset:288
	;; [unrolled: 1-line block ×68, first 2 shown]
	s_waitcnt vmcnt(62)
	v_fmac_f64_e32 v[126:127], v[32:33], v[96:97]
	v_add_f64 v[126:127], v[128:129], v[126:127]
	s_waitcnt lgkmcnt(0)
	v_mul_f64 v[128:129], v[38:39], v[48:49]
	v_fmac_f64_e32 v[128:129], v[40:41], v[50:51]
	v_add_f64 v[126:127], v[126:127], v[128:129]
	v_mul_f64 v[32:33], v[32:33], v[34:35]
	v_fma_f64 v[22:23], v[30:31], v[96:97], -v[32:33]
	s_waitcnt vmcnt(0)
	v_pk_mov_b32 v[120:121], v[118:119], v[118:119] op_sel:[0,1]
	buffer_load_dword v119, off, s[0:3], 0 offset:596
	buffer_load_dword v118, off, s[0:3], 0 offset:592
	v_accvgpr_write_b32 a207, v121
	v_accvgpr_write_b32 a206, v120
	s_waitcnt vmcnt(0)
	v_pk_mov_b32 v[122:123], v[118:119], v[118:119] op_sel:[0,1]
	buffer_load_dword v119, off, s[0:3], 0 offset:588
	buffer_load_dword v118, off, s[0:3], 0 offset:584
	v_accvgpr_write_b32 a209, v123
	v_accvgpr_write_b32 a208, v122
	s_waitcnt vmcnt(0)
	v_pk_mov_b32 v[124:125], v[118:119], v[118:119] op_sel:[0,1]
	buffer_load_dword v119, off, s[0:3], 0 offset:580
	buffer_load_dword v118, off, s[0:3], 0 offset:576
	ds_read_b128 v[166:169], v238 offset:1296
	ds_read_b128 v[170:173], v238 offset:1312
	;; [unrolled: 1-line block ×6, first 2 shown]
	s_waitcnt lgkmcnt(5)
	v_mul_f64 v[128:129], v[166:167], v[94:95]
	v_fmac_f64_e32 v[128:129], v[168:169], v[204:205]
	v_add_f64 v[126:127], v[126:127], v[128:129]
	s_waitcnt lgkmcnt(4)
	v_mul_f64 v[128:129], v[170:171], v[84:85]
	v_fmac_f64_e32 v[128:129], v[172:173], v[90:91]
	v_add_f64 v[126:127], v[126:127], v[128:129]
	;; [unrolled: 4-line block ×3, first 2 shown]
	s_waitcnt lgkmcnt(2)
	v_mul_f64 v[128:129], v[178:179], v[206:207]
	v_fmac_f64_e32 v[128:129], v[180:181], v[228:229]
	ds_read_b128 v[192:195], v238 offset:1392
	ds_read_b128 v[196:199], v238 offset:1408
	v_add_f64 v[126:127], v[126:127], v[128:129]
	s_waitcnt lgkmcnt(3)
	v_mul_f64 v[128:129], v[182:183], v[246:247]
	v_fmac_f64_e32 v[128:129], v[184:185], v[248:249]
	v_add_f64 v[126:127], v[126:127], v[128:129]
	s_waitcnt lgkmcnt(2)
	v_mul_f64 v[128:129], v[186:187], v[234:235]
	v_fmac_f64_e32 v[128:129], v[188:189], v[236:237]
	ds_read_b128 v[200:203], v238 offset:1424
	ds_read_b128 v[208:211], v238 offset:1440
	v_add_f64 v[126:127], v[126:127], v[128:129]
	s_waitcnt lgkmcnt(3)
	v_mul_f64 v[128:129], v[192:193], v[250:251]
	v_fmac_f64_e32 v[128:129], v[194:195], v[252:253]
	v_add_f64 v[126:127], v[126:127], v[128:129]
	s_waitcnt lgkmcnt(2)
	v_mul_f64 v[128:129], v[196:197], v[0:1]
	v_fmac_f64_e32 v[128:129], v[198:199], v[92:93]
	v_add_f64 v[126:127], v[126:127], v[128:129]
	s_waitcnt lgkmcnt(1)
	v_mul_f64 v[128:129], v[200:201], v[98:99]
	v_fmac_f64_e32 v[128:129], v[202:203], v[100:101]
	v_add_f64 v[134:135], v[126:127], v[128:129]
	ds_read_b128 v[212:215], v238 offset:1456
	buffer_load_dword v126, off, s[0:3], 0 offset:632
	buffer_load_dword v129, off, s[0:3], 0 offset:620
	;; [unrolled: 1-line block ×3, first 2 shown]
	s_waitcnt lgkmcnt(1)
	v_mul_f64 v[136:137], v[208:209], v[60:61]
	v_fmac_f64_e32 v[136:137], v[210:211], v[70:71]
	v_add_f64 v[190:191], v[134:135], v[136:137]
	s_waitcnt lgkmcnt(0)
	v_mul_f64 v[220:221], v[212:213], v[72:73]
	v_fmac_f64_e32 v[220:221], v[214:215], v[82:83]
	v_add_f64 v[190:191], v[190:191], v[220:221]
	v_accvgpr_write_b32 a199, v125
	v_accvgpr_write_b32 a198, v124
	v_mul_f64 v[0:1], v[198:199], v[0:1]
	s_waitcnt vmcnt(3)
	v_accvgpr_write_b32 a201, v119
	v_accvgpr_write_b32 a200, v118
	s_waitcnt vmcnt(0)
	v_pk_mov_b32 v[130:131], v[128:129], v[128:129] op_sel:[0,1]
	buffer_load_dword v129, off, s[0:3], 0 offset:612
	buffer_load_dword v128, off, s[0:3], 0 offset:608
	v_accvgpr_write_b32 a219, v131
	v_accvgpr_write_b32 a218, v130
	s_waitcnt vmcnt(0)
	v_pk_mov_b32 v[138:139], v[128:129], v[128:129] op_sel:[0,1]
	buffer_load_dword v128, off, s[0:3], 0 offset:624
	buffer_load_dword v127, off, s[0:3], 0 offset:636
	;; [unrolled: 1-line block ×3, first 2 shown]
	ds_read_b128 v[216:219], v238 offset:1472
	v_accvgpr_write_b32 a223, v139
	v_accvgpr_write_b32 a222, v138
	s_waitcnt lgkmcnt(0)
	v_mul_f64 v[220:221], v[216:217], v[52:53]
	v_fmac_f64_e32 v[220:221], v[218:219], v[54:55]
	v_add_f64 v[190:191], v[190:191], v[220:221]
	s_waitcnt vmcnt(1)
	v_pk_mov_b32 v[132:133], v[126:127], v[126:127] op_sel:[0,1]
	buffer_load_dword v127, off, s[0:3], 0 offset:668
	buffer_load_dword v135, off, s[0:3], 0 offset:652
	;; [unrolled: 1-line block ×3, first 2 shown]
	s_waitcnt vmcnt(3)
	v_accvgpr_write_b32 a221, v129
	v_accvgpr_write_b32 a220, v128
	s_waitcnt vmcnt(0)
	v_pk_mov_b32 v[254:255], v[134:135], v[134:135] op_sel:[0,1]
	buffer_load_dword v135, off, s[0:3], 0 offset:644
	buffer_load_dword v134, off, s[0:3], 0 offset:640
	;; [unrolled: 1-line block ×3, first 2 shown]
	v_accvgpr_write_b32 a228, v254
	v_accvgpr_write_b32 a229, v255
	s_waitcnt vmcnt(0)
	v_pk_mov_b32 v[136:137], v[126:127], v[126:127] op_sel:[0,1]
	buffer_load_dword v17, off, s[0:3], 0 offset:660
	buffer_load_dword v16, off, s[0:3], 0 offset:656
	;; [unrolled: 1-line block ×6, first 2 shown]
	ds_read_b128 v[220:223], v238 offset:1488
	ds_read_b128 v[102:105], v238 offset:1504
	;; [unrolled: 1-line block ×4, first 2 shown]
	v_pk_mov_b32 v[146:147], v[136:137], v[136:137] op_sel:[0,1]
	s_waitcnt lgkmcnt(3)
	v_mul_f64 v[6:7], v[220:221], v[56:57]
	v_fmac_f64_e32 v[6:7], v[222:223], v[58:59]
	v_add_f64 v[4:5], v[190:191], v[6:7]
	s_waitcnt lgkmcnt(2)
	v_mul_f64 v[6:7], v[102:103], v[62:63]
	v_fmac_f64_e32 v[6:7], v[104:105], v[64:65]
	v_fma_f64 v[190:191], v[110:111], v[46:47], -v[2:3]
	ds_read_b128 v[110:113], v238 offset:1552
	v_add_f64 v[4:5], v[4:5], v[6:7]
	s_waitcnt lgkmcnt(2)
	v_mul_f64 v[6:7], v[106:107], v[66:67]
	v_fmac_f64_e32 v[6:7], v[108:109], v[68:69]
	s_waitcnt lgkmcnt(1)
	v_mul_f64 v[2:3], v[224:225], v[74:75]
	v_add_f64 v[4:5], v[4:5], v[6:7]
	v_fmac_f64_e32 v[2:3], v[226:227], v[76:77]
	v_add_f64 v[2:3], v[4:5], v[2:3]
	v_mul_f64 v[4:5], v[116:117], v[142:143]
	v_fma_f64 v[242:243], v[114:115], v[44:45], -v[4:5]
	ds_read_b128 v[114:117], v238 offset:1568
	s_waitcnt lgkmcnt(1)
	v_mul_f64 v[4:5], v[110:111], v[78:79]
	v_fmac_f64_e32 v[4:5], v[112:113], v[80:81]
	v_add_f64 v[6:7], v[2:3], v[4:5]
	ds_read_b128 v[2:5], v238 offset:1584
	s_waitcnt lgkmcnt(1)
	v_mul_f64 v[8:9], v[114:115], v[86:87]
	v_fmac_f64_e32 v[8:9], v[116:117], v[88:89]
	v_add_f64 v[6:7], v[6:7], v[8:9]
	buffer_load_dword v142, off, s[0:3], 0 offset:696
	buffer_load_dword v143, off, s[0:3], 0 offset:700
	s_waitcnt lgkmcnt(0)
	v_mul_f64 v[8:9], v[2:3], v[124:125]
	v_fmac_f64_e32 v[8:9], v[4:5], v[118:119]
	v_add_f64 v[44:45], v[6:7], v[8:9]
	ds_read_b128 v[6:9], v238 offset:1600
	v_accvgpr_write_b32 a197, v5
	v_fma_f64 v[118:119], v[150:151], v[42:43], -v[10:11]
	ds_read_b128 v[150:153], v238 offset:1616
	v_accvgpr_write_b32 a196, v4
	v_accvgpr_write_b32 a195, v3
	;; [unrolled: 1-line block ×3, first 2 shown]
	s_waitcnt lgkmcnt(1)
	v_mul_f64 v[4:5], v[6:7], v[120:121]
	v_accvgpr_write_b32 a205, v9
	v_fmac_f64_e32 v[4:5], v[8:9], v[122:123]
	v_accvgpr_write_b32 a204, v8
	v_accvgpr_write_b32 a203, v7
	;; [unrolled: 1-line block ×3, first 2 shown]
	ds_read_b128 v[6:9], v238 offset:1632
	s_waitcnt lgkmcnt(1)
	v_mul_f64 v[18:19], v[150:151], v[130:131]
	v_add_f64 v[4:5], v[44:45], v[4:5]
	v_fmac_f64_e32 v[18:19], v[152:153], v[138:139]
	v_add_f64 v[4:5], v[4:5], v[18:19]
	s_waitcnt lgkmcnt(0)
	v_mul_f64 v[18:19], v[6:7], v[132:133]
	v_fmac_f64_e32 v[18:19], v[8:9], v[128:129]
	v_add_f64 v[42:43], v[4:5], v[18:19]
	ds_read_b128 v[18:21], v238 offset:1648
	buffer_load_dword v124, off, s[0:3], 0 offset:688
	buffer_load_dword v125, off, s[0:3], 0 offset:692
	ds_read_b128 v[138:141], v238 offset:1664
	ds_read_b128 v[128:131], v238 offset:1680
	v_mul_f64 v[4:5], v[160:161], v[24:25]
	v_fma_f64 v[46:47], v[158:159], v[36:37], -v[4:5]
	s_waitcnt lgkmcnt(2)
	v_mul_f64 v[36:37], v[18:19], v[254:255]
	v_fmac_f64_e32 v[36:37], v[20:21], v[134:135]
	v_add_f64 v[36:37], v[42:43], v[36:37]
	s_waitcnt lgkmcnt(1)
	v_mul_f64 v[42:43], v[138:139], v[136:137]
	v_accvgpr_write_b32 a213, v153
	v_accvgpr_write_b32 a212, v152
	v_accvgpr_write_b32 a211, v151
	v_accvgpr_write_b32 a210, v150
	v_accvgpr_write_b32 a217, v9
	v_accvgpr_write_b32 a216, v8
	v_accvgpr_write_b32 a215, v7
	v_accvgpr_write_b32 a214, v6
	v_mul_f64 v[8:9], v[164:165], v[26:27]
	v_fma_f64 v[44:45], v[162:163], v[28:29], -v[8:9]
	v_accvgpr_write_b32 a227, v21
	s_waitcnt vmcnt(8)
	v_fmac_f64_e32 v[42:43], v[140:141], v[16:17]
	v_add_f64 v[36:37], v[36:37], v[42:43]
	s_waitcnt vmcnt(6) lgkmcnt(0)
	v_mul_f64 v[42:43], v[128:129], v[12:13]
	v_accvgpr_write_b32 a231, v13
	s_waitcnt vmcnt(4)
	v_fmac_f64_e32 v[42:43], v[130:131], v[126:127]
	v_add_f64 v[42:43], v[36:37], v[42:43]
	ds_read_b128 v[34:37], v238 offset:1696
	ds_read_b128 v[120:123], v238 offset:1712
	buffer_load_dword v150, off, s[0:3], 0 offset:728
	buffer_load_dword v155, off, s[0:3], 0 offset:716
	;; [unrolled: 1-line block ×10, first 2 shown]
	v_accvgpr_write_b32 a233, v17
	v_accvgpr_write_b32 a230, v12
	v_mul_f64 v[12:13], v[40:41], v[48:49]
	v_accvgpr_write_b32 a232, v16
	v_fma_f64 v[16:17], v[38:39], v[50:51], -v[12:13]
	v_mul_f64 v[38:39], v[168:169], v[94:95]
	v_fma_f64 v[204:205], v[166:167], v[204:205], -v[38:39]
	buffer_load_dword v167, off, s[0:3], 0 offset:748
	buffer_load_dword v166, off, s[0:3], 0 offset:744
	;; [unrolled: 1-line block ×7, first 2 shown]
	v_mul_f64 v[38:39], v[172:173], v[84:85]
	v_fma_f64 v[14:15], v[170:171], v[90:91], -v[38:39]
	buffer_load_dword v162, off, s[0:3], 0 offset:784
	buffer_load_dword v171, off, s[0:3], 0 offset:780
	;; [unrolled: 1-line block ×7, first 2 shown]
	v_mul_f64 v[38:39], v[176:177], v[230:231]
	v_fma_f64 v[12:13], v[174:175], v[232:233], -v[38:39]
	buffer_load_dword v175, off, s[0:3], 0 offset:812
	buffer_load_dword v174, off, s[0:3], 0 offset:808
	;; [unrolled: 1-line block ×4, first 2 shown]
	v_mul_f64 v[38:39], v[180:181], v[206:207]
	v_mul_f64 v[40:41], v[184:185], v[246:247]
	buffer_load_dword v180, off, s[0:3], 0 offset:824
	v_fma_f64 v[248:249], v[182:183], v[248:249], -v[40:41]
	buffer_load_dword v182, off, s[0:3], 0 offset:816
	buffer_load_dword v181, off, s[0:3], 0 offset:828
	;; [unrolled: 1-line block ×3, first 2 shown]
	v_mul_f64 v[40:41], v[188:189], v[234:235]
	v_fma_f64 v[8:9], v[186:187], v[236:237], -v[40:41]
	v_mul_f64 v[40:41], v[194:195], v[250:251]
	v_fma_f64 v[10:11], v[178:179], v[228:229], -v[38:39]
	v_fma_f64 v[252:253], v[192:193], v[252:253], -v[40:41]
	buffer_load_dword v179, off, s[0:3], 0 offset:860
	buffer_load_dword v185, off, s[0:3], 0 offset:844
	;; [unrolled: 1-line block ×12, first 2 shown]
	v_accvgpr_write_b32 a226, v20
	v_accvgpr_write_b32 a225, v19
	;; [unrolled: 1-line block ×3, first 2 shown]
	v_mul_f64 v[18:19], v[202:203], v[98:99]
	v_fma_f64 v[6:7], v[196:197], v[92:93], -v[0:1]
	v_fma_f64 v[20:21], v[200:201], v[100:101], -v[18:19]
	buffer_load_dword v198, off, s[0:3], 0 offset:888
	buffer_load_dword v200, off, s[0:3], 0 offset:880
	;; [unrolled: 1-line block ×12, first 2 shown]
	s_waitcnt vmcnt(58) lgkmcnt(1)
	v_mul_f64 v[38:39], v[34:35], v[142:143]
	v_mul_f64 v[26:27], v[214:215], v[72:73]
	v_fma_f64 v[28:29], v[212:213], v[82:83], -v[26:27]
	v_mul_f64 v[50:51], v[218:219], v[52:53]
	v_fma_f64 v[136:137], v[216:217], v[54:55], -v[50:51]
	;; [unrolled: 2-line block ×6, first 2 shown]
	s_waitcnt vmcnt(56)
	v_fmac_f64_e32 v[38:39], v[36:37], v[124:125]
	v_add_f64 v[42:43], v[42:43], v[38:39]
	v_mul_f64 v[38:39], v[210:211], v[60:61]
	v_fma_f64 v[4:5], v[208:209], v[70:71], -v[38:39]
	buffer_load_dword v209, off, s[0:3], 0 offset:940
	buffer_load_dword v208, off, s[0:3], 0 offset:936
	;; [unrolled: 1-line block ×4, first 2 shown]
	ds_read_b128 v[38:41], v238 offset:1728
	ds_read_b128 v[30:33], v238 offset:1744
	;; [unrolled: 1-line block ×7, first 2 shown]
	s_waitcnt vmcnt(57) lgkmcnt(7)
	v_mul_f64 v[24:25], v[120:121], v[154:155]
	s_waitcnt vmcnt(53) lgkmcnt(6)
	v_mul_f64 v[26:27], v[38:39], v[150:151]
	v_fmac_f64_e32 v[24:25], v[122:123], v[156:157]
	v_add_f64 v[24:25], v[42:43], v[24:25]
	s_waitcnt vmcnt(52)
	v_fmac_f64_e32 v[26:27], v[40:41], v[158:159]
	v_add_f64 v[48:49], v[24:25], v[26:27]
	ds_read_b128 v[24:27], v238 offset:1760
	s_waitcnt vmcnt(48) lgkmcnt(6)
	v_mul_f64 v[54:55], v[30:31], v[166:167]
	s_waitcnt vmcnt(46)
	v_fmac_f64_e32 v[54:55], v[32:33], v[168:169]
	v_add_f64 v[48:49], v[48:49], v[54:55]
	v_mul_f64 v[54:55], v[222:223], v[56:57]
	v_fma_f64 v[232:233], v[220:221], v[58:59], -v[54:55]
	ds_read_b128 v[54:57], v238 offset:1792
	s_waitcnt lgkmcnt(1)
	v_mul_f64 v[60:61], v[24:25], v[152:153]
	s_waitcnt vmcnt(44)
	v_fmac_f64_e32 v[60:61], v[26:27], v[164:165]
	s_waitcnt vmcnt(40)
	v_mul_f64 v[58:59], v[50:51], v[170:171]
	v_add_f64 v[48:49], v[48:49], v[60:61]
	s_waitcnt vmcnt(38)
	v_fmac_f64_e32 v[58:59], v[52:53], v[172:173]
	v_add_f64 v[48:49], v[48:49], v[58:59]
	s_waitcnt vmcnt(37) lgkmcnt(0)
	v_mul_f64 v[58:59], v[54:55], v[160:161]
	s_waitcnt vmcnt(36)
	v_fmac_f64_e32 v[58:59], v[56:57], v[162:163]
	v_add_f64 v[48:49], v[48:49], v[58:59]
	ds_read_b128 v[58:61], v238 offset:1808
	s_waitcnt vmcnt(29)
	v_mul_f64 v[70:71], v[62:63], v[180:181]
	s_waitcnt vmcnt(28)
	v_fmac_f64_e32 v[70:71], v[64:65], v[182:183]
	s_waitcnt vmcnt(18)
	v_mul_f64 v[90:91], v[74:75], v[186:187]
	s_waitcnt lgkmcnt(0)
	v_mul_f64 v[42:43], v[58:59], v[174:175]
	v_fmac_f64_e32 v[42:43], v[60:61], v[176:177]
	v_add_f64 v[42:43], v[48:49], v[42:43]
	v_mul_f64 v[48:49], v[108:109], v[66:67]
	v_fma_f64 v[48:49], v[106:107], v[68:69], -v[48:49]
	ds_read_b128 v[66:69], v238 offset:1840
	v_add_f64 v[42:43], v[42:43], v[70:71]
	ds_read_b128 v[70:73], v238 offset:1856
	s_waitcnt vmcnt(16)
	v_fmac_f64_e32 v[90:91], v[76:77], v[194:195]
	s_waitcnt lgkmcnt(1)
	v_mul_f64 v[82:83], v[66:67], v[184:185]
	v_fmac_f64_e32 v[82:83], v[68:69], v[192:193]
	v_add_f64 v[42:43], v[42:43], v[82:83]
	s_waitcnt lgkmcnt(0)
	v_mul_f64 v[82:83], v[70:71], v[178:179]
	v_fmac_f64_e32 v[82:83], v[72:73], v[188:189]
	v_add_f64 v[42:43], v[42:43], v[82:83]
	ds_read_b128 v[82:85], v238 offset:1888
	v_add_f64 v[42:43], v[42:43], v[90:91]
	s_waitcnt vmcnt(13) lgkmcnt(0)
	v_mul_f64 v[90:91], v[82:83], v[198:199]
	s_waitcnt vmcnt(12)
	v_fmac_f64_e32 v[90:91], v[84:85], v[200:201]
	v_add_f64 v[42:43], v[42:43], v[90:91]
	s_waitcnt vmcnt(9)
	v_mul_f64 v[90:91], v[78:79], v[18:19]
	s_waitcnt vmcnt(7)
	v_fmac_f64_e32 v[90:91], v[80:81], v[206:207]
	v_add_f64 v[42:43], v[42:43], v[90:91]
	s_waitcnt vmcnt(5)
	v_mul_f64 v[90:91], v[86:87], v[196:197]
	s_waitcnt vmcnt(4)
	v_fmac_f64_e32 v[90:91], v[88:89], v[202:203]
	v_add_f64 v[42:43], v[42:43], v[90:91]
	ds_read_b128 v[90:93], v238 offset:1936
	buffer_load_dword v212, off, s[0:3], 0 offset:952
	buffer_load_dword v213, off, s[0:3], 0 offset:956
	buffer_load_dword v214, off, s[0:3], 0 offset:944
	buffer_load_dword v215, off, s[0:3], 0 offset:948
	s_waitcnt vmcnt(6) lgkmcnt(0)
	v_mul_f64 v[94:95], v[90:91], v[208:209]
	s_waitcnt vmcnt(4)
	v_fmac_f64_e32 v[94:95], v[92:93], v[210:211]
	v_add_f64 v[42:43], v[42:43], v[94:95]
	ds_read_b128 v[94:97], v238 offset:1952
	buffer_load_dword v217, off, s[0:3], 0 offset:972
	buffer_load_dword v216, off, s[0:3], 0 offset:968
	buffer_load_dword v219, off, s[0:3], 0 offset:964
	buffer_load_dword v218, off, s[0:3], 0 offset:960
	s_waitcnt vmcnt(6) lgkmcnt(0)
	v_mul_f64 v[98:99], v[94:95], v[212:213]
	s_waitcnt vmcnt(4)
	v_fmac_f64_e32 v[98:99], v[96:97], v[214:215]
	v_add_f64 v[42:43], v[42:43], v[98:99]
	ds_read_b128 v[98:101], v238 offset:1968
	buffer_load_dword v220, off, s[0:3], 0 offset:984
	buffer_load_dword v221, off, s[0:3], 0 offset:988
	buffer_load_dword v222, off, s[0:3], 0 offset:976
	buffer_load_dword v223, off, s[0:3], 0 offset:980
	s_waitcnt vmcnt(6) lgkmcnt(0)
	v_mul_f64 v[102:103], v[98:99], v[216:217]
	s_waitcnt vmcnt(4)
	v_fmac_f64_e32 v[102:103], v[100:101], v[218:219]
	v_add_f64 v[42:43], v[42:43], v[102:103]
	ds_read_b128 v[102:105], v238 offset:1984
	buffer_load_dword v225, off, s[0:3], 0 offset:1004
	buffer_load_dword v224, off, s[0:3], 0 offset:1000
	buffer_load_dword v227, off, s[0:3], 0 offset:996
	buffer_load_dword v226, off, s[0:3], 0 offset:992
	s_waitcnt vmcnt(6) lgkmcnt(0)
	v_mul_f64 v[106:107], v[102:103], v[220:221]
	s_waitcnt vmcnt(4)
	v_fmac_f64_e32 v[106:107], v[104:105], v[222:223]
	v_add_f64 v[42:43], v[42:43], v[106:107]
	ds_read_b128 v[106:109], v238 offset:2000
	buffer_load_dword v228, off, s[0:3], 0 offset:1016
	buffer_load_dword v229, off, s[0:3], 0 offset:1020
	buffer_load_dword v230, off, s[0:3], 0 offset:1008
	buffer_load_dword v231, off, s[0:3], 0 offset:1012
	s_waitcnt vmcnt(6) lgkmcnt(0)
	v_mul_f64 v[110:111], v[106:107], v[224:225]
	s_waitcnt vmcnt(4)
	v_fmac_f64_e32 v[110:111], v[108:109], v[226:227]
	v_add_f64 v[42:43], v[42:43], v[110:111]
	ds_read_b128 v[110:113], v238 offset:2016
	buffer_load_dword v235, off, s[0:3], 0 offset:1036
	buffer_load_dword v234, off, s[0:3], 0 offset:1032
	buffer_load_dword v237, off, s[0:3], 0 offset:1028
	buffer_load_dword v236, off, s[0:3], 0 offset:1024
	s_waitcnt vmcnt(6) lgkmcnt(0)
	v_mul_f64 v[114:115], v[110:111], v[228:229]
	s_waitcnt vmcnt(4)
	v_fmac_f64_e32 v[114:115], v[112:113], v[230:231]
	v_add_f64 v[42:43], v[42:43], v[114:115]
	ds_read_b128 v[114:117], v238 offset:2032
	v_add_f64 v[238:239], v[144:145], 0
	v_add_f64 v[238:239], v[238:239], v[240:241]
	;; [unrolled: 1-line block ×22, first 2 shown]
	buffer_load_dword v252, off, s[0:3], 0 offset:96
	buffer_load_dword v253, off, s[0:3], 0 offset:100
	;; [unrolled: 1-line block ×4, first 2 shown]
	v_add_f64 v[4:5], v[4:5], v[136:137]
	v_add_f64 v[4:5], v[4:5], v[232:233]
	s_waitcnt vmcnt(6) lgkmcnt(0)
	v_mul_f64 v[254:255], v[114:115], v[234:235]
	v_add_f64 v[2:3], v[4:5], v[2:3]
	s_waitcnt vmcnt(4)
	v_fmac_f64_e32 v[254:255], v[116:117], v[236:237]
	v_add_f64 v[2:3], v[2:3], v[48:49]
	v_add_f64 v[42:43], v[42:43], v[254:255]
	v_add_f64 v[254:255], v[2:3], v[0:1]
	v_accvgpr_read_b32 v4, a194
	v_accvgpr_read_b32 v2, a198
	;; [unrolled: 1-line block ×5, first 2 shown]
	v_mul_f64 v[2:3], v[6:7], v[2:3]
	v_accvgpr_read_b32 v6, a200
	v_add_f64 v[0:1], v[254:255], v[246:247]
	v_accvgpr_read_b32 v5, a195
	v_accvgpr_read_b32 v7, a201
	v_add_f64 v[0:1], v[0:1], v[250:251]
	v_fma_f64 v[2:3], v[4:5], v[6:7], -v[2:3]
	v_add_f64 v[0:1], v[0:1], v[2:3]
	v_accvgpr_read_b32 v4, a202
	v_accvgpr_read_b32 v2, a206
	;; [unrolled: 1-line block ×5, first 2 shown]
	v_mul_f64 v[2:3], v[6:7], v[2:3]
	v_accvgpr_read_b32 v6, a208
	v_accvgpr_read_b32 v5, a203
	;; [unrolled: 1-line block ×3, first 2 shown]
	v_fma_f64 v[2:3], v[4:5], v[6:7], -v[2:3]
	v_add_f64 v[0:1], v[0:1], v[2:3]
	v_accvgpr_read_b32 v4, a210
	v_accvgpr_read_b32 v2, a218
	;; [unrolled: 1-line block ×5, first 2 shown]
	v_mul_f64 v[2:3], v[6:7], v[2:3]
	v_accvgpr_read_b32 v6, a222
	v_accvgpr_read_b32 v5, a211
	;; [unrolled: 1-line block ×3, first 2 shown]
	v_fma_f64 v[2:3], v[4:5], v[6:7], -v[2:3]
	v_accvgpr_read_b32 v4, a214
	v_accvgpr_read_b32 v6, a216
	;; [unrolled: 1-line block ×3, first 2 shown]
	v_add_f64 v[0:1], v[0:1], v[2:3]
	v_mul_f64 v[2:3], v[6:7], v[132:133]
	v_accvgpr_read_b32 v6, a220
	v_accvgpr_read_b32 v5, a215
	;; [unrolled: 1-line block ×3, first 2 shown]
	v_fma_f64 v[2:3], v[4:5], v[6:7], -v[2:3]
	v_add_f64 v[0:1], v[0:1], v[2:3]
	v_accvgpr_read_b32 v4, a224
	v_accvgpr_read_b32 v2, a228
	;; [unrolled: 1-line block ×6, first 2 shown]
	v_mul_f64 v[2:3], v[6:7], v[2:3]
	v_fma_f64 v[2:3], v[4:5], v[134:135], -v[2:3]
	v_accvgpr_read_b32 v4, a232
	v_add_f64 v[0:1], v[0:1], v[2:3]
	v_mul_f64 v[2:3], v[140:141], v[146:147]
	v_accvgpr_read_b32 v5, a233
	v_fma_f64 v[2:3], v[138:139], v[4:5], -v[2:3]
	v_add_f64 v[0:1], v[0:1], v[2:3]
	v_accvgpr_read_b32 v2, a230
	v_accvgpr_read_b32 v3, a231
	v_mul_f64 v[2:3], v[130:131], v[2:3]
	v_fma_f64 v[2:3], v[128:129], v[126:127], -v[2:3]
	v_add_f64 v[0:1], v[0:1], v[2:3]
	v_mul_f64 v[2:3], v[36:37], v[142:143]
	v_fma_f64 v[2:3], v[34:35], v[124:125], -v[2:3]
	v_add_f64 v[0:1], v[0:1], v[2:3]
	;; [unrolled: 3-line block ×23, first 2 shown]
	s_waitcnt vmcnt(2)
	v_add_f64 v[0:1], v[252:253], -v[0:1]
	s_waitcnt vmcnt(0)
	v_add_f64 v[2:3], v[248:249], -v[42:43]
	buffer_store_dword v1, off, s[0:3], 0 offset:100
	buffer_store_dword v0, off, s[0:3], 0 offset:96
	;; [unrolled: 1-line block ×4, first 2 shown]
	v_accvgpr_read_b32 v0, a191
	v_cmp_lt_u32_e32 vcc, 4, v0
	s_and_saveexec_b64 s[4:5], vcc
	s_cbranch_execz .LBB127_401
; %bb.400:
	v_accvgpr_read_b32 v3, a187
	buffer_load_dword v0, v3, s[0:3], 0 offen
	buffer_load_dword v1, v3, s[0:3], 0 offen offset:4
	buffer_load_dword v2, v3, s[0:3], 0 offen offset:8
	s_nop 0
	buffer_load_dword v3, v3, s[0:3], 0 offen offset:12
	v_mov_b32_e32 v4, 0
	v_accvgpr_read_b32 v5, a192
	buffer_store_dword v4, off, s[0:3], 0 offset:80
	buffer_store_dword v4, off, s[0:3], 0 offset:84
	;; [unrolled: 1-line block ×4, first 2 shown]
	s_waitcnt vmcnt(4)
	ds_write_b128 v5, v[0:3]
.LBB127_401:
	s_or_b64 exec, exec, s[4:5]
	s_waitcnt lgkmcnt(0)
	; wave barrier
	s_waitcnt lgkmcnt(0)
	buffer_load_dword v4, off, s[0:3], 0 offset:96
	buffer_load_dword v5, off, s[0:3], 0 offset:100
	buffer_load_dword v8, off, s[0:3], 0 offset:104
	buffer_load_dword v9, off, s[0:3], 0 offset:108
	buffer_load_dword v2, off, s[0:3], 0 offset:112
	buffer_load_dword v3, off, s[0:3], 0 offset:116
	buffer_load_dword v76, off, s[0:3], 0 offset:120
	buffer_load_dword v77, off, s[0:3], 0 offset:124
	buffer_load_dword v80, off, s[0:3], 0 offset:136
	buffer_load_dword v81, off, s[0:3], 0 offset:140
	buffer_load_dword v11, off, s[0:3], 0 offset:172
	buffer_load_dword v10, off, s[0:3], 0 offset:168
	buffer_load_dword v15, off, s[0:3], 0 offset:164
	buffer_load_dword v14, off, s[0:3], 0 offset:160
	buffer_load_dword v17, off, s[0:3], 0 offset:156
	buffer_load_dword v16, off, s[0:3], 0 offset:152
	buffer_load_dword v119, off, s[0:3], 0 offset:204
	buffer_load_dword v118, off, s[0:3], 0 offset:200
	buffer_load_dword v19, off, s[0:3], 0 offset:196
	buffer_load_dword v18, off, s[0:3], 0 offset:192
	buffer_load_dword v29, off, s[0:3], 0 offset:188
	buffer_load_dword v28, off, s[0:3], 0 offset:184
	buffer_load_dword v21, off, s[0:3], 0 offset:220
	buffer_load_dword v20, off, s[0:3], 0 offset:216
	buffer_load_dword v72, off, s[0:3], 0 offset:128
	buffer_load_dword v73, off, s[0:3], 0 offset:132
	buffer_load_dword v243, off, s[0:3], 0 offset:148
	buffer_load_dword v242, off, s[0:3], 0 offset:144
	buffer_load_dword v249, off, s[0:3], 0 offset:180
	buffer_load_dword v248, off, s[0:3], 0 offset:176
	buffer_load_dword v27, off, s[0:3], 0 offset:212
	buffer_load_dword v26, off, s[0:3], 0 offset:208
	buffer_load_dword v22, off, s[0:3], 0 offset:232
	buffer_load_dword v30, off, s[0:3], 0 offset:224
	buffer_load_dword v31, off, s[0:3], 0 offset:228
	buffer_load_dword v23, off, s[0:3], 0 offset:236
	buffer_load_dword v39, off, s[0:3], 0 offset:268
	buffer_load_dword v38, off, s[0:3], 0 offset:264
	buffer_load_dword v41, off, s[0:3], 0 offset:260
	buffer_load_dword v40, off, s[0:3], 0 offset:256
	buffer_load_dword v43, off, s[0:3], 0 offset:252
	buffer_load_dword v42, off, s[0:3], 0 offset:248
	buffer_load_dword v45, off, s[0:3], 0 offset:244
	buffer_load_dword v44, off, s[0:3], 0 offset:240
	buffer_load_dword v53, off, s[0:3], 0 offset:300
	buffer_load_dword v52, off, s[0:3], 0 offset:296
	buffer_load_dword v55, off, s[0:3], 0 offset:292
	buffer_load_dword v54, off, s[0:3], 0 offset:288
	buffer_load_dword v87, off, s[0:3], 0 offset:284
	buffer_load_dword v86, off, s[0:3], 0 offset:280
	buffer_load_dword v89, off, s[0:3], 0 offset:276
	buffer_load_dword v88, off, s[0:3], 0 offset:272
	buffer_load_dword v49, off, s[0:3], 0 offset:332
	buffer_load_dword v48, off, s[0:3], 0 offset:328
	v_mov_b32_e32 v6, 0
	ds_read_b128 v[114:117], v6 offset:1104
	ds_read_b128 v[138:141], v6 offset:1120
	;; [unrolled: 1-line block ×9, first 2 shown]
	s_waitcnt vmcnt(50) lgkmcnt(8)
	v_mul_f64 v[0:1], v[114:115], v[8:9]
	v_fmac_f64_e32 v[0:1], v[116:117], v[4:5]
	v_add_f64 v[0:1], v[0:1], 0
	s_waitcnt vmcnt(46) lgkmcnt(7)
	v_mul_f64 v[46:47], v[138:139], v[76:77]
	v_fmac_f64_e32 v[46:47], v[140:141], v[2:3]
	s_waitcnt vmcnt(44) lgkmcnt(6)
	v_mul_f64 v[50:51], v[142:143], v[80:81]
	v_add_f64 v[0:1], v[0:1], v[46:47]
	s_waitcnt vmcnt(42) lgkmcnt(4)
	v_mul_f64 v[58:59], v[150:151], v[10:11]
	s_waitcnt vmcnt(40)
	v_fmac_f64_e32 v[58:59], v[152:153], v[14:15]
	s_waitcnt vmcnt(38)
	v_mul_f64 v[56:57], v[146:147], v[16:17]
	s_waitcnt vmcnt(36) lgkmcnt(2)
	v_mul_f64 v[62:63], v[158:159], v[118:119]
	s_waitcnt vmcnt(34)
	v_fmac_f64_e32 v[62:63], v[160:161], v[18:19]
	s_waitcnt vmcnt(32)
	v_mul_f64 v[60:61], v[154:155], v[28:29]
	v_mul_f64 v[28:29], v[156:157], v[28:29]
	s_waitcnt vmcnt(30) lgkmcnt(1)
	v_mul_f64 v[78:79], v[162:163], v[20:21]
	s_waitcnt vmcnt(28)
	v_fmac_f64_e32 v[50:51], v[144:145], v[72:73]
	v_add_f64 v[0:1], v[0:1], v[50:51]
	s_waitcnt vmcnt(26)
	v_fmac_f64_e32 v[56:57], v[148:149], v[242:243]
	v_add_f64 v[0:1], v[0:1], v[56:57]
	;; [unrolled: 3-line block ×3, first 2 shown]
	v_add_f64 v[0:1], v[0:1], v[60:61]
	v_add_f64 v[0:1], v[0:1], v[62:63]
	buffer_load_dword v109, off, s[0:3], 0 offset:324
	buffer_load_dword v108, off, s[0:3], 0 offset:320
	;; [unrolled: 1-line block ×62, first 2 shown]
	ds_read_b128 v[170:173], v6 offset:1248
	ds_read_b128 v[174:177], v6 offset:1264
	s_waitcnt vmcnt(62)
	v_fmac_f64_e32 v[78:79], v[164:165], v[26:27]
	v_add_f64 v[0:1], v[0:1], v[78:79]
	s_waitcnt lgkmcnt(2)
	v_mul_f64 v[78:79], v[166:167], v[22:23]
	v_fmac_f64_e32 v[78:79], v[168:169], v[30:31]
	ds_read_b128 v[178:181], v6 offset:1280
	ds_read_b128 v[182:185], v6 offset:1296
	v_add_f64 v[0:1], v[0:1], v[78:79]
	s_waitcnt lgkmcnt(3)
	v_mul_f64 v[78:79], v[170:171], v[42:43]
	v_fmac_f64_e32 v[78:79], v[172:173], v[44:45]
	v_add_f64 v[0:1], v[0:1], v[78:79]
	s_waitcnt lgkmcnt(2)
	v_mul_f64 v[78:79], v[174:175], v[38:39]
	v_fmac_f64_e32 v[78:79], v[176:177], v[40:41]
	ds_read_b128 v[186:189], v6 offset:1312
	ds_read_b128 v[192:195], v6 offset:1328
	v_add_f64 v[0:1], v[0:1], v[78:79]
	s_waitcnt lgkmcnt(3)
	v_mul_f64 v[78:79], v[178:179], v[86:87]
	v_fmac_f64_e32 v[78:79], v[180:181], v[88:89]
	v_add_f64 v[0:1], v[0:1], v[78:79]
	s_waitcnt lgkmcnt(2)
	v_mul_f64 v[78:79], v[182:183], v[52:53]
	v_fmac_f64_e32 v[78:79], v[184:185], v[54:55]
	ds_read_b128 v[196:199], v6 offset:1344
	ds_read_b128 v[200:203], v6 offset:1360
	v_add_f64 v[0:1], v[0:1], v[78:79]
	s_waitcnt vmcnt(58) lgkmcnt(3)
	v_mul_f64 v[78:79], v[186:187], v[244:245]
	s_waitcnt vmcnt(56)
	v_fmac_f64_e32 v[78:79], v[188:189], v[24:25]
	v_add_f64 v[0:1], v[0:1], v[78:79]
	s_waitcnt lgkmcnt(2)
	v_mul_f64 v[78:79], v[192:193], v[48:49]
	v_fmac_f64_e32 v[78:79], v[194:195], v[108:109]
	ds_read_b128 v[204:207], v6 offset:1376
	ds_read_b128 v[208:211], v6 offset:1392
	v_add_f64 v[0:1], v[0:1], v[78:79]
	s_waitcnt vmcnt(50) lgkmcnt(3)
	v_mul_f64 v[78:79], v[196:197], v[32:33]
	s_waitcnt vmcnt(48)
	;; [unrolled: 11-line block ×3, first 2 shown]
	v_fmac_f64_e32 v[78:79], v[206:207], v[110:111]
	v_add_f64 v[0:1], v[0:1], v[78:79]
	s_waitcnt lgkmcnt(2)
	v_mul_f64 v[78:79], v[208:209], v[92:93]
	v_fmac_f64_e32 v[78:79], v[210:211], v[96:97]
	v_add_f64 v[0:1], v[0:1], v[78:79]
	s_waitcnt vmcnt(34) lgkmcnt(1)
	v_mul_f64 v[78:79], v[212:213], v[100:101]
	s_waitcnt vmcnt(32)
	v_fmac_f64_e32 v[78:79], v[214:215], v[104:105]
	v_add_f64 v[0:1], v[0:1], v[78:79]
	buffer_load_dword v79, off, s[0:3], 0 offset:588
	buffer_load_dword v239, off, s[0:3], 0 offset:572
	;; [unrolled: 1-line block ×6, first 2 shown]
	v_fma_f64 v[248:249], v[154:155], v[248:249], -v[28:29]
	v_mul_f64 v[22:23], v[168:169], v[22:23]
	s_waitcnt vmcnt(0)
	v_pk_mov_b32 v[120:121], v[78:79], v[78:79] op_sel:[0,1]
	buffer_load_dword v79, off, s[0:3], 0 offset:580
	buffer_load_dword v78, off, s[0:3], 0 offset:576
	ds_read_b128 v[220:223], v6 offset:1440
	v_accvgpr_write_b32 a199, v121
	v_accvgpr_write_b32 a198, v120
	s_waitcnt vmcnt(0)
	v_pk_mov_b32 v[122:123], v[78:79], v[78:79] op_sel:[0,1]
	s_waitcnt lgkmcnt(1)
	v_mul_f64 v[78:79], v[216:217], v[90:91]
	v_fmac_f64_e32 v[78:79], v[218:219], v[84:85]
	v_add_f64 v[0:1], v[0:1], v[78:79]
	buffer_load_dword v79, off, s[0:3], 0 offset:604
	buffer_load_dword v78, off, s[0:3], 0 offset:600
	v_accvgpr_write_b32 a201, v123
	v_accvgpr_write_b32 a200, v122
	s_waitcnt vmcnt(0)
	v_pk_mov_b32 v[124:125], v[78:79], v[78:79] op_sel:[0,1]
	buffer_load_dword v79, off, s[0:3], 0 offset:596
	buffer_load_dword v78, off, s[0:3], 0 offset:592
	ds_read_b128 v[224:227], v6 offset:1456
	v_accvgpr_write_b32 a207, v125
	v_accvgpr_write_b32 a206, v124
	s_waitcnt vmcnt(0)
	v_pk_mov_b32 v[126:127], v[78:79], v[78:79] op_sel:[0,1]
	buffer_load_dword v79, off, s[0:3], 0 offset:620
	buffer_load_dword v78, off, s[0:3], 0 offset:616
	v_accvgpr_write_b32 a209, v127
	v_accvgpr_write_b32 a208, v126
	s_waitcnt vmcnt(0)
	v_pk_mov_b32 v[128:129], v[78:79], v[78:79] op_sel:[0,1]
	buffer_load_dword v79, off, s[0:3], 0 offset:612
	buffer_load_dword v78, off, s[0:3], 0 offset:608
	;; [unrolled: 6-line block ×4, first 2 shown]
	ds_read_b128 v[228:231], v6 offset:1472
	buffer_load_dword v12, off, s[0:3], 0 offset:648
	buffer_load_dword v136, off, s[0:3], 0 offset:640
	;; [unrolled: 1-line block ×4, first 2 shown]
	ds_read_b128 v[232:235], v6 offset:1488
	v_accvgpr_write_b32 a221, v131
	v_accvgpr_write_b32 a220, v130
	s_waitcnt vmcnt(4)
	v_pk_mov_b32 v[134:135], v[78:79], v[78:79] op_sel:[0,1]
	s_waitcnt lgkmcnt(3)
	v_mul_f64 v[78:79], v[220:221], v[68:69]
	v_fmac_f64_e32 v[78:79], v[222:223], v[82:83]
	v_add_f64 v[0:1], v[0:1], v[78:79]
	s_waitcnt lgkmcnt(2)
	v_mul_f64 v[78:79], v[224:225], v[46:47]
	v_fmac_f64_e32 v[78:79], v[226:227], v[50:51]
	v_add_f64 v[0:1], v[0:1], v[78:79]
	;; [unrolled: 4-line block ×3, first 2 shown]
	v_mul_f64 v[78:79], v[116:117], v[8:9]
	v_fma_f64 v[4:5], v[114:115], v[4:5], -v[78:79]
	ds_read_b128 v[114:117], v6 offset:1504
	v_accvgpr_write_b32 a243, v5
	v_accvgpr_write_b32 a242, v4
	s_waitcnt lgkmcnt(1)
	v_mul_f64 v[4:5], v[232:233], v[58:59]
	v_fmac_f64_e32 v[4:5], v[234:235], v[60:61]
	v_add_f64 v[0:1], v[0:1], v[4:5]
	v_mul_f64 v[4:5], v[140:141], v[76:77]
	v_fma_f64 v[254:255], v[138:139], v[2:3], -v[4:5]
	v_mul_f64 v[2:3], v[144:145], v[80:81]
	v_fma_f64 v[240:241], v[142:143], v[72:73], -v[2:3]
	buffer_load_dword v73, off, s[0:3], 0 offset:684
	buffer_load_dword v3, off, s[0:3], 0 offset:668
	;; [unrolled: 1-line block ×8, first 2 shown]
	ds_read_b128 v[250:253], v6 offset:1520
	ds_read_b128 v[78:81], v6 offset:1536
	v_mul_f64 v[4:5], v[148:149], v[16:17]
	v_fma_f64 v[242:243], v[146:147], v[242:243], -v[4:5]
	v_mul_f64 v[4:5], v[152:153], v[10:11]
	ds_read_b128 v[140:143], v6 offset:1584
	v_fma_f64 v[138:139], v[150:151], v[14:15], -v[4:5]
	ds_read_b128 v[148:151], v6 offset:1616
	s_waitcnt vmcnt(9)
	v_accvgpr_write_b32 a227, v13
	v_accvgpr_write_b32 a226, v12
	s_waitcnt lgkmcnt(1)
	v_accvgpr_write_b32 a197, v143
	v_accvgpr_write_b32 a196, v142
	;; [unrolled: 1-line block ×4, first 2 shown]
	s_waitcnt lgkmcnt(0)
	v_accvgpr_write_b32 a213, v151
	v_accvgpr_write_b32 a212, v150
	;; [unrolled: 1-line block ×4, first 2 shown]
	v_mul_f64 v[46:47], v[226:227], v[46:47]
	v_accvgpr_write_b32 a225, v135
	s_waitcnt vmcnt(8)
	v_accvgpr_write_b32 a229, v137
	v_accvgpr_write_b32 a224, v134
	;; [unrolled: 1-line block ×3, first 2 shown]
	ds_read_b128 v[8:11], v6 offset:1568
	s_waitcnt vmcnt(3)
	v_accvgpr_write_b32 a239, v77
	v_accvgpr_write_b32 a238, v76
	v_pk_mov_b32 v[144:145], v[2:3], v[2:3] op_sel:[0,1]
	v_mul_f64 v[2:3], v[114:115], v[62:63]
	v_fmac_f64_e32 v[2:3], v[116:117], v[64:65]
	v_add_f64 v[0:1], v[0:1], v[2:3]
	v_mul_f64 v[2:3], v[250:251], v[70:71]
	v_fmac_f64_e32 v[2:3], v[252:253], v[36:37]
	v_add_f64 v[0:1], v[0:1], v[2:3]
	;; [unrolled: 3-line block ×3, first 2 shown]
	ds_read_b128 v[0:3], v6 offset:1552
	v_mul_f64 v[62:63], v[116:117], v[62:63]
	v_accvgpr_write_b32 a235, v145
	v_accvgpr_write_b32 a234, v144
	v_mul_f64 v[74:75], v[80:81], v[74:75]
	s_waitcnt lgkmcnt(0)
	v_mul_f64 v[14:15], v[0:1], v[236:237]
	v_fmac_f64_e32 v[14:15], v[2:3], v[246:247]
	v_add_f64 v[14:15], v[16:17], v[14:15]
	v_mul_f64 v[16:17], v[8:9], v[238:239]
	v_fmac_f64_e32 v[16:17], v[10:11], v[102:103]
	v_add_f64 v[14:15], v[14:15], v[16:17]
	v_mul_f64 v[16:17], v[140:141], v[120:121]
	v_fmac_f64_e32 v[16:17], v[142:143], v[122:123]
	ds_read_b128 v[140:143], v6 offset:1600
	v_add_f64 v[28:29], v[14:15], v[16:17]
	v_mul_f64 v[14:15], v[160:161], v[118:119]
	v_fma_f64 v[120:121], v[158:159], v[18:19], -v[14:15]
	v_mul_f64 v[14:15], v[164:165], v[20:21]
	v_fma_f64 v[146:147], v[162:163], v[26:27], -v[14:15]
	ds_read_b128 v[14:17], v6 offset:1632
	s_waitcnt lgkmcnt(1)
	v_mul_f64 v[18:19], v[140:141], v[124:125]
	v_accvgpr_write_b32 a205, v143
	v_fmac_f64_e32 v[18:19], v[142:143], v[126:127]
	v_accvgpr_write_b32 a204, v142
	v_accvgpr_write_b32 a203, v141
	;; [unrolled: 1-line block ×3, first 2 shown]
	ds_read_b128 v[140:143], v6 offset:1648
	v_mul_f64 v[20:21], v[148:149], v[128:129]
	v_add_f64 v[18:19], v[28:29], v[18:19]
	v_fmac_f64_e32 v[20:21], v[150:151], v[132:133]
	v_add_f64 v[18:19], v[18:19], v[20:21]
	s_waitcnt lgkmcnt(1)
	v_mul_f64 v[20:21], v[14:15], v[130:131]
	v_fmac_f64_e32 v[20:21], v[16:17], v[134:135]
	v_accvgpr_write_b32 a217, v17
	v_accvgpr_write_b32 a216, v16
	;; [unrolled: 1-line block ×4, first 2 shown]
	v_add_f64 v[26:27], v[18:19], v[20:21]
	ds_read_b128 v[16:19], v6 offset:1664
	s_waitcnt lgkmcnt(1)
	v_mul_f64 v[28:29], v[140:141], v[12:13]
	buffer_load_dword v5, off, s[0:3], 0 offset:716
	buffer_load_dword v4, off, s[0:3], 0 offset:712
	;; [unrolled: 1-line block ×13, first 2 shown]
	ds_read_b128 v[148:151], v6 offset:1680
	v_mul_f64 v[14:15], v[176:177], v[38:39]
	v_fma_f64 v[160:161], v[174:175], v[40:41], -v[14:15]
	v_mul_f64 v[14:15], v[180:181], v[86:87]
	v_fmac_f64_e32 v[28:29], v[142:143], v[136:137]
	v_fma_f64 v[86:87], v[178:179], v[88:89], -v[14:15]
	s_waitcnt lgkmcnt(1)
	v_mul_f64 v[14:15], v[16:17], v[144:145]
	v_accvgpr_write_b32 a233, v19
	buffer_load_dword v132, off, s[0:3], 0 offset:736
	buffer_load_dword v131, off, s[0:3], 0 offset:748
	;; [unrolled: 1-line block ×3, first 2 shown]
	v_fma_f64 v[162:163], v[166:167], v[30:31], -v[22:23]
	v_add_f64 v[30:31], v[26:27], v[28:29]
	v_fmac_f64_e32 v[14:15], v[18:19], v[76:77]
	v_accvgpr_write_b32 a232, v18
	v_accvgpr_write_b32 a231, v17
	;; [unrolled: 1-line block ×3, first 2 shown]
	s_waitcnt vmcnt(18) lgkmcnt(0)
	v_mul_f64 v[16:17], v[148:149], v[72:73]
	v_add_f64 v[14:15], v[30:31], v[14:15]
	s_waitcnt vmcnt(16)
	v_fmac_f64_e32 v[16:17], v[150:151], v[190:191]
	v_mul_f64 v[26:27], v[172:173], v[42:43]
	v_add_f64 v[42:43], v[14:15], v[16:17]
	v_mul_f64 v[14:15], v[184:185], v[52:53]
	v_fma_f64 v[88:89], v[182:183], v[54:55], -v[14:15]
	v_mul_f64 v[14:15], v[188:189], v[244:245]
	buffer_load_dword v245, off, s[0:3], 0 offset:780
	buffer_load_dword v41, off, s[0:3], 0 offset:764
	;; [unrolled: 1-line block ×8, first 2 shown]
	ds_read_b128 v[152:155], v6 offset:1696
	buffer_load_dword v129, off, s[0:3], 0 offset:796
	buffer_load_dword v128, off, s[0:3], 0 offset:792
	;; [unrolled: 1-line block ×12, first 2 shown]
	v_mul_f64 v[18:19], v[194:195], v[48:49]
	v_mul_f64 v[38:39], v[198:199], v[32:33]
	v_fma_f64 v[20:21], v[192:193], v[108:109], -v[18:19]
	v_fma_f64 v[108:109], v[196:197], v[112:113], -v[38:39]
	v_mul_f64 v[38:39], v[202:203], v[94:95]
	buffer_load_dword v182, off, s[0:3], 0 offset:840
	v_fma_f64 v[184:185], v[200:201], v[98:99], -v[38:39]
	v_mul_f64 v[38:39], v[206:207], v[106:107]
	buffer_load_dword v106, off, s[0:3], 0 offset:832
	buffer_load_dword v183, off, s[0:3], 0 offset:844
	;; [unrolled: 1-line block ×3, first 2 shown]
	v_fma_f64 v[22:23], v[186:187], v[24:25], -v[14:15]
	buffer_load_dword v187, off, s[0:3], 0 offset:860
	buffer_load_dword v186, off, s[0:3], 0 offset:856
	;; [unrolled: 1-line block ×8, first 2 shown]
	v_fma_f64 v[18:19], v[204:205], v[110:111], -v[38:39]
	buffer_load_dword v193, off, s[0:3], 0 offset:908
	buffer_load_dword v199, off, s[0:3], 0 offset:892
	;; [unrolled: 1-line block ×12, first 2 shown]
	v_fma_f64 v[26:27], v[170:171], v[44:45], -v[26:27]
	ds_read_b128 v[170:173], v6 offset:1712
	ds_read_b128 v[164:167], v6 offset:1728
	v_mul_f64 v[38:39], v[214:215], v[100:101]
	v_mul_f64 v[24:25], v[210:211], v[92:93]
	v_fma_f64 v[210:211], v[212:213], v[104:105], -v[38:39]
	v_mul_f64 v[38:39], v[218:219], v[90:91]
	v_fma_f64 v[14:15], v[216:217], v[84:85], -v[38:39]
	v_fma_f64 v[216:217], v[114:115], v[64:65], -v[62:63]
	ds_read_b128 v[62:65], v6 offset:1824
	v_mul_f64 v[38:39], v[222:223], v[68:69]
	v_fma_f64 v[24:25], v[208:209], v[96:97], -v[24:25]
	v_fma_f64 v[208:209], v[220:221], v[82:83], -v[38:39]
	v_mul_f64 v[2:3], v[2:3], v[236:237]
	v_accvgpr_write_b32 a237, v73
	v_accvgpr_write_b32 a236, v72
	s_waitcnt vmcnt(56)
	v_pk_mov_b32 v[76:77], v[12:13], v[12:13] op_sel:[0,1]
	s_waitcnt vmcnt(54) lgkmcnt(3)
	v_mul_f64 v[28:29], v[152:153], v[122:123]
	v_pk_mov_b32 v[72:73], v[4:5], v[4:5] op_sel:[0,1]
	s_waitcnt vmcnt(52)
	v_fmac_f64_e32 v[28:29], v[154:155], v[156:157]
	v_add_f64 v[28:29], v[42:43], v[28:29]
	s_waitcnt lgkmcnt(2)
	v_mul_f64 v[42:43], v[170:171], v[4:5]
	v_fmac_f64_e32 v[42:43], v[172:173], v[12:13]
	v_add_f64 v[28:29], v[28:29], v[42:43]
	s_waitcnt vmcnt(49) lgkmcnt(1)
	v_mul_f64 v[42:43], v[164:165], v[126:127]
	s_waitcnt vmcnt(47)
	v_fmac_f64_e32 v[42:43], v[166:167], v[158:159]
	v_add_f64 v[28:29], v[28:29], v[42:43]
	ds_read_b128 v[42:45], v6 offset:1744
	v_fma_f64 v[12:13], v[224:225], v[50:51], -v[46:47]
	ds_read_b128 v[46:49], v6 offset:1760
	v_mul_f64 v[50:51], v[230:231], v[56:57]
	v_fma_f64 v[212:213], v[228:229], v[66:67], -v[50:51]
	ds_read_b128 v[50:53], v6 offset:1776
	ds_read_b128 v[54:57], v6 offset:1792
	s_waitcnt vmcnt(45) lgkmcnt(3)
	v_mul_f64 v[16:17], v[42:43], v[130:131]
	s_waitcnt vmcnt(44)
	v_fmac_f64_e32 v[16:17], v[44:45], v[132:133]
	v_add_f64 v[16:17], v[28:29], v[16:17]
	ds_read_b128 v[66:69], v6 offset:1840
	s_waitcnt vmcnt(41) lgkmcnt(3)
	v_mul_f64 v[28:29], v[46:47], v[40:41]
	s_waitcnt vmcnt(39)
	v_fmac_f64_e32 v[28:29], v[48:49], v[168:169]
	v_add_f64 v[16:17], v[16:17], v[28:29]
	s_waitcnt vmcnt(38) lgkmcnt(2)
	v_mul_f64 v[28:29], v[50:51], v[244:245]
	s_waitcnt vmcnt(36)
	v_fmac_f64_e32 v[28:29], v[52:53], v[124:125]
	v_add_f64 v[16:17], v[16:17], v[28:29]
	v_mul_f64 v[28:29], v[234:235], v[58:59]
	v_fma_f64 v[214:215], v[232:233], v[60:61], -v[28:29]
	ds_read_b128 v[58:61], v6 offset:1808
	s_waitcnt vmcnt(34) lgkmcnt(2)
	v_mul_f64 v[28:29], v[54:55], v[128:129]
	s_waitcnt vmcnt(32)
	v_fmac_f64_e32 v[28:29], v[56:57], v[30:31]
	v_add_f64 v[16:17], v[16:17], v[28:29]
	s_waitcnt vmcnt(30) lgkmcnt(0)
	v_mul_f64 v[28:29], v[58:59], v[174:175]
	s_waitcnt vmcnt(28)
	v_fmac_f64_e32 v[28:29], v[60:61], v[178:179]
	v_add_f64 v[16:17], v[16:17], v[28:29]
	s_waitcnt vmcnt(26)
	v_mul_f64 v[28:29], v[62:63], v[176:177]
	s_waitcnt vmcnt(24)
	v_fmac_f64_e32 v[28:29], v[64:65], v[180:181]
	v_add_f64 v[16:17], v[16:17], v[28:29]
	v_mul_f64 v[28:29], v[252:253], v[70:71]
	v_mov_b32_e32 v70, 0
	v_fma_f64 v[144:145], v[250:251], v[36:37], -v[28:29]
	ds_read_b128 v[36:39], v70 offset:1856
	ds_read_b128 v[134:137], v70 offset:1872
	s_waitcnt vmcnt(21)
	v_mul_f64 v[28:29], v[66:67], v[182:183]
	s_waitcnt vmcnt(20)
	v_fmac_f64_e32 v[28:29], v[68:69], v[106:107]
	v_fma_f64 v[250:251], v[78:79], v[34:35], -v[74:75]
	s_waitcnt vmcnt(18) lgkmcnt(1)
	v_mul_f64 v[78:79], v[36:37], v[186:187]
	v_add_f64 v[16:17], v[16:17], v[28:29]
	s_waitcnt vmcnt(16)
	v_fmac_f64_e32 v[78:79], v[38:39], v[188:189]
	v_add_f64 v[16:17], v[16:17], v[78:79]
	ds_read_b128 v[78:81], v70 offset:1888
	v_fma_f64 v[252:253], v[0:1], v[246:247], -v[2:3]
	s_waitcnt vmcnt(14) lgkmcnt(1)
	v_mul_f64 v[0:1], v[134:135], v[194:195]
	s_waitcnt vmcnt(12)
	v_fmac_f64_e32 v[0:1], v[136:137], v[196:197]
	v_add_f64 v[16:17], v[16:17], v[0:1]
	v_mul_f64 v[0:1], v[10:11], v[238:239]
	v_fma_f64 v[0:1], v[8:9], v[102:103], -v[0:1]
	buffer_load_dword v28, off, s[0:3], 0 offset:936
	v_accvgpr_write_b32 a241, v1
	ds_read_b128 v[82:85], v70 offset:1904
	v_accvgpr_write_b32 a240, v0
	ds_read_b128 v[0:3], v70 offset:1920
	s_waitcnt vmcnt(10) lgkmcnt(2)
	v_mul_f64 v[4:5], v[78:79], v[198:199]
	buffer_load_dword v238, off, s[0:3], 0 offset:928
	buffer_load_dword v29, off, s[0:3], 0 offset:940
	;; [unrolled: 1-line block ×3, first 2 shown]
	s_waitcnt vmcnt(11)
	v_fmac_f64_e32 v[4:5], v[80:81], v[204:205]
	v_add_f64 v[4:5], v[16:17], v[4:5]
	ds_read_b128 v[90:93], v70 offset:1936
	buffer_load_dword v17, off, s[0:3], 0 offset:956
	buffer_load_dword v16, off, s[0:3], 0 offset:952
	buffer_load_dword v35, off, s[0:3], 0 offset:948
	buffer_load_dword v34, off, s[0:3], 0 offset:944
	ds_read_b128 v[94:97], v70 offset:1952
	buffer_load_dword v74, off, s[0:3], 0 offset:968
	buffer_load_dword v75, off, s[0:3], 0 offset:972
	buffer_load_dword v218, off, s[0:3], 0 offset:960
	buffer_load_dword v219, off, s[0:3], 0 offset:964
	;; [unrolled: 5-line block ×3, first 2 shown]
	s_waitcnt vmcnt(22) lgkmcnt(4)
	v_mul_f64 v[6:7], v[82:83], v[192:193]
	s_waitcnt vmcnt(20)
	v_fmac_f64_e32 v[6:7], v[84:85], v[202:203]
	v_add_f64 v[4:5], v[4:5], v[6:7]
	s_waitcnt vmcnt(18) lgkmcnt(3)
	v_mul_f64 v[6:7], v[0:1], v[200:201]
	s_waitcnt vmcnt(16)
	v_fmac_f64_e32 v[6:7], v[2:3], v[206:207]
	v_add_f64 v[4:5], v[4:5], v[6:7]
	ds_read_b128 v[102:105], v70 offset:1984
	buffer_load_dword v224, off, s[0:3], 0 offset:1000
	buffer_load_dword v225, off, s[0:3], 0 offset:1004
	;; [unrolled: 1-line block ×4, first 2 shown]
	v_accvgpr_read_b32 v8, a242
	v_accvgpr_read_b32 v9, a243
	v_add_f64 v[118:119], v[8:9], 0
	v_add_f64 v[118:119], v[118:119], v[254:255]
	;; [unrolled: 1-line block ×28, first 2 shown]
	v_accvgpr_read_b32 v12, a194
	v_accvgpr_read_b32 v10, a198
	;; [unrolled: 1-line block ×5, first 2 shown]
	v_add_f64 v[252:253], v[8:9], v[252:253]
	v_accvgpr_read_b32 v8, a240
	v_mul_f64 v[10:11], v[14:15], v[10:11]
	v_accvgpr_read_b32 v14, a200
	v_accvgpr_read_b32 v9, a241
	;; [unrolled: 1-line block ×4, first 2 shown]
	v_add_f64 v[8:9], v[252:253], v[8:9]
	v_fma_f64 v[10:11], v[12:13], v[14:15], -v[10:11]
	v_add_f64 v[8:9], v[8:9], v[10:11]
	v_accvgpr_read_b32 v12, a202
	v_accvgpr_read_b32 v10, a206
	;; [unrolled: 1-line block ×5, first 2 shown]
	v_mul_f64 v[10:11], v[14:15], v[10:11]
	v_accvgpr_read_b32 v14, a208
	v_accvgpr_read_b32 v13, a203
	;; [unrolled: 1-line block ×3, first 2 shown]
	v_fma_f64 v[10:11], v[12:13], v[14:15], -v[10:11]
	v_add_f64 v[8:9], v[8:9], v[10:11]
	v_accvgpr_read_b32 v12, a210
	v_accvgpr_read_b32 v10, a218
	;; [unrolled: 1-line block ×5, first 2 shown]
	v_mul_f64 v[10:11], v[14:15], v[10:11]
	s_waitcnt vmcnt(17) lgkmcnt(3)
	v_mul_f64 v[6:7], v[90:91], v[28:29]
	s_waitcnt vmcnt(16)
	v_fmac_f64_e32 v[6:7], v[92:93], v[238:239]
	v_add_f64 v[4:5], v[4:5], v[6:7]
	s_waitcnt vmcnt(14) lgkmcnt(2)
	v_mul_f64 v[6:7], v[94:95], v[16:17]
	v_accvgpr_read_b32 v14, a222
	s_waitcnt vmcnt(12)
	v_fmac_f64_e32 v[6:7], v[96:97], v[34:35]
	v_add_f64 v[4:5], v[4:5], v[6:7]
	s_waitcnt vmcnt(10) lgkmcnt(1)
	v_mul_f64 v[6:7], v[98:99], v[74:75]
	s_waitcnt vmcnt(8)
	v_fmac_f64_e32 v[6:7], v[100:101], v[218:219]
	v_add_f64 v[4:5], v[4:5], v[6:7]
	s_waitcnt vmcnt(6) lgkmcnt(0)
	v_mul_f64 v[6:7], v[102:103], v[220:221]
	s_waitcnt vmcnt(4)
	v_fmac_f64_e32 v[6:7], v[104:105], v[222:223]
	v_add_f64 v[110:111], v[4:5], v[6:7]
	ds_read_b128 v[4:7], v70 offset:2000
	buffer_load_dword v229, off, s[0:3], 0 offset:1020
	buffer_load_dword v228, off, s[0:3], 0 offset:1016
	;; [unrolled: 1-line block ×4, first 2 shown]
	v_accvgpr_read_b32 v13, a211
	v_accvgpr_read_b32 v15, a223
	v_fma_f64 v[10:11], v[12:13], v[14:15], -v[10:11]
	s_waitcnt vmcnt(6) lgkmcnt(0)
	v_mul_f64 v[112:113], v[4:5], v[224:225]
	s_waitcnt vmcnt(4)
	v_fmac_f64_e32 v[112:113], v[6:7], v[226:227]
	v_add_f64 v[114:115], v[110:111], v[112:113]
	ds_read_b128 v[110:113], v70 offset:2016
	buffer_load_dword v234, off, s[0:3], 0 offset:1032
	buffer_load_dword v235, off, s[0:3], 0 offset:1036
	;; [unrolled: 1-line block ×4, first 2 shown]
	v_add_f64 v[8:9], v[8:9], v[10:11]
	v_accvgpr_read_b32 v12, a214
	v_accvgpr_read_b32 v10, a220
	;; [unrolled: 1-line block ×5, first 2 shown]
	v_mul_f64 v[10:11], v[14:15], v[10:11]
	v_accvgpr_read_b32 v14, a224
	v_accvgpr_read_b32 v13, a215
	;; [unrolled: 1-line block ×3, first 2 shown]
	v_fma_f64 v[10:11], v[12:13], v[14:15], -v[10:11]
	v_add_f64 v[8:9], v[8:9], v[10:11]
	v_accvgpr_read_b32 v10, a226
	v_accvgpr_read_b32 v11, a227
	;; [unrolled: 1-line block ×3, first 2 shown]
	v_mul_f64 v[10:11], v[142:143], v[10:11]
	v_accvgpr_read_b32 v13, a229
	v_fma_f64 v[10:11], v[140:141], v[12:13], -v[10:11]
	v_add_f64 v[8:9], v[8:9], v[10:11]
	v_accvgpr_read_b32 v12, a230
	v_accvgpr_read_b32 v10, a234
	;; [unrolled: 1-line block ×5, first 2 shown]
	v_mul_f64 v[10:11], v[14:15], v[10:11]
	v_accvgpr_read_b32 v14, a238
	v_accvgpr_read_b32 v13, a231
	;; [unrolled: 1-line block ×3, first 2 shown]
	v_fma_f64 v[10:11], v[12:13], v[14:15], -v[10:11]
	v_add_f64 v[8:9], v[8:9], v[10:11]
	v_accvgpr_read_b32 v10, a236
	v_accvgpr_read_b32 v11, a237
	v_mul_f64 v[10:11], v[150:151], v[10:11]
	v_fma_f64 v[10:11], v[148:149], v[190:191], -v[10:11]
	v_add_f64 v[8:9], v[8:9], v[10:11]
	v_mul_f64 v[10:11], v[154:155], v[122:123]
	v_fma_f64 v[10:11], v[152:153], v[156:157], -v[10:11]
	v_add_f64 v[8:9], v[8:9], v[10:11]
	v_mul_f64 v[10:11], v[172:173], v[72:73]
	v_fma_f64 v[10:11], v[170:171], v[76:77], -v[10:11]
	v_add_f64 v[8:9], v[8:9], v[10:11]
	v_mul_f64 v[10:11], v[166:167], v[126:127]
	v_fma_f64 v[10:11], v[164:165], v[158:159], -v[10:11]
	v_add_f64 v[8:9], v[8:9], v[10:11]
	v_mul_f64 v[10:11], v[44:45], v[130:131]
	v_fma_f64 v[10:11], v[42:43], v[132:133], -v[10:11]
	v_add_f64 v[8:9], v[8:9], v[10:11]
	v_mul_f64 v[10:11], v[48:49], v[40:41]
	v_fma_f64 v[10:11], v[46:47], v[168:169], -v[10:11]
	v_add_f64 v[8:9], v[8:9], v[10:11]
	v_mul_f64 v[10:11], v[52:53], v[244:245]
	v_fma_f64 v[10:11], v[50:51], v[124:125], -v[10:11]
	v_add_f64 v[8:9], v[8:9], v[10:11]
	v_mul_f64 v[10:11], v[56:57], v[128:129]
	v_fma_f64 v[10:11], v[54:55], v[30:31], -v[10:11]
	v_add_f64 v[8:9], v[8:9], v[10:11]
	v_mul_f64 v[10:11], v[60:61], v[174:175]
	v_fma_f64 v[10:11], v[58:59], v[178:179], -v[10:11]
	v_add_f64 v[8:9], v[8:9], v[10:11]
	v_mul_f64 v[10:11], v[64:65], v[176:177]
	v_fma_f64 v[10:11], v[62:63], v[180:181], -v[10:11]
	v_add_f64 v[8:9], v[8:9], v[10:11]
	v_mul_f64 v[10:11], v[68:69], v[182:183]
	v_fma_f64 v[10:11], v[66:67], v[106:107], -v[10:11]
	v_add_f64 v[8:9], v[8:9], v[10:11]
	v_mul_f64 v[10:11], v[38:39], v[186:187]
	v_fma_f64 v[10:11], v[36:37], v[188:189], -v[10:11]
	v_add_f64 v[8:9], v[8:9], v[10:11]
	v_mul_f64 v[10:11], v[136:137], v[194:195]
	s_waitcnt vmcnt(6) lgkmcnt(0)
	v_mul_f64 v[116:117], v[110:111], v[228:229]
	v_fma_f64 v[10:11], v[134:135], v[196:197], -v[10:11]
	s_waitcnt vmcnt(4)
	v_fmac_f64_e32 v[116:117], v[112:113], v[230:231]
	v_add_f64 v[232:233], v[114:115], v[116:117]
	ds_read_b128 v[114:117], v70 offset:2032
	buffer_load_dword v250, off, s[0:3], 0 offset:80
	buffer_load_dword v251, off, s[0:3], 0 offset:84
	;; [unrolled: 1-line block ×4, first 2 shown]
	v_add_f64 v[8:9], v[8:9], v[10:11]
	v_mul_f64 v[10:11], v[80:81], v[198:199]
	v_fma_f64 v[10:11], v[78:79], v[204:205], -v[10:11]
	v_add_f64 v[8:9], v[8:9], v[10:11]
	v_mul_f64 v[10:11], v[84:85], v[192:193]
	v_fma_f64 v[10:11], v[82:83], v[202:203], -v[10:11]
	v_mul_f64 v[2:3], v[2:3], v[200:201]
	v_add_f64 v[8:9], v[8:9], v[10:11]
	v_fma_f64 v[0:1], v[0:1], v[206:207], -v[2:3]
	v_mul_f64 v[2:3], v[92:93], v[28:29]
	v_add_f64 v[0:1], v[8:9], v[0:1]
	v_fma_f64 v[2:3], v[90:91], v[238:239], -v[2:3]
	v_add_f64 v[0:1], v[0:1], v[2:3]
	v_mul_f64 v[2:3], v[96:97], v[16:17]
	v_fma_f64 v[2:3], v[94:95], v[34:35], -v[2:3]
	v_add_f64 v[0:1], v[0:1], v[2:3]
	v_mul_f64 v[2:3], v[100:101], v[74:75]
	;; [unrolled: 3-line block ×5, first 2 shown]
	v_fma_f64 v[2:3], v[110:111], v[230:231], -v[2:3]
	v_add_f64 v[0:1], v[0:1], v[2:3]
	s_waitcnt vmcnt(6) lgkmcnt(0)
	v_mul_f64 v[2:3], v[116:117], v[234:235]
	v_mul_f64 v[246:247], v[114:115], v[234:235]
	s_waitcnt vmcnt(4)
	v_fma_f64 v[2:3], v[114:115], v[236:237], -v[2:3]
	v_fmac_f64_e32 v[246:247], v[116:117], v[236:237]
	v_add_f64 v[0:1], v[0:1], v[2:3]
	v_add_f64 v[232:233], v[232:233], v[246:247]
	s_waitcnt vmcnt(2)
	v_add_f64 v[0:1], v[250:251], -v[0:1]
	s_waitcnt vmcnt(0)
	v_add_f64 v[2:3], v[248:249], -v[232:233]
	buffer_store_dword v1, off, s[0:3], 0 offset:84
	buffer_store_dword v0, off, s[0:3], 0 offset:80
	;; [unrolled: 1-line block ×4, first 2 shown]
	v_accvgpr_read_b32 v0, a191
	v_cmp_lt_u32_e32 vcc, 3, v0
	s_and_saveexec_b64 s[4:5], vcc
	s_cbranch_execz .LBB127_403
; %bb.402:
	v_accvgpr_read_b32 v3, a188
	buffer_load_dword v0, v3, s[0:3], 0 offen
	buffer_load_dword v1, v3, s[0:3], 0 offen offset:4
	buffer_load_dword v2, v3, s[0:3], 0 offen offset:8
	s_nop 0
	buffer_load_dword v3, v3, s[0:3], 0 offen offset:12
	v_accvgpr_read_b32 v4, a192
	buffer_store_dword v70, off, s[0:3], 0 offset:64
	buffer_store_dword v70, off, s[0:3], 0 offset:68
	;; [unrolled: 1-line block ×4, first 2 shown]
	s_waitcnt vmcnt(4)
	ds_write_b128 v4, v[0:3]
.LBB127_403:
	s_or_b64 exec, exec, s[4:5]
	s_waitcnt lgkmcnt(0)
	; wave barrier
	s_waitcnt lgkmcnt(0)
	buffer_load_dword v130, off, s[0:3], 0 offset:80
	buffer_load_dword v131, off, s[0:3], 0 offset:84
	;; [unrolled: 1-line block ×36, first 2 shown]
	v_mov_b32_e32 v76, 0
	ds_read_b128 v[34:37], v76 offset:1088
	ds_read_b128 v[30:33], v76 offset:1104
	;; [unrolled: 1-line block ×9, first 2 shown]
	buffer_load_dword v83, off, s[0:3], 0 offset:252
	buffer_load_dword v82, off, s[0:3], 0 offset:248
	;; [unrolled: 1-line block ×19, first 2 shown]
	s_waitcnt vmcnt(51) lgkmcnt(8)
	v_mul_f64 v[0:1], v[34:35], v[54:55]
	v_fmac_f64_e32 v[0:1], v[36:37], v[130:131]
	v_add_f64 v[0:1], v[0:1], 0
	s_waitcnt vmcnt(47) lgkmcnt(7)
	v_mul_f64 v[2:3], v[30:31], v[66:67]
	v_fmac_f64_e32 v[2:3], v[32:33], v[64:65]
	s_waitcnt vmcnt(45) lgkmcnt(6)
	v_mul_f64 v[8:9], v[26:27], v[68:69]
	v_add_f64 v[0:1], v[0:1], v[2:3]
	s_waitcnt vmcnt(43) lgkmcnt(4)
	v_mul_f64 v[12:13], v[18:19], v[146:147]
	s_waitcnt vmcnt(41)
	v_fmac_f64_e32 v[12:13], v[20:21], v[152:153]
	s_waitcnt vmcnt(39)
	v_mul_f64 v[10:11], v[22:23], v[140:141]
	s_waitcnt vmcnt(37) lgkmcnt(2)
	v_mul_f64 v[16:17], v[118:119], v[172:173]
	s_waitcnt vmcnt(35)
	v_fmac_f64_e32 v[16:17], v[120:121], v[58:59]
	s_waitcnt vmcnt(33)
	v_mul_f64 v[14:15], v[4:5], v[244:245]
	s_waitcnt vmcnt(31) lgkmcnt(1)
	v_mul_f64 v[38:39], v[122:123], v[154:155]
	s_waitcnt vmcnt(29)
	v_fmac_f64_e32 v[8:9], v[28:29], v[70:71]
	v_add_f64 v[0:1], v[0:1], v[8:9]
	s_waitcnt vmcnt(27)
	v_fmac_f64_e32 v[10:11], v[24:25], v[142:143]
	v_add_f64 v[0:1], v[0:1], v[10:11]
	v_add_f64 v[0:1], v[0:1], v[12:13]
	buffer_load_dword v112, off, s[0:3], 0 offset:304
	buffer_load_dword v13, off, s[0:3], 0 offset:300
	buffer_load_dword v12, off, s[0:3], 0 offset:296
	buffer_load_dword v255, off, s[0:3], 0 offset:292
	buffer_load_dword v254, off, s[0:3], 0 offset:288
	buffer_load_dword v175, off, s[0:3], 0 offset:348
	buffer_load_dword v174, off, s[0:3], 0 offset:344
	buffer_load_dword v177, off, s[0:3], 0 offset:340
	buffer_load_dword v176, off, s[0:3], 0 offset:336
	buffer_load_dword v169, off, s[0:3], 0 offset:332
	buffer_load_dword v168, off, s[0:3], 0 offset:328
	buffer_load_dword v171, off, s[0:3], 0 offset:324
	buffer_load_dword v170, off, s[0:3], 0 offset:320
	buffer_load_dword v183, off, s[0:3], 0 offset:380
	buffer_load_dword v182, off, s[0:3], 0 offset:376
	buffer_load_dword v185, off, s[0:3], 0 offset:372
	buffer_load_dword v184, off, s[0:3], 0 offset:368
	buffer_load_dword v179, off, s[0:3], 0 offset:364
	buffer_load_dword v178, off, s[0:3], 0 offset:360
	buffer_load_dword v181, off, s[0:3], 0 offset:356
	buffer_load_dword v180, off, s[0:3], 0 offset:352
	buffer_load_dword v115, off, s[0:3], 0 offset:412
	buffer_load_dword v114, off, s[0:3], 0 offset:408
	buffer_load_dword v117, off, s[0:3], 0 offset:404
	buffer_load_dword v116, off, s[0:3], 0 offset:400
	buffer_load_dword v187, off, s[0:3], 0 offset:396
	buffer_load_dword v186, off, s[0:3], 0 offset:392
	buffer_load_dword v189, off, s[0:3], 0 offset:388
	buffer_load_dword v188, off, s[0:3], 0 offset:384
	buffer_load_dword v103, off, s[0:3], 0 offset:444
	buffer_load_dword v102, off, s[0:3], 0 offset:440
	buffer_load_dword v105, off, s[0:3], 0 offset:436
	buffer_load_dword v104, off, s[0:3], 0 offset:432
	buffer_load_dword v197, off, s[0:3], 0 offset:428
	buffer_load_dword v196, off, s[0:3], 0 offset:424
	buffer_load_dword v199, off, s[0:3], 0 offset:420
	buffer_load_dword v198, off, s[0:3], 0 offset:416
	buffer_load_dword v91, off, s[0:3], 0 offset:476
	buffer_load_dword v90, off, s[0:3], 0 offset:472
	buffer_load_dword v93, off, s[0:3], 0 offset:468
	buffer_load_dword v92, off, s[0:3], 0 offset:464
	buffer_load_dword v107, off, s[0:3], 0 offset:460
	buffer_load_dword v106, off, s[0:3], 0 offset:456
	buffer_load_dword v109, off, s[0:3], 0 offset:452
	buffer_load_dword v108, off, s[0:3], 0 offset:448
	buffer_load_dword v79, off, s[0:3], 0 offset:508
	buffer_load_dword v78, off, s[0:3], 0 offset:504
	buffer_load_dword v81, off, s[0:3], 0 offset:500
	buffer_load_dword v80, off, s[0:3], 0 offset:496
	buffer_load_dword v99, off, s[0:3], 0 offset:492
	buffer_load_dword v98, off, s[0:3], 0 offset:488
	buffer_load_dword v101, off, s[0:3], 0 offset:484
	buffer_load_dword v100, off, s[0:3], 0 offset:480
	buffer_load_dword v75, off, s[0:3], 0 offset:540
	buffer_load_dword v74, off, s[0:3], 0 offset:536
	buffer_load_dword v73, off, s[0:3], 0 offset:532
	buffer_load_dword v72, off, s[0:3], 0 offset:528
	buffer_load_dword v87, off, s[0:3], 0 offset:524
	buffer_load_dword v86, off, s[0:3], 0 offset:520
	buffer_load_dword v89, off, s[0:3], 0 offset:516
	buffer_load_dword v88, off, s[0:3], 0 offset:512
	ds_read_b128 v[148:151], v76 offset:1232
	ds_read_b128 v[164:167], v76 offset:1248
	s_waitcnt vmcnt(62)
	v_fmac_f64_e32 v[14:15], v[6:7], v[252:253]
	v_add_f64 v[0:1], v[0:1], v[14:15]
	v_fmac_f64_e32 v[38:39], v[124:125], v[62:63]
	v_add_f64 v[0:1], v[0:1], v[16:17]
	s_waitcnt lgkmcnt(2)
	v_mul_f64 v[2:3], v[126:127], v[60:61]
	v_add_f64 v[0:1], v[0:1], v[38:39]
	v_fmac_f64_e32 v[2:3], v[128:129], v[190:191]
	ds_read_b128 v[192:195], v76 offset:1264
	ds_read_b128 v[200:203], v76 offset:1280
	v_add_f64 v[0:1], v[0:1], v[2:3]
	s_waitcnt lgkmcnt(3)
	v_mul_f64 v[2:3], v[148:149], v[94:95]
	v_fmac_f64_e32 v[2:3], v[150:151], v[96:97]
	v_add_f64 v[0:1], v[0:1], v[2:3]
	s_waitcnt lgkmcnt(2)
	v_mul_f64 v[2:3], v[164:165], v[82:83]
	v_fmac_f64_e32 v[2:3], v[166:167], v[84:85]
	ds_read_b128 v[204:207], v76 offset:1296
	ds_read_b128 v[214:217], v76 offset:1312
	v_add_f64 v[0:1], v[0:1], v[2:3]
	s_waitcnt lgkmcnt(3)
	v_mul_f64 v[2:3], v[192:193], v[156:157]
	v_fmac_f64_e32 v[2:3], v[194:195], v[162:163]
	v_add_f64 v[0:1], v[0:1], v[2:3]
	s_waitcnt lgkmcnt(2)
	v_mul_f64 v[2:3], v[200:201], v[158:159]
	v_fmac_f64_e32 v[2:3], v[202:203], v[160:161]
	ds_read_b128 v[218:221], v76 offset:1328
	ds_read_b128 v[222:225], v76 offset:1344
	v_add_f64 v[0:1], v[0:1], v[2:3]
	s_waitcnt vmcnt(58) lgkmcnt(3)
	v_mul_f64 v[2:3], v[204:205], v[12:13]
	s_waitcnt vmcnt(56)
	v_fmac_f64_e32 v[2:3], v[206:207], v[254:255]
	v_add_f64 v[0:1], v[0:1], v[2:3]
	s_waitcnt lgkmcnt(2)
	v_mul_f64 v[2:3], v[214:215], v[110:111]
	v_fmac_f64_e32 v[2:3], v[216:217], v[112:113]
	ds_read_b128 v[226:229], v76 offset:1360
	ds_read_b128 v[230:233], v76 offset:1376
	v_add_f64 v[0:1], v[0:1], v[2:3]
	s_waitcnt vmcnt(50) lgkmcnt(3)
	v_mul_f64 v[2:3], v[218:219], v[168:169]
	s_waitcnt vmcnt(48)
	;; [unrolled: 11-line block ×3, first 2 shown]
	v_fmac_f64_e32 v[2:3], v[228:229], v[180:181]
	v_add_f64 v[0:1], v[0:1], v[2:3]
	s_waitcnt lgkmcnt(2)
	v_mul_f64 v[2:3], v[230:231], v[182:183]
	v_fmac_f64_e32 v[2:3], v[232:233], v[184:185]
	ds_read_b128 v[38:41], v76 offset:1424
	v_add_f64 v[0:1], v[0:1], v[2:3]
	s_waitcnt vmcnt(34) lgkmcnt(2)
	v_mul_f64 v[2:3], v[234:235], v[186:187]
	s_waitcnt vmcnt(32)
	v_fmac_f64_e32 v[2:3], v[236:237], v[188:189]
	buffer_load_dword v209, off, s[0:3], 0 offset:556
	buffer_load_dword v208, off, s[0:3], 0 offset:552
	;; [unrolled: 1-line block ×4, first 2 shown]
	ds_read_b128 v[42:45], v76 offset:1440
	v_add_f64 v[0:1], v[0:1], v[2:3]
	s_waitcnt lgkmcnt(2)
	v_mul_f64 v[2:3], v[246:247], v[114:115]
	v_fmac_f64_e32 v[2:3], v[248:249], v[116:117]
	v_add_f64 v[0:1], v[0:1], v[2:3]
	s_waitcnt vmcnt(30) lgkmcnt(1)
	v_mul_f64 v[2:3], v[38:39], v[196:197]
	s_waitcnt vmcnt(28)
	v_fmac_f64_e32 v[2:3], v[40:41], v[198:199]
	v_add_f64 v[0:1], v[0:1], v[2:3]
	s_waitcnt lgkmcnt(0)
	v_mul_f64 v[2:3], v[42:43], v[102:103]
	v_fmac_f64_e32 v[2:3], v[44:45], v[104:105]
	buffer_load_dword v211, off, s[0:3], 0 offset:572
	buffer_load_dword v210, off, s[0:3], 0 offset:568
	ds_read_b128 v[46:49], v76 offset:1456
	buffer_load_dword v213, off, s[0:3], 0 offset:564
	buffer_load_dword v212, off, s[0:3], 0 offset:560
	v_add_f64 v[0:1], v[0:1], v[2:3]
	ds_read_b128 v[50:53], v76 offset:1472
	buffer_load_dword v3, off, s[0:3], 0 offset:588
	buffer_load_dword v2, off, s[0:3], 0 offset:584
	v_mul_f64 v[6:7], v[6:7], v[244:245]
	v_fma_f64 v[244:245], v[4:5], v[252:253], -v[6:7]
	v_mul_f64 v[12:13], v[206:207], v[12:13]
	v_fma_f64 v[254:255], v[204:205], v[254:255], -v[12:13]
	v_mul_f64 v[40:41], v[40:41], v[196:197]
	s_waitcnt vmcnt(0)
	v_pk_mov_b32 v[16:17], v[2:3], v[2:3] op_sel:[0,1]
	buffer_load_dword v3, off, s[0:3], 0 offset:580
	buffer_load_dword v2, off, s[0:3], 0 offset:576
	;; [unrolled: 1-line block ×10, first 2 shown]
	v_accvgpr_write_b32 a199, v17
	v_accvgpr_write_b32 a198, v16
	s_waitcnt vmcnt(6)
	v_accvgpr_write_b32 a211, v135
	v_accvgpr_write_b32 a210, v134
	s_waitcnt vmcnt(4)
	;; [unrolled: 3-line block ×3, first 2 shown]
	v_accvgpr_write_b32 a213, v137
	v_pk_mov_b32 v[144:145], v[2:3], v[2:3] op_sel:[0,1]
	s_waitcnt lgkmcnt(1)
	v_mul_f64 v[2:3], v[46:47], v[106:107]
	v_fmac_f64_e32 v[2:3], v[48:49], v[108:109]
	v_add_f64 v[0:1], v[0:1], v[2:3]
	v_mul_f64 v[2:3], v[36:37], v[54:55]
	v_fma_f64 v[2:3], v[34:35], v[130:131], -v[2:3]
	v_accvgpr_write_b32 a235, v3
	v_accvgpr_write_b32 a234, v2
	buffer_load_dword v2, off, s[0:3], 0 offset:632
	buffer_load_dword v8, off, s[0:3], 0 offset:624
	;; [unrolled: 1-line block ×3, first 2 shown]
	ds_read_b128 v[54:57], v76 offset:1488
	buffer_load_dword v9, off, s[0:3], 0 offset:628
	v_accvgpr_write_b32 a212, v136
	v_accvgpr_write_b32 a201, v145
	;; [unrolled: 1-line block ×3, first 2 shown]
	s_waitcnt vmcnt(4)
	v_accvgpr_write_b32 a217, v133
	v_accvgpr_write_b32 a216, v132
	s_waitcnt vmcnt(1)
	v_pk_mov_b32 v[34:35], v[2:3], v[2:3] op_sel:[0,1]
	s_waitcnt lgkmcnt(1)
	v_mul_f64 v[2:3], v[50:51], v[90:91]
	v_fmac_f64_e32 v[2:3], v[52:53], v[92:93]
	v_add_f64 v[0:1], v[0:1], v[2:3]
	v_mul_f64 v[2:3], v[32:33], v[66:67]
	v_fma_f64 v[2:3], v[30:31], v[64:65], -v[2:3]
	ds_read_b128 v[64:67], v76 offset:1504
	v_accvgpr_write_b32 a237, v3
	v_accvgpr_write_b32 a236, v2
	s_waitcnt lgkmcnt(1)
	v_mul_f64 v[2:3], v[54:55], v[98:99]
	v_fmac_f64_e32 v[2:3], v[56:57], v[100:101]
	v_add_f64 v[0:1], v[0:1], v[2:3]
	v_mul_f64 v[2:3], v[28:29], v[68:69]
	v_fma_f64 v[238:239], v[26:27], v[70:71], -v[2:3]
	buffer_load_dword v3, off, s[0:3], 0 offset:652
	buffer_load_dword v2, off, s[0:3], 0 offset:648
	s_waitcnt vmcnt(2)
	v_pk_mov_b32 v[36:37], v[8:9], v[8:9] op_sel:[0,1]
	v_mul_f64 v[8:9], v[24:25], v[140:141]
	v_fma_f64 v[250:251], v[22:23], v[142:143], -v[8:9]
	v_accvgpr_write_b32 a221, v37
	v_accvgpr_write_b32 a219, v35
	;; [unrolled: 1-line block ×4, first 2 shown]
	v_mul_f64 v[52:53], v[52:53], v[90:91]
	v_mul_f64 v[56:57], v[56:57], v[98:99]
	s_waitcnt vmcnt(0)
	v_pk_mov_b32 v[26:27], v[2:3], v[2:3] op_sel:[0,1]
	buffer_load_dword v3, off, s[0:3], 0 offset:644
	buffer_load_dword v2, off, s[0:3], 0 offset:640
	ds_read_b128 v[68:71], v76 offset:1520
	buffer_load_dword v9, off, s[0:3], 0 offset:668
	buffer_load_dword v8, off, s[0:3], 0 offset:664
	v_accvgpr_write_b32 a223, v27
	v_accvgpr_write_b32 a222, v26
	s_waitcnt vmcnt(2)
	v_pk_mov_b32 v[28:29], v[2:3], v[2:3] op_sel:[0,1]
	s_waitcnt lgkmcnt(1)
	v_mul_f64 v[2:3], v[64:65], v[78:79]
	s_waitcnt vmcnt(0)
	v_pk_mov_b32 v[30:31], v[8:9], v[8:9] op_sel:[0,1]
	buffer_load_dword v9, off, s[0:3], 0 offset:660
	buffer_load_dword v8, off, s[0:3], 0 offset:656
	v_fmac_f64_e32 v[2:3], v[66:67], v[80:81]
	v_add_f64 v[22:23], v[0:1], v[2:3]
	v_mul_f64 v[0:1], v[20:21], v[146:147]
	buffer_load_dword v241, off, s[0:3], 0 offset:684
	buffer_load_dword v240, off, s[0:3], 0 offset:680
	;; [unrolled: 1-line block ×4, first 2 shown]
	v_fma_f64 v[130:131], v[18:19], v[152:153], -v[0:1]
	ds_read_b128 v[0:3], v76 offset:1536
	s_waitcnt lgkmcnt(1)
	v_mul_f64 v[18:19], v[68:69], v[86:87]
	v_fmac_f64_e32 v[18:19], v[70:71], v[88:89]
	v_add_f64 v[4:5], v[22:23], v[18:19]
	v_mul_f64 v[20:21], v[120:121], v[172:173]
	v_fma_f64 v[252:253], v[118:119], v[58:59], -v[20:21]
	v_accvgpr_write_b32 a227, v31
	v_accvgpr_write_b32 a226, v30
	;; [unrolled: 1-line block ×4, first 2 shown]
	s_waitcnt vmcnt(4)
	v_pk_mov_b32 v[32:33], v[8:9], v[8:9] op_sel:[0,1]
	ds_read_b128 v[8:11], v76 offset:1552
	s_waitcnt lgkmcnt(1)
	v_mul_f64 v[6:7], v[0:1], v[74:75]
	v_fmac_f64_e32 v[6:7], v[2:3], v[72:73]
	v_add_f64 v[4:5], v[4:5], v[6:7]
	v_accvgpr_write_b32 a229, v33
	s_waitcnt lgkmcnt(0)
	v_mul_f64 v[6:7], v[8:9], v[208:209]
	v_fmac_f64_e32 v[6:7], v[10:11], v[14:15]
	v_add_f64 v[18:19], v[4:5], v[6:7]
	ds_read_b128 v[4:7], v76 offset:1568
	buffer_load_dword v23, off, s[0:3], 0 offset:700
	buffer_load_dword v22, off, s[0:3], 0 offset:696
	s_waitcnt vmcnt(2)
	v_accvgpr_write_b32 a232, v242
	v_accvgpr_write_b32 a228, v32
	;; [unrolled: 1-line block ×3, first 2 shown]
	s_waitcnt lgkmcnt(0)
	v_mul_f64 v[20:21], v[4:5], v[210:211]
	v_fmac_f64_e32 v[20:21], v[6:7], v[212:213]
	v_add_f64 v[18:19], v[18:19], v[20:21]
	v_mul_f64 v[20:21], v[124:125], v[154:155]
	v_fma_f64 v[172:173], v[122:123], v[62:63], -v[20:21]
	v_accvgpr_write_b32 a230, v240
	v_accvgpr_write_b32 a231, v241
	v_mul_f64 v[2:3], v[2:3], v[74:75]
	v_mul_f64 v[10:11], v[10:11], v[208:209]
	;; [unrolled: 1-line block ×3, first 2 shown]
	v_fma_f64 v[74:75], v[4:5], v[212:213], -v[6:7]
	ds_read_b128 v[118:121], v76 offset:1600
	s_waitcnt lgkmcnt(0)
	v_accvgpr_write_b32 a205, v121
	v_accvgpr_write_b32 a204, v120
	;; [unrolled: 1-line block ×4, first 2 shown]
	s_waitcnt vmcnt(0)
	v_pk_mov_b32 v[58:59], v[22:23], v[22:23] op_sel:[0,1]
	ds_read_b128 v[22:25], v76 offset:1584
	s_waitcnt lgkmcnt(0)
	v_accvgpr_write_b32 a197, v25
	v_mul_f64 v[20:21], v[22:23], v[16:17]
	v_accvgpr_write_b32 a196, v24
	v_accvgpr_write_b32 a195, v23
	;; [unrolled: 1-line block ×3, first 2 shown]
	v_mul_f64 v[22:23], v[128:129], v[60:61]
	v_fmac_f64_e32 v[20:21], v[24:25], v[144:145]
	v_fma_f64 v[60:61], v[126:127], v[190:191], -v[22:23]
	ds_read_b128 v[22:25], v76 offset:1616
	v_add_f64 v[18:19], v[18:19], v[20:21]
	v_mul_f64 v[20:21], v[118:119], v[134:135]
	v_fmac_f64_e32 v[20:21], v[120:121], v[138:139]
	ds_read_b128 v[138:141], v76 offset:1632
	v_add_f64 v[18:19], v[18:19], v[20:21]
	s_waitcnt lgkmcnt(1)
	v_mul_f64 v[20:21], v[22:23], v[136:137]
	v_fmac_f64_e32 v[20:21], v[24:25], v[132:133]
	v_accvgpr_write_b32 a209, v25
	v_accvgpr_write_b32 a208, v24
	;; [unrolled: 1-line block ×4, first 2 shown]
	v_add_f64 v[22:23], v[18:19], v[20:21]
	v_mul_f64 v[18:19], v[150:151], v[94:95]
	v_fma_f64 v[94:95], v[148:149], v[96:97], -v[18:19]
	ds_read_b128 v[126:129], v76 offset:1648
	buffer_load_dword v143, off, s[0:3], 0 offset:692
	buffer_load_dword v142, off, s[0:3], 0 offset:688
	;; [unrolled: 1-line block ×10, first 2 shown]
	s_waitcnt lgkmcnt(1)
	v_mul_f64 v[24:25], v[138:139], v[34:35]
	v_fmac_f64_e32 v[24:25], v[140:141], v[36:37]
	v_add_f64 v[22:23], v[22:23], v[24:25]
	v_mul_f64 v[24:25], v[166:167], v[82:83]
	v_fma_f64 v[96:97], v[164:165], v[84:85], -v[24:25]
	v_mul_f64 v[24:25], v[194:195], v[156:157]
	v_fma_f64 v[82:83], v[192:193], v[162:163], -v[24:25]
	s_waitcnt lgkmcnt(0)
	v_mul_f64 v[24:25], v[126:127], v[26:27]
	v_mul_f64 v[26:27], v[202:203], v[158:159]
	ds_read_b128 v[150:153], v76 offset:1664
	ds_read_b128 v[146:149], v76 offset:1680
	v_fma_f64 v[84:85], v[200:201], v[160:161], -v[26:27]
	ds_read_b128 v[134:137], v76 offset:1696
	buffer_load_dword v159, off, s[0:3], 0 offset:748
	buffer_load_dword v158, off, s[0:3], 0 offset:744
	;; [unrolled: 1-line block ×8, first 2 shown]
	v_fmac_f64_e32 v[24:25], v[128:129], v[28:29]
	s_waitcnt lgkmcnt(2)
	v_mul_f64 v[36:37], v[150:151], v[30:31]
	v_add_f64 v[34:35], v[22:23], v[24:25]
	v_fmac_f64_e32 v[36:37], v[152:153], v[32:33]
	s_waitcnt lgkmcnt(1)
	v_mul_f64 v[12:13], v[146:147], v[240:241]
	v_add_f64 v[34:35], v[34:35], v[36:37]
	v_fmac_f64_e32 v[12:13], v[148:149], v[242:243]
	v_add_f64 v[34:35], v[34:35], v[12:13]
	v_mul_f64 v[12:13], v[216:217], v[110:111]
	v_mul_f64 v[36:37], v[224:225], v[174:175]
	v_fma_f64 v[32:33], v[214:215], v[112:113], -v[12:13]
	v_fma_f64 v[214:215], v[222:223], v[176:177], -v[36:37]
	s_waitcnt lgkmcnt(0)
	v_mul_f64 v[36:37], v[134:135], v[58:59]
	v_pk_mov_b32 v[242:243], v[58:59], v[58:59] op_sel:[0,1]
	v_mul_f64 v[58:59], v[228:229], v[178:179]
	v_fma_f64 v[216:217], v[226:227], v[180:181], -v[58:59]
	v_mul_f64 v[58:59], v[232:233], v[182:183]
	v_fma_f64 v[232:233], v[230:231], v[184:185], -v[58:59]
	;; [unrolled: 2-line block ×3, first 2 shown]
	v_fma_f64 v[22:23], v[38:39], v[198:199], -v[40:41]
	v_mul_f64 v[26:27], v[248:249], v[114:115]
	v_mul_f64 v[38:39], v[44:45], v[102:103]
	v_fma_f64 v[26:27], v[246:247], v[116:117], -v[26:27]
	v_fma_f64 v[246:247], v[42:43], v[104:105], -v[38:39]
	v_mul_f64 v[42:43], v[48:49], v[106:107]
	v_fma_f64 v[20:21], v[46:47], v[108:109], -v[42:43]
	v_fma_f64 v[144:145], v[54:55], v[100:101], -v[56:57]
	;; [unrolled: 1-line block ×3, first 2 shown]
	s_waitcnt vmcnt(16)
	v_fmac_f64_e32 v[36:37], v[136:137], v[142:143]
	v_add_f64 v[24:25], v[34:35], v[36:37]
	s_waitcnt vmcnt(9)
	v_pk_mov_b32 v[248:249], v[16:17], v[16:17] op_sel:[0,1]
	s_waitcnt vmcnt(8)
	v_pk_mov_b32 v[62:63], v[18:19], v[18:19] op_sel:[0,1]
	v_mul_f64 v[18:19], v[220:221], v[168:169]
	v_fma_f64 v[30:31], v[218:219], v[170:171], -v[18:19]
	buffer_load_dword v163, off, s[0:3], 0 offset:796
	buffer_load_dword v162, off, s[0:3], 0 offset:792
	;; [unrolled: 1-line block ×40, first 2 shown]
	ds_read_b128 v[118:121], v76 offset:1712
	ds_read_b128 v[38:41], v76 offset:1728
	;; [unrolled: 1-line block ×3, first 2 shown]
	v_fma_f64 v[18:19], v[50:51], v[92:93], -v[52:53]
	ds_read_b128 v[50:53], v76 offset:1776
	s_waitcnt lgkmcnt(3)
	v_mul_f64 v[58:59], v[118:119], v[190:191]
	v_fmac_f64_e32 v[58:59], v[120:121], v[124:125]
	s_waitcnt lgkmcnt(2)
	v_mul_f64 v[46:47], v[38:39], v[16:17]
	v_add_f64 v[24:25], v[24:25], v[58:59]
	v_fmac_f64_e32 v[46:47], v[40:41], v[62:63]
	v_add_f64 v[24:25], v[24:25], v[46:47]
	s_waitcnt vmcnt(46) lgkmcnt(1)
	v_mul_f64 v[46:47], v[42:43], v[158:159]
	s_waitcnt vmcnt(44)
	v_fmac_f64_e32 v[46:47], v[44:45], v[160:161]
	v_add_f64 v[24:25], v[24:25], v[46:47]
	ds_read_b128 v[46:49], v76 offset:1760
	ds_read_b128 v[54:57], v76 offset:1792
	;; [unrolled: 1-line block ×3, first 2 shown]
	v_pk_mov_b32 v[240:241], v[62:63], v[62:63] op_sel:[0,1]
	v_mul_f64 v[62:63], v[66:67], v[78:79]
	s_waitcnt vmcnt(42) lgkmcnt(2)
	v_mul_f64 v[58:59], v[46:47], v[164:165]
	s_waitcnt vmcnt(40)
	v_fmac_f64_e32 v[58:59], v[48:49], v[166:167]
	v_add_f64 v[24:25], v[24:25], v[58:59]
	v_fma_f64 v[16:17], v[64:65], v[80:81], -v[62:63]
	ds_read_b128 v[62:65], v76 offset:1824
	ds_read_b128 v[154:157], v76 offset:1856
	s_waitcnt vmcnt(30) lgkmcnt(2)
	v_mul_f64 v[66:67], v[34:35], v[174:175]
	v_mul_f64 v[58:59], v[50:51], v[170:171]
	s_waitcnt vmcnt(28)
	v_fmac_f64_e32 v[66:67], v[36:37], v[180:181]
	v_fmac_f64_e32 v[58:59], v[52:53], v[122:123]
	v_add_f64 v[24:25], v[24:25], v[58:59]
	v_mul_f64 v[58:59], v[54:55], v[162:163]
	v_fmac_f64_e32 v[58:59], v[56:57], v[168:169]
	v_add_f64 v[24:25], v[24:25], v[58:59]
	v_add_f64 v[24:25], v[24:25], v[66:67]
	v_mul_f64 v[66:67], v[70:71], v[86:87]
	v_fma_f64 v[132:133], v[68:69], v[88:89], -v[66:67]
	ds_read_b128 v[66:69], v76 offset:1840
	s_waitcnt vmcnt(25) lgkmcnt(2)
	v_mul_f64 v[70:71], v[62:63], v[176:177]
	s_waitcnt vmcnt(24)
	v_fmac_f64_e32 v[70:71], v[64:65], v[178:179]
	v_add_f64 v[24:25], v[24:25], v[70:71]
	ds_read_b128 v[70:73], v76 offset:1872
	s_waitcnt vmcnt(21) lgkmcnt(1)
	v_mul_f64 v[2:3], v[66:67], v[184:185]
	s_waitcnt vmcnt(19)
	v_fmac_f64_e32 v[2:3], v[68:69], v[192:193]
	v_add_f64 v[2:3], v[24:25], v[2:3]
	s_waitcnt vmcnt(18)
	v_mul_f64 v[24:25], v[154:155], v[182:183]
	s_waitcnt vmcnt(16)
	v_fmac_f64_e32 v[24:25], v[156:157], v[188:189]
	v_add_f64 v[2:3], v[2:3], v[24:25]
	v_fma_f64 v[24:25], v[8:9], v[14:15], -v[10:11]
	ds_read_b128 v[8:11], v76 offset:1888
	s_waitcnt vmcnt(14) lgkmcnt(1)
	v_mul_f64 v[78:79], v[70:71], v[186:187]
	s_waitcnt vmcnt(12)
	v_fmac_f64_e32 v[78:79], v[72:73], v[194:195]
	v_add_f64 v[2:3], v[2:3], v[78:79]
	ds_read_b128 v[78:81], v76 offset:1904
	ds_read_b128 v[86:89], v76 offset:1920
	s_waitcnt vmcnt(10) lgkmcnt(2)
	v_mul_f64 v[4:5], v[8:9], v[198:199]
	s_waitcnt vmcnt(8)
	v_fmac_f64_e32 v[4:5], v[10:11], v[200:201]
	v_add_f64 v[2:3], v[2:3], v[4:5]
	s_waitcnt vmcnt(5) lgkmcnt(1)
	v_mul_f64 v[4:5], v[78:79], v[204:205]
	s_waitcnt vmcnt(3)
	v_fmac_f64_e32 v[4:5], v[80:81], v[206:207]
	v_add_f64 v[2:3], v[2:3], v[4:5]
	;; [unrolled: 5-line block ×3, first 2 shown]
	buffer_load_dword v3, off, s[0:3], 0 offset:940
	buffer_load_dword v2, off, s[0:3], 0 offset:936
	;; [unrolled: 1-line block ×4, first 2 shown]
	ds_read_b128 v[90:93], v76 offset:1936
	v_mul_f64 v[10:11], v[10:11], v[198:199]
	v_fma_f64 v[8:9], v[8:9], v[200:201], -v[10:11]
	s_waitcnt vmcnt(2) lgkmcnt(0)
	v_mul_f64 v[6:7], v[90:91], v[2:3]
	v_mul_f64 v[2:3], v[92:93], v[2:3]
	s_waitcnt vmcnt(0)
	v_fmac_f64_e32 v[6:7], v[92:93], v[14:15]
	v_add_f64 v[6:7], v[4:5], v[6:7]
	buffer_load_dword v212, off, s[0:3], 0 offset:952
	buffer_load_dword v213, off, s[0:3], 0 offset:956
	;; [unrolled: 1-line block ×4, first 2 shown]
	ds_read_b128 v[208:211], v76 offset:1952
	v_fma_f64 v[2:3], v[90:91], v[14:15], -v[2:3]
	s_waitcnt vmcnt(2) lgkmcnt(0)
	v_mul_f64 v[98:99], v[208:209], v[212:213]
	s_waitcnt vmcnt(0)
	v_fmac_f64_e32 v[98:99], v[210:211], v[4:5]
	v_add_f64 v[102:103], v[6:7], v[98:99]
	buffer_load_dword v7, off, s[0:3], 0 offset:972
	buffer_load_dword v6, off, s[0:3], 0 offset:968
	;; [unrolled: 1-line block ×4, first 2 shown]
	ds_read_b128 v[98:101], v76 offset:1968
	buffer_load_dword v220, off, s[0:3], 0 offset:984
	buffer_load_dword v221, off, s[0:3], 0 offset:988
	buffer_load_dword v222, off, s[0:3], 0 offset:976
	buffer_load_dword v223, off, s[0:3], 0 offset:980
	s_waitcnt vmcnt(6) lgkmcnt(0)
	v_mul_f64 v[104:105], v[98:99], v[6:7]
	s_waitcnt vmcnt(4)
	v_fmac_f64_e32 v[104:105], v[100:101], v[218:219]
	v_add_f64 v[106:107], v[102:103], v[104:105]
	ds_read_b128 v[102:105], v76 offset:1984
	buffer_load_dword v225, off, s[0:3], 0 offset:1004
	buffer_load_dword v224, off, s[0:3], 0 offset:1000
	buffer_load_dword v227, off, s[0:3], 0 offset:996
	buffer_load_dword v226, off, s[0:3], 0 offset:992
	s_waitcnt vmcnt(6) lgkmcnt(0)
	v_mul_f64 v[108:109], v[102:103], v[220:221]
	s_waitcnt vmcnt(4)
	v_fmac_f64_e32 v[108:109], v[104:105], v[222:223]
	v_add_f64 v[110:111], v[106:107], v[108:109]
	;; [unrolled: 10-line block ×4, first 2 shown]
	ds_read_b128 v[114:117], v76 offset:2032
	v_accvgpr_read_b32 v76, a236
	v_accvgpr_read_b32 v77, a237
	s_waitcnt vmcnt(2) lgkmcnt(0)
	v_mul_f64 v[58:59], v[114:115], v[234:235]
	s_waitcnt vmcnt(0)
	v_fmac_f64_e32 v[58:59], v[116:117], v[236:237]
	v_add_f64 v[58:59], v[0:1], v[58:59]
	v_accvgpr_read_b32 v0, a234
	v_accvgpr_read_b32 v1, a235
	v_add_f64 v[0:1], v[0:1], 0
	v_add_f64 v[0:1], v[0:1], v[76:77]
	;; [unrolled: 1-line block ×24, first 2 shown]
	buffer_load_dword v252, off, s[0:3], 0 offset:64
	buffer_load_dword v253, off, s[0:3], 0 offset:68
	;; [unrolled: 1-line block ×4, first 2 shown]
	v_add_f64 v[0:1], v[0:1], v[18:19]
	v_add_f64 v[0:1], v[0:1], v[144:145]
	;; [unrolled: 1-line block ×5, first 2 shown]
	v_accvgpr_read_b32 v16, a194
	v_accvgpr_read_b32 v12, a198
	;; [unrolled: 1-line block ×5, first 2 shown]
	v_mul_f64 v[12:13], v[18:19], v[12:13]
	v_accvgpr_read_b32 v18, a200
	v_add_f64 v[0:1], v[254:255], v[24:25]
	v_accvgpr_read_b32 v17, a195
	v_accvgpr_read_b32 v19, a201
	v_add_f64 v[0:1], v[0:1], v[74:75]
	v_fma_f64 v[12:13], v[16:17], v[18:19], -v[12:13]
	v_add_f64 v[0:1], v[0:1], v[12:13]
	v_accvgpr_read_b32 v16, a202
	v_accvgpr_read_b32 v12, a210
	;; [unrolled: 1-line block ×5, first 2 shown]
	v_mul_f64 v[12:13], v[18:19], v[12:13]
	v_accvgpr_read_b32 v18, a214
	v_accvgpr_read_b32 v17, a203
	;; [unrolled: 1-line block ×3, first 2 shown]
	v_fma_f64 v[12:13], v[16:17], v[18:19], -v[12:13]
	v_add_f64 v[0:1], v[0:1], v[12:13]
	v_accvgpr_read_b32 v16, a206
	v_accvgpr_read_b32 v12, a212
	;; [unrolled: 1-line block ×5, first 2 shown]
	v_mul_f64 v[12:13], v[18:19], v[12:13]
	v_accvgpr_read_b32 v18, a216
	v_accvgpr_read_b32 v17, a207
	v_accvgpr_read_b32 v19, a217
	v_fma_f64 v[12:13], v[16:17], v[18:19], -v[12:13]
	v_add_f64 v[0:1], v[0:1], v[12:13]
	v_accvgpr_read_b32 v12, a218
	v_accvgpr_read_b32 v13, a219
	v_accvgpr_read_b32 v16, a220
	v_mul_f64 v[12:13], v[140:141], v[12:13]
	v_accvgpr_read_b32 v17, a221
	v_fma_f64 v[12:13], v[138:139], v[16:17], -v[12:13]
	v_add_f64 v[0:1], v[0:1], v[12:13]
	v_accvgpr_read_b32 v12, a222
	v_accvgpr_read_b32 v13, a223
	v_accvgpr_read_b32 v16, a224
	v_mul_f64 v[12:13], v[128:129], v[12:13]
	v_accvgpr_read_b32 v17, a225
	;; [unrolled: 7-line block ×4, first 2 shown]
	v_fma_f64 v[12:13], v[146:147], v[16:17], -v[12:13]
	v_add_f64 v[0:1], v[0:1], v[12:13]
	v_mul_f64 v[12:13], v[136:137], v[242:243]
	v_fma_f64 v[12:13], v[134:135], v[142:143], -v[12:13]
	v_add_f64 v[0:1], v[0:1], v[12:13]
	v_mul_f64 v[12:13], v[120:121], v[190:191]
	;; [unrolled: 3-line block ×12, first 2 shown]
	v_fma_f64 v[12:13], v[70:71], v[194:195], -v[12:13]
	v_add_f64 v[0:1], v[0:1], v[12:13]
	v_add_f64 v[0:1], v[0:1], v[8:9]
	v_mul_f64 v[8:9], v[80:81], v[204:205]
	v_fma_f64 v[8:9], v[78:79], v[206:207], -v[8:9]
	v_add_f64 v[0:1], v[0:1], v[8:9]
	v_mul_f64 v[8:9], v[88:89], v[196:197]
	v_fma_f64 v[8:9], v[86:87], v[202:203], -v[8:9]
	v_add_f64 v[0:1], v[0:1], v[8:9]
	v_add_f64 v[0:1], v[0:1], v[2:3]
	v_mul_f64 v[2:3], v[210:211], v[212:213]
	v_fma_f64 v[2:3], v[208:209], v[4:5], -v[2:3]
	v_add_f64 v[0:1], v[0:1], v[2:3]
	v_mul_f64 v[2:3], v[100:101], v[6:7]
	v_fma_f64 v[2:3], v[98:99], v[218:219], -v[2:3]
	v_add_f64 v[0:1], v[0:1], v[2:3]
	v_mul_f64 v[2:3], v[104:105], v[220:221]
	v_fma_f64 v[2:3], v[102:103], v[222:223], -v[2:3]
	v_add_f64 v[0:1], v[0:1], v[2:3]
	v_mul_f64 v[2:3], v[108:109], v[224:225]
	v_fma_f64 v[2:3], v[106:107], v[226:227], -v[2:3]
	v_add_f64 v[0:1], v[0:1], v[2:3]
	v_mul_f64 v[2:3], v[112:113], v[228:229]
	v_fma_f64 v[2:3], v[110:111], v[230:231], -v[2:3]
	v_add_f64 v[0:1], v[0:1], v[2:3]
	v_mul_f64 v[2:3], v[116:117], v[234:235]
	v_fma_f64 v[2:3], v[114:115], v[236:237], -v[2:3]
	v_add_f64 v[0:1], v[0:1], v[2:3]
	s_waitcnt vmcnt(2)
	v_add_f64 v[0:1], v[252:253], -v[0:1]
	s_waitcnt vmcnt(0)
	v_add_f64 v[2:3], v[250:251], -v[58:59]
	buffer_store_dword v1, off, s[0:3], 0 offset:68
	buffer_store_dword v0, off, s[0:3], 0 offset:64
	;; [unrolled: 1-line block ×4, first 2 shown]
	v_accvgpr_read_b32 v0, a191
	v_cmp_lt_u32_e32 vcc, 2, v0
	s_and_saveexec_b64 s[4:5], vcc
	s_cbranch_execz .LBB127_405
; %bb.404:
	v_accvgpr_read_b32 v3, a189
	buffer_load_dword v0, v3, s[0:3], 0 offen
	buffer_load_dword v1, v3, s[0:3], 0 offen offset:4
	buffer_load_dword v2, v3, s[0:3], 0 offen offset:8
	s_nop 0
	buffer_load_dword v3, v3, s[0:3], 0 offen offset:12
	v_mov_b32_e32 v4, 0
	v_accvgpr_read_b32 v5, a192
	buffer_store_dword v4, off, s[0:3], 0 offset:48
	buffer_store_dword v4, off, s[0:3], 0 offset:52
	;; [unrolled: 1-line block ×4, first 2 shown]
	s_waitcnt vmcnt(4)
	ds_write_b128 v5, v[0:3]
.LBB127_405:
	s_or_b64 exec, exec, s[4:5]
	s_waitcnt lgkmcnt(0)
	; wave barrier
	s_waitcnt lgkmcnt(0)
	buffer_load_dword v4, off, s[0:3], 0 offset:64
	buffer_load_dword v5, off, s[0:3], 0 offset:68
	;; [unrolled: 1-line block ×54, first 2 shown]
	v_mov_b32_e32 v236, 0
	ds_read_b128 v[126:129], v236 offset:1072
	ds_read_b128 v[130:133], v236 offset:1088
	;; [unrolled: 1-line block ×9, first 2 shown]
	s_waitcnt vmcnt(50) lgkmcnt(8)
	v_mul_f64 v[16:17], v[126:127], v[6:7]
	v_fmac_f64_e32 v[16:17], v[128:129], v[4:5]
	v_add_f64 v[16:17], v[16:17], 0
	v_mul_f64 v[6:7], v[128:129], v[6:7]
	s_waitcnt vmcnt(46) lgkmcnt(7)
	v_mul_f64 v[18:19], v[130:131], v[2:3]
	v_fmac_f64_e32 v[18:19], v[132:133], v[0:1]
	s_waitcnt vmcnt(44) lgkmcnt(6)
	v_mul_f64 v[46:47], v[134:135], v[242:243]
	v_add_f64 v[16:17], v[16:17], v[18:19]
	s_waitcnt vmcnt(42) lgkmcnt(4)
	v_mul_f64 v[50:51], v[146:147], v[8:9]
	v_mul_f64 v[2:3], v[132:133], v[2:3]
	s_waitcnt vmcnt(40)
	v_fmac_f64_e32 v[50:51], v[148:149], v[14:15]
	v_fma_f64 v[4:5], v[126:127], v[4:5], -v[6:7]
	s_waitcnt vmcnt(38)
	v_mul_f64 v[48:49], v[140:141], v[56:57]
	v_fma_f64 v[0:1], v[130:131], v[0:1], -v[2:3]
	s_waitcnt vmcnt(36) lgkmcnt(2)
	v_mul_f64 v[54:55], v[158:159], v[10:11]
	v_accvgpr_write_b32 a245, v5
	s_waitcnt vmcnt(34)
	v_fmac_f64_e32 v[54:55], v[160:161], v[122:123]
	v_accvgpr_write_b32 a247, v1
	s_waitcnt vmcnt(32)
	v_mul_f64 v[52:53], v[150:151], v[28:29]
	v_accvgpr_write_b32 a244, v4
	s_waitcnt vmcnt(30) lgkmcnt(1)
	v_mul_f64 v[66:67], v[162:163], v[12:13]
	v_accvgpr_write_b32 a246, v0
	s_waitcnt vmcnt(28)
	v_fmac_f64_e32 v[46:47], v[136:137], v[58:59]
	v_add_f64 v[16:17], v[16:17], v[46:47]
	s_waitcnt vmcnt(26)
	v_fmac_f64_e32 v[48:49], v[142:143], v[124:125]
	v_add_f64 v[16:17], v[16:17], v[48:49]
	;; [unrolled: 3-line block ×3, first 2 shown]
	v_add_f64 v[16:17], v[16:17], v[52:53]
	v_add_f64 v[68:69], v[16:17], v[54:55]
	buffer_load_dword v107, off, s[0:3], 0 offset:292
	buffer_load_dword v106, off, s[0:3], 0 offset:288
	;; [unrolled: 1-line block ×62, first 2 shown]
	ds_read_b128 v[170:173], v236 offset:1216
	ds_read_b128 v[174:177], v236 offset:1232
	s_waitcnt vmcnt(62)
	v_fmac_f64_e32 v[66:67], v[164:165], v[138:139]
	v_add_f64 v[66:67], v[68:69], v[66:67]
	s_waitcnt lgkmcnt(2)
	v_mul_f64 v[68:69], v[166:167], v[24:25]
	v_fmac_f64_e32 v[68:69], v[168:169], v[36:37]
	ds_read_b128 v[178:181], v236 offset:1248
	ds_read_b128 v[182:185], v236 offset:1264
	v_add_f64 v[66:67], v[66:67], v[68:69]
	s_waitcnt lgkmcnt(3)
	v_mul_f64 v[68:69], v[170:171], v[42:43]
	v_fmac_f64_e32 v[68:69], v[172:173], v[34:35]
	v_add_f64 v[66:67], v[66:67], v[68:69]
	s_waitcnt lgkmcnt(2)
	v_mul_f64 v[68:69], v[174:175], v[38:39]
	v_fmac_f64_e32 v[68:69], v[176:177], v[40:41]
	ds_read_b128 v[186:189], v236 offset:1280
	ds_read_b128 v[192:195], v236 offset:1296
	v_add_f64 v[66:67], v[66:67], v[68:69]
	s_waitcnt lgkmcnt(3)
	v_mul_f64 v[68:69], v[178:179], v[92:93]
	v_fmac_f64_e32 v[68:69], v[180:181], v[94:95]
	v_add_f64 v[66:67], v[66:67], v[68:69]
	s_waitcnt lgkmcnt(2)
	v_mul_f64 v[68:69], v[182:183], v[154:155]
	v_fmac_f64_e32 v[68:69], v[184:185], v[22:23]
	ds_read_b128 v[196:199], v236 offset:1312
	ds_read_b128 v[200:203], v236 offset:1328
	v_add_f64 v[66:67], v[66:67], v[68:69]
	s_waitcnt vmcnt(58) lgkmcnt(3)
	v_mul_f64 v[68:69], v[186:187], v[190:191]
	s_waitcnt vmcnt(56)
	v_fmac_f64_e32 v[68:69], v[188:189], v[26:27]
	v_add_f64 v[66:67], v[66:67], v[68:69]
	s_waitcnt lgkmcnt(2)
	v_mul_f64 v[68:69], v[192:193], v[62:63]
	v_fmac_f64_e32 v[68:69], v[194:195], v[106:107]
	ds_read_b128 v[204:207], v236 offset:1344
	ds_read_b128 v[212:215], v236 offset:1360
	v_add_f64 v[66:67], v[66:67], v[68:69]
	s_waitcnt vmcnt(50) lgkmcnt(3)
	v_mul_f64 v[68:69], v[196:197], v[116:117]
	s_waitcnt vmcnt(48)
	;; [unrolled: 11-line block ×4, first 2 shown]
	v_fmac_f64_e32 v[68:69], v[218:219], v[98:99]
	v_add_f64 v[66:67], v[66:67], v[68:69]
	s_waitcnt lgkmcnt(2)
	v_mul_f64 v[68:69], v[220:221], v[80:81]
	v_fmac_f64_e32 v[68:69], v[222:223], v[86:87]
	v_add_f64 v[66:67], v[66:67], v[68:69]
	s_waitcnt vmcnt(26) lgkmcnt(1)
	v_mul_f64 v[68:69], v[224:225], v[84:85]
	s_waitcnt vmcnt(24)
	v_fmac_f64_e32 v[68:69], v[226:227], v[90:91]
	v_add_f64 v[66:67], v[66:67], v[68:69]
	s_waitcnt lgkmcnt(0)
	v_mul_f64 v[68:69], v[228:229], v[78:79]
	v_fmac_f64_e32 v[68:69], v[230:231], v[72:73]
	ds_read_b128 v[246:249], v236 offset:1440
	buffer_load_dword v209, off, s[0:3], 0 offset:540
	buffer_load_dword v208, off, s[0:3], 0 offset:536
	;; [unrolled: 1-line block ×4, first 2 shown]
	v_add_f64 v[74:75], v[66:67], v[68:69]
	ds_read_b128 v[66:69], v236 offset:1456
	buffer_load_dword v109, off, s[0:3], 0 offset:556
	buffer_load_dword v108, off, s[0:3], 0 offset:552
	;; [unrolled: 1-line block ×10, first 2 shown]
	s_waitcnt vmcnt(32) lgkmcnt(1)
	v_mul_f64 v[76:77], v[246:247], v[64:65]
	s_waitcnt vmcnt(30)
	v_fmac_f64_e32 v[76:77], v[248:249], v[70:71]
	v_add_f64 v[74:75], v[74:75], v[76:77]
	v_mul_f64 v[12:13], v[164:165], v[12:13]
	v_mul_f64 v[24:25], v[168:169], v[24:25]
	;; [unrolled: 1-line block ×3, first 2 shown]
	s_waitcnt vmcnt(0)
	v_pk_mov_b32 v[144:145], v[118:119], v[118:119] op_sel:[0,1]
	buffer_load_dword v21, off, s[0:3], 0 offset:580
	buffer_load_dword v20, off, s[0:3], 0 offset:576
	;; [unrolled: 1-line block ×4, first 2 shown]
	v_accvgpr_write_b32 a203, v145
	v_accvgpr_write_b32 a202, v144
	s_waitcnt vmcnt(2)
	v_accvgpr_write_b32 a207, v21
	v_accvgpr_write_b32 a206, v20
	s_waitcnt vmcnt(0)
	v_pk_mov_b32 v[232:233], v[118:119], v[118:119] op_sel:[0,1]
	buffer_load_dword v119, off, s[0:3], 0 offset:596
	buffer_load_dword v118, off, s[0:3], 0 offset:592
	ds_read_b128 v[238:241], v236 offset:1472
	buffer_load_dword v4, off, s[0:3], 0 offset:616
	buffer_load_dword v32, off, s[0:3], 0 offset:608
	;; [unrolled: 1-line block ×6, first 2 shown]
	v_accvgpr_write_b32 a204, v232
	s_waitcnt lgkmcnt(0)
	v_mul_f64 v[6:7], v[238:239], v[50:51]
	v_fmac_f64_e32 v[6:7], v[240:241], v[52:53]
	v_accvgpr_write_b32 a205, v233
	s_waitcnt vmcnt(6)
	v_accvgpr_write_b32 a209, v119
	v_accvgpr_write_b32 a208, v118
	s_waitcnt vmcnt(3)
	v_pk_mov_b32 v[128:129], v[4:5], v[4:5] op_sel:[0,1]
	v_mul_f64 v[4:5], v[66:67], v[46:47]
	s_waitcnt vmcnt(0)
	v_pk_mov_b32 v[130:131], v[0:1], v[0:1] op_sel:[0,1]
	buffer_load_dword v1, off, s[0:3], 0 offset:628
	buffer_load_dword v0, off, s[0:3], 0 offset:624
	v_fmac_f64_e32 v[4:5], v[68:69], v[48:49]
	v_add_f64 v[4:5], v[74:75], v[4:5]
	ds_read_b128 v[74:77], v236 offset:1488
	buffer_load_dword v253, off, s[0:3], 0 offset:652
	buffer_load_dword v252, off, s[0:3], 0 offset:648
	;; [unrolled: 1-line block ×4, first 2 shown]
	v_add_f64 v[4:5], v[4:5], v[6:7]
	v_accvgpr_write_b32 a221, v33
	v_accvgpr_write_b32 a220, v32
	s_waitcnt lgkmcnt(0)
	v_mul_f64 v[6:7], v[74:75], v[54:55]
	v_fmac_f64_e32 v[6:7], v[76:77], v[18:19]
	v_add_f64 v[4:5], v[4:5], v[6:7]
	v_accvgpr_write_b32 a219, v129
	v_accvgpr_write_b32 a223, v131
	;; [unrolled: 1-line block ×4, first 2 shown]
	v_mul_f64 v[54:55], v[76:77], v[54:55]
	s_waitcnt vmcnt(4)
	v_pk_mov_b32 v[132:133], v[0:1], v[0:1] op_sel:[0,1]
	v_mul_f64 v[0:1], v[136:137], v[242:243]
	v_fma_f64 v[0:1], v[134:135], v[58:59], -v[0:1]
	v_accvgpr_write_b32 a249, v1
	v_accvgpr_write_b32 a248, v0
	v_mul_f64 v[0:1], v[142:143], v[56:57]
	buffer_load_dword v255, off, s[0:3], 0 offset:684
	buffer_load_dword v245, off, s[0:3], 0 offset:668
	;; [unrolled: 1-line block ×8, first 2 shown]
	ds_read_b128 v[56:59], v236 offset:1504
	v_fma_f64 v[140:141], v[140:141], v[124:125], -v[0:1]
	v_mul_f64 v[0:1], v[148:149], v[8:9]
	v_fma_f64 v[136:137], v[146:147], v[14:15], -v[0:1]
	ds_read_b128 v[146:149], v236 offset:1520
	s_waitcnt lgkmcnt(1)
	v_mul_f64 v[6:7], v[56:57], v[44:45]
	v_fmac_f64_e32 v[6:7], v[58:59], v[60:61]
	v_add_f64 v[4:5], v[4:5], v[6:7]
	v_mul_f64 v[8:9], v[152:153], v[28:29]
	s_waitcnt lgkmcnt(0)
	v_mul_f64 v[6:7], v[146:147], v[234:235]
	v_fmac_f64_e32 v[6:7], v[148:149], v[120:121]
	v_add_f64 v[14:15], v[4:5], v[6:7]
	ds_read_b128 v[4:7], v236 offset:1536
	v_fma_f64 v[134:135], v[150:151], v[30:31], -v[8:9]
	v_mul_f64 v[8:9], v[160:161], v[10:11]
	v_fma_f64 v[126:127], v[158:159], v[122:123], -v[8:9]
	ds_read_b128 v[8:11], v236 offset:1552
	s_waitcnt lgkmcnt(1)
	v_mul_f64 v[28:29], v[4:5], v[208:209]
	v_fmac_f64_e32 v[28:29], v[6:7], v[210:211]
	v_add_f64 v[28:29], v[14:15], v[28:29]
	v_fma_f64 v[124:125], v[162:163], v[138:139], -v[12:13]
	ds_read_b128 v[12:15], v236 offset:1568
	ds_read_b128 v[150:153], v236 offset:1584
	;; [unrolled: 1-line block ×3, first 2 shown]
	s_waitcnt lgkmcnt(3)
	v_mul_f64 v[30:31], v[8:9], v[108:109]
	v_fmac_f64_e32 v[30:31], v[10:11], v[112:113]
	v_fma_f64 v[122:123], v[166:167], v[36:37], -v[24:25]
	s_waitcnt lgkmcnt(2)
	v_mul_f64 v[24:25], v[12:13], v[110:111]
	v_add_f64 v[28:29], v[28:29], v[30:31]
	v_fmac_f64_e32 v[24:25], v[14:15], v[114:115]
	v_add_f64 v[24:25], v[28:29], v[24:25]
	s_waitcnt lgkmcnt(1)
	v_mul_f64 v[28:29], v[150:151], v[144:145]
	ds_read_b128 v[142:145], v236 offset:1632
	v_fmac_f64_e32 v[28:29], v[152:153], v[20:21]
	s_waitcnt lgkmcnt(1)
	v_accvgpr_write_b32 a201, v161
	v_mul_f64 v[30:31], v[172:173], v[42:43]
	v_add_f64 v[24:25], v[24:25], v[28:29]
	v_mul_f64 v[28:29], v[158:159], v[232:233]
	v_accvgpr_write_b32 a200, v160
	v_accvgpr_write_b32 a199, v159
	;; [unrolled: 1-line block ×3, first 2 shown]
	v_fma_f64 v[158:159], v[170:171], v[34:35], -v[30:31]
	ds_read_b128 v[34:37], v236 offset:1616
	buffer_load_dword v1, off, s[0:3], 0 offset:700
	buffer_load_dword v0, off, s[0:3], 0 offset:696
	v_fmac_f64_e32 v[28:29], v[160:161], v[118:119]
	v_add_f64 v[24:25], v[24:25], v[28:29]
	v_mul_f64 v[28:29], v[176:177], v[38:39]
	v_fma_f64 v[172:173], v[174:175], v[40:41], -v[28:29]
	s_waitcnt lgkmcnt(0)
	v_mul_f64 v[28:29], v[34:35], v[128:129]
	v_fmac_f64_e32 v[28:29], v[36:37], v[32:33]
	v_add_f64 v[24:25], v[24:25], v[28:29]
	v_mul_f64 v[28:29], v[180:181], v[92:93]
	v_pk_mov_b32 v[30:31], v[142:143], v[142:143] op_sel:[0,1]
	v_fma_f64 v[92:93], v[178:179], v[94:95], -v[28:29]
	v_pk_mov_b32 v[32:33], v[144:145], v[144:145] op_sel:[0,1]
	v_mul_f64 v[28:29], v[30:31], v[130:131]
	v_accvgpr_write_b32 a217, v37
	v_fmac_f64_e32 v[28:29], v[32:33], v[132:133]
	v_accvgpr_write_b32 a216, v36
	v_accvgpr_write_b32 a215, v35
	;; [unrolled: 1-line block ×3, first 2 shown]
	v_add_f64 v[34:35], v[24:25], v[28:29]
	v_mul_f64 v[24:25], v[184:185], v[154:155]
	v_fma_f64 v[94:95], v[182:183], v[22:23], -v[24:25]
	v_accvgpr_write_b32 a213, v145
	v_accvgpr_write_b32 a212, v144
	;; [unrolled: 1-line block ×4, first 2 shown]
	v_fma_f64 v[32:33], v[204:205], v[104:105], -v[16:17]
	v_accvgpr_write_b32 a197, v153
	v_accvgpr_write_b32 a196, v152
	;; [unrolled: 1-line block ×4, first 2 shown]
	v_mul_f64 v[42:43], v[248:249], v[64:65]
	s_waitcnt vmcnt(7)
	v_accvgpr_write_b32 a238, v244
	v_accvgpr_write_b32 a239, v245
	s_waitcnt vmcnt(5)
	v_accvgpr_write_b32 a242, v242
	v_accvgpr_write_b32 a243, v243
	v_fma_f64 v[248:249], v[246:247], v[70:71], -v[42:43]
	v_mul_f64 v[42:43], v[68:69], v[46:47]
	v_accvgpr_write_b32 a233, v3
	v_accvgpr_write_b32 a232, v2
	s_waitcnt vmcnt(2)
	v_accvgpr_write_b32 a240, v250
	v_mul_f64 v[6:7], v[6:7], v[208:209]
	v_accvgpr_write_b32 a241, v251
	v_accvgpr_write_b32 a230, v252
	;; [unrolled: 1-line block ×5, first 2 shown]
	s_waitcnt vmcnt(0)
	v_pk_mov_b32 v[20:21], v[0:1], v[0:1] op_sel:[0,1]
	buffer_load_dword v138, off, s[0:3], 0 offset:712
	buffer_load_dword v0, off, s[0:3], 0 offset:704
	;; [unrolled: 1-line block ×5, first 2 shown]
	ds_read_b128 v[28:31], v236 offset:1648
	ds_read_b128 v[22:25], v236 offset:1664
	;; [unrolled: 1-line block ×3, first 2 shown]
	buffer_load_dword v1, off, s[0:3], 0 offset:708
	s_waitcnt lgkmcnt(2)
	v_mul_f64 v[36:37], v[28:29], v[252:253]
	v_fmac_f64_e32 v[36:37], v[30:31], v[2:3]
	v_add_f64 v[34:35], v[34:35], v[36:37]
	s_waitcnt lgkmcnt(1)
	v_mul_f64 v[36:37], v[22:23], v[244:245]
	v_fmac_f64_e32 v[36:37], v[24:25], v[242:243]
	ds_read_b128 v[242:245], v236 offset:1696
	v_add_f64 v[34:35], v[34:35], v[36:37]
	s_waitcnt lgkmcnt(1)
	v_mul_f64 v[36:37], v[142:143], v[254:255]
	v_accvgpr_write_b32 a229, v31
	v_fmac_f64_e32 v[36:37], v[144:145], v[250:251]
	v_accvgpr_write_b32 a228, v30
	v_accvgpr_write_b32 a227, v29
	;; [unrolled: 1-line block ×3, first 2 shown]
	v_mul_f64 v[28:29], v[188:189], v[190:191]
	v_add_f64 v[38:39], v[34:35], v[36:37]
	v_mul_f64 v[34:35], v[194:195], v[62:63]
	buffer_load_dword v155, off, s[0:3], 0 offset:732
	buffer_load_dword v154, off, s[0:3], 0 offset:728
	;; [unrolled: 1-line block ×6, first 2 shown]
	v_fma_f64 v[192:193], v[192:193], v[106:107], -v[34:35]
	v_mul_f64 v[34:35], v[198:199], v[116:117]
	v_fma_f64 v[62:63], v[196:197], v[156:157], -v[34:35]
	buffer_load_dword v163, off, s[0:3], 0 offset:740
	buffer_load_dword v162, off, s[0:3], 0 offset:736
	;; [unrolled: 1-line block ×18, first 2 shown]
	v_mul_f64 v[34:35], v[202:203], v[100:101]
	v_fma_f64 v[100:101], v[200:201], v[102:103], -v[34:35]
	v_mul_f64 v[34:35], v[218:219], v[96:97]
	v_fma_f64 v[98:99], v[216:217], v[98:99], -v[34:35]
	;; [unrolled: 2-line block ×4, first 2 shown]
	buffer_load_dword v97, off, s[0:3], 0 offset:828
	buffer_load_dword v96, off, s[0:3], 0 offset:824
	;; [unrolled: 1-line block ×12, first 2 shown]
	v_fma_f64 v[80:81], v[224:225], v[90:91], -v[34:35]
	buffer_load_dword v195, off, s[0:3], 0 offset:876
	buffer_load_dword v194, off, s[0:3], 0 offset:872
	;; [unrolled: 1-line block ×12, first 2 shown]
	ds_read_b128 v[128:131], v236 offset:1712
	s_waitcnt lgkmcnt(1)
	v_mul_f64 v[40:41], v[242:243], v[20:21]
	buffer_load_dword v65, off, s[0:3], 0 offset:924
	buffer_load_dword v64, off, s[0:3], 0 offset:920
	;; [unrolled: 1-line block ×4, first 2 shown]
	ds_read_b128 v[150:153], v236 offset:1728
	v_accvgpr_write_b32 a237, v25
	v_accvgpr_write_b32 a236, v24
	;; [unrolled: 1-line block ×4, first 2 shown]
	v_mul_f64 v[24:25], v[214:215], v[82:83]
	v_fma_f64 v[28:29], v[212:213], v[88:89], -v[24:25]
	v_fma_f64 v[212:213], v[66:67], v[48:49], -v[42:43]
	v_mul_f64 v[34:35], v[230:231], v[78:79]
	v_fma_f64 v[78:79], v[228:229], v[72:73], -v[34:35]
	ds_read_b128 v[34:37], v236 offset:1792
	v_mul_f64 v[2:3], v[58:59], v[44:45]
	v_fma_f64 v[22:23], v[56:57], v[60:61], -v[2:3]
	ds_read_b128 v[58:61], v236 offset:1808
	v_pk_mov_b32 v[250:251], v[20:21], v[20:21] op_sel:[0,1]
	v_fma_f64 v[24:25], v[74:75], v[18:19], -v[54:55]
	v_fma_f64 v[30:31], v[4:5], v[210:211], -v[6:7]
	ds_read_b128 v[74:77], v236 offset:1872
	ds_read_b128 v[82:85], v236 offset:1904
	;; [unrolled: 1-line block ×3, first 2 shown]
	v_mul_f64 v[6:7], v[14:15], v[110:111]
	v_fma_f64 v[14:15], v[12:13], v[114:115], -v[6:7]
	v_accvgpr_read_b32 v44, a246
	v_accvgpr_read_b32 v45, a247
	s_waitcnt vmcnt(54)
	v_fmac_f64_e32 v[40:41], v[244:245], v[232:233]
	v_add_f64 v[38:39], v[38:39], v[40:41]
	s_waitcnt vmcnt(53) lgkmcnt(6)
	v_mul_f64 v[40:41], v[128:129], v[138:139]
	s_waitcnt vmcnt(52)
	v_fmac_f64_e32 v[40:41], v[130:131], v[0:1]
	v_add_f64 v[70:71], v[38:39], v[40:41]
	ds_read_b128 v[38:41], v236 offset:1744
	v_pk_mov_b32 v[252:253], v[0:1], v[0:1] op_sel:[0,1]
	s_waitcnt vmcnt(50) lgkmcnt(6)
	v_mul_f64 v[46:47], v[150:151], v[154:155]
	s_waitcnt vmcnt(48)
	v_fmac_f64_e32 v[46:47], v[152:153], v[160:161]
	v_add_f64 v[66:67], v[70:71], v[46:47]
	v_mul_f64 v[46:47], v[240:241], v[50:51]
	v_fma_f64 v[26:27], v[238:239], v[52:53], -v[46:47]
	ds_read_b128 v[46:49], v236 offset:1760
	s_waitcnt vmcnt(46) lgkmcnt(1)
	v_mul_f64 v[50:51], v[38:39], v[190:191]
	s_waitcnt vmcnt(44)
	v_fmac_f64_e32 v[50:51], v[40:41], v[162:163]
	v_add_f64 v[66:67], v[66:67], v[50:51]
	ds_read_b128 v[50:53], v236 offset:1776
	s_waitcnt vmcnt(41) lgkmcnt(1)
	v_mul_f64 v[68:69], v[46:47], v[166:167]
	s_waitcnt vmcnt(39)
	v_fmac_f64_e32 v[68:69], v[48:49], v[170:171]
	v_add_f64 v[66:67], v[66:67], v[68:69]
	;; [unrolled: 6-line block ×3, first 2 shown]
	s_waitcnt vmcnt(33)
	v_mul_f64 v[66:67], v[34:35], v[174:175]
	s_waitcnt vmcnt(31)
	v_fmac_f64_e32 v[66:67], v[36:37], v[176:177]
	v_add_f64 v[2:3], v[2:3], v[66:67]
	s_waitcnt vmcnt(29)
	v_mul_f64 v[66:67], v[58:59], v[164:165]
	s_waitcnt vmcnt(28)
	v_fmac_f64_e32 v[66:67], v[60:61], v[118:119]
	v_add_f64 v[2:3], v[2:3], v[66:67]
	v_mul_f64 v[66:67], v[148:149], v[234:235]
	v_fma_f64 v[20:21], v[146:147], v[120:121], -v[66:67]
	ds_read_b128 v[66:69], v236 offset:1840
	ds_read_b128 v[70:73], v236 offset:1856
	;; [unrolled: 1-line block ×3, first 2 shown]
	buffer_load_dword v208, off, s[0:3], 0 offset:936
	buffer_load_dword v209, off, s[0:3], 0 offset:940
	buffer_load_dword v210, off, s[0:3], 0 offset:928
	buffer_load_dword v211, off, s[0:3], 0 offset:932
	s_waitcnt vmcnt(30) lgkmcnt(3)
	v_mul_f64 v[18:19], v[238:239], v[96:97]
	s_waitcnt vmcnt(28)
	v_fmac_f64_e32 v[18:19], v[240:241], v[180:181]
	s_waitcnt vmcnt(26) lgkmcnt(2)
	v_mul_f64 v[4:5], v[66:67], v[182:183]
	v_add_f64 v[2:3], v[2:3], v[18:19]
	s_waitcnt vmcnt(24)
	v_fmac_f64_e32 v[4:5], v[68:69], v[186:187]
	v_add_f64 v[2:3], v[2:3], v[4:5]
	s_waitcnt vmcnt(22) lgkmcnt(1)
	v_mul_f64 v[4:5], v[70:71], v[184:185]
	s_waitcnt vmcnt(20)
	v_fmac_f64_e32 v[4:5], v[72:73], v[188:189]
	v_add_f64 v[2:3], v[2:3], v[4:5]
	v_mul_f64 v[4:5], v[10:11], v[108:109]
	v_fma_f64 v[16:17], v[8:9], v[112:113], -v[4:5]
	s_waitcnt vmcnt(18)
	v_mul_f64 v[4:5], v[74:75], v[194:195]
	s_waitcnt vmcnt(16)
	v_fmac_f64_e32 v[4:5], v[76:77], v[196:197]
	v_add_f64 v[2:3], v[2:3], v[4:5]
	s_waitcnt vmcnt(13) lgkmcnt(0)
	v_mul_f64 v[4:5], v[146:147], v[200:201]
	s_waitcnt vmcnt(11)
	v_fmac_f64_e32 v[4:5], v[148:149], v[202:203]
	v_add_f64 v[2:3], v[2:3], v[4:5]
	s_waitcnt vmcnt(9)
	v_mul_f64 v[4:5], v[82:83], v[90:91]
	s_waitcnt vmcnt(8)
	v_fmac_f64_e32 v[4:5], v[84:85], v[198:199]
	v_add_f64 v[2:3], v[2:3], v[4:5]
	s_waitcnt vmcnt(6)
	v_mul_f64 v[4:5], v[86:87], v[64:65]
	s_waitcnt vmcnt(4)
	v_fmac_f64_e32 v[4:5], v[88:89], v[206:207]
	v_add_f64 v[6:7], v[2:3], v[4:5]
	ds_read_b128 v[2:5], v236 offset:1936
	buffer_load_dword v19, off, s[0:3], 0 offset:956
	buffer_load_dword v18, off, s[0:3], 0 offset:952
	;; [unrolled: 1-line block ×4, first 2 shown]
	s_waitcnt vmcnt(6) lgkmcnt(0)
	v_mul_f64 v[8:9], v[2:3], v[208:209]
	s_waitcnt vmcnt(4)
	v_fmac_f64_e32 v[8:9], v[4:5], v[210:211]
	v_add_f64 v[10:11], v[6:7], v[8:9]
	ds_read_b128 v[6:9], v236 offset:1952
	buffer_load_dword v216, off, s[0:3], 0 offset:968
	buffer_load_dword v217, off, s[0:3], 0 offset:972
	;; [unrolled: 1-line block ×4, first 2 shown]
	v_mul_f64 v[4:5], v[4:5], v[208:209]
	v_fma_f64 v[2:3], v[2:3], v[210:211], -v[4:5]
	s_waitcnt vmcnt(6) lgkmcnt(0)
	v_mul_f64 v[12:13], v[6:7], v[18:19]
	s_waitcnt vmcnt(4)
	v_fmac_f64_e32 v[12:13], v[8:9], v[214:215]
	v_add_f64 v[102:103], v[10:11], v[12:13]
	ds_read_b128 v[10:13], v236 offset:1968
	buffer_load_dword v221, off, s[0:3], 0 offset:988
	buffer_load_dword v220, off, s[0:3], 0 offset:984
	buffer_load_dword v223, off, s[0:3], 0 offset:980
	buffer_load_dword v222, off, s[0:3], 0 offset:976
	s_waitcnt vmcnt(6) lgkmcnt(0)
	v_mul_f64 v[104:105], v[10:11], v[216:217]
	s_waitcnt vmcnt(4)
	v_fmac_f64_e32 v[104:105], v[12:13], v[218:219]
	v_add_f64 v[106:107], v[102:103], v[104:105]
	ds_read_b128 v[102:105], v236 offset:1984
	buffer_load_dword v224, off, s[0:3], 0 offset:1000
	buffer_load_dword v225, off, s[0:3], 0 offset:1004
	buffer_load_dword v226, off, s[0:3], 0 offset:992
	buffer_load_dword v227, off, s[0:3], 0 offset:996
	;; [unrolled: 10-line block ×4, first 2 shown]
	s_waitcnt vmcnt(6) lgkmcnt(0)
	v_mul_f64 v[116:117], v[110:111], v[228:229]
	s_waitcnt vmcnt(4)
	v_fmac_f64_e32 v[116:117], v[112:113], v[230:231]
	v_add_f64 v[0:1], v[114:115], v[116:117]
	ds_read_b128 v[114:117], v236 offset:2032
	s_waitcnt vmcnt(2) lgkmcnt(0)
	v_mul_f64 v[132:133], v[114:115], v[234:235]
	s_waitcnt vmcnt(0)
	v_fmac_f64_e32 v[132:133], v[116:117], v[246:247]
	v_add_f64 v[42:43], v[0:1], v[132:133]
	v_accvgpr_read_b32 v0, a244
	v_accvgpr_read_b32 v1, a245
	v_add_f64 v[0:1], v[0:1], 0
	v_add_f64 v[0:1], v[0:1], v[44:45]
	v_accvgpr_read_b32 v44, a248
	v_accvgpr_read_b32 v45, a249
	v_add_f64 v[0:1], v[0:1], v[44:45]
	v_add_f64 v[0:1], v[0:1], v[140:141]
	;; [unrolled: 1-line block ×28, first 2 shown]
	buffer_load_dword v20, off, s[0:3], 0 offset:48
	buffer_load_dword v21, off, s[0:3], 0 offset:52
	v_add_f64 v[0:1], v[0:1], v[16:17]
	buffer_load_dword v16, off, s[0:3], 0 offset:56
	buffer_load_dword v17, off, s[0:3], 0 offset:60
	v_add_f64 v[0:1], v[0:1], v[14:15]
	v_accvgpr_read_b32 v22, a194
	v_accvgpr_read_b32 v14, a202
	v_accvgpr_read_b32 v24, a196
	v_accvgpr_read_b32 v25, a197
	v_accvgpr_read_b32 v15, a203
	v_mul_f64 v[14:15], v[24:25], v[14:15]
	v_accvgpr_read_b32 v24, a206
	v_accvgpr_read_b32 v23, a195
	v_accvgpr_read_b32 v25, a207
	v_fma_f64 v[14:15], v[22:23], v[24:25], -v[14:15]
	v_add_f64 v[0:1], v[0:1], v[14:15]
	v_accvgpr_read_b32 v22, a198
	v_accvgpr_read_b32 v14, a204
	v_accvgpr_read_b32 v24, a200
	v_accvgpr_read_b32 v25, a201
	v_accvgpr_read_b32 v15, a205
	v_mul_f64 v[14:15], v[24:25], v[14:15]
	v_accvgpr_read_b32 v24, a208
	v_accvgpr_read_b32 v23, a199
	v_accvgpr_read_b32 v25, a209
	v_fma_f64 v[14:15], v[22:23], v[24:25], -v[14:15]
	;; [unrolled: 11-line block ×6, first 2 shown]
	v_accvgpr_read_b32 v22, a240
	v_add_f64 v[0:1], v[0:1], v[14:15]
	v_mul_f64 v[14:15], v[144:145], v[254:255]
	v_accvgpr_read_b32 v23, a241
	v_fma_f64 v[14:15], v[142:143], v[22:23], -v[14:15]
	v_add_f64 v[0:1], v[0:1], v[14:15]
	v_mul_f64 v[14:15], v[244:245], v[250:251]
	v_fma_f64 v[14:15], v[242:243], v[232:233], -v[14:15]
	v_add_f64 v[0:1], v[0:1], v[14:15]
	v_mul_f64 v[14:15], v[130:131], v[138:139]
	;; [unrolled: 3-line block ×15, first 2 shown]
	v_fma_f64 v[14:15], v[86:87], v[206:207], -v[14:15]
	v_add_f64 v[0:1], v[0:1], v[14:15]
	v_add_f64 v[0:1], v[0:1], v[2:3]
	v_mul_f64 v[2:3], v[8:9], v[18:19]
	v_fma_f64 v[2:3], v[6:7], v[214:215], -v[2:3]
	v_add_f64 v[0:1], v[0:1], v[2:3]
	v_mul_f64 v[2:3], v[12:13], v[216:217]
	v_fma_f64 v[2:3], v[10:11], v[218:219], -v[2:3]
	;; [unrolled: 3-line block ×6, first 2 shown]
	v_add_f64 v[0:1], v[0:1], v[2:3]
	s_waitcnt vmcnt(2)
	v_add_f64 v[0:1], v[20:21], -v[0:1]
	s_waitcnt vmcnt(0)
	v_add_f64 v[2:3], v[16:17], -v[42:43]
	buffer_store_dword v1, off, s[0:3], 0 offset:52
	buffer_store_dword v0, off, s[0:3], 0 offset:48
	buffer_store_dword v3, off, s[0:3], 0 offset:60
	buffer_store_dword v2, off, s[0:3], 0 offset:56
	v_accvgpr_read_b32 v0, a191
	v_cmp_lt_u32_e32 vcc, 1, v0
	s_and_saveexec_b64 s[4:5], vcc
	s_cbranch_execz .LBB127_407
; %bb.406:
	v_accvgpr_read_b32 v3, a190
	buffer_load_dword v0, v3, s[0:3], 0 offen
	buffer_load_dword v1, v3, s[0:3], 0 offen offset:4
	buffer_load_dword v2, v3, s[0:3], 0 offen offset:8
	s_nop 0
	buffer_load_dword v3, v3, s[0:3], 0 offen offset:12
	v_accvgpr_read_b32 v4, a192
	buffer_store_dword v236, off, s[0:3], 0 offset:32
	buffer_store_dword v236, off, s[0:3], 0 offset:36
	;; [unrolled: 1-line block ×4, first 2 shown]
	s_waitcnt vmcnt(4)
	ds_write_b128 v4, v[0:3]
.LBB127_407:
	s_or_b64 exec, exec, s[4:5]
	s_waitcnt lgkmcnt(0)
	; wave barrier
	s_waitcnt lgkmcnt(0)
	buffer_load_dword v2, off, s[0:3], 0 offset:48
	buffer_load_dword v3, off, s[0:3], 0 offset:52
	;; [unrolled: 1-line block ×42, first 2 shown]
	ds_read_b128 v[120:123], v236 offset:1056
	ds_read_b128 v[128:131], v236 offset:1072
	;; [unrolled: 1-line block ×10, first 2 shown]
	buffer_load_dword v235, off, s[0:3], 0 offset:196
	buffer_load_dword v234, off, s[0:3], 0 offset:192
	ds_read_b128 v[124:127], v236 offset:1216
	buffer_load_dword v133, off, s[0:3], 0 offset:252
	buffer_load_dword v132, off, s[0:3], 0 offset:248
	;; [unrolled: 1-line block ×6, first 2 shown]
	s_waitcnt vmcnt(46) lgkmcnt(10)
	v_mul_f64 v[6:7], v[120:121], v[18:19]
	v_fmac_f64_e32 v[6:7], v[122:123], v[2:3]
	v_add_f64 v[6:7], v[6:7], 0
	s_waitcnt vmcnt(42) lgkmcnt(9)
	v_mul_f64 v[10:11], v[128:129], v[4:5]
	v_fmac_f64_e32 v[10:11], v[130:131], v[8:9]
	s_waitcnt vmcnt(40) lgkmcnt(8)
	v_mul_f64 v[34:35], v[134:135], v[0:1]
	v_add_f64 v[6:7], v[6:7], v[10:11]
	s_waitcnt vmcnt(38) lgkmcnt(6)
	v_mul_f64 v[40:41], v[142:143], v[90:91]
	v_mul_f64 v[0:1], v[136:137], v[0:1]
	s_waitcnt vmcnt(36)
	v_fmac_f64_e32 v[40:41], v[144:145], v[88:89]
	s_waitcnt vmcnt(34)
	v_mul_f64 v[38:39], v[138:139], v[238:239]
	s_waitcnt vmcnt(32) lgkmcnt(4)
	v_mul_f64 v[48:49], v[156:157], v[254:255]
	s_waitcnt vmcnt(30)
	v_fmac_f64_e32 v[48:49], v[158:159], v[244:245]
	s_waitcnt vmcnt(28)
	v_mul_f64 v[46:47], v[152:153], v[250:251]
	s_waitcnt vmcnt(26) lgkmcnt(2)
	v_mul_f64 v[52:53], v[168:169], v[232:233]
	s_waitcnt vmcnt(23)
	v_mul_f64 v[50:51], v[160:161], v[190:191]
	s_waitcnt vmcnt(21) lgkmcnt(1)
	v_mul_f64 v[78:79], v[14:15], v[242:243]
	s_waitcnt vmcnt(19)
	v_fmac_f64_e32 v[34:35], v[136:137], v[240:241]
	v_add_f64 v[6:7], v[6:7], v[34:35]
	s_waitcnt vmcnt(17)
	v_fmac_f64_e32 v[38:39], v[140:141], v[80:81]
	v_add_f64 v[6:7], v[6:7], v[38:39]
	;; [unrolled: 3-line block ×3, first 2 shown]
	v_add_f64 v[6:7], v[6:7], v[46:47]
	s_waitcnt vmcnt(13)
	v_fmac_f64_e32 v[50:51], v[162:163], v[32:33]
	v_add_f64 v[6:7], v[6:7], v[48:49]
	s_waitcnt vmcnt(12)
	v_fmac_f64_e32 v[52:53], v[170:171], v[36:37]
	v_add_f64 v[6:7], v[6:7], v[50:51]
	v_add_f64 v[6:7], v[6:7], v[52:53]
	buffer_load_dword v21, off, s[0:3], 0 offset:228
	buffer_load_dword v20, off, s[0:3], 0 offset:224
	;; [unrolled: 1-line block ×74, first 2 shown]
	ds_read_b128 v[172:175], v236 offset:1232
	ds_read_b128 v[176:179], v236 offset:1248
	s_waitcnt vmcnt(62)
	v_fmac_f64_e32 v[78:79], v[16:17], v[234:235]
	s_waitcnt lgkmcnt(2)
	v_mul_f64 v[10:11], v[124:125], v[68:69]
	v_add_f64 v[6:7], v[6:7], v[78:79]
	v_fmac_f64_e32 v[10:11], v[126:127], v[188:189]
	ds_read_b128 v[180:183], v236 offset:1264
	ds_read_b128 v[184:187], v236 offset:1280
	v_add_f64 v[6:7], v[6:7], v[10:11]
	s_waitcnt lgkmcnt(3)
	v_mul_f64 v[10:11], v[172:173], v[110:111]
	v_fmac_f64_e32 v[10:11], v[174:175], v[20:21]
	v_add_f64 v[6:7], v[6:7], v[10:11]
	s_waitcnt lgkmcnt(2)
	v_mul_f64 v[10:11], v[176:177], v[132:133]
	v_fmac_f64_e32 v[10:11], v[178:179], v[12:13]
	ds_read_b128 v[192:195], v236 offset:1296
	ds_read_b128 v[196:199], v236 offset:1312
	v_add_f64 v[6:7], v[6:7], v[10:11]
	s_waitcnt lgkmcnt(3)
	v_mul_f64 v[10:11], v[180:181], v[22:23]
	v_fmac_f64_e32 v[10:11], v[182:183], v[26:27]
	v_add_f64 v[6:7], v[6:7], v[10:11]
	s_waitcnt lgkmcnt(2)
	v_mul_f64 v[10:11], v[184:185], v[148:149]
	v_fmac_f64_e32 v[10:11], v[186:187], v[150:151]
	ds_read_b128 v[200:203], v236 offset:1328
	ds_read_b128 v[204:207], v236 offset:1344
	v_add_f64 v[6:7], v[6:7], v[10:11]
	s_waitcnt vmcnt(58) lgkmcnt(3)
	v_mul_f64 v[10:11], v[192:193], v[30:31]
	s_waitcnt vmcnt(56)
	v_fmac_f64_e32 v[10:11], v[194:195], v[44:45]
	v_add_f64 v[6:7], v[6:7], v[10:11]
	s_waitcnt lgkmcnt(2)
	v_mul_f64 v[10:11], v[196:197], v[106:107]
	v_fmac_f64_e32 v[10:11], v[198:199], v[108:109]
	ds_read_b128 v[212:215], v236 offset:1360
	ds_read_b128 v[216:219], v236 offset:1376
	v_add_f64 v[6:7], v[6:7], v[10:11]
	s_waitcnt vmcnt(50) lgkmcnt(3)
	v_mul_f64 v[10:11], v[200:201], v[112:113]
	s_waitcnt vmcnt(48)
	;; [unrolled: 11-line block ×4, first 2 shown]
	v_fmac_f64_e32 v[10:11], v[222:223], v[98:99]
	v_add_f64 v[6:7], v[6:7], v[10:11]
	s_waitcnt lgkmcnt(2)
	v_mul_f64 v[10:11], v[224:225], v[34:35]
	v_fmac_f64_e32 v[10:11], v[226:227], v[84:85]
	v_add_f64 v[6:7], v[6:7], v[10:11]
	s_waitcnt vmcnt(26) lgkmcnt(1)
	v_mul_f64 v[10:11], v[228:229], v[94:95]
	s_waitcnt vmcnt(24)
	v_fmac_f64_e32 v[10:11], v[230:231], v[92:93]
	v_add_f64 v[6:7], v[6:7], v[10:11]
	s_waitcnt lgkmcnt(0)
	v_mul_f64 v[10:11], v[246:247], v[56:57]
	v_fmac_f64_e32 v[10:11], v[248:249], v[66:67]
	v_add_f64 v[6:7], v[6:7], v[10:11]
	v_mul_f64 v[10:11], v[122:123], v[18:19]
	v_fma_f64 v[2:3], v[120:121], v[2:3], -v[10:11]
	v_accvgpr_write_b32 a243, v3
	ds_read_b128 v[38:41], v236 offset:1456
	buffer_load_dword v209, off, s[0:3], 0 offset:556
	buffer_load_dword v208, off, s[0:3], 0 offset:552
	buffer_load_dword v211, off, s[0:3], 0 offset:548
	buffer_load_dword v210, off, s[0:3], 0 offset:544
	buffer_load_dword v114, off, s[0:3], 0 offset:568
	buffer_load_dword v116, off, s[0:3], 0 offset:560
	buffer_load_dword v115, off, s[0:3], 0 offset:572
	buffer_load_dword v117, off, s[0:3], 0 offset:564
	v_accvgpr_write_b32 a242, v2
	v_mul_f64 v[2:3], v[130:131], v[4:5]
	buffer_load_dword v5, off, s[0:3], 0 offset:588
	buffer_load_dword v4, off, s[0:3], 0 offset:584
	v_fma_f64 v[2:3], v[128:129], v[8:9], -v[2:3]
	v_accvgpr_write_b32 a245, v3
	v_fma_f64 v[252:253], v[134:135], v[240:241], -v[0:1]
	v_mul_f64 v[0:1], v[140:141], v[238:239]
	v_accvgpr_write_b32 a244, v2
	v_fma_f64 v[238:239], v[138:139], v[80:81], -v[0:1]
	v_mul_f64 v[18:19], v[158:159], v[254:255]
	v_fma_f64 v[254:255], v[156:157], v[244:245], -v[18:19]
	v_mul_f64 v[18:19], v[162:163], v[190:191]
	;; [unrolled: 2-line block ×3, first 2 shown]
	v_mul_f64 v[18:19], v[170:171], v[232:233]
	v_fma_f64 v[242:243], v[14:15], v[234:235], -v[16:17]
	v_mul_f64 v[16:17], v[126:127], v[68:69]
	v_mul_f64 v[34:35], v[226:227], v[34:35]
	s_waitcnt vmcnt(0)
	v_pk_mov_b32 v[122:123], v[4:5], v[4:5] op_sel:[0,1]
	buffer_load_dword v25, off, s[0:3], 0 offset:580
	buffer_load_dword v24, off, s[0:3], 0 offset:576
	;; [unrolled: 1-line block ×6, first 2 shown]
	v_accvgpr_write_b32 a199, v123
	v_accvgpr_write_b32 a198, v122
	s_waitcnt vmcnt(4)
	v_accvgpr_write_b32 a201, v25
	v_accvgpr_write_b32 a200, v24
	s_waitcnt vmcnt(2)
	v_pk_mov_b32 v[130:131], v[4:5], v[4:5] op_sel:[0,1]
	buffer_load_dword v2, off, s[0:3], 0 offset:632
	buffer_load_dword v5, off, s[0:3], 0 offset:620
	;; [unrolled: 1-line block ×10, first 2 shown]
	v_accvgpr_write_b32 a207, v131
	v_accvgpr_write_b32 a206, v130
	s_waitcnt vmcnt(10)
	v_accvgpr_write_b32 a209, v55
	v_accvgpr_write_b32 a208, v54
	s_waitcnt vmcnt(5)
	v_accvgpr_write_b32 a225, v119
	v_accvgpr_write_b32 a224, v118
	v_pk_mov_b32 v[128:129], v[4:5], v[4:5] op_sel:[0,1]
	s_waitcnt vmcnt(2)
	v_accvgpr_write_b32 a223, v121
	s_waitcnt vmcnt(0)
	v_pk_mov_b32 v[134:135], v[0:1], v[0:1] op_sel:[0,1]
	buffer_load_dword v1, off, s[0:3], 0 offset:644
	buffer_load_dword v0, off, s[0:3], 0 offset:640
	ds_read_b128 v[78:81], v236 offset:1472
	v_accvgpr_write_b32 a222, v120
	v_accvgpr_write_b32 a219, v129
	v_accvgpr_write_b32 a218, v128
	v_accvgpr_write_b32 a221, v3
	v_accvgpr_write_b32 a220, v2
	v_accvgpr_write_b32 a231, v135
	v_accvgpr_write_b32 a230, v134
	s_waitcnt vmcnt(0)
	v_pk_mov_b32 v[136:137], v[0:1], v[0:1] op_sel:[0,1]
	s_waitcnt lgkmcnt(1)
	v_mul_f64 v[0:1], v[38:39], v[74:75]
	v_fmac_f64_e32 v[0:1], v[40:41], v[76:77]
	v_add_f64 v[4:5], v[6:7], v[0:1]
	buffer_load_dword v0, off, s[0:3], 0 offset:664
	buffer_load_dword v1, off, s[0:3], 0 offset:668
	;; [unrolled: 1-line block ×4, first 2 shown]
	ds_read_b128 v[48:51], v236 offset:1488
	v_accvgpr_write_b32 a233, v137
	v_accvgpr_write_b32 a232, v136
	v_mul_f64 v[40:41], v[40:41], v[74:75]
	s_waitcnt vmcnt(2)
	v_pk_mov_b32 v[138:139], v[0:1], v[0:1] op_sel:[0,1]
	s_waitcnt vmcnt(0)
	v_pk_mov_b32 v[140:141], v[6:7], v[6:7] op_sel:[0,1]
	s_waitcnt lgkmcnt(1)
	v_mul_f64 v[6:7], v[78:79], v[46:47]
	v_fmac_f64_e32 v[6:7], v[80:81], v[28:29]
	v_mul_f64 v[0:1], v[144:145], v[90:91]
	v_add_f64 v[8:9], v[4:5], v[6:7]
	v_mul_f64 v[4:5], v[154:155], v[250:251]
	v_fma_f64 v[240:241], v[142:143], v[88:89], -v[0:1]
	v_fma_f64 v[250:251], v[152:153], v[42:43], -v[4:5]
	ds_read_b128 v[4:7], v236 offset:1504
	ds_read_b128 v[152:155], v236 offset:1520
	buffer_load_dword v1, off, s[0:3], 0 offset:684
	buffer_load_dword v0, off, s[0:3], 0 offset:680
	;; [unrolled: 1-line block ×4, first 2 shown]
	s_waitcnt lgkmcnt(2)
	v_mul_f64 v[10:11], v[48:49], v[58:59]
	v_fmac_f64_e32 v[10:11], v[50:51], v[52:53]
	ds_read_b128 v[156:159], v236 offset:1536
	ds_read_b128 v[88:91], v236 offset:1568
	v_add_f64 v[8:9], v[8:9], v[10:11]
	s_waitcnt lgkmcnt(3)
	v_mul_f64 v[10:11], v[4:5], v[70:71]
	v_fmac_f64_e32 v[10:11], v[6:7], v[60:61]
	v_add_f64 v[8:9], v[8:9], v[10:11]
	s_waitcnt lgkmcnt(2)
	v_mul_f64 v[10:11], v[152:153], v[62:63]
	v_fmac_f64_e32 v[10:11], v[154:155], v[64:65]
	;; [unrolled: 4-line block ×3, first 2 shown]
	v_add_f64 v[42:43], v[8:9], v[10:11]
	ds_read_b128 v[8:11], v236 offset:1552
	ds_read_b128 v[160:163], v236 offset:1584
	v_fma_f64 v[142:143], v[168:169], v[36:37], -v[18:19]
	ds_read_b128 v[168:171], v236 offset:1600
	v_fma_f64 v[144:145], v[124:125], v[188:189], -v[16:17]
	ds_read_b128 v[16:19], v236 offset:1616
	s_waitcnt lgkmcnt(3)
	v_mul_f64 v[36:37], v[8:9], v[208:209]
	v_fmac_f64_e32 v[36:37], v[10:11], v[210:211]
	v_mul_f64 v[14:15], v[88:89], v[114:115]
	v_add_f64 v[36:37], v[42:43], v[36:37]
	v_fmac_f64_e32 v[14:15], v[90:91], v[116:117]
	s_waitcnt lgkmcnt(2)
	v_mul_f64 v[32:33], v[160:161], v[122:123]
	ds_read_b128 v[122:125], v236 offset:1632
	v_add_f64 v[14:15], v[36:37], v[14:15]
	v_fmac_f64_e32 v[32:33], v[162:163], v[24:25]
	v_mul_f64 v[36:37], v[174:175], v[110:111]
	v_add_f64 v[14:15], v[14:15], v[32:33]
	s_waitcnt lgkmcnt(2)
	v_mul_f64 v[32:33], v[168:169], v[130:131]
	v_fma_f64 v[68:69], v[172:173], v[20:21], -v[36:37]
	s_waitcnt lgkmcnt(1)
	v_mul_f64 v[20:21], v[16:17], v[128:129]
	v_accvgpr_write_b32 a213, v19
	v_fmac_f64_e32 v[32:33], v[170:171], v[54:55]
	v_fmac_f64_e32 v[20:21], v[18:19], v[118:119]
	v_accvgpr_write_b32 a212, v18
	v_accvgpr_write_b32 a211, v17
	;; [unrolled: 1-line block ×3, first 2 shown]
	ds_read_b128 v[16:19], v236 offset:1648
	v_add_f64 v[14:15], v[14:15], v[32:33]
	v_add_f64 v[14:15], v[14:15], v[20:21]
	s_waitcnt lgkmcnt(1)
	v_mul_f64 v[20:21], v[122:123], v[2:3]
	v_fmac_f64_e32 v[20:21], v[124:125], v[120:121]
	ds_read_b128 v[232:235], v236 offset:1664
	ds_read_b128 v[118:121], v236 offset:1680
	v_add_f64 v[14:15], v[14:15], v[20:21]
	v_mul_f64 v[20:21], v[178:179], v[132:133]
	v_fma_f64 v[24:25], v[176:177], v[12:13], -v[20:21]
	s_waitcnt lgkmcnt(2)
	v_mul_f64 v[20:21], v[16:17], v[134:135]
	v_fmac_f64_e32 v[20:21], v[18:19], v[136:137]
	v_add_f64 v[14:15], v[14:15], v[20:21]
	v_mul_f64 v[20:21], v[182:183], v[22:23]
	v_fma_f64 v[110:111], v[180:181], v[26:27], -v[20:21]
	s_waitcnt lgkmcnt(1)
	v_mul_f64 v[20:21], v[232:233], v[138:139]
	v_accvgpr_write_b32 a235, v139
	v_accvgpr_write_b32 a234, v138
	buffer_load_dword v139, off, s[0:3], 0 offset:700
	buffer_load_dword v138, off, s[0:3], 0 offset:696
	v_fmac_f64_e32 v[20:21], v[234:235], v[140:141]
	v_accvgpr_write_b32 a205, v171
	v_accvgpr_write_b32 a237, v141
	v_add_f64 v[14:15], v[14:15], v[20:21]
	buffer_load_dword v137, off, s[0:3], 0 offset:692
	buffer_load_dword v136, off, s[0:3], 0 offset:688
	v_mul_f64 v[20:21], v[186:187], v[148:149]
	v_accvgpr_write_b32 a204, v170
	v_accvgpr_write_b32 a203, v169
	v_accvgpr_write_b32 a202, v168
	v_accvgpr_write_b32 a236, v140
	v_fma_f64 v[168:169], v[184:185], v[150:151], -v[20:21]
	buffer_load_dword v148, off, s[0:3], 0 offset:728
	buffer_load_dword v150, off, s[0:3], 0 offset:720
	;; [unrolled: 1-line block ×8, first 2 shown]
	s_waitcnt lgkmcnt(0)
	v_pk_mov_b32 v[20:21], v[118:119], v[118:119] op_sel:[0,1]
	v_mul_f64 v[26:27], v[194:195], v[30:31]
	v_pk_mov_b32 v[22:23], v[120:121], v[120:121] op_sel:[0,1]
	v_accvgpr_write_b32 a197, v163
	v_accvgpr_write_b32 a217, v125
	s_waitcnt vmcnt(14)
	v_mul_f64 v[30:31], v[20:21], v[0:1]
	v_accvgpr_write_b32 a229, v19
	s_waitcnt vmcnt(12)
	v_fmac_f64_e32 v[30:31], v[22:23], v[244:245]
	v_accvgpr_write_b32 a196, v162
	v_accvgpr_write_b32 a195, v161
	;; [unrolled: 1-line block ×9, first 2 shown]
	v_fma_f64 v[18:19], v[192:193], v[44:45], -v[26:27]
	v_add_f64 v[42:43], v[14:15], v[30:31]
	ds_read_b128 v[122:125], v236 offset:1696
	v_mul_f64 v[14:15], v[198:199], v[106:107]
	buffer_load_dword v27, off, s[0:3], 0 offset:748
	buffer_load_dword v26, off, s[0:3], 0 offset:744
	;; [unrolled: 1-line block ×5, first 2 shown]
	v_mul_f64 v[36:37], v[202:203], v[112:113]
	v_fma_f64 v[106:107], v[196:197], v[108:109], -v[14:15]
	v_fma_f64 v[108:109], v[200:201], v[164:165], -v[36:37]
	buffer_load_dword v164, off, s[0:3], 0 offset:752
	buffer_load_dword v161, off, s[0:3], 0 offset:764
	;; [unrolled: 1-line block ×11, first 2 shown]
	v_mul_f64 v[36:37], v[206:207], v[100:101]
	v_fma_f64 v[204:205], v[204:205], v[102:103], -v[36:37]
	v_mul_f64 v[36:37], v[214:215], v[166:167]
	buffer_load_dword v166, off, s[0:3], 0 offset:824
	buffer_load_dword v179, off, s[0:3], 0 offset:812
	;; [unrolled: 1-line block ×16, first 2 shown]
	v_fma_f64 v[212:213], v[212:213], v[104:105], -v[36:37]
	v_mul_f64 v[36:37], v[218:219], v[82:83]
	v_fma_f64 v[82:83], v[216:217], v[86:87], -v[36:37]
	v_mul_f64 v[36:37], v[222:223], v[96:97]
	;; [unrolled: 2-line block ×3, first 2 shown]
	v_fma_f64 v[186:187], v[220:221], v[98:99], -v[36:37]
	v_fma_f64 v[130:131], v[228:229], v[92:93], -v[34:35]
	buffer_load_dword v85, off, s[0:3], 0 offset:892
	buffer_load_dword v195, off, s[0:3], 0 offset:876
	buffer_load_dword v194, off, s[0:3], 0 offset:872
	buffer_load_dword v201, off, s[0:3], 0 offset:868
	buffer_load_dword v200, off, s[0:3], 0 offset:864
	buffer_load_dword v84, off, s[0:3], 0 offset:888
	buffer_load_dword v199, off, s[0:3], 0 offset:884
	buffer_load_dword v198, off, s[0:3], 0 offset:880
	buffer_load_dword v197, off, s[0:3], 0 offset:908
	buffer_load_dword v196, off, s[0:3], 0 offset:904
	buffer_load_dword v203, off, s[0:3], 0 offset:900
	buffer_load_dword v202, off, s[0:3], 0 offset:896
	ds_read_b128 v[34:37], v236 offset:1712
	v_mul_f64 v[44:45], v[248:249], v[56:57]
	v_fma_f64 v[14:15], v[246:247], v[66:67], -v[44:45]
	buffer_load_dword v66, off, s[0:3], 0 offset:920
	buffer_load_dword v206, off, s[0:3], 0 offset:912
	buffer_load_dword v67, off, s[0:3], 0 offset:924
	buffer_load_dword v207, off, s[0:3], 0 offset:916
	v_fma_f64 v[128:129], v[38:39], v[76:77], -v[40:41]
	ds_read_b128 v[38:41], v236 offset:1728
	ds_read_b128 v[30:33], v236 offset:1760
	v_mul_f64 v[2:3], v[50:51], v[58:59]
	v_fma_f64 v[126:127], v[48:49], v[52:53], -v[2:3]
	ds_read_b128 v[50:53], v236 offset:1776
	v_pk_mov_b32 v[120:121], v[0:1], v[0:1] op_sel:[0,1]
	v_mul_f64 v[2:3], v[6:7], v[70:71]
	v_fma_f64 v[2:3], v[4:5], v[60:61], -v[2:3]
	v_mul_f64 v[6:7], v[154:155], v[62:63]
	v_fma_f64 v[134:135], v[152:153], v[64:65], -v[6:7]
	ds_read_b128 v[62:65], v236 offset:1824
	v_accvgpr_write_b32 a241, v23
	v_accvgpr_write_b32 a240, v22
	;; [unrolled: 1-line block ×3, first 2 shown]
	ds_read_b128 v[58:61], v236 offset:1808
	v_accvgpr_write_b32 a238, v20
	ds_read_b128 v[20:23], v236 offset:1840
	v_mul_f64 v[46:47], v[80:81], v[46:47]
	v_fma_f64 v[12:13], v[78:79], v[28:29], -v[46:47]
	s_waitcnt vmcnt(58) lgkmcnt(7)
	v_mul_f64 v[44:45], v[122:123], v[138:139]
	ds_read_b128 v[78:81], v236 offset:1888
	v_accvgpr_read_b32 v28, a242
	v_accvgpr_read_b32 v29, a243
	ds_read_b128 v[74:77], v236 offset:1872
	s_waitcnt vmcnt(56)
	v_fmac_f64_e32 v[44:45], v[124:125], v[136:137]
	v_add_f64 v[42:43], v[42:43], v[44:45]
	s_waitcnt vmcnt(52) lgkmcnt(8)
	v_mul_f64 v[44:45], v[34:35], v[140:141]
	s_waitcnt vmcnt(50)
	v_fmac_f64_e32 v[44:45], v[36:37], v[132:133]
	v_add_f64 v[42:43], v[42:43], v[44:45]
	s_waitcnt vmcnt(49) lgkmcnt(7)
	v_mul_f64 v[44:45], v[38:39], v[148:149]
	s_waitcnt vmcnt(48)
	v_fmac_f64_e32 v[44:45], v[40:41], v[150:151]
	v_add_f64 v[54:55], v[42:43], v[44:45]
	ds_read_b128 v[42:45], v236 offset:1744
	s_waitcnt vmcnt(46) lgkmcnt(0)
	v_mul_f64 v[56:57], v[42:43], v[26:27]
	s_waitcnt vmcnt(44)
	v_fmac_f64_e32 v[56:57], v[44:45], v[162:163]
	v_add_f64 v[54:55], v[54:55], v[56:57]
	s_waitcnt vmcnt(38)
	v_mul_f64 v[4:5], v[50:51], v[112:113]
	s_waitcnt vmcnt(36)
	v_fmac_f64_e32 v[4:5], v[52:53], v[172:173]
	v_mul_f64 v[0:1], v[30:31], v[160:161]
	v_fmac_f64_e32 v[0:1], v[32:33], v[164:165]
	v_add_f64 v[0:1], v[54:55], v[0:1]
	ds_read_b128 v[54:57], v236 offset:1792
	v_add_f64 v[0:1], v[0:1], v[4:5]
	s_waitcnt vmcnt(22)
	v_mul_f64 v[6:7], v[20:21], v[182:183]
	s_waitcnt vmcnt(20)
	v_fmac_f64_e32 v[6:7], v[22:23], v[184:185]
	s_waitcnt lgkmcnt(0)
	v_mul_f64 v[4:5], v[54:55], v[170:171]
	v_fmac_f64_e32 v[4:5], v[56:57], v[174:175]
	v_add_f64 v[0:1], v[0:1], v[4:5]
	v_mul_f64 v[4:5], v[58:59], v[178:179]
	v_fmac_f64_e32 v[4:5], v[60:61], v[180:181]
	v_add_f64 v[0:1], v[0:1], v[4:5]
	;; [unrolled: 3-line block ×3, first 2 shown]
	v_mul_f64 v[4:5], v[158:159], v[146:147]
	v_fma_f64 v[4:5], v[156:157], v[72:73], -v[4:5]
	ds_read_b128 v[70:73], v236 offset:1856
	v_add_f64 v[0:1], v[0:1], v[6:7]
	v_mul_f64 v[6:7], v[10:11], v[208:209]
	v_fma_f64 v[46:47], v[8:9], v[210:211], -v[6:7]
	ds_read_b128 v[156:159], v236 offset:1904
	s_waitcnt vmcnt(17) lgkmcnt(1)
	v_mul_f64 v[6:7], v[70:71], v[188:189]
	s_waitcnt vmcnt(16)
	v_fmac_f64_e32 v[6:7], v[72:73], v[192:193]
	v_add_f64 v[0:1], v[0:1], v[6:7]
	v_mul_f64 v[6:7], v[90:91], v[114:115]
	v_fma_f64 v[48:49], v[88:89], v[116:117], -v[6:7]
	ds_read_b128 v[86:89], v236 offset:1920
	buffer_load_dword v209, off, s[0:3], 0 offset:940
	buffer_load_dword v208, off, s[0:3], 0 offset:936
	buffer_load_dword v211, off, s[0:3], 0 offset:932
	buffer_load_dword v210, off, s[0:3], 0 offset:928
	ds_read_b128 v[90:93], v236 offset:1936
	buffer_load_dword v10, off, s[0:3], 0 offset:952
	buffer_load_dword v11, off, s[0:3], 0 offset:956
	buffer_load_dword v214, off, s[0:3], 0 offset:944
	buffer_load_dword v215, off, s[0:3], 0 offset:948
	;; [unrolled: 5-line block ×5, first 2 shown]
	s_waitcnt vmcnt(33)
	v_mul_f64 v[6:7], v[74:75], v[194:195]
	s_waitcnt vmcnt(31)
	v_fmac_f64_e32 v[6:7], v[76:77], v[200:201]
	v_add_f64 v[0:1], v[0:1], v[6:7]
	s_waitcnt vmcnt(30)
	v_mul_f64 v[6:7], v[78:79], v[84:85]
	s_waitcnt vmcnt(28)
	v_fmac_f64_e32 v[6:7], v[80:81], v[198:199]
	v_add_f64 v[0:1], v[0:1], v[6:7]
	s_waitcnt vmcnt(26) lgkmcnt(5)
	v_mul_f64 v[6:7], v[156:157], v[196:197]
	s_waitcnt vmcnt(24)
	v_fmac_f64_e32 v[6:7], v[158:159], v[202:203]
	v_add_f64 v[0:1], v[0:1], v[6:7]
	s_waitcnt vmcnt(21) lgkmcnt(4)
	v_mul_f64 v[6:7], v[86:87], v[66:67]
	s_waitcnt vmcnt(20)
	v_fmac_f64_e32 v[6:7], v[88:89], v[206:207]
	v_add_f64 v[0:1], v[0:1], v[6:7]
	ds_read_b128 v[152:155], v236 offset:2000
	buffer_load_dword v228, off, s[0:3], 0 offset:1016
	buffer_load_dword v229, off, s[0:3], 0 offset:1020
	;; [unrolled: 1-line block ×4, first 2 shown]
	s_waitcnt vmcnt(22) lgkmcnt(4)
	v_mul_f64 v[6:7], v[90:91], v[208:209]
	s_waitcnt vmcnt(20)
	v_fmac_f64_e32 v[6:7], v[92:93], v[210:211]
	v_add_f64 v[0:1], v[0:1], v[6:7]
	s_waitcnt vmcnt(18) lgkmcnt(3)
	v_mul_f64 v[6:7], v[94:95], v[10:11]
	s_waitcnt vmcnt(16)
	v_fmac_f64_e32 v[6:7], v[96:97], v[214:215]
	v_add_f64 v[0:1], v[0:1], v[6:7]
	;; [unrolled: 5-line block ×5, first 2 shown]
	ds_read_b128 v[6:9], v236 offset:2016
	buffer_load_dword v247, off, s[0:3], 0 offset:1036
	buffer_load_dword v246, off, s[0:3], 0 offset:1032
	;; [unrolled: 1-line block ×4, first 2 shown]
	s_waitcnt vmcnt(6) lgkmcnt(0)
	v_mul_f64 v[114:115], v[6:7], v[228:229]
	s_waitcnt vmcnt(4)
	v_fmac_f64_e32 v[114:115], v[8:9], v[230:231]
	v_add_f64 v[0:1], v[0:1], v[114:115]
	ds_read_b128 v[114:117], v236 offset:2032
	s_waitcnt vmcnt(2) lgkmcnt(0)
	v_mul_f64 v[118:119], v[114:115], v[246:247]
	s_waitcnt vmcnt(0)
	v_fmac_f64_e32 v[118:119], v[116:117], v[248:249]
	v_add_f64 v[0:1], v[0:1], v[118:119]
	v_add_f64 v[118:119], v[28:29], 0
	v_accvgpr_read_b32 v28, a244
	v_accvgpr_read_b32 v29, a245
	v_add_f64 v[118:119], v[118:119], v[28:29]
	v_add_f64 v[118:119], v[118:119], v[252:253]
	;; [unrolled: 1-line block ×27, first 2 shown]
	buffer_load_dword v254, off, s[0:3], 0 offset:32
	buffer_load_dword v255, off, s[0:3], 0 offset:36
	buffer_load_dword v252, off, s[0:3], 0 offset:40
	buffer_load_dword v253, off, s[0:3], 0 offset:44
	v_add_f64 v[2:3], v[12:13], v[2:3]
	v_add_f64 v[2:3], v[2:3], v[134:135]
	;; [unrolled: 1-line block ×3, first 2 shown]
	v_accvgpr_read_b32 v12, a194
	v_accvgpr_read_b32 v4, a198
	;; [unrolled: 1-line block ×5, first 2 shown]
	v_mul_f64 v[4:5], v[14:15], v[4:5]
	v_accvgpr_read_b32 v14, a200
	v_add_f64 v[2:3], v[236:237], v[46:47]
	v_accvgpr_read_b32 v13, a195
	v_accvgpr_read_b32 v15, a201
	v_add_f64 v[2:3], v[2:3], v[48:49]
	v_fma_f64 v[4:5], v[12:13], v[14:15], -v[4:5]
	v_add_f64 v[2:3], v[2:3], v[4:5]
	v_accvgpr_read_b32 v12, a202
	v_accvgpr_read_b32 v4, a206
	v_accvgpr_read_b32 v14, a204
	v_accvgpr_read_b32 v15, a205
	v_accvgpr_read_b32 v5, a207
	v_mul_f64 v[4:5], v[14:15], v[4:5]
	v_accvgpr_read_b32 v14, a208
	v_accvgpr_read_b32 v13, a203
	v_accvgpr_read_b32 v15, a209
	v_fma_f64 v[4:5], v[12:13], v[14:15], -v[4:5]
	v_add_f64 v[2:3], v[2:3], v[4:5]
	v_accvgpr_read_b32 v12, a210
	v_accvgpr_read_b32 v4, a218
	v_accvgpr_read_b32 v14, a212
	v_accvgpr_read_b32 v15, a213
	v_accvgpr_read_b32 v5, a219
	v_mul_f64 v[4:5], v[14:15], v[4:5]
	v_accvgpr_read_b32 v14, a224
	v_accvgpr_read_b32 v13, a211
	v_accvgpr_read_b32 v15, a225
	;; [unrolled: 11-line block ×4, first 2 shown]
	v_fma_f64 v[4:5], v[12:13], v[14:15], -v[4:5]
	v_add_f64 v[2:3], v[2:3], v[4:5]
	v_accvgpr_read_b32 v4, a234
	v_accvgpr_read_b32 v5, a235
	;; [unrolled: 1-line block ×3, first 2 shown]
	v_mul_f64 v[4:5], v[234:235], v[4:5]
	v_accvgpr_read_b32 v13, a237
	v_fma_f64 v[4:5], v[232:233], v[12:13], -v[4:5]
	v_accvgpr_read_b32 v12, a238
	v_accvgpr_read_b32 v14, a240
	;; [unrolled: 1-line block ×3, first 2 shown]
	v_add_f64 v[2:3], v[2:3], v[4:5]
	v_accvgpr_read_b32 v13, a239
	v_mul_f64 v[4:5], v[14:15], v[120:121]
	v_fma_f64 v[4:5], v[12:13], v[244:245], -v[4:5]
	v_add_f64 v[2:3], v[2:3], v[4:5]
	v_mul_f64 v[4:5], v[124:125], v[138:139]
	v_fma_f64 v[4:5], v[122:123], v[136:137], -v[4:5]
	v_add_f64 v[2:3], v[2:3], v[4:5]
	;; [unrolled: 3-line block ×23, first 2 shown]
	s_waitcnt vmcnt(2)
	v_add_f64 v[2:3], v[254:255], -v[2:3]
	s_waitcnt vmcnt(0)
	v_add_f64 v[0:1], v[252:253], -v[0:1]
	buffer_store_dword v3, off, s[0:3], 0 offset:36
	buffer_store_dword v2, off, s[0:3], 0 offset:32
	;; [unrolled: 1-line block ×4, first 2 shown]
	v_accvgpr_read_b32 v0, a191
	v_cmp_ne_u32_e32 vcc, 0, v0
	s_and_saveexec_b64 s[4:5], vcc
	s_cbranch_execz .LBB127_409
; %bb.408:
	buffer_load_dword v0, off, s[0:3], 0 offset:16
	buffer_load_dword v1, off, s[0:3], 0 offset:20
	;; [unrolled: 1-line block ×4, first 2 shown]
	v_mov_b32_e32 v4, 0
	v_accvgpr_read_b32 v5, a192
	buffer_store_dword v4, off, s[0:3], 0 offset:16
	buffer_store_dword v4, off, s[0:3], 0 offset:20
	;; [unrolled: 1-line block ×4, first 2 shown]
	s_waitcnt vmcnt(4)
	ds_write_b128 v5, v[0:3]
.LBB127_409:
	s_or_b64 exec, exec, s[4:5]
	s_waitcnt lgkmcnt(0)
	; wave barrier
	s_waitcnt lgkmcnt(0)
	buffer_load_dword v0, off, s[0:3], 0 offset:32
	buffer_load_dword v1, off, s[0:3], 0 offset:36
	buffer_load_dword v2, off, s[0:3], 0 offset:40
	buffer_load_dword v3, off, s[0:3], 0 offset:44
	buffer_load_dword v46, off, s[0:3], 0 offset:48
	buffer_load_dword v47, off, s[0:3], 0 offset:52
	buffer_load_dword v52, off, s[0:3], 0 offset:56
	buffer_load_dword v53, off, s[0:3], 0 offset:60
	buffer_load_dword v236, off, s[0:3], 0 offset:72
	buffer_load_dword v237, off, s[0:3], 0 offset:76
	buffer_load_dword v45, off, s[0:3], 0 offset:108
	buffer_load_dword v44, off, s[0:3], 0 offset:104
	buffer_load_dword v235, off, s[0:3], 0 offset:100
	buffer_load_dword v234, off, s[0:3], 0 offset:96
	buffer_load_dword v5, off, s[0:3], 0 offset:92
	buffer_load_dword v4, off, s[0:3], 0 offset:88
	buffer_load_dword v9, off, s[0:3], 0 offset:140
	buffer_load_dword v8, off, s[0:3], 0 offset:136
	buffer_load_dword v11, off, s[0:3], 0 offset:132
	buffer_load_dword v10, off, s[0:3], 0 offset:128
	buffer_load_dword v13, off, s[0:3], 0 offset:124
	buffer_load_dword v12, off, s[0:3], 0 offset:120
	buffer_load_dword v239, off, s[0:3], 0 offset:172
	buffer_load_dword v238, off, s[0:3], 0 offset:168
	buffer_load_dword v250, off, s[0:3], 0 offset:160
	buffer_load_dword v245, off, s[0:3], 0 offset:156
	buffer_load_dword v244, off, s[0:3], 0 offset:152
	buffer_load_dword v7, off, s[0:3], 0 offset:188
	buffer_load_dword v6, off, s[0:3], 0 offset:184
	buffer_load_dword v242, off, s[0:3], 0 offset:64
	buffer_load_dword v243, off, s[0:3], 0 offset:68
	buffer_load_dword v23, off, s[0:3], 0 offset:84
	buffer_load_dword v22, off, s[0:3], 0 offset:80
	buffer_load_dword v241, off, s[0:3], 0 offset:116
	buffer_load_dword v240, off, s[0:3], 0 offset:112
	buffer_load_dword v21, off, s[0:3], 0 offset:148
	buffer_load_dword v20, off, s[0:3], 0 offset:144
	buffer_load_dword v251, off, s[0:3], 0 offset:164
	buffer_load_dword v228, off, s[0:3], 0 offset:200
	buffer_load_dword v66, off, s[0:3], 0 offset:192
	buffer_load_dword v67, off, s[0:3], 0 offset:196
	buffer_load_dword v229, off, s[0:3], 0 offset:204
	buffer_load_dword v101, off, s[0:3], 0 offset:180
	buffer_load_dword v100, off, s[0:3], 0 offset:176
	buffer_load_dword v75, off, s[0:3], 0 offset:236
	buffer_load_dword v74, off, s[0:3], 0 offset:232
	buffer_load_dword v77, off, s[0:3], 0 offset:228
	buffer_load_dword v76, off, s[0:3], 0 offset:224
	buffer_load_dword v87, off, s[0:3], 0 offset:220
	v_mov_b32_e32 v112, 0
	ds_read_b128 v[116:119], v112 offset:1040
	ds_read_b128 v[120:123], v112 offset:1056
	;; [unrolled: 1-line block ×11, first 2 shown]
	s_and_b64 vcc, exec, s[18:19]
	s_waitcnt vmcnt(45) lgkmcnt(10)
	v_mul_f64 v[14:15], v[116:117], v[2:3]
	v_fmac_f64_e32 v[14:15], v[118:119], v[0:1]
	v_add_f64 v[14:15], v[14:15], 0
	v_mul_f64 v[2:3], v[118:119], v[2:3]
	s_waitcnt vmcnt(41) lgkmcnt(9)
	v_mul_f64 v[16:17], v[120:121], v[52:53]
	v_fmac_f64_e32 v[16:17], v[122:123], v[46:47]
	s_waitcnt vmcnt(39) lgkmcnt(8)
	v_mul_f64 v[18:19], v[124:125], v[236:237]
	v_add_f64 v[14:15], v[14:15], v[16:17]
	s_waitcnt vmcnt(37) lgkmcnt(6)
	v_mul_f64 v[26:27], v[132:133], v[44:45]
	v_fma_f64 v[0:1], v[116:117], v[0:1], -v[2:3]
	s_waitcnt vmcnt(35)
	v_fmac_f64_e32 v[26:27], v[134:135], v[234:235]
	v_accvgpr_write_b32 a249, v1
	s_waitcnt vmcnt(33)
	v_mul_f64 v[24:25], v[128:129], v[4:5]
	v_accvgpr_write_b32 a248, v0
	s_waitcnt vmcnt(31) lgkmcnt(4)
	v_mul_f64 v[30:31], v[158:159], v[8:9]
	v_mul_f64 v[0:1], v[122:123], v[52:53]
	s_waitcnt vmcnt(29)
	v_fmac_f64_e32 v[30:31], v[160:161], v[10:11]
	v_fma_f64 v[0:1], v[120:121], v[46:47], -v[0:1]
	s_waitcnt vmcnt(27)
	v_mul_f64 v[28:29], v[154:155], v[12:13]
	v_accvgpr_write_b32 a251, v1
	s_waitcnt vmcnt(25) lgkmcnt(2)
	v_mul_f64 v[34:35], v[54:55], v[238:239]
	v_accvgpr_write_b32 a250, v0
	v_mul_f64 v[12:13], v[156:157], v[12:13]
	s_waitcnt vmcnt(22)
	v_mul_f64 v[32:33], v[162:163], v[244:245]
	v_mul_f64 v[8:9], v[160:161], v[8:9]
	s_waitcnt vmcnt(20) lgkmcnt(1)
	v_mul_f64 v[36:37], v[170:171], v[6:7]
	v_accvgpr_write_b32 a193, v7
	s_waitcnt vmcnt(18)
	v_fmac_f64_e32 v[18:19], v[126:127], v[242:243]
	v_add_f64 v[14:15], v[14:15], v[18:19]
	s_waitcnt vmcnt(16)
	v_fmac_f64_e32 v[24:25], v[130:131], v[22:23]
	v_add_f64 v[14:15], v[14:15], v[24:25]
	;; [unrolled: 3-line block ×3, first 2 shown]
	v_add_f64 v[14:15], v[14:15], v[28:29]
	s_waitcnt vmcnt(12)
	v_fmac_f64_e32 v[32:33], v[164:165], v[20:21]
	v_add_f64 v[14:15], v[14:15], v[30:31]
	s_waitcnt vmcnt(11)
	v_fmac_f64_e32 v[34:35], v[56:57], v[250:251]
	v_add_f64 v[14:15], v[14:15], v[32:33]
	v_add_f64 v[14:15], v[14:15], v[34:35]
	s_waitcnt vmcnt(5)
	v_fmac_f64_e32 v[36:37], v[172:173], v[100:101]
	v_accvgpr_write_b32 a192, v6
	buffer_load_dword v86, off, s[0:3], 0 offset:216
	buffer_load_dword v253, off, s[0:3], 0 offset:212
	;; [unrolled: 1-line block ×75, first 2 shown]
	v_add_f64 v[14:15], v[14:15], v[36:37]
	ds_read_b128 v[174:177], v112 offset:1216
	ds_read_b128 v[178:181], v112 offset:1232
	;; [unrolled: 1-line block ×14, first 2 shown]
	buffer_load_dword v105, off, s[0:3], 0 offset:540
	buffer_load_dword v104, off, s[0:3], 0 offset:536
	;; [unrolled: 1-line block ×4, first 2 shown]
	ds_read_b128 v[28:31], v112 offset:1440
	buffer_load_dword v102, off, s[0:3], 0 offset:552
	buffer_load_dword v103, off, s[0:3], 0 offset:556
	;; [unrolled: 1-line block ×12, first 2 shown]
	ds_read_b128 v[58:61], v112 offset:1456
	buffer_load_dword v1, off, s[0:3], 0 offset:604
	buffer_load_dword v0, off, s[0:3], 0 offset:600
	s_waitcnt lgkmcnt(14)
	v_mul_f64 v[16:17], v[246:247], v[228:229]
	v_fmac_f64_e32 v[16:17], v[248:249], v[66:67]
	v_add_f64 v[14:15], v[14:15], v[16:17]
	s_waitcnt vmcnt(62)
	v_mul_f64 v[16:17], v[174:175], v[86:87]
	v_fmac_f64_e32 v[16:17], v[176:177], v[252:253]
	v_add_f64 v[14:15], v[14:15], v[16:17]
	v_mul_f64 v[16:17], v[178:179], v[74:75]
	v_fmac_f64_e32 v[16:17], v[180:181], v[76:77]
	v_add_f64 v[14:15], v[14:15], v[16:17]
	s_waitcnt lgkmcnt(13)
	v_mul_f64 v[16:17], v[182:183], v[254:255]
	v_fmac_f64_e32 v[16:17], v[184:185], v[140:141]
	v_add_f64 v[14:15], v[14:15], v[16:17]
	s_waitcnt lgkmcnt(12)
	;; [unrolled: 4-line block ×6, first 2 shown]
	v_mul_f64 v[16:17], v[208:209], v[96:97]
	v_fmac_f64_e32 v[16:17], v[210:211], v[98:99]
	v_add_f64 v[14:15], v[14:15], v[16:17]
	s_waitcnt vmcnt(60) lgkmcnt(7)
	v_mul_f64 v[16:17], v[212:213], v[150:151]
	s_waitcnt vmcnt(58)
	v_fmac_f64_e32 v[16:17], v[214:215], v[152:153]
	v_add_f64 v[14:15], v[14:15], v[16:17]
	s_waitcnt lgkmcnt(6)
	v_mul_f64 v[16:17], v[216:217], v[88:89]
	v_fmac_f64_e32 v[16:17], v[218:219], v[90:91]
	v_add_f64 v[14:15], v[14:15], v[16:17]
	s_waitcnt vmcnt(52) lgkmcnt(5)
	v_mul_f64 v[16:17], v[222:223], v[92:93]
	s_waitcnt vmcnt(50)
	v_fmac_f64_e32 v[16:17], v[224:225], v[94:95]
	v_add_f64 v[14:15], v[14:15], v[16:17]
	s_waitcnt lgkmcnt(4)
	v_mul_f64 v[16:17], v[32:33], v[82:83]
	v_fmac_f64_e32 v[16:17], v[34:35], v[84:85]
	v_add_f64 v[14:15], v[14:15], v[16:17]
	s_waitcnt vmcnt(44) lgkmcnt(3)
	v_mul_f64 v[16:17], v[36:37], v[78:79]
	s_waitcnt vmcnt(42)
	v_fmac_f64_e32 v[16:17], v[38:39], v[80:81]
	v_add_f64 v[14:15], v[14:15], v[16:17]
	s_waitcnt lgkmcnt(2)
	v_mul_f64 v[16:17], v[166:167], v[70:71]
	v_fmac_f64_e32 v[16:17], v[168:169], v[72:73]
	v_add_f64 v[14:15], v[14:15], v[16:17]
	s_waitcnt vmcnt(36) lgkmcnt(1)
	v_mul_f64 v[16:17], v[28:29], v[64:65]
	s_waitcnt vmcnt(34)
	v_fmac_f64_e32 v[16:17], v[30:31], v[68:69]
	v_add_f64 v[14:15], v[14:15], v[16:17]
	v_fma_f64 v[240:241], v[154:155], v[240:241], -v[12:13]
	v_mul_f64 v[86:87], v[176:177], v[86:87]
	v_fma_f64 v[86:87], v[174:175], v[252:253], -v[86:87]
	v_mul_f64 v[74:75], v[180:181], v[74:75]
	v_mul_f64 v[38:39], v[38:39], v[78:79]
	;; [unrolled: 1-line block ×3, first 2 shown]
	v_fma_f64 v[36:37], v[36:37], v[80:81], -v[38:39]
	v_mul_f64 v[38:39], v[168:169], v[70:71]
	v_fma_f64 v[32:33], v[32:33], v[84:85], -v[34:35]
	v_fma_f64 v[38:39], v[166:167], v[72:73], -v[38:39]
	v_mul_f64 v[30:31], v[30:31], v[64:65]
	v_fma_f64 v[64:65], v[28:29], v[68:69], -v[30:31]
	v_mul_f64 v[88:89], v[218:219], v[88:89]
	;; [unrolled: 2-line block ×3, first 2 shown]
	v_fma_f64 v[90:91], v[222:223], v[94:95], -v[90:91]
	s_waitcnt vmcnt(4)
	v_accvgpr_write_b32 a196, v226
	v_accvgpr_write_b32 a197, v227
	s_waitcnt vmcnt(2)
	v_accvgpr_write_b32 a199, v7
	v_accvgpr_write_b32 a198, v6
	s_waitcnt vmcnt(0)
	v_pk_mov_b32 v[52:53], v[0:1], v[0:1] op_sel:[0,1]
	buffer_load_dword v1, off, s[0:3], 0 offset:596
	buffer_load_dword v0, off, s[0:3], 0 offset:592
	v_accvgpr_write_b32 a205, v53
	v_accvgpr_write_b32 a204, v52
	s_waitcnt vmcnt(0)
	v_pk_mov_b32 v[122:123], v[0:1], v[0:1] op_sel:[0,1]
	v_mul_f64 v[0:1], v[126:127], v[236:237]
	v_fma_f64 v[0:1], v[124:125], v[242:243], -v[0:1]
	v_accvgpr_write_b32 a253, v1
	v_accvgpr_write_b32 a252, v0
	buffer_load_dword v0, off, s[0:3], 0 offset:616
	buffer_load_dword v16, off, s[0:3], 0 offset:608
	;; [unrolled: 1-line block ×8, first 2 shown]
	v_fma_f64 v[242:243], v[158:159], v[10:11], -v[8:9]
	v_accvgpr_write_b32 a207, v123
	v_accvgpr_write_b32 a206, v122
	s_waitcnt vmcnt(2)
	v_accvgpr_write_b32 a221, v121
	v_pk_mov_b32 v[124:125], v[0:1], v[0:1] op_sel:[0,1]
	v_mul_f64 v[0:1], v[130:131], v[4:5]
	v_fma_f64 v[236:237], v[128:129], v[22:23], -v[0:1]
	v_mul_f64 v[0:1], v[134:135], v[44:45]
	v_fma_f64 v[132:133], v[132:133], v[234:235], -v[0:1]
	buffer_load_dword v0, off, s[0:3], 0 offset:648
	buffer_load_dword v4, off, s[0:3], 0 offset:640
	;; [unrolled: 1-line block ×4, first 2 shown]
	ds_read_b128 v[22:25], v112 offset:1472
	ds_read_b128 v[44:47], v112 offset:1488
	v_pk_mov_b32 v[126:127], v[16:17], v[16:17] op_sel:[0,1]
	v_mul_f64 v[16:17], v[164:165], v[244:245]
	v_fma_f64 v[244:245], v[162:163], v[20:21], -v[16:17]
	s_waitcnt lgkmcnt(1)
	v_mul_f64 v[12:13], v[22:23], v[190:191]
	v_fmac_f64_e32 v[12:13], v[24:25], v[48:49]
	v_mul_f64 v[20:21], v[56:57], v[238:239]
	v_fma_f64 v[128:129], v[54:55], v[250:251], -v[20:21]
	v_accvgpr_read_b32 v20, a192
	v_accvgpr_read_b32 v21, a193
	s_waitcnt vmcnt(4)
	v_accvgpr_write_b32 a223, v3
	v_accvgpr_write_b32 a222, v2
	;; [unrolled: 1-line block ×7, first 2 shown]
	s_waitcnt vmcnt(1)
	v_pk_mov_b32 v[130:131], v[0:1], v[0:1] op_sel:[0,1]
	buffer_load_dword v1, off, s[0:3], 0 offset:668
	buffer_load_dword v0, off, s[0:3], 0 offset:664
	s_waitcnt vmcnt(2)
	v_pk_mov_b32 v[134:135], v[4:5], v[4:5] op_sel:[0,1]
	v_mul_f64 v[4:5], v[58:59], v[26:27]
	v_fmac_f64_e32 v[4:5], v[60:61], v[42:43]
	v_add_f64 v[14:15], v[14:15], v[4:5]
	v_add_f64 v[12:13], v[14:15], v[12:13]
	s_waitcnt lgkmcnt(0)
	v_mul_f64 v[14:15], v[44:45], v[144:145]
	v_fmac_f64_e32 v[14:15], v[46:47], v[230:231]
	v_add_f64 v[116:117], v[12:13], v[14:15]
	v_accvgpr_write_b32 a229, v131
	v_accvgpr_write_b32 a228, v130
	;; [unrolled: 1-line block ×4, first 2 shown]
	v_mul_f64 v[26:27], v[60:61], v[26:27]
	v_fma_f64 v[26:27], v[58:59], v[42:43], -v[26:27]
	s_waitcnt vmcnt(0)
	v_pk_mov_b32 v[4:5], v[0:1], v[0:1] op_sel:[0,1]
	buffer_load_dword v1, off, s[0:3], 0 offset:660
	buffer_load_dword v0, off, s[0:3], 0 offset:656
	ds_read_b128 v[8:11], v112 offset:1504
	ds_read_b128 v[12:15], v112 offset:1520
	;; [unrolled: 1-line block ×5, first 2 shown]
	s_waitcnt lgkmcnt(4)
	v_mul_f64 v[118:119], v[8:9], v[62:63]
	v_fmac_f64_e32 v[118:119], v[10:11], v[50:51]
	v_add_f64 v[116:117], v[116:117], v[118:119]
	s_waitcnt lgkmcnt(3)
	v_mul_f64 v[118:119], v[12:13], v[232:233]
	v_fmac_f64_e32 v[118:119], v[14:15], v[220:221]
	v_add_f64 v[116:117], v[116:117], v[118:119]
	s_waitcnt lgkmcnt(2)
	v_mul_f64 v[118:119], v[16:17], v[104:105]
	v_fmac_f64_e32 v[118:119], v[18:19], v[108:109]
	v_accvgpr_write_b32 a237, v5
	v_accvgpr_write_b32 a236, v4
	s_waitcnt vmcnt(0)
	v_pk_mov_b32 v[158:159], v[0:1], v[0:1] op_sel:[0,1]
	v_add_f64 v[0:1], v[116:117], v[118:119]
	v_mul_f64 v[116:117], v[172:173], v[20:21]
	buffer_load_dword v21, off, s[0:3], 0 offset:684
	buffer_load_dword v20, off, s[0:3], 0 offset:680
	v_fma_f64 v[116:117], v[170:171], v[100:101], -v[116:117]
	s_waitcnt lgkmcnt(1)
	v_mul_f64 v[100:101], v[54:55], v[102:103]
	v_fmac_f64_e32 v[100:101], v[56:57], v[114:115]
	v_mul_f64 v[118:119], v[248:249], v[228:229]
	v_fma_f64 v[118:119], v[246:247], v[66:67], -v[118:119]
	v_add_f64 v[66:67], v[0:1], v[100:101]
	s_waitcnt lgkmcnt(0)
	v_mul_f64 v[100:101], v[154:155], v[198:199]
	v_fmac_f64_e32 v[100:101], v[156:157], v[196:197]
	v_add_f64 v[66:67], v[66:67], v[100:101]
	v_accvgpr_write_b32 a239, v159
	v_accvgpr_write_b32 a238, v158
	s_waitcnt vmcnt(0)
	v_pk_mov_b32 v[160:161], v[20:21], v[20:21] op_sel:[0,1]
	buffer_load_dword v21, off, s[0:3], 0 offset:676
	buffer_load_dword v20, off, s[0:3], 0 offset:672
	ds_read_b128 v[162:165], v112 offset:1584
	ds_read_b128 v[170:173], v112 offset:1616
	ds_read_b128 v[174:177], v112 offset:1632
	v_accvgpr_write_b32 a241, v161
	v_accvgpr_write_b32 a240, v160
	s_waitcnt lgkmcnt(2)
	v_mul_f64 v[100:101], v[162:163], v[226:227]
	v_accvgpr_write_b32 a195, v165
	v_fmac_f64_e32 v[100:101], v[164:165], v[6:7]
	v_accvgpr_write_b32 a194, v164
	v_accvgpr_write_b32 a193, v163
	;; [unrolled: 1-line block ×3, first 2 shown]
	ds_read_b128 v[162:165], v112 offset:1600
	v_add_f64 v[66:67], v[66:67], v[100:101]
	s_waitcnt lgkmcnt(2)
	v_accvgpr_write_b32 a211, v173
	s_waitcnt lgkmcnt(1)
	v_accvgpr_write_b32 a215, v177
	v_accvgpr_write_b32 a210, v172
	s_waitcnt lgkmcnt(0)
	v_mul_f64 v[100:101], v[162:163], v[52:53]
	v_accvgpr_write_b32 a203, v165
	v_fmac_f64_e32 v[100:101], v[164:165], v[122:123]
	v_accvgpr_write_b32 a202, v164
	v_accvgpr_write_b32 a201, v163
	;; [unrolled: 1-line block ×3, first 2 shown]
	v_fma_f64 v[164:165], v[178:179], v[76:77], -v[74:75]
	v_mul_f64 v[74:75], v[170:171], v[124:125]
	v_add_f64 v[66:67], v[66:67], v[100:101]
	v_fmac_f64_e32 v[74:75], v[172:173], v[126:127]
	v_add_f64 v[66:67], v[66:67], v[74:75]
	v_mul_f64 v[74:75], v[174:175], v[120:121]
	v_fmac_f64_e32 v[74:75], v[176:177], v[2:3]
	ds_read_b128 v[0:3], v112 offset:1648
	ds_read_b128 v[120:123], v112 offset:1664
	v_add_f64 v[66:67], v[66:67], v[74:75]
	v_mul_f64 v[74:75], v[184:185], v[254:255]
	v_fma_f64 v[74:75], v[182:183], v[140:141], -v[74:75]
	s_waitcnt lgkmcnt(1)
	v_mul_f64 v[76:77], v[0:1], v[130:131]
	v_fmac_f64_e32 v[76:77], v[2:3], v[134:135]
	v_accvgpr_write_b32 a227, v3
	v_accvgpr_write_b32 a226, v2
	;; [unrolled: 1-line block ×4, first 2 shown]
	v_add_f64 v[66:67], v[66:67], v[76:77]
	buffer_load_dword v0, off, s[0:3], 0 offset:712
	v_mul_f64 v[76:77], v[188:189], v[136:137]
	v_fma_f64 v[178:179], v[186:187], v[138:139], -v[76:77]
	buffer_load_dword v2, off, s[0:3], 0 offset:704
	buffer_load_dword v7, off, s[0:3], 0 offset:700
	;; [unrolled: 1-line block ×7, first 2 shown]
	v_mul_f64 v[76:77], v[194:195], v[148:149]
	v_fma_f64 v[192:193], v[192:193], v[40:41], -v[76:77]
	s_waitcnt lgkmcnt(0)
	v_mul_f64 v[40:41], v[120:121], v[4:5]
	v_fmac_f64_e32 v[40:41], v[122:123], v[158:159]
	ds_read_b128 v[138:141], v112 offset:1680
	ds_read_b128 v[246:249], v112 offset:1696
	buffer_load_dword v251, off, s[0:3], 0 offset:732
	buffer_load_dword v250, off, s[0:3], 0 offset:728
	;; [unrolled: 1-line block ×4, first 2 shown]
	v_add_f64 v[40:41], v[66:67], v[40:41]
	v_mul_f64 v[66:67], v[206:207], v[142:143]
	buffer_load_dword v130, off, s[0:3], 0 offset:744
	buffer_load_dword v142, off, s[0:3], 0 offset:736
	;; [unrolled: 1-line block ×4, first 2 shown]
	v_mul_f64 v[76:77], v[202:203], v[106:107]
	v_fma_f64 v[194:195], v[200:201], v[110:111], -v[76:77]
	v_mul_f64 v[76:77], v[210:211], v[96:97]
	v_mul_f64 v[96:97], v[214:215], v[150:151]
	v_fma_f64 v[180:181], v[212:213], v[152:153], -v[96:97]
	buffer_load_dword v151, off, s[0:3], 0 offset:780
	buffer_load_dword v153, off, s[0:3], 0 offset:764
	;; [unrolled: 1-line block ×8, first 2 shown]
	s_waitcnt lgkmcnt(1)
	v_mul_f64 v[96:97], v[138:139], v[160:161]
	buffer_load_dword v159, off, s[0:3], 0 offset:796
	buffer_load_dword v158, off, s[0:3], 0 offset:792
	;; [unrolled: 1-line block ×8, first 2 shown]
	v_accvgpr_write_b32 a209, v171
	v_accvgpr_write_b32 a208, v170
	;; [unrolled: 1-line block ×5, first 2 shown]
	buffer_load_dword v136, off, s[0:3], 0 offset:840
	buffer_load_dword v125, off, s[0:3], 0 offset:828
	;; [unrolled: 1-line block ×28, first 2 shown]
	ds_read_b128 v[168:171], v112 offset:1712
	v_accvgpr_write_b32 a235, v123
	v_accvgpr_write_b32 a234, v122
	;; [unrolled: 1-line block ×4, first 2 shown]
	ds_read_b128 v[120:123], v112 offset:1728
	v_fma_f64 v[66:67], v[204:205], v[146:147], -v[66:67]
	ds_read_b128 v[146:149], v112 offset:1744
	ds_read_b128 v[182:185], v112 offset:1760
	s_waitcnt vmcnt(60)
	v_fmac_f64_e32 v[96:97], v[140:141], v[20:21]
	v_add_f64 v[40:41], v[40:41], v[96:97]
	ds_read_b128 v[28:31], v112 offset:1792
	ds_read_b128 v[68:71], v112 offset:1856
	v_accvgpr_write_b32 a243, v21
	v_accvgpr_write_b32 a242, v20
	v_fma_f64 v[76:77], v[208:209], v[98:99], -v[76:77]
	s_waitcnt vmcnt(56) lgkmcnt(6)
	v_mul_f64 v[52:53], v[246:247], v[6:7]
	v_accvgpr_write_b32 a245, v7
	v_accvgpr_write_b32 a244, v6
	s_waitcnt vmcnt(54)
	v_fmac_f64_e32 v[52:53], v[248:249], v[226:227]
	s_waitcnt vmcnt(53) lgkmcnt(5)
	v_mul_f64 v[42:43], v[168:169], v[0:1]
	v_mul_f64 v[6:7], v[46:47], v[144:145]
	v_add_f64 v[40:41], v[40:41], v[52:53]
	s_waitcnt vmcnt(52)
	v_fmac_f64_e32 v[42:43], v[170:171], v[2:3]
	v_accvgpr_write_b32 a247, v3
	v_fma_f64 v[126:127], v[44:45], v[230:231], -v[6:7]
	ds_read_b128 v[44:47], v112 offset:1776
	v_accvgpr_write_b32 a246, v2
	v_add_f64 v[40:41], v[40:41], v[42:43]
	s_waitcnt vmcnt(50) lgkmcnt(5)
	v_mul_f64 v[42:43], v[120:121], v[250:251]
	v_mul_f64 v[2:3], v[24:25], v[190:191]
	s_waitcnt vmcnt(48)
	v_fmac_f64_e32 v[42:43], v[122:123], v[254:255]
	v_fma_f64 v[24:25], v[22:23], v[48:49], -v[2:3]
	s_waitcnt vmcnt(45) lgkmcnt(4)
	v_mul_f64 v[2:3], v[146:147], v[130:131]
	v_add_f64 v[52:53], v[40:41], v[42:43]
	s_waitcnt vmcnt(44)
	v_fmac_f64_e32 v[2:3], v[148:149], v[142:143]
	s_waitcnt vmcnt(41) lgkmcnt(3)
	v_mul_f64 v[4:5], v[182:183], v[152:153]
	v_add_f64 v[2:3], v[52:53], v[2:3]
	s_waitcnt vmcnt(39)
	v_fmac_f64_e32 v[4:5], v[184:185], v[238:239]
	v_add_f64 v[2:3], v[2:3], v[4:5]
	s_waitcnt vmcnt(38) lgkmcnt(0)
	v_mul_f64 v[4:5], v[44:45], v[150:151]
	s_waitcnt vmcnt(36)
	v_fmac_f64_e32 v[4:5], v[46:47], v[228:229]
	ds_read_b128 v[40:43], v112 offset:1808
	v_add_f64 v[2:3], v[2:3], v[4:5]
	v_mul_f64 v[4:5], v[10:11], v[62:63]
	ds_read_b128 v[60:63], v112 offset:1824
	v_fma_f64 v[80:81], v[8:9], v[50:51], -v[4:5]
	s_waitcnt vmcnt(34)
	v_mul_f64 v[4:5], v[28:29], v[158:159]
	s_waitcnt vmcnt(32)
	v_fmac_f64_e32 v[4:5], v[30:31], v[162:163]
	v_add_f64 v[2:3], v[2:3], v[4:5]
	v_mul_f64 v[4:5], v[14:15], v[232:233]
	v_fma_f64 v[82:83], v[12:13], v[220:221], -v[4:5]
	s_waitcnt vmcnt(29) lgkmcnt(1)
	v_mul_f64 v[4:5], v[40:41], v[160:161]
	ds_read_b128 v[12:15], v112 offset:1840
	s_waitcnt vmcnt(28)
	v_fmac_f64_e32 v[4:5], v[42:43], v[252:253]
	v_add_f64 v[2:3], v[2:3], v[4:5]
	v_mul_f64 v[4:5], v[18:19], v[104:105]
	v_fma_f64 v[144:145], v[16:17], v[108:109], -v[4:5]
	s_waitcnt vmcnt(25) lgkmcnt(1)
	v_mul_f64 v[4:5], v[60:61], v[124:125]
	s_waitcnt vmcnt(23)
	v_fmac_f64_e32 v[4:5], v[62:63], v[174:175]
	v_add_f64 v[2:3], v[2:3], v[4:5]
	s_waitcnt vmcnt(21) lgkmcnt(0)
	v_mul_f64 v[4:5], v[12:13], v[136:137]
	ds_read_b128 v[16:19], v112 offset:1872
	ds_read_b128 v[8:11], v112 offset:1888
	s_waitcnt vmcnt(20)
	v_fmac_f64_e32 v[4:5], v[14:15], v[134:135]
	s_waitcnt vmcnt(18)
	v_mul_f64 v[6:7], v[68:69], v[172:173]
	v_add_f64 v[4:5], v[2:3], v[4:5]
	s_waitcnt vmcnt(16)
	v_fmac_f64_e32 v[6:7], v[70:71], v[176:177]
	v_add_f64 v[4:5], v[4:5], v[6:7]
	v_mul_f64 v[6:7], v[156:157], v[198:199]
	v_fma_f64 v[52:53], v[154:155], v[196:197], -v[6:7]
	ds_read_b128 v[154:157], v112 offset:1904
	s_waitcnt vmcnt(14) lgkmcnt(2)
	v_mul_f64 v[6:7], v[16:17], v[78:79]
	s_waitcnt vmcnt(12)
	v_fmac_f64_e32 v[6:7], v[18:19], v[166:167]
	v_add_f64 v[4:5], v[4:5], v[6:7]
	s_waitcnt vmcnt(9) lgkmcnt(1)
	v_mul_f64 v[6:7], v[8:9], v[186:187]
	s_waitcnt vmcnt(7)
	v_fmac_f64_e32 v[6:7], v[10:11], v[188:189]
	v_add_f64 v[4:5], v[4:5], v[6:7]
	;; [unrolled: 5-line block ×3, first 2 shown]
	ds_read_b128 v[4:7], v112 offset:1920
	buffer_load_dword v196, off, s[0:3], 0 offset:936
	buffer_load_dword v197, off, s[0:3], 0 offset:940
	buffer_load_dword v198, off, s[0:3], 0 offset:928
	buffer_load_dword v199, off, s[0:3], 0 offset:932
	v_mul_f64 v[2:3], v[56:57], v[102:103]
	v_fma_f64 v[50:51], v[54:55], v[114:115], -v[2:3]
	v_pk_mov_b32 v[58:59], v[0:1], v[0:1] op_sel:[0,1]
	s_waitcnt vmcnt(6) lgkmcnt(0)
	v_mul_f64 v[22:23], v[4:5], v[72:73]
	s_waitcnt vmcnt(4)
	v_fmac_f64_e32 v[22:23], v[6:7], v[34:35]
	v_add_f64 v[92:93], v[20:21], v[22:23]
	ds_read_b128 v[20:23], v112 offset:1936
	buffer_load_dword v201, off, s[0:3], 0 offset:956
	buffer_load_dword v200, off, s[0:3], 0 offset:952
	buffer_load_dword v203, off, s[0:3], 0 offset:948
	buffer_load_dword v202, off, s[0:3], 0 offset:944
	s_waitcnt vmcnt(6) lgkmcnt(0)
	v_mul_f64 v[94:95], v[20:21], v[196:197]
	s_waitcnt vmcnt(4)
	v_fmac_f64_e32 v[94:95], v[22:23], v[198:199]
	v_add_f64 v[96:97], v[92:93], v[94:95]
	ds_read_b128 v[92:95], v112 offset:1952
	buffer_load_dword v204, off, s[0:3], 0 offset:968
	buffer_load_dword v205, off, s[0:3], 0 offset:972
	buffer_load_dword v206, off, s[0:3], 0 offset:960
	buffer_load_dword v207, off, s[0:3], 0 offset:964
	;; [unrolled: 10-line block ×5, first 2 shown]
	s_waitcnt vmcnt(6) lgkmcnt(0)
	v_mul_f64 v[110:111], v[104:105], v[212:213]
	s_waitcnt vmcnt(4)
	v_fmac_f64_e32 v[110:111], v[106:107], v[214:215]
	v_add_f64 v[114:115], v[108:109], v[110:111]
	ds_read_b128 v[108:111], v112 offset:2016
	s_waitcnt vmcnt(2) lgkmcnt(0)
	v_mul_f64 v[222:223], v[108:109], v[216:217]
	s_waitcnt vmcnt(0)
	v_fmac_f64_e32 v[222:223], v[110:111], v[218:219]
	v_add_f64 v[0:1], v[114:115], v[222:223]
	buffer_load_dword v222, off, s[0:3], 0 offset:1032
	buffer_load_dword v223, off, s[0:3], 0 offset:1036
	;; [unrolled: 1-line block ×4, first 2 shown]
	ds_read_b128 v[112:115], v112 offset:2032
	buffer_load_dword v232, off, s[0:3], 0 offset:16
	buffer_load_dword v233, off, s[0:3], 0 offset:20
	;; [unrolled: 1-line block ×4, first 2 shown]
	s_waitcnt vmcnt(6) lgkmcnt(0)
	v_mul_f64 v[2:3], v[112:113], v[222:223]
	s_waitcnt vmcnt(4)
	v_fmac_f64_e32 v[2:3], v[114:115], v[224:225]
	v_add_f64 v[48:49], v[0:1], v[2:3]
	v_accvgpr_read_b32 v0, a248
	v_accvgpr_read_b32 v1, a249
	;; [unrolled: 1-line block ×3, first 2 shown]
	v_add_f64 v[0:1], v[0:1], 0
	v_accvgpr_read_b32 v3, a251
	v_add_f64 v[0:1], v[0:1], v[2:3]
	v_accvgpr_read_b32 v2, a252
	v_accvgpr_read_b32 v3, a253
	v_add_f64 v[0:1], v[0:1], v[2:3]
	v_add_f64 v[0:1], v[0:1], v[236:237]
	;; [unrolled: 1-line block ×28, first 2 shown]
	v_accvgpr_read_b32 v24, a192
	v_accvgpr_read_b32 v2, a196
	v_add_f64 v[0:1], v[0:1], v[82:83]
	v_accvgpr_read_b32 v26, a194
	v_accvgpr_read_b32 v27, a195
	v_accvgpr_read_b32 v3, a197
	v_add_f64 v[0:1], v[0:1], v[144:145]
	v_mul_f64 v[2:3], v[26:27], v[2:3]
	v_accvgpr_read_b32 v26, a198
	v_add_f64 v[0:1], v[0:1], v[50:51]
	v_accvgpr_read_b32 v25, a193
	v_accvgpr_read_b32 v27, a199
	v_add_f64 v[0:1], v[0:1], v[52:53]
	v_fma_f64 v[2:3], v[24:25], v[26:27], -v[2:3]
	v_add_f64 v[0:1], v[0:1], v[2:3]
	v_accvgpr_read_b32 v24, a200
	v_accvgpr_read_b32 v2, a204
	v_accvgpr_read_b32 v26, a202
	v_accvgpr_read_b32 v27, a203
	v_accvgpr_read_b32 v3, a205
	v_mul_f64 v[2:3], v[26:27], v[2:3]
	v_accvgpr_read_b32 v26, a206
	v_accvgpr_read_b32 v25, a201
	v_accvgpr_read_b32 v27, a207
	v_fma_f64 v[2:3], v[24:25], v[26:27], -v[2:3]
	v_add_f64 v[0:1], v[0:1], v[2:3]
	v_accvgpr_read_b32 v24, a208
	v_accvgpr_read_b32 v2, a216
	v_accvgpr_read_b32 v26, a210
	v_accvgpr_read_b32 v27, a211
	v_accvgpr_read_b32 v3, a217
	v_mul_f64 v[2:3], v[26:27], v[2:3]
	v_accvgpr_read_b32 v26, a218
	v_accvgpr_read_b32 v25, a209
	v_accvgpr_read_b32 v27, a219
	;; [unrolled: 11-line block ×5, first 2 shown]
	v_fma_f64 v[2:3], v[24:25], v[26:27], -v[2:3]
	v_add_f64 v[0:1], v[0:1], v[2:3]
	v_accvgpr_read_b32 v2, a240
	v_accvgpr_read_b32 v3, a241
	;; [unrolled: 1-line block ×3, first 2 shown]
	v_mul_f64 v[2:3], v[140:141], v[2:3]
	v_accvgpr_read_b32 v25, a243
	v_fma_f64 v[2:3], v[138:139], v[24:25], -v[2:3]
	v_add_f64 v[0:1], v[0:1], v[2:3]
	v_accvgpr_read_b32 v2, a244
	v_accvgpr_read_b32 v3, a245
	v_mul_f64 v[2:3], v[248:249], v[2:3]
	v_fma_f64 v[2:3], v[246:247], v[226:227], -v[2:3]
	v_accvgpr_read_b32 v24, a246
	v_add_f64 v[0:1], v[0:1], v[2:3]
	v_mul_f64 v[2:3], v[170:171], v[58:59]
	v_accvgpr_read_b32 v25, a247
	v_fma_f64 v[2:3], v[168:169], v[24:25], -v[2:3]
	v_add_f64 v[0:1], v[0:1], v[2:3]
	v_mul_f64 v[2:3], v[122:123], v[250:251]
	v_fma_f64 v[2:3], v[120:121], v[254:255], -v[2:3]
	v_add_f64 v[0:1], v[0:1], v[2:3]
	v_mul_f64 v[2:3], v[148:149], v[130:131]
	v_fma_f64 v[2:3], v[146:147], v[142:143], -v[2:3]
	v_add_f64 v[0:1], v[0:1], v[2:3]
	v_mul_f64 v[2:3], v[184:185], v[152:153]
	v_fma_f64 v[2:3], v[182:183], v[238:239], -v[2:3]
	v_add_f64 v[0:1], v[0:1], v[2:3]
	v_mul_f64 v[2:3], v[46:47], v[150:151]
	v_fma_f64 v[2:3], v[44:45], v[228:229], -v[2:3]
	v_add_f64 v[0:1], v[0:1], v[2:3]
	v_mul_f64 v[2:3], v[30:31], v[158:159]
	v_fma_f64 v[2:3], v[28:29], v[162:163], -v[2:3]
	v_add_f64 v[0:1], v[0:1], v[2:3]
	v_mul_f64 v[2:3], v[42:43], v[160:161]
	v_fma_f64 v[2:3], v[40:41], v[252:253], -v[2:3]
	v_add_f64 v[0:1], v[0:1], v[2:3]
	v_mul_f64 v[2:3], v[62:63], v[124:125]
	v_fma_f64 v[2:3], v[60:61], v[174:175], -v[2:3]
	v_add_f64 v[0:1], v[0:1], v[2:3]
	v_mul_f64 v[2:3], v[14:15], v[136:137]
	v_fma_f64 v[2:3], v[12:13], v[134:135], -v[2:3]
	v_add_f64 v[0:1], v[0:1], v[2:3]
	v_mul_f64 v[2:3], v[70:71], v[172:173]
	v_fma_f64 v[2:3], v[68:69], v[176:177], -v[2:3]
	v_add_f64 v[0:1], v[0:1], v[2:3]
	v_mul_f64 v[2:3], v[18:19], v[78:79]
	v_fma_f64 v[2:3], v[16:17], v[166:167], -v[2:3]
	v_add_f64 v[0:1], v[0:1], v[2:3]
	v_mul_f64 v[2:3], v[10:11], v[186:187]
	v_fma_f64 v[2:3], v[8:9], v[188:189], -v[2:3]
	v_add_f64 v[0:1], v[0:1], v[2:3]
	v_mul_f64 v[2:3], v[156:157], v[84:85]
	v_fma_f64 v[2:3], v[154:155], v[234:235], -v[2:3]
	v_add_f64 v[0:1], v[0:1], v[2:3]
	v_mul_f64 v[2:3], v[6:7], v[72:73]
	v_fma_f64 v[2:3], v[4:5], v[34:35], -v[2:3]
	v_add_f64 v[0:1], v[0:1], v[2:3]
	v_mul_f64 v[2:3], v[22:23], v[196:197]
	v_fma_f64 v[2:3], v[20:21], v[198:199], -v[2:3]
	v_add_f64 v[0:1], v[0:1], v[2:3]
	v_mul_f64 v[2:3], v[94:95], v[200:201]
	v_fma_f64 v[2:3], v[92:93], v[202:203], -v[2:3]
	v_add_f64 v[0:1], v[0:1], v[2:3]
	v_mul_f64 v[2:3], v[98:99], v[204:205]
	v_fma_f64 v[2:3], v[96:97], v[206:207], -v[2:3]
	v_add_f64 v[0:1], v[0:1], v[2:3]
	v_mul_f64 v[2:3], v[102:103], v[208:209]
	v_fma_f64 v[2:3], v[100:101], v[210:211], -v[2:3]
	v_add_f64 v[0:1], v[0:1], v[2:3]
	v_mul_f64 v[2:3], v[106:107], v[212:213]
	v_fma_f64 v[2:3], v[104:105], v[214:215], -v[2:3]
	v_add_f64 v[0:1], v[0:1], v[2:3]
	v_mul_f64 v[2:3], v[110:111], v[216:217]
	v_fma_f64 v[2:3], v[108:109], v[218:219], -v[2:3]
	v_add_f64 v[0:1], v[0:1], v[2:3]
	v_mul_f64 v[2:3], v[114:115], v[222:223]
	v_fma_f64 v[2:3], v[112:113], v[224:225], -v[2:3]
	v_add_f64 v[0:1], v[0:1], v[2:3]
	s_waitcnt vmcnt(2)
	v_add_f64 v[0:1], v[232:233], -v[0:1]
	s_waitcnt vmcnt(0)
	v_add_f64 v[2:3], v[230:231], -v[48:49]
	buffer_store_dword v1, off, s[0:3], 0 offset:20
	buffer_store_dword v0, off, s[0:3], 0 offset:16
	;; [unrolled: 1-line block ×4, first 2 shown]
	s_cbranch_vccz .LBB127_537
; %bb.410:
	v_pk_mov_b32 v[0:1], s[16:17], s[16:17] op_sel:[0,1]
	flat_load_dword v0, v[0:1] offset:248
	s_waitcnt vmcnt(0) lgkmcnt(0)
	v_add_u32_e32 v0, -1, v0
	v_cmp_ne_u32_e32 vcc, 62, v0
	s_and_saveexec_b64 s[4:5], vcc
	s_cbranch_execz .LBB127_412
; %bb.411:
	v_mov_b32_e32 v1, 16
	v_accvgpr_read_b32 v9, a129
	v_lshl_add_u32 v0, v0, 4, v1
	buffer_load_dword v1, v9, s[0:3], 0 offen offset:4
	buffer_load_dword v2, v9, s[0:3], 0 offen offset:8
	buffer_load_dword v3, v9, s[0:3], 0 offen offset:12
	buffer_load_dword v4, v0, s[0:3], 0 offen
	buffer_load_dword v5, v0, s[0:3], 0 offen offset:4
	buffer_load_dword v6, v0, s[0:3], 0 offen offset:8
	buffer_load_dword v7, v0, s[0:3], 0 offen offset:12
	buffer_load_dword v8, v9, s[0:3], 0 offen
	s_waitcnt vmcnt(4)
	buffer_store_dword v4, v9, s[0:3], 0 offen
	s_waitcnt vmcnt(4)
	buffer_store_dword v5, v9, s[0:3], 0 offen offset:4
	s_waitcnt vmcnt(4)
	buffer_store_dword v6, v9, s[0:3], 0 offen offset:8
	s_waitcnt vmcnt(4)
	buffer_store_dword v7, v9, s[0:3], 0 offen offset:12
	buffer_store_dword v3, v0, s[0:3], 0 offen offset:12
	buffer_store_dword v2, v0, s[0:3], 0 offen offset:8
	buffer_store_dword v1, v0, s[0:3], 0 offen offset:4
	s_waitcnt vmcnt(7)
	buffer_store_dword v8, v0, s[0:3], 0 offen
.LBB127_412:
	s_or_b64 exec, exec, s[4:5]
	v_pk_mov_b32 v[0:1], s[16:17], s[16:17] op_sel:[0,1]
	flat_load_dword v0, v[0:1] offset:244
	s_waitcnt vmcnt(0) lgkmcnt(0)
	v_add_u32_e32 v0, -1, v0
	v_cmp_ne_u32_e32 vcc, 61, v0
	s_and_saveexec_b64 s[4:5], vcc
	s_cbranch_execz .LBB127_414
; %bb.413:
	v_mov_b32_e32 v1, 16
	v_accvgpr_read_b32 v9, a130
	v_lshl_add_u32 v0, v0, 4, v1
	buffer_load_dword v1, v9, s[0:3], 0 offen offset:4
	buffer_load_dword v2, v9, s[0:3], 0 offen offset:8
	buffer_load_dword v3, v9, s[0:3], 0 offen offset:12
	buffer_load_dword v4, v0, s[0:3], 0 offen
	buffer_load_dword v5, v0, s[0:3], 0 offen offset:4
	buffer_load_dword v6, v0, s[0:3], 0 offen offset:8
	buffer_load_dword v7, v0, s[0:3], 0 offen offset:12
	buffer_load_dword v8, v9, s[0:3], 0 offen
	s_waitcnt vmcnt(4)
	buffer_store_dword v4, v9, s[0:3], 0 offen
	s_waitcnt vmcnt(4)
	buffer_store_dword v5, v9, s[0:3], 0 offen offset:4
	s_waitcnt vmcnt(4)
	buffer_store_dword v6, v9, s[0:3], 0 offen offset:8
	s_waitcnt vmcnt(4)
	buffer_store_dword v7, v9, s[0:3], 0 offen offset:12
	buffer_store_dword v3, v0, s[0:3], 0 offen offset:12
	buffer_store_dword v2, v0, s[0:3], 0 offen offset:8
	buffer_store_dword v1, v0, s[0:3], 0 offen offset:4
	s_waitcnt vmcnt(7)
	buffer_store_dword v8, v0, s[0:3], 0 offen
.LBB127_414:
	s_or_b64 exec, exec, s[4:5]
	;; [unrolled: 34-line block ×62, first 2 shown]
	v_pk_mov_b32 v[0:1], s[16:17], s[16:17] op_sel:[0,1]
	flat_load_dword v0, v[0:1]
	s_waitcnt vmcnt(0) lgkmcnt(0)
	v_add_u32_e32 v0, -1, v0
	v_cmp_ne_u32_e32 vcc, 0, v0
	s_and_saveexec_b64 s[4:5], vcc
	s_cbranch_execz .LBB127_536
; %bb.535:
	v_mov_b32_e32 v1, 16
	v_lshl_add_u32 v0, v0, 4, v1
	buffer_load_dword v1, v0, s[0:3], 0 offen
	buffer_load_dword v2, v0, s[0:3], 0 offen offset:4
	buffer_load_dword v3, v0, s[0:3], 0 offen offset:8
	;; [unrolled: 1-line block ×3, first 2 shown]
	buffer_load_dword v5, off, s[0:3], 0 offset:28
	buffer_load_dword v6, off, s[0:3], 0 offset:24
	;; [unrolled: 1-line block ×4, first 2 shown]
	s_waitcnt vmcnt(7)
	buffer_store_dword v1, off, s[0:3], 0 offset:16
	s_waitcnt vmcnt(7)
	buffer_store_dword v2, off, s[0:3], 0 offset:20
	;; [unrolled: 2-line block ×4, first 2 shown]
	s_waitcnt vmcnt(7)
	buffer_store_dword v5, v0, s[0:3], 0 offen offset:12
	s_waitcnt vmcnt(7)
	buffer_store_dword v6, v0, s[0:3], 0 offen offset:8
	;; [unrolled: 2-line block ×3, first 2 shown]
	s_waitcnt vmcnt(7)
	buffer_store_dword v8, v0, s[0:3], 0 offen
.LBB127_536:
	s_or_b64 exec, exec, s[4:5]
.LBB127_537:
	buffer_load_dword v0, off, s[0:3], 0 offset:16
	buffer_load_dword v1, off, s[0:3], 0 offset:20
	;; [unrolled: 1-line block ×4, first 2 shown]
	v_accvgpr_read_b32 v4, a72
	v_accvgpr_read_b32 v5, a73
	s_waitcnt vmcnt(0)
	global_store_dwordx4 v[4:5], v[0:3], off
	s_nop 0
	v_accvgpr_read_b32 v3, a190
	buffer_load_dword v0, v3, s[0:3], 0 offen
	buffer_load_dword v1, v3, s[0:3], 0 offen offset:4
	buffer_load_dword v2, v3, s[0:3], 0 offen offset:8
	s_nop 0
	buffer_load_dword v3, v3, s[0:3], 0 offen offset:12
	v_accvgpr_read_b32 v4, a58
	v_accvgpr_read_b32 v5, a59
	s_waitcnt vmcnt(0)
	global_store_dwordx4 v[4:5], v[0:3], off
	s_nop 0
	v_accvgpr_read_b32 v3, a189
	buffer_load_dword v0, v3, s[0:3], 0 offen
	buffer_load_dword v1, v3, s[0:3], 0 offen offset:4
	buffer_load_dword v2, v3, s[0:3], 0 offen offset:8
	s_nop 0
	buffer_load_dword v3, v3, s[0:3], 0 offen offset:12
	v_accvgpr_read_b32 v4, a44
	v_accvgpr_read_b32 v5, a45
	s_waitcnt vmcnt(0)
	global_store_dwordx4 v[4:5], v[0:3], off
	s_nop 0
	v_accvgpr_read_b32 v3, a188
	buffer_load_dword v0, v3, s[0:3], 0 offen
	buffer_load_dword v1, v3, s[0:3], 0 offen offset:4
	buffer_load_dword v2, v3, s[0:3], 0 offen offset:8
	s_nop 0
	buffer_load_dword v3, v3, s[0:3], 0 offen offset:12
	v_accvgpr_read_b32 v4, a126
	v_accvgpr_read_b32 v5, a127
	s_waitcnt vmcnt(0)
	global_store_dwordx4 v[4:5], v[0:3], off
	s_nop 0
	v_accvgpr_read_b32 v3, a187
	buffer_load_dword v0, v3, s[0:3], 0 offen
	buffer_load_dword v1, v3, s[0:3], 0 offen offset:4
	buffer_load_dword v2, v3, s[0:3], 0 offen offset:8
	s_nop 0
	buffer_load_dword v3, v3, s[0:3], 0 offen offset:12
	v_accvgpr_read_b32 v4, a120
	v_accvgpr_read_b32 v5, a121
	s_waitcnt vmcnt(0)
	global_store_dwordx4 v[4:5], v[0:3], off
	s_nop 0
	v_accvgpr_read_b32 v3, a186
	buffer_load_dword v0, v3, s[0:3], 0 offen
	buffer_load_dword v1, v3, s[0:3], 0 offen offset:4
	buffer_load_dword v2, v3, s[0:3], 0 offen offset:8
	s_nop 0
	buffer_load_dword v3, v3, s[0:3], 0 offen offset:12
	v_accvgpr_read_b32 v4, a122
	v_accvgpr_read_b32 v5, a123
	s_waitcnt vmcnt(0)
	global_store_dwordx4 v[4:5], v[0:3], off
	s_nop 0
	v_accvgpr_read_b32 v3, a185
	buffer_load_dword v0, v3, s[0:3], 0 offen
	buffer_load_dword v1, v3, s[0:3], 0 offen offset:4
	buffer_load_dword v2, v3, s[0:3], 0 offen offset:8
	s_nop 0
	buffer_load_dword v3, v3, s[0:3], 0 offen offset:12
	v_accvgpr_read_b32 v4, a112
	v_accvgpr_read_b32 v5, a113
	s_waitcnt vmcnt(0)
	global_store_dwordx4 v[4:5], v[0:3], off
	s_nop 0
	v_accvgpr_read_b32 v3, a184
	buffer_load_dword v0, v3, s[0:3], 0 offen
	buffer_load_dword v1, v3, s[0:3], 0 offen offset:4
	buffer_load_dword v2, v3, s[0:3], 0 offen offset:8
	s_nop 0
	buffer_load_dword v3, v3, s[0:3], 0 offen offset:12
	v_accvgpr_read_b32 v4, a114
	v_accvgpr_read_b32 v5, a115
	s_waitcnt vmcnt(0)
	global_store_dwordx4 v[4:5], v[0:3], off
	s_nop 0
	v_accvgpr_read_b32 v3, a183
	buffer_load_dword v0, v3, s[0:3], 0 offen
	buffer_load_dword v1, v3, s[0:3], 0 offen offset:4
	buffer_load_dword v2, v3, s[0:3], 0 offen offset:8
	s_nop 0
	buffer_load_dword v3, v3, s[0:3], 0 offen offset:12
	v_accvgpr_read_b32 v4, a104
	v_accvgpr_read_b32 v5, a105
	s_waitcnt vmcnt(0)
	global_store_dwordx4 v[4:5], v[0:3], off
	s_nop 0
	v_accvgpr_read_b32 v3, a182
	buffer_load_dword v0, v3, s[0:3], 0 offen
	buffer_load_dword v1, v3, s[0:3], 0 offen offset:4
	buffer_load_dword v2, v3, s[0:3], 0 offen offset:8
	s_nop 0
	buffer_load_dword v3, v3, s[0:3], 0 offen offset:12
	v_accvgpr_read_b32 v4, a106
	v_accvgpr_read_b32 v5, a107
	s_waitcnt vmcnt(0)
	global_store_dwordx4 v[4:5], v[0:3], off
	s_nop 0
	v_accvgpr_read_b32 v3, a181
	buffer_load_dword v0, v3, s[0:3], 0 offen
	buffer_load_dword v1, v3, s[0:3], 0 offen offset:4
	buffer_load_dword v2, v3, s[0:3], 0 offen offset:8
	s_nop 0
	buffer_load_dword v3, v3, s[0:3], 0 offen offset:12
	v_accvgpr_read_b32 v4, a98
	v_accvgpr_read_b32 v5, a99
	s_waitcnt vmcnt(0)
	global_store_dwordx4 v[4:5], v[0:3], off
	s_nop 0
	v_accvgpr_read_b32 v3, a180
	buffer_load_dword v0, v3, s[0:3], 0 offen
	buffer_load_dword v1, v3, s[0:3], 0 offen offset:4
	buffer_load_dword v2, v3, s[0:3], 0 offen offset:8
	s_nop 0
	buffer_load_dword v3, v3, s[0:3], 0 offen offset:12
	v_accvgpr_read_b32 v4, a100
	v_accvgpr_read_b32 v5, a101
	s_waitcnt vmcnt(0)
	global_store_dwordx4 v[4:5], v[0:3], off
	s_nop 0
	v_accvgpr_read_b32 v3, a179
	buffer_load_dword v0, v3, s[0:3], 0 offen
	buffer_load_dword v1, v3, s[0:3], 0 offen offset:4
	buffer_load_dword v2, v3, s[0:3], 0 offen offset:8
	s_nop 0
	buffer_load_dword v3, v3, s[0:3], 0 offen offset:12
	v_accvgpr_read_b32 v4, a86
	v_accvgpr_read_b32 v5, a87
	s_waitcnt vmcnt(0)
	global_store_dwordx4 v[4:5], v[0:3], off
	s_nop 0
	v_accvgpr_read_b32 v3, a178
	buffer_load_dword v0, v3, s[0:3], 0 offen
	buffer_load_dword v1, v3, s[0:3], 0 offen offset:4
	buffer_load_dword v2, v3, s[0:3], 0 offen offset:8
	s_nop 0
	buffer_load_dword v3, v3, s[0:3], 0 offen offset:12
	v_accvgpr_read_b32 v4, a88
	v_accvgpr_read_b32 v5, a89
	s_waitcnt vmcnt(0)
	global_store_dwordx4 v[4:5], v[0:3], off
	s_nop 0
	v_accvgpr_read_b32 v3, a177
	buffer_load_dword v0, v3, s[0:3], 0 offen
	buffer_load_dword v1, v3, s[0:3], 0 offen offset:4
	buffer_load_dword v2, v3, s[0:3], 0 offen offset:8
	s_nop 0
	buffer_load_dword v3, v3, s[0:3], 0 offen offset:12
	v_accvgpr_read_b32 v4, a74
	v_accvgpr_read_b32 v5, a75
	s_waitcnt vmcnt(0)
	global_store_dwordx4 v[4:5], v[0:3], off
	s_nop 0
	v_accvgpr_read_b32 v3, a176
	buffer_load_dword v0, v3, s[0:3], 0 offen
	buffer_load_dword v1, v3, s[0:3], 0 offen offset:4
	buffer_load_dword v2, v3, s[0:3], 0 offen offset:8
	s_nop 0
	buffer_load_dword v3, v3, s[0:3], 0 offen offset:12
	v_accvgpr_read_b32 v4, a76
	v_accvgpr_read_b32 v5, a77
	s_waitcnt vmcnt(0)
	global_store_dwordx4 v[4:5], v[0:3], off
	s_nop 0
	v_accvgpr_read_b32 v3, a175
	buffer_load_dword v0, v3, s[0:3], 0 offen
	buffer_load_dword v1, v3, s[0:3], 0 offen offset:4
	buffer_load_dword v2, v3, s[0:3], 0 offen offset:8
	s_nop 0
	buffer_load_dword v3, v3, s[0:3], 0 offen offset:12
	v_accvgpr_read_b32 v4, a60
	v_accvgpr_read_b32 v5, a61
	s_waitcnt vmcnt(0)
	global_store_dwordx4 v[4:5], v[0:3], off
	s_nop 0
	v_accvgpr_read_b32 v3, a174
	buffer_load_dword v0, v3, s[0:3], 0 offen
	buffer_load_dword v1, v3, s[0:3], 0 offen offset:4
	buffer_load_dword v2, v3, s[0:3], 0 offen offset:8
	s_nop 0
	buffer_load_dword v3, v3, s[0:3], 0 offen offset:12
	v_accvgpr_read_b32 v4, a66
	v_accvgpr_read_b32 v5, a67
	s_waitcnt vmcnt(0)
	global_store_dwordx4 v[4:5], v[0:3], off
	s_nop 0
	v_accvgpr_read_b32 v3, a173
	buffer_load_dword v0, v3, s[0:3], 0 offen
	buffer_load_dword v1, v3, s[0:3], 0 offen offset:4
	buffer_load_dword v2, v3, s[0:3], 0 offen offset:8
	s_nop 0
	buffer_load_dword v3, v3, s[0:3], 0 offen offset:12
	v_accvgpr_read_b32 v4, a50
	v_accvgpr_read_b32 v5, a51
	s_waitcnt vmcnt(0)
	global_store_dwordx4 v[4:5], v[0:3], off
	s_nop 0
	v_accvgpr_read_b32 v3, a172
	buffer_load_dword v0, v3, s[0:3], 0 offen
	buffer_load_dword v1, v3, s[0:3], 0 offen offset:4
	buffer_load_dword v2, v3, s[0:3], 0 offen offset:8
	s_nop 0
	buffer_load_dword v3, v3, s[0:3], 0 offen offset:12
	v_accvgpr_read_b32 v4, a52
	v_accvgpr_read_b32 v5, a53
	s_waitcnt vmcnt(0)
	global_store_dwordx4 v[4:5], v[0:3], off
	s_nop 0
	v_accvgpr_read_b32 v3, a171
	buffer_load_dword v0, v3, s[0:3], 0 offen
	buffer_load_dword v1, v3, s[0:3], 0 offen offset:4
	buffer_load_dword v2, v3, s[0:3], 0 offen offset:8
	s_nop 0
	buffer_load_dword v3, v3, s[0:3], 0 offen offset:12
	v_accvgpr_read_b32 v4, a40
	v_accvgpr_read_b32 v5, a41
	s_waitcnt vmcnt(0)
	global_store_dwordx4 v[4:5], v[0:3], off
	s_nop 0
	v_accvgpr_read_b32 v3, a170
	buffer_load_dword v0, v3, s[0:3], 0 offen
	buffer_load_dword v1, v3, s[0:3], 0 offen offset:4
	buffer_load_dword v2, v3, s[0:3], 0 offen offset:8
	s_nop 0
	buffer_load_dword v3, v3, s[0:3], 0 offen offset:12
	v_accvgpr_read_b32 v4, a42
	v_accvgpr_read_b32 v5, a43
	s_waitcnt vmcnt(0)
	global_store_dwordx4 v[4:5], v[0:3], off
	s_nop 0
	v_accvgpr_read_b32 v3, a169
	buffer_load_dword v0, v3, s[0:3], 0 offen
	buffer_load_dword v1, v3, s[0:3], 0 offen offset:4
	buffer_load_dword v2, v3, s[0:3], 0 offen offset:8
	s_nop 0
	buffer_load_dword v3, v3, s[0:3], 0 offen offset:12
	v_accvgpr_read_b32 v4, a30
	v_accvgpr_read_b32 v5, a31
	s_waitcnt vmcnt(0)
	global_store_dwordx4 v[4:5], v[0:3], off
	v_accvgpr_read_b32 v4, a168
	buffer_load_dword v0, v4, s[0:3], 0 offen
	buffer_load_dword v1, v4, s[0:3], 0 offen offset:4
	buffer_load_dword v2, v4, s[0:3], 0 offen offset:8
	buffer_load_dword v3, v4, s[0:3], 0 offen offset:12
	v_accvgpr_read_b32 v4, a124
	v_accvgpr_read_b32 v5, a125
	s_waitcnt vmcnt(0)
	global_store_dwordx4 v[4:5], v[0:3], off
	v_accvgpr_read_b32 v4, a167
	buffer_load_dword v0, v4, s[0:3], 0 offen
	buffer_load_dword v1, v4, s[0:3], 0 offen offset:4
	buffer_load_dword v2, v4, s[0:3], 0 offen offset:8
	buffer_load_dword v3, v4, s[0:3], 0 offen offset:12
	;; [unrolled: 9-line block ×41, first 2 shown]
	v_accvgpr_read_b32 v5, a1
	v_accvgpr_read_b32 v4, a0
	s_waitcnt vmcnt(0)
	global_store_dwordx4 v[4:5], v[0:3], off
	s_endpgm
	.section	.rodata,"a",@progbits
	.p2align	6, 0x0
	.amdhsa_kernel _ZN9rocsolver6v33100L18getri_kernel_smallILi64E19rocblas_complex_numIdEPKPS3_EEvT1_iilPiilS8_bb
		.amdhsa_group_segment_fixed_size 2056
		.amdhsa_private_segment_fixed_size 1056
		.amdhsa_kernarg_size 60
		.amdhsa_user_sgpr_count 8
		.amdhsa_user_sgpr_private_segment_buffer 1
		.amdhsa_user_sgpr_dispatch_ptr 0
		.amdhsa_user_sgpr_queue_ptr 0
		.amdhsa_user_sgpr_kernarg_segment_ptr 1
		.amdhsa_user_sgpr_dispatch_id 0
		.amdhsa_user_sgpr_flat_scratch_init 1
		.amdhsa_user_sgpr_kernarg_preload_length 0
		.amdhsa_user_sgpr_kernarg_preload_offset 0
		.amdhsa_user_sgpr_private_segment_size 0
		.amdhsa_uses_dynamic_stack 0
		.amdhsa_system_sgpr_private_segment_wavefront_offset 1
		.amdhsa_system_sgpr_workgroup_id_x 1
		.amdhsa_system_sgpr_workgroup_id_y 0
		.amdhsa_system_sgpr_workgroup_id_z 0
		.amdhsa_system_sgpr_workgroup_info 0
		.amdhsa_system_vgpr_workitem_id 0
		.amdhsa_next_free_vgpr 510
		.amdhsa_next_free_sgpr 30
		.amdhsa_accum_offset 256
		.amdhsa_reserve_vcc 1
		.amdhsa_reserve_flat_scratch 1
		.amdhsa_float_round_mode_32 0
		.amdhsa_float_round_mode_16_64 0
		.amdhsa_float_denorm_mode_32 3
		.amdhsa_float_denorm_mode_16_64 3
		.amdhsa_dx10_clamp 1
		.amdhsa_ieee_mode 1
		.amdhsa_fp16_overflow 0
		.amdhsa_tg_split 0
		.amdhsa_exception_fp_ieee_invalid_op 0
		.amdhsa_exception_fp_denorm_src 0
		.amdhsa_exception_fp_ieee_div_zero 0
		.amdhsa_exception_fp_ieee_overflow 0
		.amdhsa_exception_fp_ieee_underflow 0
		.amdhsa_exception_fp_ieee_inexact 0
		.amdhsa_exception_int_div_zero 0
	.end_amdhsa_kernel
	.section	.text._ZN9rocsolver6v33100L18getri_kernel_smallILi64E19rocblas_complex_numIdEPKPS3_EEvT1_iilPiilS8_bb,"axG",@progbits,_ZN9rocsolver6v33100L18getri_kernel_smallILi64E19rocblas_complex_numIdEPKPS3_EEvT1_iilPiilS8_bb,comdat
.Lfunc_end127:
	.size	_ZN9rocsolver6v33100L18getri_kernel_smallILi64E19rocblas_complex_numIdEPKPS3_EEvT1_iilPiilS8_bb, .Lfunc_end127-_ZN9rocsolver6v33100L18getri_kernel_smallILi64E19rocblas_complex_numIdEPKPS3_EEvT1_iilPiilS8_bb
                                        ; -- End function
	.section	.AMDGPU.csdata,"",@progbits
; Kernel info:
; codeLenInByte = 254220
; NumSgprs: 36
; NumVgprs: 256
; NumAgprs: 254
; TotalNumVgprs: 510
; ScratchSize: 1056
; MemoryBound: 0
; FloatMode: 240
; IeeeMode: 1
; LDSByteSize: 2056 bytes/workgroup (compile time only)
; SGPRBlocks: 4
; VGPRBlocks: 63
; NumSGPRsForWavesPerEU: 36
; NumVGPRsForWavesPerEU: 510
; AccumOffset: 256
; Occupancy: 1
; WaveLimiterHint : 1
; COMPUTE_PGM_RSRC2:SCRATCH_EN: 1
; COMPUTE_PGM_RSRC2:USER_SGPR: 8
; COMPUTE_PGM_RSRC2:TRAP_HANDLER: 0
; COMPUTE_PGM_RSRC2:TGID_X_EN: 1
; COMPUTE_PGM_RSRC2:TGID_Y_EN: 0
; COMPUTE_PGM_RSRC2:TGID_Z_EN: 0
; COMPUTE_PGM_RSRC2:TIDIG_COMP_CNT: 0
; COMPUTE_PGM_RSRC3_GFX90A:ACCUM_OFFSET: 63
; COMPUTE_PGM_RSRC3_GFX90A:TG_SPLIT: 0
	.text
	.p2alignl 6, 3212836864
	.fill 256, 4, 3212836864
	.type	__hip_cuid_2d6a773d6b29458f,@object ; @__hip_cuid_2d6a773d6b29458f
	.section	.bss,"aw",@nobits
	.globl	__hip_cuid_2d6a773d6b29458f
__hip_cuid_2d6a773d6b29458f:
	.byte	0                               ; 0x0
	.size	__hip_cuid_2d6a773d6b29458f, 1

	.ident	"AMD clang version 19.0.0git (https://github.com/RadeonOpenCompute/llvm-project roc-6.4.0 25133 c7fe45cf4b819c5991fe208aaa96edf142730f1d)"
	.section	".note.GNU-stack","",@progbits
	.addrsig
	.addrsig_sym __hip_cuid_2d6a773d6b29458f
	.amdgpu_metadata
---
amdhsa.kernels:
  - .agpr_count:     0
    .args:
      - .address_space:  global
        .offset:         0
        .size:           8
        .value_kind:     global_buffer
      - .offset:         8
        .size:           4
        .value_kind:     by_value
      - .offset:         12
        .size:           4
        .value_kind:     by_value
      - .offset:         16
        .size:           8
        .value_kind:     by_value
      - .address_space:  global
        .offset:         24
        .size:           8
        .value_kind:     global_buffer
      - .offset:         32
        .size:           4
        .value_kind:     by_value
      - .offset:         40
        .size:           8
        .value_kind:     by_value
      - .address_space:  global
        .offset:         48
        .size:           8
        .value_kind:     global_buffer
      - .offset:         56
        .size:           1
        .value_kind:     by_value
      - .offset:         57
        .size:           1
        .value_kind:     by_value
    .group_segment_fixed_size: 4
    .kernarg_segment_align: 8
    .kernarg_segment_size: 60
    .language:       OpenCL C
    .language_version:
      - 2
      - 0
    .max_flat_workgroup_size: 64
    .name:           _ZN9rocsolver6v33100L18getri_kernel_smallILi1E19rocblas_complex_numIdEPS3_EEvT1_iilPiilS6_bb
    .private_segment_fixed_size: 0
    .sgpr_count:     20
    .sgpr_spill_count: 0
    .symbol:         _ZN9rocsolver6v33100L18getri_kernel_smallILi1E19rocblas_complex_numIdEPS3_EEvT1_iilPiilS6_bb.kd
    .uniform_work_group_size: 1
    .uses_dynamic_stack: false
    .vgpr_count:     12
    .vgpr_spill_count: 0
    .wavefront_size: 64
  - .agpr_count:     0
    .args:
      - .address_space:  global
        .offset:         0
        .size:           8
        .value_kind:     global_buffer
      - .offset:         8
        .size:           4
        .value_kind:     by_value
      - .offset:         12
        .size:           4
        .value_kind:     by_value
      - .offset:         16
        .size:           8
        .value_kind:     by_value
      - .address_space:  global
        .offset:         24
        .size:           8
        .value_kind:     global_buffer
      - .offset:         32
        .size:           4
        .value_kind:     by_value
      - .offset:         40
        .size:           8
        .value_kind:     by_value
      - .address_space:  global
        .offset:         48
        .size:           8
        .value_kind:     global_buffer
      - .offset:         56
        .size:           1
        .value_kind:     by_value
      - .offset:         57
        .size:           1
        .value_kind:     by_value
    .group_segment_fixed_size: 1096
    .kernarg_segment_align: 8
    .kernarg_segment_size: 60
    .language:       OpenCL C
    .language_version:
      - 2
      - 0
    .max_flat_workgroup_size: 64
    .name:           _ZN9rocsolver6v33100L18getri_kernel_smallILi2E19rocblas_complex_numIdEPS3_EEvT1_iilPiilS6_bb
    .private_segment_fixed_size: 48
    .sgpr_count:     34
    .sgpr_spill_count: 0
    .symbol:         _ZN9rocsolver6v33100L18getri_kernel_smallILi2E19rocblas_complex_numIdEPS3_EEvT1_iilPiilS6_bb.kd
    .uniform_work_group_size: 1
    .uses_dynamic_stack: false
    .vgpr_count:     22
    .vgpr_spill_count: 0
    .wavefront_size: 64
  - .agpr_count:     0
    .args:
      - .address_space:  global
        .offset:         0
        .size:           8
        .value_kind:     global_buffer
      - .offset:         8
        .size:           4
        .value_kind:     by_value
      - .offset:         12
        .size:           4
        .value_kind:     by_value
      - .offset:         16
        .size:           8
        .value_kind:     by_value
      - .address_space:  global
        .offset:         24
        .size:           8
        .value_kind:     global_buffer
      - .offset:         32
        .size:           4
        .value_kind:     by_value
      - .offset:         40
        .size:           8
        .value_kind:     by_value
      - .address_space:  global
        .offset:         48
        .size:           8
        .value_kind:     global_buffer
      - .offset:         56
        .size:           1
        .value_kind:     by_value
      - .offset:         57
        .size:           1
        .value_kind:     by_value
    .group_segment_fixed_size: 1128
    .kernarg_segment_align: 8
    .kernarg_segment_size: 60
    .language:       OpenCL C
    .language_version:
      - 2
      - 0
    .max_flat_workgroup_size: 64
    .name:           _ZN9rocsolver6v33100L18getri_kernel_smallILi3E19rocblas_complex_numIdEPS3_EEvT1_iilPiilS6_bb
    .private_segment_fixed_size: 64
    .sgpr_count:     34
    .sgpr_spill_count: 0
    .symbol:         _ZN9rocsolver6v33100L18getri_kernel_smallILi3E19rocblas_complex_numIdEPS3_EEvT1_iilPiilS6_bb.kd
    .uniform_work_group_size: 1
    .uses_dynamic_stack: false
    .vgpr_count:     34
    .vgpr_spill_count: 0
    .wavefront_size: 64
  - .agpr_count:     0
    .args:
      - .address_space:  global
        .offset:         0
        .size:           8
        .value_kind:     global_buffer
      - .offset:         8
        .size:           4
        .value_kind:     by_value
      - .offset:         12
        .size:           4
        .value_kind:     by_value
      - .offset:         16
        .size:           8
        .value_kind:     by_value
      - .address_space:  global
        .offset:         24
        .size:           8
        .value_kind:     global_buffer
      - .offset:         32
        .size:           4
        .value_kind:     by_value
      - .offset:         40
        .size:           8
        .value_kind:     by_value
      - .address_space:  global
        .offset:         48
        .size:           8
        .value_kind:     global_buffer
      - .offset:         56
        .size:           1
        .value_kind:     by_value
      - .offset:         57
        .size:           1
        .value_kind:     by_value
    .group_segment_fixed_size: 1160
    .kernarg_segment_align: 8
    .kernarg_segment_size: 60
    .language:       OpenCL C
    .language_version:
      - 2
      - 0
    .max_flat_workgroup_size: 64
    .name:           _ZN9rocsolver6v33100L18getri_kernel_smallILi4E19rocblas_complex_numIdEPS3_EEvT1_iilPiilS6_bb
    .private_segment_fixed_size: 80
    .sgpr_count:     34
    .sgpr_spill_count: 0
    .symbol:         _ZN9rocsolver6v33100L18getri_kernel_smallILi4E19rocblas_complex_numIdEPS3_EEvT1_iilPiilS6_bb.kd
    .uniform_work_group_size: 1
    .uses_dynamic_stack: false
    .vgpr_count:     48
    .vgpr_spill_count: 0
    .wavefront_size: 64
  - .agpr_count:     0
    .args:
      - .address_space:  global
        .offset:         0
        .size:           8
        .value_kind:     global_buffer
      - .offset:         8
        .size:           4
        .value_kind:     by_value
      - .offset:         12
        .size:           4
        .value_kind:     by_value
      - .offset:         16
        .size:           8
        .value_kind:     by_value
      - .address_space:  global
        .offset:         24
        .size:           8
        .value_kind:     global_buffer
      - .offset:         32
        .size:           4
        .value_kind:     by_value
      - .offset:         40
        .size:           8
        .value_kind:     by_value
      - .address_space:  global
        .offset:         48
        .size:           8
        .value_kind:     global_buffer
      - .offset:         56
        .size:           1
        .value_kind:     by_value
      - .offset:         57
        .size:           1
        .value_kind:     by_value
    .group_segment_fixed_size: 1192
    .kernarg_segment_align: 8
    .kernarg_segment_size: 60
    .language:       OpenCL C
    .language_version:
      - 2
      - 0
    .max_flat_workgroup_size: 64
    .name:           _ZN9rocsolver6v33100L18getri_kernel_smallILi5E19rocblas_complex_numIdEPS3_EEvT1_iilPiilS6_bb
    .private_segment_fixed_size: 96
    .sgpr_count:     34
    .sgpr_spill_count: 0
    .symbol:         _ZN9rocsolver6v33100L18getri_kernel_smallILi5E19rocblas_complex_numIdEPS3_EEvT1_iilPiilS6_bb.kd
    .uniform_work_group_size: 1
    .uses_dynamic_stack: false
    .vgpr_count:     60
    .vgpr_spill_count: 0
    .wavefront_size: 64
  - .agpr_count:     0
    .args:
      - .address_space:  global
        .offset:         0
        .size:           8
        .value_kind:     global_buffer
      - .offset:         8
        .size:           4
        .value_kind:     by_value
      - .offset:         12
        .size:           4
        .value_kind:     by_value
      - .offset:         16
        .size:           8
        .value_kind:     by_value
      - .address_space:  global
        .offset:         24
        .size:           8
        .value_kind:     global_buffer
      - .offset:         32
        .size:           4
        .value_kind:     by_value
      - .offset:         40
        .size:           8
        .value_kind:     by_value
      - .address_space:  global
        .offset:         48
        .size:           8
        .value_kind:     global_buffer
      - .offset:         56
        .size:           1
        .value_kind:     by_value
      - .offset:         57
        .size:           1
        .value_kind:     by_value
    .group_segment_fixed_size: 1224
    .kernarg_segment_align: 8
    .kernarg_segment_size: 60
    .language:       OpenCL C
    .language_version:
      - 2
      - 0
    .max_flat_workgroup_size: 64
    .name:           _ZN9rocsolver6v33100L18getri_kernel_smallILi6E19rocblas_complex_numIdEPS3_EEvT1_iilPiilS6_bb
    .private_segment_fixed_size: 112
    .sgpr_count:     34
    .sgpr_spill_count: 0
    .symbol:         _ZN9rocsolver6v33100L18getri_kernel_smallILi6E19rocblas_complex_numIdEPS3_EEvT1_iilPiilS6_bb.kd
    .uniform_work_group_size: 1
    .uses_dynamic_stack: false
    .vgpr_count:     74
    .vgpr_spill_count: 0
    .wavefront_size: 64
  - .agpr_count:     0
    .args:
      - .address_space:  global
        .offset:         0
        .size:           8
        .value_kind:     global_buffer
      - .offset:         8
        .size:           4
        .value_kind:     by_value
      - .offset:         12
        .size:           4
        .value_kind:     by_value
      - .offset:         16
        .size:           8
        .value_kind:     by_value
      - .address_space:  global
        .offset:         24
        .size:           8
        .value_kind:     global_buffer
      - .offset:         32
        .size:           4
        .value_kind:     by_value
      - .offset:         40
        .size:           8
        .value_kind:     by_value
      - .address_space:  global
        .offset:         48
        .size:           8
        .value_kind:     global_buffer
      - .offset:         56
        .size:           1
        .value_kind:     by_value
      - .offset:         57
        .size:           1
        .value_kind:     by_value
    .group_segment_fixed_size: 1256
    .kernarg_segment_align: 8
    .kernarg_segment_size: 60
    .language:       OpenCL C
    .language_version:
      - 2
      - 0
    .max_flat_workgroup_size: 64
    .name:           _ZN9rocsolver6v33100L18getri_kernel_smallILi7E19rocblas_complex_numIdEPS3_EEvT1_iilPiilS6_bb
    .private_segment_fixed_size: 128
    .sgpr_count:     34
    .sgpr_spill_count: 0
    .symbol:         _ZN9rocsolver6v33100L18getri_kernel_smallILi7E19rocblas_complex_numIdEPS3_EEvT1_iilPiilS6_bb.kd
    .uniform_work_group_size: 1
    .uses_dynamic_stack: false
    .vgpr_count:     86
    .vgpr_spill_count: 0
    .wavefront_size: 64
  - .agpr_count:     0
    .args:
      - .address_space:  global
        .offset:         0
        .size:           8
        .value_kind:     global_buffer
      - .offset:         8
        .size:           4
        .value_kind:     by_value
      - .offset:         12
        .size:           4
        .value_kind:     by_value
      - .offset:         16
        .size:           8
        .value_kind:     by_value
      - .address_space:  global
        .offset:         24
        .size:           8
        .value_kind:     global_buffer
      - .offset:         32
        .size:           4
        .value_kind:     by_value
      - .offset:         40
        .size:           8
        .value_kind:     by_value
      - .address_space:  global
        .offset:         48
        .size:           8
        .value_kind:     global_buffer
      - .offset:         56
        .size:           1
        .value_kind:     by_value
      - .offset:         57
        .size:           1
        .value_kind:     by_value
    .group_segment_fixed_size: 1288
    .kernarg_segment_align: 8
    .kernarg_segment_size: 60
    .language:       OpenCL C
    .language_version:
      - 2
      - 0
    .max_flat_workgroup_size: 64
    .name:           _ZN9rocsolver6v33100L18getri_kernel_smallILi8E19rocblas_complex_numIdEPS3_EEvT1_iilPiilS6_bb
    .private_segment_fixed_size: 144
    .sgpr_count:     34
    .sgpr_spill_count: 0
    .symbol:         _ZN9rocsolver6v33100L18getri_kernel_smallILi8E19rocblas_complex_numIdEPS3_EEvT1_iilPiilS6_bb.kd
    .uniform_work_group_size: 1
    .uses_dynamic_stack: false
    .vgpr_count:     100
    .vgpr_spill_count: 0
    .wavefront_size: 64
  - .agpr_count:     0
    .args:
      - .address_space:  global
        .offset:         0
        .size:           8
        .value_kind:     global_buffer
      - .offset:         8
        .size:           4
        .value_kind:     by_value
      - .offset:         12
        .size:           4
        .value_kind:     by_value
      - .offset:         16
        .size:           8
        .value_kind:     by_value
      - .address_space:  global
        .offset:         24
        .size:           8
        .value_kind:     global_buffer
      - .offset:         32
        .size:           4
        .value_kind:     by_value
      - .offset:         40
        .size:           8
        .value_kind:     by_value
      - .address_space:  global
        .offset:         48
        .size:           8
        .value_kind:     global_buffer
      - .offset:         56
        .size:           1
        .value_kind:     by_value
      - .offset:         57
        .size:           1
        .value_kind:     by_value
    .group_segment_fixed_size: 1320
    .kernarg_segment_align: 8
    .kernarg_segment_size: 60
    .language:       OpenCL C
    .language_version:
      - 2
      - 0
    .max_flat_workgroup_size: 64
    .name:           _ZN9rocsolver6v33100L18getri_kernel_smallILi9E19rocblas_complex_numIdEPS3_EEvT1_iilPiilS6_bb
    .private_segment_fixed_size: 160
    .sgpr_count:     34
    .sgpr_spill_count: 0
    .symbol:         _ZN9rocsolver6v33100L18getri_kernel_smallILi9E19rocblas_complex_numIdEPS3_EEvT1_iilPiilS6_bb.kd
    .uniform_work_group_size: 1
    .uses_dynamic_stack: false
    .vgpr_count:     112
    .vgpr_spill_count: 0
    .wavefront_size: 64
  - .agpr_count:     0
    .args:
      - .address_space:  global
        .offset:         0
        .size:           8
        .value_kind:     global_buffer
      - .offset:         8
        .size:           4
        .value_kind:     by_value
      - .offset:         12
        .size:           4
        .value_kind:     by_value
      - .offset:         16
        .size:           8
        .value_kind:     by_value
      - .address_space:  global
        .offset:         24
        .size:           8
        .value_kind:     global_buffer
      - .offset:         32
        .size:           4
        .value_kind:     by_value
      - .offset:         40
        .size:           8
        .value_kind:     by_value
      - .address_space:  global
        .offset:         48
        .size:           8
        .value_kind:     global_buffer
      - .offset:         56
        .size:           1
        .value_kind:     by_value
      - .offset:         57
        .size:           1
        .value_kind:     by_value
    .group_segment_fixed_size: 1352
    .kernarg_segment_align: 8
    .kernarg_segment_size: 60
    .language:       OpenCL C
    .language_version:
      - 2
      - 0
    .max_flat_workgroup_size: 64
    .name:           _ZN9rocsolver6v33100L18getri_kernel_smallILi10E19rocblas_complex_numIdEPS3_EEvT1_iilPiilS6_bb
    .private_segment_fixed_size: 176
    .sgpr_count:     35
    .sgpr_spill_count: 0
    .symbol:         _ZN9rocsolver6v33100L18getri_kernel_smallILi10E19rocblas_complex_numIdEPS3_EEvT1_iilPiilS6_bb.kd
    .uniform_work_group_size: 1
    .uses_dynamic_stack: false
    .vgpr_count:     126
    .vgpr_spill_count: 0
    .wavefront_size: 64
  - .agpr_count:     0
    .args:
      - .address_space:  global
        .offset:         0
        .size:           8
        .value_kind:     global_buffer
      - .offset:         8
        .size:           4
        .value_kind:     by_value
      - .offset:         12
        .size:           4
        .value_kind:     by_value
      - .offset:         16
        .size:           8
        .value_kind:     by_value
      - .address_space:  global
        .offset:         24
        .size:           8
        .value_kind:     global_buffer
      - .offset:         32
        .size:           4
        .value_kind:     by_value
      - .offset:         40
        .size:           8
        .value_kind:     by_value
      - .address_space:  global
        .offset:         48
        .size:           8
        .value_kind:     global_buffer
      - .offset:         56
        .size:           1
        .value_kind:     by_value
      - .offset:         57
        .size:           1
        .value_kind:     by_value
    .group_segment_fixed_size: 1384
    .kernarg_segment_align: 8
    .kernarg_segment_size: 60
    .language:       OpenCL C
    .language_version:
      - 2
      - 0
    .max_flat_workgroup_size: 64
    .name:           _ZN9rocsolver6v33100L18getri_kernel_smallILi11E19rocblas_complex_numIdEPS3_EEvT1_iilPiilS6_bb
    .private_segment_fixed_size: 192
    .sgpr_count:     34
    .sgpr_spill_count: 0
    .symbol:         _ZN9rocsolver6v33100L18getri_kernel_smallILi11E19rocblas_complex_numIdEPS3_EEvT1_iilPiilS6_bb.kd
    .uniform_work_group_size: 1
    .uses_dynamic_stack: false
    .vgpr_count:     122
    .vgpr_spill_count: 0
    .wavefront_size: 64
  - .agpr_count:     0
    .args:
      - .address_space:  global
        .offset:         0
        .size:           8
        .value_kind:     global_buffer
      - .offset:         8
        .size:           4
        .value_kind:     by_value
      - .offset:         12
        .size:           4
        .value_kind:     by_value
      - .offset:         16
        .size:           8
        .value_kind:     by_value
      - .address_space:  global
        .offset:         24
        .size:           8
        .value_kind:     global_buffer
      - .offset:         32
        .size:           4
        .value_kind:     by_value
      - .offset:         40
        .size:           8
        .value_kind:     by_value
      - .address_space:  global
        .offset:         48
        .size:           8
        .value_kind:     global_buffer
      - .offset:         56
        .size:           1
        .value_kind:     by_value
      - .offset:         57
        .size:           1
        .value_kind:     by_value
    .group_segment_fixed_size: 1416
    .kernarg_segment_align: 8
    .kernarg_segment_size: 60
    .language:       OpenCL C
    .language_version:
      - 2
      - 0
    .max_flat_workgroup_size: 64
    .name:           _ZN9rocsolver6v33100L18getri_kernel_smallILi12E19rocblas_complex_numIdEPS3_EEvT1_iilPiilS6_bb
    .private_segment_fixed_size: 208
    .sgpr_count:     34
    .sgpr_spill_count: 0
    .symbol:         _ZN9rocsolver6v33100L18getri_kernel_smallILi12E19rocblas_complex_numIdEPS3_EEvT1_iilPiilS6_bb.kd
    .uniform_work_group_size: 1
    .uses_dynamic_stack: false
    .vgpr_count:     150
    .vgpr_spill_count: 0
    .wavefront_size: 64
  - .agpr_count:     0
    .args:
      - .address_space:  global
        .offset:         0
        .size:           8
        .value_kind:     global_buffer
      - .offset:         8
        .size:           4
        .value_kind:     by_value
      - .offset:         12
        .size:           4
        .value_kind:     by_value
      - .offset:         16
        .size:           8
        .value_kind:     by_value
      - .address_space:  global
        .offset:         24
        .size:           8
        .value_kind:     global_buffer
      - .offset:         32
        .size:           4
        .value_kind:     by_value
      - .offset:         40
        .size:           8
        .value_kind:     by_value
      - .address_space:  global
        .offset:         48
        .size:           8
        .value_kind:     global_buffer
      - .offset:         56
        .size:           1
        .value_kind:     by_value
      - .offset:         57
        .size:           1
        .value_kind:     by_value
    .group_segment_fixed_size: 1448
    .kernarg_segment_align: 8
    .kernarg_segment_size: 60
    .language:       OpenCL C
    .language_version:
      - 2
      - 0
    .max_flat_workgroup_size: 64
    .name:           _ZN9rocsolver6v33100L18getri_kernel_smallILi13E19rocblas_complex_numIdEPS3_EEvT1_iilPiilS6_bb
    .private_segment_fixed_size: 224
    .sgpr_count:     34
    .sgpr_spill_count: 0
    .symbol:         _ZN9rocsolver6v33100L18getri_kernel_smallILi13E19rocblas_complex_numIdEPS3_EEvT1_iilPiilS6_bb.kd
    .uniform_work_group_size: 1
    .uses_dynamic_stack: false
    .vgpr_count:     156
    .vgpr_spill_count: 0
    .wavefront_size: 64
  - .agpr_count:     0
    .args:
      - .address_space:  global
        .offset:         0
        .size:           8
        .value_kind:     global_buffer
      - .offset:         8
        .size:           4
        .value_kind:     by_value
      - .offset:         12
        .size:           4
        .value_kind:     by_value
      - .offset:         16
        .size:           8
        .value_kind:     by_value
      - .address_space:  global
        .offset:         24
        .size:           8
        .value_kind:     global_buffer
      - .offset:         32
        .size:           4
        .value_kind:     by_value
      - .offset:         40
        .size:           8
        .value_kind:     by_value
      - .address_space:  global
        .offset:         48
        .size:           8
        .value_kind:     global_buffer
      - .offset:         56
        .size:           1
        .value_kind:     by_value
      - .offset:         57
        .size:           1
        .value_kind:     by_value
    .group_segment_fixed_size: 1480
    .kernarg_segment_align: 8
    .kernarg_segment_size: 60
    .language:       OpenCL C
    .language_version:
      - 2
      - 0
    .max_flat_workgroup_size: 64
    .name:           _ZN9rocsolver6v33100L18getri_kernel_smallILi14E19rocblas_complex_numIdEPS3_EEvT1_iilPiilS6_bb
    .private_segment_fixed_size: 240
    .sgpr_count:     35
    .sgpr_spill_count: 0
    .symbol:         _ZN9rocsolver6v33100L18getri_kernel_smallILi14E19rocblas_complex_numIdEPS3_EEvT1_iilPiilS6_bb.kd
    .uniform_work_group_size: 1
    .uses_dynamic_stack: false
    .vgpr_count:     158
    .vgpr_spill_count: 0
    .wavefront_size: 64
  - .agpr_count:     0
    .args:
      - .address_space:  global
        .offset:         0
        .size:           8
        .value_kind:     global_buffer
      - .offset:         8
        .size:           4
        .value_kind:     by_value
      - .offset:         12
        .size:           4
        .value_kind:     by_value
      - .offset:         16
        .size:           8
        .value_kind:     by_value
      - .address_space:  global
        .offset:         24
        .size:           8
        .value_kind:     global_buffer
      - .offset:         32
        .size:           4
        .value_kind:     by_value
      - .offset:         40
        .size:           8
        .value_kind:     by_value
      - .address_space:  global
        .offset:         48
        .size:           8
        .value_kind:     global_buffer
      - .offset:         56
        .size:           1
        .value_kind:     by_value
      - .offset:         57
        .size:           1
        .value_kind:     by_value
    .group_segment_fixed_size: 1512
    .kernarg_segment_align: 8
    .kernarg_segment_size: 60
    .language:       OpenCL C
    .language_version:
      - 2
      - 0
    .max_flat_workgroup_size: 64
    .name:           _ZN9rocsolver6v33100L18getri_kernel_smallILi15E19rocblas_complex_numIdEPS3_EEvT1_iilPiilS6_bb
    .private_segment_fixed_size: 256
    .sgpr_count:     34
    .sgpr_spill_count: 0
    .symbol:         _ZN9rocsolver6v33100L18getri_kernel_smallILi15E19rocblas_complex_numIdEPS3_EEvT1_iilPiilS6_bb.kd
    .uniform_work_group_size: 1
    .uses_dynamic_stack: false
    .vgpr_count:     168
    .vgpr_spill_count: 0
    .wavefront_size: 64
  - .agpr_count:     0
    .args:
      - .address_space:  global
        .offset:         0
        .size:           8
        .value_kind:     global_buffer
      - .offset:         8
        .size:           4
        .value_kind:     by_value
      - .offset:         12
        .size:           4
        .value_kind:     by_value
      - .offset:         16
        .size:           8
        .value_kind:     by_value
      - .address_space:  global
        .offset:         24
        .size:           8
        .value_kind:     global_buffer
      - .offset:         32
        .size:           4
        .value_kind:     by_value
      - .offset:         40
        .size:           8
        .value_kind:     by_value
      - .address_space:  global
        .offset:         48
        .size:           8
        .value_kind:     global_buffer
      - .offset:         56
        .size:           1
        .value_kind:     by_value
      - .offset:         57
        .size:           1
        .value_kind:     by_value
    .group_segment_fixed_size: 1544
    .kernarg_segment_align: 8
    .kernarg_segment_size: 60
    .language:       OpenCL C
    .language_version:
      - 2
      - 0
    .max_flat_workgroup_size: 64
    .name:           _ZN9rocsolver6v33100L18getri_kernel_smallILi16E19rocblas_complex_numIdEPS3_EEvT1_iilPiilS6_bb
    .private_segment_fixed_size: 272
    .sgpr_count:     34
    .sgpr_spill_count: 0
    .symbol:         _ZN9rocsolver6v33100L18getri_kernel_smallILi16E19rocblas_complex_numIdEPS3_EEvT1_iilPiilS6_bb.kd
    .uniform_work_group_size: 1
    .uses_dynamic_stack: false
    .vgpr_count:     178
    .vgpr_spill_count: 0
    .wavefront_size: 64
  - .agpr_count:     0
    .args:
      - .address_space:  global
        .offset:         0
        .size:           8
        .value_kind:     global_buffer
      - .offset:         8
        .size:           4
        .value_kind:     by_value
      - .offset:         12
        .size:           4
        .value_kind:     by_value
      - .offset:         16
        .size:           8
        .value_kind:     by_value
      - .address_space:  global
        .offset:         24
        .size:           8
        .value_kind:     global_buffer
      - .offset:         32
        .size:           4
        .value_kind:     by_value
      - .offset:         40
        .size:           8
        .value_kind:     by_value
      - .address_space:  global
        .offset:         48
        .size:           8
        .value_kind:     global_buffer
      - .offset:         56
        .size:           1
        .value_kind:     by_value
      - .offset:         57
        .size:           1
        .value_kind:     by_value
    .group_segment_fixed_size: 1576
    .kernarg_segment_align: 8
    .kernarg_segment_size: 60
    .language:       OpenCL C
    .language_version:
      - 2
      - 0
    .max_flat_workgroup_size: 64
    .name:           _ZN9rocsolver6v33100L18getri_kernel_smallILi17E19rocblas_complex_numIdEPS3_EEvT1_iilPiilS6_bb
    .private_segment_fixed_size: 288
    .sgpr_count:     35
    .sgpr_spill_count: 0
    .symbol:         _ZN9rocsolver6v33100L18getri_kernel_smallILi17E19rocblas_complex_numIdEPS3_EEvT1_iilPiilS6_bb.kd
    .uniform_work_group_size: 1
    .uses_dynamic_stack: false
    .vgpr_count:     190
    .vgpr_spill_count: 0
    .wavefront_size: 64
  - .agpr_count:     0
    .args:
      - .address_space:  global
        .offset:         0
        .size:           8
        .value_kind:     global_buffer
      - .offset:         8
        .size:           4
        .value_kind:     by_value
      - .offset:         12
        .size:           4
        .value_kind:     by_value
      - .offset:         16
        .size:           8
        .value_kind:     by_value
      - .address_space:  global
        .offset:         24
        .size:           8
        .value_kind:     global_buffer
      - .offset:         32
        .size:           4
        .value_kind:     by_value
      - .offset:         40
        .size:           8
        .value_kind:     by_value
      - .address_space:  global
        .offset:         48
        .size:           8
        .value_kind:     global_buffer
      - .offset:         56
        .size:           1
        .value_kind:     by_value
      - .offset:         57
        .size:           1
        .value_kind:     by_value
    .group_segment_fixed_size: 1608
    .kernarg_segment_align: 8
    .kernarg_segment_size: 60
    .language:       OpenCL C
    .language_version:
      - 2
      - 0
    .max_flat_workgroup_size: 64
    .name:           _ZN9rocsolver6v33100L18getri_kernel_smallILi18E19rocblas_complex_numIdEPS3_EEvT1_iilPiilS6_bb
    .private_segment_fixed_size: 304
    .sgpr_count:     35
    .sgpr_spill_count: 0
    .symbol:         _ZN9rocsolver6v33100L18getri_kernel_smallILi18E19rocblas_complex_numIdEPS3_EEvT1_iilPiilS6_bb.kd
    .uniform_work_group_size: 1
    .uses_dynamic_stack: false
    .vgpr_count:     200
    .vgpr_spill_count: 0
    .wavefront_size: 64
  - .agpr_count:     0
    .args:
      - .address_space:  global
        .offset:         0
        .size:           8
        .value_kind:     global_buffer
      - .offset:         8
        .size:           4
        .value_kind:     by_value
      - .offset:         12
        .size:           4
        .value_kind:     by_value
      - .offset:         16
        .size:           8
        .value_kind:     by_value
      - .address_space:  global
        .offset:         24
        .size:           8
        .value_kind:     global_buffer
      - .offset:         32
        .size:           4
        .value_kind:     by_value
      - .offset:         40
        .size:           8
        .value_kind:     by_value
      - .address_space:  global
        .offset:         48
        .size:           8
        .value_kind:     global_buffer
      - .offset:         56
        .size:           1
        .value_kind:     by_value
      - .offset:         57
        .size:           1
        .value_kind:     by_value
    .group_segment_fixed_size: 1640
    .kernarg_segment_align: 8
    .kernarg_segment_size: 60
    .language:       OpenCL C
    .language_version:
      - 2
      - 0
    .max_flat_workgroup_size: 64
    .name:           _ZN9rocsolver6v33100L18getri_kernel_smallILi19E19rocblas_complex_numIdEPS3_EEvT1_iilPiilS6_bb
    .private_segment_fixed_size: 320
    .sgpr_count:     34
    .sgpr_spill_count: 0
    .symbol:         _ZN9rocsolver6v33100L18getri_kernel_smallILi19E19rocblas_complex_numIdEPS3_EEvT1_iilPiilS6_bb.kd
    .uniform_work_group_size: 1
    .uses_dynamic_stack: false
    .vgpr_count:     212
    .vgpr_spill_count: 0
    .wavefront_size: 64
  - .agpr_count:     0
    .args:
      - .address_space:  global
        .offset:         0
        .size:           8
        .value_kind:     global_buffer
      - .offset:         8
        .size:           4
        .value_kind:     by_value
      - .offset:         12
        .size:           4
        .value_kind:     by_value
      - .offset:         16
        .size:           8
        .value_kind:     by_value
      - .address_space:  global
        .offset:         24
        .size:           8
        .value_kind:     global_buffer
      - .offset:         32
        .size:           4
        .value_kind:     by_value
      - .offset:         40
        .size:           8
        .value_kind:     by_value
      - .address_space:  global
        .offset:         48
        .size:           8
        .value_kind:     global_buffer
      - .offset:         56
        .size:           1
        .value_kind:     by_value
      - .offset:         57
        .size:           1
        .value_kind:     by_value
    .group_segment_fixed_size: 1672
    .kernarg_segment_align: 8
    .kernarg_segment_size: 60
    .language:       OpenCL C
    .language_version:
      - 2
      - 0
    .max_flat_workgroup_size: 64
    .name:           _ZN9rocsolver6v33100L18getri_kernel_smallILi20E19rocblas_complex_numIdEPS3_EEvT1_iilPiilS6_bb
    .private_segment_fixed_size: 336
    .sgpr_count:     35
    .sgpr_spill_count: 0
    .symbol:         _ZN9rocsolver6v33100L18getri_kernel_smallILi20E19rocblas_complex_numIdEPS3_EEvT1_iilPiilS6_bb.kd
    .uniform_work_group_size: 1
    .uses_dynamic_stack: false
    .vgpr_count:     222
    .vgpr_spill_count: 0
    .wavefront_size: 64
  - .agpr_count:     0
    .args:
      - .address_space:  global
        .offset:         0
        .size:           8
        .value_kind:     global_buffer
      - .offset:         8
        .size:           4
        .value_kind:     by_value
      - .offset:         12
        .size:           4
        .value_kind:     by_value
      - .offset:         16
        .size:           8
        .value_kind:     by_value
      - .address_space:  global
        .offset:         24
        .size:           8
        .value_kind:     global_buffer
      - .offset:         32
        .size:           4
        .value_kind:     by_value
      - .offset:         40
        .size:           8
        .value_kind:     by_value
      - .address_space:  global
        .offset:         48
        .size:           8
        .value_kind:     global_buffer
      - .offset:         56
        .size:           1
        .value_kind:     by_value
      - .offset:         57
        .size:           1
        .value_kind:     by_value
    .group_segment_fixed_size: 1704
    .kernarg_segment_align: 8
    .kernarg_segment_size: 60
    .language:       OpenCL C
    .language_version:
      - 2
      - 0
    .max_flat_workgroup_size: 64
    .name:           _ZN9rocsolver6v33100L18getri_kernel_smallILi21E19rocblas_complex_numIdEPS3_EEvT1_iilPiilS6_bb
    .private_segment_fixed_size: 352
    .sgpr_count:     34
    .sgpr_spill_count: 0
    .symbol:         _ZN9rocsolver6v33100L18getri_kernel_smallILi21E19rocblas_complex_numIdEPS3_EEvT1_iilPiilS6_bb.kd
    .uniform_work_group_size: 1
    .uses_dynamic_stack: false
    .vgpr_count:     232
    .vgpr_spill_count: 0
    .wavefront_size: 64
  - .agpr_count:     0
    .args:
      - .address_space:  global
        .offset:         0
        .size:           8
        .value_kind:     global_buffer
      - .offset:         8
        .size:           4
        .value_kind:     by_value
      - .offset:         12
        .size:           4
        .value_kind:     by_value
      - .offset:         16
        .size:           8
        .value_kind:     by_value
      - .address_space:  global
        .offset:         24
        .size:           8
        .value_kind:     global_buffer
      - .offset:         32
        .size:           4
        .value_kind:     by_value
      - .offset:         40
        .size:           8
        .value_kind:     by_value
      - .address_space:  global
        .offset:         48
        .size:           8
        .value_kind:     global_buffer
      - .offset:         56
        .size:           1
        .value_kind:     by_value
      - .offset:         57
        .size:           1
        .value_kind:     by_value
    .group_segment_fixed_size: 1736
    .kernarg_segment_align: 8
    .kernarg_segment_size: 60
    .language:       OpenCL C
    .language_version:
      - 2
      - 0
    .max_flat_workgroup_size: 64
    .name:           _ZN9rocsolver6v33100L18getri_kernel_smallILi22E19rocblas_complex_numIdEPS3_EEvT1_iilPiilS6_bb
    .private_segment_fixed_size: 368
    .sgpr_count:     35
    .sgpr_spill_count: 0
    .symbol:         _ZN9rocsolver6v33100L18getri_kernel_smallILi22E19rocblas_complex_numIdEPS3_EEvT1_iilPiilS6_bb.kd
    .uniform_work_group_size: 1
    .uses_dynamic_stack: false
    .vgpr_count:     244
    .vgpr_spill_count: 0
    .wavefront_size: 64
  - .agpr_count:     0
    .args:
      - .address_space:  global
        .offset:         0
        .size:           8
        .value_kind:     global_buffer
      - .offset:         8
        .size:           4
        .value_kind:     by_value
      - .offset:         12
        .size:           4
        .value_kind:     by_value
      - .offset:         16
        .size:           8
        .value_kind:     by_value
      - .address_space:  global
        .offset:         24
        .size:           8
        .value_kind:     global_buffer
      - .offset:         32
        .size:           4
        .value_kind:     by_value
      - .offset:         40
        .size:           8
        .value_kind:     by_value
      - .address_space:  global
        .offset:         48
        .size:           8
        .value_kind:     global_buffer
      - .offset:         56
        .size:           1
        .value_kind:     by_value
      - .offset:         57
        .size:           1
        .value_kind:     by_value
    .group_segment_fixed_size: 1768
    .kernarg_segment_align: 8
    .kernarg_segment_size: 60
    .language:       OpenCL C
    .language_version:
      - 2
      - 0
    .max_flat_workgroup_size: 64
    .name:           _ZN9rocsolver6v33100L18getri_kernel_smallILi23E19rocblas_complex_numIdEPS3_EEvT1_iilPiilS6_bb
    .private_segment_fixed_size: 384
    .sgpr_count:     34
    .sgpr_spill_count: 0
    .symbol:         _ZN9rocsolver6v33100L18getri_kernel_smallILi23E19rocblas_complex_numIdEPS3_EEvT1_iilPiilS6_bb.kd
    .uniform_work_group_size: 1
    .uses_dynamic_stack: false
    .vgpr_count:     256
    .vgpr_spill_count: 0
    .wavefront_size: 64
  - .agpr_count:     12
    .args:
      - .address_space:  global
        .offset:         0
        .size:           8
        .value_kind:     global_buffer
      - .offset:         8
        .size:           4
        .value_kind:     by_value
      - .offset:         12
        .size:           4
        .value_kind:     by_value
      - .offset:         16
        .size:           8
        .value_kind:     by_value
      - .address_space:  global
        .offset:         24
        .size:           8
        .value_kind:     global_buffer
      - .offset:         32
        .size:           4
        .value_kind:     by_value
      - .offset:         40
        .size:           8
        .value_kind:     by_value
      - .address_space:  global
        .offset:         48
        .size:           8
        .value_kind:     global_buffer
      - .offset:         56
        .size:           1
        .value_kind:     by_value
      - .offset:         57
        .size:           1
        .value_kind:     by_value
    .group_segment_fixed_size: 1800
    .kernarg_segment_align: 8
    .kernarg_segment_size: 60
    .language:       OpenCL C
    .language_version:
      - 2
      - 0
    .max_flat_workgroup_size: 64
    .name:           _ZN9rocsolver6v33100L18getri_kernel_smallILi24E19rocblas_complex_numIdEPS3_EEvT1_iilPiilS6_bb
    .private_segment_fixed_size: 400
    .sgpr_count:     35
    .sgpr_spill_count: 0
    .symbol:         _ZN9rocsolver6v33100L18getri_kernel_smallILi24E19rocblas_complex_numIdEPS3_EEvT1_iilPiilS6_bb.kd
    .uniform_work_group_size: 1
    .uses_dynamic_stack: false
    .vgpr_count:     268
    .vgpr_spill_count: 0
    .wavefront_size: 64
  - .agpr_count:     22
    .args:
      - .address_space:  global
        .offset:         0
        .size:           8
        .value_kind:     global_buffer
      - .offset:         8
        .size:           4
        .value_kind:     by_value
      - .offset:         12
        .size:           4
        .value_kind:     by_value
      - .offset:         16
        .size:           8
        .value_kind:     by_value
      - .address_space:  global
        .offset:         24
        .size:           8
        .value_kind:     global_buffer
      - .offset:         32
        .size:           4
        .value_kind:     by_value
      - .offset:         40
        .size:           8
        .value_kind:     by_value
      - .address_space:  global
        .offset:         48
        .size:           8
        .value_kind:     global_buffer
      - .offset:         56
        .size:           1
        .value_kind:     by_value
      - .offset:         57
        .size:           1
        .value_kind:     by_value
    .group_segment_fixed_size: 1832
    .kernarg_segment_align: 8
    .kernarg_segment_size: 60
    .language:       OpenCL C
    .language_version:
      - 2
      - 0
    .max_flat_workgroup_size: 64
    .name:           _ZN9rocsolver6v33100L18getri_kernel_smallILi25E19rocblas_complex_numIdEPS3_EEvT1_iilPiilS6_bb
    .private_segment_fixed_size: 416
    .sgpr_count:     34
    .sgpr_spill_count: 0
    .symbol:         _ZN9rocsolver6v33100L18getri_kernel_smallILi25E19rocblas_complex_numIdEPS3_EEvT1_iilPiilS6_bb.kd
    .uniform_work_group_size: 1
    .uses_dynamic_stack: false
    .vgpr_count:     278
    .vgpr_spill_count: 0
    .wavefront_size: 64
  - .agpr_count:     32
    .args:
      - .address_space:  global
        .offset:         0
        .size:           8
        .value_kind:     global_buffer
      - .offset:         8
        .size:           4
        .value_kind:     by_value
      - .offset:         12
        .size:           4
        .value_kind:     by_value
      - .offset:         16
        .size:           8
        .value_kind:     by_value
      - .address_space:  global
        .offset:         24
        .size:           8
        .value_kind:     global_buffer
      - .offset:         32
        .size:           4
        .value_kind:     by_value
      - .offset:         40
        .size:           8
        .value_kind:     by_value
      - .address_space:  global
        .offset:         48
        .size:           8
        .value_kind:     global_buffer
      - .offset:         56
        .size:           1
        .value_kind:     by_value
      - .offset:         57
        .size:           1
        .value_kind:     by_value
    .group_segment_fixed_size: 1864
    .kernarg_segment_align: 8
    .kernarg_segment_size: 60
    .language:       OpenCL C
    .language_version:
      - 2
      - 0
    .max_flat_workgroup_size: 64
    .name:           _ZN9rocsolver6v33100L18getri_kernel_smallILi26E19rocblas_complex_numIdEPS3_EEvT1_iilPiilS6_bb
    .private_segment_fixed_size: 432
    .sgpr_count:     35
    .sgpr_spill_count: 0
    .symbol:         _ZN9rocsolver6v33100L18getri_kernel_smallILi26E19rocblas_complex_numIdEPS3_EEvT1_iilPiilS6_bb.kd
    .uniform_work_group_size: 1
    .uses_dynamic_stack: false
    .vgpr_count:     288
    .vgpr_spill_count: 0
    .wavefront_size: 64
  - .agpr_count:     45
    .args:
      - .address_space:  global
        .offset:         0
        .size:           8
        .value_kind:     global_buffer
      - .offset:         8
        .size:           4
        .value_kind:     by_value
      - .offset:         12
        .size:           4
        .value_kind:     by_value
      - .offset:         16
        .size:           8
        .value_kind:     by_value
      - .address_space:  global
        .offset:         24
        .size:           8
        .value_kind:     global_buffer
      - .offset:         32
        .size:           4
        .value_kind:     by_value
      - .offset:         40
        .size:           8
        .value_kind:     by_value
      - .address_space:  global
        .offset:         48
        .size:           8
        .value_kind:     global_buffer
      - .offset:         56
        .size:           1
        .value_kind:     by_value
      - .offset:         57
        .size:           1
        .value_kind:     by_value
    .group_segment_fixed_size: 1896
    .kernarg_segment_align: 8
    .kernarg_segment_size: 60
    .language:       OpenCL C
    .language_version:
      - 2
      - 0
    .max_flat_workgroup_size: 64
    .name:           _ZN9rocsolver6v33100L18getri_kernel_smallILi27E19rocblas_complex_numIdEPS3_EEvT1_iilPiilS6_bb
    .private_segment_fixed_size: 448
    .sgpr_count:     34
    .sgpr_spill_count: 0
    .symbol:         _ZN9rocsolver6v33100L18getri_kernel_smallILi27E19rocblas_complex_numIdEPS3_EEvT1_iilPiilS6_bb.kd
    .uniform_work_group_size: 1
    .uses_dynamic_stack: false
    .vgpr_count:     301
    .vgpr_spill_count: 0
    .wavefront_size: 64
  - .agpr_count:     54
    .args:
      - .address_space:  global
        .offset:         0
        .size:           8
        .value_kind:     global_buffer
      - .offset:         8
        .size:           4
        .value_kind:     by_value
      - .offset:         12
        .size:           4
        .value_kind:     by_value
      - .offset:         16
        .size:           8
        .value_kind:     by_value
      - .address_space:  global
        .offset:         24
        .size:           8
        .value_kind:     global_buffer
      - .offset:         32
        .size:           4
        .value_kind:     by_value
      - .offset:         40
        .size:           8
        .value_kind:     by_value
      - .address_space:  global
        .offset:         48
        .size:           8
        .value_kind:     global_buffer
      - .offset:         56
        .size:           1
        .value_kind:     by_value
      - .offset:         57
        .size:           1
        .value_kind:     by_value
    .group_segment_fixed_size: 1928
    .kernarg_segment_align: 8
    .kernarg_segment_size: 60
    .language:       OpenCL C
    .language_version:
      - 2
      - 0
    .max_flat_workgroup_size: 64
    .name:           _ZN9rocsolver6v33100L18getri_kernel_smallILi28E19rocblas_complex_numIdEPS3_EEvT1_iilPiilS6_bb
    .private_segment_fixed_size: 464
    .sgpr_count:     34
    .sgpr_spill_count: 0
    .symbol:         _ZN9rocsolver6v33100L18getri_kernel_smallILi28E19rocblas_complex_numIdEPS3_EEvT1_iilPiilS6_bb.kd
    .uniform_work_group_size: 1
    .uses_dynamic_stack: false
    .vgpr_count:     310
    .vgpr_spill_count: 0
    .wavefront_size: 64
  - .agpr_count:     67
    .args:
      - .address_space:  global
        .offset:         0
        .size:           8
        .value_kind:     global_buffer
      - .offset:         8
        .size:           4
        .value_kind:     by_value
      - .offset:         12
        .size:           4
        .value_kind:     by_value
      - .offset:         16
        .size:           8
        .value_kind:     by_value
      - .address_space:  global
        .offset:         24
        .size:           8
        .value_kind:     global_buffer
      - .offset:         32
        .size:           4
        .value_kind:     by_value
      - .offset:         40
        .size:           8
        .value_kind:     by_value
      - .address_space:  global
        .offset:         48
        .size:           8
        .value_kind:     global_buffer
      - .offset:         56
        .size:           1
        .value_kind:     by_value
      - .offset:         57
        .size:           1
        .value_kind:     by_value
    .group_segment_fixed_size: 1960
    .kernarg_segment_align: 8
    .kernarg_segment_size: 60
    .language:       OpenCL C
    .language_version:
      - 2
      - 0
    .max_flat_workgroup_size: 64
    .name:           _ZN9rocsolver6v33100L18getri_kernel_smallILi29E19rocblas_complex_numIdEPS3_EEvT1_iilPiilS6_bb
    .private_segment_fixed_size: 480
    .sgpr_count:     34
    .sgpr_spill_count: 0
    .symbol:         _ZN9rocsolver6v33100L18getri_kernel_smallILi29E19rocblas_complex_numIdEPS3_EEvT1_iilPiilS6_bb.kd
    .uniform_work_group_size: 1
    .uses_dynamic_stack: false
    .vgpr_count:     323
    .vgpr_spill_count: 0
    .wavefront_size: 64
  - .agpr_count:     76
    .args:
      - .address_space:  global
        .offset:         0
        .size:           8
        .value_kind:     global_buffer
      - .offset:         8
        .size:           4
        .value_kind:     by_value
      - .offset:         12
        .size:           4
        .value_kind:     by_value
      - .offset:         16
        .size:           8
        .value_kind:     by_value
      - .address_space:  global
        .offset:         24
        .size:           8
        .value_kind:     global_buffer
      - .offset:         32
        .size:           4
        .value_kind:     by_value
      - .offset:         40
        .size:           8
        .value_kind:     by_value
      - .address_space:  global
        .offset:         48
        .size:           8
        .value_kind:     global_buffer
      - .offset:         56
        .size:           1
        .value_kind:     by_value
      - .offset:         57
        .size:           1
        .value_kind:     by_value
    .group_segment_fixed_size: 1992
    .kernarg_segment_align: 8
    .kernarg_segment_size: 60
    .language:       OpenCL C
    .language_version:
      - 2
      - 0
    .max_flat_workgroup_size: 64
    .name:           _ZN9rocsolver6v33100L18getri_kernel_smallILi30E19rocblas_complex_numIdEPS3_EEvT1_iilPiilS6_bb
    .private_segment_fixed_size: 496
    .sgpr_count:     34
    .sgpr_spill_count: 0
    .symbol:         _ZN9rocsolver6v33100L18getri_kernel_smallILi30E19rocblas_complex_numIdEPS3_EEvT1_iilPiilS6_bb.kd
    .uniform_work_group_size: 1
    .uses_dynamic_stack: false
    .vgpr_count:     332
    .vgpr_spill_count: 0
    .wavefront_size: 64
  - .agpr_count:     85
    .args:
      - .address_space:  global
        .offset:         0
        .size:           8
        .value_kind:     global_buffer
      - .offset:         8
        .size:           4
        .value_kind:     by_value
      - .offset:         12
        .size:           4
        .value_kind:     by_value
      - .offset:         16
        .size:           8
        .value_kind:     by_value
      - .address_space:  global
        .offset:         24
        .size:           8
        .value_kind:     global_buffer
      - .offset:         32
        .size:           4
        .value_kind:     by_value
      - .offset:         40
        .size:           8
        .value_kind:     by_value
      - .address_space:  global
        .offset:         48
        .size:           8
        .value_kind:     global_buffer
      - .offset:         56
        .size:           1
        .value_kind:     by_value
      - .offset:         57
        .size:           1
        .value_kind:     by_value
    .group_segment_fixed_size: 2024
    .kernarg_segment_align: 8
    .kernarg_segment_size: 60
    .language:       OpenCL C
    .language_version:
      - 2
      - 0
    .max_flat_workgroup_size: 64
    .name:           _ZN9rocsolver6v33100L18getri_kernel_smallILi31E19rocblas_complex_numIdEPS3_EEvT1_iilPiilS6_bb
    .private_segment_fixed_size: 512
    .sgpr_count:     34
    .sgpr_spill_count: 0
    .symbol:         _ZN9rocsolver6v33100L18getri_kernel_smallILi31E19rocblas_complex_numIdEPS3_EEvT1_iilPiilS6_bb.kd
    .uniform_work_group_size: 1
    .uses_dynamic_stack: false
    .vgpr_count:     341
    .vgpr_spill_count: 0
    .wavefront_size: 64
  - .agpr_count:     87
    .args:
      - .address_space:  global
        .offset:         0
        .size:           8
        .value_kind:     global_buffer
      - .offset:         8
        .size:           4
        .value_kind:     by_value
      - .offset:         12
        .size:           4
        .value_kind:     by_value
      - .offset:         16
        .size:           8
        .value_kind:     by_value
      - .address_space:  global
        .offset:         24
        .size:           8
        .value_kind:     global_buffer
      - .offset:         32
        .size:           4
        .value_kind:     by_value
      - .offset:         40
        .size:           8
        .value_kind:     by_value
      - .address_space:  global
        .offset:         48
        .size:           8
        .value_kind:     global_buffer
      - .offset:         56
        .size:           1
        .value_kind:     by_value
      - .offset:         57
        .size:           1
        .value_kind:     by_value
    .group_segment_fixed_size: 1032
    .kernarg_segment_align: 8
    .kernarg_segment_size: 60
    .language:       OpenCL C
    .language_version:
      - 2
      - 0
    .max_flat_workgroup_size: 64
    .name:           _ZN9rocsolver6v33100L18getri_kernel_smallILi32E19rocblas_complex_numIdEPS3_EEvT1_iilPiilS6_bb
    .private_segment_fixed_size: 544
    .sgpr_count:     29
    .sgpr_spill_count: 0
    .symbol:         _ZN9rocsolver6v33100L18getri_kernel_smallILi32E19rocblas_complex_numIdEPS3_EEvT1_iilPiilS6_bb.kd
    .uniform_work_group_size: 1
    .uses_dynamic_stack: false
    .vgpr_count:     343
    .vgpr_spill_count: 0
    .wavefront_size: 64
  - .agpr_count:     92
    .args:
      - .address_space:  global
        .offset:         0
        .size:           8
        .value_kind:     global_buffer
      - .offset:         8
        .size:           4
        .value_kind:     by_value
      - .offset:         12
        .size:           4
        .value_kind:     by_value
      - .offset:         16
        .size:           8
        .value_kind:     by_value
      - .address_space:  global
        .offset:         24
        .size:           8
        .value_kind:     global_buffer
      - .offset:         32
        .size:           4
        .value_kind:     by_value
      - .offset:         40
        .size:           8
        .value_kind:     by_value
      - .address_space:  global
        .offset:         48
        .size:           8
        .value_kind:     global_buffer
      - .offset:         56
        .size:           1
        .value_kind:     by_value
      - .offset:         57
        .size:           1
        .value_kind:     by_value
    .group_segment_fixed_size: 1064
    .kernarg_segment_align: 8
    .kernarg_segment_size: 60
    .language:       OpenCL C
    .language_version:
      - 2
      - 0
    .max_flat_workgroup_size: 64
    .name:           _ZN9rocsolver6v33100L18getri_kernel_smallILi33E19rocblas_complex_numIdEPS3_EEvT1_iilPiilS6_bb
    .private_segment_fixed_size: 560
    .sgpr_count:     29
    .sgpr_spill_count: 0
    .symbol:         _ZN9rocsolver6v33100L18getri_kernel_smallILi33E19rocblas_complex_numIdEPS3_EEvT1_iilPiilS6_bb.kd
    .uniform_work_group_size: 1
    .uses_dynamic_stack: false
    .vgpr_count:     348
    .vgpr_spill_count: 0
    .wavefront_size: 64
  - .agpr_count:     94
    .args:
      - .address_space:  global
        .offset:         0
        .size:           8
        .value_kind:     global_buffer
      - .offset:         8
        .size:           4
        .value_kind:     by_value
      - .offset:         12
        .size:           4
        .value_kind:     by_value
      - .offset:         16
        .size:           8
        .value_kind:     by_value
      - .address_space:  global
        .offset:         24
        .size:           8
        .value_kind:     global_buffer
      - .offset:         32
        .size:           4
        .value_kind:     by_value
      - .offset:         40
        .size:           8
        .value_kind:     by_value
      - .address_space:  global
        .offset:         48
        .size:           8
        .value_kind:     global_buffer
      - .offset:         56
        .size:           1
        .value_kind:     by_value
      - .offset:         57
        .size:           1
        .value_kind:     by_value
    .group_segment_fixed_size: 1096
    .kernarg_segment_align: 8
    .kernarg_segment_size: 60
    .language:       OpenCL C
    .language_version:
      - 2
      - 0
    .max_flat_workgroup_size: 64
    .name:           _ZN9rocsolver6v33100L18getri_kernel_smallILi34E19rocblas_complex_numIdEPS3_EEvT1_iilPiilS6_bb
    .private_segment_fixed_size: 576
    .sgpr_count:     29
    .sgpr_spill_count: 0
    .symbol:         _ZN9rocsolver6v33100L18getri_kernel_smallILi34E19rocblas_complex_numIdEPS3_EEvT1_iilPiilS6_bb.kd
    .uniform_work_group_size: 1
    .uses_dynamic_stack: false
    .vgpr_count:     350
    .vgpr_spill_count: 0
    .wavefront_size: 64
  - .agpr_count:     98
    .args:
      - .address_space:  global
        .offset:         0
        .size:           8
        .value_kind:     global_buffer
      - .offset:         8
        .size:           4
        .value_kind:     by_value
      - .offset:         12
        .size:           4
        .value_kind:     by_value
      - .offset:         16
        .size:           8
        .value_kind:     by_value
      - .address_space:  global
        .offset:         24
        .size:           8
        .value_kind:     global_buffer
      - .offset:         32
        .size:           4
        .value_kind:     by_value
      - .offset:         40
        .size:           8
        .value_kind:     by_value
      - .address_space:  global
        .offset:         48
        .size:           8
        .value_kind:     global_buffer
      - .offset:         56
        .size:           1
        .value_kind:     by_value
      - .offset:         57
        .size:           1
        .value_kind:     by_value
    .group_segment_fixed_size: 1128
    .kernarg_segment_align: 8
    .kernarg_segment_size: 60
    .language:       OpenCL C
    .language_version:
      - 2
      - 0
    .max_flat_workgroup_size: 64
    .name:           _ZN9rocsolver6v33100L18getri_kernel_smallILi35E19rocblas_complex_numIdEPS3_EEvT1_iilPiilS6_bb
    .private_segment_fixed_size: 592
    .sgpr_count:     29
    .sgpr_spill_count: 0
    .symbol:         _ZN9rocsolver6v33100L18getri_kernel_smallILi35E19rocblas_complex_numIdEPS3_EEvT1_iilPiilS6_bb.kd
    .uniform_work_group_size: 1
    .uses_dynamic_stack: false
    .vgpr_count:     354
    .vgpr_spill_count: 0
    .wavefront_size: 64
  - .agpr_count:     102
    .args:
      - .address_space:  global
        .offset:         0
        .size:           8
        .value_kind:     global_buffer
      - .offset:         8
        .size:           4
        .value_kind:     by_value
      - .offset:         12
        .size:           4
        .value_kind:     by_value
      - .offset:         16
        .size:           8
        .value_kind:     by_value
      - .address_space:  global
        .offset:         24
        .size:           8
        .value_kind:     global_buffer
      - .offset:         32
        .size:           4
        .value_kind:     by_value
      - .offset:         40
        .size:           8
        .value_kind:     by_value
      - .address_space:  global
        .offset:         48
        .size:           8
        .value_kind:     global_buffer
      - .offset:         56
        .size:           1
        .value_kind:     by_value
      - .offset:         57
        .size:           1
        .value_kind:     by_value
    .group_segment_fixed_size: 1160
    .kernarg_segment_align: 8
    .kernarg_segment_size: 60
    .language:       OpenCL C
    .language_version:
      - 2
      - 0
    .max_flat_workgroup_size: 64
    .name:           _ZN9rocsolver6v33100L18getri_kernel_smallILi36E19rocblas_complex_numIdEPS3_EEvT1_iilPiilS6_bb
    .private_segment_fixed_size: 608
    .sgpr_count:     29
    .sgpr_spill_count: 0
    .symbol:         _ZN9rocsolver6v33100L18getri_kernel_smallILi36E19rocblas_complex_numIdEPS3_EEvT1_iilPiilS6_bb.kd
    .uniform_work_group_size: 1
    .uses_dynamic_stack: false
    .vgpr_count:     358
    .vgpr_spill_count: 0
    .wavefront_size: 64
  - .agpr_count:     109
    .args:
      - .address_space:  global
        .offset:         0
        .size:           8
        .value_kind:     global_buffer
      - .offset:         8
        .size:           4
        .value_kind:     by_value
      - .offset:         12
        .size:           4
        .value_kind:     by_value
      - .offset:         16
        .size:           8
        .value_kind:     by_value
      - .address_space:  global
        .offset:         24
        .size:           8
        .value_kind:     global_buffer
      - .offset:         32
        .size:           4
        .value_kind:     by_value
      - .offset:         40
        .size:           8
        .value_kind:     by_value
      - .address_space:  global
        .offset:         48
        .size:           8
        .value_kind:     global_buffer
      - .offset:         56
        .size:           1
        .value_kind:     by_value
      - .offset:         57
        .size:           1
        .value_kind:     by_value
    .group_segment_fixed_size: 1192
    .kernarg_segment_align: 8
    .kernarg_segment_size: 60
    .language:       OpenCL C
    .language_version:
      - 2
      - 0
    .max_flat_workgroup_size: 64
    .name:           _ZN9rocsolver6v33100L18getri_kernel_smallILi37E19rocblas_complex_numIdEPS3_EEvT1_iilPiilS6_bb
    .private_segment_fixed_size: 624
    .sgpr_count:     29
    .sgpr_spill_count: 0
    .symbol:         _ZN9rocsolver6v33100L18getri_kernel_smallILi37E19rocblas_complex_numIdEPS3_EEvT1_iilPiilS6_bb.kd
    .uniform_work_group_size: 1
    .uses_dynamic_stack: false
    .vgpr_count:     365
    .vgpr_spill_count: 0
    .wavefront_size: 64
  - .agpr_count:     112
    .args:
      - .address_space:  global
        .offset:         0
        .size:           8
        .value_kind:     global_buffer
      - .offset:         8
        .size:           4
        .value_kind:     by_value
      - .offset:         12
        .size:           4
        .value_kind:     by_value
      - .offset:         16
        .size:           8
        .value_kind:     by_value
      - .address_space:  global
        .offset:         24
        .size:           8
        .value_kind:     global_buffer
      - .offset:         32
        .size:           4
        .value_kind:     by_value
      - .offset:         40
        .size:           8
        .value_kind:     by_value
      - .address_space:  global
        .offset:         48
        .size:           8
        .value_kind:     global_buffer
      - .offset:         56
        .size:           1
        .value_kind:     by_value
      - .offset:         57
        .size:           1
        .value_kind:     by_value
    .group_segment_fixed_size: 1224
    .kernarg_segment_align: 8
    .kernarg_segment_size: 60
    .language:       OpenCL C
    .language_version:
      - 2
      - 0
    .max_flat_workgroup_size: 64
    .name:           _ZN9rocsolver6v33100L18getri_kernel_smallILi38E19rocblas_complex_numIdEPS3_EEvT1_iilPiilS6_bb
    .private_segment_fixed_size: 640
    .sgpr_count:     29
    .sgpr_spill_count: 0
    .symbol:         _ZN9rocsolver6v33100L18getri_kernel_smallILi38E19rocblas_complex_numIdEPS3_EEvT1_iilPiilS6_bb.kd
    .uniform_work_group_size: 1
    .uses_dynamic_stack: false
    .vgpr_count:     368
    .vgpr_spill_count: 0
    .wavefront_size: 64
  - .agpr_count:     117
    .args:
      - .address_space:  global
        .offset:         0
        .size:           8
        .value_kind:     global_buffer
      - .offset:         8
        .size:           4
        .value_kind:     by_value
      - .offset:         12
        .size:           4
        .value_kind:     by_value
      - .offset:         16
        .size:           8
        .value_kind:     by_value
      - .address_space:  global
        .offset:         24
        .size:           8
        .value_kind:     global_buffer
      - .offset:         32
        .size:           4
        .value_kind:     by_value
      - .offset:         40
        .size:           8
        .value_kind:     by_value
      - .address_space:  global
        .offset:         48
        .size:           8
        .value_kind:     global_buffer
      - .offset:         56
        .size:           1
        .value_kind:     by_value
      - .offset:         57
        .size:           1
        .value_kind:     by_value
    .group_segment_fixed_size: 1256
    .kernarg_segment_align: 8
    .kernarg_segment_size: 60
    .language:       OpenCL C
    .language_version:
      - 2
      - 0
    .max_flat_workgroup_size: 64
    .name:           _ZN9rocsolver6v33100L18getri_kernel_smallILi39E19rocblas_complex_numIdEPS3_EEvT1_iilPiilS6_bb
    .private_segment_fixed_size: 656
    .sgpr_count:     29
    .sgpr_spill_count: 0
    .symbol:         _ZN9rocsolver6v33100L18getri_kernel_smallILi39E19rocblas_complex_numIdEPS3_EEvT1_iilPiilS6_bb.kd
    .uniform_work_group_size: 1
    .uses_dynamic_stack: false
    .vgpr_count:     373
    .vgpr_spill_count: 0
    .wavefront_size: 64
  - .agpr_count:     124
    .args:
      - .address_space:  global
        .offset:         0
        .size:           8
        .value_kind:     global_buffer
      - .offset:         8
        .size:           4
        .value_kind:     by_value
      - .offset:         12
        .size:           4
        .value_kind:     by_value
      - .offset:         16
        .size:           8
        .value_kind:     by_value
      - .address_space:  global
        .offset:         24
        .size:           8
        .value_kind:     global_buffer
      - .offset:         32
        .size:           4
        .value_kind:     by_value
      - .offset:         40
        .size:           8
        .value_kind:     by_value
      - .address_space:  global
        .offset:         48
        .size:           8
        .value_kind:     global_buffer
      - .offset:         56
        .size:           1
        .value_kind:     by_value
      - .offset:         57
        .size:           1
        .value_kind:     by_value
    .group_segment_fixed_size: 1288
    .kernarg_segment_align: 8
    .kernarg_segment_size: 60
    .language:       OpenCL C
    .language_version:
      - 2
      - 0
    .max_flat_workgroup_size: 64
    .name:           _ZN9rocsolver6v33100L18getri_kernel_smallILi40E19rocblas_complex_numIdEPS3_EEvT1_iilPiilS6_bb
    .private_segment_fixed_size: 672
    .sgpr_count:     29
    .sgpr_spill_count: 0
    .symbol:         _ZN9rocsolver6v33100L18getri_kernel_smallILi40E19rocblas_complex_numIdEPS3_EEvT1_iilPiilS6_bb.kd
    .uniform_work_group_size: 1
    .uses_dynamic_stack: false
    .vgpr_count:     380
    .vgpr_spill_count: 0
    .wavefront_size: 64
  - .agpr_count:     126
    .args:
      - .address_space:  global
        .offset:         0
        .size:           8
        .value_kind:     global_buffer
      - .offset:         8
        .size:           4
        .value_kind:     by_value
      - .offset:         12
        .size:           4
        .value_kind:     by_value
      - .offset:         16
        .size:           8
        .value_kind:     by_value
      - .address_space:  global
        .offset:         24
        .size:           8
        .value_kind:     global_buffer
      - .offset:         32
        .size:           4
        .value_kind:     by_value
      - .offset:         40
        .size:           8
        .value_kind:     by_value
      - .address_space:  global
        .offset:         48
        .size:           8
        .value_kind:     global_buffer
      - .offset:         56
        .size:           1
        .value_kind:     by_value
      - .offset:         57
        .size:           1
        .value_kind:     by_value
    .group_segment_fixed_size: 1320
    .kernarg_segment_align: 8
    .kernarg_segment_size: 60
    .language:       OpenCL C
    .language_version:
      - 2
      - 0
    .max_flat_workgroup_size: 64
    .name:           _ZN9rocsolver6v33100L18getri_kernel_smallILi41E19rocblas_complex_numIdEPS3_EEvT1_iilPiilS6_bb
    .private_segment_fixed_size: 688
    .sgpr_count:     29
    .sgpr_spill_count: 0
    .symbol:         _ZN9rocsolver6v33100L18getri_kernel_smallILi41E19rocblas_complex_numIdEPS3_EEvT1_iilPiilS6_bb.kd
    .uniform_work_group_size: 1
    .uses_dynamic_stack: false
    .vgpr_count:     382
    .vgpr_spill_count: 0
    .wavefront_size: 64
  - .agpr_count:     136
    .args:
      - .address_space:  global
        .offset:         0
        .size:           8
        .value_kind:     global_buffer
      - .offset:         8
        .size:           4
        .value_kind:     by_value
      - .offset:         12
        .size:           4
        .value_kind:     by_value
      - .offset:         16
        .size:           8
        .value_kind:     by_value
      - .address_space:  global
        .offset:         24
        .size:           8
        .value_kind:     global_buffer
      - .offset:         32
        .size:           4
        .value_kind:     by_value
      - .offset:         40
        .size:           8
        .value_kind:     by_value
      - .address_space:  global
        .offset:         48
        .size:           8
        .value_kind:     global_buffer
      - .offset:         56
        .size:           1
        .value_kind:     by_value
      - .offset:         57
        .size:           1
        .value_kind:     by_value
    .group_segment_fixed_size: 1352
    .kernarg_segment_align: 8
    .kernarg_segment_size: 60
    .language:       OpenCL C
    .language_version:
      - 2
      - 0
    .max_flat_workgroup_size: 64
    .name:           _ZN9rocsolver6v33100L18getri_kernel_smallILi42E19rocblas_complex_numIdEPS3_EEvT1_iilPiilS6_bb
    .private_segment_fixed_size: 704
    .sgpr_count:     29
    .sgpr_spill_count: 0
    .symbol:         _ZN9rocsolver6v33100L18getri_kernel_smallILi42E19rocblas_complex_numIdEPS3_EEvT1_iilPiilS6_bb.kd
    .uniform_work_group_size: 1
    .uses_dynamic_stack: false
    .vgpr_count:     392
    .vgpr_spill_count: 0
    .wavefront_size: 64
  - .agpr_count:     136
    .args:
      - .address_space:  global
        .offset:         0
        .size:           8
        .value_kind:     global_buffer
      - .offset:         8
        .size:           4
        .value_kind:     by_value
      - .offset:         12
        .size:           4
        .value_kind:     by_value
      - .offset:         16
        .size:           8
        .value_kind:     by_value
      - .address_space:  global
        .offset:         24
        .size:           8
        .value_kind:     global_buffer
      - .offset:         32
        .size:           4
        .value_kind:     by_value
      - .offset:         40
        .size:           8
        .value_kind:     by_value
      - .address_space:  global
        .offset:         48
        .size:           8
        .value_kind:     global_buffer
      - .offset:         56
        .size:           1
        .value_kind:     by_value
      - .offset:         57
        .size:           1
        .value_kind:     by_value
    .group_segment_fixed_size: 1384
    .kernarg_segment_align: 8
    .kernarg_segment_size: 60
    .language:       OpenCL C
    .language_version:
      - 2
      - 0
    .max_flat_workgroup_size: 64
    .name:           _ZN9rocsolver6v33100L18getri_kernel_smallILi43E19rocblas_complex_numIdEPS3_EEvT1_iilPiilS6_bb
    .private_segment_fixed_size: 720
    .sgpr_count:     29
    .sgpr_spill_count: 0
    .symbol:         _ZN9rocsolver6v33100L18getri_kernel_smallILi43E19rocblas_complex_numIdEPS3_EEvT1_iilPiilS6_bb.kd
    .uniform_work_group_size: 1
    .uses_dynamic_stack: false
    .vgpr_count:     392
    .vgpr_spill_count: 0
    .wavefront_size: 64
  - .agpr_count:     142
    .args:
      - .address_space:  global
        .offset:         0
        .size:           8
        .value_kind:     global_buffer
      - .offset:         8
        .size:           4
        .value_kind:     by_value
      - .offset:         12
        .size:           4
        .value_kind:     by_value
      - .offset:         16
        .size:           8
        .value_kind:     by_value
      - .address_space:  global
        .offset:         24
        .size:           8
        .value_kind:     global_buffer
      - .offset:         32
        .size:           4
        .value_kind:     by_value
      - .offset:         40
        .size:           8
        .value_kind:     by_value
      - .address_space:  global
        .offset:         48
        .size:           8
        .value_kind:     global_buffer
      - .offset:         56
        .size:           1
        .value_kind:     by_value
      - .offset:         57
        .size:           1
        .value_kind:     by_value
    .group_segment_fixed_size: 1416
    .kernarg_segment_align: 8
    .kernarg_segment_size: 60
    .language:       OpenCL C
    .language_version:
      - 2
      - 0
    .max_flat_workgroup_size: 64
    .name:           _ZN9rocsolver6v33100L18getri_kernel_smallILi44E19rocblas_complex_numIdEPS3_EEvT1_iilPiilS6_bb
    .private_segment_fixed_size: 736
    .sgpr_count:     29
    .sgpr_spill_count: 0
    .symbol:         _ZN9rocsolver6v33100L18getri_kernel_smallILi44E19rocblas_complex_numIdEPS3_EEvT1_iilPiilS6_bb.kd
    .uniform_work_group_size: 1
    .uses_dynamic_stack: false
    .vgpr_count:     398
    .vgpr_spill_count: 0
    .wavefront_size: 64
  - .agpr_count:     154
    .args:
      - .address_space:  global
        .offset:         0
        .size:           8
        .value_kind:     global_buffer
      - .offset:         8
        .size:           4
        .value_kind:     by_value
      - .offset:         12
        .size:           4
        .value_kind:     by_value
      - .offset:         16
        .size:           8
        .value_kind:     by_value
      - .address_space:  global
        .offset:         24
        .size:           8
        .value_kind:     global_buffer
      - .offset:         32
        .size:           4
        .value_kind:     by_value
      - .offset:         40
        .size:           8
        .value_kind:     by_value
      - .address_space:  global
        .offset:         48
        .size:           8
        .value_kind:     global_buffer
      - .offset:         56
        .size:           1
        .value_kind:     by_value
      - .offset:         57
        .size:           1
        .value_kind:     by_value
    .group_segment_fixed_size: 1448
    .kernarg_segment_align: 8
    .kernarg_segment_size: 60
    .language:       OpenCL C
    .language_version:
      - 2
      - 0
    .max_flat_workgroup_size: 64
    .name:           _ZN9rocsolver6v33100L18getri_kernel_smallILi45E19rocblas_complex_numIdEPS3_EEvT1_iilPiilS6_bb
    .private_segment_fixed_size: 752
    .sgpr_count:     29
    .sgpr_spill_count: 0
    .symbol:         _ZN9rocsolver6v33100L18getri_kernel_smallILi45E19rocblas_complex_numIdEPS3_EEvT1_iilPiilS6_bb.kd
    .uniform_work_group_size: 1
    .uses_dynamic_stack: false
    .vgpr_count:     410
    .vgpr_spill_count: 0
    .wavefront_size: 64
  - .agpr_count:     154
    .args:
      - .address_space:  global
        .offset:         0
        .size:           8
        .value_kind:     global_buffer
      - .offset:         8
        .size:           4
        .value_kind:     by_value
      - .offset:         12
        .size:           4
        .value_kind:     by_value
      - .offset:         16
        .size:           8
        .value_kind:     by_value
      - .address_space:  global
        .offset:         24
        .size:           8
        .value_kind:     global_buffer
      - .offset:         32
        .size:           4
        .value_kind:     by_value
      - .offset:         40
        .size:           8
        .value_kind:     by_value
      - .address_space:  global
        .offset:         48
        .size:           8
        .value_kind:     global_buffer
      - .offset:         56
        .size:           1
        .value_kind:     by_value
      - .offset:         57
        .size:           1
        .value_kind:     by_value
    .group_segment_fixed_size: 1480
    .kernarg_segment_align: 8
    .kernarg_segment_size: 60
    .language:       OpenCL C
    .language_version:
      - 2
      - 0
    .max_flat_workgroup_size: 64
    .name:           _ZN9rocsolver6v33100L18getri_kernel_smallILi46E19rocblas_complex_numIdEPS3_EEvT1_iilPiilS6_bb
    .private_segment_fixed_size: 768
    .sgpr_count:     29
    .sgpr_spill_count: 0
    .symbol:         _ZN9rocsolver6v33100L18getri_kernel_smallILi46E19rocblas_complex_numIdEPS3_EEvT1_iilPiilS6_bb.kd
    .uniform_work_group_size: 1
    .uses_dynamic_stack: false
    .vgpr_count:     410
    .vgpr_spill_count: 0
    .wavefront_size: 64
  - .agpr_count:     160
    .args:
      - .address_space:  global
        .offset:         0
        .size:           8
        .value_kind:     global_buffer
      - .offset:         8
        .size:           4
        .value_kind:     by_value
      - .offset:         12
        .size:           4
        .value_kind:     by_value
      - .offset:         16
        .size:           8
        .value_kind:     by_value
      - .address_space:  global
        .offset:         24
        .size:           8
        .value_kind:     global_buffer
      - .offset:         32
        .size:           4
        .value_kind:     by_value
      - .offset:         40
        .size:           8
        .value_kind:     by_value
      - .address_space:  global
        .offset:         48
        .size:           8
        .value_kind:     global_buffer
      - .offset:         56
        .size:           1
        .value_kind:     by_value
      - .offset:         57
        .size:           1
        .value_kind:     by_value
    .group_segment_fixed_size: 1512
    .kernarg_segment_align: 8
    .kernarg_segment_size: 60
    .language:       OpenCL C
    .language_version:
      - 2
      - 0
    .max_flat_workgroup_size: 64
    .name:           _ZN9rocsolver6v33100L18getri_kernel_smallILi47E19rocblas_complex_numIdEPS3_EEvT1_iilPiilS6_bb
    .private_segment_fixed_size: 784
    .sgpr_count:     29
    .sgpr_spill_count: 0
    .symbol:         _ZN9rocsolver6v33100L18getri_kernel_smallILi47E19rocblas_complex_numIdEPS3_EEvT1_iilPiilS6_bb.kd
    .uniform_work_group_size: 1
    .uses_dynamic_stack: false
    .vgpr_count:     416
    .vgpr_spill_count: 0
    .wavefront_size: 64
  - .agpr_count:     166
    .args:
      - .address_space:  global
        .offset:         0
        .size:           8
        .value_kind:     global_buffer
      - .offset:         8
        .size:           4
        .value_kind:     by_value
      - .offset:         12
        .size:           4
        .value_kind:     by_value
      - .offset:         16
        .size:           8
        .value_kind:     by_value
      - .address_space:  global
        .offset:         24
        .size:           8
        .value_kind:     global_buffer
      - .offset:         32
        .size:           4
        .value_kind:     by_value
      - .offset:         40
        .size:           8
        .value_kind:     by_value
      - .address_space:  global
        .offset:         48
        .size:           8
        .value_kind:     global_buffer
      - .offset:         56
        .size:           1
        .value_kind:     by_value
      - .offset:         57
        .size:           1
        .value_kind:     by_value
    .group_segment_fixed_size: 1544
    .kernarg_segment_align: 8
    .kernarg_segment_size: 60
    .language:       OpenCL C
    .language_version:
      - 2
      - 0
    .max_flat_workgroup_size: 64
    .name:           _ZN9rocsolver6v33100L18getri_kernel_smallILi48E19rocblas_complex_numIdEPS3_EEvT1_iilPiilS6_bb
    .private_segment_fixed_size: 800
    .sgpr_count:     29
    .sgpr_spill_count: 0
    .symbol:         _ZN9rocsolver6v33100L18getri_kernel_smallILi48E19rocblas_complex_numIdEPS3_EEvT1_iilPiilS6_bb.kd
    .uniform_work_group_size: 1
    .uses_dynamic_stack: false
    .vgpr_count:     422
    .vgpr_spill_count: 0
    .wavefront_size: 64
  - .agpr_count:     166
    .args:
      - .address_space:  global
        .offset:         0
        .size:           8
        .value_kind:     global_buffer
      - .offset:         8
        .size:           4
        .value_kind:     by_value
      - .offset:         12
        .size:           4
        .value_kind:     by_value
      - .offset:         16
        .size:           8
        .value_kind:     by_value
      - .address_space:  global
        .offset:         24
        .size:           8
        .value_kind:     global_buffer
      - .offset:         32
        .size:           4
        .value_kind:     by_value
      - .offset:         40
        .size:           8
        .value_kind:     by_value
      - .address_space:  global
        .offset:         48
        .size:           8
        .value_kind:     global_buffer
      - .offset:         56
        .size:           1
        .value_kind:     by_value
      - .offset:         57
        .size:           1
        .value_kind:     by_value
    .group_segment_fixed_size: 1576
    .kernarg_segment_align: 8
    .kernarg_segment_size: 60
    .language:       OpenCL C
    .language_version:
      - 2
      - 0
    .max_flat_workgroup_size: 64
    .name:           _ZN9rocsolver6v33100L18getri_kernel_smallILi49E19rocblas_complex_numIdEPS3_EEvT1_iilPiilS6_bb
    .private_segment_fixed_size: 816
    .sgpr_count:     29
    .sgpr_spill_count: 0
    .symbol:         _ZN9rocsolver6v33100L18getri_kernel_smallILi49E19rocblas_complex_numIdEPS3_EEvT1_iilPiilS6_bb.kd
    .uniform_work_group_size: 1
    .uses_dynamic_stack: false
    .vgpr_count:     422
    .vgpr_spill_count: 0
    .wavefront_size: 64
  - .agpr_count:     170
    .args:
      - .address_space:  global
        .offset:         0
        .size:           8
        .value_kind:     global_buffer
      - .offset:         8
        .size:           4
        .value_kind:     by_value
      - .offset:         12
        .size:           4
        .value_kind:     by_value
      - .offset:         16
        .size:           8
        .value_kind:     by_value
      - .address_space:  global
        .offset:         24
        .size:           8
        .value_kind:     global_buffer
      - .offset:         32
        .size:           4
        .value_kind:     by_value
      - .offset:         40
        .size:           8
        .value_kind:     by_value
      - .address_space:  global
        .offset:         48
        .size:           8
        .value_kind:     global_buffer
      - .offset:         56
        .size:           1
        .value_kind:     by_value
      - .offset:         57
        .size:           1
        .value_kind:     by_value
    .group_segment_fixed_size: 1608
    .kernarg_segment_align: 8
    .kernarg_segment_size: 60
    .language:       OpenCL C
    .language_version:
      - 2
      - 0
    .max_flat_workgroup_size: 64
    .name:           _ZN9rocsolver6v33100L18getri_kernel_smallILi50E19rocblas_complex_numIdEPS3_EEvT1_iilPiilS6_bb
    .private_segment_fixed_size: 832
    .sgpr_count:     29
    .sgpr_spill_count: 0
    .symbol:         _ZN9rocsolver6v33100L18getri_kernel_smallILi50E19rocblas_complex_numIdEPS3_EEvT1_iilPiilS6_bb.kd
    .uniform_work_group_size: 1
    .uses_dynamic_stack: false
    .vgpr_count:     426
    .vgpr_spill_count: 0
    .wavefront_size: 64
  - .agpr_count:     176
    .args:
      - .address_space:  global
        .offset:         0
        .size:           8
        .value_kind:     global_buffer
      - .offset:         8
        .size:           4
        .value_kind:     by_value
      - .offset:         12
        .size:           4
        .value_kind:     by_value
      - .offset:         16
        .size:           8
        .value_kind:     by_value
      - .address_space:  global
        .offset:         24
        .size:           8
        .value_kind:     global_buffer
      - .offset:         32
        .size:           4
        .value_kind:     by_value
      - .offset:         40
        .size:           8
        .value_kind:     by_value
      - .address_space:  global
        .offset:         48
        .size:           8
        .value_kind:     global_buffer
      - .offset:         56
        .size:           1
        .value_kind:     by_value
      - .offset:         57
        .size:           1
        .value_kind:     by_value
    .group_segment_fixed_size: 1640
    .kernarg_segment_align: 8
    .kernarg_segment_size: 60
    .language:       OpenCL C
    .language_version:
      - 2
      - 0
    .max_flat_workgroup_size: 64
    .name:           _ZN9rocsolver6v33100L18getri_kernel_smallILi51E19rocblas_complex_numIdEPS3_EEvT1_iilPiilS6_bb
    .private_segment_fixed_size: 848
    .sgpr_count:     29
    .sgpr_spill_count: 0
    .symbol:         _ZN9rocsolver6v33100L18getri_kernel_smallILi51E19rocblas_complex_numIdEPS3_EEvT1_iilPiilS6_bb.kd
    .uniform_work_group_size: 1
    .uses_dynamic_stack: false
    .vgpr_count:     432
    .vgpr_spill_count: 0
    .wavefront_size: 64
  - .agpr_count:     182
    .args:
      - .address_space:  global
        .offset:         0
        .size:           8
        .value_kind:     global_buffer
      - .offset:         8
        .size:           4
        .value_kind:     by_value
      - .offset:         12
        .size:           4
        .value_kind:     by_value
      - .offset:         16
        .size:           8
        .value_kind:     by_value
      - .address_space:  global
        .offset:         24
        .size:           8
        .value_kind:     global_buffer
      - .offset:         32
        .size:           4
        .value_kind:     by_value
      - .offset:         40
        .size:           8
        .value_kind:     by_value
      - .address_space:  global
        .offset:         48
        .size:           8
        .value_kind:     global_buffer
      - .offset:         56
        .size:           1
        .value_kind:     by_value
      - .offset:         57
        .size:           1
        .value_kind:     by_value
    .group_segment_fixed_size: 1672
    .kernarg_segment_align: 8
    .kernarg_segment_size: 60
    .language:       OpenCL C
    .language_version:
      - 2
      - 0
    .max_flat_workgroup_size: 64
    .name:           _ZN9rocsolver6v33100L18getri_kernel_smallILi52E19rocblas_complex_numIdEPS3_EEvT1_iilPiilS6_bb
    .private_segment_fixed_size: 864
    .sgpr_count:     29
    .sgpr_spill_count: 0
    .symbol:         _ZN9rocsolver6v33100L18getri_kernel_smallILi52E19rocblas_complex_numIdEPS3_EEvT1_iilPiilS6_bb.kd
    .uniform_work_group_size: 1
    .uses_dynamic_stack: false
    .vgpr_count:     438
    .vgpr_spill_count: 0
    .wavefront_size: 64
  - .agpr_count:     186
    .args:
      - .address_space:  global
        .offset:         0
        .size:           8
        .value_kind:     global_buffer
      - .offset:         8
        .size:           4
        .value_kind:     by_value
      - .offset:         12
        .size:           4
        .value_kind:     by_value
      - .offset:         16
        .size:           8
        .value_kind:     by_value
      - .address_space:  global
        .offset:         24
        .size:           8
        .value_kind:     global_buffer
      - .offset:         32
        .size:           4
        .value_kind:     by_value
      - .offset:         40
        .size:           8
        .value_kind:     by_value
      - .address_space:  global
        .offset:         48
        .size:           8
        .value_kind:     global_buffer
      - .offset:         56
        .size:           1
        .value_kind:     by_value
      - .offset:         57
        .size:           1
        .value_kind:     by_value
    .group_segment_fixed_size: 1704
    .kernarg_segment_align: 8
    .kernarg_segment_size: 60
    .language:       OpenCL C
    .language_version:
      - 2
      - 0
    .max_flat_workgroup_size: 64
    .name:           _ZN9rocsolver6v33100L18getri_kernel_smallILi53E19rocblas_complex_numIdEPS3_EEvT1_iilPiilS6_bb
    .private_segment_fixed_size: 880
    .sgpr_count:     29
    .sgpr_spill_count: 0
    .symbol:         _ZN9rocsolver6v33100L18getri_kernel_smallILi53E19rocblas_complex_numIdEPS3_EEvT1_iilPiilS6_bb.kd
    .uniform_work_group_size: 1
    .uses_dynamic_stack: false
    .vgpr_count:     442
    .vgpr_spill_count: 0
    .wavefront_size: 64
  - .agpr_count:     192
    .args:
      - .address_space:  global
        .offset:         0
        .size:           8
        .value_kind:     global_buffer
      - .offset:         8
        .size:           4
        .value_kind:     by_value
      - .offset:         12
        .size:           4
        .value_kind:     by_value
      - .offset:         16
        .size:           8
        .value_kind:     by_value
      - .address_space:  global
        .offset:         24
        .size:           8
        .value_kind:     global_buffer
      - .offset:         32
        .size:           4
        .value_kind:     by_value
      - .offset:         40
        .size:           8
        .value_kind:     by_value
      - .address_space:  global
        .offset:         48
        .size:           8
        .value_kind:     global_buffer
      - .offset:         56
        .size:           1
        .value_kind:     by_value
      - .offset:         57
        .size:           1
        .value_kind:     by_value
    .group_segment_fixed_size: 1736
    .kernarg_segment_align: 8
    .kernarg_segment_size: 60
    .language:       OpenCL C
    .language_version:
      - 2
      - 0
    .max_flat_workgroup_size: 64
    .name:           _ZN9rocsolver6v33100L18getri_kernel_smallILi54E19rocblas_complex_numIdEPS3_EEvT1_iilPiilS6_bb
    .private_segment_fixed_size: 896
    .sgpr_count:     29
    .sgpr_spill_count: 0
    .symbol:         _ZN9rocsolver6v33100L18getri_kernel_smallILi54E19rocblas_complex_numIdEPS3_EEvT1_iilPiilS6_bb.kd
    .uniform_work_group_size: 1
    .uses_dynamic_stack: false
    .vgpr_count:     448
    .vgpr_spill_count: 0
    .wavefront_size: 64
  - .agpr_count:     200
    .args:
      - .address_space:  global
        .offset:         0
        .size:           8
        .value_kind:     global_buffer
      - .offset:         8
        .size:           4
        .value_kind:     by_value
      - .offset:         12
        .size:           4
        .value_kind:     by_value
      - .offset:         16
        .size:           8
        .value_kind:     by_value
      - .address_space:  global
        .offset:         24
        .size:           8
        .value_kind:     global_buffer
      - .offset:         32
        .size:           4
        .value_kind:     by_value
      - .offset:         40
        .size:           8
        .value_kind:     by_value
      - .address_space:  global
        .offset:         48
        .size:           8
        .value_kind:     global_buffer
      - .offset:         56
        .size:           1
        .value_kind:     by_value
      - .offset:         57
        .size:           1
        .value_kind:     by_value
    .group_segment_fixed_size: 1768
    .kernarg_segment_align: 8
    .kernarg_segment_size: 60
    .language:       OpenCL C
    .language_version:
      - 2
      - 0
    .max_flat_workgroup_size: 64
    .name:           _ZN9rocsolver6v33100L18getri_kernel_smallILi55E19rocblas_complex_numIdEPS3_EEvT1_iilPiilS6_bb
    .private_segment_fixed_size: 912
    .sgpr_count:     29
    .sgpr_spill_count: 0
    .symbol:         _ZN9rocsolver6v33100L18getri_kernel_smallILi55E19rocblas_complex_numIdEPS3_EEvT1_iilPiilS6_bb.kd
    .uniform_work_group_size: 1
    .uses_dynamic_stack: false
    .vgpr_count:     456
    .vgpr_spill_count: 0
    .wavefront_size: 64
  - .agpr_count:     206
    .args:
      - .address_space:  global
        .offset:         0
        .size:           8
        .value_kind:     global_buffer
      - .offset:         8
        .size:           4
        .value_kind:     by_value
      - .offset:         12
        .size:           4
        .value_kind:     by_value
      - .offset:         16
        .size:           8
        .value_kind:     by_value
      - .address_space:  global
        .offset:         24
        .size:           8
        .value_kind:     global_buffer
      - .offset:         32
        .size:           4
        .value_kind:     by_value
      - .offset:         40
        .size:           8
        .value_kind:     by_value
      - .address_space:  global
        .offset:         48
        .size:           8
        .value_kind:     global_buffer
      - .offset:         56
        .size:           1
        .value_kind:     by_value
      - .offset:         57
        .size:           1
        .value_kind:     by_value
    .group_segment_fixed_size: 1800
    .kernarg_segment_align: 8
    .kernarg_segment_size: 60
    .language:       OpenCL C
    .language_version:
      - 2
      - 0
    .max_flat_workgroup_size: 64
    .name:           _ZN9rocsolver6v33100L18getri_kernel_smallILi56E19rocblas_complex_numIdEPS3_EEvT1_iilPiilS6_bb
    .private_segment_fixed_size: 928
    .sgpr_count:     29
    .sgpr_spill_count: 0
    .symbol:         _ZN9rocsolver6v33100L18getri_kernel_smallILi56E19rocblas_complex_numIdEPS3_EEvT1_iilPiilS6_bb.kd
    .uniform_work_group_size: 1
    .uses_dynamic_stack: false
    .vgpr_count:     462
    .vgpr_spill_count: 0
    .wavefront_size: 64
  - .agpr_count:     210
    .args:
      - .address_space:  global
        .offset:         0
        .size:           8
        .value_kind:     global_buffer
      - .offset:         8
        .size:           4
        .value_kind:     by_value
      - .offset:         12
        .size:           4
        .value_kind:     by_value
      - .offset:         16
        .size:           8
        .value_kind:     by_value
      - .address_space:  global
        .offset:         24
        .size:           8
        .value_kind:     global_buffer
      - .offset:         32
        .size:           4
        .value_kind:     by_value
      - .offset:         40
        .size:           8
        .value_kind:     by_value
      - .address_space:  global
        .offset:         48
        .size:           8
        .value_kind:     global_buffer
      - .offset:         56
        .size:           1
        .value_kind:     by_value
      - .offset:         57
        .size:           1
        .value_kind:     by_value
    .group_segment_fixed_size: 1832
    .kernarg_segment_align: 8
    .kernarg_segment_size: 60
    .language:       OpenCL C
    .language_version:
      - 2
      - 0
    .max_flat_workgroup_size: 64
    .name:           _ZN9rocsolver6v33100L18getri_kernel_smallILi57E19rocblas_complex_numIdEPS3_EEvT1_iilPiilS6_bb
    .private_segment_fixed_size: 944
    .sgpr_count:     29
    .sgpr_spill_count: 0
    .symbol:         _ZN9rocsolver6v33100L18getri_kernel_smallILi57E19rocblas_complex_numIdEPS3_EEvT1_iilPiilS6_bb.kd
    .uniform_work_group_size: 1
    .uses_dynamic_stack: false
    .vgpr_count:     466
    .vgpr_spill_count: 0
    .wavefront_size: 64
  - .agpr_count:     216
    .args:
      - .address_space:  global
        .offset:         0
        .size:           8
        .value_kind:     global_buffer
      - .offset:         8
        .size:           4
        .value_kind:     by_value
      - .offset:         12
        .size:           4
        .value_kind:     by_value
      - .offset:         16
        .size:           8
        .value_kind:     by_value
      - .address_space:  global
        .offset:         24
        .size:           8
        .value_kind:     global_buffer
      - .offset:         32
        .size:           4
        .value_kind:     by_value
      - .offset:         40
        .size:           8
        .value_kind:     by_value
      - .address_space:  global
        .offset:         48
        .size:           8
        .value_kind:     global_buffer
      - .offset:         56
        .size:           1
        .value_kind:     by_value
      - .offset:         57
        .size:           1
        .value_kind:     by_value
    .group_segment_fixed_size: 1864
    .kernarg_segment_align: 8
    .kernarg_segment_size: 60
    .language:       OpenCL C
    .language_version:
      - 2
      - 0
    .max_flat_workgroup_size: 64
    .name:           _ZN9rocsolver6v33100L18getri_kernel_smallILi58E19rocblas_complex_numIdEPS3_EEvT1_iilPiilS6_bb
    .private_segment_fixed_size: 960
    .sgpr_count:     29
    .sgpr_spill_count: 0
    .symbol:         _ZN9rocsolver6v33100L18getri_kernel_smallILi58E19rocblas_complex_numIdEPS3_EEvT1_iilPiilS6_bb.kd
    .uniform_work_group_size: 1
    .uses_dynamic_stack: false
    .vgpr_count:     472
    .vgpr_spill_count: 0
    .wavefront_size: 64
  - .agpr_count:     228
    .args:
      - .address_space:  global
        .offset:         0
        .size:           8
        .value_kind:     global_buffer
      - .offset:         8
        .size:           4
        .value_kind:     by_value
      - .offset:         12
        .size:           4
        .value_kind:     by_value
      - .offset:         16
        .size:           8
        .value_kind:     by_value
      - .address_space:  global
        .offset:         24
        .size:           8
        .value_kind:     global_buffer
      - .offset:         32
        .size:           4
        .value_kind:     by_value
      - .offset:         40
        .size:           8
        .value_kind:     by_value
      - .address_space:  global
        .offset:         48
        .size:           8
        .value_kind:     global_buffer
      - .offset:         56
        .size:           1
        .value_kind:     by_value
      - .offset:         57
        .size:           1
        .value_kind:     by_value
    .group_segment_fixed_size: 1896
    .kernarg_segment_align: 8
    .kernarg_segment_size: 60
    .language:       OpenCL C
    .language_version:
      - 2
      - 0
    .max_flat_workgroup_size: 64
    .name:           _ZN9rocsolver6v33100L18getri_kernel_smallILi59E19rocblas_complex_numIdEPS3_EEvT1_iilPiilS6_bb
    .private_segment_fixed_size: 976
    .sgpr_count:     29
    .sgpr_spill_count: 0
    .symbol:         _ZN9rocsolver6v33100L18getri_kernel_smallILi59E19rocblas_complex_numIdEPS3_EEvT1_iilPiilS6_bb.kd
    .uniform_work_group_size: 1
    .uses_dynamic_stack: false
    .vgpr_count:     484
    .vgpr_spill_count: 0
    .wavefront_size: 64
  - .agpr_count:     228
    .args:
      - .address_space:  global
        .offset:         0
        .size:           8
        .value_kind:     global_buffer
      - .offset:         8
        .size:           4
        .value_kind:     by_value
      - .offset:         12
        .size:           4
        .value_kind:     by_value
      - .offset:         16
        .size:           8
        .value_kind:     by_value
      - .address_space:  global
        .offset:         24
        .size:           8
        .value_kind:     global_buffer
      - .offset:         32
        .size:           4
        .value_kind:     by_value
      - .offset:         40
        .size:           8
        .value_kind:     by_value
      - .address_space:  global
        .offset:         48
        .size:           8
        .value_kind:     global_buffer
      - .offset:         56
        .size:           1
        .value_kind:     by_value
      - .offset:         57
        .size:           1
        .value_kind:     by_value
    .group_segment_fixed_size: 1928
    .kernarg_segment_align: 8
    .kernarg_segment_size: 60
    .language:       OpenCL C
    .language_version:
      - 2
      - 0
    .max_flat_workgroup_size: 64
    .name:           _ZN9rocsolver6v33100L18getri_kernel_smallILi60E19rocblas_complex_numIdEPS3_EEvT1_iilPiilS6_bb
    .private_segment_fixed_size: 992
    .sgpr_count:     29
    .sgpr_spill_count: 0
    .symbol:         _ZN9rocsolver6v33100L18getri_kernel_smallILi60E19rocblas_complex_numIdEPS3_EEvT1_iilPiilS6_bb.kd
    .uniform_work_group_size: 1
    .uses_dynamic_stack: false
    .vgpr_count:     484
    .vgpr_spill_count: 0
    .wavefront_size: 64
  - .agpr_count:     233
    .args:
      - .address_space:  global
        .offset:         0
        .size:           8
        .value_kind:     global_buffer
      - .offset:         8
        .size:           4
        .value_kind:     by_value
      - .offset:         12
        .size:           4
        .value_kind:     by_value
      - .offset:         16
        .size:           8
        .value_kind:     by_value
      - .address_space:  global
        .offset:         24
        .size:           8
        .value_kind:     global_buffer
      - .offset:         32
        .size:           4
        .value_kind:     by_value
      - .offset:         40
        .size:           8
        .value_kind:     by_value
      - .address_space:  global
        .offset:         48
        .size:           8
        .value_kind:     global_buffer
      - .offset:         56
        .size:           1
        .value_kind:     by_value
      - .offset:         57
        .size:           1
        .value_kind:     by_value
    .group_segment_fixed_size: 1960
    .kernarg_segment_align: 8
    .kernarg_segment_size: 60
    .language:       OpenCL C
    .language_version:
      - 2
      - 0
    .max_flat_workgroup_size: 64
    .name:           _ZN9rocsolver6v33100L18getri_kernel_smallILi61E19rocblas_complex_numIdEPS3_EEvT1_iilPiilS6_bb
    .private_segment_fixed_size: 1008
    .sgpr_count:     36
    .sgpr_spill_count: 0
    .symbol:         _ZN9rocsolver6v33100L18getri_kernel_smallILi61E19rocblas_complex_numIdEPS3_EEvT1_iilPiilS6_bb.kd
    .uniform_work_group_size: 1
    .uses_dynamic_stack: false
    .vgpr_count:     489
    .vgpr_spill_count: 1
    .wavefront_size: 64
  - .agpr_count:     242
    .args:
      - .address_space:  global
        .offset:         0
        .size:           8
        .value_kind:     global_buffer
      - .offset:         8
        .size:           4
        .value_kind:     by_value
      - .offset:         12
        .size:           4
        .value_kind:     by_value
      - .offset:         16
        .size:           8
        .value_kind:     by_value
      - .address_space:  global
        .offset:         24
        .size:           8
        .value_kind:     global_buffer
      - .offset:         32
        .size:           4
        .value_kind:     by_value
      - .offset:         40
        .size:           8
        .value_kind:     by_value
      - .address_space:  global
        .offset:         48
        .size:           8
        .value_kind:     global_buffer
      - .offset:         56
        .size:           1
        .value_kind:     by_value
      - .offset:         57
        .size:           1
        .value_kind:     by_value
    .group_segment_fixed_size: 1992
    .kernarg_segment_align: 8
    .kernarg_segment_size: 60
    .language:       OpenCL C
    .language_version:
      - 2
      - 0
    .max_flat_workgroup_size: 64
    .name:           _ZN9rocsolver6v33100L18getri_kernel_smallILi62E19rocblas_complex_numIdEPS3_EEvT1_iilPiilS6_bb
    .private_segment_fixed_size: 1024
    .sgpr_count:     36
    .sgpr_spill_count: 0
    .symbol:         _ZN9rocsolver6v33100L18getri_kernel_smallILi62E19rocblas_complex_numIdEPS3_EEvT1_iilPiilS6_bb.kd
    .uniform_work_group_size: 1
    .uses_dynamic_stack: false
    .vgpr_count:     498
    .vgpr_spill_count: 0
    .wavefront_size: 64
  - .agpr_count:     246
    .args:
      - .address_space:  global
        .offset:         0
        .size:           8
        .value_kind:     global_buffer
      - .offset:         8
        .size:           4
        .value_kind:     by_value
      - .offset:         12
        .size:           4
        .value_kind:     by_value
      - .offset:         16
        .size:           8
        .value_kind:     by_value
      - .address_space:  global
        .offset:         24
        .size:           8
        .value_kind:     global_buffer
      - .offset:         32
        .size:           4
        .value_kind:     by_value
      - .offset:         40
        .size:           8
        .value_kind:     by_value
      - .address_space:  global
        .offset:         48
        .size:           8
        .value_kind:     global_buffer
      - .offset:         56
        .size:           1
        .value_kind:     by_value
      - .offset:         57
        .size:           1
        .value_kind:     by_value
    .group_segment_fixed_size: 2024
    .kernarg_segment_align: 8
    .kernarg_segment_size: 60
    .language:       OpenCL C
    .language_version:
      - 2
      - 0
    .max_flat_workgroup_size: 64
    .name:           _ZN9rocsolver6v33100L18getri_kernel_smallILi63E19rocblas_complex_numIdEPS3_EEvT1_iilPiilS6_bb
    .private_segment_fixed_size: 1040
    .sgpr_count:     36
    .sgpr_spill_count: 0
    .symbol:         _ZN9rocsolver6v33100L18getri_kernel_smallILi63E19rocblas_complex_numIdEPS3_EEvT1_iilPiilS6_bb.kd
    .uniform_work_group_size: 1
    .uses_dynamic_stack: false
    .vgpr_count:     502
    .vgpr_spill_count: 0
    .wavefront_size: 64
  - .agpr_count:     254
    .args:
      - .address_space:  global
        .offset:         0
        .size:           8
        .value_kind:     global_buffer
      - .offset:         8
        .size:           4
        .value_kind:     by_value
      - .offset:         12
        .size:           4
        .value_kind:     by_value
      - .offset:         16
        .size:           8
        .value_kind:     by_value
      - .address_space:  global
        .offset:         24
        .size:           8
        .value_kind:     global_buffer
      - .offset:         32
        .size:           4
        .value_kind:     by_value
      - .offset:         40
        .size:           8
        .value_kind:     by_value
      - .address_space:  global
        .offset:         48
        .size:           8
        .value_kind:     global_buffer
      - .offset:         56
        .size:           1
        .value_kind:     by_value
      - .offset:         57
        .size:           1
        .value_kind:     by_value
    .group_segment_fixed_size: 2056
    .kernarg_segment_align: 8
    .kernarg_segment_size: 60
    .language:       OpenCL C
    .language_version:
      - 2
      - 0
    .max_flat_workgroup_size: 64
    .name:           _ZN9rocsolver6v33100L18getri_kernel_smallILi64E19rocblas_complex_numIdEPS3_EEvT1_iilPiilS6_bb
    .private_segment_fixed_size: 1056
    .sgpr_count:     36
    .sgpr_spill_count: 0
    .symbol:         _ZN9rocsolver6v33100L18getri_kernel_smallILi64E19rocblas_complex_numIdEPS3_EEvT1_iilPiilS6_bb.kd
    .uniform_work_group_size: 1
    .uses_dynamic_stack: false
    .vgpr_count:     510
    .vgpr_spill_count: 0
    .wavefront_size: 64
  - .agpr_count:     0
    .args:
      - .address_space:  global
        .offset:         0
        .size:           8
        .value_kind:     global_buffer
      - .offset:         8
        .size:           4
        .value_kind:     by_value
      - .offset:         12
        .size:           4
        .value_kind:     by_value
      - .offset:         16
        .size:           8
        .value_kind:     by_value
      - .address_space:  global
        .offset:         24
        .size:           8
        .value_kind:     global_buffer
      - .offset:         32
        .size:           4
        .value_kind:     by_value
      - .offset:         40
        .size:           8
        .value_kind:     by_value
      - .address_space:  global
        .offset:         48
        .size:           8
        .value_kind:     global_buffer
      - .offset:         56
        .size:           1
        .value_kind:     by_value
      - .offset:         57
        .size:           1
        .value_kind:     by_value
    .group_segment_fixed_size: 4
    .kernarg_segment_align: 8
    .kernarg_segment_size: 60
    .language:       OpenCL C
    .language_version:
      - 2
      - 0
    .max_flat_workgroup_size: 64
    .name:           _ZN9rocsolver6v33100L18getri_kernel_smallILi1E19rocblas_complex_numIdEPKPS3_EEvT1_iilPiilS8_bb
    .private_segment_fixed_size: 0
    .sgpr_count:     20
    .sgpr_spill_count: 0
    .symbol:         _ZN9rocsolver6v33100L18getri_kernel_smallILi1E19rocblas_complex_numIdEPKPS3_EEvT1_iilPiilS8_bb.kd
    .uniform_work_group_size: 1
    .uses_dynamic_stack: false
    .vgpr_count:     12
    .vgpr_spill_count: 0
    .wavefront_size: 64
  - .agpr_count:     0
    .args:
      - .address_space:  global
        .offset:         0
        .size:           8
        .value_kind:     global_buffer
      - .offset:         8
        .size:           4
        .value_kind:     by_value
      - .offset:         12
        .size:           4
        .value_kind:     by_value
      - .offset:         16
        .size:           8
        .value_kind:     by_value
      - .address_space:  global
        .offset:         24
        .size:           8
        .value_kind:     global_buffer
      - .offset:         32
        .size:           4
        .value_kind:     by_value
      - .offset:         40
        .size:           8
        .value_kind:     by_value
      - .address_space:  global
        .offset:         48
        .size:           8
        .value_kind:     global_buffer
      - .offset:         56
        .size:           1
        .value_kind:     by_value
      - .offset:         57
        .size:           1
        .value_kind:     by_value
    .group_segment_fixed_size: 1096
    .kernarg_segment_align: 8
    .kernarg_segment_size: 60
    .language:       OpenCL C
    .language_version:
      - 2
      - 0
    .max_flat_workgroup_size: 64
    .name:           _ZN9rocsolver6v33100L18getri_kernel_smallILi2E19rocblas_complex_numIdEPKPS3_EEvT1_iilPiilS8_bb
    .private_segment_fixed_size: 48
    .sgpr_count:     30
    .sgpr_spill_count: 0
    .symbol:         _ZN9rocsolver6v33100L18getri_kernel_smallILi2E19rocblas_complex_numIdEPKPS3_EEvT1_iilPiilS8_bb.kd
    .uniform_work_group_size: 1
    .uses_dynamic_stack: false
    .vgpr_count:     22
    .vgpr_spill_count: 0
    .wavefront_size: 64
  - .agpr_count:     0
    .args:
      - .address_space:  global
        .offset:         0
        .size:           8
        .value_kind:     global_buffer
      - .offset:         8
        .size:           4
        .value_kind:     by_value
      - .offset:         12
        .size:           4
        .value_kind:     by_value
      - .offset:         16
        .size:           8
        .value_kind:     by_value
      - .address_space:  global
        .offset:         24
        .size:           8
        .value_kind:     global_buffer
      - .offset:         32
        .size:           4
        .value_kind:     by_value
      - .offset:         40
        .size:           8
        .value_kind:     by_value
      - .address_space:  global
        .offset:         48
        .size:           8
        .value_kind:     global_buffer
      - .offset:         56
        .size:           1
        .value_kind:     by_value
      - .offset:         57
        .size:           1
        .value_kind:     by_value
    .group_segment_fixed_size: 1128
    .kernarg_segment_align: 8
    .kernarg_segment_size: 60
    .language:       OpenCL C
    .language_version:
      - 2
      - 0
    .max_flat_workgroup_size: 64
    .name:           _ZN9rocsolver6v33100L18getri_kernel_smallILi3E19rocblas_complex_numIdEPKPS3_EEvT1_iilPiilS8_bb
    .private_segment_fixed_size: 64
    .sgpr_count:     30
    .sgpr_spill_count: 0
    .symbol:         _ZN9rocsolver6v33100L18getri_kernel_smallILi3E19rocblas_complex_numIdEPKPS3_EEvT1_iilPiilS8_bb.kd
    .uniform_work_group_size: 1
    .uses_dynamic_stack: false
    .vgpr_count:     34
    .vgpr_spill_count: 0
    .wavefront_size: 64
  - .agpr_count:     0
    .args:
      - .address_space:  global
        .offset:         0
        .size:           8
        .value_kind:     global_buffer
      - .offset:         8
        .size:           4
        .value_kind:     by_value
      - .offset:         12
        .size:           4
        .value_kind:     by_value
      - .offset:         16
        .size:           8
        .value_kind:     by_value
      - .address_space:  global
        .offset:         24
        .size:           8
        .value_kind:     global_buffer
      - .offset:         32
        .size:           4
        .value_kind:     by_value
      - .offset:         40
        .size:           8
        .value_kind:     by_value
      - .address_space:  global
        .offset:         48
        .size:           8
        .value_kind:     global_buffer
      - .offset:         56
        .size:           1
        .value_kind:     by_value
      - .offset:         57
        .size:           1
        .value_kind:     by_value
    .group_segment_fixed_size: 1160
    .kernarg_segment_align: 8
    .kernarg_segment_size: 60
    .language:       OpenCL C
    .language_version:
      - 2
      - 0
    .max_flat_workgroup_size: 64
    .name:           _ZN9rocsolver6v33100L18getri_kernel_smallILi4E19rocblas_complex_numIdEPKPS3_EEvT1_iilPiilS8_bb
    .private_segment_fixed_size: 80
    .sgpr_count:     30
    .sgpr_spill_count: 0
    .symbol:         _ZN9rocsolver6v33100L18getri_kernel_smallILi4E19rocblas_complex_numIdEPKPS3_EEvT1_iilPiilS8_bb.kd
    .uniform_work_group_size: 1
    .uses_dynamic_stack: false
    .vgpr_count:     48
    .vgpr_spill_count: 0
    .wavefront_size: 64
  - .agpr_count:     0
    .args:
      - .address_space:  global
        .offset:         0
        .size:           8
        .value_kind:     global_buffer
      - .offset:         8
        .size:           4
        .value_kind:     by_value
      - .offset:         12
        .size:           4
        .value_kind:     by_value
      - .offset:         16
        .size:           8
        .value_kind:     by_value
      - .address_space:  global
        .offset:         24
        .size:           8
        .value_kind:     global_buffer
      - .offset:         32
        .size:           4
        .value_kind:     by_value
      - .offset:         40
        .size:           8
        .value_kind:     by_value
      - .address_space:  global
        .offset:         48
        .size:           8
        .value_kind:     global_buffer
      - .offset:         56
        .size:           1
        .value_kind:     by_value
      - .offset:         57
        .size:           1
        .value_kind:     by_value
    .group_segment_fixed_size: 1192
    .kernarg_segment_align: 8
    .kernarg_segment_size: 60
    .language:       OpenCL C
    .language_version:
      - 2
      - 0
    .max_flat_workgroup_size: 64
    .name:           _ZN9rocsolver6v33100L18getri_kernel_smallILi5E19rocblas_complex_numIdEPKPS3_EEvT1_iilPiilS8_bb
    .private_segment_fixed_size: 96
    .sgpr_count:     30
    .sgpr_spill_count: 0
    .symbol:         _ZN9rocsolver6v33100L18getri_kernel_smallILi5E19rocblas_complex_numIdEPKPS3_EEvT1_iilPiilS8_bb.kd
    .uniform_work_group_size: 1
    .uses_dynamic_stack: false
    .vgpr_count:     60
    .vgpr_spill_count: 0
    .wavefront_size: 64
  - .agpr_count:     0
    .args:
      - .address_space:  global
        .offset:         0
        .size:           8
        .value_kind:     global_buffer
      - .offset:         8
        .size:           4
        .value_kind:     by_value
      - .offset:         12
        .size:           4
        .value_kind:     by_value
      - .offset:         16
        .size:           8
        .value_kind:     by_value
      - .address_space:  global
        .offset:         24
        .size:           8
        .value_kind:     global_buffer
      - .offset:         32
        .size:           4
        .value_kind:     by_value
      - .offset:         40
        .size:           8
        .value_kind:     by_value
      - .address_space:  global
        .offset:         48
        .size:           8
        .value_kind:     global_buffer
      - .offset:         56
        .size:           1
        .value_kind:     by_value
      - .offset:         57
        .size:           1
        .value_kind:     by_value
    .group_segment_fixed_size: 1224
    .kernarg_segment_align: 8
    .kernarg_segment_size: 60
    .language:       OpenCL C
    .language_version:
      - 2
      - 0
    .max_flat_workgroup_size: 64
    .name:           _ZN9rocsolver6v33100L18getri_kernel_smallILi6E19rocblas_complex_numIdEPKPS3_EEvT1_iilPiilS8_bb
    .private_segment_fixed_size: 112
    .sgpr_count:     30
    .sgpr_spill_count: 0
    .symbol:         _ZN9rocsolver6v33100L18getri_kernel_smallILi6E19rocblas_complex_numIdEPKPS3_EEvT1_iilPiilS8_bb.kd
    .uniform_work_group_size: 1
    .uses_dynamic_stack: false
    .vgpr_count:     74
    .vgpr_spill_count: 0
    .wavefront_size: 64
  - .agpr_count:     0
    .args:
      - .address_space:  global
        .offset:         0
        .size:           8
        .value_kind:     global_buffer
      - .offset:         8
        .size:           4
        .value_kind:     by_value
      - .offset:         12
        .size:           4
        .value_kind:     by_value
      - .offset:         16
        .size:           8
        .value_kind:     by_value
      - .address_space:  global
        .offset:         24
        .size:           8
        .value_kind:     global_buffer
      - .offset:         32
        .size:           4
        .value_kind:     by_value
      - .offset:         40
        .size:           8
        .value_kind:     by_value
      - .address_space:  global
        .offset:         48
        .size:           8
        .value_kind:     global_buffer
      - .offset:         56
        .size:           1
        .value_kind:     by_value
      - .offset:         57
        .size:           1
        .value_kind:     by_value
    .group_segment_fixed_size: 1256
    .kernarg_segment_align: 8
    .kernarg_segment_size: 60
    .language:       OpenCL C
    .language_version:
      - 2
      - 0
    .max_flat_workgroup_size: 64
    .name:           _ZN9rocsolver6v33100L18getri_kernel_smallILi7E19rocblas_complex_numIdEPKPS3_EEvT1_iilPiilS8_bb
    .private_segment_fixed_size: 128
    .sgpr_count:     30
    .sgpr_spill_count: 0
    .symbol:         _ZN9rocsolver6v33100L18getri_kernel_smallILi7E19rocblas_complex_numIdEPKPS3_EEvT1_iilPiilS8_bb.kd
    .uniform_work_group_size: 1
    .uses_dynamic_stack: false
    .vgpr_count:     86
    .vgpr_spill_count: 0
    .wavefront_size: 64
  - .agpr_count:     0
    .args:
      - .address_space:  global
        .offset:         0
        .size:           8
        .value_kind:     global_buffer
      - .offset:         8
        .size:           4
        .value_kind:     by_value
      - .offset:         12
        .size:           4
        .value_kind:     by_value
      - .offset:         16
        .size:           8
        .value_kind:     by_value
      - .address_space:  global
        .offset:         24
        .size:           8
        .value_kind:     global_buffer
      - .offset:         32
        .size:           4
        .value_kind:     by_value
      - .offset:         40
        .size:           8
        .value_kind:     by_value
      - .address_space:  global
        .offset:         48
        .size:           8
        .value_kind:     global_buffer
      - .offset:         56
        .size:           1
        .value_kind:     by_value
      - .offset:         57
        .size:           1
        .value_kind:     by_value
    .group_segment_fixed_size: 1288
    .kernarg_segment_align: 8
    .kernarg_segment_size: 60
    .language:       OpenCL C
    .language_version:
      - 2
      - 0
    .max_flat_workgroup_size: 64
    .name:           _ZN9rocsolver6v33100L18getri_kernel_smallILi8E19rocblas_complex_numIdEPKPS3_EEvT1_iilPiilS8_bb
    .private_segment_fixed_size: 144
    .sgpr_count:     30
    .sgpr_spill_count: 0
    .symbol:         _ZN9rocsolver6v33100L18getri_kernel_smallILi8E19rocblas_complex_numIdEPKPS3_EEvT1_iilPiilS8_bb.kd
    .uniform_work_group_size: 1
    .uses_dynamic_stack: false
    .vgpr_count:     100
    .vgpr_spill_count: 0
    .wavefront_size: 64
  - .agpr_count:     0
    .args:
      - .address_space:  global
        .offset:         0
        .size:           8
        .value_kind:     global_buffer
      - .offset:         8
        .size:           4
        .value_kind:     by_value
      - .offset:         12
        .size:           4
        .value_kind:     by_value
      - .offset:         16
        .size:           8
        .value_kind:     by_value
      - .address_space:  global
        .offset:         24
        .size:           8
        .value_kind:     global_buffer
      - .offset:         32
        .size:           4
        .value_kind:     by_value
      - .offset:         40
        .size:           8
        .value_kind:     by_value
      - .address_space:  global
        .offset:         48
        .size:           8
        .value_kind:     global_buffer
      - .offset:         56
        .size:           1
        .value_kind:     by_value
      - .offset:         57
        .size:           1
        .value_kind:     by_value
    .group_segment_fixed_size: 1320
    .kernarg_segment_align: 8
    .kernarg_segment_size: 60
    .language:       OpenCL C
    .language_version:
      - 2
      - 0
    .max_flat_workgroup_size: 64
    .name:           _ZN9rocsolver6v33100L18getri_kernel_smallILi9E19rocblas_complex_numIdEPKPS3_EEvT1_iilPiilS8_bb
    .private_segment_fixed_size: 160
    .sgpr_count:     30
    .sgpr_spill_count: 0
    .symbol:         _ZN9rocsolver6v33100L18getri_kernel_smallILi9E19rocblas_complex_numIdEPKPS3_EEvT1_iilPiilS8_bb.kd
    .uniform_work_group_size: 1
    .uses_dynamic_stack: false
    .vgpr_count:     112
    .vgpr_spill_count: 0
    .wavefront_size: 64
  - .agpr_count:     0
    .args:
      - .address_space:  global
        .offset:         0
        .size:           8
        .value_kind:     global_buffer
      - .offset:         8
        .size:           4
        .value_kind:     by_value
      - .offset:         12
        .size:           4
        .value_kind:     by_value
      - .offset:         16
        .size:           8
        .value_kind:     by_value
      - .address_space:  global
        .offset:         24
        .size:           8
        .value_kind:     global_buffer
      - .offset:         32
        .size:           4
        .value_kind:     by_value
      - .offset:         40
        .size:           8
        .value_kind:     by_value
      - .address_space:  global
        .offset:         48
        .size:           8
        .value_kind:     global_buffer
      - .offset:         56
        .size:           1
        .value_kind:     by_value
      - .offset:         57
        .size:           1
        .value_kind:     by_value
    .group_segment_fixed_size: 1352
    .kernarg_segment_align: 8
    .kernarg_segment_size: 60
    .language:       OpenCL C
    .language_version:
      - 2
      - 0
    .max_flat_workgroup_size: 64
    .name:           _ZN9rocsolver6v33100L18getri_kernel_smallILi10E19rocblas_complex_numIdEPKPS3_EEvT1_iilPiilS8_bb
    .private_segment_fixed_size: 176
    .sgpr_count:     30
    .sgpr_spill_count: 0
    .symbol:         _ZN9rocsolver6v33100L18getri_kernel_smallILi10E19rocblas_complex_numIdEPKPS3_EEvT1_iilPiilS8_bb.kd
    .uniform_work_group_size: 1
    .uses_dynamic_stack: false
    .vgpr_count:     126
    .vgpr_spill_count: 0
    .wavefront_size: 64
  - .agpr_count:     0
    .args:
      - .address_space:  global
        .offset:         0
        .size:           8
        .value_kind:     global_buffer
      - .offset:         8
        .size:           4
        .value_kind:     by_value
      - .offset:         12
        .size:           4
        .value_kind:     by_value
      - .offset:         16
        .size:           8
        .value_kind:     by_value
      - .address_space:  global
        .offset:         24
        .size:           8
        .value_kind:     global_buffer
      - .offset:         32
        .size:           4
        .value_kind:     by_value
      - .offset:         40
        .size:           8
        .value_kind:     by_value
      - .address_space:  global
        .offset:         48
        .size:           8
        .value_kind:     global_buffer
      - .offset:         56
        .size:           1
        .value_kind:     by_value
      - .offset:         57
        .size:           1
        .value_kind:     by_value
    .group_segment_fixed_size: 1384
    .kernarg_segment_align: 8
    .kernarg_segment_size: 60
    .language:       OpenCL C
    .language_version:
      - 2
      - 0
    .max_flat_workgroup_size: 64
    .name:           _ZN9rocsolver6v33100L18getri_kernel_smallILi11E19rocblas_complex_numIdEPKPS3_EEvT1_iilPiilS8_bb
    .private_segment_fixed_size: 192
    .sgpr_count:     30
    .sgpr_spill_count: 0
    .symbol:         _ZN9rocsolver6v33100L18getri_kernel_smallILi11E19rocblas_complex_numIdEPKPS3_EEvT1_iilPiilS8_bb.kd
    .uniform_work_group_size: 1
    .uses_dynamic_stack: false
    .vgpr_count:     122
    .vgpr_spill_count: 0
    .wavefront_size: 64
  - .agpr_count:     0
    .args:
      - .address_space:  global
        .offset:         0
        .size:           8
        .value_kind:     global_buffer
      - .offset:         8
        .size:           4
        .value_kind:     by_value
      - .offset:         12
        .size:           4
        .value_kind:     by_value
      - .offset:         16
        .size:           8
        .value_kind:     by_value
      - .address_space:  global
        .offset:         24
        .size:           8
        .value_kind:     global_buffer
      - .offset:         32
        .size:           4
        .value_kind:     by_value
      - .offset:         40
        .size:           8
        .value_kind:     by_value
      - .address_space:  global
        .offset:         48
        .size:           8
        .value_kind:     global_buffer
      - .offset:         56
        .size:           1
        .value_kind:     by_value
      - .offset:         57
        .size:           1
        .value_kind:     by_value
    .group_segment_fixed_size: 1416
    .kernarg_segment_align: 8
    .kernarg_segment_size: 60
    .language:       OpenCL C
    .language_version:
      - 2
      - 0
    .max_flat_workgroup_size: 64
    .name:           _ZN9rocsolver6v33100L18getri_kernel_smallILi12E19rocblas_complex_numIdEPKPS3_EEvT1_iilPiilS8_bb
    .private_segment_fixed_size: 208
    .sgpr_count:     30
    .sgpr_spill_count: 0
    .symbol:         _ZN9rocsolver6v33100L18getri_kernel_smallILi12E19rocblas_complex_numIdEPKPS3_EEvT1_iilPiilS8_bb.kd
    .uniform_work_group_size: 1
    .uses_dynamic_stack: false
    .vgpr_count:     150
    .vgpr_spill_count: 0
    .wavefront_size: 64
  - .agpr_count:     0
    .args:
      - .address_space:  global
        .offset:         0
        .size:           8
        .value_kind:     global_buffer
      - .offset:         8
        .size:           4
        .value_kind:     by_value
      - .offset:         12
        .size:           4
        .value_kind:     by_value
      - .offset:         16
        .size:           8
        .value_kind:     by_value
      - .address_space:  global
        .offset:         24
        .size:           8
        .value_kind:     global_buffer
      - .offset:         32
        .size:           4
        .value_kind:     by_value
      - .offset:         40
        .size:           8
        .value_kind:     by_value
      - .address_space:  global
        .offset:         48
        .size:           8
        .value_kind:     global_buffer
      - .offset:         56
        .size:           1
        .value_kind:     by_value
      - .offset:         57
        .size:           1
        .value_kind:     by_value
    .group_segment_fixed_size: 1448
    .kernarg_segment_align: 8
    .kernarg_segment_size: 60
    .language:       OpenCL C
    .language_version:
      - 2
      - 0
    .max_flat_workgroup_size: 64
    .name:           _ZN9rocsolver6v33100L18getri_kernel_smallILi13E19rocblas_complex_numIdEPKPS3_EEvT1_iilPiilS8_bb
    .private_segment_fixed_size: 224
    .sgpr_count:     30
    .sgpr_spill_count: 0
    .symbol:         _ZN9rocsolver6v33100L18getri_kernel_smallILi13E19rocblas_complex_numIdEPKPS3_EEvT1_iilPiilS8_bb.kd
    .uniform_work_group_size: 1
    .uses_dynamic_stack: false
    .vgpr_count:     156
    .vgpr_spill_count: 0
    .wavefront_size: 64
  - .agpr_count:     0
    .args:
      - .address_space:  global
        .offset:         0
        .size:           8
        .value_kind:     global_buffer
      - .offset:         8
        .size:           4
        .value_kind:     by_value
      - .offset:         12
        .size:           4
        .value_kind:     by_value
      - .offset:         16
        .size:           8
        .value_kind:     by_value
      - .address_space:  global
        .offset:         24
        .size:           8
        .value_kind:     global_buffer
      - .offset:         32
        .size:           4
        .value_kind:     by_value
      - .offset:         40
        .size:           8
        .value_kind:     by_value
      - .address_space:  global
        .offset:         48
        .size:           8
        .value_kind:     global_buffer
      - .offset:         56
        .size:           1
        .value_kind:     by_value
      - .offset:         57
        .size:           1
        .value_kind:     by_value
    .group_segment_fixed_size: 1480
    .kernarg_segment_align: 8
    .kernarg_segment_size: 60
    .language:       OpenCL C
    .language_version:
      - 2
      - 0
    .max_flat_workgroup_size: 64
    .name:           _ZN9rocsolver6v33100L18getri_kernel_smallILi14E19rocblas_complex_numIdEPKPS3_EEvT1_iilPiilS8_bb
    .private_segment_fixed_size: 240
    .sgpr_count:     30
    .sgpr_spill_count: 0
    .symbol:         _ZN9rocsolver6v33100L18getri_kernel_smallILi14E19rocblas_complex_numIdEPKPS3_EEvT1_iilPiilS8_bb.kd
    .uniform_work_group_size: 1
    .uses_dynamic_stack: false
    .vgpr_count:     158
    .vgpr_spill_count: 0
    .wavefront_size: 64
  - .agpr_count:     0
    .args:
      - .address_space:  global
        .offset:         0
        .size:           8
        .value_kind:     global_buffer
      - .offset:         8
        .size:           4
        .value_kind:     by_value
      - .offset:         12
        .size:           4
        .value_kind:     by_value
      - .offset:         16
        .size:           8
        .value_kind:     by_value
      - .address_space:  global
        .offset:         24
        .size:           8
        .value_kind:     global_buffer
      - .offset:         32
        .size:           4
        .value_kind:     by_value
      - .offset:         40
        .size:           8
        .value_kind:     by_value
      - .address_space:  global
        .offset:         48
        .size:           8
        .value_kind:     global_buffer
      - .offset:         56
        .size:           1
        .value_kind:     by_value
      - .offset:         57
        .size:           1
        .value_kind:     by_value
    .group_segment_fixed_size: 1512
    .kernarg_segment_align: 8
    .kernarg_segment_size: 60
    .language:       OpenCL C
    .language_version:
      - 2
      - 0
    .max_flat_workgroup_size: 64
    .name:           _ZN9rocsolver6v33100L18getri_kernel_smallILi15E19rocblas_complex_numIdEPKPS3_EEvT1_iilPiilS8_bb
    .private_segment_fixed_size: 256
    .sgpr_count:     30
    .sgpr_spill_count: 0
    .symbol:         _ZN9rocsolver6v33100L18getri_kernel_smallILi15E19rocblas_complex_numIdEPKPS3_EEvT1_iilPiilS8_bb.kd
    .uniform_work_group_size: 1
    .uses_dynamic_stack: false
    .vgpr_count:     168
    .vgpr_spill_count: 0
    .wavefront_size: 64
  - .agpr_count:     0
    .args:
      - .address_space:  global
        .offset:         0
        .size:           8
        .value_kind:     global_buffer
      - .offset:         8
        .size:           4
        .value_kind:     by_value
      - .offset:         12
        .size:           4
        .value_kind:     by_value
      - .offset:         16
        .size:           8
        .value_kind:     by_value
      - .address_space:  global
        .offset:         24
        .size:           8
        .value_kind:     global_buffer
      - .offset:         32
        .size:           4
        .value_kind:     by_value
      - .offset:         40
        .size:           8
        .value_kind:     by_value
      - .address_space:  global
        .offset:         48
        .size:           8
        .value_kind:     global_buffer
      - .offset:         56
        .size:           1
        .value_kind:     by_value
      - .offset:         57
        .size:           1
        .value_kind:     by_value
    .group_segment_fixed_size: 1544
    .kernarg_segment_align: 8
    .kernarg_segment_size: 60
    .language:       OpenCL C
    .language_version:
      - 2
      - 0
    .max_flat_workgroup_size: 64
    .name:           _ZN9rocsolver6v33100L18getri_kernel_smallILi16E19rocblas_complex_numIdEPKPS3_EEvT1_iilPiilS8_bb
    .private_segment_fixed_size: 272
    .sgpr_count:     30
    .sgpr_spill_count: 0
    .symbol:         _ZN9rocsolver6v33100L18getri_kernel_smallILi16E19rocblas_complex_numIdEPKPS3_EEvT1_iilPiilS8_bb.kd
    .uniform_work_group_size: 1
    .uses_dynamic_stack: false
    .vgpr_count:     178
    .vgpr_spill_count: 0
    .wavefront_size: 64
  - .agpr_count:     0
    .args:
      - .address_space:  global
        .offset:         0
        .size:           8
        .value_kind:     global_buffer
      - .offset:         8
        .size:           4
        .value_kind:     by_value
      - .offset:         12
        .size:           4
        .value_kind:     by_value
      - .offset:         16
        .size:           8
        .value_kind:     by_value
      - .address_space:  global
        .offset:         24
        .size:           8
        .value_kind:     global_buffer
      - .offset:         32
        .size:           4
        .value_kind:     by_value
      - .offset:         40
        .size:           8
        .value_kind:     by_value
      - .address_space:  global
        .offset:         48
        .size:           8
        .value_kind:     global_buffer
      - .offset:         56
        .size:           1
        .value_kind:     by_value
      - .offset:         57
        .size:           1
        .value_kind:     by_value
    .group_segment_fixed_size: 1576
    .kernarg_segment_align: 8
    .kernarg_segment_size: 60
    .language:       OpenCL C
    .language_version:
      - 2
      - 0
    .max_flat_workgroup_size: 64
    .name:           _ZN9rocsolver6v33100L18getri_kernel_smallILi17E19rocblas_complex_numIdEPKPS3_EEvT1_iilPiilS8_bb
    .private_segment_fixed_size: 288
    .sgpr_count:     30
    .sgpr_spill_count: 0
    .symbol:         _ZN9rocsolver6v33100L18getri_kernel_smallILi17E19rocblas_complex_numIdEPKPS3_EEvT1_iilPiilS8_bb.kd
    .uniform_work_group_size: 1
    .uses_dynamic_stack: false
    .vgpr_count:     190
    .vgpr_spill_count: 0
    .wavefront_size: 64
  - .agpr_count:     0
    .args:
      - .address_space:  global
        .offset:         0
        .size:           8
        .value_kind:     global_buffer
      - .offset:         8
        .size:           4
        .value_kind:     by_value
      - .offset:         12
        .size:           4
        .value_kind:     by_value
      - .offset:         16
        .size:           8
        .value_kind:     by_value
      - .address_space:  global
        .offset:         24
        .size:           8
        .value_kind:     global_buffer
      - .offset:         32
        .size:           4
        .value_kind:     by_value
      - .offset:         40
        .size:           8
        .value_kind:     by_value
      - .address_space:  global
        .offset:         48
        .size:           8
        .value_kind:     global_buffer
      - .offset:         56
        .size:           1
        .value_kind:     by_value
      - .offset:         57
        .size:           1
        .value_kind:     by_value
    .group_segment_fixed_size: 1608
    .kernarg_segment_align: 8
    .kernarg_segment_size: 60
    .language:       OpenCL C
    .language_version:
      - 2
      - 0
    .max_flat_workgroup_size: 64
    .name:           _ZN9rocsolver6v33100L18getri_kernel_smallILi18E19rocblas_complex_numIdEPKPS3_EEvT1_iilPiilS8_bb
    .private_segment_fixed_size: 304
    .sgpr_count:     30
    .sgpr_spill_count: 0
    .symbol:         _ZN9rocsolver6v33100L18getri_kernel_smallILi18E19rocblas_complex_numIdEPKPS3_EEvT1_iilPiilS8_bb.kd
    .uniform_work_group_size: 1
    .uses_dynamic_stack: false
    .vgpr_count:     200
    .vgpr_spill_count: 0
    .wavefront_size: 64
  - .agpr_count:     0
    .args:
      - .address_space:  global
        .offset:         0
        .size:           8
        .value_kind:     global_buffer
      - .offset:         8
        .size:           4
        .value_kind:     by_value
      - .offset:         12
        .size:           4
        .value_kind:     by_value
      - .offset:         16
        .size:           8
        .value_kind:     by_value
      - .address_space:  global
        .offset:         24
        .size:           8
        .value_kind:     global_buffer
      - .offset:         32
        .size:           4
        .value_kind:     by_value
      - .offset:         40
        .size:           8
        .value_kind:     by_value
      - .address_space:  global
        .offset:         48
        .size:           8
        .value_kind:     global_buffer
      - .offset:         56
        .size:           1
        .value_kind:     by_value
      - .offset:         57
        .size:           1
        .value_kind:     by_value
    .group_segment_fixed_size: 1640
    .kernarg_segment_align: 8
    .kernarg_segment_size: 60
    .language:       OpenCL C
    .language_version:
      - 2
      - 0
    .max_flat_workgroup_size: 64
    .name:           _ZN9rocsolver6v33100L18getri_kernel_smallILi19E19rocblas_complex_numIdEPKPS3_EEvT1_iilPiilS8_bb
    .private_segment_fixed_size: 320
    .sgpr_count:     30
    .sgpr_spill_count: 0
    .symbol:         _ZN9rocsolver6v33100L18getri_kernel_smallILi19E19rocblas_complex_numIdEPKPS3_EEvT1_iilPiilS8_bb.kd
    .uniform_work_group_size: 1
    .uses_dynamic_stack: false
    .vgpr_count:     212
    .vgpr_spill_count: 0
    .wavefront_size: 64
  - .agpr_count:     0
    .args:
      - .address_space:  global
        .offset:         0
        .size:           8
        .value_kind:     global_buffer
      - .offset:         8
        .size:           4
        .value_kind:     by_value
      - .offset:         12
        .size:           4
        .value_kind:     by_value
      - .offset:         16
        .size:           8
        .value_kind:     by_value
      - .address_space:  global
        .offset:         24
        .size:           8
        .value_kind:     global_buffer
      - .offset:         32
        .size:           4
        .value_kind:     by_value
      - .offset:         40
        .size:           8
        .value_kind:     by_value
      - .address_space:  global
        .offset:         48
        .size:           8
        .value_kind:     global_buffer
      - .offset:         56
        .size:           1
        .value_kind:     by_value
      - .offset:         57
        .size:           1
        .value_kind:     by_value
    .group_segment_fixed_size: 1672
    .kernarg_segment_align: 8
    .kernarg_segment_size: 60
    .language:       OpenCL C
    .language_version:
      - 2
      - 0
    .max_flat_workgroup_size: 64
    .name:           _ZN9rocsolver6v33100L18getri_kernel_smallILi20E19rocblas_complex_numIdEPKPS3_EEvT1_iilPiilS8_bb
    .private_segment_fixed_size: 336
    .sgpr_count:     30
    .sgpr_spill_count: 0
    .symbol:         _ZN9rocsolver6v33100L18getri_kernel_smallILi20E19rocblas_complex_numIdEPKPS3_EEvT1_iilPiilS8_bb.kd
    .uniform_work_group_size: 1
    .uses_dynamic_stack: false
    .vgpr_count:     222
    .vgpr_spill_count: 0
    .wavefront_size: 64
  - .agpr_count:     0
    .args:
      - .address_space:  global
        .offset:         0
        .size:           8
        .value_kind:     global_buffer
      - .offset:         8
        .size:           4
        .value_kind:     by_value
      - .offset:         12
        .size:           4
        .value_kind:     by_value
      - .offset:         16
        .size:           8
        .value_kind:     by_value
      - .address_space:  global
        .offset:         24
        .size:           8
        .value_kind:     global_buffer
      - .offset:         32
        .size:           4
        .value_kind:     by_value
      - .offset:         40
        .size:           8
        .value_kind:     by_value
      - .address_space:  global
        .offset:         48
        .size:           8
        .value_kind:     global_buffer
      - .offset:         56
        .size:           1
        .value_kind:     by_value
      - .offset:         57
        .size:           1
        .value_kind:     by_value
    .group_segment_fixed_size: 1704
    .kernarg_segment_align: 8
    .kernarg_segment_size: 60
    .language:       OpenCL C
    .language_version:
      - 2
      - 0
    .max_flat_workgroup_size: 64
    .name:           _ZN9rocsolver6v33100L18getri_kernel_smallILi21E19rocblas_complex_numIdEPKPS3_EEvT1_iilPiilS8_bb
    .private_segment_fixed_size: 352
    .sgpr_count:     30
    .sgpr_spill_count: 0
    .symbol:         _ZN9rocsolver6v33100L18getri_kernel_smallILi21E19rocblas_complex_numIdEPKPS3_EEvT1_iilPiilS8_bb.kd
    .uniform_work_group_size: 1
    .uses_dynamic_stack: false
    .vgpr_count:     232
    .vgpr_spill_count: 0
    .wavefront_size: 64
  - .agpr_count:     0
    .args:
      - .address_space:  global
        .offset:         0
        .size:           8
        .value_kind:     global_buffer
      - .offset:         8
        .size:           4
        .value_kind:     by_value
      - .offset:         12
        .size:           4
        .value_kind:     by_value
      - .offset:         16
        .size:           8
        .value_kind:     by_value
      - .address_space:  global
        .offset:         24
        .size:           8
        .value_kind:     global_buffer
      - .offset:         32
        .size:           4
        .value_kind:     by_value
      - .offset:         40
        .size:           8
        .value_kind:     by_value
      - .address_space:  global
        .offset:         48
        .size:           8
        .value_kind:     global_buffer
      - .offset:         56
        .size:           1
        .value_kind:     by_value
      - .offset:         57
        .size:           1
        .value_kind:     by_value
    .group_segment_fixed_size: 1736
    .kernarg_segment_align: 8
    .kernarg_segment_size: 60
    .language:       OpenCL C
    .language_version:
      - 2
      - 0
    .max_flat_workgroup_size: 64
    .name:           _ZN9rocsolver6v33100L18getri_kernel_smallILi22E19rocblas_complex_numIdEPKPS3_EEvT1_iilPiilS8_bb
    .private_segment_fixed_size: 368
    .sgpr_count:     30
    .sgpr_spill_count: 0
    .symbol:         _ZN9rocsolver6v33100L18getri_kernel_smallILi22E19rocblas_complex_numIdEPKPS3_EEvT1_iilPiilS8_bb.kd
    .uniform_work_group_size: 1
    .uses_dynamic_stack: false
    .vgpr_count:     244
    .vgpr_spill_count: 0
    .wavefront_size: 64
  - .agpr_count:     0
    .args:
      - .address_space:  global
        .offset:         0
        .size:           8
        .value_kind:     global_buffer
      - .offset:         8
        .size:           4
        .value_kind:     by_value
      - .offset:         12
        .size:           4
        .value_kind:     by_value
      - .offset:         16
        .size:           8
        .value_kind:     by_value
      - .address_space:  global
        .offset:         24
        .size:           8
        .value_kind:     global_buffer
      - .offset:         32
        .size:           4
        .value_kind:     by_value
      - .offset:         40
        .size:           8
        .value_kind:     by_value
      - .address_space:  global
        .offset:         48
        .size:           8
        .value_kind:     global_buffer
      - .offset:         56
        .size:           1
        .value_kind:     by_value
      - .offset:         57
        .size:           1
        .value_kind:     by_value
    .group_segment_fixed_size: 1768
    .kernarg_segment_align: 8
    .kernarg_segment_size: 60
    .language:       OpenCL C
    .language_version:
      - 2
      - 0
    .max_flat_workgroup_size: 64
    .name:           _ZN9rocsolver6v33100L18getri_kernel_smallILi23E19rocblas_complex_numIdEPKPS3_EEvT1_iilPiilS8_bb
    .private_segment_fixed_size: 384
    .sgpr_count:     30
    .sgpr_spill_count: 0
    .symbol:         _ZN9rocsolver6v33100L18getri_kernel_smallILi23E19rocblas_complex_numIdEPKPS3_EEvT1_iilPiilS8_bb.kd
    .uniform_work_group_size: 1
    .uses_dynamic_stack: false
    .vgpr_count:     256
    .vgpr_spill_count: 0
    .wavefront_size: 64
  - .agpr_count:     12
    .args:
      - .address_space:  global
        .offset:         0
        .size:           8
        .value_kind:     global_buffer
      - .offset:         8
        .size:           4
        .value_kind:     by_value
      - .offset:         12
        .size:           4
        .value_kind:     by_value
      - .offset:         16
        .size:           8
        .value_kind:     by_value
      - .address_space:  global
        .offset:         24
        .size:           8
        .value_kind:     global_buffer
      - .offset:         32
        .size:           4
        .value_kind:     by_value
      - .offset:         40
        .size:           8
        .value_kind:     by_value
      - .address_space:  global
        .offset:         48
        .size:           8
        .value_kind:     global_buffer
      - .offset:         56
        .size:           1
        .value_kind:     by_value
      - .offset:         57
        .size:           1
        .value_kind:     by_value
    .group_segment_fixed_size: 1800
    .kernarg_segment_align: 8
    .kernarg_segment_size: 60
    .language:       OpenCL C
    .language_version:
      - 2
      - 0
    .max_flat_workgroup_size: 64
    .name:           _ZN9rocsolver6v33100L18getri_kernel_smallILi24E19rocblas_complex_numIdEPKPS3_EEvT1_iilPiilS8_bb
    .private_segment_fixed_size: 400
    .sgpr_count:     30
    .sgpr_spill_count: 0
    .symbol:         _ZN9rocsolver6v33100L18getri_kernel_smallILi24E19rocblas_complex_numIdEPKPS3_EEvT1_iilPiilS8_bb.kd
    .uniform_work_group_size: 1
    .uses_dynamic_stack: false
    .vgpr_count:     268
    .vgpr_spill_count: 0
    .wavefront_size: 64
  - .agpr_count:     22
    .args:
      - .address_space:  global
        .offset:         0
        .size:           8
        .value_kind:     global_buffer
      - .offset:         8
        .size:           4
        .value_kind:     by_value
      - .offset:         12
        .size:           4
        .value_kind:     by_value
      - .offset:         16
        .size:           8
        .value_kind:     by_value
      - .address_space:  global
        .offset:         24
        .size:           8
        .value_kind:     global_buffer
      - .offset:         32
        .size:           4
        .value_kind:     by_value
      - .offset:         40
        .size:           8
        .value_kind:     by_value
      - .address_space:  global
        .offset:         48
        .size:           8
        .value_kind:     global_buffer
      - .offset:         56
        .size:           1
        .value_kind:     by_value
      - .offset:         57
        .size:           1
        .value_kind:     by_value
    .group_segment_fixed_size: 1832
    .kernarg_segment_align: 8
    .kernarg_segment_size: 60
    .language:       OpenCL C
    .language_version:
      - 2
      - 0
    .max_flat_workgroup_size: 64
    .name:           _ZN9rocsolver6v33100L18getri_kernel_smallILi25E19rocblas_complex_numIdEPKPS3_EEvT1_iilPiilS8_bb
    .private_segment_fixed_size: 416
    .sgpr_count:     30
    .sgpr_spill_count: 0
    .symbol:         _ZN9rocsolver6v33100L18getri_kernel_smallILi25E19rocblas_complex_numIdEPKPS3_EEvT1_iilPiilS8_bb.kd
    .uniform_work_group_size: 1
    .uses_dynamic_stack: false
    .vgpr_count:     278
    .vgpr_spill_count: 0
    .wavefront_size: 64
  - .agpr_count:     32
    .args:
      - .address_space:  global
        .offset:         0
        .size:           8
        .value_kind:     global_buffer
      - .offset:         8
        .size:           4
        .value_kind:     by_value
      - .offset:         12
        .size:           4
        .value_kind:     by_value
      - .offset:         16
        .size:           8
        .value_kind:     by_value
      - .address_space:  global
        .offset:         24
        .size:           8
        .value_kind:     global_buffer
      - .offset:         32
        .size:           4
        .value_kind:     by_value
      - .offset:         40
        .size:           8
        .value_kind:     by_value
      - .address_space:  global
        .offset:         48
        .size:           8
        .value_kind:     global_buffer
      - .offset:         56
        .size:           1
        .value_kind:     by_value
      - .offset:         57
        .size:           1
        .value_kind:     by_value
    .group_segment_fixed_size: 1864
    .kernarg_segment_align: 8
    .kernarg_segment_size: 60
    .language:       OpenCL C
    .language_version:
      - 2
      - 0
    .max_flat_workgroup_size: 64
    .name:           _ZN9rocsolver6v33100L18getri_kernel_smallILi26E19rocblas_complex_numIdEPKPS3_EEvT1_iilPiilS8_bb
    .private_segment_fixed_size: 432
    .sgpr_count:     30
    .sgpr_spill_count: 0
    .symbol:         _ZN9rocsolver6v33100L18getri_kernel_smallILi26E19rocblas_complex_numIdEPKPS3_EEvT1_iilPiilS8_bb.kd
    .uniform_work_group_size: 1
    .uses_dynamic_stack: false
    .vgpr_count:     288
    .vgpr_spill_count: 0
    .wavefront_size: 64
  - .agpr_count:     45
    .args:
      - .address_space:  global
        .offset:         0
        .size:           8
        .value_kind:     global_buffer
      - .offset:         8
        .size:           4
        .value_kind:     by_value
      - .offset:         12
        .size:           4
        .value_kind:     by_value
      - .offset:         16
        .size:           8
        .value_kind:     by_value
      - .address_space:  global
        .offset:         24
        .size:           8
        .value_kind:     global_buffer
      - .offset:         32
        .size:           4
        .value_kind:     by_value
      - .offset:         40
        .size:           8
        .value_kind:     by_value
      - .address_space:  global
        .offset:         48
        .size:           8
        .value_kind:     global_buffer
      - .offset:         56
        .size:           1
        .value_kind:     by_value
      - .offset:         57
        .size:           1
        .value_kind:     by_value
    .group_segment_fixed_size: 1896
    .kernarg_segment_align: 8
    .kernarg_segment_size: 60
    .language:       OpenCL C
    .language_version:
      - 2
      - 0
    .max_flat_workgroup_size: 64
    .name:           _ZN9rocsolver6v33100L18getri_kernel_smallILi27E19rocblas_complex_numIdEPKPS3_EEvT1_iilPiilS8_bb
    .private_segment_fixed_size: 448
    .sgpr_count:     30
    .sgpr_spill_count: 0
    .symbol:         _ZN9rocsolver6v33100L18getri_kernel_smallILi27E19rocblas_complex_numIdEPKPS3_EEvT1_iilPiilS8_bb.kd
    .uniform_work_group_size: 1
    .uses_dynamic_stack: false
    .vgpr_count:     301
    .vgpr_spill_count: 0
    .wavefront_size: 64
  - .agpr_count:     54
    .args:
      - .address_space:  global
        .offset:         0
        .size:           8
        .value_kind:     global_buffer
      - .offset:         8
        .size:           4
        .value_kind:     by_value
      - .offset:         12
        .size:           4
        .value_kind:     by_value
      - .offset:         16
        .size:           8
        .value_kind:     by_value
      - .address_space:  global
        .offset:         24
        .size:           8
        .value_kind:     global_buffer
      - .offset:         32
        .size:           4
        .value_kind:     by_value
      - .offset:         40
        .size:           8
        .value_kind:     by_value
      - .address_space:  global
        .offset:         48
        .size:           8
        .value_kind:     global_buffer
      - .offset:         56
        .size:           1
        .value_kind:     by_value
      - .offset:         57
        .size:           1
        .value_kind:     by_value
    .group_segment_fixed_size: 1928
    .kernarg_segment_align: 8
    .kernarg_segment_size: 60
    .language:       OpenCL C
    .language_version:
      - 2
      - 0
    .max_flat_workgroup_size: 64
    .name:           _ZN9rocsolver6v33100L18getri_kernel_smallILi28E19rocblas_complex_numIdEPKPS3_EEvT1_iilPiilS8_bb
    .private_segment_fixed_size: 464
    .sgpr_count:     30
    .sgpr_spill_count: 0
    .symbol:         _ZN9rocsolver6v33100L18getri_kernel_smallILi28E19rocblas_complex_numIdEPKPS3_EEvT1_iilPiilS8_bb.kd
    .uniform_work_group_size: 1
    .uses_dynamic_stack: false
    .vgpr_count:     310
    .vgpr_spill_count: 0
    .wavefront_size: 64
  - .agpr_count:     67
    .args:
      - .address_space:  global
        .offset:         0
        .size:           8
        .value_kind:     global_buffer
      - .offset:         8
        .size:           4
        .value_kind:     by_value
      - .offset:         12
        .size:           4
        .value_kind:     by_value
      - .offset:         16
        .size:           8
        .value_kind:     by_value
      - .address_space:  global
        .offset:         24
        .size:           8
        .value_kind:     global_buffer
      - .offset:         32
        .size:           4
        .value_kind:     by_value
      - .offset:         40
        .size:           8
        .value_kind:     by_value
      - .address_space:  global
        .offset:         48
        .size:           8
        .value_kind:     global_buffer
      - .offset:         56
        .size:           1
        .value_kind:     by_value
      - .offset:         57
        .size:           1
        .value_kind:     by_value
    .group_segment_fixed_size: 1960
    .kernarg_segment_align: 8
    .kernarg_segment_size: 60
    .language:       OpenCL C
    .language_version:
      - 2
      - 0
    .max_flat_workgroup_size: 64
    .name:           _ZN9rocsolver6v33100L18getri_kernel_smallILi29E19rocblas_complex_numIdEPKPS3_EEvT1_iilPiilS8_bb
    .private_segment_fixed_size: 480
    .sgpr_count:     30
    .sgpr_spill_count: 0
    .symbol:         _ZN9rocsolver6v33100L18getri_kernel_smallILi29E19rocblas_complex_numIdEPKPS3_EEvT1_iilPiilS8_bb.kd
    .uniform_work_group_size: 1
    .uses_dynamic_stack: false
    .vgpr_count:     323
    .vgpr_spill_count: 0
    .wavefront_size: 64
  - .agpr_count:     76
    .args:
      - .address_space:  global
        .offset:         0
        .size:           8
        .value_kind:     global_buffer
      - .offset:         8
        .size:           4
        .value_kind:     by_value
      - .offset:         12
        .size:           4
        .value_kind:     by_value
      - .offset:         16
        .size:           8
        .value_kind:     by_value
      - .address_space:  global
        .offset:         24
        .size:           8
        .value_kind:     global_buffer
      - .offset:         32
        .size:           4
        .value_kind:     by_value
      - .offset:         40
        .size:           8
        .value_kind:     by_value
      - .address_space:  global
        .offset:         48
        .size:           8
        .value_kind:     global_buffer
      - .offset:         56
        .size:           1
        .value_kind:     by_value
      - .offset:         57
        .size:           1
        .value_kind:     by_value
    .group_segment_fixed_size: 1992
    .kernarg_segment_align: 8
    .kernarg_segment_size: 60
    .language:       OpenCL C
    .language_version:
      - 2
      - 0
    .max_flat_workgroup_size: 64
    .name:           _ZN9rocsolver6v33100L18getri_kernel_smallILi30E19rocblas_complex_numIdEPKPS3_EEvT1_iilPiilS8_bb
    .private_segment_fixed_size: 496
    .sgpr_count:     30
    .sgpr_spill_count: 0
    .symbol:         _ZN9rocsolver6v33100L18getri_kernel_smallILi30E19rocblas_complex_numIdEPKPS3_EEvT1_iilPiilS8_bb.kd
    .uniform_work_group_size: 1
    .uses_dynamic_stack: false
    .vgpr_count:     332
    .vgpr_spill_count: 0
    .wavefront_size: 64
  - .agpr_count:     85
    .args:
      - .address_space:  global
        .offset:         0
        .size:           8
        .value_kind:     global_buffer
      - .offset:         8
        .size:           4
        .value_kind:     by_value
      - .offset:         12
        .size:           4
        .value_kind:     by_value
      - .offset:         16
        .size:           8
        .value_kind:     by_value
      - .address_space:  global
        .offset:         24
        .size:           8
        .value_kind:     global_buffer
      - .offset:         32
        .size:           4
        .value_kind:     by_value
      - .offset:         40
        .size:           8
        .value_kind:     by_value
      - .address_space:  global
        .offset:         48
        .size:           8
        .value_kind:     global_buffer
      - .offset:         56
        .size:           1
        .value_kind:     by_value
      - .offset:         57
        .size:           1
        .value_kind:     by_value
    .group_segment_fixed_size: 2024
    .kernarg_segment_align: 8
    .kernarg_segment_size: 60
    .language:       OpenCL C
    .language_version:
      - 2
      - 0
    .max_flat_workgroup_size: 64
    .name:           _ZN9rocsolver6v33100L18getri_kernel_smallILi31E19rocblas_complex_numIdEPKPS3_EEvT1_iilPiilS8_bb
    .private_segment_fixed_size: 512
    .sgpr_count:     30
    .sgpr_spill_count: 0
    .symbol:         _ZN9rocsolver6v33100L18getri_kernel_smallILi31E19rocblas_complex_numIdEPKPS3_EEvT1_iilPiilS8_bb.kd
    .uniform_work_group_size: 1
    .uses_dynamic_stack: false
    .vgpr_count:     341
    .vgpr_spill_count: 0
    .wavefront_size: 64
  - .agpr_count:     87
    .args:
      - .address_space:  global
        .offset:         0
        .size:           8
        .value_kind:     global_buffer
      - .offset:         8
        .size:           4
        .value_kind:     by_value
      - .offset:         12
        .size:           4
        .value_kind:     by_value
      - .offset:         16
        .size:           8
        .value_kind:     by_value
      - .address_space:  global
        .offset:         24
        .size:           8
        .value_kind:     global_buffer
      - .offset:         32
        .size:           4
        .value_kind:     by_value
      - .offset:         40
        .size:           8
        .value_kind:     by_value
      - .address_space:  global
        .offset:         48
        .size:           8
        .value_kind:     global_buffer
      - .offset:         56
        .size:           1
        .value_kind:     by_value
      - .offset:         57
        .size:           1
        .value_kind:     by_value
    .group_segment_fixed_size: 1032
    .kernarg_segment_align: 8
    .kernarg_segment_size: 60
    .language:       OpenCL C
    .language_version:
      - 2
      - 0
    .max_flat_workgroup_size: 64
    .name:           _ZN9rocsolver6v33100L18getri_kernel_smallILi32E19rocblas_complex_numIdEPKPS3_EEvT1_iilPiilS8_bb
    .private_segment_fixed_size: 544
    .sgpr_count:     28
    .sgpr_spill_count: 0
    .symbol:         _ZN9rocsolver6v33100L18getri_kernel_smallILi32E19rocblas_complex_numIdEPKPS3_EEvT1_iilPiilS8_bb.kd
    .uniform_work_group_size: 1
    .uses_dynamic_stack: false
    .vgpr_count:     343
    .vgpr_spill_count: 0
    .wavefront_size: 64
  - .agpr_count:     92
    .args:
      - .address_space:  global
        .offset:         0
        .size:           8
        .value_kind:     global_buffer
      - .offset:         8
        .size:           4
        .value_kind:     by_value
      - .offset:         12
        .size:           4
        .value_kind:     by_value
      - .offset:         16
        .size:           8
        .value_kind:     by_value
      - .address_space:  global
        .offset:         24
        .size:           8
        .value_kind:     global_buffer
      - .offset:         32
        .size:           4
        .value_kind:     by_value
      - .offset:         40
        .size:           8
        .value_kind:     by_value
      - .address_space:  global
        .offset:         48
        .size:           8
        .value_kind:     global_buffer
      - .offset:         56
        .size:           1
        .value_kind:     by_value
      - .offset:         57
        .size:           1
        .value_kind:     by_value
    .group_segment_fixed_size: 1064
    .kernarg_segment_align: 8
    .kernarg_segment_size: 60
    .language:       OpenCL C
    .language_version:
      - 2
      - 0
    .max_flat_workgroup_size: 64
    .name:           _ZN9rocsolver6v33100L18getri_kernel_smallILi33E19rocblas_complex_numIdEPKPS3_EEvT1_iilPiilS8_bb
    .private_segment_fixed_size: 560
    .sgpr_count:     28
    .sgpr_spill_count: 0
    .symbol:         _ZN9rocsolver6v33100L18getri_kernel_smallILi33E19rocblas_complex_numIdEPKPS3_EEvT1_iilPiilS8_bb.kd
    .uniform_work_group_size: 1
    .uses_dynamic_stack: false
    .vgpr_count:     348
    .vgpr_spill_count: 0
    .wavefront_size: 64
  - .agpr_count:     94
    .args:
      - .address_space:  global
        .offset:         0
        .size:           8
        .value_kind:     global_buffer
      - .offset:         8
        .size:           4
        .value_kind:     by_value
      - .offset:         12
        .size:           4
        .value_kind:     by_value
      - .offset:         16
        .size:           8
        .value_kind:     by_value
      - .address_space:  global
        .offset:         24
        .size:           8
        .value_kind:     global_buffer
      - .offset:         32
        .size:           4
        .value_kind:     by_value
      - .offset:         40
        .size:           8
        .value_kind:     by_value
      - .address_space:  global
        .offset:         48
        .size:           8
        .value_kind:     global_buffer
      - .offset:         56
        .size:           1
        .value_kind:     by_value
      - .offset:         57
        .size:           1
        .value_kind:     by_value
    .group_segment_fixed_size: 1096
    .kernarg_segment_align: 8
    .kernarg_segment_size: 60
    .language:       OpenCL C
    .language_version:
      - 2
      - 0
    .max_flat_workgroup_size: 64
    .name:           _ZN9rocsolver6v33100L18getri_kernel_smallILi34E19rocblas_complex_numIdEPKPS3_EEvT1_iilPiilS8_bb
    .private_segment_fixed_size: 576
    .sgpr_count:     28
    .sgpr_spill_count: 0
    .symbol:         _ZN9rocsolver6v33100L18getri_kernel_smallILi34E19rocblas_complex_numIdEPKPS3_EEvT1_iilPiilS8_bb.kd
    .uniform_work_group_size: 1
    .uses_dynamic_stack: false
    .vgpr_count:     350
    .vgpr_spill_count: 0
    .wavefront_size: 64
  - .agpr_count:     98
    .args:
      - .address_space:  global
        .offset:         0
        .size:           8
        .value_kind:     global_buffer
      - .offset:         8
        .size:           4
        .value_kind:     by_value
      - .offset:         12
        .size:           4
        .value_kind:     by_value
      - .offset:         16
        .size:           8
        .value_kind:     by_value
      - .address_space:  global
        .offset:         24
        .size:           8
        .value_kind:     global_buffer
      - .offset:         32
        .size:           4
        .value_kind:     by_value
      - .offset:         40
        .size:           8
        .value_kind:     by_value
      - .address_space:  global
        .offset:         48
        .size:           8
        .value_kind:     global_buffer
      - .offset:         56
        .size:           1
        .value_kind:     by_value
      - .offset:         57
        .size:           1
        .value_kind:     by_value
    .group_segment_fixed_size: 1128
    .kernarg_segment_align: 8
    .kernarg_segment_size: 60
    .language:       OpenCL C
    .language_version:
      - 2
      - 0
    .max_flat_workgroup_size: 64
    .name:           _ZN9rocsolver6v33100L18getri_kernel_smallILi35E19rocblas_complex_numIdEPKPS3_EEvT1_iilPiilS8_bb
    .private_segment_fixed_size: 592
    .sgpr_count:     28
    .sgpr_spill_count: 0
    .symbol:         _ZN9rocsolver6v33100L18getri_kernel_smallILi35E19rocblas_complex_numIdEPKPS3_EEvT1_iilPiilS8_bb.kd
    .uniform_work_group_size: 1
    .uses_dynamic_stack: false
    .vgpr_count:     354
    .vgpr_spill_count: 0
    .wavefront_size: 64
  - .agpr_count:     102
    .args:
      - .address_space:  global
        .offset:         0
        .size:           8
        .value_kind:     global_buffer
      - .offset:         8
        .size:           4
        .value_kind:     by_value
      - .offset:         12
        .size:           4
        .value_kind:     by_value
      - .offset:         16
        .size:           8
        .value_kind:     by_value
      - .address_space:  global
        .offset:         24
        .size:           8
        .value_kind:     global_buffer
      - .offset:         32
        .size:           4
        .value_kind:     by_value
      - .offset:         40
        .size:           8
        .value_kind:     by_value
      - .address_space:  global
        .offset:         48
        .size:           8
        .value_kind:     global_buffer
      - .offset:         56
        .size:           1
        .value_kind:     by_value
      - .offset:         57
        .size:           1
        .value_kind:     by_value
    .group_segment_fixed_size: 1160
    .kernarg_segment_align: 8
    .kernarg_segment_size: 60
    .language:       OpenCL C
    .language_version:
      - 2
      - 0
    .max_flat_workgroup_size: 64
    .name:           _ZN9rocsolver6v33100L18getri_kernel_smallILi36E19rocblas_complex_numIdEPKPS3_EEvT1_iilPiilS8_bb
    .private_segment_fixed_size: 608
    .sgpr_count:     28
    .sgpr_spill_count: 0
    .symbol:         _ZN9rocsolver6v33100L18getri_kernel_smallILi36E19rocblas_complex_numIdEPKPS3_EEvT1_iilPiilS8_bb.kd
    .uniform_work_group_size: 1
    .uses_dynamic_stack: false
    .vgpr_count:     358
    .vgpr_spill_count: 0
    .wavefront_size: 64
  - .agpr_count:     109
    .args:
      - .address_space:  global
        .offset:         0
        .size:           8
        .value_kind:     global_buffer
      - .offset:         8
        .size:           4
        .value_kind:     by_value
      - .offset:         12
        .size:           4
        .value_kind:     by_value
      - .offset:         16
        .size:           8
        .value_kind:     by_value
      - .address_space:  global
        .offset:         24
        .size:           8
        .value_kind:     global_buffer
      - .offset:         32
        .size:           4
        .value_kind:     by_value
      - .offset:         40
        .size:           8
        .value_kind:     by_value
      - .address_space:  global
        .offset:         48
        .size:           8
        .value_kind:     global_buffer
      - .offset:         56
        .size:           1
        .value_kind:     by_value
      - .offset:         57
        .size:           1
        .value_kind:     by_value
    .group_segment_fixed_size: 1192
    .kernarg_segment_align: 8
    .kernarg_segment_size: 60
    .language:       OpenCL C
    .language_version:
      - 2
      - 0
    .max_flat_workgroup_size: 64
    .name:           _ZN9rocsolver6v33100L18getri_kernel_smallILi37E19rocblas_complex_numIdEPKPS3_EEvT1_iilPiilS8_bb
    .private_segment_fixed_size: 624
    .sgpr_count:     28
    .sgpr_spill_count: 0
    .symbol:         _ZN9rocsolver6v33100L18getri_kernel_smallILi37E19rocblas_complex_numIdEPKPS3_EEvT1_iilPiilS8_bb.kd
    .uniform_work_group_size: 1
    .uses_dynamic_stack: false
    .vgpr_count:     365
    .vgpr_spill_count: 0
    .wavefront_size: 64
  - .agpr_count:     112
    .args:
      - .address_space:  global
        .offset:         0
        .size:           8
        .value_kind:     global_buffer
      - .offset:         8
        .size:           4
        .value_kind:     by_value
      - .offset:         12
        .size:           4
        .value_kind:     by_value
      - .offset:         16
        .size:           8
        .value_kind:     by_value
      - .address_space:  global
        .offset:         24
        .size:           8
        .value_kind:     global_buffer
      - .offset:         32
        .size:           4
        .value_kind:     by_value
      - .offset:         40
        .size:           8
        .value_kind:     by_value
      - .address_space:  global
        .offset:         48
        .size:           8
        .value_kind:     global_buffer
      - .offset:         56
        .size:           1
        .value_kind:     by_value
      - .offset:         57
        .size:           1
        .value_kind:     by_value
    .group_segment_fixed_size: 1224
    .kernarg_segment_align: 8
    .kernarg_segment_size: 60
    .language:       OpenCL C
    .language_version:
      - 2
      - 0
    .max_flat_workgroup_size: 64
    .name:           _ZN9rocsolver6v33100L18getri_kernel_smallILi38E19rocblas_complex_numIdEPKPS3_EEvT1_iilPiilS8_bb
    .private_segment_fixed_size: 640
    .sgpr_count:     28
    .sgpr_spill_count: 0
    .symbol:         _ZN9rocsolver6v33100L18getri_kernel_smallILi38E19rocblas_complex_numIdEPKPS3_EEvT1_iilPiilS8_bb.kd
    .uniform_work_group_size: 1
    .uses_dynamic_stack: false
    .vgpr_count:     368
    .vgpr_spill_count: 0
    .wavefront_size: 64
  - .agpr_count:     117
    .args:
      - .address_space:  global
        .offset:         0
        .size:           8
        .value_kind:     global_buffer
      - .offset:         8
        .size:           4
        .value_kind:     by_value
      - .offset:         12
        .size:           4
        .value_kind:     by_value
      - .offset:         16
        .size:           8
        .value_kind:     by_value
      - .address_space:  global
        .offset:         24
        .size:           8
        .value_kind:     global_buffer
      - .offset:         32
        .size:           4
        .value_kind:     by_value
      - .offset:         40
        .size:           8
        .value_kind:     by_value
      - .address_space:  global
        .offset:         48
        .size:           8
        .value_kind:     global_buffer
      - .offset:         56
        .size:           1
        .value_kind:     by_value
      - .offset:         57
        .size:           1
        .value_kind:     by_value
    .group_segment_fixed_size: 1256
    .kernarg_segment_align: 8
    .kernarg_segment_size: 60
    .language:       OpenCL C
    .language_version:
      - 2
      - 0
    .max_flat_workgroup_size: 64
    .name:           _ZN9rocsolver6v33100L18getri_kernel_smallILi39E19rocblas_complex_numIdEPKPS3_EEvT1_iilPiilS8_bb
    .private_segment_fixed_size: 656
    .sgpr_count:     28
    .sgpr_spill_count: 0
    .symbol:         _ZN9rocsolver6v33100L18getri_kernel_smallILi39E19rocblas_complex_numIdEPKPS3_EEvT1_iilPiilS8_bb.kd
    .uniform_work_group_size: 1
    .uses_dynamic_stack: false
    .vgpr_count:     373
    .vgpr_spill_count: 0
    .wavefront_size: 64
  - .agpr_count:     124
    .args:
      - .address_space:  global
        .offset:         0
        .size:           8
        .value_kind:     global_buffer
      - .offset:         8
        .size:           4
        .value_kind:     by_value
      - .offset:         12
        .size:           4
        .value_kind:     by_value
      - .offset:         16
        .size:           8
        .value_kind:     by_value
      - .address_space:  global
        .offset:         24
        .size:           8
        .value_kind:     global_buffer
      - .offset:         32
        .size:           4
        .value_kind:     by_value
      - .offset:         40
        .size:           8
        .value_kind:     by_value
      - .address_space:  global
        .offset:         48
        .size:           8
        .value_kind:     global_buffer
      - .offset:         56
        .size:           1
        .value_kind:     by_value
      - .offset:         57
        .size:           1
        .value_kind:     by_value
    .group_segment_fixed_size: 1288
    .kernarg_segment_align: 8
    .kernarg_segment_size: 60
    .language:       OpenCL C
    .language_version:
      - 2
      - 0
    .max_flat_workgroup_size: 64
    .name:           _ZN9rocsolver6v33100L18getri_kernel_smallILi40E19rocblas_complex_numIdEPKPS3_EEvT1_iilPiilS8_bb
    .private_segment_fixed_size: 672
    .sgpr_count:     28
    .sgpr_spill_count: 0
    .symbol:         _ZN9rocsolver6v33100L18getri_kernel_smallILi40E19rocblas_complex_numIdEPKPS3_EEvT1_iilPiilS8_bb.kd
    .uniform_work_group_size: 1
    .uses_dynamic_stack: false
    .vgpr_count:     380
    .vgpr_spill_count: 0
    .wavefront_size: 64
  - .agpr_count:     126
    .args:
      - .address_space:  global
        .offset:         0
        .size:           8
        .value_kind:     global_buffer
      - .offset:         8
        .size:           4
        .value_kind:     by_value
      - .offset:         12
        .size:           4
        .value_kind:     by_value
      - .offset:         16
        .size:           8
        .value_kind:     by_value
      - .address_space:  global
        .offset:         24
        .size:           8
        .value_kind:     global_buffer
      - .offset:         32
        .size:           4
        .value_kind:     by_value
      - .offset:         40
        .size:           8
        .value_kind:     by_value
      - .address_space:  global
        .offset:         48
        .size:           8
        .value_kind:     global_buffer
      - .offset:         56
        .size:           1
        .value_kind:     by_value
      - .offset:         57
        .size:           1
        .value_kind:     by_value
    .group_segment_fixed_size: 1320
    .kernarg_segment_align: 8
    .kernarg_segment_size: 60
    .language:       OpenCL C
    .language_version:
      - 2
      - 0
    .max_flat_workgroup_size: 64
    .name:           _ZN9rocsolver6v33100L18getri_kernel_smallILi41E19rocblas_complex_numIdEPKPS3_EEvT1_iilPiilS8_bb
    .private_segment_fixed_size: 688
    .sgpr_count:     28
    .sgpr_spill_count: 0
    .symbol:         _ZN9rocsolver6v33100L18getri_kernel_smallILi41E19rocblas_complex_numIdEPKPS3_EEvT1_iilPiilS8_bb.kd
    .uniform_work_group_size: 1
    .uses_dynamic_stack: false
    .vgpr_count:     382
    .vgpr_spill_count: 0
    .wavefront_size: 64
  - .agpr_count:     136
    .args:
      - .address_space:  global
        .offset:         0
        .size:           8
        .value_kind:     global_buffer
      - .offset:         8
        .size:           4
        .value_kind:     by_value
      - .offset:         12
        .size:           4
        .value_kind:     by_value
      - .offset:         16
        .size:           8
        .value_kind:     by_value
      - .address_space:  global
        .offset:         24
        .size:           8
        .value_kind:     global_buffer
      - .offset:         32
        .size:           4
        .value_kind:     by_value
      - .offset:         40
        .size:           8
        .value_kind:     by_value
      - .address_space:  global
        .offset:         48
        .size:           8
        .value_kind:     global_buffer
      - .offset:         56
        .size:           1
        .value_kind:     by_value
      - .offset:         57
        .size:           1
        .value_kind:     by_value
    .group_segment_fixed_size: 1352
    .kernarg_segment_align: 8
    .kernarg_segment_size: 60
    .language:       OpenCL C
    .language_version:
      - 2
      - 0
    .max_flat_workgroup_size: 64
    .name:           _ZN9rocsolver6v33100L18getri_kernel_smallILi42E19rocblas_complex_numIdEPKPS3_EEvT1_iilPiilS8_bb
    .private_segment_fixed_size: 704
    .sgpr_count:     28
    .sgpr_spill_count: 0
    .symbol:         _ZN9rocsolver6v33100L18getri_kernel_smallILi42E19rocblas_complex_numIdEPKPS3_EEvT1_iilPiilS8_bb.kd
    .uniform_work_group_size: 1
    .uses_dynamic_stack: false
    .vgpr_count:     392
    .vgpr_spill_count: 0
    .wavefront_size: 64
  - .agpr_count:     136
    .args:
      - .address_space:  global
        .offset:         0
        .size:           8
        .value_kind:     global_buffer
      - .offset:         8
        .size:           4
        .value_kind:     by_value
      - .offset:         12
        .size:           4
        .value_kind:     by_value
      - .offset:         16
        .size:           8
        .value_kind:     by_value
      - .address_space:  global
        .offset:         24
        .size:           8
        .value_kind:     global_buffer
      - .offset:         32
        .size:           4
        .value_kind:     by_value
      - .offset:         40
        .size:           8
        .value_kind:     by_value
      - .address_space:  global
        .offset:         48
        .size:           8
        .value_kind:     global_buffer
      - .offset:         56
        .size:           1
        .value_kind:     by_value
      - .offset:         57
        .size:           1
        .value_kind:     by_value
    .group_segment_fixed_size: 1384
    .kernarg_segment_align: 8
    .kernarg_segment_size: 60
    .language:       OpenCL C
    .language_version:
      - 2
      - 0
    .max_flat_workgroup_size: 64
    .name:           _ZN9rocsolver6v33100L18getri_kernel_smallILi43E19rocblas_complex_numIdEPKPS3_EEvT1_iilPiilS8_bb
    .private_segment_fixed_size: 720
    .sgpr_count:     28
    .sgpr_spill_count: 0
    .symbol:         _ZN9rocsolver6v33100L18getri_kernel_smallILi43E19rocblas_complex_numIdEPKPS3_EEvT1_iilPiilS8_bb.kd
    .uniform_work_group_size: 1
    .uses_dynamic_stack: false
    .vgpr_count:     392
    .vgpr_spill_count: 0
    .wavefront_size: 64
  - .agpr_count:     142
    .args:
      - .address_space:  global
        .offset:         0
        .size:           8
        .value_kind:     global_buffer
      - .offset:         8
        .size:           4
        .value_kind:     by_value
      - .offset:         12
        .size:           4
        .value_kind:     by_value
      - .offset:         16
        .size:           8
        .value_kind:     by_value
      - .address_space:  global
        .offset:         24
        .size:           8
        .value_kind:     global_buffer
      - .offset:         32
        .size:           4
        .value_kind:     by_value
      - .offset:         40
        .size:           8
        .value_kind:     by_value
      - .address_space:  global
        .offset:         48
        .size:           8
        .value_kind:     global_buffer
      - .offset:         56
        .size:           1
        .value_kind:     by_value
      - .offset:         57
        .size:           1
        .value_kind:     by_value
    .group_segment_fixed_size: 1416
    .kernarg_segment_align: 8
    .kernarg_segment_size: 60
    .language:       OpenCL C
    .language_version:
      - 2
      - 0
    .max_flat_workgroup_size: 64
    .name:           _ZN9rocsolver6v33100L18getri_kernel_smallILi44E19rocblas_complex_numIdEPKPS3_EEvT1_iilPiilS8_bb
    .private_segment_fixed_size: 736
    .sgpr_count:     28
    .sgpr_spill_count: 0
    .symbol:         _ZN9rocsolver6v33100L18getri_kernel_smallILi44E19rocblas_complex_numIdEPKPS3_EEvT1_iilPiilS8_bb.kd
    .uniform_work_group_size: 1
    .uses_dynamic_stack: false
    .vgpr_count:     398
    .vgpr_spill_count: 0
    .wavefront_size: 64
  - .agpr_count:     154
    .args:
      - .address_space:  global
        .offset:         0
        .size:           8
        .value_kind:     global_buffer
      - .offset:         8
        .size:           4
        .value_kind:     by_value
      - .offset:         12
        .size:           4
        .value_kind:     by_value
      - .offset:         16
        .size:           8
        .value_kind:     by_value
      - .address_space:  global
        .offset:         24
        .size:           8
        .value_kind:     global_buffer
      - .offset:         32
        .size:           4
        .value_kind:     by_value
      - .offset:         40
        .size:           8
        .value_kind:     by_value
      - .address_space:  global
        .offset:         48
        .size:           8
        .value_kind:     global_buffer
      - .offset:         56
        .size:           1
        .value_kind:     by_value
      - .offset:         57
        .size:           1
        .value_kind:     by_value
    .group_segment_fixed_size: 1448
    .kernarg_segment_align: 8
    .kernarg_segment_size: 60
    .language:       OpenCL C
    .language_version:
      - 2
      - 0
    .max_flat_workgroup_size: 64
    .name:           _ZN9rocsolver6v33100L18getri_kernel_smallILi45E19rocblas_complex_numIdEPKPS3_EEvT1_iilPiilS8_bb
    .private_segment_fixed_size: 752
    .sgpr_count:     28
    .sgpr_spill_count: 0
    .symbol:         _ZN9rocsolver6v33100L18getri_kernel_smallILi45E19rocblas_complex_numIdEPKPS3_EEvT1_iilPiilS8_bb.kd
    .uniform_work_group_size: 1
    .uses_dynamic_stack: false
    .vgpr_count:     410
    .vgpr_spill_count: 0
    .wavefront_size: 64
  - .agpr_count:     154
    .args:
      - .address_space:  global
        .offset:         0
        .size:           8
        .value_kind:     global_buffer
      - .offset:         8
        .size:           4
        .value_kind:     by_value
      - .offset:         12
        .size:           4
        .value_kind:     by_value
      - .offset:         16
        .size:           8
        .value_kind:     by_value
      - .address_space:  global
        .offset:         24
        .size:           8
        .value_kind:     global_buffer
      - .offset:         32
        .size:           4
        .value_kind:     by_value
      - .offset:         40
        .size:           8
        .value_kind:     by_value
      - .address_space:  global
        .offset:         48
        .size:           8
        .value_kind:     global_buffer
      - .offset:         56
        .size:           1
        .value_kind:     by_value
      - .offset:         57
        .size:           1
        .value_kind:     by_value
    .group_segment_fixed_size: 1480
    .kernarg_segment_align: 8
    .kernarg_segment_size: 60
    .language:       OpenCL C
    .language_version:
      - 2
      - 0
    .max_flat_workgroup_size: 64
    .name:           _ZN9rocsolver6v33100L18getri_kernel_smallILi46E19rocblas_complex_numIdEPKPS3_EEvT1_iilPiilS8_bb
    .private_segment_fixed_size: 768
    .sgpr_count:     28
    .sgpr_spill_count: 0
    .symbol:         _ZN9rocsolver6v33100L18getri_kernel_smallILi46E19rocblas_complex_numIdEPKPS3_EEvT1_iilPiilS8_bb.kd
    .uniform_work_group_size: 1
    .uses_dynamic_stack: false
    .vgpr_count:     410
    .vgpr_spill_count: 0
    .wavefront_size: 64
  - .agpr_count:     160
    .args:
      - .address_space:  global
        .offset:         0
        .size:           8
        .value_kind:     global_buffer
      - .offset:         8
        .size:           4
        .value_kind:     by_value
      - .offset:         12
        .size:           4
        .value_kind:     by_value
      - .offset:         16
        .size:           8
        .value_kind:     by_value
      - .address_space:  global
        .offset:         24
        .size:           8
        .value_kind:     global_buffer
      - .offset:         32
        .size:           4
        .value_kind:     by_value
      - .offset:         40
        .size:           8
        .value_kind:     by_value
      - .address_space:  global
        .offset:         48
        .size:           8
        .value_kind:     global_buffer
      - .offset:         56
        .size:           1
        .value_kind:     by_value
      - .offset:         57
        .size:           1
        .value_kind:     by_value
    .group_segment_fixed_size: 1512
    .kernarg_segment_align: 8
    .kernarg_segment_size: 60
    .language:       OpenCL C
    .language_version:
      - 2
      - 0
    .max_flat_workgroup_size: 64
    .name:           _ZN9rocsolver6v33100L18getri_kernel_smallILi47E19rocblas_complex_numIdEPKPS3_EEvT1_iilPiilS8_bb
    .private_segment_fixed_size: 784
    .sgpr_count:     28
    .sgpr_spill_count: 0
    .symbol:         _ZN9rocsolver6v33100L18getri_kernel_smallILi47E19rocblas_complex_numIdEPKPS3_EEvT1_iilPiilS8_bb.kd
    .uniform_work_group_size: 1
    .uses_dynamic_stack: false
    .vgpr_count:     416
    .vgpr_spill_count: 0
    .wavefront_size: 64
  - .agpr_count:     166
    .args:
      - .address_space:  global
        .offset:         0
        .size:           8
        .value_kind:     global_buffer
      - .offset:         8
        .size:           4
        .value_kind:     by_value
      - .offset:         12
        .size:           4
        .value_kind:     by_value
      - .offset:         16
        .size:           8
        .value_kind:     by_value
      - .address_space:  global
        .offset:         24
        .size:           8
        .value_kind:     global_buffer
      - .offset:         32
        .size:           4
        .value_kind:     by_value
      - .offset:         40
        .size:           8
        .value_kind:     by_value
      - .address_space:  global
        .offset:         48
        .size:           8
        .value_kind:     global_buffer
      - .offset:         56
        .size:           1
        .value_kind:     by_value
      - .offset:         57
        .size:           1
        .value_kind:     by_value
    .group_segment_fixed_size: 1544
    .kernarg_segment_align: 8
    .kernarg_segment_size: 60
    .language:       OpenCL C
    .language_version:
      - 2
      - 0
    .max_flat_workgroup_size: 64
    .name:           _ZN9rocsolver6v33100L18getri_kernel_smallILi48E19rocblas_complex_numIdEPKPS3_EEvT1_iilPiilS8_bb
    .private_segment_fixed_size: 800
    .sgpr_count:     28
    .sgpr_spill_count: 0
    .symbol:         _ZN9rocsolver6v33100L18getri_kernel_smallILi48E19rocblas_complex_numIdEPKPS3_EEvT1_iilPiilS8_bb.kd
    .uniform_work_group_size: 1
    .uses_dynamic_stack: false
    .vgpr_count:     422
    .vgpr_spill_count: 0
    .wavefront_size: 64
  - .agpr_count:     166
    .args:
      - .address_space:  global
        .offset:         0
        .size:           8
        .value_kind:     global_buffer
      - .offset:         8
        .size:           4
        .value_kind:     by_value
      - .offset:         12
        .size:           4
        .value_kind:     by_value
      - .offset:         16
        .size:           8
        .value_kind:     by_value
      - .address_space:  global
        .offset:         24
        .size:           8
        .value_kind:     global_buffer
      - .offset:         32
        .size:           4
        .value_kind:     by_value
      - .offset:         40
        .size:           8
        .value_kind:     by_value
      - .address_space:  global
        .offset:         48
        .size:           8
        .value_kind:     global_buffer
      - .offset:         56
        .size:           1
        .value_kind:     by_value
      - .offset:         57
        .size:           1
        .value_kind:     by_value
    .group_segment_fixed_size: 1576
    .kernarg_segment_align: 8
    .kernarg_segment_size: 60
    .language:       OpenCL C
    .language_version:
      - 2
      - 0
    .max_flat_workgroup_size: 64
    .name:           _ZN9rocsolver6v33100L18getri_kernel_smallILi49E19rocblas_complex_numIdEPKPS3_EEvT1_iilPiilS8_bb
    .private_segment_fixed_size: 816
    .sgpr_count:     28
    .sgpr_spill_count: 0
    .symbol:         _ZN9rocsolver6v33100L18getri_kernel_smallILi49E19rocblas_complex_numIdEPKPS3_EEvT1_iilPiilS8_bb.kd
    .uniform_work_group_size: 1
    .uses_dynamic_stack: false
    .vgpr_count:     422
    .vgpr_spill_count: 0
    .wavefront_size: 64
  - .agpr_count:     170
    .args:
      - .address_space:  global
        .offset:         0
        .size:           8
        .value_kind:     global_buffer
      - .offset:         8
        .size:           4
        .value_kind:     by_value
      - .offset:         12
        .size:           4
        .value_kind:     by_value
      - .offset:         16
        .size:           8
        .value_kind:     by_value
      - .address_space:  global
        .offset:         24
        .size:           8
        .value_kind:     global_buffer
      - .offset:         32
        .size:           4
        .value_kind:     by_value
      - .offset:         40
        .size:           8
        .value_kind:     by_value
      - .address_space:  global
        .offset:         48
        .size:           8
        .value_kind:     global_buffer
      - .offset:         56
        .size:           1
        .value_kind:     by_value
      - .offset:         57
        .size:           1
        .value_kind:     by_value
    .group_segment_fixed_size: 1608
    .kernarg_segment_align: 8
    .kernarg_segment_size: 60
    .language:       OpenCL C
    .language_version:
      - 2
      - 0
    .max_flat_workgroup_size: 64
    .name:           _ZN9rocsolver6v33100L18getri_kernel_smallILi50E19rocblas_complex_numIdEPKPS3_EEvT1_iilPiilS8_bb
    .private_segment_fixed_size: 832
    .sgpr_count:     28
    .sgpr_spill_count: 0
    .symbol:         _ZN9rocsolver6v33100L18getri_kernel_smallILi50E19rocblas_complex_numIdEPKPS3_EEvT1_iilPiilS8_bb.kd
    .uniform_work_group_size: 1
    .uses_dynamic_stack: false
    .vgpr_count:     426
    .vgpr_spill_count: 0
    .wavefront_size: 64
  - .agpr_count:     176
    .args:
      - .address_space:  global
        .offset:         0
        .size:           8
        .value_kind:     global_buffer
      - .offset:         8
        .size:           4
        .value_kind:     by_value
      - .offset:         12
        .size:           4
        .value_kind:     by_value
      - .offset:         16
        .size:           8
        .value_kind:     by_value
      - .address_space:  global
        .offset:         24
        .size:           8
        .value_kind:     global_buffer
      - .offset:         32
        .size:           4
        .value_kind:     by_value
      - .offset:         40
        .size:           8
        .value_kind:     by_value
      - .address_space:  global
        .offset:         48
        .size:           8
        .value_kind:     global_buffer
      - .offset:         56
        .size:           1
        .value_kind:     by_value
      - .offset:         57
        .size:           1
        .value_kind:     by_value
    .group_segment_fixed_size: 1640
    .kernarg_segment_align: 8
    .kernarg_segment_size: 60
    .language:       OpenCL C
    .language_version:
      - 2
      - 0
    .max_flat_workgroup_size: 64
    .name:           _ZN9rocsolver6v33100L18getri_kernel_smallILi51E19rocblas_complex_numIdEPKPS3_EEvT1_iilPiilS8_bb
    .private_segment_fixed_size: 848
    .sgpr_count:     28
    .sgpr_spill_count: 0
    .symbol:         _ZN9rocsolver6v33100L18getri_kernel_smallILi51E19rocblas_complex_numIdEPKPS3_EEvT1_iilPiilS8_bb.kd
    .uniform_work_group_size: 1
    .uses_dynamic_stack: false
    .vgpr_count:     432
    .vgpr_spill_count: 0
    .wavefront_size: 64
  - .agpr_count:     182
    .args:
      - .address_space:  global
        .offset:         0
        .size:           8
        .value_kind:     global_buffer
      - .offset:         8
        .size:           4
        .value_kind:     by_value
      - .offset:         12
        .size:           4
        .value_kind:     by_value
      - .offset:         16
        .size:           8
        .value_kind:     by_value
      - .address_space:  global
        .offset:         24
        .size:           8
        .value_kind:     global_buffer
      - .offset:         32
        .size:           4
        .value_kind:     by_value
      - .offset:         40
        .size:           8
        .value_kind:     by_value
      - .address_space:  global
        .offset:         48
        .size:           8
        .value_kind:     global_buffer
      - .offset:         56
        .size:           1
        .value_kind:     by_value
      - .offset:         57
        .size:           1
        .value_kind:     by_value
    .group_segment_fixed_size: 1672
    .kernarg_segment_align: 8
    .kernarg_segment_size: 60
    .language:       OpenCL C
    .language_version:
      - 2
      - 0
    .max_flat_workgroup_size: 64
    .name:           _ZN9rocsolver6v33100L18getri_kernel_smallILi52E19rocblas_complex_numIdEPKPS3_EEvT1_iilPiilS8_bb
    .private_segment_fixed_size: 864
    .sgpr_count:     28
    .sgpr_spill_count: 0
    .symbol:         _ZN9rocsolver6v33100L18getri_kernel_smallILi52E19rocblas_complex_numIdEPKPS3_EEvT1_iilPiilS8_bb.kd
    .uniform_work_group_size: 1
    .uses_dynamic_stack: false
    .vgpr_count:     438
    .vgpr_spill_count: 0
    .wavefront_size: 64
  - .agpr_count:     186
    .args:
      - .address_space:  global
        .offset:         0
        .size:           8
        .value_kind:     global_buffer
      - .offset:         8
        .size:           4
        .value_kind:     by_value
      - .offset:         12
        .size:           4
        .value_kind:     by_value
      - .offset:         16
        .size:           8
        .value_kind:     by_value
      - .address_space:  global
        .offset:         24
        .size:           8
        .value_kind:     global_buffer
      - .offset:         32
        .size:           4
        .value_kind:     by_value
      - .offset:         40
        .size:           8
        .value_kind:     by_value
      - .address_space:  global
        .offset:         48
        .size:           8
        .value_kind:     global_buffer
      - .offset:         56
        .size:           1
        .value_kind:     by_value
      - .offset:         57
        .size:           1
        .value_kind:     by_value
    .group_segment_fixed_size: 1704
    .kernarg_segment_align: 8
    .kernarg_segment_size: 60
    .language:       OpenCL C
    .language_version:
      - 2
      - 0
    .max_flat_workgroup_size: 64
    .name:           _ZN9rocsolver6v33100L18getri_kernel_smallILi53E19rocblas_complex_numIdEPKPS3_EEvT1_iilPiilS8_bb
    .private_segment_fixed_size: 880
    .sgpr_count:     28
    .sgpr_spill_count: 0
    .symbol:         _ZN9rocsolver6v33100L18getri_kernel_smallILi53E19rocblas_complex_numIdEPKPS3_EEvT1_iilPiilS8_bb.kd
    .uniform_work_group_size: 1
    .uses_dynamic_stack: false
    .vgpr_count:     442
    .vgpr_spill_count: 0
    .wavefront_size: 64
  - .agpr_count:     192
    .args:
      - .address_space:  global
        .offset:         0
        .size:           8
        .value_kind:     global_buffer
      - .offset:         8
        .size:           4
        .value_kind:     by_value
      - .offset:         12
        .size:           4
        .value_kind:     by_value
      - .offset:         16
        .size:           8
        .value_kind:     by_value
      - .address_space:  global
        .offset:         24
        .size:           8
        .value_kind:     global_buffer
      - .offset:         32
        .size:           4
        .value_kind:     by_value
      - .offset:         40
        .size:           8
        .value_kind:     by_value
      - .address_space:  global
        .offset:         48
        .size:           8
        .value_kind:     global_buffer
      - .offset:         56
        .size:           1
        .value_kind:     by_value
      - .offset:         57
        .size:           1
        .value_kind:     by_value
    .group_segment_fixed_size: 1736
    .kernarg_segment_align: 8
    .kernarg_segment_size: 60
    .language:       OpenCL C
    .language_version:
      - 2
      - 0
    .max_flat_workgroup_size: 64
    .name:           _ZN9rocsolver6v33100L18getri_kernel_smallILi54E19rocblas_complex_numIdEPKPS3_EEvT1_iilPiilS8_bb
    .private_segment_fixed_size: 896
    .sgpr_count:     28
    .sgpr_spill_count: 0
    .symbol:         _ZN9rocsolver6v33100L18getri_kernel_smallILi54E19rocblas_complex_numIdEPKPS3_EEvT1_iilPiilS8_bb.kd
    .uniform_work_group_size: 1
    .uses_dynamic_stack: false
    .vgpr_count:     448
    .vgpr_spill_count: 0
    .wavefront_size: 64
  - .agpr_count:     200
    .args:
      - .address_space:  global
        .offset:         0
        .size:           8
        .value_kind:     global_buffer
      - .offset:         8
        .size:           4
        .value_kind:     by_value
      - .offset:         12
        .size:           4
        .value_kind:     by_value
      - .offset:         16
        .size:           8
        .value_kind:     by_value
      - .address_space:  global
        .offset:         24
        .size:           8
        .value_kind:     global_buffer
      - .offset:         32
        .size:           4
        .value_kind:     by_value
      - .offset:         40
        .size:           8
        .value_kind:     by_value
      - .address_space:  global
        .offset:         48
        .size:           8
        .value_kind:     global_buffer
      - .offset:         56
        .size:           1
        .value_kind:     by_value
      - .offset:         57
        .size:           1
        .value_kind:     by_value
    .group_segment_fixed_size: 1768
    .kernarg_segment_align: 8
    .kernarg_segment_size: 60
    .language:       OpenCL C
    .language_version:
      - 2
      - 0
    .max_flat_workgroup_size: 64
    .name:           _ZN9rocsolver6v33100L18getri_kernel_smallILi55E19rocblas_complex_numIdEPKPS3_EEvT1_iilPiilS8_bb
    .private_segment_fixed_size: 912
    .sgpr_count:     28
    .sgpr_spill_count: 0
    .symbol:         _ZN9rocsolver6v33100L18getri_kernel_smallILi55E19rocblas_complex_numIdEPKPS3_EEvT1_iilPiilS8_bb.kd
    .uniform_work_group_size: 1
    .uses_dynamic_stack: false
    .vgpr_count:     456
    .vgpr_spill_count: 0
    .wavefront_size: 64
  - .agpr_count:     206
    .args:
      - .address_space:  global
        .offset:         0
        .size:           8
        .value_kind:     global_buffer
      - .offset:         8
        .size:           4
        .value_kind:     by_value
      - .offset:         12
        .size:           4
        .value_kind:     by_value
      - .offset:         16
        .size:           8
        .value_kind:     by_value
      - .address_space:  global
        .offset:         24
        .size:           8
        .value_kind:     global_buffer
      - .offset:         32
        .size:           4
        .value_kind:     by_value
      - .offset:         40
        .size:           8
        .value_kind:     by_value
      - .address_space:  global
        .offset:         48
        .size:           8
        .value_kind:     global_buffer
      - .offset:         56
        .size:           1
        .value_kind:     by_value
      - .offset:         57
        .size:           1
        .value_kind:     by_value
    .group_segment_fixed_size: 1800
    .kernarg_segment_align: 8
    .kernarg_segment_size: 60
    .language:       OpenCL C
    .language_version:
      - 2
      - 0
    .max_flat_workgroup_size: 64
    .name:           _ZN9rocsolver6v33100L18getri_kernel_smallILi56E19rocblas_complex_numIdEPKPS3_EEvT1_iilPiilS8_bb
    .private_segment_fixed_size: 928
    .sgpr_count:     28
    .sgpr_spill_count: 0
    .symbol:         _ZN9rocsolver6v33100L18getri_kernel_smallILi56E19rocblas_complex_numIdEPKPS3_EEvT1_iilPiilS8_bb.kd
    .uniform_work_group_size: 1
    .uses_dynamic_stack: false
    .vgpr_count:     462
    .vgpr_spill_count: 0
    .wavefront_size: 64
  - .agpr_count:     210
    .args:
      - .address_space:  global
        .offset:         0
        .size:           8
        .value_kind:     global_buffer
      - .offset:         8
        .size:           4
        .value_kind:     by_value
      - .offset:         12
        .size:           4
        .value_kind:     by_value
      - .offset:         16
        .size:           8
        .value_kind:     by_value
      - .address_space:  global
        .offset:         24
        .size:           8
        .value_kind:     global_buffer
      - .offset:         32
        .size:           4
        .value_kind:     by_value
      - .offset:         40
        .size:           8
        .value_kind:     by_value
      - .address_space:  global
        .offset:         48
        .size:           8
        .value_kind:     global_buffer
      - .offset:         56
        .size:           1
        .value_kind:     by_value
      - .offset:         57
        .size:           1
        .value_kind:     by_value
    .group_segment_fixed_size: 1832
    .kernarg_segment_align: 8
    .kernarg_segment_size: 60
    .language:       OpenCL C
    .language_version:
      - 2
      - 0
    .max_flat_workgroup_size: 64
    .name:           _ZN9rocsolver6v33100L18getri_kernel_smallILi57E19rocblas_complex_numIdEPKPS3_EEvT1_iilPiilS8_bb
    .private_segment_fixed_size: 944
    .sgpr_count:     28
    .sgpr_spill_count: 0
    .symbol:         _ZN9rocsolver6v33100L18getri_kernel_smallILi57E19rocblas_complex_numIdEPKPS3_EEvT1_iilPiilS8_bb.kd
    .uniform_work_group_size: 1
    .uses_dynamic_stack: false
    .vgpr_count:     466
    .vgpr_spill_count: 0
    .wavefront_size: 64
  - .agpr_count:     216
    .args:
      - .address_space:  global
        .offset:         0
        .size:           8
        .value_kind:     global_buffer
      - .offset:         8
        .size:           4
        .value_kind:     by_value
      - .offset:         12
        .size:           4
        .value_kind:     by_value
      - .offset:         16
        .size:           8
        .value_kind:     by_value
      - .address_space:  global
        .offset:         24
        .size:           8
        .value_kind:     global_buffer
      - .offset:         32
        .size:           4
        .value_kind:     by_value
      - .offset:         40
        .size:           8
        .value_kind:     by_value
      - .address_space:  global
        .offset:         48
        .size:           8
        .value_kind:     global_buffer
      - .offset:         56
        .size:           1
        .value_kind:     by_value
      - .offset:         57
        .size:           1
        .value_kind:     by_value
    .group_segment_fixed_size: 1864
    .kernarg_segment_align: 8
    .kernarg_segment_size: 60
    .language:       OpenCL C
    .language_version:
      - 2
      - 0
    .max_flat_workgroup_size: 64
    .name:           _ZN9rocsolver6v33100L18getri_kernel_smallILi58E19rocblas_complex_numIdEPKPS3_EEvT1_iilPiilS8_bb
    .private_segment_fixed_size: 960
    .sgpr_count:     28
    .sgpr_spill_count: 0
    .symbol:         _ZN9rocsolver6v33100L18getri_kernel_smallILi58E19rocblas_complex_numIdEPKPS3_EEvT1_iilPiilS8_bb.kd
    .uniform_work_group_size: 1
    .uses_dynamic_stack: false
    .vgpr_count:     472
    .vgpr_spill_count: 0
    .wavefront_size: 64
  - .agpr_count:     228
    .args:
      - .address_space:  global
        .offset:         0
        .size:           8
        .value_kind:     global_buffer
      - .offset:         8
        .size:           4
        .value_kind:     by_value
      - .offset:         12
        .size:           4
        .value_kind:     by_value
      - .offset:         16
        .size:           8
        .value_kind:     by_value
      - .address_space:  global
        .offset:         24
        .size:           8
        .value_kind:     global_buffer
      - .offset:         32
        .size:           4
        .value_kind:     by_value
      - .offset:         40
        .size:           8
        .value_kind:     by_value
      - .address_space:  global
        .offset:         48
        .size:           8
        .value_kind:     global_buffer
      - .offset:         56
        .size:           1
        .value_kind:     by_value
      - .offset:         57
        .size:           1
        .value_kind:     by_value
    .group_segment_fixed_size: 1896
    .kernarg_segment_align: 8
    .kernarg_segment_size: 60
    .language:       OpenCL C
    .language_version:
      - 2
      - 0
    .max_flat_workgroup_size: 64
    .name:           _ZN9rocsolver6v33100L18getri_kernel_smallILi59E19rocblas_complex_numIdEPKPS3_EEvT1_iilPiilS8_bb
    .private_segment_fixed_size: 976
    .sgpr_count:     28
    .sgpr_spill_count: 0
    .symbol:         _ZN9rocsolver6v33100L18getri_kernel_smallILi59E19rocblas_complex_numIdEPKPS3_EEvT1_iilPiilS8_bb.kd
    .uniform_work_group_size: 1
    .uses_dynamic_stack: false
    .vgpr_count:     484
    .vgpr_spill_count: 0
    .wavefront_size: 64
  - .agpr_count:     228
    .args:
      - .address_space:  global
        .offset:         0
        .size:           8
        .value_kind:     global_buffer
      - .offset:         8
        .size:           4
        .value_kind:     by_value
      - .offset:         12
        .size:           4
        .value_kind:     by_value
      - .offset:         16
        .size:           8
        .value_kind:     by_value
      - .address_space:  global
        .offset:         24
        .size:           8
        .value_kind:     global_buffer
      - .offset:         32
        .size:           4
        .value_kind:     by_value
      - .offset:         40
        .size:           8
        .value_kind:     by_value
      - .address_space:  global
        .offset:         48
        .size:           8
        .value_kind:     global_buffer
      - .offset:         56
        .size:           1
        .value_kind:     by_value
      - .offset:         57
        .size:           1
        .value_kind:     by_value
    .group_segment_fixed_size: 1928
    .kernarg_segment_align: 8
    .kernarg_segment_size: 60
    .language:       OpenCL C
    .language_version:
      - 2
      - 0
    .max_flat_workgroup_size: 64
    .name:           _ZN9rocsolver6v33100L18getri_kernel_smallILi60E19rocblas_complex_numIdEPKPS3_EEvT1_iilPiilS8_bb
    .private_segment_fixed_size: 992
    .sgpr_count:     28
    .sgpr_spill_count: 0
    .symbol:         _ZN9rocsolver6v33100L18getri_kernel_smallILi60E19rocblas_complex_numIdEPKPS3_EEvT1_iilPiilS8_bb.kd
    .uniform_work_group_size: 1
    .uses_dynamic_stack: false
    .vgpr_count:     484
    .vgpr_spill_count: 0
    .wavefront_size: 64
  - .agpr_count:     233
    .args:
      - .address_space:  global
        .offset:         0
        .size:           8
        .value_kind:     global_buffer
      - .offset:         8
        .size:           4
        .value_kind:     by_value
      - .offset:         12
        .size:           4
        .value_kind:     by_value
      - .offset:         16
        .size:           8
        .value_kind:     by_value
      - .address_space:  global
        .offset:         24
        .size:           8
        .value_kind:     global_buffer
      - .offset:         32
        .size:           4
        .value_kind:     by_value
      - .offset:         40
        .size:           8
        .value_kind:     by_value
      - .address_space:  global
        .offset:         48
        .size:           8
        .value_kind:     global_buffer
      - .offset:         56
        .size:           1
        .value_kind:     by_value
      - .offset:         57
        .size:           1
        .value_kind:     by_value
    .group_segment_fixed_size: 1960
    .kernarg_segment_align: 8
    .kernarg_segment_size: 60
    .language:       OpenCL C
    .language_version:
      - 2
      - 0
    .max_flat_workgroup_size: 64
    .name:           _ZN9rocsolver6v33100L18getri_kernel_smallILi61E19rocblas_complex_numIdEPKPS3_EEvT1_iilPiilS8_bb
    .private_segment_fixed_size: 1008
    .sgpr_count:     36
    .sgpr_spill_count: 0
    .symbol:         _ZN9rocsolver6v33100L18getri_kernel_smallILi61E19rocblas_complex_numIdEPKPS3_EEvT1_iilPiilS8_bb.kd
    .uniform_work_group_size: 1
    .uses_dynamic_stack: false
    .vgpr_count:     489
    .vgpr_spill_count: 1
    .wavefront_size: 64
  - .agpr_count:     244
    .args:
      - .address_space:  global
        .offset:         0
        .size:           8
        .value_kind:     global_buffer
      - .offset:         8
        .size:           4
        .value_kind:     by_value
      - .offset:         12
        .size:           4
        .value_kind:     by_value
      - .offset:         16
        .size:           8
        .value_kind:     by_value
      - .address_space:  global
        .offset:         24
        .size:           8
        .value_kind:     global_buffer
      - .offset:         32
        .size:           4
        .value_kind:     by_value
      - .offset:         40
        .size:           8
        .value_kind:     by_value
      - .address_space:  global
        .offset:         48
        .size:           8
        .value_kind:     global_buffer
      - .offset:         56
        .size:           1
        .value_kind:     by_value
      - .offset:         57
        .size:           1
        .value_kind:     by_value
    .group_segment_fixed_size: 1992
    .kernarg_segment_align: 8
    .kernarg_segment_size: 60
    .language:       OpenCL C
    .language_version:
      - 2
      - 0
    .max_flat_workgroup_size: 64
    .name:           _ZN9rocsolver6v33100L18getri_kernel_smallILi62E19rocblas_complex_numIdEPKPS3_EEvT1_iilPiilS8_bb
    .private_segment_fixed_size: 1024
    .sgpr_count:     36
    .sgpr_spill_count: 0
    .symbol:         _ZN9rocsolver6v33100L18getri_kernel_smallILi62E19rocblas_complex_numIdEPKPS3_EEvT1_iilPiilS8_bb.kd
    .uniform_work_group_size: 1
    .uses_dynamic_stack: false
    .vgpr_count:     500
    .vgpr_spill_count: 0
    .wavefront_size: 64
  - .agpr_count:     246
    .args:
      - .address_space:  global
        .offset:         0
        .size:           8
        .value_kind:     global_buffer
      - .offset:         8
        .size:           4
        .value_kind:     by_value
      - .offset:         12
        .size:           4
        .value_kind:     by_value
      - .offset:         16
        .size:           8
        .value_kind:     by_value
      - .address_space:  global
        .offset:         24
        .size:           8
        .value_kind:     global_buffer
      - .offset:         32
        .size:           4
        .value_kind:     by_value
      - .offset:         40
        .size:           8
        .value_kind:     by_value
      - .address_space:  global
        .offset:         48
        .size:           8
        .value_kind:     global_buffer
      - .offset:         56
        .size:           1
        .value_kind:     by_value
      - .offset:         57
        .size:           1
        .value_kind:     by_value
    .group_segment_fixed_size: 2024
    .kernarg_segment_align: 8
    .kernarg_segment_size: 60
    .language:       OpenCL C
    .language_version:
      - 2
      - 0
    .max_flat_workgroup_size: 64
    .name:           _ZN9rocsolver6v33100L18getri_kernel_smallILi63E19rocblas_complex_numIdEPKPS3_EEvT1_iilPiilS8_bb
    .private_segment_fixed_size: 1040
    .sgpr_count:     36
    .sgpr_spill_count: 0
    .symbol:         _ZN9rocsolver6v33100L18getri_kernel_smallILi63E19rocblas_complex_numIdEPKPS3_EEvT1_iilPiilS8_bb.kd
    .uniform_work_group_size: 1
    .uses_dynamic_stack: false
    .vgpr_count:     502
    .vgpr_spill_count: 0
    .wavefront_size: 64
  - .agpr_count:     254
    .args:
      - .address_space:  global
        .offset:         0
        .size:           8
        .value_kind:     global_buffer
      - .offset:         8
        .size:           4
        .value_kind:     by_value
      - .offset:         12
        .size:           4
        .value_kind:     by_value
      - .offset:         16
        .size:           8
        .value_kind:     by_value
      - .address_space:  global
        .offset:         24
        .size:           8
        .value_kind:     global_buffer
      - .offset:         32
        .size:           4
        .value_kind:     by_value
      - .offset:         40
        .size:           8
        .value_kind:     by_value
      - .address_space:  global
        .offset:         48
        .size:           8
        .value_kind:     global_buffer
      - .offset:         56
        .size:           1
        .value_kind:     by_value
      - .offset:         57
        .size:           1
        .value_kind:     by_value
    .group_segment_fixed_size: 2056
    .kernarg_segment_align: 8
    .kernarg_segment_size: 60
    .language:       OpenCL C
    .language_version:
      - 2
      - 0
    .max_flat_workgroup_size: 64
    .name:           _ZN9rocsolver6v33100L18getri_kernel_smallILi64E19rocblas_complex_numIdEPKPS3_EEvT1_iilPiilS8_bb
    .private_segment_fixed_size: 1056
    .sgpr_count:     36
    .sgpr_spill_count: 0
    .symbol:         _ZN9rocsolver6v33100L18getri_kernel_smallILi64E19rocblas_complex_numIdEPKPS3_EEvT1_iilPiilS8_bb.kd
    .uniform_work_group_size: 1
    .uses_dynamic_stack: false
    .vgpr_count:     510
    .vgpr_spill_count: 0
    .wavefront_size: 64
amdhsa.target:   amdgcn-amd-amdhsa--gfx90a
amdhsa.version:
  - 1
  - 2
...

	.end_amdgpu_metadata
